;; amdgpu-corpus repo=ROCm/vllm kind=compiled arch=gfx906 opt=O3
	.amdgcn_target "amdgcn-amd-amdhsa--gfx906"
	.amdhsa_code_object_version 6
	.section	.text._ZN4vllm25paged_attention_v1_kernelIffLi32ELi8ELi128ELNS_18Fp8KVCacheDataTypeE0ELb1EEEvPT_PKS2_PKT0_S8_ifPKiSA_iPKfiiiSC_SC_iiiii,"axG",@progbits,_ZN4vllm25paged_attention_v1_kernelIffLi32ELi8ELi128ELNS_18Fp8KVCacheDataTypeE0ELb1EEEvPT_PKS2_PKT0_S8_ifPKiSA_iPKfiiiSC_SC_iiiii,comdat
	.protected	_ZN4vllm25paged_attention_v1_kernelIffLi32ELi8ELi128ELNS_18Fp8KVCacheDataTypeE0ELb1EEEvPT_PKS2_PKT0_S8_ifPKiSA_iPKfiiiSC_SC_iiiii ; -- Begin function _ZN4vllm25paged_attention_v1_kernelIffLi32ELi8ELi128ELNS_18Fp8KVCacheDataTypeE0ELb1EEEvPT_PKS2_PKT0_S8_ifPKiSA_iPKfiiiSC_SC_iiiii
	.globl	_ZN4vllm25paged_attention_v1_kernelIffLi32ELi8ELi128ELNS_18Fp8KVCacheDataTypeE0ELb1EEEvPT_PKS2_PKT0_S8_ifPKiSA_iPKfiiiSC_SC_iiiii
	.p2align	8
	.type	_ZN4vllm25paged_attention_v1_kernelIffLi32ELi8ELi128ELNS_18Fp8KVCacheDataTypeE0ELb1EEEvPT_PKS2_PKT0_S8_ifPKiSA_iPKfiiiSC_SC_iiiii,@function
_ZN4vllm25paged_attention_v1_kernelIffLi32ELi8ELi128ELNS_18Fp8KVCacheDataTypeE0ELb1EEEvPT_PKS2_PKT0_S8_ifPKiSA_iPKfiiiSC_SC_iiiii: ; @_ZN4vllm25paged_attention_v1_kernelIffLi32ELi8ELi128ELNS_18Fp8KVCacheDataTypeE0ELb1EEEvPT_PKS2_PKT0_S8_ifPKiSA_iPKfiiiSC_SC_iiiii
; %bb.0:
	s_load_dword s9, s[4:5], 0x80
	s_load_dwordx2 s[0:1], s[4:5], 0x30
	s_load_dwordx2 s[30:31], s[4:5], 0x20
	s_mov_b32 s10, s7
	s_ashr_i32 s11, s7, 31
	s_lshl_b64 s[2:3], s[10:11], 2
	s_waitcnt lgkmcnt(0)
	s_add_u32 s0, s0, s2
	s_addc_u32 s1, s1, s3
	s_abs_i32 s2, s30
	v_cvt_f32_u32_e32 v1, s2
	s_sub_i32 s11, 0, s2
	s_abs_i32 s7, s9
	s_xor_b32 s3, s9, s30
	v_rcp_iflag_f32_e32 v1, v1
	s_ashr_i32 s3, s3, 31
	s_mov_b32 s42, 0
	v_mul_f32_e32 v1, 0x4f7ffffe, v1
	v_cvt_u32_f32_e32 v1, v1
	v_readfirstlane_b32 s12, v1
	s_mul_i32 s11, s11, s12
	s_mul_hi_u32 s11, s12, s11
	s_add_i32 s12, s12, s11
	s_mul_hi_u32 s11, s7, s12
	s_mul_i32 s12, s11, s2
	s_sub_i32 s7, s7, s12
	s_add_i32 s12, s11, 1
	s_sub_i32 s13, s7, s2
	s_cmp_ge_u32 s7, s2
	s_cselect_b32 s11, s12, s11
	s_cselect_b32 s7, s13, s7
	s_add_i32 s12, s11, 1
	s_cmp_ge_u32 s7, s2
	s_cselect_b32 s2, s12, s11
	s_xor_b32 s2, s2, s3
	s_sub_i32 s12, s2, s3
	s_abs_i32 s22, s12
	v_cvt_f32_u32_e32 v1, s22
	s_load_dwordx2 s[2:3], s[4:5], 0x40
	s_sub_i32 s7, 0, s22
	s_abs_i32 s23, s6
	v_rcp_iflag_f32_e32 v1, v1
	v_mul_f32_e32 v1, 0x4f7ffffe, v1
	v_cvt_u32_f32_e32 v1, v1
	v_readfirstlane_b32 s11, v1
	s_mul_i32 s7, s7, s11
	s_mul_hi_u32 s7, s11, s7
	s_add_i32 s11, s11, s7
	s_waitcnt lgkmcnt(0)
	s_cmp_eq_u64 s[2:3], 0
	s_mul_hi_u32 s24, s23, s11
	s_cbranch_scc1 .LBB0_2
; %bb.1:
	s_ashr_i32 s7, s6, 31
	s_lshl_b64 s[14:15], s[6:7], 2
	s_add_u32 s2, s2, s14
	s_addc_u32 s3, s3, s15
	s_load_dword s42, s[2:3], 0x0
.LBB0_2:
	s_load_dword s11, s[0:1], 0x0
	s_ashr_i32 s7, s12, 31
	s_load_dwordx4 s[12:15], s[4:5], 0x48
	s_ashr_i32 s2, s6, 31
	v_and_b32_e32 v1, 7, v0
	s_lshl_b32 s20, s6, 5
	v_cmp_gt_u32_e32 vcc, 32, v0
	v_lshlrev_b32_e32 v3, 2, v0
	v_lshrrev_b32_e32 v11, 1, v0
	s_and_saveexec_b64 s[0:1], vcc
	s_cbranch_execz .LBB0_4
; %bb.3:
	s_load_dwordx2 s[16:17], s[4:5], 0x8
	s_waitcnt lgkmcnt(0)
	s_mul_i32 s18, s12, s10
	s_ashr_i32 s19, s18, 31
	s_lshl_b64 s[18:19], s[18:19], 2
	v_and_b32_e32 v4, 0x1fc, v11
	s_add_u32 s3, s16, s18
	s_addc_u32 s12, s17, s19
	s_ashr_i32 s21, s20, 31
	s_lshl_b64 s[16:17], s[20:21], 2
	s_add_u32 s16, s3, s16
	s_addc_u32 s17, s12, s17
	global_load_dword v2, v3, s[16:17]
	v_lshl_add_u32 v4, v1, 4, v4
	s_waitcnt vmcnt(0)
	ds_write_b32 v4, v2
.LBB0_4:
	s_or_b64 exec, exec, s[0:1]
	s_mul_i32 s1, s24, s22
	s_sub_i32 s1, s23, s1
	s_xor_b32 s0, s2, s7
	s_add_i32 s2, s24, 1
	s_sub_i32 s7, s1, s22
	s_load_dwordx4 s[16:19], s[4:5], 0x68
	s_load_dword s3, s[4:5], 0x78
	s_cmp_ge_u32 s1, s22
	s_cselect_b32 s2, s2, s24
	s_cselect_b32 s1, s7, s1
	s_add_i32 s7, s2, 1
	s_cmp_ge_u32 s1, s22
	s_cselect_b32 s1, s7, s2
	s_waitcnt lgkmcnt(0)
	s_abs_i32 s21, s19
	v_cvt_f32_u32_e32 v2, s21
	s_xor_b32 s1, s1, s0
	s_sub_i32 s2, s1, s0
	s_sub_i32 s0, 0, s21
	v_rcp_iflag_f32_e32 v2, v2
	s_add_i32 s12, s11, -1
	s_abs_i32 s7, s12
	v_mul_f32_e32 v2, 0x4f7ffffe, v2
	v_cvt_u32_f32_e32 v2, v2
	s_barrier
	v_readfirstlane_b32 s33, v2
	s_mul_i32 s0, s0, s33
	s_mul_hi_u32 s0, s33, s0
	s_add_i32 s33, s33, s0
	s_cmp_lt_i32 s3, 0
	s_mul_hi_u32 s15, s7, s33
	s_cbranch_scc0 .LBB0_6
; %bb.5:
	s_mul_i32 s0, s16, s30
	s_add_i32 s0, s2, s0
	s_mul_i32 s0, s0, s3
	s_sub_i32 s40, 1, s0
	s_mov_b64 s[0:1], 0
	s_branch .LBB0_7
.LBB0_6:
	s_mov_b64 s[0:1], -1
                                        ; implicit-def: $sgpr40
.LBB0_7:
	s_load_dwordx2 s[24:25], s[4:5], 0x28
	s_ashr_i32 s26, s12, 31
	s_andn2_b64 vcc, exec, s[0:1]
	s_ashr_i32 s19, s19, 31
	s_cbranch_vccnz .LBB0_9
; %bb.8:
	s_mul_i32 s0, s9, s16
	s_add_i32 s0, s0, s6
	s_mul_i32 s0, s0, s3
	s_add_i32 s40, s0, 1
.LBB0_9:
	s_load_dword s0, s[4:5], 0x38
	s_load_dwordx2 s[22:23], s[4:5], 0x0
	s_load_dwordx2 s[28:29], s[4:5], 0x18
	s_load_dword s12, s[4:5], 0x88
	s_xor_b32 s1, s26, s19
	s_waitcnt lgkmcnt(0)
	s_mul_i32 s26, s0, s10
	s_mul_i32 s0, s15, s21
	s_sub_i32 s0, s7, s0
	s_ashr_i32 s27, s26, 31
	s_add_i32 s3, s15, 1
	s_sub_i32 s6, s0, s21
	s_cmp_ge_u32 s0, s21
	s_cselect_b32 s3, s3, s15
	s_cselect_b32 s0, s6, s0
	s_add_i32 s6, s3, 1
	s_cmp_ge_u32 s0, s21
	s_cselect_b32 s0, s6, s3
	s_xor_b32 s0, s0, s1
	s_sub_i32 s41, s0, s1
	s_add_i32 s0, s11, 7
	s_ashr_i32 s1, s0, 31
	s_lshr_b32 s1, s1, 29
	s_add_i32 s0, s0, s1
	s_ashr_i32 s16, s0, 3
	v_lshrrev_b32_e32 v12, 6, v0
	v_cmp_gt_i32_e64 s[0:1], s16, v12
	v_mov_b32_e32 v8, 0xff7fffff
	s_mul_i32 s14, s2, s14
	v_lshrrev_b32_e32 v4, 4, v0
	v_lshlrev_b32_e32 v13, 3, v12
	v_mbcnt_lo_u32_b32 v5, -1, 0
	s_and_saveexec_b64 s[34:35], s[0:1]
	s_cbranch_execz .LBB0_21
; %bb.10:
	s_load_dwordx2 s[2:3], s[4:5], 0x10
	s_ashr_i32 s15, s14, 31
	s_sub_i32 s30, s41, s17
	s_lshl_b64 s[4:5], s[14:15], 2
	v_bfe_u32 v6, v0, 3, 3
	s_waitcnt lgkmcnt(0)
	s_add_u32 s2, s2, s4
	s_addc_u32 s3, s3, s5
	s_abs_i32 s15, s18
	v_cvt_f32_u32_e32 v2, s15
	v_lshlrev_b32_e32 v7, 4, v6
	v_mov_b32_e32 v9, s3
	v_add_co_u32_e64 v7, s[2:3], s2, v7
	v_rcp_iflag_f32_e32 v2, v2
	v_and_b32_e32 v10, 3, v0
	v_addc_co_u32_e64 v9, s[2:3], 0, v9, s[2:3]
	v_mul_f32_e32 v2, 0x4f7ffffe, v2
	v_lshlrev_b32_e32 v10, 2, v10
	v_cvt_u32_f32_e32 v2, v2
	v_add_co_u32_e64 v10, s[2:3], v7, v10
	v_addc_co_u32_e64 v14, s[2:3], 0, v9, s[2:3]
	s_sub_i32 s2, 0, s15
	v_cmp_eq_u32_e32 vcc, 0, v1
	v_lshlrev_b32_e32 v7, 4, v1
	v_mul_lo_u32 v1, s2, v2
	v_lshlrev_b32_e32 v9, 5, v0
	v_and_b32_e32 v9, 0x80, v9
	v_add_co_u32_e64 v9, s[4:5], v10, v9
	v_mul_hi_u32 v1, v2, v1
	v_addc_co_u32_e64 v10, s[4:5], 0, v14, s[4:5]
	s_lshl_b64 s[4:5], s[26:27], 2
	v_lshlrev_b32_e32 v8, 2, v6
	s_add_u32 s4, s24, s4
	v_add_u32_e32 v14, v2, v1
	v_and_b32_e32 v1, 60, v4
	s_addc_u32 s5, s25, s5
	v_lshl_or_b32 v8, v12, 5, v8
	v_mbcnt_hi_u32_b32 v19, -1, v5
	v_mov_b32_e32 v2, s5
	v_add_co_u32_e64 v1, s[4:5], s4, v1
	v_subrev_u32_e32 v16, s11, v6
	v_add_u32_e32 v17, 0x90, v8
	v_and_b32_e32 v8, 64, v19
	s_mov_b32 s43, s13
	v_cmp_neq_f32_e64 s[2:3], s42, 0
	v_addc_co_u32_e64 v2, s[4:5], 0, v2, s[4:5]
	v_lshlrev_b32_e32 v15, 3, v12
	v_add_u32_e32 v16, 1, v16
	v_mov_b32_e32 v18, 0xff7fffff
	s_mov_b64 s[36:37], 0
	v_add_u32_e32 v20, 64, v8
	v_xor_b32_e32 v21, 4, v19
	v_xor_b32_e32 v22, 2, v19
	v_mov_b32_e32 v8, 0xff7fffff
	v_mov_b32_e32 v23, v12
	s_branch .LBB0_13
.LBB0_11:                               ;   in Loop: Header=BB0_13 Depth=1
	s_or_b64 exec, exec, s[38:39]
.LBB0_12:                               ;   in Loop: Header=BB0_13 Depth=1
	s_or_b64 exec, exec, s[6:7]
	v_add_co_u32_e64 v1, s[4:5], 8, v1
	v_add_u32_e32 v23, 2, v23
	v_addc_co_u32_e64 v2, s[4:5], 0, v2, s[4:5]
	v_cmp_le_i32_e64 s[4:5], s16, v23
	v_add_u32_e32 v15, 16, v15
	s_or_b64 s[36:37], s[4:5], s[36:37]
	v_add_u32_e32 v17, 64, v17
	s_andn2_b64 exec, exec, s[36:37]
	s_cbranch_execz .LBB0_20
.LBB0_13:                               ; =>This Inner Loop Header: Depth=1
	v_mul_hi_u32 v24, v15, s33
	s_waitcnt lgkmcnt(0)
	v_mul_lo_u32 v25, v24, s21
	v_add_u32_e32 v26, 1, v24
	v_sub_u32_e32 v25, v15, v25
	v_cmp_le_u32_e64 s[4:5], s21, v25
	v_cndmask_b32_e64 v24, v24, v26, s[4:5]
	v_subrev_u32_e32 v26, s21, v25
	v_cndmask_b32_e64 v25, v25, v26, s[4:5]
	v_add_u32_e32 v26, 1, v24
	v_cmp_le_u32_e64 s[4:5], s21, v25
	v_cndmask_b32_e64 v24, v24, v26, s[4:5]
	v_xor_b32_e32 v24, s19, v24
	v_subrev_u32_e32 v24, s19, v24
	v_add_u32_e32 v25, s40, v24
	v_sub_u32_e32 v26, 0, v25
	v_max_i32_e32 v26, v25, v26
	v_mul_hi_u32 v27, v26, v14
	v_ashrrev_i32_e32 v25, 31, v25
	v_cmp_ge_i32_e64 s[6:7], s30, v24
	v_mul_lo_u32 v27, v27, s15
	v_sub_u32_e32 v26, v26, v27
	v_subrev_u32_e32 v27, s15, v26
	v_cmp_le_u32_e64 s[4:5], s15, v26
	v_cndmask_b32_e64 v26, v26, v27, s[4:5]
	v_subrev_u32_e32 v27, s15, v26
	v_cmp_le_u32_e64 s[4:5], s15, v26
	v_cndmask_b32_e64 v26, v26, v27, s[4:5]
	v_xor_b32_e32 v26, v26, v25
	v_sub_u32_e32 v25, v26, v25
	v_cmp_ne_u32_e64 s[4:5], 0, v25
	s_and_b64 s[4:5], s[4:5], s[6:7]
	s_and_saveexec_b64 s[6:7], s[4:5]
	s_xor_b64 s[4:5], exec, s[6:7]
	s_cbranch_execz .LBB0_17
; %bb.14:                               ;   in Loop: Header=BB0_13 Depth=1
	s_and_saveexec_b64 s[6:7], vcc
; %bb.15:                               ;   in Loop: Header=BB0_13 Depth=1
	ds_write_b32 v17, v18
; %bb.16:                               ;   in Loop: Header=BB0_13 Depth=1
	s_or_b64 exec, exec, s[6:7]
.LBB0_17:                               ;   in Loop: Header=BB0_13 Depth=1
	s_andn2_saveexec_b64 s[6:7], s[4:5]
	s_cbranch_execz .LBB0_12
; %bb.18:                               ;   in Loop: Header=BB0_13 Depth=1
	global_load_dword v24, v[1:2], off
	s_waitcnt vmcnt(0)
	v_mad_i64_i32 v[24:25], s[4:5], v24, s43, 0
	v_lshlrev_b64 v[24:25], 2, v[24:25]
	v_add_co_u32_e64 v24, s[4:5], v9, v24
	v_addc_co_u32_e64 v25, s[4:5], v10, v25, s[4:5]
	global_load_dword v28, v[24:25], off offset:256
	global_load_dword v29, v[24:25], off
	global_load_dword v30, v[24:25], off offset:512
	global_load_dword v31, v[24:25], off offset:768
	ds_read_b128 v[24:27], v7
	v_cmp_lt_i32_e64 s[4:5], v21, v20
	v_cndmask_b32_e64 v32, v19, v21, s[4:5]
	v_lshlrev_b32_e32 v32, 2, v32
	v_cmp_lt_i32_e64 s[4:5], v22, v20
	s_waitcnt vmcnt(3) lgkmcnt(0)
	v_mul_f32_e32 v25, v25, v28
	s_waitcnt vmcnt(2)
	v_fmac_f32_e32 v25, v24, v29
	s_waitcnt vmcnt(1)
	v_fmac_f32_e32 v25, v26, v30
	s_waitcnt vmcnt(0)
	v_fmac_f32_e32 v25, v27, v31
	ds_bpermute_b32 v24, v32, v25
	v_cndmask_b32_e64 v26, v19, v22, s[4:5]
	v_lshlrev_b32_e32 v26, 2, v26
	s_waitcnt lgkmcnt(0)
	v_add_f32_e32 v24, v25, v24
	ds_bpermute_b32 v25, v26, v24
	v_xor_b32_e32 v26, 1, v19
	v_cmp_lt_i32_e64 s[4:5], v26, v20
	v_cndmask_b32_e64 v26, v19, v26, s[4:5]
	v_lshlrev_b32_e32 v26, 2, v26
	s_waitcnt lgkmcnt(0)
	v_add_f32_e32 v24, v24, v25
	ds_bpermute_b32 v25, v26, v24
	s_and_saveexec_b64 s[38:39], vcc
	s_cbranch_execz .LBB0_11
; %bb.19:                               ;   in Loop: Header=BB0_13 Depth=1
	v_add_u32_e32 v26, v16, v15
	v_cvt_f32_i32_e32 v26, v26
	s_waitcnt lgkmcnt(0)
	v_add_f32_e32 v24, v24, v25
	v_add_u32_e32 v27, v6, v15
	v_cmp_gt_i32_e64 s[4:5], s11, v27
	v_mul_f32_e32 v25, s42, v26
	v_cndmask_b32_e64 v25, 0, v25, s[2:3]
	v_fmac_f32_e32 v25, s31, v24
	v_cndmask_b32_e64 v24, 0, v25, s[4:5]
	ds_write_b32 v17, v24
	v_max_f32_e32 v24, v8, v8
	v_max_f32_e32 v24, v24, v25
	v_cndmask_b32_e64 v8, v8, v24, s[4:5]
	s_branch .LBB0_11
.LBB0_20:
	s_or_b64 exec, exec, s[36:37]
.LBB0_21:
	s_or_b64 exec, exec, s[34:35]
	v_mbcnt_hi_u32_b32 v1, -1, v5
	v_and_b32_e32 v10, 64, v1
	v_add_u32_e32 v2, 64, v10
	v_xor_b32_e32 v5, 32, v1
	v_cmp_lt_i32_e32 vcc, v5, v2
	v_cndmask_b32_e32 v5, v1, v5, vcc
	v_lshlrev_b32_e32 v6, 2, v5
	ds_bpermute_b32 v5, v6, v8
	v_max_f32_e32 v7, v8, v8
	v_xor_b32_e32 v8, 16, v1
	v_cmp_lt_i32_e32 vcc, v8, v2
	v_xor_b32_e32 v9, 8, v1
	s_waitcnt lgkmcnt(0)
	v_max_f32_e32 v5, v5, v5
	v_max_f32_e32 v5, v7, v5
	v_cndmask_b32_e32 v7, v1, v8, vcc
	v_lshlrev_b32_e32 v8, 2, v7
	ds_bpermute_b32 v7, v8, v5
	v_cmp_lt_i32_e32 vcc, v9, v2
	v_and_b32_e32 v14, 63, v0
	s_waitcnt lgkmcnt(0)
	v_max_f32_e32 v7, v7, v7
	v_max_f32_e32 v7, v5, v7
	v_cndmask_b32_e32 v5, v1, v9, vcc
	v_lshlrev_b32_e32 v9, 2, v5
	ds_bpermute_b32 v15, v9, v7
	v_cmp_eq_u32_e32 vcc, 0, v14
	v_lshlrev_b32_e32 v5, 2, v12
	s_and_saveexec_b64 s[2:3], vcc
	s_cbranch_execz .LBB0_23
; %bb.22:
	s_waitcnt lgkmcnt(0)
	v_max_f32_e32 v15, v15, v15
	v_max_f32_e32 v7, v7, v7
	;; [unrolled: 1-line block ×3, first 2 shown]
	ds_write_b32 v5, v7 offset:128
.LBB0_23:
	s_or_b64 exec, exec, s[2:3]
	v_cmp_gt_u32_e64 s[2:3], 2, v14
	v_mov_b32_e32 v16, 0xff7fffff
	v_lshlrev_b32_e32 v7, 2, v14
	s_waitcnt lgkmcnt(0)
	s_barrier
	s_and_saveexec_b64 s[4:5], s[2:3]
; %bb.24:
	ds_read_b32 v16, v7 offset:128
; %bb.25:
	s_or_b64 exec, exec, s[4:5]
	v_xor_b32_e32 v15, 1, v1
	v_cmp_lt_i32_e64 s[4:5], v15, v2
	v_cndmask_b32_e64 v15, v1, v15, s[4:5]
	v_lshlrev_b32_e32 v15, 2, v15
	s_waitcnt lgkmcnt(0)
	ds_bpermute_b32 v17, v15, v16
	v_max_f32_e32 v16, v16, v16
	v_lshlrev_b32_e32 v10, 2, v10
	s_lshl_b32 s4, s16, 3
	s_min_i32 s15, s4, s11
	s_waitcnt lgkmcnt(0)
	v_max_f32_e32 v17, v17, v17
	v_max_f32_e32 v16, v16, v17
	ds_bpermute_b32 v16, v10, v16
	v_cmp_gt_i32_e64 s[4:5], s15, v0
	v_mov_b32_e32 v10, 0
	s_and_saveexec_b64 s[30:31], s[4:5]
	s_cbranch_execz .LBB0_29
; %bb.26:
	v_mov_b32_e32 v10, 0x90
	v_lshl_add_u32 v17, v0, 2, v10
	v_mov_b32_e32 v10, 0
	s_mov_b64 s[34:35], 0
	v_mov_b32_e32 v18, v0
.LBB0_27:                               ; =>This Inner Loop Header: Depth=1
	ds_read_b32 v19, v17
	v_add_u32_e32 v18, 0x80, v18
	v_cmp_le_i32_e64 s[6:7], s15, v18
	s_or_b64 s[34:35], s[6:7], s[34:35]
	s_waitcnt lgkmcnt(0)
	v_sub_f32_e32 v19, v19, v16
	v_mul_f32_e32 v19, 0x3fb8aa3b, v19
	v_exp_f32_e32 v19, v19
	ds_write_b32 v17, v19
	v_add_f32_e32 v10, v10, v19
	v_add_u32_e32 v17, 0x200, v17
	s_andn2_b64 exec, exec, s[34:35]
	s_cbranch_execnz .LBB0_27
; %bb.28:
	s_or_b64 exec, exec, s[34:35]
.LBB0_29:
	s_or_b64 exec, exec, s[30:31]
	ds_bpermute_b32 v6, v6, v10
	s_waitcnt lgkmcnt(0)
	v_add_f32_e32 v6, v10, v6
	ds_bpermute_b32 v8, v8, v6
	s_waitcnt lgkmcnt(0)
	v_add_f32_e32 v6, v6, v8
	ds_bpermute_b32 v8, v9, v6
	v_xor_b32_e32 v9, 4, v1
	v_cmp_lt_i32_e64 s[6:7], v9, v2
	v_cndmask_b32_e64 v9, v1, v9, s[6:7]
	v_lshlrev_b32_e32 v9, 2, v9
	s_waitcnt lgkmcnt(0)
	v_add_f32_e32 v6, v6, v8
	ds_bpermute_b32 v8, v9, v6
	v_xor_b32_e32 v9, 2, v1
	v_cmp_lt_i32_e64 s[6:7], v9, v2
	v_cndmask_b32_e64 v2, v1, v9, s[6:7]
	v_lshlrev_b32_e32 v2, 2, v2
	s_waitcnt lgkmcnt(0)
	v_add_f32_e32 v6, v6, v8
	ds_bpermute_b32 v2, v2, v6
	s_waitcnt lgkmcnt(0)
	v_add_f32_e32 v2, v6, v2
	ds_bpermute_b32 v6, v15, v2
	s_waitcnt lgkmcnt(0)
	v_add_f32_e32 v2, v2, v6
	s_and_saveexec_b64 s[6:7], vcc
; %bb.30:
	ds_write_b32 v5, v2 offset:136
; %bb.31:
	s_or_b64 exec, exec, s[6:7]
	s_waitcnt lgkmcnt(0)
	s_barrier
	s_and_saveexec_b64 s[6:7], s[2:3]
; %bb.32:
	ds_read_b32 v2, v7 offset:136
; %bb.33:
	s_or_b64 exec, exec, s[6:7]
	s_waitcnt lgkmcnt(0)
	ds_bpermute_b32 v5, v15, v2
	v_lshlrev_b32_e32 v1, 2, v1
	v_and_b32_e32 v1, 0x100, v1
	s_waitcnt lgkmcnt(0)
	v_add_f32_e32 v2, v2, v5
	ds_bpermute_b32 v1, v1, v2
	s_and_saveexec_b64 s[2:3], s[4:5]
	s_cbranch_execz .LBB0_36
; %bb.34:
	s_waitcnt lgkmcnt(0)
	v_add_f32_e32 v2, 0x358637bd, v1
	v_div_scale_f32 v1, s[4:5], v2, v2, 1.0
	v_div_scale_f32 v5, vcc, 1.0, v2, 1.0
	s_mov_b64 s[4:5], 0
	v_rcp_f32_e32 v6, v1
	v_fma_f32 v7, -v1, v6, 1.0
	v_fmac_f32_e32 v6, v7, v6
	v_mul_f32_e32 v7, v5, v6
	v_fma_f32 v8, -v1, v7, v5
	v_fmac_f32_e32 v7, v8, v6
	v_fma_f32 v1, -v1, v7, v5
	v_div_fmas_f32 v5, v1, v6, v7
	v_mov_b32_e32 v1, 0x90
	v_lshl_add_u32 v1, v0, 2, v1
	v_div_fixup_f32 v2, v5, v2, 1.0
	v_mov_b32_e32 v5, v0
.LBB0_35:                               ; =>This Inner Loop Header: Depth=1
	ds_read_b32 v6, v1
	v_add_u32_e32 v5, 0x80, v5
	v_cmp_le_i32_e32 vcc, s15, v5
	s_or_b64 s[4:5], vcc, s[4:5]
	s_waitcnt lgkmcnt(0)
	v_mul_f32_e32 v6, v2, v6
	ds_write_b32 v1, v6
	v_add_u32_e32 v1, 0x200, v1
	s_andn2_b64 exec, exec, s[4:5]
	s_cbranch_execnz .LBB0_35
.LBB0_36:
	s_or_b64 exec, exec, s[2:3]
	v_mov_b32_e32 v16, 0
	s_waitcnt lgkmcnt(0)
	s_barrier
	s_and_saveexec_b64 s[2:3], s[0:1]
	s_cbranch_execz .LBB0_44
; %bb.37:
	s_ashr_i32 s15, s14, 31
	s_sub_i32 s17, s41, s17
	s_lshl_b64 s[0:1], s[14:15], 2
	s_add_u32 s0, s28, s0
	s_addc_u32 s1, s29, s1
	s_abs_i32 s14, s18
	v_cvt_f32_u32_e32 v1, s14
	s_sub_i32 s4, 0, s14
	v_and_b32_e32 v17, 4, v3
	v_and_b32_e32 v3, 60, v4
	v_rcp_iflag_f32_e32 v1, v1
	v_lshlrev_b32_e32 v2, 4, v0
	v_and_b32_e32 v2, 0x3f0, v2
	s_add_i32 s15, s16, -1
	v_mul_f32_e32 v1, 0x4f7ffffe, v1
	v_cvt_u32_f32_e32 v1, v1
	v_mov_b32_e32 v5, s1
	v_add_co_u32_e32 v18, vcc, s0, v2
	v_mul_lo_u32 v4, s4, v1
	s_lshl_b64 s[0:1], s[26:27], 2
	s_add_u32 s0, s24, s0
	v_addc_co_u32_e32 v19, vcc, 0, v5, vcc
	v_mul_hi_u32 v4, v1, v4
	s_addc_u32 s1, s25, s1
	v_add_co_u32_e32 v9, vcc, s0, v3
	v_add_u32_e32 v20, v1, v4
	v_mov_b32_e32 v1, s1
	v_addc_co_u32_e32 v10, vcc, 0, v1, vcc
	v_and_b32_e32 v1, 1, v0
	v_lshlrev_b32_e32 v1, 4, v1
	v_lshl_or_b32 v1, v12, 5, v1
	v_mov_b32_e32 v16, 0
	v_add_u32_e32 v21, 0x90, v1
	s_mov_b64 s[4:5], 0
	s_branch .LBB0_40
.LBB0_38:                               ;   in Loop: Header=BB0_40 Depth=1
	s_or_b64 exec, exec, s[6:7]
	s_waitcnt vmcnt(0) lgkmcnt(0)
	v_mul_f32_e32 v1, v5, v1
	v_fmac_f32_e32 v1, v6, v2
	v_fmac_f32_e32 v1, v7, v3
	;; [unrolled: 1-line block ×3, first 2 shown]
	v_add_f32_e32 v16, v16, v1
.LBB0_39:                               ;   in Loop: Header=BB0_40 Depth=1
	s_or_b64 exec, exec, s[0:1]
	v_add_co_u32_e32 v9, vcc, 8, v9
	v_add_u32_e32 v12, 2, v12
	v_addc_co_u32_e32 v10, vcc, 0, v10, vcc
	v_cmp_le_i32_e32 vcc, s16, v12
	v_add_u32_e32 v13, 16, v13
	s_or_b64 s[4:5], vcc, s[4:5]
	v_add_u32_e32 v21, 64, v21
	s_andn2_b64 exec, exec, s[4:5]
	s_cbranch_execz .LBB0_43
.LBB0_40:                               ; =>This Inner Loop Header: Depth=1
	v_mul_hi_u32 v1, v13, s33
	v_mul_lo_u32 v2, v1, s21
	v_add_u32_e32 v3, 1, v1
	v_sub_u32_e32 v2, v13, v2
	v_cmp_le_u32_e32 vcc, s21, v2
	v_cndmask_b32_e32 v1, v1, v3, vcc
	v_subrev_u32_e32 v3, s21, v2
	v_cndmask_b32_e32 v2, v2, v3, vcc
	v_add_u32_e32 v3, 1, v1
	v_cmp_le_u32_e32 vcc, s21, v2
	v_cndmask_b32_e32 v1, v1, v3, vcc
	v_xor_b32_e32 v1, s19, v1
	v_subrev_u32_e32 v1, s19, v1
	v_add_u32_e32 v2, s40, v1
	v_sub_u32_e32 v3, 0, v2
	v_max_i32_e32 v3, v2, v3
	v_mul_hi_u32 v4, v3, v20
	v_ashrrev_i32_e32 v2, 31, v2
	v_cmp_lt_i32_e64 s[0:1], s17, v1
	v_mul_lo_u32 v4, v4, s14
	v_sub_u32_e32 v3, v3, v4
	v_subrev_u32_e32 v4, s14, v3
	v_cmp_le_u32_e32 vcc, s14, v3
	v_cndmask_b32_e32 v3, v3, v4, vcc
	v_subrev_u32_e32 v4, s14, v3
	v_cmp_le_u32_e32 vcc, s14, v3
	v_cndmask_b32_e32 v3, v3, v4, vcc
	v_xor_b32_e32 v3, v3, v2
	v_sub_u32_e32 v2, v3, v2
	v_cmp_eq_u32_e32 vcc, 0, v2
	s_or_b64 s[6:7], vcc, s[0:1]
	s_and_saveexec_b64 s[0:1], s[6:7]
	s_cbranch_execz .LBB0_39
; %bb.41:                               ;   in Loop: Header=BB0_40 Depth=1
	global_load_dword v1, v[9:10], off
	ds_read_b128 v[5:8], v21
	s_waitcnt vmcnt(0)
	v_mad_i64_i32 v[1:2], s[6:7], v1, s13, 0
	v_lshlrev_b64 v[1:2], 2, v[1:2]
	v_add_co_u32_e32 v1, vcc, v18, v1
	v_addc_co_u32_e32 v2, vcc, v19, v2, vcc
	global_load_dwordx4 v[1:4], v[1:2], off
	v_cmp_eq_u32_e32 vcc, s15, v12
	s_and_saveexec_b64 s[6:7], vcc
	s_cbranch_execz .LBB0_38
; %bb.42:                               ;   in Loop: Header=BB0_40 Depth=1
	v_add_u32_e32 v22, v17, v13
	v_cmp_gt_i32_e32 vcc, s11, v22
	v_add_u32_e32 v23, 1, v22
	s_waitcnt vmcnt(0)
	v_cndmask_b32_e32 v1, 0, v1, vcc
	v_cmp_gt_i32_e32 vcc, s11, v23
	v_add_u32_e32 v23, 2, v22
	v_cndmask_b32_e32 v2, 0, v2, vcc
	v_cmp_gt_i32_e32 vcc, s11, v23
	v_add_u32_e32 v22, 3, v22
	v_cndmask_b32_e32 v3, 0, v3, vcc
	v_cmp_gt_i32_e32 vcc, s11, v22
	v_cndmask_b32_e32 v4, 0, v4, vcc
	s_branch .LBB0_38
.LBB0_43:
	s_or_b64 exec, exec, s[4:5]
.LBB0_44:
	s_or_b64 exec, exec, s[2:3]
	ds_bpermute_b32 v2, v15, v16
	v_and_b32_e32 v1, 0x3c1, v0
	v_cmp_eq_u32_e32 vcc, 64, v1
	s_waitcnt lgkmcnt(0)
	s_barrier
	v_add_f32_e32 v0, v16, v2
	s_and_saveexec_b64 s[0:1], vcc
; %bb.45:
	v_mov_b32_e32 v2, 0x90
	v_lshl_add_u32 v2, v14, 1, v2
	ds_write_b32 v2, v0
; %bb.46:
	s_or_b64 exec, exec, s[0:1]
	v_cmp_eq_u32_e32 vcc, 0, v1
	s_waitcnt lgkmcnt(0)
	s_barrier
	s_and_saveexec_b64 s[0:1], vcc
	s_cbranch_execz .LBB0_48
; %bb.47:
	v_mov_b32_e32 v1, 0x90
	v_lshl_add_u32 v1, v11, 2, v1
	ds_read_b32 v1, v1
	s_waitcnt lgkmcnt(0)
	v_add_f32_e32 v0, v0, v1
.LBB0_48:
	s_or_b64 exec, exec, s[0:1]
	s_barrier
	s_and_saveexec_b64 s[0:1], vcc
	s_cbranch_execz .LBB0_50
; %bb.49:
	s_mul_i32 s0, s10, s12
	s_mul_i32 s0, s0, s9
	s_lshl_b32 s0, s0, 5
	s_ashr_i32 s1, s0, 31
	s_lshl_b64 s[0:1], s[0:1], 2
	s_add_u32 s2, s22, s0
	s_mul_i32 s0, s12, s20
	s_addc_u32 s3, s23, s1
	s_ashr_i32 s1, s0, 31
	s_lshl_b64 s[0:1], s[0:1], 2
	s_add_u32 s2, s2, s0
	s_addc_u32 s3, s3, s1
	s_lshl_b32 s0, s8, 5
	s_ashr_i32 s1, s0, 31
	s_lshl_b64 s[0:1], s[0:1], 2
	s_add_u32 s0, s2, s0
	s_addc_u32 s1, s3, s1
	v_lshlrev_b32_e32 v1, 2, v11
	global_store_dword v1, v0, s[0:1]
.LBB0_50:
	s_endpgm
	.section	.rodata,"a",@progbits
	.p2align	6, 0x0
	.amdhsa_kernel _ZN4vllm25paged_attention_v1_kernelIffLi32ELi8ELi128ELNS_18Fp8KVCacheDataTypeE0ELb1EEEvPT_PKS2_PKT0_S8_ifPKiSA_iPKfiiiSC_SC_iiiii
		.amdhsa_group_segment_fixed_size 144
		.amdhsa_private_segment_fixed_size 0
		.amdhsa_kernarg_size 384
		.amdhsa_user_sgpr_count 6
		.amdhsa_user_sgpr_private_segment_buffer 1
		.amdhsa_user_sgpr_dispatch_ptr 0
		.amdhsa_user_sgpr_queue_ptr 0
		.amdhsa_user_sgpr_kernarg_segment_ptr 1
		.amdhsa_user_sgpr_dispatch_id 0
		.amdhsa_user_sgpr_flat_scratch_init 0
		.amdhsa_user_sgpr_private_segment_size 0
		.amdhsa_uses_dynamic_stack 0
		.amdhsa_system_sgpr_private_segment_wavefront_offset 0
		.amdhsa_system_sgpr_workgroup_id_x 1
		.amdhsa_system_sgpr_workgroup_id_y 1
		.amdhsa_system_sgpr_workgroup_id_z 1
		.amdhsa_system_sgpr_workgroup_info 0
		.amdhsa_system_vgpr_workitem_id 0
		.amdhsa_next_free_vgpr 33
		.amdhsa_next_free_sgpr 44
		.amdhsa_reserve_vcc 1
		.amdhsa_reserve_flat_scratch 0
		.amdhsa_float_round_mode_32 0
		.amdhsa_float_round_mode_16_64 0
		.amdhsa_float_denorm_mode_32 3
		.amdhsa_float_denorm_mode_16_64 3
		.amdhsa_dx10_clamp 1
		.amdhsa_ieee_mode 1
		.amdhsa_fp16_overflow 0
		.amdhsa_exception_fp_ieee_invalid_op 0
		.amdhsa_exception_fp_denorm_src 0
		.amdhsa_exception_fp_ieee_div_zero 0
		.amdhsa_exception_fp_ieee_overflow 0
		.amdhsa_exception_fp_ieee_underflow 0
		.amdhsa_exception_fp_ieee_inexact 0
		.amdhsa_exception_int_div_zero 0
	.end_amdhsa_kernel
	.section	.text._ZN4vllm25paged_attention_v1_kernelIffLi32ELi8ELi128ELNS_18Fp8KVCacheDataTypeE0ELb1EEEvPT_PKS2_PKT0_S8_ifPKiSA_iPKfiiiSC_SC_iiiii,"axG",@progbits,_ZN4vllm25paged_attention_v1_kernelIffLi32ELi8ELi128ELNS_18Fp8KVCacheDataTypeE0ELb1EEEvPT_PKS2_PKT0_S8_ifPKiSA_iPKfiiiSC_SC_iiiii,comdat
.Lfunc_end0:
	.size	_ZN4vllm25paged_attention_v1_kernelIffLi32ELi8ELi128ELNS_18Fp8KVCacheDataTypeE0ELb1EEEvPT_PKS2_PKT0_S8_ifPKiSA_iPKfiiiSC_SC_iiiii, .Lfunc_end0-_ZN4vllm25paged_attention_v1_kernelIffLi32ELi8ELi128ELNS_18Fp8KVCacheDataTypeE0ELb1EEEvPT_PKS2_PKT0_S8_ifPKiSA_iPKfiiiSC_SC_iiiii
                                        ; -- End function
	.set _ZN4vllm25paged_attention_v1_kernelIffLi32ELi8ELi128ELNS_18Fp8KVCacheDataTypeE0ELb1EEEvPT_PKS2_PKT0_S8_ifPKiSA_iPKfiiiSC_SC_iiiii.num_vgpr, 33
	.set _ZN4vllm25paged_attention_v1_kernelIffLi32ELi8ELi128ELNS_18Fp8KVCacheDataTypeE0ELb1EEEvPT_PKS2_PKT0_S8_ifPKiSA_iPKfiiiSC_SC_iiiii.num_agpr, 0
	.set _ZN4vllm25paged_attention_v1_kernelIffLi32ELi8ELi128ELNS_18Fp8KVCacheDataTypeE0ELb1EEEvPT_PKS2_PKT0_S8_ifPKiSA_iPKfiiiSC_SC_iiiii.numbered_sgpr, 44
	.set _ZN4vllm25paged_attention_v1_kernelIffLi32ELi8ELi128ELNS_18Fp8KVCacheDataTypeE0ELb1EEEvPT_PKS2_PKT0_S8_ifPKiSA_iPKfiiiSC_SC_iiiii.num_named_barrier, 0
	.set _ZN4vllm25paged_attention_v1_kernelIffLi32ELi8ELi128ELNS_18Fp8KVCacheDataTypeE0ELb1EEEvPT_PKS2_PKT0_S8_ifPKiSA_iPKfiiiSC_SC_iiiii.private_seg_size, 0
	.set _ZN4vllm25paged_attention_v1_kernelIffLi32ELi8ELi128ELNS_18Fp8KVCacheDataTypeE0ELb1EEEvPT_PKS2_PKT0_S8_ifPKiSA_iPKfiiiSC_SC_iiiii.uses_vcc, 1
	.set _ZN4vllm25paged_attention_v1_kernelIffLi32ELi8ELi128ELNS_18Fp8KVCacheDataTypeE0ELb1EEEvPT_PKS2_PKT0_S8_ifPKiSA_iPKfiiiSC_SC_iiiii.uses_flat_scratch, 0
	.set _ZN4vllm25paged_attention_v1_kernelIffLi32ELi8ELi128ELNS_18Fp8KVCacheDataTypeE0ELb1EEEvPT_PKS2_PKT0_S8_ifPKiSA_iPKfiiiSC_SC_iiiii.has_dyn_sized_stack, 0
	.set _ZN4vllm25paged_attention_v1_kernelIffLi32ELi8ELi128ELNS_18Fp8KVCacheDataTypeE0ELb1EEEvPT_PKS2_PKT0_S8_ifPKiSA_iPKfiiiSC_SC_iiiii.has_recursion, 0
	.set _ZN4vllm25paged_attention_v1_kernelIffLi32ELi8ELi128ELNS_18Fp8KVCacheDataTypeE0ELb1EEEvPT_PKS2_PKT0_S8_ifPKiSA_iPKfiiiSC_SC_iiiii.has_indirect_call, 0
	.section	.AMDGPU.csdata,"",@progbits
; Kernel info:
; codeLenInByte = 3228
; TotalNumSgprs: 48
; NumVgprs: 33
; ScratchSize: 0
; MemoryBound: 0
; FloatMode: 240
; IeeeMode: 1
; LDSByteSize: 144 bytes/workgroup (compile time only)
; SGPRBlocks: 5
; VGPRBlocks: 8
; NumSGPRsForWavesPerEU: 48
; NumVGPRsForWavesPerEU: 33
; Occupancy: 7
; WaveLimiterHint : 1
; COMPUTE_PGM_RSRC2:SCRATCH_EN: 0
; COMPUTE_PGM_RSRC2:USER_SGPR: 6
; COMPUTE_PGM_RSRC2:TRAP_HANDLER: 0
; COMPUTE_PGM_RSRC2:TGID_X_EN: 1
; COMPUTE_PGM_RSRC2:TGID_Y_EN: 1
; COMPUTE_PGM_RSRC2:TGID_Z_EN: 1
; COMPUTE_PGM_RSRC2:TIDIG_COMP_CNT: 0
	.section	.text._ZN4vllm25paged_attention_v1_kernelIffLi64ELi8ELi128ELNS_18Fp8KVCacheDataTypeE0ELb1EEEvPT_PKS2_PKT0_S8_ifPKiSA_iPKfiiiSC_SC_iiiii,"axG",@progbits,_ZN4vllm25paged_attention_v1_kernelIffLi64ELi8ELi128ELNS_18Fp8KVCacheDataTypeE0ELb1EEEvPT_PKS2_PKT0_S8_ifPKiSA_iPKfiiiSC_SC_iiiii,comdat
	.protected	_ZN4vllm25paged_attention_v1_kernelIffLi64ELi8ELi128ELNS_18Fp8KVCacheDataTypeE0ELb1EEEvPT_PKS2_PKT0_S8_ifPKiSA_iPKfiiiSC_SC_iiiii ; -- Begin function _ZN4vllm25paged_attention_v1_kernelIffLi64ELi8ELi128ELNS_18Fp8KVCacheDataTypeE0ELb1EEEvPT_PKS2_PKT0_S8_ifPKiSA_iPKfiiiSC_SC_iiiii
	.globl	_ZN4vllm25paged_attention_v1_kernelIffLi64ELi8ELi128ELNS_18Fp8KVCacheDataTypeE0ELb1EEEvPT_PKS2_PKT0_S8_ifPKiSA_iPKfiiiSC_SC_iiiii
	.p2align	8
	.type	_ZN4vllm25paged_attention_v1_kernelIffLi64ELi8ELi128ELNS_18Fp8KVCacheDataTypeE0ELb1EEEvPT_PKS2_PKT0_S8_ifPKiSA_iPKfiiiSC_SC_iiiii,@function
_ZN4vllm25paged_attention_v1_kernelIffLi64ELi8ELi128ELNS_18Fp8KVCacheDataTypeE0ELb1EEEvPT_PKS2_PKT0_S8_ifPKiSA_iPKfiiiSC_SC_iiiii: ; @_ZN4vllm25paged_attention_v1_kernelIffLi64ELi8ELi128ELNS_18Fp8KVCacheDataTypeE0ELb1EEEvPT_PKS2_PKT0_S8_ifPKiSA_iPKfiiiSC_SC_iiiii
; %bb.0:
	s_load_dword s9, s[4:5], 0x80
	s_load_dwordx2 s[0:1], s[4:5], 0x30
	s_load_dwordx2 s[34:35], s[4:5], 0x20
	s_mov_b32 s20, s7
	s_ashr_i32 s21, s7, 31
	s_lshl_b64 s[2:3], s[20:21], 2
	s_waitcnt lgkmcnt(0)
	s_add_u32 s0, s0, s2
	s_addc_u32 s1, s1, s3
	s_abs_i32 s2, s34
	v_cvt_f32_u32_e32 v1, s2
	s_sub_i32 s10, 0, s2
	s_abs_i32 s7, s9
	s_xor_b32 s3, s9, s34
	v_rcp_iflag_f32_e32 v1, v1
	s_ashr_i32 s3, s3, 31
	s_mov_b32 s44, 0
	v_mul_f32_e32 v1, 0x4f7ffffe, v1
	v_cvt_u32_f32_e32 v1, v1
	v_readfirstlane_b32 s11, v1
	s_mul_i32 s10, s10, s11
	s_mul_hi_u32 s10, s11, s10
	s_add_i32 s11, s11, s10
	s_mul_hi_u32 s10, s7, s11
	s_mul_i32 s11, s10, s2
	s_sub_i32 s7, s7, s11
	s_add_i32 s11, s10, 1
	s_sub_i32 s12, s7, s2
	s_cmp_ge_u32 s7, s2
	s_cselect_b32 s10, s11, s10
	s_cselect_b32 s7, s12, s7
	s_add_i32 s11, s10, 1
	s_cmp_ge_u32 s7, s2
	s_cselect_b32 s2, s11, s10
	s_xor_b32 s2, s2, s3
	s_sub_i32 s11, s2, s3
	s_abs_i32 s10, s11
	v_cvt_f32_u32_e32 v1, s10
	s_load_dwordx2 s[2:3], s[4:5], 0x40
	s_sub_i32 s7, 0, s10
	s_abs_i32 s24, s6
	v_rcp_iflag_f32_e32 v1, v1
	v_mul_f32_e32 v1, 0x4f7ffffe, v1
	v_cvt_u32_f32_e32 v1, v1
	v_readfirstlane_b32 s12, v1
	s_mul_i32 s7, s7, s12
	s_mul_hi_u32 s7, s12, s7
	s_add_i32 s12, s12, s7
	s_waitcnt lgkmcnt(0)
	s_cmp_eq_u64 s[2:3], 0
	s_mul_hi_u32 s25, s24, s12
	s_cbranch_scc1 .LBB1_2
; %bb.1:
	s_ashr_i32 s7, s6, 31
	s_lshl_b64 s[12:13], s[6:7], 2
	s_add_u32 s2, s2, s12
	s_addc_u32 s3, s3, s13
	s_load_dword s44, s[2:3], 0x0
.LBB1_2:
	s_load_dword s21, s[0:1], 0x0
	s_load_dwordx4 s[12:15], s[4:5], 0x48
	s_ashr_i32 s7, s6, 31
	s_ashr_i32 s26, s11, 31
	v_and_b32_e32 v1, 7, v0
	s_lshl_b32 s22, s6, 6
	v_cmp_gt_u32_e64 s[0:1], 64, v0
	v_lshlrev_b32_e32 v3, 2, v0
	v_lshrrev_b32_e32 v15, 1, v0
	s_and_saveexec_b64 s[2:3], s[0:1]
	s_cbranch_execz .LBB1_4
; %bb.3:
	s_load_dwordx2 s[16:17], s[4:5], 0x8
	s_waitcnt lgkmcnt(0)
	s_mul_i32 s18, s12, s20
	s_ashr_i32 s19, s18, 31
	s_lshl_b64 s[18:19], s[18:19], 2
	v_and_b32_e32 v4, 0x1fc, v15
	s_add_u32 s11, s16, s18
	s_addc_u32 s12, s17, s19
	s_ashr_i32 s23, s22, 31
	s_lshl_b64 s[16:17], s[22:23], 2
	s_add_u32 s16, s11, s16
	s_addc_u32 s17, s12, s17
	global_load_dword v2, v3, s[16:17]
	v_lshl_add_u32 v4, v1, 5, v4
	s_waitcnt vmcnt(0)
	ds_write_b32 v4, v2
.LBB1_4:
	s_or_b64 exec, exec, s[2:3]
	s_mul_i32 s3, s25, s10
	s_sub_i32 s3, s24, s3
	s_xor_b32 s2, s7, s26
	s_add_i32 s7, s25, 1
	s_waitcnt lgkmcnt(0)
	s_sub_i32 s12, s3, s10
	s_load_dwordx4 s[16:19], s[4:5], 0x68
	s_load_dword s11, s[4:5], 0x78
	s_cmp_ge_u32 s3, s10
	s_cselect_b32 s7, s7, s25
	s_cselect_b32 s3, s12, s3
	s_add_i32 s12, s7, 1
	s_cmp_ge_u32 s3, s10
	s_cselect_b32 s3, s12, s7
	s_waitcnt lgkmcnt(0)
	s_abs_i32 s23, s19
	v_cvt_f32_u32_e32 v2, s23
	s_xor_b32 s3, s3, s2
	s_sub_i32 s7, s3, s2
	s_sub_i32 s2, 0, s23
	v_rcp_iflag_f32_e32 v2, v2
	s_add_i32 s15, s21, -1
	s_abs_i32 s10, s15
	v_mul_f32_e32 v2, 0x4f7ffffe, v2
	v_cvt_u32_f32_e32 v2, v2
	s_barrier
	v_readfirstlane_b32 s33, v2
	s_mul_i32 s2, s2, s33
	s_mul_hi_u32 s2, s33, s2
	s_add_i32 s33, s33, s2
	s_cmp_lt_i32 s11, 0
	s_mul_hi_u32 s12, s10, s33
	s_cbranch_scc0 .LBB1_6
; %bb.5:
	s_mul_i32 s2, s16, s34
	s_add_i32 s2, s7, s2
	s_mul_i32 s2, s2, s11
	s_sub_i32 s42, 1, s2
	s_mov_b64 s[2:3], 0
	s_branch .LBB1_7
.LBB1_6:
	s_mov_b64 s[2:3], -1
                                        ; implicit-def: $sgpr42
.LBB1_7:
	s_load_dwordx2 s[26:27], s[4:5], 0x28
	s_ashr_i32 s15, s15, 31
	s_andn2_b64 vcc, exec, s[2:3]
	s_ashr_i32 s19, s19, 31
	s_cbranch_vccnz .LBB1_9
; %bb.8:
	s_mul_i32 s2, s9, s16
	s_add_i32 s2, s2, s6
	s_mul_i32 s2, s2, s11
	s_add_i32 s42, s2, 1
.LBB1_9:
	s_load_dword s2, s[4:5], 0x38
	s_load_dwordx2 s[24:25], s[4:5], 0x0
	s_load_dwordx2 s[30:31], s[4:5], 0x18
	s_load_dword s16, s[4:5], 0x88
	s_xor_b32 s3, s15, s19
	s_waitcnt lgkmcnt(0)
	s_mul_i32 s28, s2, s20
	s_mul_i32 s2, s12, s23
	s_sub_i32 s2, s10, s2
	s_ashr_i32 s29, s28, 31
	s_add_i32 s6, s12, 1
	s_sub_i32 s10, s2, s23
	s_cmp_ge_u32 s2, s23
	s_cselect_b32 s6, s6, s12
	s_cselect_b32 s2, s10, s2
	s_add_i32 s10, s6, 1
	s_cmp_ge_u32 s2, s23
	s_cselect_b32 s2, s10, s6
	s_xor_b32 s2, s2, s3
	s_sub_i32 s12, s2, s3
	s_add_i32 s2, s21, 7
	s_ashr_i32 s3, s2, 31
	s_lshr_b32 s3, s3, 29
	s_add_i32 s2, s2, s3
	s_ashr_i32 s43, s2, 3
	v_lshrrev_b32_e32 v16, 6, v0
	v_cmp_gt_i32_e64 s[2:3], s43, v16
	v_mov_b32_e32 v8, 0xff7fffff
	s_mul_i32 s14, s7, s14
	v_lshrrev_b32_e32 v4, 4, v0
	v_lshlrev_b32_e32 v17, 3, v16
	v_mbcnt_lo_u32_b32 v5, -1, 0
	s_and_saveexec_b64 s[36:37], s[2:3]
	s_cbranch_execz .LBB1_21
; %bb.10:
	s_load_dwordx2 s[4:5], s[4:5], 0x10
	s_ashr_i32 s15, s14, 31
	s_sub_i32 s34, s12, s17
	s_lshl_b64 s[6:7], s[14:15], 2
	v_bfe_u32 v6, v0, 3, 3
	s_waitcnt lgkmcnt(0)
	s_add_u32 s4, s4, s6
	s_addc_u32 s5, s5, s7
	s_abs_i32 s15, s18
	v_cvt_f32_u32_e32 v2, s15
	v_lshlrev_b32_e32 v7, 4, v6
	v_mov_b32_e32 v9, s5
	v_add_co_u32_e64 v7, s[4:5], s4, v7
	v_rcp_iflag_f32_e32 v2, v2
	v_and_b32_e32 v10, 3, v0
	v_addc_co_u32_e64 v9, s[4:5], 0, v9, s[4:5]
	v_mul_f32_e32 v2, 0x4f7ffffe, v2
	v_lshlrev_b32_e32 v10, 2, v10
	v_cvt_u32_f32_e32 v2, v2
	v_add_co_u32_e64 v10, s[4:5], v7, v10
	v_addc_co_u32_e64 v11, s[4:5], 0, v9, s[4:5]
	s_sub_i32 s4, 0, s15
	v_cmp_eq_u32_e32 vcc, 0, v1
	v_lshlrev_b32_e32 v7, 5, v1
	v_mul_lo_u32 v1, s4, v2
	v_lshlrev_b32_e32 v9, 5, v0
	v_and_b32_e32 v9, 0x80, v9
	v_add_co_u32_e64 v9, s[6:7], v10, v9
	v_mul_hi_u32 v1, v2, v1
	v_addc_co_u32_e64 v10, s[6:7], 0, v11, s[6:7]
	s_lshl_b64 s[6:7], s[28:29], 2
	v_lshlrev_b32_e32 v8, 2, v6
	s_add_u32 s6, s26, s6
	v_add_u32_e32 v11, v2, v1
	v_and_b32_e32 v1, 60, v4
	s_addc_u32 s7, s27, s7
	v_lshl_or_b32 v8, v16, 5, v8
	v_mbcnt_hi_u32_b32 v19, -1, v5
	v_mov_b32_e32 v2, s7
	v_add_co_u32_e64 v1, s[6:7], s6, v1
	v_subrev_u32_e32 v13, s21, v6
	v_add_u32_e32 v14, 0x110, v8
	v_and_b32_e32 v8, 64, v19
	s_mov_b32 s45, s13
	v_cmp_neq_f32_e64 s[4:5], s44, 0
	v_addc_co_u32_e64 v2, s[6:7], 0, v2, s[6:7]
	v_lshlrev_b32_e32 v12, 3, v16
	v_add_u32_e32 v13, 1, v13
	v_mov_b32_e32 v18, 0xff7fffff
	s_mov_b64 s[38:39], 0
	v_add_u32_e32 v20, 64, v8
	v_xor_b32_e32 v21, 4, v19
	v_xor_b32_e32 v22, 2, v19
	v_mov_b32_e32 v8, 0xff7fffff
	v_mov_b32_e32 v23, v16
	s_branch .LBB1_13
.LBB1_11:                               ;   in Loop: Header=BB1_13 Depth=1
	s_or_b64 exec, exec, s[40:41]
.LBB1_12:                               ;   in Loop: Header=BB1_13 Depth=1
	s_or_b64 exec, exec, s[10:11]
	v_add_co_u32_e64 v1, s[6:7], 8, v1
	v_add_u32_e32 v23, 2, v23
	v_addc_co_u32_e64 v2, s[6:7], 0, v2, s[6:7]
	v_cmp_le_i32_e64 s[6:7], s43, v23
	v_add_u32_e32 v12, 16, v12
	s_or_b64 s[38:39], s[6:7], s[38:39]
	v_add_u32_e32 v14, 64, v14
	s_andn2_b64 exec, exec, s[38:39]
	s_cbranch_execz .LBB1_20
.LBB1_13:                               ; =>This Inner Loop Header: Depth=1
	v_mul_hi_u32 v24, v12, s33
	s_waitcnt lgkmcnt(0)
	v_mul_lo_u32 v25, v24, s23
	v_add_u32_e32 v26, 1, v24
	v_sub_u32_e32 v25, v12, v25
	v_cmp_le_u32_e64 s[6:7], s23, v25
	v_cndmask_b32_e64 v24, v24, v26, s[6:7]
	v_subrev_u32_e32 v26, s23, v25
	v_cndmask_b32_e64 v25, v25, v26, s[6:7]
	v_add_u32_e32 v26, 1, v24
	v_cmp_le_u32_e64 s[6:7], s23, v25
	v_cndmask_b32_e64 v24, v24, v26, s[6:7]
	v_xor_b32_e32 v24, s19, v24
	v_subrev_u32_e32 v24, s19, v24
	v_add_u32_e32 v25, s42, v24
	v_sub_u32_e32 v26, 0, v25
	v_max_i32_e32 v26, v25, v26
	v_mul_hi_u32 v27, v26, v11
	v_ashrrev_i32_e32 v25, 31, v25
	v_cmp_ge_i32_e64 s[10:11], s34, v24
	v_mul_lo_u32 v27, v27, s15
	v_sub_u32_e32 v26, v26, v27
	v_subrev_u32_e32 v27, s15, v26
	v_cmp_le_u32_e64 s[6:7], s15, v26
	v_cndmask_b32_e64 v26, v26, v27, s[6:7]
	v_subrev_u32_e32 v27, s15, v26
	v_cmp_le_u32_e64 s[6:7], s15, v26
	v_cndmask_b32_e64 v26, v26, v27, s[6:7]
	v_xor_b32_e32 v26, v26, v25
	v_sub_u32_e32 v25, v26, v25
	v_cmp_ne_u32_e64 s[6:7], 0, v25
	s_and_b64 s[6:7], s[6:7], s[10:11]
	s_and_saveexec_b64 s[10:11], s[6:7]
	s_xor_b64 s[6:7], exec, s[10:11]
	s_cbranch_execz .LBB1_17
; %bb.14:                               ;   in Loop: Header=BB1_13 Depth=1
	s_and_saveexec_b64 s[10:11], vcc
; %bb.15:                               ;   in Loop: Header=BB1_13 Depth=1
	ds_write_b32 v14, v18
; %bb.16:                               ;   in Loop: Header=BB1_13 Depth=1
	s_or_b64 exec, exec, s[10:11]
.LBB1_17:                               ;   in Loop: Header=BB1_13 Depth=1
	s_andn2_saveexec_b64 s[10:11], s[6:7]
	s_cbranch_execz .LBB1_12
; %bb.18:                               ;   in Loop: Header=BB1_13 Depth=1
	global_load_dword v24, v[1:2], off
	s_waitcnt vmcnt(0)
	v_mad_i64_i32 v[24:25], s[6:7], v24, s45, 0
	v_lshlrev_b64 v[24:25], 2, v[24:25]
	v_add_co_u32_e64 v24, s[6:7], v9, v24
	v_addc_co_u32_e64 v25, s[6:7], v10, v25, s[6:7]
	global_load_dword v32, v[24:25], off offset:256
	global_load_dword v33, v[24:25], off
	global_load_dword v34, v[24:25], off offset:512
	global_load_dword v35, v[24:25], off offset:768
	;; [unrolled: 1-line block ×6, first 2 shown]
	ds_read_b128 v[24:27], v7
	ds_read_b128 v[28:31], v7 offset:16
	v_cmp_lt_i32_e64 s[6:7], v21, v20
	v_cndmask_b32_e64 v40, v19, v21, s[6:7]
	v_lshlrev_b32_e32 v40, 2, v40
	v_cmp_lt_i32_e64 s[6:7], v22, v20
	s_waitcnt vmcnt(7) lgkmcnt(1)
	v_mul_f32_e32 v25, v25, v32
	s_waitcnt vmcnt(6)
	v_fmac_f32_e32 v25, v24, v33
	s_waitcnt vmcnt(5)
	v_fmac_f32_e32 v25, v26, v34
	;; [unrolled: 2-line block ×3, first 2 shown]
	s_waitcnt vmcnt(3) lgkmcnt(0)
	v_fmac_f32_e32 v25, v28, v36
	s_waitcnt vmcnt(2)
	v_fmac_f32_e32 v25, v29, v37
	s_waitcnt vmcnt(1)
	;; [unrolled: 2-line block ×3, first 2 shown]
	v_fmac_f32_e32 v25, v31, v39
	ds_bpermute_b32 v24, v40, v25
	v_cndmask_b32_e64 v26, v19, v22, s[6:7]
	v_lshlrev_b32_e32 v26, 2, v26
	s_waitcnt lgkmcnt(0)
	v_add_f32_e32 v24, v25, v24
	ds_bpermute_b32 v25, v26, v24
	v_xor_b32_e32 v26, 1, v19
	v_cmp_lt_i32_e64 s[6:7], v26, v20
	v_cndmask_b32_e64 v26, v19, v26, s[6:7]
	v_lshlrev_b32_e32 v26, 2, v26
	s_waitcnt lgkmcnt(0)
	v_add_f32_e32 v24, v24, v25
	ds_bpermute_b32 v25, v26, v24
	s_and_saveexec_b64 s[40:41], vcc
	s_cbranch_execz .LBB1_11
; %bb.19:                               ;   in Loop: Header=BB1_13 Depth=1
	v_add_u32_e32 v26, v13, v12
	v_cvt_f32_i32_e32 v26, v26
	s_waitcnt lgkmcnt(0)
	v_add_f32_e32 v24, v24, v25
	v_add_u32_e32 v27, v6, v12
	v_cmp_gt_i32_e64 s[6:7], s21, v27
	v_mul_f32_e32 v25, s44, v26
	v_cndmask_b32_e64 v25, 0, v25, s[4:5]
	v_fmac_f32_e32 v25, s35, v24
	v_cndmask_b32_e64 v24, 0, v25, s[6:7]
	ds_write_b32 v14, v24
	v_max_f32_e32 v24, v8, v8
	v_max_f32_e32 v24, v24, v25
	v_cndmask_b32_e64 v8, v8, v24, s[6:7]
	s_branch .LBB1_11
.LBB1_20:
	s_or_b64 exec, exec, s[38:39]
.LBB1_21:
	s_or_b64 exec, exec, s[36:37]
	v_mbcnt_hi_u32_b32 v1, -1, v5
	v_and_b32_e32 v10, 64, v1
	v_add_u32_e32 v2, 64, v10
	v_xor_b32_e32 v5, 32, v1
	v_cmp_lt_i32_e32 vcc, v5, v2
	v_cndmask_b32_e32 v5, v1, v5, vcc
	v_lshlrev_b32_e32 v6, 2, v5
	ds_bpermute_b32 v5, v6, v8
	v_max_f32_e32 v7, v8, v8
	v_xor_b32_e32 v8, 16, v1
	v_cmp_lt_i32_e32 vcc, v8, v2
	v_xor_b32_e32 v9, 8, v1
	s_waitcnt lgkmcnt(0)
	v_max_f32_e32 v5, v5, v5
	v_max_f32_e32 v5, v7, v5
	v_cndmask_b32_e32 v7, v1, v8, vcc
	v_lshlrev_b32_e32 v8, 2, v7
	ds_bpermute_b32 v7, v8, v5
	v_cmp_lt_i32_e32 vcc, v9, v2
	v_and_b32_e32 v18, 63, v0
	s_waitcnt lgkmcnt(0)
	v_max_f32_e32 v7, v7, v7
	v_max_f32_e32 v7, v5, v7
	v_cndmask_b32_e32 v5, v1, v9, vcc
	v_lshlrev_b32_e32 v9, 2, v5
	ds_bpermute_b32 v11, v9, v7
	v_cmp_eq_u32_e32 vcc, 0, v18
	v_lshlrev_b32_e32 v5, 2, v16
	s_and_saveexec_b64 s[4:5], vcc
	s_cbranch_execz .LBB1_23
; %bb.22:
	s_waitcnt lgkmcnt(0)
	v_max_f32_e32 v11, v11, v11
	v_max_f32_e32 v7, v7, v7
	;; [unrolled: 1-line block ×3, first 2 shown]
	ds_write_b32 v5, v7 offset:256
.LBB1_23:
	s_or_b64 exec, exec, s[4:5]
	v_cmp_gt_u32_e64 s[4:5], 2, v18
	s_waitcnt lgkmcnt(0)
	v_mov_b32_e32 v11, 0xff7fffff
	v_lshlrev_b32_e32 v7, 2, v18
	s_barrier
	s_and_saveexec_b64 s[6:7], s[4:5]
; %bb.24:
	ds_read_b32 v11, v7 offset:256
; %bb.25:
	s_or_b64 exec, exec, s[6:7]
	v_xor_b32_e32 v12, 1, v1
	v_cmp_lt_i32_e64 s[6:7], v12, v2
	v_cndmask_b32_e64 v12, v1, v12, s[6:7]
	v_lshlrev_b32_e32 v19, 2, v12
	s_waitcnt lgkmcnt(0)
	ds_bpermute_b32 v12, v19, v11
	v_max_f32_e32 v11, v11, v11
	v_lshlrev_b32_e32 v10, 2, v10
	s_lshl_b32 s6, s43, 3
	s_min_i32 s15, s6, s21
	s_waitcnt lgkmcnt(0)
	v_max_f32_e32 v12, v12, v12
	v_max_f32_e32 v11, v11, v12
	ds_bpermute_b32 v11, v10, v11
	v_cmp_gt_i32_e64 s[6:7], s15, v0
	v_mov_b32_e32 v10, 0
	s_and_saveexec_b64 s[34:35], s[6:7]
	s_cbranch_execz .LBB1_29
; %bb.26:
	v_mov_b32_e32 v10, 0x110
	v_lshl_add_u32 v12, v0, 2, v10
	v_mov_b32_e32 v10, 0
	s_mov_b64 s[36:37], 0
	v_mov_b32_e32 v13, v0
.LBB1_27:                               ; =>This Inner Loop Header: Depth=1
	ds_read_b32 v14, v12
	v_add_u32_e32 v13, 0x80, v13
	v_cmp_le_i32_e64 s[10:11], s15, v13
	s_or_b64 s[36:37], s[10:11], s[36:37]
	s_waitcnt lgkmcnt(0)
	v_sub_f32_e32 v14, v14, v11
	v_mul_f32_e32 v14, 0x3fb8aa3b, v14
	v_exp_f32_e32 v14, v14
	ds_write_b32 v12, v14
	v_add_f32_e32 v10, v10, v14
	v_add_u32_e32 v12, 0x200, v12
	s_andn2_b64 exec, exec, s[36:37]
	s_cbranch_execnz .LBB1_27
; %bb.28:
	s_or_b64 exec, exec, s[36:37]
.LBB1_29:
	s_or_b64 exec, exec, s[34:35]
	ds_bpermute_b32 v6, v6, v10
	s_waitcnt lgkmcnt(0)
	v_add_f32_e32 v6, v10, v6
	ds_bpermute_b32 v8, v8, v6
	s_waitcnt lgkmcnt(0)
	v_add_f32_e32 v6, v6, v8
	ds_bpermute_b32 v8, v9, v6
	v_xor_b32_e32 v9, 4, v1
	v_cmp_lt_i32_e64 s[10:11], v9, v2
	v_cndmask_b32_e64 v9, v1, v9, s[10:11]
	v_lshlrev_b32_e32 v9, 2, v9
	s_waitcnt lgkmcnt(0)
	v_add_f32_e32 v6, v6, v8
	ds_bpermute_b32 v8, v9, v6
	v_xor_b32_e32 v9, 2, v1
	v_cmp_lt_i32_e64 s[10:11], v9, v2
	v_cndmask_b32_e64 v2, v1, v9, s[10:11]
	v_lshlrev_b32_e32 v2, 2, v2
	s_waitcnt lgkmcnt(0)
	v_add_f32_e32 v6, v6, v8
	ds_bpermute_b32 v2, v2, v6
	s_waitcnt lgkmcnt(0)
	v_add_f32_e32 v2, v6, v2
	ds_bpermute_b32 v6, v19, v2
	s_waitcnt lgkmcnt(0)
	v_add_f32_e32 v2, v2, v6
	s_and_saveexec_b64 s[10:11], vcc
; %bb.30:
	ds_write_b32 v5, v2 offset:264
; %bb.31:
	s_or_b64 exec, exec, s[10:11]
	s_waitcnt lgkmcnt(0)
	s_barrier
	s_and_saveexec_b64 s[10:11], s[4:5]
; %bb.32:
	ds_read_b32 v2, v7 offset:264
; %bb.33:
	s_or_b64 exec, exec, s[10:11]
	s_waitcnt lgkmcnt(0)
	ds_bpermute_b32 v5, v19, v2
	v_lshlrev_b32_e32 v1, 2, v1
	v_and_b32_e32 v1, 0x100, v1
	s_waitcnt lgkmcnt(0)
	v_add_f32_e32 v2, v2, v5
	ds_bpermute_b32 v1, v1, v2
	s_and_saveexec_b64 s[4:5], s[6:7]
	s_cbranch_execz .LBB1_36
; %bb.34:
	s_waitcnt lgkmcnt(0)
	v_add_f32_e32 v2, 0x358637bd, v1
	v_div_scale_f32 v1, s[6:7], v2, v2, 1.0
	v_div_scale_f32 v5, vcc, 1.0, v2, 1.0
	s_mov_b64 s[6:7], 0
	v_rcp_f32_e32 v6, v1
	v_fma_f32 v7, -v1, v6, 1.0
	v_fmac_f32_e32 v6, v7, v6
	v_mul_f32_e32 v7, v5, v6
	v_fma_f32 v8, -v1, v7, v5
	v_fmac_f32_e32 v7, v8, v6
	v_fma_f32 v1, -v1, v7, v5
	v_div_fmas_f32 v5, v1, v6, v7
	v_mov_b32_e32 v1, 0x110
	v_lshl_add_u32 v1, v0, 2, v1
	v_div_fixup_f32 v2, v5, v2, 1.0
	v_mov_b32_e32 v5, v0
.LBB1_35:                               ; =>This Inner Loop Header: Depth=1
	ds_read_b32 v6, v1
	v_add_u32_e32 v5, 0x80, v5
	v_cmp_le_i32_e32 vcc, s15, v5
	s_or_b64 s[6:7], vcc, s[6:7]
	s_waitcnt lgkmcnt(0)
	v_mul_f32_e32 v6, v2, v6
	ds_write_b32 v1, v6
	v_add_u32_e32 v1, 0x200, v1
	s_andn2_b64 exec, exec, s[6:7]
	s_cbranch_execnz .LBB1_35
.LBB1_36:
	s_or_b64 exec, exec, s[4:5]
	v_mov_b32_e32 v23, 0
	v_and_b32_e32 v20, 1, v0
	v_mov_b32_e32 v21, 0
	s_waitcnt lgkmcnt(0)
	s_barrier
	s_and_saveexec_b64 s[4:5], s[2:3]
	s_cbranch_execz .LBB1_46
; %bb.37:
	s_ashr_i32 s15, s14, 31
	s_sub_i32 s17, s12, s17
	s_lshl_b64 s[2:3], s[14:15], 2
	s_add_u32 s2, s30, s2
	s_addc_u32 s3, s31, s3
	s_abs_i32 s14, s18
	v_cvt_f32_u32_e32 v1, s14
	s_sub_i32 s6, 0, s14
	v_and_b32_e32 v22, 4, v3
	v_and_b32_e32 v3, 60, v4
	v_rcp_iflag_f32_e32 v1, v1
	v_lshlrev_b32_e32 v2, 4, v0
	v_and_b32_e32 v2, 0x3f0, v2
	s_add_i32 s18, s43, -1
	v_mul_f32_e32 v1, 0x4f7ffffe, v1
	v_cvt_u32_f32_e32 v1, v1
	v_mov_b32_e32 v5, s3
	v_add_co_u32_e32 v24, vcc, s2, v2
	v_mul_lo_u32 v4, s6, v1
	s_lshl_b64 s[2:3], s[28:29], 2
	s_add_u32 s2, s26, s2
	v_addc_co_u32_e32 v25, vcc, 0, v5, vcc
	v_mul_hi_u32 v4, v1, v4
	s_addc_u32 s3, s27, s3
	v_add_co_u32_e32 v13, vcc, s2, v3
	v_add_u32_e32 v26, v1, v4
	v_mov_b32_e32 v1, s3
	v_addc_co_u32_e32 v14, vcc, 0, v1, vcc
	v_lshlrev_b32_e32 v1, 4, v20
	v_lshl_or_b32 v1, v16, 5, v1
	s_mov_b32 s15, s13
	v_mov_b32_e32 v21, 0
	v_add_u32_e32 v27, 0x110, v1
	s_mov_b64 s[6:7], 0
	v_mov_b32_e32 v23, 0
	s_branch .LBB1_40
.LBB1_38:                               ;   in Loop: Header=BB1_40 Depth=1
	s_or_b64 exec, exec, s[2:3]
	s_waitcnt vmcnt(1) lgkmcnt(0)
	v_mul_f32_e32 v5, v1, v5
	s_waitcnt vmcnt(0)
	v_mul_f32_e32 v1, v1, v9
	v_fmac_f32_e32 v5, v2, v6
	v_fmac_f32_e32 v1, v2, v10
	;; [unrolled: 1-line block ×6, first 2 shown]
	v_add_f32_e32 v23, v23, v5
	v_add_f32_e32 v21, v21, v1
.LBB1_39:                               ;   in Loop: Header=BB1_40 Depth=1
	s_or_b64 exec, exec, s[10:11]
	v_add_co_u32_e32 v13, vcc, 8, v13
	v_add_u32_e32 v16, 2, v16
	v_addc_co_u32_e32 v14, vcc, 0, v14, vcc
	v_cmp_le_i32_e32 vcc, s43, v16
	v_add_u32_e32 v17, 16, v17
	s_or_b64 s[6:7], vcc, s[6:7]
	v_add_u32_e32 v27, 64, v27
	s_andn2_b64 exec, exec, s[6:7]
	s_cbranch_execz .LBB1_45
.LBB1_40:                               ; =>This Inner Loop Header: Depth=1
	v_mul_hi_u32 v1, v17, s33
	v_mul_lo_u32 v2, v1, s23
	v_add_u32_e32 v3, 1, v1
	v_sub_u32_e32 v2, v17, v2
	v_cmp_le_u32_e32 vcc, s23, v2
	v_cndmask_b32_e32 v1, v1, v3, vcc
	v_subrev_u32_e32 v3, s23, v2
	v_cndmask_b32_e32 v2, v2, v3, vcc
	v_add_u32_e32 v3, 1, v1
	v_cmp_le_u32_e32 vcc, s23, v2
	v_cndmask_b32_e32 v1, v1, v3, vcc
	v_xor_b32_e32 v1, s19, v1
	v_subrev_u32_e32 v1, s19, v1
	v_add_u32_e32 v2, s42, v1
	v_sub_u32_e32 v3, 0, v2
	v_max_i32_e32 v3, v2, v3
	v_mul_hi_u32 v4, v3, v26
	v_ashrrev_i32_e32 v2, 31, v2
	v_cmp_lt_i32_e64 s[2:3], s17, v1
	v_mul_lo_u32 v4, v4, s14
	v_sub_u32_e32 v3, v3, v4
	v_subrev_u32_e32 v4, s14, v3
	v_cmp_le_u32_e32 vcc, s14, v3
	v_cndmask_b32_e32 v3, v3, v4, vcc
	v_subrev_u32_e32 v4, s14, v3
	v_cmp_le_u32_e32 vcc, s14, v3
	v_cndmask_b32_e32 v3, v3, v4, vcc
	v_xor_b32_e32 v3, v3, v2
	v_sub_u32_e32 v2, v3, v2
	v_cmp_eq_u32_e32 vcc, 0, v2
	s_or_b64 s[2:3], vcc, s[2:3]
	s_and_saveexec_b64 s[10:11], s[2:3]
	s_cbranch_execz .LBB1_39
; %bb.41:                               ;   in Loop: Header=BB1_40 Depth=1
	global_load_dword v1, v[13:14], off
	v_add_u32_e32 v28, v22, v17
	v_add_u32_e32 v31, 1, v28
	;; [unrolled: 1-line block ×4, first 2 shown]
	s_waitcnt vmcnt(0)
	v_mad_i64_i32 v[1:2], s[2:3], v1, s15, 0
	v_lshlrev_b64 v[1:2], 2, v[1:2]
	v_add_co_u32_e32 v9, vcc, v24, v1
	v_addc_co_u32_e32 v10, vcc, v25, v2, vcc
	global_load_dwordx4 v[5:8], v[9:10], off
	ds_read_b128 v[1:4], v27
	v_cmp_eq_u32_e32 vcc, s18, v16
	s_and_saveexec_b64 s[12:13], vcc
	s_cbranch_execz .LBB1_43
; %bb.42:                               ;   in Loop: Header=BB1_40 Depth=1
	v_cmp_gt_i32_e64 s[2:3], s21, v28
	s_waitcnt vmcnt(0)
	v_cndmask_b32_e64 v5, 0, v5, s[2:3]
	v_cmp_gt_i32_e64 s[2:3], s21, v31
	v_cndmask_b32_e64 v6, 0, v6, s[2:3]
	v_cmp_gt_i32_e64 s[2:3], s21, v30
	;; [unrolled: 2-line block ×3, first 2 shown]
	v_cndmask_b32_e64 v8, 0, v8, s[2:3]
.LBB1_43:                               ;   in Loop: Header=BB1_40 Depth=1
	s_or_b64 exec, exec, s[12:13]
	global_load_dwordx4 v[9:12], v[9:10], off offset:1024
	s_and_saveexec_b64 s[2:3], vcc
	s_cbranch_execz .LBB1_38
; %bb.44:                               ;   in Loop: Header=BB1_40 Depth=1
	v_cmp_gt_i32_e32 vcc, s21, v28
	s_waitcnt vmcnt(0)
	v_cndmask_b32_e32 v9, 0, v9, vcc
	v_cmp_gt_i32_e32 vcc, s21, v31
	v_cndmask_b32_e32 v10, 0, v10, vcc
	v_cmp_gt_i32_e32 vcc, s21, v30
	;; [unrolled: 2-line block ×3, first 2 shown]
	v_cndmask_b32_e32 v12, 0, v12, vcc
	s_branch .LBB1_38
.LBB1_45:
	s_or_b64 exec, exec, s[6:7]
.LBB1_46:
	s_or_b64 exec, exec, s[4:5]
	ds_bpermute_b32 v1, v19, v23
	ds_bpermute_b32 v2, v19, v21
	v_and_b32_e32 v0, 0x3c1, v0
	v_cmp_eq_u32_e32 vcc, 64, v0
	s_waitcnt lgkmcnt(0)
	v_add_f32_e32 v1, v23, v1
	v_add_f32_e32 v2, v21, v2
	s_barrier
	s_and_saveexec_b64 s[2:3], vcc
; %bb.47:
	v_mov_b32_e32 v3, 0x110
	v_lshl_add_u32 v3, v18, 1, v3
	ds_write2_b32 v3, v1, v2 offset1:32
; %bb.48:
	s_or_b64 exec, exec, s[2:3]
	s_waitcnt lgkmcnt(0)
	s_barrier
	s_and_saveexec_b64 s[2:3], s[0:1]
	s_cbranch_execz .LBB1_54
; %bb.49:
	v_mov_b32_e32 v3, 0x110
	v_cmp_eq_u32_e32 vcc, 0, v20
	v_lshl_add_u32 v3, v15, 2, v3
	s_and_saveexec_b64 s[0:1], vcc
	s_cbranch_execz .LBB1_51
; %bb.50:
	ds_read_b32 v4, v3
	s_waitcnt lgkmcnt(0)
	v_add_f32_e32 v1, v1, v4
.LBB1_51:
	s_or_b64 exec, exec, s[0:1]
	s_and_saveexec_b64 s[0:1], vcc
	s_cbranch_execz .LBB1_53
; %bb.52:
	ds_read_b32 v3, v3 offset:128
	s_waitcnt lgkmcnt(0)
	v_add_f32_e32 v2, v2, v3
.LBB1_53:
	s_or_b64 exec, exec, s[0:1]
.LBB1_54:
	s_or_b64 exec, exec, s[2:3]
	v_cmp_eq_u32_e32 vcc, 0, v0
	s_barrier
	s_and_saveexec_b64 s[0:1], vcc
	s_cbranch_execz .LBB1_56
; %bb.55:
	s_mul_i32 s0, s20, s16
	s_mul_i32 s0, s0, s9
	s_lshl_b32 s0, s0, 6
	s_ashr_i32 s1, s0, 31
	s_lshl_b64 s[0:1], s[0:1], 2
	s_add_u32 s2, s24, s0
	s_mul_i32 s0, s16, s22
	s_addc_u32 s3, s25, s1
	s_ashr_i32 s1, s0, 31
	s_lshl_b64 s[0:1], s[0:1], 2
	s_add_u32 s2, s2, s0
	s_addc_u32 s3, s3, s1
	s_lshl_b32 s0, s8, 6
	s_ashr_i32 s1, s0, 31
	s_lshl_b64 s[0:1], s[0:1], 2
	s_add_u32 s0, s2, s0
	s_addc_u32 s1, s3, s1
	v_lshlrev_b32_e32 v0, 2, v15
	global_store_dword v0, v1, s[0:1]
	global_store_dword v0, v2, s[0:1] offset:128
.LBB1_56:
	s_endpgm
	.section	.rodata,"a",@progbits
	.p2align	6, 0x0
	.amdhsa_kernel _ZN4vllm25paged_attention_v1_kernelIffLi64ELi8ELi128ELNS_18Fp8KVCacheDataTypeE0ELb1EEEvPT_PKS2_PKT0_S8_ifPKiSA_iPKfiiiSC_SC_iiiii
		.amdhsa_group_segment_fixed_size 272
		.amdhsa_private_segment_fixed_size 0
		.amdhsa_kernarg_size 384
		.amdhsa_user_sgpr_count 6
		.amdhsa_user_sgpr_private_segment_buffer 1
		.amdhsa_user_sgpr_dispatch_ptr 0
		.amdhsa_user_sgpr_queue_ptr 0
		.amdhsa_user_sgpr_kernarg_segment_ptr 1
		.amdhsa_user_sgpr_dispatch_id 0
		.amdhsa_user_sgpr_flat_scratch_init 0
		.amdhsa_user_sgpr_private_segment_size 0
		.amdhsa_uses_dynamic_stack 0
		.amdhsa_system_sgpr_private_segment_wavefront_offset 0
		.amdhsa_system_sgpr_workgroup_id_x 1
		.amdhsa_system_sgpr_workgroup_id_y 1
		.amdhsa_system_sgpr_workgroup_id_z 1
		.amdhsa_system_sgpr_workgroup_info 0
		.amdhsa_system_vgpr_workitem_id 0
		.amdhsa_next_free_vgpr 41
		.amdhsa_next_free_sgpr 46
		.amdhsa_reserve_vcc 1
		.amdhsa_reserve_flat_scratch 0
		.amdhsa_float_round_mode_32 0
		.amdhsa_float_round_mode_16_64 0
		.amdhsa_float_denorm_mode_32 3
		.amdhsa_float_denorm_mode_16_64 3
		.amdhsa_dx10_clamp 1
		.amdhsa_ieee_mode 1
		.amdhsa_fp16_overflow 0
		.amdhsa_exception_fp_ieee_invalid_op 0
		.amdhsa_exception_fp_denorm_src 0
		.amdhsa_exception_fp_ieee_div_zero 0
		.amdhsa_exception_fp_ieee_overflow 0
		.amdhsa_exception_fp_ieee_underflow 0
		.amdhsa_exception_fp_ieee_inexact 0
		.amdhsa_exception_int_div_zero 0
	.end_amdhsa_kernel
	.section	.text._ZN4vllm25paged_attention_v1_kernelIffLi64ELi8ELi128ELNS_18Fp8KVCacheDataTypeE0ELb1EEEvPT_PKS2_PKT0_S8_ifPKiSA_iPKfiiiSC_SC_iiiii,"axG",@progbits,_ZN4vllm25paged_attention_v1_kernelIffLi64ELi8ELi128ELNS_18Fp8KVCacheDataTypeE0ELb1EEEvPT_PKS2_PKT0_S8_ifPKiSA_iPKfiiiSC_SC_iiiii,comdat
.Lfunc_end1:
	.size	_ZN4vllm25paged_attention_v1_kernelIffLi64ELi8ELi128ELNS_18Fp8KVCacheDataTypeE0ELb1EEEvPT_PKS2_PKT0_S8_ifPKiSA_iPKfiiiSC_SC_iiiii, .Lfunc_end1-_ZN4vllm25paged_attention_v1_kernelIffLi64ELi8ELi128ELNS_18Fp8KVCacheDataTypeE0ELb1EEEvPT_PKS2_PKT0_S8_ifPKiSA_iPKfiiiSC_SC_iiiii
                                        ; -- End function
	.set _ZN4vllm25paged_attention_v1_kernelIffLi64ELi8ELi128ELNS_18Fp8KVCacheDataTypeE0ELb1EEEvPT_PKS2_PKT0_S8_ifPKiSA_iPKfiiiSC_SC_iiiii.num_vgpr, 41
	.set _ZN4vllm25paged_attention_v1_kernelIffLi64ELi8ELi128ELNS_18Fp8KVCacheDataTypeE0ELb1EEEvPT_PKS2_PKT0_S8_ifPKiSA_iPKfiiiSC_SC_iiiii.num_agpr, 0
	.set _ZN4vllm25paged_attention_v1_kernelIffLi64ELi8ELi128ELNS_18Fp8KVCacheDataTypeE0ELb1EEEvPT_PKS2_PKT0_S8_ifPKiSA_iPKfiiiSC_SC_iiiii.numbered_sgpr, 46
	.set _ZN4vllm25paged_attention_v1_kernelIffLi64ELi8ELi128ELNS_18Fp8KVCacheDataTypeE0ELb1EEEvPT_PKS2_PKT0_S8_ifPKiSA_iPKfiiiSC_SC_iiiii.num_named_barrier, 0
	.set _ZN4vllm25paged_attention_v1_kernelIffLi64ELi8ELi128ELNS_18Fp8KVCacheDataTypeE0ELb1EEEvPT_PKS2_PKT0_S8_ifPKiSA_iPKfiiiSC_SC_iiiii.private_seg_size, 0
	.set _ZN4vllm25paged_attention_v1_kernelIffLi64ELi8ELi128ELNS_18Fp8KVCacheDataTypeE0ELb1EEEvPT_PKS2_PKT0_S8_ifPKiSA_iPKfiiiSC_SC_iiiii.uses_vcc, 1
	.set _ZN4vllm25paged_attention_v1_kernelIffLi64ELi8ELi128ELNS_18Fp8KVCacheDataTypeE0ELb1EEEvPT_PKS2_PKT0_S8_ifPKiSA_iPKfiiiSC_SC_iiiii.uses_flat_scratch, 0
	.set _ZN4vllm25paged_attention_v1_kernelIffLi64ELi8ELi128ELNS_18Fp8KVCacheDataTypeE0ELb1EEEvPT_PKS2_PKT0_S8_ifPKiSA_iPKfiiiSC_SC_iiiii.has_dyn_sized_stack, 0
	.set _ZN4vllm25paged_attention_v1_kernelIffLi64ELi8ELi128ELNS_18Fp8KVCacheDataTypeE0ELb1EEEvPT_PKS2_PKT0_S8_ifPKiSA_iPKfiiiSC_SC_iiiii.has_recursion, 0
	.set _ZN4vllm25paged_attention_v1_kernelIffLi64ELi8ELi128ELNS_18Fp8KVCacheDataTypeE0ELb1EEEvPT_PKS2_PKT0_S8_ifPKiSA_iPKfiiiSC_SC_iiiii.has_indirect_call, 0
	.section	.AMDGPU.csdata,"",@progbits
; Kernel info:
; codeLenInByte = 3496
; TotalNumSgprs: 50
; NumVgprs: 41
; ScratchSize: 0
; MemoryBound: 0
; FloatMode: 240
; IeeeMode: 1
; LDSByteSize: 272 bytes/workgroup (compile time only)
; SGPRBlocks: 6
; VGPRBlocks: 10
; NumSGPRsForWavesPerEU: 50
; NumVGPRsForWavesPerEU: 41
; Occupancy: 5
; WaveLimiterHint : 1
; COMPUTE_PGM_RSRC2:SCRATCH_EN: 0
; COMPUTE_PGM_RSRC2:USER_SGPR: 6
; COMPUTE_PGM_RSRC2:TRAP_HANDLER: 0
; COMPUTE_PGM_RSRC2:TGID_X_EN: 1
; COMPUTE_PGM_RSRC2:TGID_Y_EN: 1
; COMPUTE_PGM_RSRC2:TGID_Z_EN: 1
; COMPUTE_PGM_RSRC2:TIDIG_COMP_CNT: 0
	.section	.text._ZN4vllm25paged_attention_v1_kernelIffLi80ELi8ELi128ELNS_18Fp8KVCacheDataTypeE0ELb1EEEvPT_PKS2_PKT0_S8_ifPKiSA_iPKfiiiSC_SC_iiiii,"axG",@progbits,_ZN4vllm25paged_attention_v1_kernelIffLi80ELi8ELi128ELNS_18Fp8KVCacheDataTypeE0ELb1EEEvPT_PKS2_PKT0_S8_ifPKiSA_iPKfiiiSC_SC_iiiii,comdat
	.protected	_ZN4vllm25paged_attention_v1_kernelIffLi80ELi8ELi128ELNS_18Fp8KVCacheDataTypeE0ELb1EEEvPT_PKS2_PKT0_S8_ifPKiSA_iPKfiiiSC_SC_iiiii ; -- Begin function _ZN4vllm25paged_attention_v1_kernelIffLi80ELi8ELi128ELNS_18Fp8KVCacheDataTypeE0ELb1EEEvPT_PKS2_PKT0_S8_ifPKiSA_iPKfiiiSC_SC_iiiii
	.globl	_ZN4vllm25paged_attention_v1_kernelIffLi80ELi8ELi128ELNS_18Fp8KVCacheDataTypeE0ELb1EEEvPT_PKS2_PKT0_S8_ifPKiSA_iPKfiiiSC_SC_iiiii
	.p2align	8
	.type	_ZN4vllm25paged_attention_v1_kernelIffLi80ELi8ELi128ELNS_18Fp8KVCacheDataTypeE0ELb1EEEvPT_PKS2_PKT0_S8_ifPKiSA_iPKfiiiSC_SC_iiiii,@function
_ZN4vllm25paged_attention_v1_kernelIffLi80ELi8ELi128ELNS_18Fp8KVCacheDataTypeE0ELb1EEEvPT_PKS2_PKT0_S8_ifPKiSA_iPKfiiiSC_SC_iiiii: ; @_ZN4vllm25paged_attention_v1_kernelIffLi80ELi8ELi128ELNS_18Fp8KVCacheDataTypeE0ELb1EEEvPT_PKS2_PKT0_S8_ifPKiSA_iPKfiiiSC_SC_iiiii
; %bb.0:
	s_load_dword s9, s[4:5], 0x80
	s_load_dwordx2 s[0:1], s[4:5], 0x30
	s_load_dwordx2 s[30:31], s[4:5], 0x20
	s_mov_b32 s10, s7
	s_ashr_i32 s11, s7, 31
	s_lshl_b64 s[2:3], s[10:11], 2
	s_waitcnt lgkmcnt(0)
	s_add_u32 s0, s0, s2
	s_addc_u32 s1, s1, s3
	s_abs_i32 s2, s30
	v_cvt_f32_u32_e32 v1, s2
	s_sub_i32 s11, 0, s2
	s_abs_i32 s7, s9
	s_xor_b32 s3, s9, s30
	v_rcp_iflag_f32_e32 v1, v1
	s_ashr_i32 s3, s3, 31
	s_mov_b32 s42, 0
	v_mul_f32_e32 v1, 0x4f7ffffe, v1
	v_cvt_u32_f32_e32 v1, v1
	v_readfirstlane_b32 s12, v1
	s_mul_i32 s11, s11, s12
	s_mul_hi_u32 s11, s12, s11
	s_add_i32 s12, s12, s11
	s_mul_hi_u32 s11, s7, s12
	s_mul_i32 s12, s11, s2
	s_sub_i32 s7, s7, s12
	s_add_i32 s12, s11, 1
	s_sub_i32 s13, s7, s2
	s_cmp_ge_u32 s7, s2
	s_cselect_b32 s11, s12, s11
	s_cselect_b32 s7, s13, s7
	s_add_i32 s12, s11, 1
	s_cmp_ge_u32 s7, s2
	s_cselect_b32 s2, s12, s11
	s_xor_b32 s2, s2, s3
	s_sub_i32 s12, s2, s3
	s_abs_i32 s11, s12
	v_cvt_f32_u32_e32 v1, s11
	s_load_dwordx2 s[2:3], s[4:5], 0x40
	s_sub_i32 s7, 0, s11
	s_abs_i32 s22, s6
	v_rcp_iflag_f32_e32 v1, v1
	v_mul_f32_e32 v1, 0x4f7ffffe, v1
	v_cvt_u32_f32_e32 v1, v1
	v_readfirstlane_b32 s13, v1
	s_mul_i32 s7, s7, s13
	s_mul_hi_u32 s7, s13, s7
	s_add_i32 s13, s13, s7
	s_waitcnt lgkmcnt(0)
	s_cmp_eq_u64 s[2:3], 0
	s_mul_hi_u32 s23, s22, s13
	s_cbranch_scc1 .LBB2_2
; %bb.1:
	s_ashr_i32 s7, s6, 31
	s_lshl_b64 s[14:15], s[6:7], 2
	s_add_u32 s2, s2, s14
	s_addc_u32 s3, s3, s15
	s_load_dword s42, s[2:3], 0x0
.LBB2_2:
	s_load_dword s33, s[0:1], 0x0
	s_ashr_i32 s7, s12, 31
	s_load_dwordx4 s[12:15], s[4:5], 0x48
	s_movk_i32 s0, 0x50
	s_ashr_i32 s2, s6, 31
	v_and_b32_e32 v1, 7, v0
	s_mul_i32 s20, s6, 0x50
	v_cmp_gt_u32_e32 vcc, s0, v0
	v_lshlrev_b32_e32 v3, 2, v0
	v_lshrrev_b32_e32 v19, 1, v0
	s_and_saveexec_b64 s[0:1], vcc
	s_cbranch_execz .LBB2_4
; %bb.3:
	s_load_dwordx2 s[16:17], s[4:5], 0x8
	s_waitcnt lgkmcnt(0)
	s_mul_i32 s18, s12, s10
	s_ashr_i32 s19, s18, 31
	s_lshl_b64 s[18:19], s[18:19], 2
	v_and_b32_e32 v4, 0x1fc, v19
	s_add_u32 s3, s16, s18
	s_addc_u32 s12, s17, s19
	s_ashr_i32 s21, s20, 31
	s_lshl_b64 s[16:17], s[20:21], 2
	s_add_u32 s16, s3, s16
	s_addc_u32 s17, s12, s17
	global_load_dword v2, v3, s[16:17]
	v_mad_u32_u24 v4, v1, 40, v4
	s_waitcnt vmcnt(0)
	ds_write_b32 v4, v2
.LBB2_4:
	s_or_b64 exec, exec, s[0:1]
	s_mul_i32 s1, s23, s11
	s_sub_i32 s1, s22, s1
	s_xor_b32 s0, s2, s7
	s_add_i32 s2, s23, 1
	s_sub_i32 s7, s1, s11
	s_load_dwordx4 s[16:19], s[4:5], 0x68
	s_load_dword s3, s[4:5], 0x78
	s_cmp_ge_u32 s1, s11
	s_cselect_b32 s2, s2, s23
	s_cselect_b32 s1, s7, s1
	s_add_i32 s7, s2, 1
	s_cmp_ge_u32 s1, s11
	s_cselect_b32 s1, s7, s2
	s_waitcnt lgkmcnt(0)
	s_abs_i32 s21, s19
	v_cvt_f32_u32_e32 v2, s21
	s_xor_b32 s1, s1, s0
	s_sub_i32 s2, s1, s0
	s_sub_i32 s0, 0, s21
	v_rcp_iflag_f32_e32 v2, v2
	s_add_i32 s11, s33, -1
	s_abs_i32 s7, s11
	v_mul_f32_e32 v2, 0x4f7ffffe, v2
	v_cvt_u32_f32_e32 v2, v2
	s_barrier
	v_readfirstlane_b32 s40, v2
	s_mul_i32 s0, s0, s40
	s_mul_hi_u32 s0, s40, s0
	s_add_i32 s40, s40, s0
	s_cmp_lt_i32 s3, 0
	s_mul_hi_u32 s12, s7, s40
	s_cbranch_scc0 .LBB2_6
; %bb.5:
	s_mul_i32 s0, s16, s30
	s_add_i32 s0, s2, s0
	s_mul_i32 s0, s0, s3
	s_sub_i32 s41, 1, s0
	s_mov_b64 s[0:1], 0
	s_branch .LBB2_7
.LBB2_6:
	s_mov_b64 s[0:1], -1
                                        ; implicit-def: $sgpr41
.LBB2_7:
	s_load_dwordx2 s[24:25], s[4:5], 0x28
	s_ashr_i32 s15, s11, 31
	s_andn2_b64 vcc, exec, s[0:1]
	s_ashr_i32 s19, s19, 31
	s_cbranch_vccnz .LBB2_9
; %bb.8:
	s_mul_i32 s0, s9, s16
	s_add_i32 s0, s0, s6
	s_mul_i32 s0, s0, s3
	s_add_i32 s41, s0, 1
.LBB2_9:
	s_load_dword s0, s[4:5], 0x38
	s_load_dwordx2 s[22:23], s[4:5], 0x0
	s_load_dwordx2 s[28:29], s[4:5], 0x18
	s_load_dword s11, s[4:5], 0x88
	s_xor_b32 s1, s15, s19
	s_waitcnt lgkmcnt(0)
	s_mul_i32 s26, s0, s10
	s_mul_i32 s0, s12, s21
	s_sub_i32 s0, s7, s0
	s_ashr_i32 s27, s26, 31
	s_add_i32 s3, s12, 1
	s_sub_i32 s6, s0, s21
	s_cmp_ge_u32 s0, s21
	s_cselect_b32 s3, s3, s12
	s_cselect_b32 s0, s6, s0
	s_add_i32 s6, s3, 1
	s_cmp_ge_u32 s0, s21
	s_cselect_b32 s0, s6, s3
	s_xor_b32 s0, s0, s1
	s_sub_i32 s12, s0, s1
	s_add_i32 s0, s33, 7
	s_ashr_i32 s1, s0, 31
	s_lshr_b32 s1, s1, 29
	s_add_i32 s0, s0, s1
	s_ashr_i32 s16, s0, 3
	v_lshrrev_b32_e32 v20, 6, v0
	v_cmp_le_i32_e64 s[0:1], s16, v20
	v_cmp_gt_i32_e32 vcc, s16, v20
	v_mov_b32_e32 v8, 0xff7fffff
	s_mul_i32 s14, s2, s14
	v_lshrrev_b32_e32 v4, 4, v0
	v_lshlrev_b32_e32 v21, 3, v20
	v_mbcnt_lo_u32_b32 v5, -1, 0
	s_and_saveexec_b64 s[34:35], vcc
	s_cbranch_execz .LBB2_21
; %bb.10:
	s_load_dwordx2 s[2:3], s[4:5], 0x10
	s_ashr_i32 s15, s14, 31
	s_sub_i32 s30, s12, s17
	s_lshl_b64 s[4:5], s[14:15], 2
	v_bfe_u32 v6, v0, 3, 3
	s_waitcnt lgkmcnt(0)
	s_add_u32 s2, s2, s4
	s_addc_u32 s3, s3, s5
	s_abs_i32 s15, s18
	v_cvt_f32_u32_e32 v2, s15
	v_lshlrev_b32_e32 v7, 4, v6
	v_mov_b32_e32 v9, s3
	v_add_co_u32_e64 v7, s[2:3], s2, v7
	v_rcp_iflag_f32_e32 v2, v2
	v_and_b32_e32 v10, 3, v0
	v_addc_co_u32_e64 v9, s[2:3], 0, v9, s[2:3]
	v_mul_f32_e32 v2, 0x4f7ffffe, v2
	v_lshlrev_b32_e32 v10, 2, v10
	v_cvt_u32_f32_e32 v2, v2
	v_add_co_u32_e64 v10, s[2:3], v7, v10
	v_addc_co_u32_e64 v11, s[2:3], 0, v9, s[2:3]
	s_sub_i32 s2, 0, s15
	v_cmp_eq_u32_e32 vcc, 0, v1
	v_mul_u32_u24_e32 v7, 40, v1
	v_mul_lo_u32 v1, s2, v2
	v_lshlrev_b32_e32 v9, 5, v0
	v_and_b32_e32 v9, 0x80, v9
	v_add_co_u32_e64 v9, s[4:5], v10, v9
	v_mul_hi_u32 v1, v2, v1
	v_addc_co_u32_e64 v10, s[4:5], 0, v11, s[4:5]
	s_lshl_b64 s[4:5], s[26:27], 2
	v_lshlrev_b32_e32 v8, 2, v6
	s_add_u32 s4, s24, s4
	v_add_u32_e32 v11, v2, v1
	v_and_b32_e32 v1, 60, v4
	s_addc_u32 s5, s25, s5
	v_lshl_or_b32 v8, v20, 5, v8
	v_mbcnt_hi_u32_b32 v16, -1, v5
	v_mov_b32_e32 v2, s5
	v_add_co_u32_e64 v1, s[4:5], s4, v1
	v_subrev_u32_e32 v13, s33, v6
	v_add_u32_e32 v14, 0x150, v8
	v_and_b32_e32 v8, 64, v16
	s_mov_b32 s43, s13
	v_cmp_neq_f32_e64 s[2:3], s42, 0
	v_addc_co_u32_e64 v2, s[4:5], 0, v2, s[4:5]
	v_lshlrev_b32_e32 v12, 3, v20
	v_add_u32_e32 v13, 1, v13
	v_mov_b32_e32 v15, 0xff7fffff
	s_mov_b64 s[36:37], 0
	v_add_u32_e32 v17, 64, v8
	v_xor_b32_e32 v18, 4, v16
	v_xor_b32_e32 v22, 2, v16
	v_mov_b32_e32 v8, 0xff7fffff
	v_mov_b32_e32 v23, v20
	s_branch .LBB2_13
.LBB2_11:                               ;   in Loop: Header=BB2_13 Depth=1
	s_or_b64 exec, exec, s[38:39]
.LBB2_12:                               ;   in Loop: Header=BB2_13 Depth=1
	s_or_b64 exec, exec, s[6:7]
	v_add_co_u32_e64 v1, s[4:5], 8, v1
	v_add_u32_e32 v23, 2, v23
	v_addc_co_u32_e64 v2, s[4:5], 0, v2, s[4:5]
	v_cmp_le_i32_e64 s[4:5], s16, v23
	v_add_u32_e32 v12, 16, v12
	s_or_b64 s[36:37], s[4:5], s[36:37]
	v_add_u32_e32 v14, 64, v14
	s_andn2_b64 exec, exec, s[36:37]
	s_cbranch_execz .LBB2_20
.LBB2_13:                               ; =>This Inner Loop Header: Depth=1
	v_mul_hi_u32 v24, v12, s40
	s_waitcnt lgkmcnt(0)
	v_mul_lo_u32 v25, v24, s21
	v_add_u32_e32 v26, 1, v24
	v_sub_u32_e32 v25, v12, v25
	v_cmp_le_u32_e64 s[4:5], s21, v25
	v_cndmask_b32_e64 v24, v24, v26, s[4:5]
	v_subrev_u32_e32 v26, s21, v25
	v_cndmask_b32_e64 v25, v25, v26, s[4:5]
	v_add_u32_e32 v26, 1, v24
	v_cmp_le_u32_e64 s[4:5], s21, v25
	v_cndmask_b32_e64 v24, v24, v26, s[4:5]
	v_xor_b32_e32 v24, s19, v24
	v_subrev_u32_e32 v24, s19, v24
	v_add_u32_e32 v25, s41, v24
	v_sub_u32_e32 v26, 0, v25
	v_max_i32_e32 v26, v25, v26
	v_mul_hi_u32 v27, v26, v11
	v_ashrrev_i32_e32 v25, 31, v25
	v_cmp_ge_i32_e64 s[6:7], s30, v24
	v_mul_lo_u32 v27, v27, s15
	v_sub_u32_e32 v26, v26, v27
	v_subrev_u32_e32 v27, s15, v26
	v_cmp_le_u32_e64 s[4:5], s15, v26
	v_cndmask_b32_e64 v26, v26, v27, s[4:5]
	v_subrev_u32_e32 v27, s15, v26
	v_cmp_le_u32_e64 s[4:5], s15, v26
	v_cndmask_b32_e64 v26, v26, v27, s[4:5]
	v_xor_b32_e32 v26, v26, v25
	v_sub_u32_e32 v25, v26, v25
	v_cmp_ne_u32_e64 s[4:5], 0, v25
	s_and_b64 s[4:5], s[4:5], s[6:7]
	s_and_saveexec_b64 s[6:7], s[4:5]
	s_xor_b64 s[4:5], exec, s[6:7]
	s_cbranch_execz .LBB2_17
; %bb.14:                               ;   in Loop: Header=BB2_13 Depth=1
	s_and_saveexec_b64 s[6:7], vcc
; %bb.15:                               ;   in Loop: Header=BB2_13 Depth=1
	ds_write_b32 v14, v15
; %bb.16:                               ;   in Loop: Header=BB2_13 Depth=1
	s_or_b64 exec, exec, s[6:7]
.LBB2_17:                               ;   in Loop: Header=BB2_13 Depth=1
	s_andn2_saveexec_b64 s[6:7], s[4:5]
	s_cbranch_execz .LBB2_12
; %bb.18:                               ;   in Loop: Header=BB2_13 Depth=1
	global_load_dword v24, v[1:2], off
	s_waitcnt vmcnt(0)
	v_mad_i64_i32 v[24:25], s[4:5], v24, s43, 0
	v_lshlrev_b64 v[24:25], 2, v[24:25]
	v_add_co_u32_e64 v24, s[4:5], v9, v24
	v_addc_co_u32_e64 v25, s[4:5], v10, v25, s[4:5]
	global_load_dword v34, v[24:25], off offset:256
	global_load_dword v35, v[24:25], off offset:512
	;; [unrolled: 1-line block ×7, first 2 shown]
	global_load_dword v41, v[24:25], off
	global_load_dword v42, v[24:25], off offset:2048
	global_load_dword v43, v[24:25], off offset:2304
	ds_read2_b64 v[24:27], v7 offset1:1
	ds_read2_b64 v[28:31], v7 offset0:2 offset1:3
	ds_read_b64 v[32:33], v7 offset:32
	v_cmp_lt_i32_e64 s[4:5], v18, v17
	v_cndmask_b32_e64 v44, v16, v18, s[4:5]
	v_cmp_lt_i32_e64 s[4:5], v22, v17
	s_waitcnt vmcnt(9) lgkmcnt(2)
	v_mul_f32_e32 v25, v25, v34
	s_waitcnt vmcnt(2)
	v_fmac_f32_e32 v25, v24, v41
	v_fmac_f32_e32 v25, v26, v35
	;; [unrolled: 1-line block ×3, first 2 shown]
	s_waitcnt lgkmcnt(1)
	v_fmac_f32_e32 v25, v28, v37
	v_fmac_f32_e32 v25, v29, v38
	v_fmac_f32_e32 v25, v30, v39
	v_fmac_f32_e32 v25, v31, v40
	s_waitcnt vmcnt(1) lgkmcnt(0)
	v_fmac_f32_e32 v25, v32, v42
	v_lshlrev_b32_e32 v24, 2, v44
	s_waitcnt vmcnt(0)
	v_fmac_f32_e32 v25, v33, v43
	ds_bpermute_b32 v24, v24, v25
	v_cndmask_b32_e64 v26, v16, v22, s[4:5]
	v_lshlrev_b32_e32 v26, 2, v26
	s_waitcnt lgkmcnt(0)
	v_add_f32_e32 v24, v25, v24
	ds_bpermute_b32 v25, v26, v24
	v_xor_b32_e32 v26, 1, v16
	v_cmp_lt_i32_e64 s[4:5], v26, v17
	v_cndmask_b32_e64 v26, v16, v26, s[4:5]
	v_lshlrev_b32_e32 v26, 2, v26
	s_waitcnt lgkmcnt(0)
	v_add_f32_e32 v24, v24, v25
	ds_bpermute_b32 v25, v26, v24
	s_and_saveexec_b64 s[38:39], vcc
	s_cbranch_execz .LBB2_11
; %bb.19:                               ;   in Loop: Header=BB2_13 Depth=1
	v_add_u32_e32 v26, v13, v12
	v_cvt_f32_i32_e32 v26, v26
	s_waitcnt lgkmcnt(0)
	v_add_f32_e32 v24, v24, v25
	v_add_u32_e32 v27, v6, v12
	v_cmp_gt_i32_e64 s[4:5], s33, v27
	v_mul_f32_e32 v25, s42, v26
	v_cndmask_b32_e64 v25, 0, v25, s[2:3]
	v_fmac_f32_e32 v25, s31, v24
	v_cndmask_b32_e64 v24, 0, v25, s[4:5]
	ds_write_b32 v14, v24
	v_max_f32_e32 v24, v8, v8
	v_max_f32_e32 v24, v24, v25
	v_cndmask_b32_e64 v8, v8, v24, s[4:5]
	s_branch .LBB2_11
.LBB2_20:
	s_or_b64 exec, exec, s[36:37]
.LBB2_21:
	s_or_b64 exec, exec, s[34:35]
	v_mbcnt_hi_u32_b32 v2, -1, v5
	v_and_b32_e32 v11, 64, v2
	v_add_u32_e32 v5, 64, v11
	v_xor_b32_e32 v1, 32, v2
	v_cmp_lt_i32_e32 vcc, v1, v5
	v_cndmask_b32_e32 v1, v2, v1, vcc
	v_lshlrev_b32_e32 v7, 2, v1
	ds_bpermute_b32 v1, v7, v8
	v_max_f32_e32 v6, v8, v8
	v_xor_b32_e32 v8, 16, v2
	v_cmp_lt_i32_e32 vcc, v8, v5
	v_xor_b32_e32 v10, 8, v2
	s_waitcnt lgkmcnt(0)
	v_max_f32_e32 v1, v1, v1
	v_max_f32_e32 v1, v6, v1
	v_cndmask_b32_e32 v6, v2, v8, vcc
	v_lshlrev_b32_e32 v9, 2, v6
	ds_bpermute_b32 v6, v9, v1
	v_cmp_lt_i32_e32 vcc, v10, v5
	s_waitcnt lgkmcnt(0)
	v_max_f32_e32 v6, v6, v6
	v_max_f32_e32 v8, v1, v6
	v_cndmask_b32_e32 v1, v2, v10, vcc
	v_lshlrev_b32_e32 v10, 2, v1
	ds_bpermute_b32 v12, v10, v8
	v_and_b32_e32 v1, 63, v0
	v_cmp_eq_u32_e32 vcc, 0, v1
	v_lshlrev_b32_e32 v6, 2, v20
	s_and_saveexec_b64 s[2:3], vcc
	s_cbranch_execz .LBB2_23
; %bb.22:
	s_waitcnt lgkmcnt(0)
	v_max_f32_e32 v12, v12, v12
	v_max_f32_e32 v8, v8, v8
	;; [unrolled: 1-line block ×3, first 2 shown]
	ds_write_b32 v6, v8 offset:320
.LBB2_23:
	s_or_b64 exec, exec, s[2:3]
	v_cmp_gt_u32_e64 s[2:3], 2, v1
	s_waitcnt lgkmcnt(0)
	v_mov_b32_e32 v12, 0xff7fffff
	v_lshlrev_b32_e32 v8, 2, v1
	s_barrier
	s_and_saveexec_b64 s[4:5], s[2:3]
; %bb.24:
	ds_read_b32 v12, v8 offset:320
; %bb.25:
	s_or_b64 exec, exec, s[4:5]
	v_xor_b32_e32 v13, 1, v2
	v_cmp_lt_i32_e64 s[4:5], v13, v5
	v_cndmask_b32_e64 v13, v2, v13, s[4:5]
	v_lshlrev_b32_e32 v22, 2, v13
	s_waitcnt lgkmcnt(0)
	ds_bpermute_b32 v13, v22, v12
	v_max_f32_e32 v12, v12, v12
	v_lshlrev_b32_e32 v11, 2, v11
	s_lshl_b32 s4, s16, 3
	s_min_i32 s15, s4, s33
	s_waitcnt lgkmcnt(0)
	v_max_f32_e32 v13, v13, v13
	v_max_f32_e32 v12, v12, v13
	ds_bpermute_b32 v12, v11, v12
	v_cmp_gt_i32_e64 s[4:5], s15, v0
	v_mov_b32_e32 v11, 0
	s_and_saveexec_b64 s[30:31], s[4:5]
	s_cbranch_execz .LBB2_29
; %bb.26:
	v_mov_b32_e32 v11, 0x150
	v_lshl_add_u32 v13, v0, 2, v11
	v_mov_b32_e32 v11, 0
	s_mov_b64 s[34:35], 0
	v_mov_b32_e32 v14, v0
.LBB2_27:                               ; =>This Inner Loop Header: Depth=1
	ds_read_b32 v15, v13
	v_add_u32_e32 v14, 0x80, v14
	v_cmp_le_i32_e64 s[6:7], s15, v14
	s_or_b64 s[34:35], s[6:7], s[34:35]
	s_waitcnt lgkmcnt(0)
	v_sub_f32_e32 v15, v15, v12
	v_mul_f32_e32 v15, 0x3fb8aa3b, v15
	v_exp_f32_e32 v15, v15
	ds_write_b32 v13, v15
	v_add_f32_e32 v11, v11, v15
	v_add_u32_e32 v13, 0x200, v13
	s_andn2_b64 exec, exec, s[34:35]
	s_cbranch_execnz .LBB2_27
; %bb.28:
	s_or_b64 exec, exec, s[34:35]
.LBB2_29:
	s_or_b64 exec, exec, s[30:31]
	ds_bpermute_b32 v7, v7, v11
	s_waitcnt lgkmcnt(0)
	v_add_f32_e32 v7, v11, v7
	ds_bpermute_b32 v9, v9, v7
	s_waitcnt lgkmcnt(0)
	v_add_f32_e32 v7, v7, v9
	ds_bpermute_b32 v9, v10, v7
	v_xor_b32_e32 v10, 4, v2
	v_cmp_lt_i32_e64 s[6:7], v10, v5
	v_cndmask_b32_e64 v10, v2, v10, s[6:7]
	v_lshlrev_b32_e32 v10, 2, v10
	s_waitcnt lgkmcnt(0)
	v_add_f32_e32 v7, v7, v9
	ds_bpermute_b32 v9, v10, v7
	v_xor_b32_e32 v10, 2, v2
	v_cmp_lt_i32_e64 s[6:7], v10, v5
	v_cndmask_b32_e64 v5, v2, v10, s[6:7]
	v_lshlrev_b32_e32 v5, 2, v5
	s_waitcnt lgkmcnt(0)
	v_add_f32_e32 v7, v7, v9
	ds_bpermute_b32 v5, v5, v7
	s_waitcnt lgkmcnt(0)
	v_add_f32_e32 v5, v7, v5
	ds_bpermute_b32 v7, v22, v5
	s_waitcnt lgkmcnt(0)
	v_add_f32_e32 v5, v5, v7
	s_and_saveexec_b64 s[6:7], vcc
; %bb.30:
	ds_write_b32 v6, v5 offset:328
; %bb.31:
	s_or_b64 exec, exec, s[6:7]
	s_waitcnt lgkmcnt(0)
	s_barrier
	s_and_saveexec_b64 s[6:7], s[2:3]
; %bb.32:
	ds_read_b32 v5, v8 offset:328
; %bb.33:
	s_or_b64 exec, exec, s[6:7]
	s_waitcnt lgkmcnt(0)
	ds_bpermute_b32 v6, v22, v5
	v_lshlrev_b32_e32 v2, 2, v2
	v_and_b32_e32 v2, 0x100, v2
	s_waitcnt lgkmcnt(0)
	v_add_f32_e32 v5, v5, v6
	ds_bpermute_b32 v2, v2, v5
	s_and_saveexec_b64 s[2:3], s[4:5]
	s_cbranch_execz .LBB2_36
; %bb.34:
	s_waitcnt lgkmcnt(0)
	v_add_f32_e32 v5, 0x358637bd, v2
	v_div_scale_f32 v2, s[4:5], v5, v5, 1.0
	v_div_scale_f32 v6, vcc, 1.0, v5, 1.0
	s_mov_b64 s[4:5], 0
	v_rcp_f32_e32 v7, v2
	v_fma_f32 v8, -v2, v7, 1.0
	v_fmac_f32_e32 v7, v8, v7
	v_mul_f32_e32 v8, v6, v7
	v_fma_f32 v9, -v2, v8, v6
	v_fmac_f32_e32 v8, v9, v7
	v_fma_f32 v2, -v2, v8, v6
	v_div_fmas_f32 v6, v2, v7, v8
	v_mov_b32_e32 v2, 0x150
	v_lshl_add_u32 v2, v0, 2, v2
	v_div_fixup_f32 v5, v6, v5, 1.0
	v_mov_b32_e32 v6, v0
.LBB2_35:                               ; =>This Inner Loop Header: Depth=1
	ds_read_b32 v7, v2
	v_add_u32_e32 v6, 0x80, v6
	v_cmp_le_i32_e32 vcc, s15, v6
	s_or_b64 s[4:5], vcc, s[4:5]
	s_waitcnt lgkmcnt(0)
	v_mul_f32_e32 v7, v5, v7
	ds_write_b32 v2, v7
	v_add_u32_e32 v2, 0x200, v2
	s_andn2_b64 exec, exec, s[4:5]
	s_cbranch_execnz .LBB2_35
.LBB2_36:
	s_or_b64 exec, exec, s[2:3]
	v_lshrrev_b32_e32 v23, 1, v1
	s_waitcnt lgkmcnt(0)
	s_barrier
	s_and_saveexec_b64 s[2:3], s[0:1]
	s_xor_b64 s[0:1], exec, s[2:3]
; %bb.37:
	v_lshrrev_b32_e32 v23, 1, v1
                                        ; implicit-def: $vgpr21
                                        ; implicit-def: $vgpr20
                                        ; implicit-def: $vgpr3
                                        ; implicit-def: $vgpr4
; %bb.38:
	s_or_saveexec_b64 s[4:5], s[0:1]
	v_mov_b32_e32 v27, 0
	v_and_b32_e32 v24, 1, v0
	v_mov_b32_e32 v28, 0
	v_mov_b32_e32 v25, 0
	s_xor_b64 exec, exec, s[4:5]
	s_cbranch_execz .LBB2_52
; %bb.39:
	s_ashr_i32 s15, s14, 31
	s_sub_i32 s17, s12, s17
	s_lshl_b64 s[0:1], s[14:15], 2
	s_add_u32 s28, s28, s0
	s_addc_u32 s29, s29, s1
	s_abs_i32 s18, s18
	v_cvt_f32_u32_e32 v1, s18
	s_sub_i32 s1, 0, s18
	v_and_b32_e32 v26, 4, v3
	v_and_b32_e32 v3, 60, v4
	v_rcp_iflag_f32_e32 v1, v1
	v_or_b32_e32 v2, 64, v23
	s_movk_i32 s0, 0x50
	v_cmp_gt_u32_e32 vcc, s0, v2
	v_mul_f32_e32 v1, 0x4f7ffffe, v1
	v_cvt_u32_f32_e32 v1, v1
	s_add_i32 s31, s16, -1
	v_lshl_or_b32 v5, v23, 3, v26
	v_lshl_or_b32 v2, v2, 3, v26
	v_mul_lo_u32 v4, s1, v1
	s_lshl_b64 s[0:1], s[26:27], 2
	s_add_u32 s0, s24, s0
	s_addc_u32 s1, s25, s1
	v_mul_hi_u32 v4, v1, v4
	s_mov_b32 s30, s13
	v_mov_b32_e32 v25, 0
	s_mov_b64 s[6:7], 0
	v_add_u32_e32 v29, v1, v4
	v_mov_b32_e32 v1, s1
	v_add_co_u32_e64 v17, s[0:1], s0, v3
	v_addc_co_u32_e64 v18, s[0:1], 0, v1, s[0:1]
	v_lshlrev_b32_e32 v1, 4, v24
	v_lshl_or_b32 v1, v20, 5, v1
	v_add_u32_e32 v30, 0x150, v1
	v_lshlrev_b32_e32 v31, 2, v5
	v_lshlrev_b32_e32 v32, 2, v2
	v_mov_b32_e32 v28, 0
	v_mov_b32_e32 v27, 0
	s_branch .LBB2_43
.LBB2_40:                               ;   in Loop: Header=BB2_43 Depth=1
	s_or_b64 exec, exec, s[2:3]
	s_waitcnt vmcnt(0) lgkmcnt(0)
	v_mul_f32_e32 v13, v5, v13
	v_fmac_f32_e32 v13, v6, v14
	v_fmac_f32_e32 v13, v7, v15
	;; [unrolled: 1-line block ×3, first 2 shown]
	v_add_f32_e32 v25, v25, v13
.LBB2_41:                               ;   in Loop: Header=BB2_43 Depth=1
	s_or_b64 exec, exec, s[14:15]
	s_waitcnt vmcnt(0) lgkmcnt(0)
	v_mul_f32_e32 v9, v5, v9
	v_mul_f32_e32 v1, v5, v1
	v_fmac_f32_e32 v9, v6, v10
	v_fmac_f32_e32 v1, v6, v2
	v_fmac_f32_e32 v9, v7, v11
	v_fmac_f32_e32 v1, v7, v3
	v_fmac_f32_e32 v9, v8, v12
	v_fmac_f32_e32 v1, v8, v4
	v_add_f32_e32 v28, v28, v9
	v_add_f32_e32 v27, v27, v1
.LBB2_42:                               ;   in Loop: Header=BB2_43 Depth=1
	s_or_b64 exec, exec, s[12:13]
	v_add_co_u32_e64 v17, s[0:1], 8, v17
	v_add_u32_e32 v20, 2, v20
	v_addc_co_u32_e64 v18, s[0:1], 0, v18, s[0:1]
	v_cmp_le_i32_e64 s[0:1], s16, v20
	v_add_u32_e32 v21, 16, v21
	s_or_b64 s[6:7], s[0:1], s[6:7]
	v_add_u32_e32 v30, 64, v30
	s_andn2_b64 exec, exec, s[6:7]
	s_cbranch_execz .LBB2_51
.LBB2_43:                               ; =>This Inner Loop Header: Depth=1
	v_mul_hi_u32 v1, v21, s40
	v_mul_lo_u32 v2, v1, s21
	v_add_u32_e32 v3, 1, v1
	v_sub_u32_e32 v2, v21, v2
	v_cmp_le_u32_e64 s[0:1], s21, v2
	v_cndmask_b32_e64 v1, v1, v3, s[0:1]
	v_subrev_u32_e32 v3, s21, v2
	v_cndmask_b32_e64 v2, v2, v3, s[0:1]
	v_add_u32_e32 v3, 1, v1
	v_cmp_le_u32_e64 s[0:1], s21, v2
	v_cndmask_b32_e64 v1, v1, v3, s[0:1]
	v_xor_b32_e32 v1, s19, v1
	v_subrev_u32_e32 v1, s19, v1
	v_add_u32_e32 v2, s41, v1
	v_sub_u32_e32 v3, 0, v2
	v_max_i32_e32 v3, v2, v3
	v_mul_hi_u32 v4, v3, v29
	v_ashrrev_i32_e32 v2, 31, v2
	v_cmp_lt_i32_e64 s[2:3], s17, v1
	v_mul_lo_u32 v4, v4, s18
	v_sub_u32_e32 v3, v3, v4
	v_subrev_u32_e32 v4, s18, v3
	v_cmp_le_u32_e64 s[0:1], s18, v3
	v_cndmask_b32_e64 v3, v3, v4, s[0:1]
	v_subrev_u32_e32 v4, s18, v3
	v_cmp_le_u32_e64 s[0:1], s18, v3
	v_cndmask_b32_e64 v3, v3, v4, s[0:1]
	v_xor_b32_e32 v3, v3, v2
	v_sub_u32_e32 v2, v3, v2
	v_cmp_eq_u32_e64 s[0:1], 0, v2
	s_or_b64 s[0:1], s[0:1], s[2:3]
	s_and_saveexec_b64 s[12:13], s[0:1]
	s_cbranch_execz .LBB2_42
; %bb.44:                               ;   in Loop: Header=BB2_43 Depth=1
	global_load_dword v1, v[17:18], off
	v_mov_b32_e32 v3, s29
	ds_read_b128 v[5:8], v30
	v_add_u32_e32 v33, v26, v21
	s_waitcnt vmcnt(0)
	v_mad_i64_i32 v[1:2], s[0:1], v1, s30, 0
	v_lshlrev_b64 v[1:2], 2, v[1:2]
	v_add_co_u32_e64 v13, s[0:1], s28, v1
	v_addc_co_u32_e64 v14, s[0:1], v3, v2, s[0:1]
	v_add_co_u32_e64 v9, s[0:1], v13, v31
	v_addc_co_u32_e64 v10, s[0:1], 0, v14, s[0:1]
	global_load_dwordx4 v[1:4], v[9:10], off
	v_cmp_eq_u32_e64 s[0:1], s31, v20
	s_and_saveexec_b64 s[14:15], s[0:1]
	s_cbranch_execnz .LBB2_47
; %bb.45:                               ;   in Loop: Header=BB2_43 Depth=1
	s_or_b64 exec, exec, s[14:15]
	global_load_dwordx4 v[9:12], v[9:10], off offset:1024
	s_and_saveexec_b64 s[14:15], s[0:1]
	s_cbranch_execnz .LBB2_48
.LBB2_46:                               ;   in Loop: Header=BB2_43 Depth=1
	s_or_b64 exec, exec, s[14:15]
	s_and_saveexec_b64 s[14:15], vcc
	s_cbranch_execz .LBB2_41
	s_branch .LBB2_49
.LBB2_47:                               ;   in Loop: Header=BB2_43 Depth=1
	v_cmp_gt_i32_e64 s[2:3], s33, v33
	v_add_u32_e32 v11, 1, v33
	s_waitcnt vmcnt(0)
	v_cndmask_b32_e64 v1, 0, v1, s[2:3]
	v_cmp_gt_i32_e64 s[2:3], s33, v11
	v_add_u32_e32 v11, 2, v33
	v_cndmask_b32_e64 v2, 0, v2, s[2:3]
	v_cmp_gt_i32_e64 s[2:3], s33, v11
	v_add_u32_e32 v11, 3, v33
	v_cndmask_b32_e64 v3, 0, v3, s[2:3]
	v_cmp_gt_i32_e64 s[2:3], s33, v11
	v_cndmask_b32_e64 v4, 0, v4, s[2:3]
	s_or_b64 exec, exec, s[14:15]
	global_load_dwordx4 v[9:12], v[9:10], off offset:1024
	s_and_saveexec_b64 s[14:15], s[0:1]
	s_cbranch_execz .LBB2_46
.LBB2_48:                               ;   in Loop: Header=BB2_43 Depth=1
	v_cmp_gt_i32_e64 s[2:3], s33, v33
	v_add_u32_e32 v15, 1, v33
	s_waitcnt vmcnt(0)
	v_cndmask_b32_e64 v9, 0, v9, s[2:3]
	v_cmp_gt_i32_e64 s[2:3], s33, v15
	v_add_u32_e32 v15, 2, v33
	v_cndmask_b32_e64 v10, 0, v10, s[2:3]
	v_cmp_gt_i32_e64 s[2:3], s33, v15
	v_add_u32_e32 v15, 3, v33
	v_cndmask_b32_e64 v11, 0, v11, s[2:3]
	v_cmp_gt_i32_e64 s[2:3], s33, v15
	v_cndmask_b32_e64 v12, 0, v12, s[2:3]
	s_or_b64 exec, exec, s[14:15]
	s_and_saveexec_b64 s[14:15], vcc
	s_cbranch_execz .LBB2_41
.LBB2_49:                               ;   in Loop: Header=BB2_43 Depth=1
	v_add_co_u32_e64 v13, s[2:3], v13, v32
	v_addc_co_u32_e64 v14, s[2:3], 0, v14, s[2:3]
	global_load_dwordx4 v[13:16], v[13:14], off
	s_and_saveexec_b64 s[2:3], s[0:1]
	s_cbranch_execz .LBB2_40
; %bb.50:                               ;   in Loop: Header=BB2_43 Depth=1
	v_cmp_gt_i32_e64 s[0:1], s33, v33
	v_add_u32_e32 v34, 1, v33
	s_waitcnt vmcnt(0)
	v_cndmask_b32_e64 v13, 0, v13, s[0:1]
	v_cmp_gt_i32_e64 s[0:1], s33, v34
	v_add_u32_e32 v34, 2, v33
	v_cndmask_b32_e64 v14, 0, v14, s[0:1]
	v_cmp_gt_i32_e64 s[0:1], s33, v34
	v_add_u32_e32 v33, 3, v33
	v_cndmask_b32_e64 v15, 0, v15, s[0:1]
	v_cmp_gt_i32_e64 s[0:1], s33, v33
	v_cndmask_b32_e64 v16, 0, v16, s[0:1]
	s_branch .LBB2_40
.LBB2_51:
	s_or_b64 exec, exec, s[6:7]
.LBB2_52:
	s_or_b64 exec, exec, s[4:5]
	ds_bpermute_b32 v1, v22, v27
	ds_bpermute_b32 v4, v22, v25
	ds_bpermute_b32 v2, v22, v28
	v_cmp_eq_u32_e32 vcc, 0, v24
	s_waitcnt lgkmcnt(0)
	v_add_f32_e32 v3, v27, v1
	v_add_f32_e32 v1, v25, v4
	v_and_b32_e32 v4, 0x3c0, v0
	v_add_f32_e32 v2, v28, v2
	v_cmp_eq_u32_e64 s[0:1], 64, v4
	s_barrier
	s_and_saveexec_b64 s[2:3], s[0:1]
	s_cbranch_execz .LBB2_57
; %bb.53:
	s_and_saveexec_b64 s[0:1], vcc
; %bb.54:
	v_mov_b32_e32 v4, 0x150
	v_lshl_add_u32 v4, v23, 2, v4
	ds_write2_b32 v4, v3, v2 offset1:32
; %bb.55:
	s_or_b64 exec, exec, s[0:1]
	v_or_b32_e32 v4, 64, v23
	s_movk_i32 s0, 0x50
	v_cmp_gt_u32_e64 s[0:1], s0, v4
	s_and_b64 s[0:1], vcc, s[0:1]
	s_and_b64 exec, exec, s[0:1]
; %bb.56:
	v_mov_b32_e32 v4, 0x150
	v_lshl_add_u32 v4, v23, 2, v4
	ds_write_b32 v4, v1 offset:256
.LBB2_57:
	s_or_b64 exec, exec, s[2:3]
	v_cmp_gt_u32_e64 s[0:1], 64, v0
	s_waitcnt lgkmcnt(0)
	s_barrier
	s_and_saveexec_b64 s[4:5], s[0:1]
	s_cbranch_execz .LBB2_65
; %bb.58:
	s_and_saveexec_b64 s[2:3], vcc
	s_cbranch_execz .LBB2_60
; %bb.59:
	v_mov_b32_e32 v0, 0x150
	v_lshl_add_u32 v0, v19, 2, v0
	ds_read_b32 v0, v0
	s_waitcnt lgkmcnt(0)
	v_add_f32_e32 v3, v3, v0
.LBB2_60:
	s_or_b64 exec, exec, s[2:3]
	v_or_b32_e32 v0, 32, v19
	s_movk_i32 s6, 0x50
	v_cmp_gt_u32_e64 s[2:3], s6, v0
	s_and_b64 s[12:13], vcc, s[2:3]
	s_and_saveexec_b64 s[2:3], s[12:13]
	s_cbranch_execz .LBB2_62
; %bb.61:
	v_mov_b32_e32 v0, 0x150
	v_lshl_add_u32 v0, v19, 2, v0
	ds_read_b32 v0, v0 offset:128
	s_waitcnt lgkmcnt(0)
	v_add_f32_e32 v2, v2, v0
.LBB2_62:
	s_or_b64 exec, exec, s[2:3]
	v_or_b32_e32 v0, 64, v19
	v_cmp_gt_u32_e64 s[2:3], s6, v0
	s_and_b64 s[6:7], vcc, s[2:3]
	s_and_saveexec_b64 s[2:3], s[6:7]
	s_cbranch_execz .LBB2_64
; %bb.63:
	v_mov_b32_e32 v0, 0x150
	v_lshl_add_u32 v0, v19, 2, v0
	ds_read_b32 v0, v0 offset:256
	s_waitcnt lgkmcnt(0)
	v_add_f32_e32 v1, v1, v0
.LBB2_64:
	s_or_b64 exec, exec, s[2:3]
.LBB2_65:
	s_or_b64 exec, exec, s[4:5]
	s_barrier
	s_and_saveexec_b64 s[2:3], s[0:1]
	s_cbranch_execz .LBB2_72
; %bb.66:
	s_mul_i32 s0, s10, s11
	s_mul_i32 s0, s0, s9
	s_mulk_i32 s0, 0x50
	s_ashr_i32 s1, s0, 31
	s_lshl_b64 s[0:1], s[0:1], 2
	s_add_u32 s2, s22, s0
	s_mul_i32 s0, s11, s20
	s_addc_u32 s3, s23, s1
	s_ashr_i32 s1, s0, 31
	s_lshl_b64 s[0:1], s[0:1], 2
	s_add_u32 s2, s2, s0
	s_mul_i32 s0, s8, 0x50
	s_addc_u32 s3, s3, s1
	s_ashr_i32 s1, s0, 31
	s_lshl_b64 s[0:1], s[0:1], 2
	s_add_u32 s2, s2, s0
	s_movk_i32 s4, 0x50
	s_addc_u32 s3, s3, s1
	v_lshlrev_b32_e32 v0, 2, v19
	s_and_saveexec_b64 s[0:1], vcc
	s_cbranch_execz .LBB2_68
; %bb.67:
	global_store_dword v0, v3, s[2:3]
.LBB2_68:
	s_or_b64 exec, exec, s[0:1]
	v_or_b32_e32 v3, 32, v19
	v_cmp_gt_u32_e64 s[0:1], s4, v3
	s_and_b64 s[4:5], vcc, s[0:1]
	s_and_saveexec_b64 s[0:1], s[4:5]
	s_cbranch_execz .LBB2_70
; %bb.69:
	global_store_dword v0, v2, s[2:3] offset:128
.LBB2_70:
	s_or_b64 exec, exec, s[0:1]
	v_or_b32_e32 v2, 64, v19
	s_movk_i32 s0, 0x50
	v_cmp_gt_u32_e64 s[0:1], s0, v2
	s_and_b64 s[0:1], vcc, s[0:1]
	s_and_b64 exec, exec, s[0:1]
	s_cbranch_execz .LBB2_72
; %bb.71:
	global_store_dword v0, v1, s[2:3] offset:256
.LBB2_72:
	s_endpgm
	.section	.rodata,"a",@progbits
	.p2align	6, 0x0
	.amdhsa_kernel _ZN4vllm25paged_attention_v1_kernelIffLi80ELi8ELi128ELNS_18Fp8KVCacheDataTypeE0ELb1EEEvPT_PKS2_PKT0_S8_ifPKiSA_iPKfiiiSC_SC_iiiii
		.amdhsa_group_segment_fixed_size 336
		.amdhsa_private_segment_fixed_size 0
		.amdhsa_kernarg_size 384
		.amdhsa_user_sgpr_count 6
		.amdhsa_user_sgpr_private_segment_buffer 1
		.amdhsa_user_sgpr_dispatch_ptr 0
		.amdhsa_user_sgpr_queue_ptr 0
		.amdhsa_user_sgpr_kernarg_segment_ptr 1
		.amdhsa_user_sgpr_dispatch_id 0
		.amdhsa_user_sgpr_flat_scratch_init 0
		.amdhsa_user_sgpr_private_segment_size 0
		.amdhsa_uses_dynamic_stack 0
		.amdhsa_system_sgpr_private_segment_wavefront_offset 0
		.amdhsa_system_sgpr_workgroup_id_x 1
		.amdhsa_system_sgpr_workgroup_id_y 1
		.amdhsa_system_sgpr_workgroup_id_z 1
		.amdhsa_system_sgpr_workgroup_info 0
		.amdhsa_system_vgpr_workitem_id 0
		.amdhsa_next_free_vgpr 45
		.amdhsa_next_free_sgpr 44
		.amdhsa_reserve_vcc 1
		.amdhsa_reserve_flat_scratch 0
		.amdhsa_float_round_mode_32 0
		.amdhsa_float_round_mode_16_64 0
		.amdhsa_float_denorm_mode_32 3
		.amdhsa_float_denorm_mode_16_64 3
		.amdhsa_dx10_clamp 1
		.amdhsa_ieee_mode 1
		.amdhsa_fp16_overflow 0
		.amdhsa_exception_fp_ieee_invalid_op 0
		.amdhsa_exception_fp_denorm_src 0
		.amdhsa_exception_fp_ieee_div_zero 0
		.amdhsa_exception_fp_ieee_overflow 0
		.amdhsa_exception_fp_ieee_underflow 0
		.amdhsa_exception_fp_ieee_inexact 0
		.amdhsa_exception_int_div_zero 0
	.end_amdhsa_kernel
	.section	.text._ZN4vllm25paged_attention_v1_kernelIffLi80ELi8ELi128ELNS_18Fp8KVCacheDataTypeE0ELb1EEEvPT_PKS2_PKT0_S8_ifPKiSA_iPKfiiiSC_SC_iiiii,"axG",@progbits,_ZN4vllm25paged_attention_v1_kernelIffLi80ELi8ELi128ELNS_18Fp8KVCacheDataTypeE0ELb1EEEvPT_PKS2_PKT0_S8_ifPKiSA_iPKfiiiSC_SC_iiiii,comdat
.Lfunc_end2:
	.size	_ZN4vllm25paged_attention_v1_kernelIffLi80ELi8ELi128ELNS_18Fp8KVCacheDataTypeE0ELb1EEEvPT_PKS2_PKT0_S8_ifPKiSA_iPKfiiiSC_SC_iiiii, .Lfunc_end2-_ZN4vllm25paged_attention_v1_kernelIffLi80ELi8ELi128ELNS_18Fp8KVCacheDataTypeE0ELb1EEEvPT_PKS2_PKT0_S8_ifPKiSA_iPKfiiiSC_SC_iiiii
                                        ; -- End function
	.set _ZN4vllm25paged_attention_v1_kernelIffLi80ELi8ELi128ELNS_18Fp8KVCacheDataTypeE0ELb1EEEvPT_PKS2_PKT0_S8_ifPKiSA_iPKfiiiSC_SC_iiiii.num_vgpr, 45
	.set _ZN4vllm25paged_attention_v1_kernelIffLi80ELi8ELi128ELNS_18Fp8KVCacheDataTypeE0ELb1EEEvPT_PKS2_PKT0_S8_ifPKiSA_iPKfiiiSC_SC_iiiii.num_agpr, 0
	.set _ZN4vllm25paged_attention_v1_kernelIffLi80ELi8ELi128ELNS_18Fp8KVCacheDataTypeE0ELb1EEEvPT_PKS2_PKT0_S8_ifPKiSA_iPKfiiiSC_SC_iiiii.numbered_sgpr, 44
	.set _ZN4vllm25paged_attention_v1_kernelIffLi80ELi8ELi128ELNS_18Fp8KVCacheDataTypeE0ELb1EEEvPT_PKS2_PKT0_S8_ifPKiSA_iPKfiiiSC_SC_iiiii.num_named_barrier, 0
	.set _ZN4vllm25paged_attention_v1_kernelIffLi80ELi8ELi128ELNS_18Fp8KVCacheDataTypeE0ELb1EEEvPT_PKS2_PKT0_S8_ifPKiSA_iPKfiiiSC_SC_iiiii.private_seg_size, 0
	.set _ZN4vllm25paged_attention_v1_kernelIffLi80ELi8ELi128ELNS_18Fp8KVCacheDataTypeE0ELb1EEEvPT_PKS2_PKT0_S8_ifPKiSA_iPKfiiiSC_SC_iiiii.uses_vcc, 1
	.set _ZN4vllm25paged_attention_v1_kernelIffLi80ELi8ELi128ELNS_18Fp8KVCacheDataTypeE0ELb1EEEvPT_PKS2_PKT0_S8_ifPKiSA_iPKfiiiSC_SC_iiiii.uses_flat_scratch, 0
	.set _ZN4vllm25paged_attention_v1_kernelIffLi80ELi8ELi128ELNS_18Fp8KVCacheDataTypeE0ELb1EEEvPT_PKS2_PKT0_S8_ifPKiSA_iPKfiiiSC_SC_iiiii.has_dyn_sized_stack, 0
	.set _ZN4vllm25paged_attention_v1_kernelIffLi80ELi8ELi128ELNS_18Fp8KVCacheDataTypeE0ELb1EEEvPT_PKS2_PKT0_S8_ifPKiSA_iPKfiiiSC_SC_iiiii.has_recursion, 0
	.set _ZN4vllm25paged_attention_v1_kernelIffLi80ELi8ELi128ELNS_18Fp8KVCacheDataTypeE0ELb1EEEvPT_PKS2_PKT0_S8_ifPKiSA_iPKfiiiSC_SC_iiiii.has_indirect_call, 0
	.section	.AMDGPU.csdata,"",@progbits
; Kernel info:
; codeLenInByte = 4140
; TotalNumSgprs: 48
; NumVgprs: 45
; ScratchSize: 0
; MemoryBound: 0
; FloatMode: 240
; IeeeMode: 1
; LDSByteSize: 336 bytes/workgroup (compile time only)
; SGPRBlocks: 5
; VGPRBlocks: 11
; NumSGPRsForWavesPerEU: 48
; NumVGPRsForWavesPerEU: 45
; Occupancy: 5
; WaveLimiterHint : 1
; COMPUTE_PGM_RSRC2:SCRATCH_EN: 0
; COMPUTE_PGM_RSRC2:USER_SGPR: 6
; COMPUTE_PGM_RSRC2:TRAP_HANDLER: 0
; COMPUTE_PGM_RSRC2:TGID_X_EN: 1
; COMPUTE_PGM_RSRC2:TGID_Y_EN: 1
; COMPUTE_PGM_RSRC2:TGID_Z_EN: 1
; COMPUTE_PGM_RSRC2:TIDIG_COMP_CNT: 0
	.section	.text._ZN4vllm25paged_attention_v1_kernelIffLi96ELi8ELi128ELNS_18Fp8KVCacheDataTypeE0ELb1EEEvPT_PKS2_PKT0_S8_ifPKiSA_iPKfiiiSC_SC_iiiii,"axG",@progbits,_ZN4vllm25paged_attention_v1_kernelIffLi96ELi8ELi128ELNS_18Fp8KVCacheDataTypeE0ELb1EEEvPT_PKS2_PKT0_S8_ifPKiSA_iPKfiiiSC_SC_iiiii,comdat
	.protected	_ZN4vllm25paged_attention_v1_kernelIffLi96ELi8ELi128ELNS_18Fp8KVCacheDataTypeE0ELb1EEEvPT_PKS2_PKT0_S8_ifPKiSA_iPKfiiiSC_SC_iiiii ; -- Begin function _ZN4vllm25paged_attention_v1_kernelIffLi96ELi8ELi128ELNS_18Fp8KVCacheDataTypeE0ELb1EEEvPT_PKS2_PKT0_S8_ifPKiSA_iPKfiiiSC_SC_iiiii
	.globl	_ZN4vllm25paged_attention_v1_kernelIffLi96ELi8ELi128ELNS_18Fp8KVCacheDataTypeE0ELb1EEEvPT_PKS2_PKT0_S8_ifPKiSA_iPKfiiiSC_SC_iiiii
	.p2align	8
	.type	_ZN4vllm25paged_attention_v1_kernelIffLi96ELi8ELi128ELNS_18Fp8KVCacheDataTypeE0ELb1EEEvPT_PKS2_PKT0_S8_ifPKiSA_iPKfiiiSC_SC_iiiii,@function
_ZN4vllm25paged_attention_v1_kernelIffLi96ELi8ELi128ELNS_18Fp8KVCacheDataTypeE0ELb1EEEvPT_PKS2_PKT0_S8_ifPKiSA_iPKfiiiSC_SC_iiiii: ; @_ZN4vllm25paged_attention_v1_kernelIffLi96ELi8ELi128ELNS_18Fp8KVCacheDataTypeE0ELb1EEEvPT_PKS2_PKT0_S8_ifPKiSA_iPKfiiiSC_SC_iiiii
; %bb.0:
	s_load_dword s9, s[4:5], 0x80
	s_load_dwordx2 s[0:1], s[4:5], 0x30
	s_load_dwordx2 s[30:31], s[4:5], 0x20
	s_mov_b32 s10, s7
	s_ashr_i32 s11, s7, 31
	s_lshl_b64 s[2:3], s[10:11], 2
	s_waitcnt lgkmcnt(0)
	s_add_u32 s0, s0, s2
	s_addc_u32 s1, s1, s3
	s_abs_i32 s2, s30
	v_cvt_f32_u32_e32 v1, s2
	s_sub_i32 s11, 0, s2
	s_abs_i32 s7, s9
	s_xor_b32 s3, s9, s30
	v_rcp_iflag_f32_e32 v1, v1
	s_ashr_i32 s3, s3, 31
	s_mov_b32 s42, 0
	v_mul_f32_e32 v1, 0x4f7ffffe, v1
	v_cvt_u32_f32_e32 v1, v1
	v_readfirstlane_b32 s12, v1
	s_mul_i32 s11, s11, s12
	s_mul_hi_u32 s11, s12, s11
	s_add_i32 s12, s12, s11
	s_mul_hi_u32 s11, s7, s12
	s_mul_i32 s12, s11, s2
	s_sub_i32 s7, s7, s12
	s_add_i32 s12, s11, 1
	s_sub_i32 s13, s7, s2
	s_cmp_ge_u32 s7, s2
	s_cselect_b32 s11, s12, s11
	s_cselect_b32 s7, s13, s7
	s_add_i32 s12, s11, 1
	s_cmp_ge_u32 s7, s2
	s_cselect_b32 s2, s12, s11
	s_xor_b32 s2, s2, s3
	s_sub_i32 s12, s2, s3
	s_abs_i32 s11, s12
	v_cvt_f32_u32_e32 v1, s11
	s_load_dwordx2 s[2:3], s[4:5], 0x40
	s_sub_i32 s7, 0, s11
	s_abs_i32 s22, s6
	v_rcp_iflag_f32_e32 v1, v1
	v_mul_f32_e32 v1, 0x4f7ffffe, v1
	v_cvt_u32_f32_e32 v1, v1
	v_readfirstlane_b32 s13, v1
	s_mul_i32 s7, s7, s13
	s_mul_hi_u32 s7, s13, s7
	s_add_i32 s13, s13, s7
	s_waitcnt lgkmcnt(0)
	s_cmp_eq_u64 s[2:3], 0
	s_mul_hi_u32 s23, s22, s13
	s_cbranch_scc1 .LBB3_2
; %bb.1:
	s_ashr_i32 s7, s6, 31
	s_lshl_b64 s[14:15], s[6:7], 2
	s_add_u32 s2, s2, s14
	s_addc_u32 s3, s3, s15
	s_load_dword s42, s[2:3], 0x0
.LBB3_2:
	s_load_dword s33, s[0:1], 0x0
	s_ashr_i32 s7, s12, 31
	s_load_dwordx4 s[12:15], s[4:5], 0x48
	s_movk_i32 s0, 0x60
	s_ashr_i32 s2, s6, 31
	v_and_b32_e32 v1, 7, v0
	s_mul_i32 s20, s6, 0x60
	v_cmp_gt_u32_e32 vcc, s0, v0
	v_lshlrev_b32_e32 v3, 2, v0
	v_lshrrev_b32_e32 v19, 1, v0
	s_and_saveexec_b64 s[0:1], vcc
	s_cbranch_execz .LBB3_4
; %bb.3:
	s_load_dwordx2 s[16:17], s[4:5], 0x8
	s_waitcnt lgkmcnt(0)
	s_mul_i32 s18, s12, s10
	s_ashr_i32 s19, s18, 31
	s_lshl_b64 s[18:19], s[18:19], 2
	v_and_b32_e32 v4, 0x1fc, v19
	s_add_u32 s3, s16, s18
	s_addc_u32 s12, s17, s19
	s_ashr_i32 s21, s20, 31
	s_lshl_b64 s[16:17], s[20:21], 2
	s_add_u32 s16, s3, s16
	s_addc_u32 s17, s12, s17
	global_load_dword v2, v3, s[16:17]
	v_mad_u32_u24 v4, v1, 48, v4
	s_waitcnt vmcnt(0)
	ds_write_b32 v4, v2
.LBB3_4:
	s_or_b64 exec, exec, s[0:1]
	s_mul_i32 s1, s23, s11
	s_sub_i32 s1, s22, s1
	s_xor_b32 s0, s2, s7
	s_add_i32 s2, s23, 1
	s_sub_i32 s7, s1, s11
	s_load_dwordx4 s[16:19], s[4:5], 0x68
	s_load_dword s3, s[4:5], 0x78
	s_cmp_ge_u32 s1, s11
	s_cselect_b32 s2, s2, s23
	s_cselect_b32 s1, s7, s1
	s_add_i32 s7, s2, 1
	s_cmp_ge_u32 s1, s11
	s_cselect_b32 s1, s7, s2
	s_waitcnt lgkmcnt(0)
	s_abs_i32 s21, s19
	v_cvt_f32_u32_e32 v2, s21
	s_xor_b32 s1, s1, s0
	s_sub_i32 s2, s1, s0
	s_sub_i32 s0, 0, s21
	v_rcp_iflag_f32_e32 v2, v2
	s_add_i32 s11, s33, -1
	s_abs_i32 s7, s11
	v_mul_f32_e32 v2, 0x4f7ffffe, v2
	v_cvt_u32_f32_e32 v2, v2
	s_barrier
	v_readfirstlane_b32 s40, v2
	s_mul_i32 s0, s0, s40
	s_mul_hi_u32 s0, s40, s0
	s_add_i32 s40, s40, s0
	s_cmp_lt_i32 s3, 0
	s_mul_hi_u32 s12, s7, s40
	s_cbranch_scc0 .LBB3_6
; %bb.5:
	s_mul_i32 s0, s16, s30
	s_add_i32 s0, s2, s0
	s_mul_i32 s0, s0, s3
	s_sub_i32 s41, 1, s0
	s_mov_b64 s[0:1], 0
	s_branch .LBB3_7
.LBB3_6:
	s_mov_b64 s[0:1], -1
                                        ; implicit-def: $sgpr41
.LBB3_7:
	s_load_dwordx2 s[24:25], s[4:5], 0x28
	s_ashr_i32 s15, s11, 31
	s_andn2_b64 vcc, exec, s[0:1]
	s_ashr_i32 s19, s19, 31
	s_cbranch_vccnz .LBB3_9
; %bb.8:
	s_mul_i32 s0, s9, s16
	s_add_i32 s0, s0, s6
	s_mul_i32 s0, s0, s3
	s_add_i32 s41, s0, 1
.LBB3_9:
	s_load_dword s0, s[4:5], 0x38
	s_load_dwordx2 s[22:23], s[4:5], 0x0
	s_load_dwordx2 s[28:29], s[4:5], 0x18
	s_load_dword s11, s[4:5], 0x88
	s_xor_b32 s1, s15, s19
	s_waitcnt lgkmcnt(0)
	s_mul_i32 s26, s0, s10
	s_mul_i32 s0, s12, s21
	s_sub_i32 s0, s7, s0
	s_ashr_i32 s27, s26, 31
	s_add_i32 s3, s12, 1
	s_sub_i32 s6, s0, s21
	s_cmp_ge_u32 s0, s21
	s_cselect_b32 s3, s3, s12
	s_cselect_b32 s0, s6, s0
	s_add_i32 s6, s3, 1
	s_cmp_ge_u32 s0, s21
	s_cselect_b32 s0, s6, s3
	s_xor_b32 s0, s0, s1
	s_sub_i32 s12, s0, s1
	s_add_i32 s0, s33, 7
	s_ashr_i32 s1, s0, 31
	s_lshr_b32 s1, s1, 29
	s_add_i32 s0, s0, s1
	s_ashr_i32 s16, s0, 3
	v_lshrrev_b32_e32 v20, 6, v0
	v_cmp_gt_i32_e64 s[0:1], s16, v20
	v_mov_b32_e32 v8, 0xff7fffff
	s_mul_i32 s14, s2, s14
	v_lshrrev_b32_e32 v4, 4, v0
	v_lshlrev_b32_e32 v21, 3, v20
	v_mbcnt_lo_u32_b32 v5, -1, 0
	s_and_saveexec_b64 s[34:35], s[0:1]
	s_cbranch_execz .LBB3_21
; %bb.10:
	s_load_dwordx2 s[2:3], s[4:5], 0x10
	s_ashr_i32 s15, s14, 31
	s_sub_i32 s30, s12, s17
	s_lshl_b64 s[4:5], s[14:15], 2
	v_bfe_u32 v6, v0, 3, 3
	s_waitcnt lgkmcnt(0)
	s_add_u32 s2, s2, s4
	s_addc_u32 s3, s3, s5
	s_abs_i32 s15, s18
	v_cvt_f32_u32_e32 v2, s15
	v_lshlrev_b32_e32 v7, 4, v6
	v_mov_b32_e32 v9, s3
	v_add_co_u32_e64 v7, s[2:3], s2, v7
	v_rcp_iflag_f32_e32 v2, v2
	v_and_b32_e32 v10, 3, v0
	v_addc_co_u32_e64 v9, s[2:3], 0, v9, s[2:3]
	v_mul_f32_e32 v2, 0x4f7ffffe, v2
	v_lshlrev_b32_e32 v10, 2, v10
	v_cvt_u32_f32_e32 v2, v2
	v_add_co_u32_e64 v10, s[2:3], v7, v10
	v_addc_co_u32_e64 v11, s[2:3], 0, v9, s[2:3]
	s_sub_i32 s2, 0, s15
	v_cmp_eq_u32_e32 vcc, 0, v1
	v_mul_u32_u24_e32 v7, 48, v1
	v_mul_lo_u32 v1, s2, v2
	v_lshlrev_b32_e32 v9, 5, v0
	v_and_b32_e32 v9, 0x80, v9
	v_add_co_u32_e64 v9, s[4:5], v10, v9
	v_mul_hi_u32 v1, v2, v1
	v_addc_co_u32_e64 v10, s[4:5], 0, v11, s[4:5]
	s_lshl_b64 s[4:5], s[26:27], 2
	v_lshlrev_b32_e32 v8, 2, v6
	s_add_u32 s4, s24, s4
	v_add_u32_e32 v11, v2, v1
	v_and_b32_e32 v1, 60, v4
	s_addc_u32 s5, s25, s5
	v_lshl_or_b32 v8, v20, 5, v8
	v_mbcnt_hi_u32_b32 v16, -1, v5
	v_mov_b32_e32 v2, s5
	v_add_co_u32_e64 v1, s[4:5], s4, v1
	v_subrev_u32_e32 v13, s33, v6
	v_add_u32_e32 v14, 0x190, v8
	v_and_b32_e32 v8, 64, v16
	s_mov_b32 s43, s13
	v_cmp_neq_f32_e64 s[2:3], s42, 0
	v_addc_co_u32_e64 v2, s[4:5], 0, v2, s[4:5]
	v_lshlrev_b32_e32 v12, 3, v20
	v_add_u32_e32 v13, 1, v13
	v_mov_b32_e32 v15, 0xff7fffff
	s_mov_b64 s[36:37], 0
	v_add_u32_e32 v17, 64, v8
	v_xor_b32_e32 v18, 4, v16
	v_xor_b32_e32 v22, 2, v16
	v_mov_b32_e32 v8, 0xff7fffff
	v_mov_b32_e32 v23, v20
	s_branch .LBB3_13
.LBB3_11:                               ;   in Loop: Header=BB3_13 Depth=1
	s_or_b64 exec, exec, s[38:39]
.LBB3_12:                               ;   in Loop: Header=BB3_13 Depth=1
	s_or_b64 exec, exec, s[6:7]
	v_add_co_u32_e64 v1, s[4:5], 8, v1
	v_add_u32_e32 v23, 2, v23
	v_addc_co_u32_e64 v2, s[4:5], 0, v2, s[4:5]
	v_cmp_le_i32_e64 s[4:5], s16, v23
	v_add_u32_e32 v12, 16, v12
	s_or_b64 s[36:37], s[4:5], s[36:37]
	v_add_u32_e32 v14, 64, v14
	s_andn2_b64 exec, exec, s[36:37]
	s_cbranch_execz .LBB3_20
.LBB3_13:                               ; =>This Inner Loop Header: Depth=1
	v_mul_hi_u32 v24, v12, s40
	s_waitcnt lgkmcnt(0)
	v_mul_lo_u32 v25, v24, s21
	v_add_u32_e32 v26, 1, v24
	v_sub_u32_e32 v25, v12, v25
	v_cmp_le_u32_e64 s[4:5], s21, v25
	v_cndmask_b32_e64 v24, v24, v26, s[4:5]
	v_subrev_u32_e32 v26, s21, v25
	v_cndmask_b32_e64 v25, v25, v26, s[4:5]
	v_add_u32_e32 v26, 1, v24
	v_cmp_le_u32_e64 s[4:5], s21, v25
	v_cndmask_b32_e64 v24, v24, v26, s[4:5]
	v_xor_b32_e32 v24, s19, v24
	v_subrev_u32_e32 v24, s19, v24
	v_add_u32_e32 v25, s41, v24
	v_sub_u32_e32 v26, 0, v25
	v_max_i32_e32 v26, v25, v26
	v_mul_hi_u32 v27, v26, v11
	v_ashrrev_i32_e32 v25, 31, v25
	v_cmp_ge_i32_e64 s[6:7], s30, v24
	v_mul_lo_u32 v27, v27, s15
	v_sub_u32_e32 v26, v26, v27
	v_subrev_u32_e32 v27, s15, v26
	v_cmp_le_u32_e64 s[4:5], s15, v26
	v_cndmask_b32_e64 v26, v26, v27, s[4:5]
	v_subrev_u32_e32 v27, s15, v26
	v_cmp_le_u32_e64 s[4:5], s15, v26
	v_cndmask_b32_e64 v26, v26, v27, s[4:5]
	v_xor_b32_e32 v26, v26, v25
	v_sub_u32_e32 v25, v26, v25
	v_cmp_ne_u32_e64 s[4:5], 0, v25
	s_and_b64 s[4:5], s[4:5], s[6:7]
	s_and_saveexec_b64 s[6:7], s[4:5]
	s_xor_b64 s[4:5], exec, s[6:7]
	s_cbranch_execz .LBB3_17
; %bb.14:                               ;   in Loop: Header=BB3_13 Depth=1
	s_and_saveexec_b64 s[6:7], vcc
; %bb.15:                               ;   in Loop: Header=BB3_13 Depth=1
	ds_write_b32 v14, v15
; %bb.16:                               ;   in Loop: Header=BB3_13 Depth=1
	s_or_b64 exec, exec, s[6:7]
.LBB3_17:                               ;   in Loop: Header=BB3_13 Depth=1
	s_andn2_saveexec_b64 s[6:7], s[4:5]
	s_cbranch_execz .LBB3_12
; %bb.18:                               ;   in Loop: Header=BB3_13 Depth=1
	global_load_dword v24, v[1:2], off
	s_waitcnt vmcnt(0)
	v_mad_i64_i32 v[24:25], s[4:5], v24, s43, 0
	v_lshlrev_b64 v[24:25], 2, v[24:25]
	v_add_co_u32_e64 v24, s[4:5], v9, v24
	v_addc_co_u32_e64 v25, s[4:5], v10, v25, s[4:5]
	global_load_dword v36, v[24:25], off offset:256
	global_load_dword v37, v[24:25], off offset:512
	;; [unrolled: 1-line block ×7, first 2 shown]
	global_load_dword v43, v[24:25], off
	global_load_dword v44, v[24:25], off offset:2048
	global_load_dword v45, v[24:25], off offset:2304
	;; [unrolled: 1-line block ×4, first 2 shown]
	ds_read_b128 v[24:27], v7
	ds_read_b128 v[28:31], v7 offset:16
	ds_read_b128 v[32:35], v7 offset:32
	v_cmp_lt_i32_e64 s[4:5], v18, v17
	v_cndmask_b32_e64 v48, v16, v18, s[4:5]
	v_cmp_lt_i32_e64 s[4:5], v22, v17
	s_waitcnt vmcnt(11) lgkmcnt(2)
	v_mul_f32_e32 v25, v25, v36
	s_waitcnt vmcnt(4)
	v_fmac_f32_e32 v25, v24, v43
	v_fmac_f32_e32 v25, v26, v37
	;; [unrolled: 1-line block ×3, first 2 shown]
	s_waitcnt lgkmcnt(1)
	v_fmac_f32_e32 v25, v28, v39
	v_fmac_f32_e32 v25, v29, v40
	;; [unrolled: 1-line block ×4, first 2 shown]
	s_waitcnt vmcnt(3) lgkmcnt(0)
	v_fmac_f32_e32 v25, v32, v44
	s_waitcnt vmcnt(2)
	v_fmac_f32_e32 v25, v33, v45
	s_waitcnt vmcnt(1)
	v_fmac_f32_e32 v25, v34, v46
	v_lshlrev_b32_e32 v24, 2, v48
	s_waitcnt vmcnt(0)
	v_fmac_f32_e32 v25, v35, v47
	ds_bpermute_b32 v24, v24, v25
	v_cndmask_b32_e64 v26, v16, v22, s[4:5]
	v_lshlrev_b32_e32 v26, 2, v26
	s_waitcnt lgkmcnt(0)
	v_add_f32_e32 v24, v25, v24
	ds_bpermute_b32 v25, v26, v24
	v_xor_b32_e32 v26, 1, v16
	v_cmp_lt_i32_e64 s[4:5], v26, v17
	v_cndmask_b32_e64 v26, v16, v26, s[4:5]
	v_lshlrev_b32_e32 v26, 2, v26
	s_waitcnt lgkmcnt(0)
	v_add_f32_e32 v24, v24, v25
	ds_bpermute_b32 v25, v26, v24
	s_and_saveexec_b64 s[38:39], vcc
	s_cbranch_execz .LBB3_11
; %bb.19:                               ;   in Loop: Header=BB3_13 Depth=1
	v_add_u32_e32 v26, v13, v12
	v_cvt_f32_i32_e32 v26, v26
	s_waitcnt lgkmcnt(0)
	v_add_f32_e32 v24, v24, v25
	v_add_u32_e32 v27, v6, v12
	v_cmp_gt_i32_e64 s[4:5], s33, v27
	v_mul_f32_e32 v25, s42, v26
	v_cndmask_b32_e64 v25, 0, v25, s[2:3]
	v_fmac_f32_e32 v25, s31, v24
	v_cndmask_b32_e64 v24, 0, v25, s[4:5]
	ds_write_b32 v14, v24
	v_max_f32_e32 v24, v8, v8
	v_max_f32_e32 v24, v24, v25
	v_cndmask_b32_e64 v8, v8, v24, s[4:5]
	s_branch .LBB3_11
.LBB3_20:
	s_or_b64 exec, exec, s[36:37]
.LBB3_21:
	s_or_b64 exec, exec, s[34:35]
	v_mbcnt_hi_u32_b32 v1, -1, v5
	v_and_b32_e32 v10, 64, v1
	v_add_u32_e32 v2, 64, v10
	v_xor_b32_e32 v5, 32, v1
	v_cmp_lt_i32_e32 vcc, v5, v2
	v_cndmask_b32_e32 v5, v1, v5, vcc
	v_lshlrev_b32_e32 v6, 2, v5
	ds_bpermute_b32 v5, v6, v8
	v_max_f32_e32 v7, v8, v8
	v_xor_b32_e32 v8, 16, v1
	v_cmp_lt_i32_e32 vcc, v8, v2
	v_xor_b32_e32 v9, 8, v1
	s_waitcnt lgkmcnt(0)
	v_max_f32_e32 v5, v5, v5
	v_max_f32_e32 v5, v7, v5
	v_cndmask_b32_e32 v7, v1, v8, vcc
	v_lshlrev_b32_e32 v8, 2, v7
	ds_bpermute_b32 v7, v8, v5
	v_cmp_lt_i32_e32 vcc, v9, v2
	v_and_b32_e32 v22, 63, v0
	s_waitcnt lgkmcnt(0)
	v_max_f32_e32 v7, v7, v7
	v_max_f32_e32 v7, v5, v7
	v_cndmask_b32_e32 v5, v1, v9, vcc
	v_lshlrev_b32_e32 v9, 2, v5
	ds_bpermute_b32 v11, v9, v7
	v_cmp_eq_u32_e32 vcc, 0, v22
	v_lshlrev_b32_e32 v5, 2, v20
	s_and_saveexec_b64 s[2:3], vcc
	s_cbranch_execz .LBB3_23
; %bb.22:
	s_waitcnt lgkmcnt(0)
	v_max_f32_e32 v11, v11, v11
	v_max_f32_e32 v7, v7, v7
	;; [unrolled: 1-line block ×3, first 2 shown]
	ds_write_b32 v5, v7 offset:384
.LBB3_23:
	s_or_b64 exec, exec, s[2:3]
	v_cmp_gt_u32_e64 s[2:3], 2, v22
	s_waitcnt lgkmcnt(0)
	v_mov_b32_e32 v11, 0xff7fffff
	v_lshlrev_b32_e32 v7, 2, v22
	s_barrier
	s_and_saveexec_b64 s[4:5], s[2:3]
; %bb.24:
	ds_read_b32 v11, v7 offset:384
; %bb.25:
	s_or_b64 exec, exec, s[4:5]
	v_xor_b32_e32 v12, 1, v1
	v_cmp_lt_i32_e64 s[4:5], v12, v2
	v_cndmask_b32_e64 v12, v1, v12, s[4:5]
	v_lshlrev_b32_e32 v23, 2, v12
	s_waitcnt lgkmcnt(0)
	ds_bpermute_b32 v12, v23, v11
	v_max_f32_e32 v11, v11, v11
	v_lshlrev_b32_e32 v10, 2, v10
	s_lshl_b32 s4, s16, 3
	s_min_i32 s15, s4, s33
	s_waitcnt lgkmcnt(0)
	v_max_f32_e32 v12, v12, v12
	v_max_f32_e32 v11, v11, v12
	ds_bpermute_b32 v11, v10, v11
	v_cmp_gt_i32_e64 s[4:5], s15, v0
	v_mov_b32_e32 v10, 0
	s_and_saveexec_b64 s[30:31], s[4:5]
	s_cbranch_execz .LBB3_29
; %bb.26:
	v_mov_b32_e32 v10, 0x190
	v_lshl_add_u32 v12, v0, 2, v10
	v_mov_b32_e32 v10, 0
	s_mov_b64 s[34:35], 0
	v_mov_b32_e32 v13, v0
.LBB3_27:                               ; =>This Inner Loop Header: Depth=1
	ds_read_b32 v14, v12
	v_add_u32_e32 v13, 0x80, v13
	v_cmp_le_i32_e64 s[6:7], s15, v13
	s_or_b64 s[34:35], s[6:7], s[34:35]
	s_waitcnt lgkmcnt(0)
	v_sub_f32_e32 v14, v14, v11
	v_mul_f32_e32 v14, 0x3fb8aa3b, v14
	v_exp_f32_e32 v14, v14
	ds_write_b32 v12, v14
	v_add_f32_e32 v10, v10, v14
	v_add_u32_e32 v12, 0x200, v12
	s_andn2_b64 exec, exec, s[34:35]
	s_cbranch_execnz .LBB3_27
; %bb.28:
	s_or_b64 exec, exec, s[34:35]
.LBB3_29:
	s_or_b64 exec, exec, s[30:31]
	ds_bpermute_b32 v6, v6, v10
	s_waitcnt lgkmcnt(0)
	v_add_f32_e32 v6, v10, v6
	ds_bpermute_b32 v8, v8, v6
	s_waitcnt lgkmcnt(0)
	v_add_f32_e32 v6, v6, v8
	ds_bpermute_b32 v8, v9, v6
	v_xor_b32_e32 v9, 4, v1
	v_cmp_lt_i32_e64 s[6:7], v9, v2
	v_cndmask_b32_e64 v9, v1, v9, s[6:7]
	v_lshlrev_b32_e32 v9, 2, v9
	s_waitcnt lgkmcnt(0)
	v_add_f32_e32 v6, v6, v8
	ds_bpermute_b32 v8, v9, v6
	v_xor_b32_e32 v9, 2, v1
	v_cmp_lt_i32_e64 s[6:7], v9, v2
	v_cndmask_b32_e64 v2, v1, v9, s[6:7]
	v_lshlrev_b32_e32 v2, 2, v2
	s_waitcnt lgkmcnt(0)
	v_add_f32_e32 v6, v6, v8
	ds_bpermute_b32 v2, v2, v6
	s_waitcnt lgkmcnt(0)
	v_add_f32_e32 v2, v6, v2
	ds_bpermute_b32 v6, v23, v2
	s_waitcnt lgkmcnt(0)
	v_add_f32_e32 v2, v2, v6
	s_and_saveexec_b64 s[6:7], vcc
; %bb.30:
	ds_write_b32 v5, v2 offset:392
; %bb.31:
	s_or_b64 exec, exec, s[6:7]
	s_waitcnt lgkmcnt(0)
	s_barrier
	s_and_saveexec_b64 s[6:7], s[2:3]
; %bb.32:
	ds_read_b32 v2, v7 offset:392
; %bb.33:
	s_or_b64 exec, exec, s[6:7]
	s_waitcnt lgkmcnt(0)
	ds_bpermute_b32 v5, v23, v2
	v_lshlrev_b32_e32 v1, 2, v1
	v_and_b32_e32 v1, 0x100, v1
	s_waitcnt lgkmcnt(0)
	v_add_f32_e32 v2, v2, v5
	ds_bpermute_b32 v1, v1, v2
	s_and_saveexec_b64 s[2:3], s[4:5]
	s_cbranch_execz .LBB3_36
; %bb.34:
	s_waitcnt lgkmcnt(0)
	v_add_f32_e32 v2, 0x358637bd, v1
	v_div_scale_f32 v1, s[4:5], v2, v2, 1.0
	v_div_scale_f32 v5, vcc, 1.0, v2, 1.0
	s_mov_b64 s[4:5], 0
	v_rcp_f32_e32 v6, v1
	v_fma_f32 v7, -v1, v6, 1.0
	v_fmac_f32_e32 v6, v7, v6
	v_mul_f32_e32 v7, v5, v6
	v_fma_f32 v8, -v1, v7, v5
	v_fmac_f32_e32 v7, v8, v6
	v_fma_f32 v1, -v1, v7, v5
	v_div_fmas_f32 v5, v1, v6, v7
	v_mov_b32_e32 v1, 0x190
	v_lshl_add_u32 v1, v0, 2, v1
	v_div_fixup_f32 v2, v5, v2, 1.0
	v_mov_b32_e32 v5, v0
.LBB3_35:                               ; =>This Inner Loop Header: Depth=1
	ds_read_b32 v6, v1
	v_add_u32_e32 v5, 0x80, v5
	v_cmp_le_i32_e32 vcc, s15, v5
	s_or_b64 s[4:5], vcc, s[4:5]
	s_waitcnt lgkmcnt(0)
	v_mul_f32_e32 v6, v2, v6
	ds_write_b32 v1, v6
	v_add_u32_e32 v1, 0x200, v1
	s_andn2_b64 exec, exec, s[4:5]
	s_cbranch_execnz .LBB3_35
.LBB3_36:
	s_or_b64 exec, exec, s[2:3]
	v_mov_b32_e32 v27, 0
	v_and_b32_e32 v24, 1, v0
	v_mov_b32_e32 v28, 0
	v_mov_b32_e32 v25, 0
	s_waitcnt lgkmcnt(0)
	s_barrier
	s_and_saveexec_b64 s[2:3], s[0:1]
	s_cbranch_execz .LBB3_48
; %bb.37:
	s_ashr_i32 s15, s14, 31
	s_sub_i32 s17, s12, s17
	s_lshl_b64 s[0:1], s[14:15], 2
	s_add_u32 s0, s28, s0
	s_addc_u32 s1, s29, s1
	s_abs_i32 s14, s18
	v_cvt_f32_u32_e32 v1, s14
	s_sub_i32 s4, 0, s14
	v_and_b32_e32 v26, 4, v3
	v_and_b32_e32 v3, 60, v4
	v_rcp_iflag_f32_e32 v1, v1
	v_lshlrev_b32_e32 v2, 4, v0
	v_and_b32_e32 v2, 0x3f0, v2
	s_add_i32 s18, s16, -1
	v_mul_f32_e32 v1, 0x4f7ffffe, v1
	v_cvt_u32_f32_e32 v1, v1
	v_mov_b32_e32 v5, s1
	v_add_co_u32_e32 v29, vcc, s0, v2
	v_mul_lo_u32 v4, s4, v1
	s_lshl_b64 s[0:1], s[26:27], 2
	s_add_u32 s0, s24, s0
	v_addc_co_u32_e32 v30, vcc, 0, v5, vcc
	v_mul_hi_u32 v4, v1, v4
	s_addc_u32 s1, s25, s1
	v_add_co_u32_e32 v17, vcc, s0, v3
	v_add_u32_e32 v31, v1, v4
	v_mov_b32_e32 v1, s1
	v_addc_co_u32_e32 v18, vcc, 0, v1, vcc
	v_lshlrev_b32_e32 v1, 4, v24
	v_lshl_or_b32 v1, v20, 5, v1
	s_mov_b32 s15, s13
	v_mov_b32_e32 v25, 0
	v_add_u32_e32 v32, 0x190, v1
	s_mov_b64 s[4:5], 0
	v_mov_b32_e32 v28, 0
	v_mov_b32_e32 v27, 0
	s_branch .LBB3_40
.LBB3_38:                               ;   in Loop: Header=BB3_40 Depth=1
	s_or_b64 exec, exec, s[0:1]
	s_waitcnt vmcnt(1) lgkmcnt(0)
	v_mul_f32_e32 v9, v1, v9
	v_mul_f32_e32 v5, v1, v5
	s_waitcnt vmcnt(0)
	v_mul_f32_e32 v1, v1, v13
	v_fmac_f32_e32 v9, v2, v10
	v_fmac_f32_e32 v5, v2, v6
	;; [unrolled: 1-line block ×9, first 2 shown]
	v_add_f32_e32 v28, v28, v9
	v_add_f32_e32 v27, v27, v5
	;; [unrolled: 1-line block ×3, first 2 shown]
.LBB3_39:                               ;   in Loop: Header=BB3_40 Depth=1
	s_or_b64 exec, exec, s[6:7]
	v_add_co_u32_e32 v17, vcc, 8, v17
	v_add_u32_e32 v20, 2, v20
	v_addc_co_u32_e32 v18, vcc, 0, v18, vcc
	v_cmp_le_i32_e32 vcc, s16, v20
	v_add_u32_e32 v21, 16, v21
	s_or_b64 s[4:5], vcc, s[4:5]
	v_add_u32_e32 v32, 64, v32
	s_andn2_b64 exec, exec, s[4:5]
	s_cbranch_execz .LBB3_47
.LBB3_40:                               ; =>This Inner Loop Header: Depth=1
	v_mul_hi_u32 v1, v21, s40
	v_mul_lo_u32 v2, v1, s21
	v_add_u32_e32 v3, 1, v1
	v_sub_u32_e32 v2, v21, v2
	v_cmp_le_u32_e32 vcc, s21, v2
	v_cndmask_b32_e32 v1, v1, v3, vcc
	v_subrev_u32_e32 v3, s21, v2
	v_cndmask_b32_e32 v2, v2, v3, vcc
	v_add_u32_e32 v3, 1, v1
	v_cmp_le_u32_e32 vcc, s21, v2
	v_cndmask_b32_e32 v1, v1, v3, vcc
	v_xor_b32_e32 v1, s19, v1
	v_subrev_u32_e32 v1, s19, v1
	v_add_u32_e32 v2, s41, v1
	v_sub_u32_e32 v3, 0, v2
	v_max_i32_e32 v3, v2, v3
	v_mul_hi_u32 v4, v3, v31
	v_ashrrev_i32_e32 v2, 31, v2
	v_cmp_lt_i32_e64 s[0:1], s17, v1
	v_mul_lo_u32 v4, v4, s14
	v_sub_u32_e32 v3, v3, v4
	v_subrev_u32_e32 v4, s14, v3
	v_cmp_le_u32_e32 vcc, s14, v3
	v_cndmask_b32_e32 v3, v3, v4, vcc
	v_subrev_u32_e32 v4, s14, v3
	v_cmp_le_u32_e32 vcc, s14, v3
	v_cndmask_b32_e32 v3, v3, v4, vcc
	v_xor_b32_e32 v3, v3, v2
	v_sub_u32_e32 v2, v3, v2
	v_cmp_eq_u32_e32 vcc, 0, v2
	s_or_b64 s[0:1], vcc, s[0:1]
	s_and_saveexec_b64 s[6:7], s[0:1]
	s_cbranch_execz .LBB3_39
; %bb.41:                               ;   in Loop: Header=BB3_40 Depth=1
	global_load_dword v1, v[17:18], off
	v_add_u32_e32 v33, v26, v21
	v_add_u32_e32 v36, 1, v33
	;; [unrolled: 1-line block ×4, first 2 shown]
	s_waitcnt vmcnt(0)
	v_mad_i64_i32 v[1:2], s[0:1], v1, s15, 0
	v_lshlrev_b64 v[1:2], 2, v[1:2]
	v_add_co_u32_e32 v13, vcc, v29, v1
	v_addc_co_u32_e32 v14, vcc, v30, v2, vcc
	global_load_dwordx4 v[5:8], v[13:14], off
	ds_read_b128 v[1:4], v32
	v_cmp_eq_u32_e32 vcc, s18, v20
	s_and_saveexec_b64 s[12:13], vcc
	s_cbranch_execnz .LBB3_44
; %bb.42:                               ;   in Loop: Header=BB3_40 Depth=1
	s_or_b64 exec, exec, s[12:13]
	global_load_dwordx4 v[9:12], v[13:14], off offset:1024
	s_and_saveexec_b64 s[12:13], vcc
	s_cbranch_execnz .LBB3_45
.LBB3_43:                               ;   in Loop: Header=BB3_40 Depth=1
	s_or_b64 exec, exec, s[12:13]
	global_load_dwordx4 v[13:16], v[13:14], off offset:2048
	s_and_saveexec_b64 s[0:1], vcc
	s_cbranch_execz .LBB3_38
	s_branch .LBB3_46
.LBB3_44:                               ;   in Loop: Header=BB3_40 Depth=1
	v_cmp_gt_i32_e64 s[0:1], s33, v33
	s_waitcnt vmcnt(0)
	v_cndmask_b32_e64 v5, 0, v5, s[0:1]
	v_cmp_gt_i32_e64 s[0:1], s33, v36
	v_cndmask_b32_e64 v6, 0, v6, s[0:1]
	v_cmp_gt_i32_e64 s[0:1], s33, v35
	v_cndmask_b32_e64 v7, 0, v7, s[0:1]
	v_cmp_gt_i32_e64 s[0:1], s33, v34
	v_cndmask_b32_e64 v8, 0, v8, s[0:1]
	s_or_b64 exec, exec, s[12:13]
	global_load_dwordx4 v[9:12], v[13:14], off offset:1024
	s_and_saveexec_b64 s[12:13], vcc
	s_cbranch_execz .LBB3_43
.LBB3_45:                               ;   in Loop: Header=BB3_40 Depth=1
	v_cmp_gt_i32_e64 s[0:1], s33, v33
	s_waitcnt vmcnt(0)
	v_cndmask_b32_e64 v9, 0, v9, s[0:1]
	v_cmp_gt_i32_e64 s[0:1], s33, v36
	v_cndmask_b32_e64 v10, 0, v10, s[0:1]
	v_cmp_gt_i32_e64 s[0:1], s33, v35
	;; [unrolled: 2-line block ×3, first 2 shown]
	v_cndmask_b32_e64 v12, 0, v12, s[0:1]
	s_or_b64 exec, exec, s[12:13]
	global_load_dwordx4 v[13:16], v[13:14], off offset:2048
	s_and_saveexec_b64 s[0:1], vcc
	s_cbranch_execz .LBB3_38
.LBB3_46:                               ;   in Loop: Header=BB3_40 Depth=1
	v_cmp_gt_i32_e32 vcc, s33, v33
	s_waitcnt vmcnt(0)
	v_cndmask_b32_e32 v13, 0, v13, vcc
	v_cmp_gt_i32_e32 vcc, s33, v36
	v_cndmask_b32_e32 v14, 0, v14, vcc
	v_cmp_gt_i32_e32 vcc, s33, v35
	;; [unrolled: 2-line block ×3, first 2 shown]
	v_cndmask_b32_e32 v16, 0, v16, vcc
	s_branch .LBB3_38
.LBB3_47:
	s_or_b64 exec, exec, s[4:5]
.LBB3_48:
	s_or_b64 exec, exec, s[2:3]
	ds_bpermute_b32 v1, v23, v27
	ds_bpermute_b32 v2, v23, v28
	;; [unrolled: 1-line block ×3, first 2 shown]
	v_and_b32_e32 v4, 0x3c1, v0
	v_cmp_eq_u32_e32 vcc, 64, v4
	s_waitcnt lgkmcnt(2)
	v_add_f32_e32 v1, v27, v1
	s_waitcnt lgkmcnt(1)
	v_add_f32_e32 v2, v28, v2
	;; [unrolled: 2-line block ×3, first 2 shown]
	s_barrier
	s_and_saveexec_b64 s[0:1], vcc
	s_cbranch_execz .LBB3_50
; %bb.49:
	v_mov_b32_e32 v5, 0x190
	v_lshl_add_u32 v5, v22, 1, v5
	ds_write2_b32 v5, v1, v2 offset1:32
	ds_write_b32 v5, v3 offset:256
.LBB3_50:
	s_or_b64 exec, exec, s[0:1]
	v_cmp_gt_u32_e32 vcc, 64, v0
	s_waitcnt lgkmcnt(0)
	s_barrier
	s_and_saveexec_b64 s[0:1], vcc
	s_cbranch_execz .LBB3_56
; %bb.51:
	v_mov_b32_e32 v0, 0x190
	v_cmp_eq_u32_e32 vcc, 0, v24
	v_lshl_add_u32 v0, v19, 2, v0
	s_and_saveexec_b64 s[2:3], vcc
	s_cbranch_execnz .LBB3_59
; %bb.52:
	s_or_b64 exec, exec, s[2:3]
	s_and_saveexec_b64 s[2:3], vcc
	s_cbranch_execnz .LBB3_60
.LBB3_53:
	s_or_b64 exec, exec, s[2:3]
	s_and_saveexec_b64 s[2:3], vcc
	s_cbranch_execz .LBB3_55
.LBB3_54:
	ds_read_b32 v0, v0 offset:256
	s_waitcnt lgkmcnt(0)
	v_add_f32_e32 v3, v3, v0
.LBB3_55:
	s_or_b64 exec, exec, s[2:3]
.LBB3_56:
	s_or_b64 exec, exec, s[0:1]
	v_cmp_eq_u32_e32 vcc, 0, v4
	s_barrier
	s_and_saveexec_b64 s[0:1], vcc
	s_cbranch_execz .LBB3_58
; %bb.57:
	s_mul_i32 s0, s10, s11
	s_mul_i32 s0, s0, s9
	s_mulk_i32 s0, 0x60
	s_ashr_i32 s1, s0, 31
	s_lshl_b64 s[0:1], s[0:1], 2
	s_add_u32 s2, s22, s0
	s_mul_i32 s0, s11, s20
	s_addc_u32 s3, s23, s1
	s_ashr_i32 s1, s0, 31
	s_lshl_b64 s[0:1], s[0:1], 2
	s_add_u32 s2, s2, s0
	s_mul_i32 s0, s8, 0x60
	s_addc_u32 s3, s3, s1
	s_ashr_i32 s1, s0, 31
	s_lshl_b64 s[0:1], s[0:1], 2
	s_add_u32 s0, s2, s0
	s_addc_u32 s1, s3, s1
	v_lshlrev_b32_e32 v0, 2, v19
	global_store_dword v0, v1, s[0:1]
	global_store_dword v0, v2, s[0:1] offset:128
	global_store_dword v0, v3, s[0:1] offset:256
.LBB3_58:
	s_endpgm
.LBB3_59:
	ds_read_b32 v5, v0
	s_waitcnt lgkmcnt(0)
	v_add_f32_e32 v1, v1, v5
	s_or_b64 exec, exec, s[2:3]
	s_and_saveexec_b64 s[2:3], vcc
	s_cbranch_execz .LBB3_53
.LBB3_60:
	ds_read_b32 v5, v0 offset:128
	s_waitcnt lgkmcnt(0)
	v_add_f32_e32 v2, v2, v5
	s_or_b64 exec, exec, s[2:3]
	s_and_saveexec_b64 s[2:3], vcc
	s_cbranch_execnz .LBB3_54
	s_branch .LBB3_55
	.section	.rodata,"a",@progbits
	.p2align	6, 0x0
	.amdhsa_kernel _ZN4vllm25paged_attention_v1_kernelIffLi96ELi8ELi128ELNS_18Fp8KVCacheDataTypeE0ELb1EEEvPT_PKS2_PKT0_S8_ifPKiSA_iPKfiiiSC_SC_iiiii
		.amdhsa_group_segment_fixed_size 400
		.amdhsa_private_segment_fixed_size 0
		.amdhsa_kernarg_size 384
		.amdhsa_user_sgpr_count 6
		.amdhsa_user_sgpr_private_segment_buffer 1
		.amdhsa_user_sgpr_dispatch_ptr 0
		.amdhsa_user_sgpr_queue_ptr 0
		.amdhsa_user_sgpr_kernarg_segment_ptr 1
		.amdhsa_user_sgpr_dispatch_id 0
		.amdhsa_user_sgpr_flat_scratch_init 0
		.amdhsa_user_sgpr_private_segment_size 0
		.amdhsa_uses_dynamic_stack 0
		.amdhsa_system_sgpr_private_segment_wavefront_offset 0
		.amdhsa_system_sgpr_workgroup_id_x 1
		.amdhsa_system_sgpr_workgroup_id_y 1
		.amdhsa_system_sgpr_workgroup_id_z 1
		.amdhsa_system_sgpr_workgroup_info 0
		.amdhsa_system_vgpr_workitem_id 0
		.amdhsa_next_free_vgpr 49
		.amdhsa_next_free_sgpr 44
		.amdhsa_reserve_vcc 1
		.amdhsa_reserve_flat_scratch 0
		.amdhsa_float_round_mode_32 0
		.amdhsa_float_round_mode_16_64 0
		.amdhsa_float_denorm_mode_32 3
		.amdhsa_float_denorm_mode_16_64 3
		.amdhsa_dx10_clamp 1
		.amdhsa_ieee_mode 1
		.amdhsa_fp16_overflow 0
		.amdhsa_exception_fp_ieee_invalid_op 0
		.amdhsa_exception_fp_denorm_src 0
		.amdhsa_exception_fp_ieee_div_zero 0
		.amdhsa_exception_fp_ieee_overflow 0
		.amdhsa_exception_fp_ieee_underflow 0
		.amdhsa_exception_fp_ieee_inexact 0
		.amdhsa_exception_int_div_zero 0
	.end_amdhsa_kernel
	.section	.text._ZN4vllm25paged_attention_v1_kernelIffLi96ELi8ELi128ELNS_18Fp8KVCacheDataTypeE0ELb1EEEvPT_PKS2_PKT0_S8_ifPKiSA_iPKfiiiSC_SC_iiiii,"axG",@progbits,_ZN4vllm25paged_attention_v1_kernelIffLi96ELi8ELi128ELNS_18Fp8KVCacheDataTypeE0ELb1EEEvPT_PKS2_PKT0_S8_ifPKiSA_iPKfiiiSC_SC_iiiii,comdat
.Lfunc_end3:
	.size	_ZN4vllm25paged_attention_v1_kernelIffLi96ELi8ELi128ELNS_18Fp8KVCacheDataTypeE0ELb1EEEvPT_PKS2_PKT0_S8_ifPKiSA_iPKfiiiSC_SC_iiiii, .Lfunc_end3-_ZN4vllm25paged_attention_v1_kernelIffLi96ELi8ELi128ELNS_18Fp8KVCacheDataTypeE0ELb1EEEvPT_PKS2_PKT0_S8_ifPKiSA_iPKfiiiSC_SC_iiiii
                                        ; -- End function
	.set _ZN4vllm25paged_attention_v1_kernelIffLi96ELi8ELi128ELNS_18Fp8KVCacheDataTypeE0ELb1EEEvPT_PKS2_PKT0_S8_ifPKiSA_iPKfiiiSC_SC_iiiii.num_vgpr, 49
	.set _ZN4vllm25paged_attention_v1_kernelIffLi96ELi8ELi128ELNS_18Fp8KVCacheDataTypeE0ELb1EEEvPT_PKS2_PKT0_S8_ifPKiSA_iPKfiiiSC_SC_iiiii.num_agpr, 0
	.set _ZN4vllm25paged_attention_v1_kernelIffLi96ELi8ELi128ELNS_18Fp8KVCacheDataTypeE0ELb1EEEvPT_PKS2_PKT0_S8_ifPKiSA_iPKfiiiSC_SC_iiiii.numbered_sgpr, 44
	.set _ZN4vllm25paged_attention_v1_kernelIffLi96ELi8ELi128ELNS_18Fp8KVCacheDataTypeE0ELb1EEEvPT_PKS2_PKT0_S8_ifPKiSA_iPKfiiiSC_SC_iiiii.num_named_barrier, 0
	.set _ZN4vllm25paged_attention_v1_kernelIffLi96ELi8ELi128ELNS_18Fp8KVCacheDataTypeE0ELb1EEEvPT_PKS2_PKT0_S8_ifPKiSA_iPKfiiiSC_SC_iiiii.private_seg_size, 0
	.set _ZN4vllm25paged_attention_v1_kernelIffLi96ELi8ELi128ELNS_18Fp8KVCacheDataTypeE0ELb1EEEvPT_PKS2_PKT0_S8_ifPKiSA_iPKfiiiSC_SC_iiiii.uses_vcc, 1
	.set _ZN4vllm25paged_attention_v1_kernelIffLi96ELi8ELi128ELNS_18Fp8KVCacheDataTypeE0ELb1EEEvPT_PKS2_PKT0_S8_ifPKiSA_iPKfiiiSC_SC_iiiii.uses_flat_scratch, 0
	.set _ZN4vllm25paged_attention_v1_kernelIffLi96ELi8ELi128ELNS_18Fp8KVCacheDataTypeE0ELb1EEEvPT_PKS2_PKT0_S8_ifPKiSA_iPKfiiiSC_SC_iiiii.has_dyn_sized_stack, 0
	.set _ZN4vllm25paged_attention_v1_kernelIffLi96ELi8ELi128ELNS_18Fp8KVCacheDataTypeE0ELb1EEEvPT_PKS2_PKT0_S8_ifPKiSA_iPKfiiiSC_SC_iiiii.has_recursion, 0
	.set _ZN4vllm25paged_attention_v1_kernelIffLi96ELi8ELi128ELNS_18Fp8KVCacheDataTypeE0ELb1EEEvPT_PKS2_PKT0_S8_ifPKiSA_iPKfiiiSC_SC_iiiii.has_indirect_call, 0
	.section	.AMDGPU.csdata,"",@progbits
; Kernel info:
; codeLenInByte = 3812
; TotalNumSgprs: 48
; NumVgprs: 49
; ScratchSize: 0
; MemoryBound: 0
; FloatMode: 240
; IeeeMode: 1
; LDSByteSize: 400 bytes/workgroup (compile time only)
; SGPRBlocks: 5
; VGPRBlocks: 12
; NumSGPRsForWavesPerEU: 48
; NumVGPRsForWavesPerEU: 49
; Occupancy: 4
; WaveLimiterHint : 1
; COMPUTE_PGM_RSRC2:SCRATCH_EN: 0
; COMPUTE_PGM_RSRC2:USER_SGPR: 6
; COMPUTE_PGM_RSRC2:TRAP_HANDLER: 0
; COMPUTE_PGM_RSRC2:TGID_X_EN: 1
; COMPUTE_PGM_RSRC2:TGID_Y_EN: 1
; COMPUTE_PGM_RSRC2:TGID_Z_EN: 1
; COMPUTE_PGM_RSRC2:TIDIG_COMP_CNT: 0
	.section	.text._ZN4vllm25paged_attention_v1_kernelIffLi112ELi8ELi128ELNS_18Fp8KVCacheDataTypeE0ELb1EEEvPT_PKS2_PKT0_S8_ifPKiSA_iPKfiiiSC_SC_iiiii,"axG",@progbits,_ZN4vllm25paged_attention_v1_kernelIffLi112ELi8ELi128ELNS_18Fp8KVCacheDataTypeE0ELb1EEEvPT_PKS2_PKT0_S8_ifPKiSA_iPKfiiiSC_SC_iiiii,comdat
	.protected	_ZN4vllm25paged_attention_v1_kernelIffLi112ELi8ELi128ELNS_18Fp8KVCacheDataTypeE0ELb1EEEvPT_PKS2_PKT0_S8_ifPKiSA_iPKfiiiSC_SC_iiiii ; -- Begin function _ZN4vllm25paged_attention_v1_kernelIffLi112ELi8ELi128ELNS_18Fp8KVCacheDataTypeE0ELb1EEEvPT_PKS2_PKT0_S8_ifPKiSA_iPKfiiiSC_SC_iiiii
	.globl	_ZN4vllm25paged_attention_v1_kernelIffLi112ELi8ELi128ELNS_18Fp8KVCacheDataTypeE0ELb1EEEvPT_PKS2_PKT0_S8_ifPKiSA_iPKfiiiSC_SC_iiiii
	.p2align	8
	.type	_ZN4vllm25paged_attention_v1_kernelIffLi112ELi8ELi128ELNS_18Fp8KVCacheDataTypeE0ELb1EEEvPT_PKS2_PKT0_S8_ifPKiSA_iPKfiiiSC_SC_iiiii,@function
_ZN4vllm25paged_attention_v1_kernelIffLi112ELi8ELi128ELNS_18Fp8KVCacheDataTypeE0ELb1EEEvPT_PKS2_PKT0_S8_ifPKiSA_iPKfiiiSC_SC_iiiii: ; @_ZN4vllm25paged_attention_v1_kernelIffLi112ELi8ELi128ELNS_18Fp8KVCacheDataTypeE0ELb1EEEvPT_PKS2_PKT0_S8_ifPKiSA_iPKfiiiSC_SC_iiiii
; %bb.0:
	s_load_dword s9, s[4:5], 0x80
	s_load_dwordx2 s[0:1], s[4:5], 0x30
	s_load_dwordx2 s[30:31], s[4:5], 0x20
	s_mov_b32 s10, s7
	s_ashr_i32 s11, s7, 31
	s_lshl_b64 s[2:3], s[10:11], 2
	s_waitcnt lgkmcnt(0)
	s_add_u32 s0, s0, s2
	s_addc_u32 s1, s1, s3
	s_abs_i32 s2, s30
	v_cvt_f32_u32_e32 v1, s2
	s_sub_i32 s11, 0, s2
	s_abs_i32 s7, s9
	s_xor_b32 s3, s9, s30
	v_rcp_iflag_f32_e32 v1, v1
	s_ashr_i32 s3, s3, 31
	s_mov_b32 s42, 0
	v_mul_f32_e32 v1, 0x4f7ffffe, v1
	v_cvt_u32_f32_e32 v1, v1
	v_readfirstlane_b32 s12, v1
	s_mul_i32 s11, s11, s12
	s_mul_hi_u32 s11, s12, s11
	s_add_i32 s12, s12, s11
	s_mul_hi_u32 s11, s7, s12
	s_mul_i32 s12, s11, s2
	s_sub_i32 s7, s7, s12
	s_add_i32 s12, s11, 1
	s_sub_i32 s13, s7, s2
	s_cmp_ge_u32 s7, s2
	s_cselect_b32 s11, s12, s11
	s_cselect_b32 s7, s13, s7
	s_add_i32 s12, s11, 1
	s_cmp_ge_u32 s7, s2
	s_cselect_b32 s2, s12, s11
	s_xor_b32 s2, s2, s3
	s_sub_i32 s12, s2, s3
	s_abs_i32 s11, s12
	v_cvt_f32_u32_e32 v1, s11
	s_load_dwordx2 s[2:3], s[4:5], 0x40
	s_sub_i32 s7, 0, s11
	s_abs_i32 s22, s6
	v_rcp_iflag_f32_e32 v1, v1
	v_mul_f32_e32 v1, 0x4f7ffffe, v1
	v_cvt_u32_f32_e32 v1, v1
	v_readfirstlane_b32 s13, v1
	s_mul_i32 s7, s7, s13
	s_mul_hi_u32 s7, s13, s7
	s_add_i32 s13, s13, s7
	s_waitcnt lgkmcnt(0)
	s_cmp_eq_u64 s[2:3], 0
	s_mul_hi_u32 s23, s22, s13
	s_cbranch_scc1 .LBB4_2
; %bb.1:
	s_ashr_i32 s7, s6, 31
	s_lshl_b64 s[14:15], s[6:7], 2
	s_add_u32 s2, s2, s14
	s_addc_u32 s3, s3, s15
	s_load_dword s42, s[2:3], 0x0
.LBB4_2:
	s_load_dword s33, s[0:1], 0x0
	s_ashr_i32 s7, s12, 31
	s_load_dwordx4 s[12:15], s[4:5], 0x48
	s_movk_i32 s0, 0x70
	s_ashr_i32 s2, s6, 31
	v_and_b32_e32 v1, 7, v0
	s_mul_i32 s20, s6, 0x70
	v_cmp_gt_u32_e32 vcc, s0, v0
	v_lshlrev_b32_e32 v3, 2, v0
	v_lshrrev_b32_e32 v23, 1, v0
	s_and_saveexec_b64 s[0:1], vcc
	s_cbranch_execz .LBB4_4
; %bb.3:
	s_load_dwordx2 s[16:17], s[4:5], 0x8
	s_waitcnt lgkmcnt(0)
	s_mul_i32 s18, s12, s10
	s_ashr_i32 s19, s18, 31
	s_lshl_b64 s[18:19], s[18:19], 2
	v_and_b32_e32 v4, 0x1fc, v23
	s_add_u32 s3, s16, s18
	s_addc_u32 s12, s17, s19
	s_ashr_i32 s21, s20, 31
	s_lshl_b64 s[16:17], s[20:21], 2
	s_add_u32 s16, s3, s16
	s_addc_u32 s17, s12, s17
	global_load_dword v2, v3, s[16:17]
	v_mad_u32_u24 v4, v1, 56, v4
	s_waitcnt vmcnt(0)
	ds_write_b32 v4, v2
.LBB4_4:
	s_or_b64 exec, exec, s[0:1]
	s_mul_i32 s1, s23, s11
	s_sub_i32 s1, s22, s1
	s_xor_b32 s0, s2, s7
	s_add_i32 s2, s23, 1
	s_sub_i32 s7, s1, s11
	s_load_dwordx4 s[16:19], s[4:5], 0x68
	s_load_dword s3, s[4:5], 0x78
	s_cmp_ge_u32 s1, s11
	s_cselect_b32 s2, s2, s23
	s_cselect_b32 s1, s7, s1
	s_add_i32 s7, s2, 1
	s_cmp_ge_u32 s1, s11
	s_cselect_b32 s1, s7, s2
	s_waitcnt lgkmcnt(0)
	s_abs_i32 s21, s19
	v_cvt_f32_u32_e32 v2, s21
	s_xor_b32 s1, s1, s0
	s_sub_i32 s2, s1, s0
	s_sub_i32 s0, 0, s21
	v_rcp_iflag_f32_e32 v2, v2
	s_add_i32 s11, s33, -1
	s_abs_i32 s7, s11
	v_mul_f32_e32 v2, 0x4f7ffffe, v2
	v_cvt_u32_f32_e32 v2, v2
	s_barrier
	v_readfirstlane_b32 s40, v2
	s_mul_i32 s0, s0, s40
	s_mul_hi_u32 s0, s40, s0
	s_add_i32 s40, s40, s0
	s_cmp_lt_i32 s3, 0
	s_mul_hi_u32 s12, s7, s40
	s_cbranch_scc0 .LBB4_6
; %bb.5:
	s_mul_i32 s0, s16, s30
	s_add_i32 s0, s2, s0
	s_mul_i32 s0, s0, s3
	s_sub_i32 s41, 1, s0
	s_mov_b64 s[0:1], 0
	s_branch .LBB4_7
.LBB4_6:
	s_mov_b64 s[0:1], -1
                                        ; implicit-def: $sgpr41
.LBB4_7:
	s_load_dwordx2 s[24:25], s[4:5], 0x28
	s_ashr_i32 s15, s11, 31
	s_andn2_b64 vcc, exec, s[0:1]
	s_ashr_i32 s19, s19, 31
	s_cbranch_vccnz .LBB4_9
; %bb.8:
	s_mul_i32 s0, s9, s16
	s_add_i32 s0, s0, s6
	s_mul_i32 s0, s0, s3
	s_add_i32 s41, s0, 1
.LBB4_9:
	s_load_dword s0, s[4:5], 0x38
	s_load_dwordx2 s[22:23], s[4:5], 0x0
	s_load_dwordx2 s[28:29], s[4:5], 0x18
	s_load_dword s11, s[4:5], 0x88
	s_xor_b32 s1, s15, s19
	s_waitcnt lgkmcnt(0)
	s_mul_i32 s26, s0, s10
	s_mul_i32 s0, s12, s21
	s_sub_i32 s0, s7, s0
	s_ashr_i32 s27, s26, 31
	s_add_i32 s3, s12, 1
	s_sub_i32 s6, s0, s21
	s_cmp_ge_u32 s0, s21
	s_cselect_b32 s3, s3, s12
	s_cselect_b32 s0, s6, s0
	s_add_i32 s6, s3, 1
	s_cmp_ge_u32 s0, s21
	s_cselect_b32 s0, s6, s3
	s_xor_b32 s0, s0, s1
	s_sub_i32 s12, s0, s1
	s_add_i32 s0, s33, 7
	s_ashr_i32 s1, s0, 31
	s_lshr_b32 s1, s1, 29
	s_add_i32 s0, s0, s1
	s_ashr_i32 s16, s0, 3
	v_lshrrev_b32_e32 v24, 6, v0
	v_cmp_le_i32_e64 s[0:1], s16, v24
	v_cmp_gt_i32_e32 vcc, s16, v24
	v_mov_b32_e32 v8, 0xff7fffff
	s_mul_i32 s14, s2, s14
	v_lshrrev_b32_e32 v4, 4, v0
	v_lshlrev_b32_e32 v25, 3, v24
	v_mbcnt_lo_u32_b32 v5, -1, 0
	s_and_saveexec_b64 s[34:35], vcc
	s_cbranch_execz .LBB4_21
; %bb.10:
	s_load_dwordx2 s[2:3], s[4:5], 0x10
	s_ashr_i32 s15, s14, 31
	s_sub_i32 s30, s12, s17
	s_lshl_b64 s[4:5], s[14:15], 2
	v_bfe_u32 v6, v0, 3, 3
	s_waitcnt lgkmcnt(0)
	s_add_u32 s2, s2, s4
	s_addc_u32 s3, s3, s5
	s_abs_i32 s15, s18
	v_cvt_f32_u32_e32 v2, s15
	v_lshlrev_b32_e32 v7, 4, v6
	v_mov_b32_e32 v9, s3
	v_add_co_u32_e64 v7, s[2:3], s2, v7
	v_rcp_iflag_f32_e32 v2, v2
	v_and_b32_e32 v10, 3, v0
	v_addc_co_u32_e64 v9, s[2:3], 0, v9, s[2:3]
	v_mul_f32_e32 v2, 0x4f7ffffe, v2
	v_lshlrev_b32_e32 v10, 2, v10
	v_cvt_u32_f32_e32 v2, v2
	v_add_co_u32_e64 v10, s[2:3], v7, v10
	v_addc_co_u32_e64 v11, s[2:3], 0, v9, s[2:3]
	s_sub_i32 s2, 0, s15
	v_cmp_eq_u32_e32 vcc, 0, v1
	v_mul_u32_u24_e32 v7, 56, v1
	v_mul_lo_u32 v1, s2, v2
	v_lshlrev_b32_e32 v9, 5, v0
	v_and_b32_e32 v9, 0x80, v9
	v_add_co_u32_e64 v9, s[4:5], v10, v9
	v_mul_hi_u32 v1, v2, v1
	v_addc_co_u32_e64 v10, s[4:5], 0, v11, s[4:5]
	s_lshl_b64 s[4:5], s[26:27], 2
	v_lshlrev_b32_e32 v8, 2, v6
	s_add_u32 s4, s24, s4
	v_add_u32_e32 v11, v2, v1
	v_and_b32_e32 v1, 60, v4
	s_addc_u32 s5, s25, s5
	v_lshl_or_b32 v8, v24, 5, v8
	v_mbcnt_hi_u32_b32 v16, -1, v5
	v_mov_b32_e32 v2, s5
	v_add_co_u32_e64 v1, s[4:5], s4, v1
	v_subrev_u32_e32 v13, s33, v6
	v_add_u32_e32 v14, 0x1d0, v8
	v_and_b32_e32 v8, 64, v16
	s_mov_b32 s43, s13
	v_cmp_neq_f32_e64 s[2:3], s42, 0
	v_addc_co_u32_e64 v2, s[4:5], 0, v2, s[4:5]
	v_lshlrev_b32_e32 v12, 3, v24
	v_add_u32_e32 v13, 1, v13
	v_mov_b32_e32 v15, 0xff7fffff
	s_mov_b64 s[36:37], 0
	v_add_u32_e32 v17, 64, v8
	v_xor_b32_e32 v18, 4, v16
	v_xor_b32_e32 v19, 2, v16
	v_mov_b32_e32 v8, 0xff7fffff
	v_mov_b32_e32 v20, v24
	s_branch .LBB4_13
.LBB4_11:                               ;   in Loop: Header=BB4_13 Depth=1
	s_or_b64 exec, exec, s[38:39]
.LBB4_12:                               ;   in Loop: Header=BB4_13 Depth=1
	s_or_b64 exec, exec, s[6:7]
	v_add_co_u32_e64 v1, s[4:5], 8, v1
	v_add_u32_e32 v20, 2, v20
	v_addc_co_u32_e64 v2, s[4:5], 0, v2, s[4:5]
	v_cmp_le_i32_e64 s[4:5], s16, v20
	v_add_u32_e32 v12, 16, v12
	s_or_b64 s[36:37], s[4:5], s[36:37]
	v_add_u32_e32 v14, 64, v14
	s_andn2_b64 exec, exec, s[36:37]
	s_cbranch_execz .LBB4_20
.LBB4_13:                               ; =>This Inner Loop Header: Depth=1
	v_mul_hi_u32 v21, v12, s40
	s_waitcnt lgkmcnt(0)
	v_mul_lo_u32 v22, v21, s21
	v_add_u32_e32 v26, 1, v21
	v_sub_u32_e32 v22, v12, v22
	v_cmp_le_u32_e64 s[4:5], s21, v22
	v_cndmask_b32_e64 v21, v21, v26, s[4:5]
	v_subrev_u32_e32 v26, s21, v22
	v_cndmask_b32_e64 v22, v22, v26, s[4:5]
	v_add_u32_e32 v26, 1, v21
	v_cmp_le_u32_e64 s[4:5], s21, v22
	v_cndmask_b32_e64 v21, v21, v26, s[4:5]
	v_xor_b32_e32 v21, s19, v21
	v_subrev_u32_e32 v21, s19, v21
	v_add_u32_e32 v22, s41, v21
	v_sub_u32_e32 v26, 0, v22
	v_max_i32_e32 v26, v22, v26
	v_mul_hi_u32 v27, v26, v11
	v_ashrrev_i32_e32 v22, 31, v22
	v_cmp_ge_i32_e64 s[6:7], s30, v21
	v_mul_lo_u32 v27, v27, s15
	v_sub_u32_e32 v26, v26, v27
	v_subrev_u32_e32 v27, s15, v26
	v_cmp_le_u32_e64 s[4:5], s15, v26
	v_cndmask_b32_e64 v26, v26, v27, s[4:5]
	v_subrev_u32_e32 v27, s15, v26
	v_cmp_le_u32_e64 s[4:5], s15, v26
	v_cndmask_b32_e64 v26, v26, v27, s[4:5]
	v_xor_b32_e32 v26, v26, v22
	v_sub_u32_e32 v22, v26, v22
	v_cmp_ne_u32_e64 s[4:5], 0, v22
	s_and_b64 s[4:5], s[4:5], s[6:7]
	s_and_saveexec_b64 s[6:7], s[4:5]
	s_xor_b64 s[4:5], exec, s[6:7]
	s_cbranch_execz .LBB4_17
; %bb.14:                               ;   in Loop: Header=BB4_13 Depth=1
	s_and_saveexec_b64 s[6:7], vcc
; %bb.15:                               ;   in Loop: Header=BB4_13 Depth=1
	ds_write_b32 v14, v15
; %bb.16:                               ;   in Loop: Header=BB4_13 Depth=1
	s_or_b64 exec, exec, s[6:7]
.LBB4_17:                               ;   in Loop: Header=BB4_13 Depth=1
	s_andn2_saveexec_b64 s[6:7], s[4:5]
	s_cbranch_execz .LBB4_12
; %bb.18:                               ;   in Loop: Header=BB4_13 Depth=1
	global_load_dword v21, v[1:2], off
	s_waitcnt vmcnt(0)
	v_mad_i64_i32 v[21:22], s[4:5], v21, s43, 0
	v_lshlrev_b64 v[21:22], 2, v[21:22]
	v_add_co_u32_e64 v21, s[4:5], v9, v21
	v_addc_co_u32_e64 v22, s[4:5], v10, v22, s[4:5]
	global_load_dword v38, v[21:22], off offset:256
	global_load_dword v39, v[21:22], off offset:512
	;; [unrolled: 1-line block ×7, first 2 shown]
	global_load_dword v45, v[21:22], off
	global_load_dword v46, v[21:22], off offset:2048
	global_load_dword v47, v[21:22], off offset:2304
	global_load_dword v48, v[21:22], off offset:2560
	global_load_dword v49, v[21:22], off offset:2816
	global_load_dword v50, v[21:22], off offset:3072
	global_load_dword v51, v[21:22], off offset:3328
	ds_read2_b64 v[26:29], v7 offset1:1
	ds_read2_b64 v[30:33], v7 offset0:2 offset1:3
	ds_read2_b64 v[34:37], v7 offset0:4 offset1:5
	ds_read_b64 v[21:22], v7 offset:48
	v_cmp_lt_i32_e64 s[4:5], v18, v17
	v_cndmask_b32_e64 v52, v16, v18, s[4:5]
	v_cmp_lt_i32_e64 s[4:5], v19, v17
	s_waitcnt vmcnt(13) lgkmcnt(3)
	v_mul_f32_e32 v27, v27, v38
	s_waitcnt vmcnt(6)
	v_fmac_f32_e32 v27, v26, v45
	v_fmac_f32_e32 v27, v28, v39
	;; [unrolled: 1-line block ×3, first 2 shown]
	s_waitcnt lgkmcnt(2)
	v_fmac_f32_e32 v27, v30, v41
	v_fmac_f32_e32 v27, v31, v42
	;; [unrolled: 1-line block ×4, first 2 shown]
	s_waitcnt vmcnt(5) lgkmcnt(1)
	v_fmac_f32_e32 v27, v34, v46
	s_waitcnt vmcnt(4)
	v_fmac_f32_e32 v27, v35, v47
	s_waitcnt vmcnt(3)
	;; [unrolled: 2-line block ×3, first 2 shown]
	v_fmac_f32_e32 v27, v37, v49
	s_waitcnt vmcnt(1) lgkmcnt(0)
	v_fmac_f32_e32 v27, v21, v50
	v_lshlrev_b32_e32 v26, 2, v52
	s_waitcnt vmcnt(0)
	v_fmac_f32_e32 v27, v22, v51
	ds_bpermute_b32 v21, v26, v27
	v_cndmask_b32_e64 v22, v16, v19, s[4:5]
	v_lshlrev_b32_e32 v22, 2, v22
	v_xor_b32_e32 v26, 1, v16
	v_cmp_lt_i32_e64 s[4:5], v26, v17
	s_waitcnt lgkmcnt(0)
	v_add_f32_e32 v21, v27, v21
	ds_bpermute_b32 v22, v22, v21
	v_cndmask_b32_e64 v26, v16, v26, s[4:5]
	v_lshlrev_b32_e32 v26, 2, v26
	s_waitcnt lgkmcnt(0)
	v_add_f32_e32 v21, v21, v22
	ds_bpermute_b32 v22, v26, v21
	s_and_saveexec_b64 s[38:39], vcc
	s_cbranch_execz .LBB4_11
; %bb.19:                               ;   in Loop: Header=BB4_13 Depth=1
	v_add_u32_e32 v26, v13, v12
	v_cvt_f32_i32_e32 v26, v26
	s_waitcnt lgkmcnt(0)
	v_add_f32_e32 v21, v21, v22
	v_add_u32_e32 v27, v6, v12
	v_cmp_gt_i32_e64 s[4:5], s33, v27
	v_mul_f32_e32 v22, s42, v26
	v_cndmask_b32_e64 v22, 0, v22, s[2:3]
	v_fmac_f32_e32 v22, s31, v21
	v_cndmask_b32_e64 v21, 0, v22, s[4:5]
	ds_write_b32 v14, v21
	v_max_f32_e32 v21, v8, v8
	v_max_f32_e32 v21, v21, v22
	v_cndmask_b32_e64 v8, v8, v21, s[4:5]
	s_branch .LBB4_11
.LBB4_20:
	s_or_b64 exec, exec, s[36:37]
.LBB4_21:
	s_or_b64 exec, exec, s[34:35]
	v_mbcnt_hi_u32_b32 v2, -1, v5
	v_and_b32_e32 v11, 64, v2
	v_add_u32_e32 v5, 64, v11
	v_xor_b32_e32 v1, 32, v2
	v_cmp_lt_i32_e32 vcc, v1, v5
	v_cndmask_b32_e32 v1, v2, v1, vcc
	v_lshlrev_b32_e32 v7, 2, v1
	ds_bpermute_b32 v1, v7, v8
	v_max_f32_e32 v6, v8, v8
	v_xor_b32_e32 v8, 16, v2
	v_cmp_lt_i32_e32 vcc, v8, v5
	v_xor_b32_e32 v10, 8, v2
	s_waitcnt lgkmcnt(0)
	v_max_f32_e32 v1, v1, v1
	v_max_f32_e32 v1, v6, v1
	v_cndmask_b32_e32 v6, v2, v8, vcc
	v_lshlrev_b32_e32 v9, 2, v6
	ds_bpermute_b32 v6, v9, v1
	v_cmp_lt_i32_e32 vcc, v10, v5
	s_waitcnt lgkmcnt(0)
	v_max_f32_e32 v6, v6, v6
	v_max_f32_e32 v8, v1, v6
	v_cndmask_b32_e32 v1, v2, v10, vcc
	v_lshlrev_b32_e32 v10, 2, v1
	ds_bpermute_b32 v12, v10, v8
	v_and_b32_e32 v1, 63, v0
	v_cmp_eq_u32_e32 vcc, 0, v1
	v_lshlrev_b32_e32 v6, 2, v24
	s_and_saveexec_b64 s[2:3], vcc
	s_cbranch_execz .LBB4_23
; %bb.22:
	s_waitcnt lgkmcnt(0)
	v_max_f32_e32 v12, v12, v12
	v_max_f32_e32 v8, v8, v8
	v_max_f32_e32 v8, v8, v12
	ds_write_b32 v6, v8 offset:448
.LBB4_23:
	s_or_b64 exec, exec, s[2:3]
	v_cmp_gt_u32_e64 s[2:3], 2, v1
	s_waitcnt lgkmcnt(0)
	v_mov_b32_e32 v12, 0xff7fffff
	v_lshlrev_b32_e32 v8, 2, v1
	s_barrier
	s_and_saveexec_b64 s[4:5], s[2:3]
; %bb.24:
	ds_read_b32 v12, v8 offset:448
; %bb.25:
	s_or_b64 exec, exec, s[4:5]
	v_xor_b32_e32 v13, 1, v2
	v_cmp_lt_i32_e64 s[4:5], v13, v5
	v_cndmask_b32_e64 v13, v2, v13, s[4:5]
	v_lshlrev_b32_e32 v26, 2, v13
	s_waitcnt lgkmcnt(0)
	ds_bpermute_b32 v13, v26, v12
	v_max_f32_e32 v12, v12, v12
	v_lshlrev_b32_e32 v11, 2, v11
	s_lshl_b32 s4, s16, 3
	s_min_i32 s15, s4, s33
	s_waitcnt lgkmcnt(0)
	v_max_f32_e32 v13, v13, v13
	v_max_f32_e32 v12, v12, v13
	ds_bpermute_b32 v12, v11, v12
	v_cmp_gt_i32_e64 s[4:5], s15, v0
	v_mov_b32_e32 v11, 0
	s_and_saveexec_b64 s[30:31], s[4:5]
	s_cbranch_execz .LBB4_29
; %bb.26:
	v_mov_b32_e32 v11, 0x1d0
	v_lshl_add_u32 v13, v0, 2, v11
	v_mov_b32_e32 v11, 0
	s_mov_b64 s[34:35], 0
	v_mov_b32_e32 v14, v0
.LBB4_27:                               ; =>This Inner Loop Header: Depth=1
	ds_read_b32 v15, v13
	v_add_u32_e32 v14, 0x80, v14
	v_cmp_le_i32_e64 s[6:7], s15, v14
	s_or_b64 s[34:35], s[6:7], s[34:35]
	s_waitcnt lgkmcnt(0)
	v_sub_f32_e32 v15, v15, v12
	v_mul_f32_e32 v15, 0x3fb8aa3b, v15
	v_exp_f32_e32 v15, v15
	ds_write_b32 v13, v15
	v_add_f32_e32 v11, v11, v15
	v_add_u32_e32 v13, 0x200, v13
	s_andn2_b64 exec, exec, s[34:35]
	s_cbranch_execnz .LBB4_27
; %bb.28:
	s_or_b64 exec, exec, s[34:35]
.LBB4_29:
	s_or_b64 exec, exec, s[30:31]
	ds_bpermute_b32 v7, v7, v11
	s_waitcnt lgkmcnt(0)
	v_add_f32_e32 v7, v11, v7
	ds_bpermute_b32 v9, v9, v7
	s_waitcnt lgkmcnt(0)
	v_add_f32_e32 v7, v7, v9
	ds_bpermute_b32 v9, v10, v7
	v_xor_b32_e32 v10, 4, v2
	v_cmp_lt_i32_e64 s[6:7], v10, v5
	v_cndmask_b32_e64 v10, v2, v10, s[6:7]
	v_lshlrev_b32_e32 v10, 2, v10
	s_waitcnt lgkmcnt(0)
	v_add_f32_e32 v7, v7, v9
	ds_bpermute_b32 v9, v10, v7
	v_xor_b32_e32 v10, 2, v2
	v_cmp_lt_i32_e64 s[6:7], v10, v5
	v_cndmask_b32_e64 v5, v2, v10, s[6:7]
	v_lshlrev_b32_e32 v5, 2, v5
	s_waitcnt lgkmcnt(0)
	v_add_f32_e32 v7, v7, v9
	ds_bpermute_b32 v5, v5, v7
	s_waitcnt lgkmcnt(0)
	v_add_f32_e32 v5, v7, v5
	ds_bpermute_b32 v7, v26, v5
	s_waitcnt lgkmcnt(0)
	v_add_f32_e32 v5, v5, v7
	s_and_saveexec_b64 s[6:7], vcc
; %bb.30:
	ds_write_b32 v6, v5 offset:456
; %bb.31:
	s_or_b64 exec, exec, s[6:7]
	s_waitcnt lgkmcnt(0)
	s_barrier
	s_and_saveexec_b64 s[6:7], s[2:3]
; %bb.32:
	ds_read_b32 v5, v8 offset:456
; %bb.33:
	s_or_b64 exec, exec, s[6:7]
	s_waitcnt lgkmcnt(0)
	ds_bpermute_b32 v6, v26, v5
	v_lshlrev_b32_e32 v2, 2, v2
	v_and_b32_e32 v2, 0x100, v2
	s_waitcnt lgkmcnt(0)
	v_add_f32_e32 v5, v5, v6
	ds_bpermute_b32 v2, v2, v5
	s_and_saveexec_b64 s[2:3], s[4:5]
	s_cbranch_execz .LBB4_36
; %bb.34:
	s_waitcnt lgkmcnt(0)
	v_add_f32_e32 v5, 0x358637bd, v2
	v_div_scale_f32 v2, s[4:5], v5, v5, 1.0
	v_div_scale_f32 v6, vcc, 1.0, v5, 1.0
	s_mov_b64 s[4:5], 0
	v_rcp_f32_e32 v7, v2
	v_fma_f32 v8, -v2, v7, 1.0
	v_fmac_f32_e32 v7, v8, v7
	v_mul_f32_e32 v8, v6, v7
	v_fma_f32 v9, -v2, v8, v6
	v_fmac_f32_e32 v8, v9, v7
	v_fma_f32 v2, -v2, v8, v6
	v_div_fmas_f32 v6, v2, v7, v8
	v_mov_b32_e32 v2, 0x1d0
	v_lshl_add_u32 v2, v0, 2, v2
	v_div_fixup_f32 v5, v6, v5, 1.0
	v_mov_b32_e32 v6, v0
.LBB4_35:                               ; =>This Inner Loop Header: Depth=1
	ds_read_b32 v7, v2
	v_add_u32_e32 v6, 0x80, v6
	v_cmp_le_i32_e32 vcc, s15, v6
	s_or_b64 s[4:5], vcc, s[4:5]
	s_waitcnt lgkmcnt(0)
	v_mul_f32_e32 v7, v5, v7
	ds_write_b32 v2, v7
	v_add_u32_e32 v2, 0x200, v2
	s_andn2_b64 exec, exec, s[4:5]
	s_cbranch_execnz .LBB4_35
.LBB4_36:
	s_or_b64 exec, exec, s[2:3]
	v_lshrrev_b32_e32 v27, 1, v1
	s_waitcnt lgkmcnt(0)
	s_barrier
	s_and_saveexec_b64 s[2:3], s[0:1]
	s_xor_b64 s[0:1], exec, s[2:3]
; %bb.37:
	v_lshrrev_b32_e32 v27, 1, v1
                                        ; implicit-def: $vgpr25
                                        ; implicit-def: $vgpr24
                                        ; implicit-def: $vgpr3
                                        ; implicit-def: $vgpr4
; %bb.38:
	s_or_saveexec_b64 s[4:5], s[0:1]
	v_mov_b32_e32 v32, 0
	v_and_b32_e32 v28, 1, v0
	v_mov_b32_e32 v33, 0
	v_mov_b32_e32 v31, 0
	;; [unrolled: 1-line block ×3, first 2 shown]
	s_xor_b64 exec, exec, s[4:5]
	s_cbranch_execz .LBB4_54
; %bb.39:
	s_ashr_i32 s15, s14, 31
	s_sub_i32 s17, s12, s17
	s_lshl_b64 s[0:1], s[14:15], 2
	s_add_u32 s28, s28, s0
	s_addc_u32 s29, s29, s1
	s_abs_i32 s18, s18
	v_cvt_f32_u32_e32 v1, s18
	s_sub_i32 s1, 0, s18
	v_and_b32_e32 v30, 4, v3
	v_and_b32_e32 v3, 60, v4
	v_rcp_iflag_f32_e32 v1, v1
	v_or_b32_e32 v2, 0x60, v27
	s_movk_i32 s0, 0x70
	v_cmp_gt_u32_e32 vcc, s0, v2
	v_mul_f32_e32 v1, 0x4f7ffffe, v1
	v_cvt_u32_f32_e32 v1, v1
	s_add_i32 s31, s16, -1
	v_lshl_or_b32 v5, v27, 3, v30
	v_lshl_or_b32 v2, v2, 3, v30
	v_mul_lo_u32 v4, s1, v1
	s_lshl_b64 s[0:1], s[26:27], 2
	s_add_u32 s0, s24, s0
	s_addc_u32 s1, s25, s1
	v_mul_hi_u32 v4, v1, v4
	s_mov_b32 s30, s13
	v_mov_b32_e32 v29, 0
	s_mov_b64 s[6:7], 0
	v_add_u32_e32 v34, v1, v4
	v_mov_b32_e32 v1, s1
	v_add_co_u32_e64 v21, s[0:1], s0, v3
	v_addc_co_u32_e64 v22, s[0:1], 0, v1, s[0:1]
	v_lshlrev_b32_e32 v1, 4, v28
	v_lshl_or_b32 v1, v24, 5, v1
	v_add_u32_e32 v35, 0x1d0, v1
	v_lshlrev_b32_e32 v36, 2, v5
	v_lshlrev_b32_e32 v37, 2, v2
	v_mov_b32_e32 v31, 0
	v_mov_b32_e32 v33, 0
	;; [unrolled: 1-line block ×3, first 2 shown]
	s_branch .LBB4_43
.LBB4_40:                               ;   in Loop: Header=BB4_43 Depth=1
	s_or_b64 exec, exec, s[2:3]
	s_waitcnt vmcnt(0) lgkmcnt(0)
	v_mul_f32_e32 v17, v5, v17
	v_fmac_f32_e32 v17, v6, v18
	v_fmac_f32_e32 v17, v7, v19
	;; [unrolled: 1-line block ×3, first 2 shown]
	v_add_f32_e32 v29, v29, v17
.LBB4_41:                               ;   in Loop: Header=BB4_43 Depth=1
	s_or_b64 exec, exec, s[14:15]
	s_waitcnt vmcnt(0) lgkmcnt(0)
	v_mul_f32_e32 v13, v5, v13
	v_mul_f32_e32 v9, v5, v9
	;; [unrolled: 1-line block ×3, first 2 shown]
	v_fmac_f32_e32 v13, v6, v14
	v_fmac_f32_e32 v9, v6, v10
	;; [unrolled: 1-line block ×9, first 2 shown]
	v_add_f32_e32 v31, v31, v13
	v_add_f32_e32 v33, v33, v9
	v_add_f32_e32 v32, v32, v1
.LBB4_42:                               ;   in Loop: Header=BB4_43 Depth=1
	s_or_b64 exec, exec, s[12:13]
	v_add_co_u32_e64 v21, s[0:1], 8, v21
	v_add_u32_e32 v24, 2, v24
	v_addc_co_u32_e64 v22, s[0:1], 0, v22, s[0:1]
	v_cmp_le_i32_e64 s[0:1], s16, v24
	v_add_u32_e32 v25, 16, v25
	s_or_b64 s[6:7], s[0:1], s[6:7]
	v_add_u32_e32 v35, 64, v35
	s_andn2_b64 exec, exec, s[6:7]
	s_cbranch_execz .LBB4_53
.LBB4_43:                               ; =>This Inner Loop Header: Depth=1
	v_mul_hi_u32 v1, v25, s40
	v_mul_lo_u32 v2, v1, s21
	v_add_u32_e32 v3, 1, v1
	v_sub_u32_e32 v2, v25, v2
	v_cmp_le_u32_e64 s[0:1], s21, v2
	v_cndmask_b32_e64 v1, v1, v3, s[0:1]
	v_subrev_u32_e32 v3, s21, v2
	v_cndmask_b32_e64 v2, v2, v3, s[0:1]
	v_add_u32_e32 v3, 1, v1
	v_cmp_le_u32_e64 s[0:1], s21, v2
	v_cndmask_b32_e64 v1, v1, v3, s[0:1]
	v_xor_b32_e32 v1, s19, v1
	v_subrev_u32_e32 v1, s19, v1
	v_add_u32_e32 v2, s41, v1
	v_sub_u32_e32 v3, 0, v2
	v_max_i32_e32 v3, v2, v3
	v_mul_hi_u32 v4, v3, v34
	v_ashrrev_i32_e32 v2, 31, v2
	v_cmp_lt_i32_e64 s[2:3], s17, v1
	v_mul_lo_u32 v4, v4, s18
	v_sub_u32_e32 v3, v3, v4
	v_subrev_u32_e32 v4, s18, v3
	v_cmp_le_u32_e64 s[0:1], s18, v3
	v_cndmask_b32_e64 v3, v3, v4, s[0:1]
	v_subrev_u32_e32 v4, s18, v3
	v_cmp_le_u32_e64 s[0:1], s18, v3
	v_cndmask_b32_e64 v3, v3, v4, s[0:1]
	v_xor_b32_e32 v3, v3, v2
	v_sub_u32_e32 v2, v3, v2
	v_cmp_eq_u32_e64 s[0:1], 0, v2
	s_or_b64 s[0:1], s[0:1], s[2:3]
	s_and_saveexec_b64 s[12:13], s[0:1]
	s_cbranch_execz .LBB4_42
; %bb.44:                               ;   in Loop: Header=BB4_43 Depth=1
	global_load_dword v1, v[21:22], off
	v_mov_b32_e32 v3, s29
	ds_read_b128 v[5:8], v35
	v_add_u32_e32 v38, v30, v25
	s_waitcnt vmcnt(0)
	v_mad_i64_i32 v[1:2], s[0:1], v1, s30, 0
	v_lshlrev_b64 v[1:2], 2, v[1:2]
	v_add_co_u32_e64 v17, s[0:1], s28, v1
	v_addc_co_u32_e64 v18, s[0:1], v3, v2, s[0:1]
	v_add_co_u32_e64 v13, s[0:1], v17, v36
	v_addc_co_u32_e64 v14, s[0:1], 0, v18, s[0:1]
	global_load_dwordx4 v[1:4], v[13:14], off
	v_cmp_eq_u32_e64 s[0:1], s31, v24
	s_and_saveexec_b64 s[14:15], s[0:1]
	s_cbranch_execnz .LBB4_48
; %bb.45:                               ;   in Loop: Header=BB4_43 Depth=1
	s_or_b64 exec, exec, s[14:15]
	global_load_dwordx4 v[9:12], v[13:14], off offset:1024
	s_and_saveexec_b64 s[14:15], s[0:1]
	s_cbranch_execnz .LBB4_49
.LBB4_46:                               ;   in Loop: Header=BB4_43 Depth=1
	s_or_b64 exec, exec, s[14:15]
	global_load_dwordx4 v[13:16], v[13:14], off offset:2048
	s_and_saveexec_b64 s[14:15], s[0:1]
	s_cbranch_execnz .LBB4_50
.LBB4_47:                               ;   in Loop: Header=BB4_43 Depth=1
	s_or_b64 exec, exec, s[14:15]
	s_and_saveexec_b64 s[14:15], vcc
	s_cbranch_execz .LBB4_41
	s_branch .LBB4_51
.LBB4_48:                               ;   in Loop: Header=BB4_43 Depth=1
	v_cmp_gt_i32_e64 s[2:3], s33, v38
	v_add_u32_e32 v9, 1, v38
	s_waitcnt vmcnt(0)
	v_cndmask_b32_e64 v1, 0, v1, s[2:3]
	v_cmp_gt_i32_e64 s[2:3], s33, v9
	v_add_u32_e32 v9, 2, v38
	v_cndmask_b32_e64 v2, 0, v2, s[2:3]
	v_cmp_gt_i32_e64 s[2:3], s33, v9
	v_add_u32_e32 v9, 3, v38
	v_cndmask_b32_e64 v3, 0, v3, s[2:3]
	v_cmp_gt_i32_e64 s[2:3], s33, v9
	v_cndmask_b32_e64 v4, 0, v4, s[2:3]
	s_or_b64 exec, exec, s[14:15]
	global_load_dwordx4 v[9:12], v[13:14], off offset:1024
	s_and_saveexec_b64 s[14:15], s[0:1]
	s_cbranch_execz .LBB4_46
.LBB4_49:                               ;   in Loop: Header=BB4_43 Depth=1
	v_cmp_gt_i32_e64 s[2:3], s33, v38
	v_add_u32_e32 v15, 1, v38
	s_waitcnt vmcnt(0)
	v_cndmask_b32_e64 v9, 0, v9, s[2:3]
	v_cmp_gt_i32_e64 s[2:3], s33, v15
	v_add_u32_e32 v15, 2, v38
	v_cndmask_b32_e64 v10, 0, v10, s[2:3]
	v_cmp_gt_i32_e64 s[2:3], s33, v15
	v_add_u32_e32 v15, 3, v38
	v_cndmask_b32_e64 v11, 0, v11, s[2:3]
	v_cmp_gt_i32_e64 s[2:3], s33, v15
	v_cndmask_b32_e64 v12, 0, v12, s[2:3]
	s_or_b64 exec, exec, s[14:15]
	global_load_dwordx4 v[13:16], v[13:14], off offset:2048
	s_and_saveexec_b64 s[14:15], s[0:1]
	s_cbranch_execz .LBB4_47
.LBB4_50:                               ;   in Loop: Header=BB4_43 Depth=1
	v_cmp_gt_i32_e64 s[2:3], s33, v38
	v_add_u32_e32 v19, 1, v38
	s_waitcnt vmcnt(0)
	v_cndmask_b32_e64 v13, 0, v13, s[2:3]
	v_cmp_gt_i32_e64 s[2:3], s33, v19
	v_add_u32_e32 v19, 2, v38
	v_cndmask_b32_e64 v14, 0, v14, s[2:3]
	v_cmp_gt_i32_e64 s[2:3], s33, v19
	v_add_u32_e32 v19, 3, v38
	v_cndmask_b32_e64 v15, 0, v15, s[2:3]
	v_cmp_gt_i32_e64 s[2:3], s33, v19
	v_cndmask_b32_e64 v16, 0, v16, s[2:3]
	s_or_b64 exec, exec, s[14:15]
	s_and_saveexec_b64 s[14:15], vcc
	s_cbranch_execz .LBB4_41
.LBB4_51:                               ;   in Loop: Header=BB4_43 Depth=1
	v_add_co_u32_e64 v17, s[2:3], v17, v37
	v_addc_co_u32_e64 v18, s[2:3], 0, v18, s[2:3]
	global_load_dwordx4 v[17:20], v[17:18], off
	s_and_saveexec_b64 s[2:3], s[0:1]
	s_cbranch_execz .LBB4_40
; %bb.52:                               ;   in Loop: Header=BB4_43 Depth=1
	v_cmp_gt_i32_e64 s[0:1], s33, v38
	v_add_u32_e32 v39, 1, v38
	s_waitcnt vmcnt(0)
	v_cndmask_b32_e64 v17, 0, v17, s[0:1]
	v_cmp_gt_i32_e64 s[0:1], s33, v39
	v_add_u32_e32 v39, 2, v38
	v_cndmask_b32_e64 v18, 0, v18, s[0:1]
	v_cmp_gt_i32_e64 s[0:1], s33, v39
	v_add_u32_e32 v38, 3, v38
	v_cndmask_b32_e64 v19, 0, v19, s[0:1]
	v_cmp_gt_i32_e64 s[0:1], s33, v38
	v_cndmask_b32_e64 v20, 0, v20, s[0:1]
	s_branch .LBB4_40
.LBB4_53:
	s_or_b64 exec, exec, s[6:7]
.LBB4_54:
	s_or_b64 exec, exec, s[4:5]
	ds_bpermute_b32 v2, v26, v33
	ds_bpermute_b32 v5, v26, v31
	;; [unrolled: 1-line block ×4, first 2 shown]
	v_cmp_eq_u32_e32 vcc, 0, v28
	s_waitcnt lgkmcnt(3)
	v_add_f32_e32 v3, v33, v2
	s_waitcnt lgkmcnt(2)
	v_add_f32_e32 v2, v31, v5
	v_and_b32_e32 v5, 0x3c0, v0
	s_waitcnt lgkmcnt(1)
	v_add_f32_e32 v4, v32, v1
	s_waitcnt lgkmcnt(0)
	v_add_f32_e32 v1, v29, v6
	v_cmp_eq_u32_e64 s[0:1], 64, v5
	s_barrier
	s_and_saveexec_b64 s[2:3], s[0:1]
	s_cbranch_execz .LBB4_59
; %bb.55:
	s_and_saveexec_b64 s[0:1], vcc
	s_cbranch_execz .LBB4_57
; %bb.56:
	v_mov_b32_e32 v5, 0x1d0
	v_lshl_add_u32 v5, v27, 2, v5
	ds_write2_b32 v5, v4, v3 offset1:32
	ds_write_b32 v5, v2 offset:256
.LBB4_57:
	s_or_b64 exec, exec, s[0:1]
	v_or_b32_e32 v5, 0x60, v27
	s_movk_i32 s0, 0x70
	v_cmp_gt_u32_e64 s[0:1], s0, v5
	s_and_b64 s[0:1], vcc, s[0:1]
	s_and_b64 exec, exec, s[0:1]
; %bb.58:
	v_mov_b32_e32 v5, 0x1d0
	v_lshl_add_u32 v5, v27, 2, v5
	ds_write_b32 v5, v1 offset:384
.LBB4_59:
	s_or_b64 exec, exec, s[2:3]
	v_cmp_gt_u32_e64 s[0:1], 64, v0
	s_waitcnt lgkmcnt(0)
	s_barrier
	s_and_saveexec_b64 s[4:5], s[0:1]
	s_cbranch_execz .LBB4_69
; %bb.60:
	s_and_saveexec_b64 s[2:3], vcc
	s_cbranch_execz .LBB4_62
; %bb.61:
	v_mov_b32_e32 v0, 0x1d0
	v_lshl_add_u32 v0, v23, 2, v0
	ds_read_b32 v0, v0
	s_waitcnt lgkmcnt(0)
	v_add_f32_e32 v4, v4, v0
.LBB4_62:
	s_or_b64 exec, exec, s[2:3]
	v_or_b32_e32 v0, 32, v23
	s_movk_i32 s6, 0x70
	v_cmp_gt_u32_e64 s[2:3], s6, v0
	s_and_b64 s[12:13], vcc, s[2:3]
	s_and_saveexec_b64 s[2:3], s[12:13]
	s_cbranch_execz .LBB4_64
; %bb.63:
	v_mov_b32_e32 v0, 0x1d0
	v_lshl_add_u32 v0, v23, 2, v0
	ds_read_b32 v0, v0 offset:128
	s_waitcnt lgkmcnt(0)
	v_add_f32_e32 v3, v3, v0
.LBB4_64:
	s_or_b64 exec, exec, s[2:3]
	v_or_b32_e32 v0, 64, v23
	v_cmp_gt_u32_e64 s[2:3], s6, v0
	s_and_b64 s[6:7], vcc, s[2:3]
	s_and_saveexec_b64 s[2:3], s[6:7]
	s_cbranch_execz .LBB4_66
; %bb.65:
	v_mov_b32_e32 v0, 0x1d0
	v_lshl_add_u32 v0, v23, 2, v0
	ds_read_b32 v0, v0 offset:256
	s_waitcnt lgkmcnt(0)
	v_add_f32_e32 v2, v2, v0
.LBB4_66:
	s_or_b64 exec, exec, s[2:3]
	v_or_b32_e32 v0, 0x60, v23
	s_movk_i32 s2, 0x70
	v_cmp_gt_u32_e64 s[2:3], s2, v0
	s_and_b64 s[6:7], vcc, s[2:3]
	s_and_saveexec_b64 s[2:3], s[6:7]
	s_cbranch_execz .LBB4_68
; %bb.67:
	v_mov_b32_e32 v0, 0x1d0
	v_lshl_add_u32 v0, v23, 2, v0
	ds_read_b32 v0, v0 offset:384
	s_waitcnt lgkmcnt(0)
	v_add_f32_e32 v1, v1, v0
.LBB4_68:
	s_or_b64 exec, exec, s[2:3]
.LBB4_69:
	s_or_b64 exec, exec, s[4:5]
	s_barrier
	s_and_saveexec_b64 s[2:3], s[0:1]
	s_cbranch_execz .LBB4_78
; %bb.70:
	s_mul_i32 s0, s10, s11
	s_mul_i32 s0, s0, s9
	s_mulk_i32 s0, 0x70
	s_ashr_i32 s1, s0, 31
	s_lshl_b64 s[0:1], s[0:1], 2
	s_add_u32 s2, s22, s0
	s_mul_i32 s0, s11, s20
	s_addc_u32 s3, s23, s1
	s_ashr_i32 s1, s0, 31
	s_lshl_b64 s[0:1], s[0:1], 2
	s_add_u32 s2, s2, s0
	s_mul_i32 s0, s8, 0x70
	s_addc_u32 s3, s3, s1
	s_ashr_i32 s1, s0, 31
	s_lshl_b64 s[0:1], s[0:1], 2
	s_add_u32 s2, s2, s0
	s_movk_i32 s4, 0x70
	s_addc_u32 s3, s3, s1
	v_lshlrev_b32_e32 v0, 2, v23
	s_and_saveexec_b64 s[0:1], vcc
	s_cbranch_execz .LBB4_72
; %bb.71:
	global_store_dword v0, v4, s[2:3]
.LBB4_72:
	s_or_b64 exec, exec, s[0:1]
	v_or_b32_e32 v4, 32, v23
	v_cmp_gt_u32_e64 s[0:1], s4, v4
	s_and_b64 s[4:5], vcc, s[0:1]
	s_and_saveexec_b64 s[0:1], s[4:5]
	s_cbranch_execz .LBB4_74
; %bb.73:
	global_store_dword v0, v3, s[2:3] offset:128
.LBB4_74:
	s_or_b64 exec, exec, s[0:1]
	v_or_b32_e32 v3, 64, v23
	s_movk_i32 s4, 0x70
	v_cmp_gt_u32_e64 s[0:1], s4, v3
	s_and_b64 s[6:7], vcc, s[0:1]
	s_and_saveexec_b64 s[0:1], s[6:7]
	s_cbranch_execz .LBB4_76
; %bb.75:
	global_store_dword v0, v2, s[2:3] offset:256
.LBB4_76:
	s_or_b64 exec, exec, s[0:1]
	v_or_b32_e32 v2, 0x60, v23
	v_cmp_gt_u32_e64 s[0:1], s4, v2
	s_and_b64 s[0:1], vcc, s[0:1]
	s_and_b64 exec, exec, s[0:1]
	s_cbranch_execz .LBB4_78
; %bb.77:
	global_store_dword v0, v1, s[2:3] offset:384
.LBB4_78:
	s_endpgm
	.section	.rodata,"a",@progbits
	.p2align	6, 0x0
	.amdhsa_kernel _ZN4vllm25paged_attention_v1_kernelIffLi112ELi8ELi128ELNS_18Fp8KVCacheDataTypeE0ELb1EEEvPT_PKS2_PKT0_S8_ifPKiSA_iPKfiiiSC_SC_iiiii
		.amdhsa_group_segment_fixed_size 464
		.amdhsa_private_segment_fixed_size 0
		.amdhsa_kernarg_size 384
		.amdhsa_user_sgpr_count 6
		.amdhsa_user_sgpr_private_segment_buffer 1
		.amdhsa_user_sgpr_dispatch_ptr 0
		.amdhsa_user_sgpr_queue_ptr 0
		.amdhsa_user_sgpr_kernarg_segment_ptr 1
		.amdhsa_user_sgpr_dispatch_id 0
		.amdhsa_user_sgpr_flat_scratch_init 0
		.amdhsa_user_sgpr_private_segment_size 0
		.amdhsa_uses_dynamic_stack 0
		.amdhsa_system_sgpr_private_segment_wavefront_offset 0
		.amdhsa_system_sgpr_workgroup_id_x 1
		.amdhsa_system_sgpr_workgroup_id_y 1
		.amdhsa_system_sgpr_workgroup_id_z 1
		.amdhsa_system_sgpr_workgroup_info 0
		.amdhsa_system_vgpr_workitem_id 0
		.amdhsa_next_free_vgpr 53
		.amdhsa_next_free_sgpr 44
		.amdhsa_reserve_vcc 1
		.amdhsa_reserve_flat_scratch 0
		.amdhsa_float_round_mode_32 0
		.amdhsa_float_round_mode_16_64 0
		.amdhsa_float_denorm_mode_32 3
		.amdhsa_float_denorm_mode_16_64 3
		.amdhsa_dx10_clamp 1
		.amdhsa_ieee_mode 1
		.amdhsa_fp16_overflow 0
		.amdhsa_exception_fp_ieee_invalid_op 0
		.amdhsa_exception_fp_denorm_src 0
		.amdhsa_exception_fp_ieee_div_zero 0
		.amdhsa_exception_fp_ieee_overflow 0
		.amdhsa_exception_fp_ieee_underflow 0
		.amdhsa_exception_fp_ieee_inexact 0
		.amdhsa_exception_int_div_zero 0
	.end_amdhsa_kernel
	.section	.text._ZN4vllm25paged_attention_v1_kernelIffLi112ELi8ELi128ELNS_18Fp8KVCacheDataTypeE0ELb1EEEvPT_PKS2_PKT0_S8_ifPKiSA_iPKfiiiSC_SC_iiiii,"axG",@progbits,_ZN4vllm25paged_attention_v1_kernelIffLi112ELi8ELi128ELNS_18Fp8KVCacheDataTypeE0ELb1EEEvPT_PKS2_PKT0_S8_ifPKiSA_iPKfiiiSC_SC_iiiii,comdat
.Lfunc_end4:
	.size	_ZN4vllm25paged_attention_v1_kernelIffLi112ELi8ELi128ELNS_18Fp8KVCacheDataTypeE0ELb1EEEvPT_PKS2_PKT0_S8_ifPKiSA_iPKfiiiSC_SC_iiiii, .Lfunc_end4-_ZN4vllm25paged_attention_v1_kernelIffLi112ELi8ELi128ELNS_18Fp8KVCacheDataTypeE0ELb1EEEvPT_PKS2_PKT0_S8_ifPKiSA_iPKfiiiSC_SC_iiiii
                                        ; -- End function
	.set _ZN4vllm25paged_attention_v1_kernelIffLi112ELi8ELi128ELNS_18Fp8KVCacheDataTypeE0ELb1EEEvPT_PKS2_PKT0_S8_ifPKiSA_iPKfiiiSC_SC_iiiii.num_vgpr, 53
	.set _ZN4vllm25paged_attention_v1_kernelIffLi112ELi8ELi128ELNS_18Fp8KVCacheDataTypeE0ELb1EEEvPT_PKS2_PKT0_S8_ifPKiSA_iPKfiiiSC_SC_iiiii.num_agpr, 0
	.set _ZN4vllm25paged_attention_v1_kernelIffLi112ELi8ELi128ELNS_18Fp8KVCacheDataTypeE0ELb1EEEvPT_PKS2_PKT0_S8_ifPKiSA_iPKfiiiSC_SC_iiiii.numbered_sgpr, 44
	.set _ZN4vllm25paged_attention_v1_kernelIffLi112ELi8ELi128ELNS_18Fp8KVCacheDataTypeE0ELb1EEEvPT_PKS2_PKT0_S8_ifPKiSA_iPKfiiiSC_SC_iiiii.num_named_barrier, 0
	.set _ZN4vllm25paged_attention_v1_kernelIffLi112ELi8ELi128ELNS_18Fp8KVCacheDataTypeE0ELb1EEEvPT_PKS2_PKT0_S8_ifPKiSA_iPKfiiiSC_SC_iiiii.private_seg_size, 0
	.set _ZN4vllm25paged_attention_v1_kernelIffLi112ELi8ELi128ELNS_18Fp8KVCacheDataTypeE0ELb1EEEvPT_PKS2_PKT0_S8_ifPKiSA_iPKfiiiSC_SC_iiiii.uses_vcc, 1
	.set _ZN4vllm25paged_attention_v1_kernelIffLi112ELi8ELi128ELNS_18Fp8KVCacheDataTypeE0ELb1EEEvPT_PKS2_PKT0_S8_ifPKiSA_iPKfiiiSC_SC_iiiii.uses_flat_scratch, 0
	.set _ZN4vllm25paged_attention_v1_kernelIffLi112ELi8ELi128ELNS_18Fp8KVCacheDataTypeE0ELb1EEEvPT_PKS2_PKT0_S8_ifPKiSA_iPKfiiiSC_SC_iiiii.has_dyn_sized_stack, 0
	.set _ZN4vllm25paged_attention_v1_kernelIffLi112ELi8ELi128ELNS_18Fp8KVCacheDataTypeE0ELb1EEEvPT_PKS2_PKT0_S8_ifPKiSA_iPKfiiiSC_SC_iiiii.has_recursion, 0
	.set _ZN4vllm25paged_attention_v1_kernelIffLi112ELi8ELi128ELNS_18Fp8KVCacheDataTypeE0ELb1EEEvPT_PKS2_PKT0_S8_ifPKiSA_iPKfiiiSC_SC_iiiii.has_indirect_call, 0
	.section	.AMDGPU.csdata,"",@progbits
; Kernel info:
; codeLenInByte = 4512
; TotalNumSgprs: 48
; NumVgprs: 53
; ScratchSize: 0
; MemoryBound: 0
; FloatMode: 240
; IeeeMode: 1
; LDSByteSize: 464 bytes/workgroup (compile time only)
; SGPRBlocks: 5
; VGPRBlocks: 13
; NumSGPRsForWavesPerEU: 48
; NumVGPRsForWavesPerEU: 53
; Occupancy: 4
; WaveLimiterHint : 1
; COMPUTE_PGM_RSRC2:SCRATCH_EN: 0
; COMPUTE_PGM_RSRC2:USER_SGPR: 6
; COMPUTE_PGM_RSRC2:TRAP_HANDLER: 0
; COMPUTE_PGM_RSRC2:TGID_X_EN: 1
; COMPUTE_PGM_RSRC2:TGID_Y_EN: 1
; COMPUTE_PGM_RSRC2:TGID_Z_EN: 1
; COMPUTE_PGM_RSRC2:TIDIG_COMP_CNT: 0
	.section	.text._ZN4vllm25paged_attention_v1_kernelIffLi120ELi8ELi128ELNS_18Fp8KVCacheDataTypeE0ELb1EEEvPT_PKS2_PKT0_S8_ifPKiSA_iPKfiiiSC_SC_iiiii,"axG",@progbits,_ZN4vllm25paged_attention_v1_kernelIffLi120ELi8ELi128ELNS_18Fp8KVCacheDataTypeE0ELb1EEEvPT_PKS2_PKT0_S8_ifPKiSA_iPKfiiiSC_SC_iiiii,comdat
	.protected	_ZN4vllm25paged_attention_v1_kernelIffLi120ELi8ELi128ELNS_18Fp8KVCacheDataTypeE0ELb1EEEvPT_PKS2_PKT0_S8_ifPKiSA_iPKfiiiSC_SC_iiiii ; -- Begin function _ZN4vllm25paged_attention_v1_kernelIffLi120ELi8ELi128ELNS_18Fp8KVCacheDataTypeE0ELb1EEEvPT_PKS2_PKT0_S8_ifPKiSA_iPKfiiiSC_SC_iiiii
	.globl	_ZN4vllm25paged_attention_v1_kernelIffLi120ELi8ELi128ELNS_18Fp8KVCacheDataTypeE0ELb1EEEvPT_PKS2_PKT0_S8_ifPKiSA_iPKfiiiSC_SC_iiiii
	.p2align	8
	.type	_ZN4vllm25paged_attention_v1_kernelIffLi120ELi8ELi128ELNS_18Fp8KVCacheDataTypeE0ELb1EEEvPT_PKS2_PKT0_S8_ifPKiSA_iPKfiiiSC_SC_iiiii,@function
_ZN4vllm25paged_attention_v1_kernelIffLi120ELi8ELi128ELNS_18Fp8KVCacheDataTypeE0ELb1EEEvPT_PKS2_PKT0_S8_ifPKiSA_iPKfiiiSC_SC_iiiii: ; @_ZN4vllm25paged_attention_v1_kernelIffLi120ELi8ELi128ELNS_18Fp8KVCacheDataTypeE0ELb1EEEvPT_PKS2_PKT0_S8_ifPKiSA_iPKfiiiSC_SC_iiiii
; %bb.0:
	s_load_dword s9, s[4:5], 0x80
	s_load_dwordx2 s[0:1], s[4:5], 0x30
	s_load_dwordx2 s[30:31], s[4:5], 0x20
	s_mov_b32 s10, s7
	s_ashr_i32 s11, s7, 31
	s_lshl_b64 s[2:3], s[10:11], 2
	s_waitcnt lgkmcnt(0)
	s_add_u32 s0, s0, s2
	s_addc_u32 s1, s1, s3
	s_abs_i32 s2, s30
	v_cvt_f32_u32_e32 v1, s2
	s_sub_i32 s11, 0, s2
	s_abs_i32 s7, s9
	s_xor_b32 s3, s9, s30
	v_rcp_iflag_f32_e32 v1, v1
	s_ashr_i32 s3, s3, 31
	s_mov_b32 s42, 0
	v_mul_f32_e32 v1, 0x4f7ffffe, v1
	v_cvt_u32_f32_e32 v1, v1
	v_readfirstlane_b32 s12, v1
	s_mul_i32 s11, s11, s12
	s_mul_hi_u32 s11, s12, s11
	s_add_i32 s12, s12, s11
	s_mul_hi_u32 s11, s7, s12
	s_mul_i32 s12, s11, s2
	s_sub_i32 s7, s7, s12
	s_add_i32 s12, s11, 1
	s_sub_i32 s13, s7, s2
	s_cmp_ge_u32 s7, s2
	s_cselect_b32 s11, s12, s11
	s_cselect_b32 s7, s13, s7
	s_add_i32 s12, s11, 1
	s_cmp_ge_u32 s7, s2
	s_cselect_b32 s2, s12, s11
	s_xor_b32 s2, s2, s3
	s_sub_i32 s12, s2, s3
	s_abs_i32 s11, s12
	v_cvt_f32_u32_e32 v1, s11
	s_load_dwordx2 s[2:3], s[4:5], 0x40
	s_sub_i32 s7, 0, s11
	s_abs_i32 s22, s6
	v_rcp_iflag_f32_e32 v1, v1
	v_mul_f32_e32 v1, 0x4f7ffffe, v1
	v_cvt_u32_f32_e32 v1, v1
	v_readfirstlane_b32 s13, v1
	s_mul_i32 s7, s7, s13
	s_mul_hi_u32 s7, s13, s7
	s_add_i32 s13, s13, s7
	s_waitcnt lgkmcnt(0)
	s_cmp_eq_u64 s[2:3], 0
	s_mul_hi_u32 s23, s22, s13
	s_cbranch_scc1 .LBB5_2
; %bb.1:
	s_ashr_i32 s7, s6, 31
	s_lshl_b64 s[14:15], s[6:7], 2
	s_add_u32 s2, s2, s14
	s_addc_u32 s3, s3, s15
	s_load_dword s42, s[2:3], 0x0
.LBB5_2:
	s_load_dword s33, s[0:1], 0x0
	s_ashr_i32 s7, s12, 31
	s_load_dwordx4 s[12:15], s[4:5], 0x48
	s_movk_i32 s0, 0x78
	s_ashr_i32 s2, s6, 31
	v_and_b32_e32 v1, 7, v0
	s_mul_i32 s20, s6, 0x78
	v_cmp_gt_u32_e32 vcc, s0, v0
	v_lshlrev_b32_e32 v3, 2, v0
	v_lshrrev_b32_e32 v23, 1, v0
	s_and_saveexec_b64 s[0:1], vcc
	s_cbranch_execz .LBB5_4
; %bb.3:
	s_load_dwordx2 s[16:17], s[4:5], 0x8
	s_waitcnt lgkmcnt(0)
	s_mul_i32 s18, s12, s10
	s_ashr_i32 s19, s18, 31
	s_lshl_b64 s[18:19], s[18:19], 2
	v_and_b32_e32 v4, 0x1fc, v23
	s_add_u32 s3, s16, s18
	s_addc_u32 s12, s17, s19
	s_ashr_i32 s21, s20, 31
	s_lshl_b64 s[16:17], s[20:21], 2
	s_add_u32 s16, s3, s16
	s_addc_u32 s17, s12, s17
	global_load_dword v2, v3, s[16:17]
	v_mad_u32_u24 v4, v1, 60, v4
	s_waitcnt vmcnt(0)
	ds_write_b32 v4, v2
.LBB5_4:
	s_or_b64 exec, exec, s[0:1]
	s_mul_i32 s1, s23, s11
	s_sub_i32 s1, s22, s1
	s_xor_b32 s0, s2, s7
	s_add_i32 s2, s23, 1
	s_sub_i32 s7, s1, s11
	s_load_dwordx4 s[16:19], s[4:5], 0x68
	s_load_dword s3, s[4:5], 0x78
	s_cmp_ge_u32 s1, s11
	s_cselect_b32 s2, s2, s23
	s_cselect_b32 s1, s7, s1
	s_add_i32 s7, s2, 1
	s_cmp_ge_u32 s1, s11
	s_cselect_b32 s1, s7, s2
	s_waitcnt lgkmcnt(0)
	s_abs_i32 s21, s19
	v_cvt_f32_u32_e32 v2, s21
	s_xor_b32 s1, s1, s0
	s_sub_i32 s2, s1, s0
	s_sub_i32 s0, 0, s21
	v_rcp_iflag_f32_e32 v2, v2
	s_add_i32 s11, s33, -1
	s_abs_i32 s7, s11
	v_mul_f32_e32 v2, 0x4f7ffffe, v2
	v_cvt_u32_f32_e32 v2, v2
	s_barrier
	v_readfirstlane_b32 s40, v2
	s_mul_i32 s0, s0, s40
	s_mul_hi_u32 s0, s40, s0
	s_add_i32 s40, s40, s0
	s_cmp_lt_i32 s3, 0
	s_mul_hi_u32 s12, s7, s40
	s_cbranch_scc0 .LBB5_6
; %bb.5:
	s_mul_i32 s0, s16, s30
	s_add_i32 s0, s2, s0
	s_mul_i32 s0, s0, s3
	s_sub_i32 s41, 1, s0
	s_mov_b64 s[0:1], 0
	s_branch .LBB5_7
.LBB5_6:
	s_mov_b64 s[0:1], -1
                                        ; implicit-def: $sgpr41
.LBB5_7:
	s_load_dwordx2 s[24:25], s[4:5], 0x28
	s_ashr_i32 s15, s11, 31
	s_andn2_b64 vcc, exec, s[0:1]
	s_ashr_i32 s19, s19, 31
	s_cbranch_vccnz .LBB5_9
; %bb.8:
	s_mul_i32 s0, s9, s16
	s_add_i32 s0, s0, s6
	s_mul_i32 s0, s0, s3
	s_add_i32 s41, s0, 1
.LBB5_9:
	s_load_dword s0, s[4:5], 0x38
	s_load_dwordx2 s[22:23], s[4:5], 0x0
	s_load_dwordx2 s[28:29], s[4:5], 0x18
	s_load_dword s11, s[4:5], 0x88
	s_xor_b32 s1, s15, s19
	s_waitcnt lgkmcnt(0)
	s_mul_i32 s26, s0, s10
	s_mul_i32 s0, s12, s21
	s_sub_i32 s0, s7, s0
	s_ashr_i32 s27, s26, 31
	s_add_i32 s3, s12, 1
	s_sub_i32 s6, s0, s21
	s_cmp_ge_u32 s0, s21
	s_cselect_b32 s3, s3, s12
	s_cselect_b32 s0, s6, s0
	s_add_i32 s6, s3, 1
	s_cmp_ge_u32 s0, s21
	s_cselect_b32 s0, s6, s3
	s_xor_b32 s0, s0, s1
	s_sub_i32 s12, s0, s1
	s_add_i32 s0, s33, 7
	s_ashr_i32 s1, s0, 31
	s_lshr_b32 s1, s1, 29
	s_add_i32 s0, s0, s1
	s_ashr_i32 s16, s0, 3
	v_lshrrev_b32_e32 v24, 6, v0
	v_cmp_le_i32_e64 s[0:1], s16, v24
	v_cmp_gt_i32_e32 vcc, s16, v24
	v_mov_b32_e32 v8, 0xff7fffff
	s_mul_i32 s14, s2, s14
	v_lshrrev_b32_e32 v4, 4, v0
	v_lshlrev_b32_e32 v25, 3, v24
	v_mbcnt_lo_u32_b32 v5, -1, 0
	s_and_saveexec_b64 s[34:35], vcc
	s_cbranch_execz .LBB5_21
; %bb.10:
	s_load_dwordx2 s[2:3], s[4:5], 0x10
	s_ashr_i32 s15, s14, 31
	s_sub_i32 s30, s12, s17
	s_lshl_b64 s[4:5], s[14:15], 2
	v_bfe_u32 v6, v0, 3, 3
	s_waitcnt lgkmcnt(0)
	s_add_u32 s2, s2, s4
	s_addc_u32 s3, s3, s5
	s_abs_i32 s15, s18
	v_cvt_f32_u32_e32 v2, s15
	v_lshlrev_b32_e32 v7, 4, v6
	v_mov_b32_e32 v9, s3
	v_add_co_u32_e64 v7, s[2:3], s2, v7
	v_rcp_iflag_f32_e32 v2, v2
	v_and_b32_e32 v10, 3, v0
	v_addc_co_u32_e64 v9, s[2:3], 0, v9, s[2:3]
	v_mul_f32_e32 v2, 0x4f7ffffe, v2
	v_lshlrev_b32_e32 v10, 2, v10
	v_cvt_u32_f32_e32 v2, v2
	v_add_co_u32_e64 v10, s[2:3], v7, v10
	v_addc_co_u32_e64 v11, s[2:3], 0, v9, s[2:3]
	s_sub_i32 s2, 0, s15
	v_cmp_eq_u32_e32 vcc, 0, v1
	v_mul_u32_u24_e32 v7, 60, v1
	v_mul_lo_u32 v1, s2, v2
	v_lshlrev_b32_e32 v9, 5, v0
	v_and_b32_e32 v9, 0x80, v9
	v_add_co_u32_e64 v9, s[4:5], v10, v9
	v_mul_hi_u32 v1, v2, v1
	v_addc_co_u32_e64 v10, s[4:5], 0, v11, s[4:5]
	s_lshl_b64 s[4:5], s[26:27], 2
	v_lshlrev_b32_e32 v8, 2, v6
	s_add_u32 s4, s24, s4
	v_add_u32_e32 v11, v2, v1
	v_and_b32_e32 v1, 60, v4
	s_addc_u32 s5, s25, s5
	v_lshl_or_b32 v8, v24, 5, v8
	v_mbcnt_hi_u32_b32 v16, -1, v5
	v_mov_b32_e32 v2, s5
	v_add_co_u32_e64 v1, s[4:5], s4, v1
	v_subrev_u32_e32 v13, s33, v6
	v_add_u32_e32 v14, 0x1f0, v8
	v_and_b32_e32 v8, 64, v16
	s_mov_b32 s43, s13
	v_cmp_neq_f32_e64 s[2:3], s42, 0
	v_addc_co_u32_e64 v2, s[4:5], 0, v2, s[4:5]
	v_lshlrev_b32_e32 v12, 3, v24
	v_add_u32_e32 v13, 1, v13
	v_mov_b32_e32 v15, 0xff7fffff
	s_mov_b64 s[36:37], 0
	v_add_u32_e32 v17, 64, v8
	v_xor_b32_e32 v18, 4, v16
	v_xor_b32_e32 v19, 2, v16
	v_mov_b32_e32 v8, 0xff7fffff
	v_mov_b32_e32 v20, v24
	s_branch .LBB5_13
.LBB5_11:                               ;   in Loop: Header=BB5_13 Depth=1
	s_or_b64 exec, exec, s[38:39]
.LBB5_12:                               ;   in Loop: Header=BB5_13 Depth=1
	s_or_b64 exec, exec, s[6:7]
	v_add_co_u32_e64 v1, s[4:5], 8, v1
	v_add_u32_e32 v20, 2, v20
	v_addc_co_u32_e64 v2, s[4:5], 0, v2, s[4:5]
	v_cmp_le_i32_e64 s[4:5], s16, v20
	v_add_u32_e32 v12, 16, v12
	s_or_b64 s[36:37], s[4:5], s[36:37]
	v_add_u32_e32 v14, 64, v14
	s_andn2_b64 exec, exec, s[36:37]
	s_cbranch_execz .LBB5_20
.LBB5_13:                               ; =>This Inner Loop Header: Depth=1
	v_mul_hi_u32 v21, v12, s40
	s_waitcnt lgkmcnt(0)
	v_mul_lo_u32 v22, v21, s21
	v_add_u32_e32 v26, 1, v21
	v_sub_u32_e32 v22, v12, v22
	v_cmp_le_u32_e64 s[4:5], s21, v22
	v_cndmask_b32_e64 v21, v21, v26, s[4:5]
	v_subrev_u32_e32 v26, s21, v22
	v_cndmask_b32_e64 v22, v22, v26, s[4:5]
	v_add_u32_e32 v26, 1, v21
	v_cmp_le_u32_e64 s[4:5], s21, v22
	v_cndmask_b32_e64 v21, v21, v26, s[4:5]
	v_xor_b32_e32 v21, s19, v21
	v_subrev_u32_e32 v21, s19, v21
	v_add_u32_e32 v22, s41, v21
	v_sub_u32_e32 v26, 0, v22
	v_max_i32_e32 v26, v22, v26
	v_mul_hi_u32 v27, v26, v11
	v_ashrrev_i32_e32 v22, 31, v22
	v_cmp_ge_i32_e64 s[6:7], s30, v21
	v_mul_lo_u32 v27, v27, s15
	v_sub_u32_e32 v26, v26, v27
	v_subrev_u32_e32 v27, s15, v26
	v_cmp_le_u32_e64 s[4:5], s15, v26
	v_cndmask_b32_e64 v26, v26, v27, s[4:5]
	v_subrev_u32_e32 v27, s15, v26
	v_cmp_le_u32_e64 s[4:5], s15, v26
	v_cndmask_b32_e64 v26, v26, v27, s[4:5]
	v_xor_b32_e32 v26, v26, v22
	v_sub_u32_e32 v22, v26, v22
	v_cmp_ne_u32_e64 s[4:5], 0, v22
	s_and_b64 s[4:5], s[4:5], s[6:7]
	s_and_saveexec_b64 s[6:7], s[4:5]
	s_xor_b64 s[4:5], exec, s[6:7]
	s_cbranch_execz .LBB5_17
; %bb.14:                               ;   in Loop: Header=BB5_13 Depth=1
	s_and_saveexec_b64 s[6:7], vcc
; %bb.15:                               ;   in Loop: Header=BB5_13 Depth=1
	ds_write_b32 v14, v15
; %bb.16:                               ;   in Loop: Header=BB5_13 Depth=1
	s_or_b64 exec, exec, s[6:7]
.LBB5_17:                               ;   in Loop: Header=BB5_13 Depth=1
	s_andn2_saveexec_b64 s[6:7], s[4:5]
	s_cbranch_execz .LBB5_12
; %bb.18:                               ;   in Loop: Header=BB5_13 Depth=1
	global_load_dword v21, v[1:2], off
	s_waitcnt vmcnt(0)
	v_mad_i64_i32 v[21:22], s[4:5], v21, s43, 0
	v_lshlrev_b64 v[21:22], 2, v[21:22]
	v_add_co_u32_e64 v21, s[4:5], v9, v21
	v_addc_co_u32_e64 v22, s[4:5], v10, v22, s[4:5]
	global_load_dword v38, v[21:22], off offset:256
	global_load_dword v39, v[21:22], off offset:512
	;; [unrolled: 1-line block ×7, first 2 shown]
	global_load_dword v45, v[21:22], off
	global_load_dword v46, v[21:22], off offset:2048
	global_load_dword v47, v[21:22], off offset:2304
	;; [unrolled: 1-line block ×7, first 2 shown]
	ds_read2_b32 v[21:22], v7 offset1:1
	ds_read2_b32 v[26:27], v7 offset0:2 offset1:3
	ds_read2_b32 v[28:29], v7 offset0:4 offset1:5
	;; [unrolled: 1-line block ×6, first 2 shown]
	ds_read_b32 v53, v7 offset:56
	v_cmp_lt_i32_e64 s[4:5], v18, v17
	v_cndmask_b32_e64 v54, v16, v18, s[4:5]
	v_cmp_lt_i32_e64 s[4:5], v19, v17
	s_waitcnt vmcnt(14) lgkmcnt(7)
	v_mul_f32_e32 v22, v22, v38
	s_waitcnt vmcnt(7)
	v_fmac_f32_e32 v22, v21, v45
	s_waitcnt lgkmcnt(6)
	v_fmac_f32_e32 v22, v26, v39
	v_fmac_f32_e32 v22, v27, v40
	s_waitcnt lgkmcnt(5)
	v_fmac_f32_e32 v22, v28, v41
	v_fmac_f32_e32 v22, v29, v42
	s_waitcnt lgkmcnt(4)
	v_fmac_f32_e32 v22, v30, v43
	v_fmac_f32_e32 v22, v31, v44
	s_waitcnt vmcnt(6) lgkmcnt(3)
	v_fmac_f32_e32 v22, v32, v46
	s_waitcnt vmcnt(5)
	v_fmac_f32_e32 v22, v33, v47
	s_waitcnt vmcnt(4) lgkmcnt(2)
	v_fmac_f32_e32 v22, v34, v48
	s_waitcnt vmcnt(3)
	;; [unrolled: 4-line block ×3, first 2 shown]
	v_fmac_f32_e32 v22, v37, v51
	v_lshlrev_b32_e32 v21, 2, v54
	s_waitcnt vmcnt(0) lgkmcnt(0)
	v_fmac_f32_e32 v22, v53, v52
	ds_bpermute_b32 v21, v21, v22
	v_cndmask_b32_e64 v26, v16, v19, s[4:5]
	v_lshlrev_b32_e32 v26, 2, v26
	s_waitcnt lgkmcnt(0)
	v_add_f32_e32 v21, v22, v21
	ds_bpermute_b32 v22, v26, v21
	v_xor_b32_e32 v26, 1, v16
	v_cmp_lt_i32_e64 s[4:5], v26, v17
	v_cndmask_b32_e64 v26, v16, v26, s[4:5]
	v_lshlrev_b32_e32 v26, 2, v26
	s_waitcnt lgkmcnt(0)
	v_add_f32_e32 v21, v21, v22
	ds_bpermute_b32 v22, v26, v21
	s_and_saveexec_b64 s[38:39], vcc
	s_cbranch_execz .LBB5_11
; %bb.19:                               ;   in Loop: Header=BB5_13 Depth=1
	v_add_u32_e32 v26, v13, v12
	v_cvt_f32_i32_e32 v26, v26
	s_waitcnt lgkmcnt(0)
	v_add_f32_e32 v21, v21, v22
	v_add_u32_e32 v27, v6, v12
	v_cmp_gt_i32_e64 s[4:5], s33, v27
	v_mul_f32_e32 v22, s42, v26
	v_cndmask_b32_e64 v22, 0, v22, s[2:3]
	v_fmac_f32_e32 v22, s31, v21
	v_cndmask_b32_e64 v21, 0, v22, s[4:5]
	ds_write_b32 v14, v21
	v_max_f32_e32 v21, v8, v8
	v_max_f32_e32 v21, v21, v22
	v_cndmask_b32_e64 v8, v8, v21, s[4:5]
	s_branch .LBB5_11
.LBB5_20:
	s_or_b64 exec, exec, s[36:37]
.LBB5_21:
	s_or_b64 exec, exec, s[34:35]
	v_mbcnt_hi_u32_b32 v2, -1, v5
	v_and_b32_e32 v11, 64, v2
	v_add_u32_e32 v5, 64, v11
	v_xor_b32_e32 v1, 32, v2
	v_cmp_lt_i32_e32 vcc, v1, v5
	v_cndmask_b32_e32 v1, v2, v1, vcc
	v_lshlrev_b32_e32 v7, 2, v1
	ds_bpermute_b32 v1, v7, v8
	v_max_f32_e32 v6, v8, v8
	v_xor_b32_e32 v8, 16, v2
	v_cmp_lt_i32_e32 vcc, v8, v5
	v_xor_b32_e32 v10, 8, v2
	s_waitcnt lgkmcnt(0)
	v_max_f32_e32 v1, v1, v1
	v_max_f32_e32 v1, v6, v1
	v_cndmask_b32_e32 v6, v2, v8, vcc
	v_lshlrev_b32_e32 v9, 2, v6
	ds_bpermute_b32 v6, v9, v1
	v_cmp_lt_i32_e32 vcc, v10, v5
	s_waitcnt lgkmcnt(0)
	v_max_f32_e32 v6, v6, v6
	v_max_f32_e32 v8, v1, v6
	v_cndmask_b32_e32 v1, v2, v10, vcc
	v_lshlrev_b32_e32 v10, 2, v1
	ds_bpermute_b32 v12, v10, v8
	v_and_b32_e32 v1, 63, v0
	v_cmp_eq_u32_e32 vcc, 0, v1
	v_lshlrev_b32_e32 v6, 2, v24
	s_and_saveexec_b64 s[2:3], vcc
	s_cbranch_execz .LBB5_23
; %bb.22:
	s_waitcnt lgkmcnt(0)
	v_max_f32_e32 v12, v12, v12
	v_max_f32_e32 v8, v8, v8
	;; [unrolled: 1-line block ×3, first 2 shown]
	ds_write_b32 v6, v8 offset:480
.LBB5_23:
	s_or_b64 exec, exec, s[2:3]
	v_cmp_gt_u32_e64 s[2:3], 2, v1
	s_waitcnt lgkmcnt(0)
	v_mov_b32_e32 v12, 0xff7fffff
	v_lshlrev_b32_e32 v8, 2, v1
	s_barrier
	s_and_saveexec_b64 s[4:5], s[2:3]
; %bb.24:
	ds_read_b32 v12, v8 offset:480
; %bb.25:
	s_or_b64 exec, exec, s[4:5]
	v_xor_b32_e32 v13, 1, v2
	v_cmp_lt_i32_e64 s[4:5], v13, v5
	v_cndmask_b32_e64 v13, v2, v13, s[4:5]
	v_lshlrev_b32_e32 v26, 2, v13
	s_waitcnt lgkmcnt(0)
	ds_bpermute_b32 v13, v26, v12
	v_max_f32_e32 v12, v12, v12
	v_lshlrev_b32_e32 v11, 2, v11
	s_lshl_b32 s4, s16, 3
	s_min_i32 s15, s4, s33
	s_waitcnt lgkmcnt(0)
	v_max_f32_e32 v13, v13, v13
	v_max_f32_e32 v12, v12, v13
	ds_bpermute_b32 v12, v11, v12
	v_cmp_gt_i32_e64 s[4:5], s15, v0
	v_mov_b32_e32 v11, 0
	s_and_saveexec_b64 s[30:31], s[4:5]
	s_cbranch_execz .LBB5_29
; %bb.26:
	v_mov_b32_e32 v11, 0x1f0
	v_lshl_add_u32 v13, v0, 2, v11
	v_mov_b32_e32 v11, 0
	s_mov_b64 s[34:35], 0
	v_mov_b32_e32 v14, v0
.LBB5_27:                               ; =>This Inner Loop Header: Depth=1
	ds_read_b32 v15, v13
	v_add_u32_e32 v14, 0x80, v14
	v_cmp_le_i32_e64 s[6:7], s15, v14
	s_or_b64 s[34:35], s[6:7], s[34:35]
	s_waitcnt lgkmcnt(0)
	v_sub_f32_e32 v15, v15, v12
	v_mul_f32_e32 v15, 0x3fb8aa3b, v15
	v_exp_f32_e32 v15, v15
	ds_write_b32 v13, v15
	v_add_f32_e32 v11, v11, v15
	v_add_u32_e32 v13, 0x200, v13
	s_andn2_b64 exec, exec, s[34:35]
	s_cbranch_execnz .LBB5_27
; %bb.28:
	s_or_b64 exec, exec, s[34:35]
.LBB5_29:
	s_or_b64 exec, exec, s[30:31]
	ds_bpermute_b32 v7, v7, v11
	s_waitcnt lgkmcnt(0)
	v_add_f32_e32 v7, v11, v7
	ds_bpermute_b32 v9, v9, v7
	s_waitcnt lgkmcnt(0)
	v_add_f32_e32 v7, v7, v9
	ds_bpermute_b32 v9, v10, v7
	v_xor_b32_e32 v10, 4, v2
	v_cmp_lt_i32_e64 s[6:7], v10, v5
	v_cndmask_b32_e64 v10, v2, v10, s[6:7]
	v_lshlrev_b32_e32 v10, 2, v10
	s_waitcnt lgkmcnt(0)
	v_add_f32_e32 v7, v7, v9
	ds_bpermute_b32 v9, v10, v7
	v_xor_b32_e32 v10, 2, v2
	v_cmp_lt_i32_e64 s[6:7], v10, v5
	v_cndmask_b32_e64 v5, v2, v10, s[6:7]
	v_lshlrev_b32_e32 v5, 2, v5
	s_waitcnt lgkmcnt(0)
	v_add_f32_e32 v7, v7, v9
	ds_bpermute_b32 v5, v5, v7
	s_waitcnt lgkmcnt(0)
	v_add_f32_e32 v5, v7, v5
	ds_bpermute_b32 v7, v26, v5
	s_waitcnt lgkmcnt(0)
	v_add_f32_e32 v5, v5, v7
	s_and_saveexec_b64 s[6:7], vcc
; %bb.30:
	ds_write_b32 v6, v5 offset:488
; %bb.31:
	s_or_b64 exec, exec, s[6:7]
	s_waitcnt lgkmcnt(0)
	s_barrier
	s_and_saveexec_b64 s[6:7], s[2:3]
; %bb.32:
	ds_read_b32 v5, v8 offset:488
; %bb.33:
	s_or_b64 exec, exec, s[6:7]
	s_waitcnt lgkmcnt(0)
	ds_bpermute_b32 v6, v26, v5
	v_lshlrev_b32_e32 v2, 2, v2
	v_and_b32_e32 v2, 0x100, v2
	s_waitcnt lgkmcnt(0)
	v_add_f32_e32 v5, v5, v6
	ds_bpermute_b32 v2, v2, v5
	s_and_saveexec_b64 s[2:3], s[4:5]
	s_cbranch_execz .LBB5_36
; %bb.34:
	s_waitcnt lgkmcnt(0)
	v_add_f32_e32 v5, 0x358637bd, v2
	v_div_scale_f32 v2, s[4:5], v5, v5, 1.0
	v_div_scale_f32 v6, vcc, 1.0, v5, 1.0
	s_mov_b64 s[4:5], 0
	v_rcp_f32_e32 v7, v2
	v_fma_f32 v8, -v2, v7, 1.0
	v_fmac_f32_e32 v7, v8, v7
	v_mul_f32_e32 v8, v6, v7
	v_fma_f32 v9, -v2, v8, v6
	v_fmac_f32_e32 v8, v9, v7
	v_fma_f32 v2, -v2, v8, v6
	v_div_fmas_f32 v6, v2, v7, v8
	v_mov_b32_e32 v2, 0x1f0
	v_lshl_add_u32 v2, v0, 2, v2
	v_div_fixup_f32 v5, v6, v5, 1.0
	v_mov_b32_e32 v6, v0
.LBB5_35:                               ; =>This Inner Loop Header: Depth=1
	ds_read_b32 v7, v2
	v_add_u32_e32 v6, 0x80, v6
	v_cmp_le_i32_e32 vcc, s15, v6
	s_or_b64 s[4:5], vcc, s[4:5]
	s_waitcnt lgkmcnt(0)
	v_mul_f32_e32 v7, v5, v7
	ds_write_b32 v2, v7
	v_add_u32_e32 v2, 0x200, v2
	s_andn2_b64 exec, exec, s[4:5]
	s_cbranch_execnz .LBB5_35
.LBB5_36:
	s_or_b64 exec, exec, s[2:3]
	v_lshrrev_b32_e32 v27, 1, v1
	s_waitcnt lgkmcnt(0)
	s_barrier
	s_and_saveexec_b64 s[2:3], s[0:1]
	s_xor_b64 s[0:1], exec, s[2:3]
; %bb.37:
	v_lshrrev_b32_e32 v27, 1, v1
                                        ; implicit-def: $vgpr25
                                        ; implicit-def: $vgpr24
                                        ; implicit-def: $vgpr3
                                        ; implicit-def: $vgpr4
; %bb.38:
	s_or_saveexec_b64 s[4:5], s[0:1]
	v_mov_b32_e32 v32, 0
	v_and_b32_e32 v28, 1, v0
	v_mov_b32_e32 v33, 0
	v_mov_b32_e32 v31, 0
	;; [unrolled: 1-line block ×3, first 2 shown]
	s_xor_b64 exec, exec, s[4:5]
	s_cbranch_execz .LBB5_54
; %bb.39:
	s_ashr_i32 s15, s14, 31
	s_sub_i32 s17, s12, s17
	s_lshl_b64 s[0:1], s[14:15], 2
	s_add_u32 s28, s28, s0
	s_addc_u32 s29, s29, s1
	s_abs_i32 s18, s18
	v_cvt_f32_u32_e32 v1, s18
	s_sub_i32 s1, 0, s18
	v_and_b32_e32 v30, 4, v3
	v_and_b32_e32 v3, 60, v4
	v_rcp_iflag_f32_e32 v1, v1
	v_or_b32_e32 v2, 0x60, v27
	s_movk_i32 s0, 0x78
	v_cmp_gt_u32_e32 vcc, s0, v2
	v_mul_f32_e32 v1, 0x4f7ffffe, v1
	v_cvt_u32_f32_e32 v1, v1
	s_add_i32 s31, s16, -1
	v_lshl_or_b32 v5, v27, 3, v30
	v_lshl_or_b32 v2, v2, 3, v30
	v_mul_lo_u32 v4, s1, v1
	s_lshl_b64 s[0:1], s[26:27], 2
	s_add_u32 s0, s24, s0
	s_addc_u32 s1, s25, s1
	v_mul_hi_u32 v4, v1, v4
	s_mov_b32 s30, s13
	v_mov_b32_e32 v29, 0
	s_mov_b64 s[6:7], 0
	v_add_u32_e32 v34, v1, v4
	v_mov_b32_e32 v1, s1
	v_add_co_u32_e64 v21, s[0:1], s0, v3
	v_addc_co_u32_e64 v22, s[0:1], 0, v1, s[0:1]
	v_lshlrev_b32_e32 v1, 4, v28
	v_lshl_or_b32 v1, v24, 5, v1
	v_add_u32_e32 v35, 0x1f0, v1
	v_lshlrev_b32_e32 v36, 2, v5
	v_lshlrev_b32_e32 v37, 2, v2
	v_mov_b32_e32 v31, 0
	v_mov_b32_e32 v33, 0
	;; [unrolled: 1-line block ×3, first 2 shown]
	s_branch .LBB5_43
.LBB5_40:                               ;   in Loop: Header=BB5_43 Depth=1
	s_or_b64 exec, exec, s[2:3]
	s_waitcnt vmcnt(0) lgkmcnt(0)
	v_mul_f32_e32 v17, v5, v17
	v_fmac_f32_e32 v17, v6, v18
	v_fmac_f32_e32 v17, v7, v19
	;; [unrolled: 1-line block ×3, first 2 shown]
	v_add_f32_e32 v29, v29, v17
.LBB5_41:                               ;   in Loop: Header=BB5_43 Depth=1
	s_or_b64 exec, exec, s[14:15]
	s_waitcnt vmcnt(0) lgkmcnt(0)
	v_mul_f32_e32 v13, v5, v13
	v_mul_f32_e32 v9, v5, v9
	;; [unrolled: 1-line block ×3, first 2 shown]
	v_fmac_f32_e32 v13, v6, v14
	v_fmac_f32_e32 v9, v6, v10
	v_fmac_f32_e32 v1, v6, v2
	v_fmac_f32_e32 v13, v7, v15
	v_fmac_f32_e32 v9, v7, v11
	v_fmac_f32_e32 v1, v7, v3
	v_fmac_f32_e32 v13, v8, v16
	v_fmac_f32_e32 v9, v8, v12
	v_fmac_f32_e32 v1, v8, v4
	v_add_f32_e32 v31, v31, v13
	v_add_f32_e32 v33, v33, v9
	;; [unrolled: 1-line block ×3, first 2 shown]
.LBB5_42:                               ;   in Loop: Header=BB5_43 Depth=1
	s_or_b64 exec, exec, s[12:13]
	v_add_co_u32_e64 v21, s[0:1], 8, v21
	v_add_u32_e32 v24, 2, v24
	v_addc_co_u32_e64 v22, s[0:1], 0, v22, s[0:1]
	v_cmp_le_i32_e64 s[0:1], s16, v24
	v_add_u32_e32 v25, 16, v25
	s_or_b64 s[6:7], s[0:1], s[6:7]
	v_add_u32_e32 v35, 64, v35
	s_andn2_b64 exec, exec, s[6:7]
	s_cbranch_execz .LBB5_53
.LBB5_43:                               ; =>This Inner Loop Header: Depth=1
	v_mul_hi_u32 v1, v25, s40
	v_mul_lo_u32 v2, v1, s21
	v_add_u32_e32 v3, 1, v1
	v_sub_u32_e32 v2, v25, v2
	v_cmp_le_u32_e64 s[0:1], s21, v2
	v_cndmask_b32_e64 v1, v1, v3, s[0:1]
	v_subrev_u32_e32 v3, s21, v2
	v_cndmask_b32_e64 v2, v2, v3, s[0:1]
	v_add_u32_e32 v3, 1, v1
	v_cmp_le_u32_e64 s[0:1], s21, v2
	v_cndmask_b32_e64 v1, v1, v3, s[0:1]
	v_xor_b32_e32 v1, s19, v1
	v_subrev_u32_e32 v1, s19, v1
	v_add_u32_e32 v2, s41, v1
	v_sub_u32_e32 v3, 0, v2
	v_max_i32_e32 v3, v2, v3
	v_mul_hi_u32 v4, v3, v34
	v_ashrrev_i32_e32 v2, 31, v2
	v_cmp_lt_i32_e64 s[2:3], s17, v1
	v_mul_lo_u32 v4, v4, s18
	v_sub_u32_e32 v3, v3, v4
	v_subrev_u32_e32 v4, s18, v3
	v_cmp_le_u32_e64 s[0:1], s18, v3
	v_cndmask_b32_e64 v3, v3, v4, s[0:1]
	v_subrev_u32_e32 v4, s18, v3
	v_cmp_le_u32_e64 s[0:1], s18, v3
	v_cndmask_b32_e64 v3, v3, v4, s[0:1]
	v_xor_b32_e32 v3, v3, v2
	v_sub_u32_e32 v2, v3, v2
	v_cmp_eq_u32_e64 s[0:1], 0, v2
	s_or_b64 s[0:1], s[0:1], s[2:3]
	s_and_saveexec_b64 s[12:13], s[0:1]
	s_cbranch_execz .LBB5_42
; %bb.44:                               ;   in Loop: Header=BB5_43 Depth=1
	global_load_dword v1, v[21:22], off
	v_mov_b32_e32 v3, s29
	ds_read_b128 v[5:8], v35
	v_add_u32_e32 v38, v30, v25
	s_waitcnt vmcnt(0)
	v_mad_i64_i32 v[1:2], s[0:1], v1, s30, 0
	v_lshlrev_b64 v[1:2], 2, v[1:2]
	v_add_co_u32_e64 v17, s[0:1], s28, v1
	v_addc_co_u32_e64 v18, s[0:1], v3, v2, s[0:1]
	v_add_co_u32_e64 v13, s[0:1], v17, v36
	v_addc_co_u32_e64 v14, s[0:1], 0, v18, s[0:1]
	global_load_dwordx4 v[1:4], v[13:14], off
	v_cmp_eq_u32_e64 s[0:1], s31, v24
	s_and_saveexec_b64 s[14:15], s[0:1]
	s_cbranch_execnz .LBB5_48
; %bb.45:                               ;   in Loop: Header=BB5_43 Depth=1
	s_or_b64 exec, exec, s[14:15]
	global_load_dwordx4 v[9:12], v[13:14], off offset:1024
	s_and_saveexec_b64 s[14:15], s[0:1]
	s_cbranch_execnz .LBB5_49
.LBB5_46:                               ;   in Loop: Header=BB5_43 Depth=1
	s_or_b64 exec, exec, s[14:15]
	global_load_dwordx4 v[13:16], v[13:14], off offset:2048
	s_and_saveexec_b64 s[14:15], s[0:1]
	s_cbranch_execnz .LBB5_50
.LBB5_47:                               ;   in Loop: Header=BB5_43 Depth=1
	s_or_b64 exec, exec, s[14:15]
	s_and_saveexec_b64 s[14:15], vcc
	s_cbranch_execz .LBB5_41
	s_branch .LBB5_51
.LBB5_48:                               ;   in Loop: Header=BB5_43 Depth=1
	v_cmp_gt_i32_e64 s[2:3], s33, v38
	v_add_u32_e32 v9, 1, v38
	s_waitcnt vmcnt(0)
	v_cndmask_b32_e64 v1, 0, v1, s[2:3]
	v_cmp_gt_i32_e64 s[2:3], s33, v9
	v_add_u32_e32 v9, 2, v38
	v_cndmask_b32_e64 v2, 0, v2, s[2:3]
	v_cmp_gt_i32_e64 s[2:3], s33, v9
	v_add_u32_e32 v9, 3, v38
	v_cndmask_b32_e64 v3, 0, v3, s[2:3]
	v_cmp_gt_i32_e64 s[2:3], s33, v9
	v_cndmask_b32_e64 v4, 0, v4, s[2:3]
	s_or_b64 exec, exec, s[14:15]
	global_load_dwordx4 v[9:12], v[13:14], off offset:1024
	s_and_saveexec_b64 s[14:15], s[0:1]
	s_cbranch_execz .LBB5_46
.LBB5_49:                               ;   in Loop: Header=BB5_43 Depth=1
	v_cmp_gt_i32_e64 s[2:3], s33, v38
	v_add_u32_e32 v15, 1, v38
	s_waitcnt vmcnt(0)
	v_cndmask_b32_e64 v9, 0, v9, s[2:3]
	v_cmp_gt_i32_e64 s[2:3], s33, v15
	v_add_u32_e32 v15, 2, v38
	v_cndmask_b32_e64 v10, 0, v10, s[2:3]
	v_cmp_gt_i32_e64 s[2:3], s33, v15
	v_add_u32_e32 v15, 3, v38
	v_cndmask_b32_e64 v11, 0, v11, s[2:3]
	v_cmp_gt_i32_e64 s[2:3], s33, v15
	v_cndmask_b32_e64 v12, 0, v12, s[2:3]
	s_or_b64 exec, exec, s[14:15]
	global_load_dwordx4 v[13:16], v[13:14], off offset:2048
	s_and_saveexec_b64 s[14:15], s[0:1]
	s_cbranch_execz .LBB5_47
.LBB5_50:                               ;   in Loop: Header=BB5_43 Depth=1
	v_cmp_gt_i32_e64 s[2:3], s33, v38
	v_add_u32_e32 v19, 1, v38
	s_waitcnt vmcnt(0)
	v_cndmask_b32_e64 v13, 0, v13, s[2:3]
	v_cmp_gt_i32_e64 s[2:3], s33, v19
	v_add_u32_e32 v19, 2, v38
	v_cndmask_b32_e64 v14, 0, v14, s[2:3]
	v_cmp_gt_i32_e64 s[2:3], s33, v19
	v_add_u32_e32 v19, 3, v38
	v_cndmask_b32_e64 v15, 0, v15, s[2:3]
	v_cmp_gt_i32_e64 s[2:3], s33, v19
	v_cndmask_b32_e64 v16, 0, v16, s[2:3]
	s_or_b64 exec, exec, s[14:15]
	s_and_saveexec_b64 s[14:15], vcc
	s_cbranch_execz .LBB5_41
.LBB5_51:                               ;   in Loop: Header=BB5_43 Depth=1
	v_add_co_u32_e64 v17, s[2:3], v17, v37
	v_addc_co_u32_e64 v18, s[2:3], 0, v18, s[2:3]
	global_load_dwordx4 v[17:20], v[17:18], off
	s_and_saveexec_b64 s[2:3], s[0:1]
	s_cbranch_execz .LBB5_40
; %bb.52:                               ;   in Loop: Header=BB5_43 Depth=1
	v_cmp_gt_i32_e64 s[0:1], s33, v38
	v_add_u32_e32 v39, 1, v38
	s_waitcnt vmcnt(0)
	v_cndmask_b32_e64 v17, 0, v17, s[0:1]
	v_cmp_gt_i32_e64 s[0:1], s33, v39
	v_add_u32_e32 v39, 2, v38
	v_cndmask_b32_e64 v18, 0, v18, s[0:1]
	v_cmp_gt_i32_e64 s[0:1], s33, v39
	v_add_u32_e32 v38, 3, v38
	v_cndmask_b32_e64 v19, 0, v19, s[0:1]
	v_cmp_gt_i32_e64 s[0:1], s33, v38
	v_cndmask_b32_e64 v20, 0, v20, s[0:1]
	s_branch .LBB5_40
.LBB5_53:
	s_or_b64 exec, exec, s[6:7]
.LBB5_54:
	s_or_b64 exec, exec, s[4:5]
	ds_bpermute_b32 v2, v26, v33
	ds_bpermute_b32 v5, v26, v31
	;; [unrolled: 1-line block ×4, first 2 shown]
	v_cmp_eq_u32_e32 vcc, 0, v28
	s_waitcnt lgkmcnt(3)
	v_add_f32_e32 v3, v33, v2
	s_waitcnt lgkmcnt(2)
	v_add_f32_e32 v2, v31, v5
	v_and_b32_e32 v5, 0x3c0, v0
	s_waitcnt lgkmcnt(1)
	v_add_f32_e32 v4, v32, v1
	s_waitcnt lgkmcnt(0)
	v_add_f32_e32 v1, v29, v6
	v_cmp_eq_u32_e64 s[0:1], 64, v5
	s_barrier
	s_and_saveexec_b64 s[2:3], s[0:1]
	s_cbranch_execz .LBB5_59
; %bb.55:
	s_and_saveexec_b64 s[0:1], vcc
	s_cbranch_execz .LBB5_57
; %bb.56:
	v_mov_b32_e32 v5, 0x1f0
	v_lshl_add_u32 v5, v27, 2, v5
	ds_write2_b32 v5, v4, v3 offset1:32
	ds_write_b32 v5, v2 offset:256
.LBB5_57:
	s_or_b64 exec, exec, s[0:1]
	v_or_b32_e32 v5, 0x60, v27
	s_movk_i32 s0, 0x78
	v_cmp_gt_u32_e64 s[0:1], s0, v5
	s_and_b64 s[0:1], vcc, s[0:1]
	s_and_b64 exec, exec, s[0:1]
; %bb.58:
	v_mov_b32_e32 v5, 0x1f0
	v_lshl_add_u32 v5, v27, 2, v5
	ds_write_b32 v5, v1 offset:384
.LBB5_59:
	s_or_b64 exec, exec, s[2:3]
	v_cmp_gt_u32_e64 s[0:1], 64, v0
	s_waitcnt lgkmcnt(0)
	s_barrier
	s_and_saveexec_b64 s[4:5], s[0:1]
	s_cbranch_execz .LBB5_69
; %bb.60:
	s_and_saveexec_b64 s[2:3], vcc
	s_cbranch_execz .LBB5_62
; %bb.61:
	v_mov_b32_e32 v0, 0x1f0
	v_lshl_add_u32 v0, v23, 2, v0
	ds_read_b32 v0, v0
	s_waitcnt lgkmcnt(0)
	v_add_f32_e32 v4, v4, v0
.LBB5_62:
	s_or_b64 exec, exec, s[2:3]
	v_or_b32_e32 v0, 32, v23
	s_movk_i32 s6, 0x78
	v_cmp_gt_u32_e64 s[2:3], s6, v0
	s_and_b64 s[12:13], vcc, s[2:3]
	s_and_saveexec_b64 s[2:3], s[12:13]
	s_cbranch_execz .LBB5_64
; %bb.63:
	v_mov_b32_e32 v0, 0x1f0
	v_lshl_add_u32 v0, v23, 2, v0
	ds_read_b32 v0, v0 offset:128
	s_waitcnt lgkmcnt(0)
	v_add_f32_e32 v3, v3, v0
.LBB5_64:
	s_or_b64 exec, exec, s[2:3]
	v_or_b32_e32 v0, 64, v23
	v_cmp_gt_u32_e64 s[2:3], s6, v0
	s_and_b64 s[6:7], vcc, s[2:3]
	s_and_saveexec_b64 s[2:3], s[6:7]
	s_cbranch_execz .LBB5_66
; %bb.65:
	v_mov_b32_e32 v0, 0x1f0
	v_lshl_add_u32 v0, v23, 2, v0
	ds_read_b32 v0, v0 offset:256
	s_waitcnt lgkmcnt(0)
	v_add_f32_e32 v2, v2, v0
.LBB5_66:
	s_or_b64 exec, exec, s[2:3]
	v_or_b32_e32 v0, 0x60, v23
	s_movk_i32 s2, 0x78
	v_cmp_gt_u32_e64 s[2:3], s2, v0
	s_and_b64 s[6:7], vcc, s[2:3]
	s_and_saveexec_b64 s[2:3], s[6:7]
	s_cbranch_execz .LBB5_68
; %bb.67:
	v_mov_b32_e32 v0, 0x1f0
	v_lshl_add_u32 v0, v23, 2, v0
	ds_read_b32 v0, v0 offset:384
	s_waitcnt lgkmcnt(0)
	v_add_f32_e32 v1, v1, v0
.LBB5_68:
	s_or_b64 exec, exec, s[2:3]
.LBB5_69:
	s_or_b64 exec, exec, s[4:5]
	s_barrier
	s_and_saveexec_b64 s[2:3], s[0:1]
	s_cbranch_execz .LBB5_78
; %bb.70:
	s_mul_i32 s0, s10, s11
	s_mul_i32 s0, s0, s9
	s_mulk_i32 s0, 0x78
	s_ashr_i32 s1, s0, 31
	s_lshl_b64 s[0:1], s[0:1], 2
	s_add_u32 s2, s22, s0
	s_mul_i32 s0, s11, s20
	s_addc_u32 s3, s23, s1
	s_ashr_i32 s1, s0, 31
	s_lshl_b64 s[0:1], s[0:1], 2
	s_add_u32 s2, s2, s0
	s_mul_i32 s0, s8, 0x78
	s_addc_u32 s3, s3, s1
	s_ashr_i32 s1, s0, 31
	s_lshl_b64 s[0:1], s[0:1], 2
	s_add_u32 s2, s2, s0
	s_movk_i32 s4, 0x78
	s_addc_u32 s3, s3, s1
	v_lshlrev_b32_e32 v0, 2, v23
	s_and_saveexec_b64 s[0:1], vcc
	s_cbranch_execz .LBB5_72
; %bb.71:
	global_store_dword v0, v4, s[2:3]
.LBB5_72:
	s_or_b64 exec, exec, s[0:1]
	v_or_b32_e32 v4, 32, v23
	v_cmp_gt_u32_e64 s[0:1], s4, v4
	s_and_b64 s[4:5], vcc, s[0:1]
	s_and_saveexec_b64 s[0:1], s[4:5]
	s_cbranch_execz .LBB5_74
; %bb.73:
	global_store_dword v0, v3, s[2:3] offset:128
.LBB5_74:
	s_or_b64 exec, exec, s[0:1]
	v_or_b32_e32 v3, 64, v23
	s_movk_i32 s4, 0x78
	v_cmp_gt_u32_e64 s[0:1], s4, v3
	s_and_b64 s[6:7], vcc, s[0:1]
	s_and_saveexec_b64 s[0:1], s[6:7]
	s_cbranch_execz .LBB5_76
; %bb.75:
	global_store_dword v0, v2, s[2:3] offset:256
.LBB5_76:
	s_or_b64 exec, exec, s[0:1]
	v_or_b32_e32 v2, 0x60, v23
	v_cmp_gt_u32_e64 s[0:1], s4, v2
	s_and_b64 s[0:1], vcc, s[0:1]
	s_and_b64 exec, exec, s[0:1]
	s_cbranch_execz .LBB5_78
; %bb.77:
	global_store_dword v0, v1, s[2:3] offset:384
.LBB5_78:
	s_endpgm
	.section	.rodata,"a",@progbits
	.p2align	6, 0x0
	.amdhsa_kernel _ZN4vllm25paged_attention_v1_kernelIffLi120ELi8ELi128ELNS_18Fp8KVCacheDataTypeE0ELb1EEEvPT_PKS2_PKT0_S8_ifPKiSA_iPKfiiiSC_SC_iiiii
		.amdhsa_group_segment_fixed_size 496
		.amdhsa_private_segment_fixed_size 0
		.amdhsa_kernarg_size 384
		.amdhsa_user_sgpr_count 6
		.amdhsa_user_sgpr_private_segment_buffer 1
		.amdhsa_user_sgpr_dispatch_ptr 0
		.amdhsa_user_sgpr_queue_ptr 0
		.amdhsa_user_sgpr_kernarg_segment_ptr 1
		.amdhsa_user_sgpr_dispatch_id 0
		.amdhsa_user_sgpr_flat_scratch_init 0
		.amdhsa_user_sgpr_private_segment_size 0
		.amdhsa_uses_dynamic_stack 0
		.amdhsa_system_sgpr_private_segment_wavefront_offset 0
		.amdhsa_system_sgpr_workgroup_id_x 1
		.amdhsa_system_sgpr_workgroup_id_y 1
		.amdhsa_system_sgpr_workgroup_id_z 1
		.amdhsa_system_sgpr_workgroup_info 0
		.amdhsa_system_vgpr_workitem_id 0
		.amdhsa_next_free_vgpr 55
		.amdhsa_next_free_sgpr 44
		.amdhsa_reserve_vcc 1
		.amdhsa_reserve_flat_scratch 0
		.amdhsa_float_round_mode_32 0
		.amdhsa_float_round_mode_16_64 0
		.amdhsa_float_denorm_mode_32 3
		.amdhsa_float_denorm_mode_16_64 3
		.amdhsa_dx10_clamp 1
		.amdhsa_ieee_mode 1
		.amdhsa_fp16_overflow 0
		.amdhsa_exception_fp_ieee_invalid_op 0
		.amdhsa_exception_fp_denorm_src 0
		.amdhsa_exception_fp_ieee_div_zero 0
		.amdhsa_exception_fp_ieee_overflow 0
		.amdhsa_exception_fp_ieee_underflow 0
		.amdhsa_exception_fp_ieee_inexact 0
		.amdhsa_exception_int_div_zero 0
	.end_amdhsa_kernel
	.section	.text._ZN4vllm25paged_attention_v1_kernelIffLi120ELi8ELi128ELNS_18Fp8KVCacheDataTypeE0ELb1EEEvPT_PKS2_PKT0_S8_ifPKiSA_iPKfiiiSC_SC_iiiii,"axG",@progbits,_ZN4vllm25paged_attention_v1_kernelIffLi120ELi8ELi128ELNS_18Fp8KVCacheDataTypeE0ELb1EEEvPT_PKS2_PKT0_S8_ifPKiSA_iPKfiiiSC_SC_iiiii,comdat
.Lfunc_end5:
	.size	_ZN4vllm25paged_attention_v1_kernelIffLi120ELi8ELi128ELNS_18Fp8KVCacheDataTypeE0ELb1EEEvPT_PKS2_PKT0_S8_ifPKiSA_iPKfiiiSC_SC_iiiii, .Lfunc_end5-_ZN4vllm25paged_attention_v1_kernelIffLi120ELi8ELi128ELNS_18Fp8KVCacheDataTypeE0ELb1EEEvPT_PKS2_PKT0_S8_ifPKiSA_iPKfiiiSC_SC_iiiii
                                        ; -- End function
	.set _ZN4vllm25paged_attention_v1_kernelIffLi120ELi8ELi128ELNS_18Fp8KVCacheDataTypeE0ELb1EEEvPT_PKS2_PKT0_S8_ifPKiSA_iPKfiiiSC_SC_iiiii.num_vgpr, 55
	.set _ZN4vllm25paged_attention_v1_kernelIffLi120ELi8ELi128ELNS_18Fp8KVCacheDataTypeE0ELb1EEEvPT_PKS2_PKT0_S8_ifPKiSA_iPKfiiiSC_SC_iiiii.num_agpr, 0
	.set _ZN4vllm25paged_attention_v1_kernelIffLi120ELi8ELi128ELNS_18Fp8KVCacheDataTypeE0ELb1EEEvPT_PKS2_PKT0_S8_ifPKiSA_iPKfiiiSC_SC_iiiii.numbered_sgpr, 44
	.set _ZN4vllm25paged_attention_v1_kernelIffLi120ELi8ELi128ELNS_18Fp8KVCacheDataTypeE0ELb1EEEvPT_PKS2_PKT0_S8_ifPKiSA_iPKfiiiSC_SC_iiiii.num_named_barrier, 0
	.set _ZN4vllm25paged_attention_v1_kernelIffLi120ELi8ELi128ELNS_18Fp8KVCacheDataTypeE0ELb1EEEvPT_PKS2_PKT0_S8_ifPKiSA_iPKfiiiSC_SC_iiiii.private_seg_size, 0
	.set _ZN4vllm25paged_attention_v1_kernelIffLi120ELi8ELi128ELNS_18Fp8KVCacheDataTypeE0ELb1EEEvPT_PKS2_PKT0_S8_ifPKiSA_iPKfiiiSC_SC_iiiii.uses_vcc, 1
	.set _ZN4vllm25paged_attention_v1_kernelIffLi120ELi8ELi128ELNS_18Fp8KVCacheDataTypeE0ELb1EEEvPT_PKS2_PKT0_S8_ifPKiSA_iPKfiiiSC_SC_iiiii.uses_flat_scratch, 0
	.set _ZN4vllm25paged_attention_v1_kernelIffLi120ELi8ELi128ELNS_18Fp8KVCacheDataTypeE0ELb1EEEvPT_PKS2_PKT0_S8_ifPKiSA_iPKfiiiSC_SC_iiiii.has_dyn_sized_stack, 0
	.set _ZN4vllm25paged_attention_v1_kernelIffLi120ELi8ELi128ELNS_18Fp8KVCacheDataTypeE0ELb1EEEvPT_PKS2_PKT0_S8_ifPKiSA_iPKfiiiSC_SC_iiiii.has_recursion, 0
	.set _ZN4vllm25paged_attention_v1_kernelIffLi120ELi8ELi128ELNS_18Fp8KVCacheDataTypeE0ELb1EEEvPT_PKS2_PKT0_S8_ifPKiSA_iPKfiiiSC_SC_iiiii.has_indirect_call, 0
	.section	.AMDGPU.csdata,"",@progbits
; Kernel info:
; codeLenInByte = 4568
; TotalNumSgprs: 48
; NumVgprs: 55
; ScratchSize: 0
; MemoryBound: 0
; FloatMode: 240
; IeeeMode: 1
; LDSByteSize: 496 bytes/workgroup (compile time only)
; SGPRBlocks: 5
; VGPRBlocks: 13
; NumSGPRsForWavesPerEU: 48
; NumVGPRsForWavesPerEU: 55
; Occupancy: 4
; WaveLimiterHint : 1
; COMPUTE_PGM_RSRC2:SCRATCH_EN: 0
; COMPUTE_PGM_RSRC2:USER_SGPR: 6
; COMPUTE_PGM_RSRC2:TRAP_HANDLER: 0
; COMPUTE_PGM_RSRC2:TGID_X_EN: 1
; COMPUTE_PGM_RSRC2:TGID_Y_EN: 1
; COMPUTE_PGM_RSRC2:TGID_Z_EN: 1
; COMPUTE_PGM_RSRC2:TIDIG_COMP_CNT: 0
	.section	.text._ZN4vllm25paged_attention_v1_kernelIffLi128ELi8ELi128ELNS_18Fp8KVCacheDataTypeE0ELb1EEEvPT_PKS2_PKT0_S8_ifPKiSA_iPKfiiiSC_SC_iiiii,"axG",@progbits,_ZN4vllm25paged_attention_v1_kernelIffLi128ELi8ELi128ELNS_18Fp8KVCacheDataTypeE0ELb1EEEvPT_PKS2_PKT0_S8_ifPKiSA_iPKfiiiSC_SC_iiiii,comdat
	.protected	_ZN4vllm25paged_attention_v1_kernelIffLi128ELi8ELi128ELNS_18Fp8KVCacheDataTypeE0ELb1EEEvPT_PKS2_PKT0_S8_ifPKiSA_iPKfiiiSC_SC_iiiii ; -- Begin function _ZN4vllm25paged_attention_v1_kernelIffLi128ELi8ELi128ELNS_18Fp8KVCacheDataTypeE0ELb1EEEvPT_PKS2_PKT0_S8_ifPKiSA_iPKfiiiSC_SC_iiiii
	.globl	_ZN4vllm25paged_attention_v1_kernelIffLi128ELi8ELi128ELNS_18Fp8KVCacheDataTypeE0ELb1EEEvPT_PKS2_PKT0_S8_ifPKiSA_iPKfiiiSC_SC_iiiii
	.p2align	8
	.type	_ZN4vllm25paged_attention_v1_kernelIffLi128ELi8ELi128ELNS_18Fp8KVCacheDataTypeE0ELb1EEEvPT_PKS2_PKT0_S8_ifPKiSA_iPKfiiiSC_SC_iiiii,@function
_ZN4vllm25paged_attention_v1_kernelIffLi128ELi8ELi128ELNS_18Fp8KVCacheDataTypeE0ELb1EEEvPT_PKS2_PKT0_S8_ifPKiSA_iPKfiiiSC_SC_iiiii: ; @_ZN4vllm25paged_attention_v1_kernelIffLi128ELi8ELi128ELNS_18Fp8KVCacheDataTypeE0ELb1EEEvPT_PKS2_PKT0_S8_ifPKiSA_iPKfiiiSC_SC_iiiii
; %bb.0:
	s_load_dword s9, s[4:5], 0x80
	s_load_dwordx2 s[0:1], s[4:5], 0x30
	s_load_dwordx2 s[30:31], s[4:5], 0x20
	s_mov_b32 s10, s7
	s_ashr_i32 s11, s7, 31
	s_lshl_b64 s[2:3], s[10:11], 2
	s_waitcnt lgkmcnt(0)
	s_add_u32 s0, s0, s2
	s_addc_u32 s1, s1, s3
	s_abs_i32 s2, s30
	v_cvt_f32_u32_e32 v1, s2
	s_sub_i32 s11, 0, s2
	s_abs_i32 s7, s9
	s_xor_b32 s3, s9, s30
	v_rcp_iflag_f32_e32 v1, v1
	s_ashr_i32 s3, s3, 31
	s_mov_b32 s42, 0
	v_mul_f32_e32 v1, 0x4f7ffffe, v1
	v_cvt_u32_f32_e32 v1, v1
	v_readfirstlane_b32 s12, v1
	s_mul_i32 s11, s11, s12
	s_mul_hi_u32 s11, s12, s11
	s_add_i32 s12, s12, s11
	s_mul_hi_u32 s11, s7, s12
	s_mul_i32 s12, s11, s2
	s_sub_i32 s7, s7, s12
	s_add_i32 s12, s11, 1
	s_sub_i32 s13, s7, s2
	s_cmp_ge_u32 s7, s2
	s_cselect_b32 s11, s12, s11
	s_cselect_b32 s7, s13, s7
	s_add_i32 s12, s11, 1
	s_cmp_ge_u32 s7, s2
	s_cselect_b32 s2, s12, s11
	s_xor_b32 s2, s2, s3
	s_sub_i32 s12, s2, s3
	s_abs_i32 s11, s12
	v_cvt_f32_u32_e32 v1, s11
	s_load_dwordx2 s[2:3], s[4:5], 0x40
	s_sub_i32 s7, 0, s11
	s_abs_i32 s22, s6
	v_rcp_iflag_f32_e32 v1, v1
	v_mul_f32_e32 v1, 0x4f7ffffe, v1
	v_cvt_u32_f32_e32 v1, v1
	v_readfirstlane_b32 s13, v1
	s_mul_i32 s7, s7, s13
	s_mul_hi_u32 s7, s13, s7
	s_add_i32 s13, s13, s7
	s_waitcnt lgkmcnt(0)
	s_cmp_eq_u64 s[2:3], 0
	s_mul_hi_u32 s23, s22, s13
	s_cbranch_scc1 .LBB6_2
; %bb.1:
	s_ashr_i32 s7, s6, 31
	s_lshl_b64 s[14:15], s[6:7], 2
	s_add_u32 s2, s2, s14
	s_addc_u32 s3, s3, s15
	s_load_dword s42, s[2:3], 0x0
.LBB6_2:
	s_load_dword s33, s[0:1], 0x0
	s_ashr_i32 s7, s12, 31
	s_load_dwordx4 s[12:15], s[4:5], 0x48
	s_movk_i32 s0, 0x80
	s_ashr_i32 s2, s6, 31
	v_and_b32_e32 v1, 7, v0
	s_lshl_b32 s20, s6, 7
	v_cmp_gt_u32_e32 vcc, s0, v0
	v_lshlrev_b32_e32 v3, 2, v0
	v_lshrrev_b32_e32 v23, 1, v0
	s_and_saveexec_b64 s[0:1], vcc
	s_cbranch_execz .LBB6_4
; %bb.3:
	s_load_dwordx2 s[16:17], s[4:5], 0x8
	s_waitcnt lgkmcnt(0)
	s_mul_i32 s18, s12, s10
	s_ashr_i32 s19, s18, 31
	s_lshl_b64 s[18:19], s[18:19], 2
	v_and_b32_e32 v4, 0x1fc, v23
	s_add_u32 s3, s16, s18
	s_addc_u32 s12, s17, s19
	s_ashr_i32 s21, s20, 31
	s_lshl_b64 s[16:17], s[20:21], 2
	s_add_u32 s16, s3, s16
	s_addc_u32 s17, s12, s17
	global_load_dword v2, v3, s[16:17]
	v_lshl_add_u32 v4, v1, 6, v4
	s_waitcnt vmcnt(0)
	ds_write_b32 v4, v2
.LBB6_4:
	s_or_b64 exec, exec, s[0:1]
	s_mul_i32 s1, s23, s11
	s_sub_i32 s1, s22, s1
	s_xor_b32 s0, s2, s7
	s_add_i32 s2, s23, 1
	s_sub_i32 s7, s1, s11
	s_load_dwordx4 s[16:19], s[4:5], 0x68
	s_load_dword s3, s[4:5], 0x78
	s_cmp_ge_u32 s1, s11
	s_cselect_b32 s2, s2, s23
	s_cselect_b32 s1, s7, s1
	s_add_i32 s7, s2, 1
	s_cmp_ge_u32 s1, s11
	s_cselect_b32 s1, s7, s2
	s_waitcnt lgkmcnt(0)
	s_abs_i32 s21, s19
	v_cvt_f32_u32_e32 v2, s21
	s_xor_b32 s1, s1, s0
	s_sub_i32 s2, s1, s0
	s_sub_i32 s0, 0, s21
	v_rcp_iflag_f32_e32 v2, v2
	s_add_i32 s11, s33, -1
	s_abs_i32 s7, s11
	v_mul_f32_e32 v2, 0x4f7ffffe, v2
	v_cvt_u32_f32_e32 v2, v2
	s_barrier
	v_readfirstlane_b32 s40, v2
	s_mul_i32 s0, s0, s40
	s_mul_hi_u32 s0, s40, s0
	s_add_i32 s40, s40, s0
	s_cmp_lt_i32 s3, 0
	s_mul_hi_u32 s12, s7, s40
	s_cbranch_scc0 .LBB6_6
; %bb.5:
	s_mul_i32 s0, s16, s30
	s_add_i32 s0, s2, s0
	s_mul_i32 s0, s0, s3
	s_sub_i32 s41, 1, s0
	s_mov_b64 s[0:1], 0
	s_branch .LBB6_7
.LBB6_6:
	s_mov_b64 s[0:1], -1
                                        ; implicit-def: $sgpr41
.LBB6_7:
	s_load_dwordx2 s[24:25], s[4:5], 0x28
	s_ashr_i32 s15, s11, 31
	s_andn2_b64 vcc, exec, s[0:1]
	s_ashr_i32 s19, s19, 31
	s_cbranch_vccnz .LBB6_9
; %bb.8:
	s_mul_i32 s0, s9, s16
	s_add_i32 s0, s0, s6
	s_mul_i32 s0, s0, s3
	s_add_i32 s41, s0, 1
.LBB6_9:
	s_load_dword s0, s[4:5], 0x38
	s_load_dwordx2 s[22:23], s[4:5], 0x0
	s_load_dwordx2 s[28:29], s[4:5], 0x18
	s_load_dword s11, s[4:5], 0x88
	s_xor_b32 s1, s15, s19
	s_waitcnt lgkmcnt(0)
	s_mul_i32 s26, s0, s10
	s_mul_i32 s0, s12, s21
	s_sub_i32 s0, s7, s0
	s_ashr_i32 s27, s26, 31
	s_add_i32 s3, s12, 1
	s_sub_i32 s6, s0, s21
	s_cmp_ge_u32 s0, s21
	s_cselect_b32 s3, s3, s12
	s_cselect_b32 s0, s6, s0
	s_add_i32 s6, s3, 1
	s_cmp_ge_u32 s0, s21
	s_cselect_b32 s0, s6, s3
	s_xor_b32 s0, s0, s1
	s_sub_i32 s12, s0, s1
	s_add_i32 s0, s33, 7
	s_ashr_i32 s1, s0, 31
	s_lshr_b32 s1, s1, 29
	s_add_i32 s0, s0, s1
	s_ashr_i32 s16, s0, 3
	v_lshrrev_b32_e32 v24, 6, v0
	v_cmp_gt_i32_e64 s[0:1], s16, v24
	v_mov_b32_e32 v8, 0xff7fffff
	s_mul_i32 s14, s2, s14
	v_lshrrev_b32_e32 v4, 4, v0
	v_lshlrev_b32_e32 v25, 3, v24
	v_mbcnt_lo_u32_b32 v5, -1, 0
	s_and_saveexec_b64 s[34:35], s[0:1]
	s_cbranch_execz .LBB6_21
; %bb.10:
	s_load_dwordx2 s[2:3], s[4:5], 0x10
	s_ashr_i32 s15, s14, 31
	s_sub_i32 s30, s12, s17
	s_lshl_b64 s[4:5], s[14:15], 2
	v_bfe_u32 v6, v0, 3, 3
	s_waitcnt lgkmcnt(0)
	s_add_u32 s2, s2, s4
	s_addc_u32 s3, s3, s5
	s_abs_i32 s15, s18
	v_cvt_f32_u32_e32 v2, s15
	v_lshlrev_b32_e32 v7, 4, v6
	v_mov_b32_e32 v9, s3
	v_add_co_u32_e64 v7, s[2:3], s2, v7
	v_rcp_iflag_f32_e32 v2, v2
	v_and_b32_e32 v10, 3, v0
	v_addc_co_u32_e64 v9, s[2:3], 0, v9, s[2:3]
	v_mul_f32_e32 v2, 0x4f7ffffe, v2
	v_lshlrev_b32_e32 v10, 2, v10
	v_cvt_u32_f32_e32 v2, v2
	v_add_co_u32_e64 v10, s[2:3], v7, v10
	v_addc_co_u32_e64 v11, s[2:3], 0, v9, s[2:3]
	s_sub_i32 s2, 0, s15
	v_cmp_eq_u32_e32 vcc, 0, v1
	v_lshlrev_b32_e32 v7, 6, v1
	v_mul_lo_u32 v1, s2, v2
	v_lshlrev_b32_e32 v9, 5, v0
	v_and_b32_e32 v9, 0x80, v9
	v_add_co_u32_e64 v9, s[4:5], v10, v9
	v_mul_hi_u32 v1, v2, v1
	v_addc_co_u32_e64 v10, s[4:5], 0, v11, s[4:5]
	s_lshl_b64 s[4:5], s[26:27], 2
	v_lshlrev_b32_e32 v8, 2, v6
	s_add_u32 s4, s24, s4
	v_add_u32_e32 v11, v2, v1
	v_and_b32_e32 v1, 60, v4
	s_addc_u32 s5, s25, s5
	v_lshl_or_b32 v8, v24, 5, v8
	v_mbcnt_hi_u32_b32 v16, -1, v5
	v_mov_b32_e32 v2, s5
	v_add_co_u32_e64 v1, s[4:5], s4, v1
	v_subrev_u32_e32 v13, s33, v6
	v_add_u32_e32 v14, 0x210, v8
	v_and_b32_e32 v8, 64, v16
	s_mov_b32 s43, s13
	v_cmp_neq_f32_e64 s[2:3], s42, 0
	v_addc_co_u32_e64 v2, s[4:5], 0, v2, s[4:5]
	v_lshlrev_b32_e32 v12, 3, v24
	v_add_u32_e32 v13, 1, v13
	v_mov_b32_e32 v15, 0xff7fffff
	s_mov_b64 s[36:37], 0
	v_add_u32_e32 v17, 64, v8
	v_xor_b32_e32 v18, 4, v16
	v_xor_b32_e32 v19, 2, v16
	v_mov_b32_e32 v8, 0xff7fffff
	v_mov_b32_e32 v20, v24
	s_branch .LBB6_13
.LBB6_11:                               ;   in Loop: Header=BB6_13 Depth=1
	s_or_b64 exec, exec, s[38:39]
.LBB6_12:                               ;   in Loop: Header=BB6_13 Depth=1
	s_or_b64 exec, exec, s[6:7]
	v_add_co_u32_e64 v1, s[4:5], 8, v1
	v_add_u32_e32 v20, 2, v20
	v_addc_co_u32_e64 v2, s[4:5], 0, v2, s[4:5]
	v_cmp_le_i32_e64 s[4:5], s16, v20
	v_add_u32_e32 v12, 16, v12
	s_or_b64 s[36:37], s[4:5], s[36:37]
	v_add_u32_e32 v14, 64, v14
	s_andn2_b64 exec, exec, s[36:37]
	s_cbranch_execz .LBB6_20
.LBB6_13:                               ; =>This Inner Loop Header: Depth=1
	v_mul_hi_u32 v21, v12, s40
	s_waitcnt lgkmcnt(0)
	v_mul_lo_u32 v22, v21, s21
	v_add_u32_e32 v26, 1, v21
	v_sub_u32_e32 v22, v12, v22
	v_cmp_le_u32_e64 s[4:5], s21, v22
	v_cndmask_b32_e64 v21, v21, v26, s[4:5]
	v_subrev_u32_e32 v26, s21, v22
	v_cndmask_b32_e64 v22, v22, v26, s[4:5]
	v_add_u32_e32 v26, 1, v21
	v_cmp_le_u32_e64 s[4:5], s21, v22
	v_cndmask_b32_e64 v21, v21, v26, s[4:5]
	v_xor_b32_e32 v21, s19, v21
	v_subrev_u32_e32 v21, s19, v21
	v_add_u32_e32 v22, s41, v21
	v_sub_u32_e32 v26, 0, v22
	v_max_i32_e32 v26, v22, v26
	v_mul_hi_u32 v27, v26, v11
	v_ashrrev_i32_e32 v22, 31, v22
	v_cmp_ge_i32_e64 s[6:7], s30, v21
	v_mul_lo_u32 v27, v27, s15
	v_sub_u32_e32 v26, v26, v27
	v_subrev_u32_e32 v27, s15, v26
	v_cmp_le_u32_e64 s[4:5], s15, v26
	v_cndmask_b32_e64 v26, v26, v27, s[4:5]
	v_subrev_u32_e32 v27, s15, v26
	v_cmp_le_u32_e64 s[4:5], s15, v26
	v_cndmask_b32_e64 v26, v26, v27, s[4:5]
	v_xor_b32_e32 v26, v26, v22
	v_sub_u32_e32 v22, v26, v22
	v_cmp_ne_u32_e64 s[4:5], 0, v22
	s_and_b64 s[4:5], s[4:5], s[6:7]
	s_and_saveexec_b64 s[6:7], s[4:5]
	s_xor_b64 s[4:5], exec, s[6:7]
	s_cbranch_execz .LBB6_17
; %bb.14:                               ;   in Loop: Header=BB6_13 Depth=1
	s_and_saveexec_b64 s[6:7], vcc
; %bb.15:                               ;   in Loop: Header=BB6_13 Depth=1
	ds_write_b32 v14, v15
; %bb.16:                               ;   in Loop: Header=BB6_13 Depth=1
	s_or_b64 exec, exec, s[6:7]
.LBB6_17:                               ;   in Loop: Header=BB6_13 Depth=1
	s_andn2_saveexec_b64 s[6:7], s[4:5]
	s_cbranch_execz .LBB6_12
; %bb.18:                               ;   in Loop: Header=BB6_13 Depth=1
	global_load_dword v21, v[1:2], off
	s_waitcnt vmcnt(0)
	v_mad_i64_i32 v[21:22], s[4:5], v21, s43, 0
	v_lshlrev_b64 v[21:22], 2, v[21:22]
	v_add_co_u32_e64 v21, s[4:5], v9, v21
	v_addc_co_u32_e64 v22, s[4:5], v10, v22, s[4:5]
	global_load_dword v42, v[21:22], off offset:256
	global_load_dword v43, v[21:22], off offset:512
	;; [unrolled: 1-line block ×7, first 2 shown]
	global_load_dword v49, v[21:22], off
	global_load_dword v50, v[21:22], off offset:2048
	global_load_dword v51, v[21:22], off offset:2304
	;; [unrolled: 1-line block ×7, first 2 shown]
	s_nop 0
	global_load_dword v21, v[21:22], off offset:3840
	ds_read_b128 v[26:29], v7
	ds_read_b128 v[30:33], v7 offset:16
	ds_read_b128 v[34:37], v7 offset:32
	;; [unrolled: 1-line block ×3, first 2 shown]
	v_cmp_lt_i32_e64 s[4:5], v18, v17
	v_cndmask_b32_e64 v22, v16, v18, s[4:5]
	v_lshlrev_b32_e32 v22, 2, v22
	v_cmp_lt_i32_e64 s[4:5], v19, v17
	s_waitcnt vmcnt(15) lgkmcnt(3)
	v_mul_f32_e32 v27, v27, v42
	s_waitcnt vmcnt(8)
	v_fmac_f32_e32 v27, v26, v49
	v_fmac_f32_e32 v27, v28, v43
	;; [unrolled: 1-line block ×3, first 2 shown]
	s_waitcnt lgkmcnt(2)
	v_fmac_f32_e32 v27, v30, v45
	v_fmac_f32_e32 v27, v31, v46
	;; [unrolled: 1-line block ×4, first 2 shown]
	s_waitcnt vmcnt(7) lgkmcnt(1)
	v_fmac_f32_e32 v27, v34, v50
	s_waitcnt vmcnt(6)
	v_fmac_f32_e32 v27, v35, v51
	s_waitcnt vmcnt(5)
	;; [unrolled: 2-line block ×3, first 2 shown]
	v_fmac_f32_e32 v27, v37, v53
	s_waitcnt vmcnt(3) lgkmcnt(0)
	v_fmac_f32_e32 v27, v38, v54
	s_waitcnt vmcnt(2)
	v_fmac_f32_e32 v27, v39, v55
	s_waitcnt vmcnt(1)
	;; [unrolled: 2-line block ×3, first 2 shown]
	v_fmac_f32_e32 v27, v41, v21
	ds_bpermute_b32 v21, v22, v27
	v_cndmask_b32_e64 v22, v16, v19, s[4:5]
	v_lshlrev_b32_e32 v22, 2, v22
	v_xor_b32_e32 v26, 1, v16
	v_cmp_lt_i32_e64 s[4:5], v26, v17
	s_waitcnt lgkmcnt(0)
	v_add_f32_e32 v21, v27, v21
	ds_bpermute_b32 v22, v22, v21
	v_cndmask_b32_e64 v26, v16, v26, s[4:5]
	v_lshlrev_b32_e32 v26, 2, v26
	s_waitcnt lgkmcnt(0)
	v_add_f32_e32 v21, v21, v22
	ds_bpermute_b32 v22, v26, v21
	s_and_saveexec_b64 s[38:39], vcc
	s_cbranch_execz .LBB6_11
; %bb.19:                               ;   in Loop: Header=BB6_13 Depth=1
	v_add_u32_e32 v26, v13, v12
	v_cvt_f32_i32_e32 v26, v26
	s_waitcnt lgkmcnt(0)
	v_add_f32_e32 v21, v21, v22
	v_add_u32_e32 v27, v6, v12
	v_cmp_gt_i32_e64 s[4:5], s33, v27
	v_mul_f32_e32 v22, s42, v26
	v_cndmask_b32_e64 v22, 0, v22, s[2:3]
	v_fmac_f32_e32 v22, s31, v21
	v_cndmask_b32_e64 v21, 0, v22, s[4:5]
	ds_write_b32 v14, v21
	v_max_f32_e32 v21, v8, v8
	v_max_f32_e32 v21, v21, v22
	v_cndmask_b32_e64 v8, v8, v21, s[4:5]
	s_branch .LBB6_11
.LBB6_20:
	s_or_b64 exec, exec, s[36:37]
.LBB6_21:
	s_or_b64 exec, exec, s[34:35]
	v_mbcnt_hi_u32_b32 v1, -1, v5
	v_and_b32_e32 v10, 64, v1
	v_add_u32_e32 v2, 64, v10
	v_xor_b32_e32 v5, 32, v1
	v_cmp_lt_i32_e32 vcc, v5, v2
	v_cndmask_b32_e32 v5, v1, v5, vcc
	v_lshlrev_b32_e32 v6, 2, v5
	ds_bpermute_b32 v5, v6, v8
	v_max_f32_e32 v7, v8, v8
	v_xor_b32_e32 v8, 16, v1
	v_cmp_lt_i32_e32 vcc, v8, v2
	v_xor_b32_e32 v9, 8, v1
	s_waitcnt lgkmcnt(0)
	v_max_f32_e32 v5, v5, v5
	v_max_f32_e32 v5, v7, v5
	v_cndmask_b32_e32 v7, v1, v8, vcc
	v_lshlrev_b32_e32 v8, 2, v7
	ds_bpermute_b32 v7, v8, v5
	v_cmp_lt_i32_e32 vcc, v9, v2
	v_and_b32_e32 v26, 63, v0
	s_waitcnt lgkmcnt(0)
	v_max_f32_e32 v7, v7, v7
	v_max_f32_e32 v7, v5, v7
	v_cndmask_b32_e32 v5, v1, v9, vcc
	v_lshlrev_b32_e32 v9, 2, v5
	ds_bpermute_b32 v11, v9, v7
	v_cmp_eq_u32_e32 vcc, 0, v26
	v_lshlrev_b32_e32 v5, 2, v24
	s_and_saveexec_b64 s[2:3], vcc
	s_cbranch_execz .LBB6_23
; %bb.22:
	s_waitcnt lgkmcnt(0)
	v_max_f32_e32 v11, v11, v11
	v_max_f32_e32 v7, v7, v7
	;; [unrolled: 1-line block ×3, first 2 shown]
	ds_write_b32 v5, v7 offset:512
.LBB6_23:
	s_or_b64 exec, exec, s[2:3]
	v_cmp_gt_u32_e64 s[2:3], 2, v26
	s_waitcnt lgkmcnt(0)
	v_mov_b32_e32 v11, 0xff7fffff
	v_lshlrev_b32_e32 v7, 2, v26
	s_barrier
	s_and_saveexec_b64 s[4:5], s[2:3]
; %bb.24:
	ds_read_b32 v11, v7 offset:512
; %bb.25:
	s_or_b64 exec, exec, s[4:5]
	v_xor_b32_e32 v12, 1, v1
	v_cmp_lt_i32_e64 s[4:5], v12, v2
	v_cndmask_b32_e64 v12, v1, v12, s[4:5]
	v_lshlrev_b32_e32 v27, 2, v12
	s_waitcnt lgkmcnt(0)
	ds_bpermute_b32 v12, v27, v11
	v_max_f32_e32 v11, v11, v11
	v_lshlrev_b32_e32 v10, 2, v10
	s_lshl_b32 s4, s16, 3
	s_min_i32 s15, s4, s33
	s_waitcnt lgkmcnt(0)
	v_max_f32_e32 v12, v12, v12
	v_max_f32_e32 v11, v11, v12
	ds_bpermute_b32 v11, v10, v11
	v_cmp_gt_i32_e64 s[4:5], s15, v0
	v_mov_b32_e32 v10, 0
	s_and_saveexec_b64 s[30:31], s[4:5]
	s_cbranch_execz .LBB6_29
; %bb.26:
	v_mov_b32_e32 v10, 0x210
	v_lshl_add_u32 v12, v0, 2, v10
	v_mov_b32_e32 v10, 0
	s_mov_b64 s[34:35], 0
	v_mov_b32_e32 v13, v0
.LBB6_27:                               ; =>This Inner Loop Header: Depth=1
	ds_read_b32 v14, v12
	v_add_u32_e32 v13, 0x80, v13
	v_cmp_le_i32_e64 s[6:7], s15, v13
	s_or_b64 s[34:35], s[6:7], s[34:35]
	s_waitcnt lgkmcnt(0)
	v_sub_f32_e32 v14, v14, v11
	v_mul_f32_e32 v14, 0x3fb8aa3b, v14
	v_exp_f32_e32 v14, v14
	ds_write_b32 v12, v14
	v_add_f32_e32 v10, v10, v14
	v_add_u32_e32 v12, 0x200, v12
	s_andn2_b64 exec, exec, s[34:35]
	s_cbranch_execnz .LBB6_27
; %bb.28:
	s_or_b64 exec, exec, s[34:35]
.LBB6_29:
	s_or_b64 exec, exec, s[30:31]
	ds_bpermute_b32 v6, v6, v10
	s_waitcnt lgkmcnt(0)
	v_add_f32_e32 v6, v10, v6
	ds_bpermute_b32 v8, v8, v6
	s_waitcnt lgkmcnt(0)
	v_add_f32_e32 v6, v6, v8
	ds_bpermute_b32 v8, v9, v6
	v_xor_b32_e32 v9, 4, v1
	v_cmp_lt_i32_e64 s[6:7], v9, v2
	v_cndmask_b32_e64 v9, v1, v9, s[6:7]
	v_lshlrev_b32_e32 v9, 2, v9
	s_waitcnt lgkmcnt(0)
	v_add_f32_e32 v6, v6, v8
	ds_bpermute_b32 v8, v9, v6
	v_xor_b32_e32 v9, 2, v1
	v_cmp_lt_i32_e64 s[6:7], v9, v2
	v_cndmask_b32_e64 v2, v1, v9, s[6:7]
	v_lshlrev_b32_e32 v2, 2, v2
	s_waitcnt lgkmcnt(0)
	v_add_f32_e32 v6, v6, v8
	ds_bpermute_b32 v2, v2, v6
	s_waitcnt lgkmcnt(0)
	v_add_f32_e32 v2, v6, v2
	ds_bpermute_b32 v6, v27, v2
	s_waitcnt lgkmcnt(0)
	v_add_f32_e32 v2, v2, v6
	s_and_saveexec_b64 s[6:7], vcc
; %bb.30:
	ds_write_b32 v5, v2 offset:520
; %bb.31:
	s_or_b64 exec, exec, s[6:7]
	s_waitcnt lgkmcnt(0)
	s_barrier
	s_and_saveexec_b64 s[6:7], s[2:3]
; %bb.32:
	ds_read_b32 v2, v7 offset:520
; %bb.33:
	s_or_b64 exec, exec, s[6:7]
	s_waitcnt lgkmcnt(0)
	ds_bpermute_b32 v5, v27, v2
	v_lshlrev_b32_e32 v1, 2, v1
	v_and_b32_e32 v1, 0x100, v1
	s_waitcnt lgkmcnt(0)
	v_add_f32_e32 v2, v2, v5
	ds_bpermute_b32 v1, v1, v2
	s_and_saveexec_b64 s[2:3], s[4:5]
	s_cbranch_execz .LBB6_36
; %bb.34:
	s_waitcnt lgkmcnt(0)
	v_add_f32_e32 v2, 0x358637bd, v1
	v_div_scale_f32 v1, s[4:5], v2, v2, 1.0
	v_div_scale_f32 v5, vcc, 1.0, v2, 1.0
	s_mov_b64 s[4:5], 0
	v_rcp_f32_e32 v6, v1
	v_fma_f32 v7, -v1, v6, 1.0
	v_fmac_f32_e32 v6, v7, v6
	v_mul_f32_e32 v7, v5, v6
	v_fma_f32 v8, -v1, v7, v5
	v_fmac_f32_e32 v7, v8, v6
	v_fma_f32 v1, -v1, v7, v5
	v_div_fmas_f32 v5, v1, v6, v7
	v_mov_b32_e32 v1, 0x210
	v_lshl_add_u32 v1, v0, 2, v1
	v_div_fixup_f32 v2, v5, v2, 1.0
	v_mov_b32_e32 v5, v0
.LBB6_35:                               ; =>This Inner Loop Header: Depth=1
	ds_read_b32 v6, v1
	v_add_u32_e32 v5, 0x80, v5
	v_cmp_le_i32_e32 vcc, s15, v5
	s_or_b64 s[4:5], vcc, s[4:5]
	s_waitcnt lgkmcnt(0)
	v_mul_f32_e32 v6, v2, v6
	ds_write_b32 v1, v6
	v_add_u32_e32 v1, 0x200, v1
	s_andn2_b64 exec, exec, s[4:5]
	s_cbranch_execnz .LBB6_35
.LBB6_36:
	s_or_b64 exec, exec, s[2:3]
	v_mov_b32_e32 v32, 0
	v_and_b32_e32 v28, 1, v0
	v_mov_b32_e32 v33, 0
	v_mov_b32_e32 v31, 0
	v_mov_b32_e32 v29, 0
	s_waitcnt lgkmcnt(0)
	s_barrier
	s_and_saveexec_b64 s[2:3], s[0:1]
	s_cbranch_execz .LBB6_50
; %bb.37:
	s_ashr_i32 s15, s14, 31
	s_sub_i32 s17, s12, s17
	s_lshl_b64 s[0:1], s[14:15], 2
	s_add_u32 s0, s28, s0
	s_addc_u32 s1, s29, s1
	s_abs_i32 s14, s18
	v_cvt_f32_u32_e32 v1, s14
	s_sub_i32 s4, 0, s14
	v_and_b32_e32 v30, 4, v3
	v_and_b32_e32 v3, 60, v4
	v_rcp_iflag_f32_e32 v1, v1
	v_lshlrev_b32_e32 v2, 4, v0
	v_and_b32_e32 v2, 0x3f0, v2
	s_add_i32 s18, s16, -1
	v_mul_f32_e32 v1, 0x4f7ffffe, v1
	v_cvt_u32_f32_e32 v1, v1
	v_mov_b32_e32 v5, s1
	v_add_co_u32_e32 v34, vcc, s0, v2
	v_mul_lo_u32 v4, s4, v1
	s_lshl_b64 s[0:1], s[26:27], 2
	s_add_u32 s0, s24, s0
	v_addc_co_u32_e32 v35, vcc, 0, v5, vcc
	v_mul_hi_u32 v4, v1, v4
	s_addc_u32 s1, s25, s1
	v_add_co_u32_e32 v21, vcc, s0, v3
	v_add_u32_e32 v36, v1, v4
	v_mov_b32_e32 v1, s1
	v_addc_co_u32_e32 v22, vcc, 0, v1, vcc
	v_lshlrev_b32_e32 v1, 4, v28
	v_lshl_or_b32 v1, v24, 5, v1
	s_mov_b32 s15, s13
	v_mov_b32_e32 v29, 0
	v_add_u32_e32 v37, 0x210, v1
	s_mov_b64 s[4:5], 0
	v_mov_b32_e32 v31, 0
	v_mov_b32_e32 v33, 0
	;; [unrolled: 1-line block ×3, first 2 shown]
	s_branch .LBB6_40
.LBB6_38:                               ;   in Loop: Header=BB6_40 Depth=1
	s_or_b64 exec, exec, s[0:1]
	s_waitcnt vmcnt(1) lgkmcnt(0)
	v_mul_f32_e32 v13, v1, v13
	v_mul_f32_e32 v9, v1, v9
	;; [unrolled: 1-line block ×3, first 2 shown]
	s_waitcnt vmcnt(0)
	v_mul_f32_e32 v1, v1, v17
	v_fmac_f32_e32 v13, v2, v14
	v_fmac_f32_e32 v9, v2, v10
	;; [unrolled: 1-line block ×12, first 2 shown]
	v_add_f32_e32 v31, v31, v13
	v_add_f32_e32 v33, v33, v9
	v_add_f32_e32 v32, v32, v5
	v_add_f32_e32 v29, v29, v1
.LBB6_39:                               ;   in Loop: Header=BB6_40 Depth=1
	s_or_b64 exec, exec, s[6:7]
	v_add_co_u32_e32 v21, vcc, 8, v21
	v_add_u32_e32 v24, 2, v24
	v_addc_co_u32_e32 v22, vcc, 0, v22, vcc
	v_cmp_le_i32_e32 vcc, s16, v24
	v_add_u32_e32 v25, 16, v25
	s_or_b64 s[4:5], vcc, s[4:5]
	v_add_u32_e32 v37, 64, v37
	s_andn2_b64 exec, exec, s[4:5]
	s_cbranch_execz .LBB6_49
.LBB6_40:                               ; =>This Inner Loop Header: Depth=1
	v_mul_hi_u32 v1, v25, s40
	v_mul_lo_u32 v2, v1, s21
	v_add_u32_e32 v3, 1, v1
	v_sub_u32_e32 v2, v25, v2
	v_cmp_le_u32_e32 vcc, s21, v2
	v_cndmask_b32_e32 v1, v1, v3, vcc
	v_subrev_u32_e32 v3, s21, v2
	v_cndmask_b32_e32 v2, v2, v3, vcc
	v_add_u32_e32 v3, 1, v1
	v_cmp_le_u32_e32 vcc, s21, v2
	v_cndmask_b32_e32 v1, v1, v3, vcc
	v_xor_b32_e32 v1, s19, v1
	v_subrev_u32_e32 v1, s19, v1
	v_add_u32_e32 v2, s41, v1
	v_sub_u32_e32 v3, 0, v2
	v_max_i32_e32 v3, v2, v3
	v_mul_hi_u32 v4, v3, v36
	v_ashrrev_i32_e32 v2, 31, v2
	v_cmp_lt_i32_e64 s[0:1], s17, v1
	v_mul_lo_u32 v4, v4, s14
	v_sub_u32_e32 v3, v3, v4
	v_subrev_u32_e32 v4, s14, v3
	v_cmp_le_u32_e32 vcc, s14, v3
	v_cndmask_b32_e32 v3, v3, v4, vcc
	v_subrev_u32_e32 v4, s14, v3
	v_cmp_le_u32_e32 vcc, s14, v3
	v_cndmask_b32_e32 v3, v3, v4, vcc
	v_xor_b32_e32 v3, v3, v2
	v_sub_u32_e32 v2, v3, v2
	v_cmp_eq_u32_e32 vcc, 0, v2
	s_or_b64 s[0:1], vcc, s[0:1]
	s_and_saveexec_b64 s[6:7], s[0:1]
	s_cbranch_execz .LBB6_39
; %bb.41:                               ;   in Loop: Header=BB6_40 Depth=1
	global_load_dword v1, v[21:22], off
	v_add_u32_e32 v38, v30, v25
	v_add_u32_e32 v41, 1, v38
	;; [unrolled: 1-line block ×4, first 2 shown]
	s_waitcnt vmcnt(0)
	v_mad_i64_i32 v[1:2], s[0:1], v1, s15, 0
	v_lshlrev_b64 v[1:2], 2, v[1:2]
	v_add_co_u32_e32 v17, vcc, v34, v1
	v_addc_co_u32_e32 v18, vcc, v35, v2, vcc
	global_load_dwordx4 v[5:8], v[17:18], off
	ds_read_b128 v[1:4], v37
	v_cmp_eq_u32_e32 vcc, s18, v24
	s_and_saveexec_b64 s[12:13], vcc
	s_cbranch_execnz .LBB6_45
; %bb.42:                               ;   in Loop: Header=BB6_40 Depth=1
	s_or_b64 exec, exec, s[12:13]
	global_load_dwordx4 v[9:12], v[17:18], off offset:1024
	s_and_saveexec_b64 s[12:13], vcc
	s_cbranch_execnz .LBB6_46
.LBB6_43:                               ;   in Loop: Header=BB6_40 Depth=1
	s_or_b64 exec, exec, s[12:13]
	global_load_dwordx4 v[13:16], v[17:18], off offset:2048
	s_and_saveexec_b64 s[12:13], vcc
	s_cbranch_execnz .LBB6_47
.LBB6_44:                               ;   in Loop: Header=BB6_40 Depth=1
	s_or_b64 exec, exec, s[12:13]
	global_load_dwordx4 v[17:20], v[17:18], off offset:3072
	s_and_saveexec_b64 s[0:1], vcc
	s_cbranch_execz .LBB6_38
	s_branch .LBB6_48
.LBB6_45:                               ;   in Loop: Header=BB6_40 Depth=1
	v_cmp_gt_i32_e64 s[0:1], s33, v38
	s_waitcnt vmcnt(0)
	v_cndmask_b32_e64 v5, 0, v5, s[0:1]
	v_cmp_gt_i32_e64 s[0:1], s33, v41
	v_cndmask_b32_e64 v6, 0, v6, s[0:1]
	v_cmp_gt_i32_e64 s[0:1], s33, v40
	v_cndmask_b32_e64 v7, 0, v7, s[0:1]
	v_cmp_gt_i32_e64 s[0:1], s33, v39
	v_cndmask_b32_e64 v8, 0, v8, s[0:1]
	s_or_b64 exec, exec, s[12:13]
	global_load_dwordx4 v[9:12], v[17:18], off offset:1024
	s_and_saveexec_b64 s[12:13], vcc
	s_cbranch_execz .LBB6_43
.LBB6_46:                               ;   in Loop: Header=BB6_40 Depth=1
	v_cmp_gt_i32_e64 s[0:1], s33, v38
	s_waitcnt vmcnt(0)
	v_cndmask_b32_e64 v9, 0, v9, s[0:1]
	v_cmp_gt_i32_e64 s[0:1], s33, v41
	v_cndmask_b32_e64 v10, 0, v10, s[0:1]
	v_cmp_gt_i32_e64 s[0:1], s33, v40
	;; [unrolled: 2-line block ×3, first 2 shown]
	v_cndmask_b32_e64 v12, 0, v12, s[0:1]
	s_or_b64 exec, exec, s[12:13]
	global_load_dwordx4 v[13:16], v[17:18], off offset:2048
	s_and_saveexec_b64 s[12:13], vcc
	s_cbranch_execz .LBB6_44
.LBB6_47:                               ;   in Loop: Header=BB6_40 Depth=1
	v_cmp_gt_i32_e64 s[0:1], s33, v38
	s_waitcnt vmcnt(0)
	v_cndmask_b32_e64 v13, 0, v13, s[0:1]
	v_cmp_gt_i32_e64 s[0:1], s33, v41
	v_cndmask_b32_e64 v14, 0, v14, s[0:1]
	v_cmp_gt_i32_e64 s[0:1], s33, v40
	;; [unrolled: 2-line block ×3, first 2 shown]
	v_cndmask_b32_e64 v16, 0, v16, s[0:1]
	s_or_b64 exec, exec, s[12:13]
	global_load_dwordx4 v[17:20], v[17:18], off offset:3072
	s_and_saveexec_b64 s[0:1], vcc
	s_cbranch_execz .LBB6_38
.LBB6_48:                               ;   in Loop: Header=BB6_40 Depth=1
	v_cmp_gt_i32_e32 vcc, s33, v38
	s_waitcnt vmcnt(0)
	v_cndmask_b32_e32 v17, 0, v17, vcc
	v_cmp_gt_i32_e32 vcc, s33, v41
	v_cndmask_b32_e32 v18, 0, v18, vcc
	v_cmp_gt_i32_e32 vcc, s33, v40
	;; [unrolled: 2-line block ×3, first 2 shown]
	v_cndmask_b32_e32 v20, 0, v20, vcc
	s_branch .LBB6_38
.LBB6_49:
	s_or_b64 exec, exec, s[4:5]
.LBB6_50:
	s_or_b64 exec, exec, s[2:3]
	ds_bpermute_b32 v1, v27, v32
	ds_bpermute_b32 v2, v27, v33
	ds_bpermute_b32 v3, v27, v31
	ds_bpermute_b32 v4, v27, v29
	v_and_b32_e32 v5, 0x3c1, v0
	s_waitcnt lgkmcnt(3)
	v_add_f32_e32 v1, v32, v1
	s_waitcnt lgkmcnt(2)
	v_add_f32_e32 v2, v33, v2
	;; [unrolled: 2-line block ×4, first 2 shown]
	v_cmp_eq_u32_e32 vcc, 64, v5
	s_barrier
	s_and_saveexec_b64 s[0:1], vcc
	s_cbranch_execz .LBB6_52
; %bb.51:
	v_mov_b32_e32 v6, 0x210
	v_lshl_add_u32 v6, v26, 1, v6
	ds_write2_b32 v6, v1, v2 offset1:32
	ds_write2_b32 v6, v3, v4 offset0:64 offset1:96
.LBB6_52:
	s_or_b64 exec, exec, s[0:1]
	v_cmp_gt_u32_e32 vcc, 64, v0
	s_waitcnt lgkmcnt(0)
	s_barrier
	s_and_saveexec_b64 s[0:1], vcc
	s_cbranch_execz .LBB6_59
; %bb.53:
	v_mov_b32_e32 v0, 0x210
	v_cmp_eq_u32_e32 vcc, 0, v28
	v_lshl_add_u32 v0, v23, 2, v0
	s_and_saveexec_b64 s[2:3], vcc
	s_cbranch_execnz .LBB6_62
; %bb.54:
	s_or_b64 exec, exec, s[2:3]
	s_and_saveexec_b64 s[2:3], vcc
	s_cbranch_execnz .LBB6_63
.LBB6_55:
	s_or_b64 exec, exec, s[2:3]
	s_and_saveexec_b64 s[2:3], vcc
	s_cbranch_execnz .LBB6_64
.LBB6_56:
	s_or_b64 exec, exec, s[2:3]
	s_and_saveexec_b64 s[2:3], vcc
	s_cbranch_execz .LBB6_58
.LBB6_57:
	ds_read_b32 v0, v0 offset:384
	s_waitcnt lgkmcnt(0)
	v_add_f32_e32 v4, v4, v0
.LBB6_58:
	s_or_b64 exec, exec, s[2:3]
.LBB6_59:
	s_or_b64 exec, exec, s[0:1]
	v_cmp_eq_u32_e32 vcc, 0, v5
	s_barrier
	s_and_saveexec_b64 s[0:1], vcc
	s_cbranch_execz .LBB6_61
; %bb.60:
	s_mul_i32 s0, s10, s11
	s_mul_i32 s0, s0, s9
	s_lshl_b32 s0, s0, 7
	s_ashr_i32 s1, s0, 31
	s_lshl_b64 s[0:1], s[0:1], 2
	s_add_u32 s2, s22, s0
	s_mul_i32 s0, s11, s20
	s_addc_u32 s3, s23, s1
	s_ashr_i32 s1, s0, 31
	s_lshl_b64 s[0:1], s[0:1], 2
	s_add_u32 s2, s2, s0
	s_addc_u32 s3, s3, s1
	s_lshl_b32 s0, s8, 7
	s_ashr_i32 s1, s0, 31
	s_lshl_b64 s[0:1], s[0:1], 2
	s_add_u32 s0, s2, s0
	s_addc_u32 s1, s3, s1
	v_lshlrev_b32_e32 v0, 2, v23
	global_store_dword v0, v1, s[0:1]
	global_store_dword v0, v2, s[0:1] offset:128
	global_store_dword v0, v3, s[0:1] offset:256
	;; [unrolled: 1-line block ×3, first 2 shown]
.LBB6_61:
	s_endpgm
.LBB6_62:
	ds_read_b32 v6, v0
	s_waitcnt lgkmcnt(0)
	v_add_f32_e32 v1, v1, v6
	s_or_b64 exec, exec, s[2:3]
	s_and_saveexec_b64 s[2:3], vcc
	s_cbranch_execz .LBB6_55
.LBB6_63:
	ds_read_b32 v6, v0 offset:128
	s_waitcnt lgkmcnt(0)
	v_add_f32_e32 v2, v2, v6
	s_or_b64 exec, exec, s[2:3]
	s_and_saveexec_b64 s[2:3], vcc
	s_cbranch_execz .LBB6_56
.LBB6_64:
	ds_read_b32 v6, v0 offset:256
	s_waitcnt lgkmcnt(0)
	v_add_f32_e32 v3, v3, v6
	s_or_b64 exec, exec, s[2:3]
	s_and_saveexec_b64 s[2:3], vcc
	s_cbranch_execnz .LBB6_57
	s_branch .LBB6_58
	.section	.rodata,"a",@progbits
	.p2align	6, 0x0
	.amdhsa_kernel _ZN4vllm25paged_attention_v1_kernelIffLi128ELi8ELi128ELNS_18Fp8KVCacheDataTypeE0ELb1EEEvPT_PKS2_PKT0_S8_ifPKiSA_iPKfiiiSC_SC_iiiii
		.amdhsa_group_segment_fixed_size 528
		.amdhsa_private_segment_fixed_size 0
		.amdhsa_kernarg_size 384
		.amdhsa_user_sgpr_count 6
		.amdhsa_user_sgpr_private_segment_buffer 1
		.amdhsa_user_sgpr_dispatch_ptr 0
		.amdhsa_user_sgpr_queue_ptr 0
		.amdhsa_user_sgpr_kernarg_segment_ptr 1
		.amdhsa_user_sgpr_dispatch_id 0
		.amdhsa_user_sgpr_flat_scratch_init 0
		.amdhsa_user_sgpr_private_segment_size 0
		.amdhsa_uses_dynamic_stack 0
		.amdhsa_system_sgpr_private_segment_wavefront_offset 0
		.amdhsa_system_sgpr_workgroup_id_x 1
		.amdhsa_system_sgpr_workgroup_id_y 1
		.amdhsa_system_sgpr_workgroup_id_z 1
		.amdhsa_system_sgpr_workgroup_info 0
		.amdhsa_system_vgpr_workitem_id 0
		.amdhsa_next_free_vgpr 57
		.amdhsa_next_free_sgpr 44
		.amdhsa_reserve_vcc 1
		.amdhsa_reserve_flat_scratch 0
		.amdhsa_float_round_mode_32 0
		.amdhsa_float_round_mode_16_64 0
		.amdhsa_float_denorm_mode_32 3
		.amdhsa_float_denorm_mode_16_64 3
		.amdhsa_dx10_clamp 1
		.amdhsa_ieee_mode 1
		.amdhsa_fp16_overflow 0
		.amdhsa_exception_fp_ieee_invalid_op 0
		.amdhsa_exception_fp_denorm_src 0
		.amdhsa_exception_fp_ieee_div_zero 0
		.amdhsa_exception_fp_ieee_overflow 0
		.amdhsa_exception_fp_ieee_underflow 0
		.amdhsa_exception_fp_ieee_inexact 0
		.amdhsa_exception_int_div_zero 0
	.end_amdhsa_kernel
	.section	.text._ZN4vllm25paged_attention_v1_kernelIffLi128ELi8ELi128ELNS_18Fp8KVCacheDataTypeE0ELb1EEEvPT_PKS2_PKT0_S8_ifPKiSA_iPKfiiiSC_SC_iiiii,"axG",@progbits,_ZN4vllm25paged_attention_v1_kernelIffLi128ELi8ELi128ELNS_18Fp8KVCacheDataTypeE0ELb1EEEvPT_PKS2_PKT0_S8_ifPKiSA_iPKfiiiSC_SC_iiiii,comdat
.Lfunc_end6:
	.size	_ZN4vllm25paged_attention_v1_kernelIffLi128ELi8ELi128ELNS_18Fp8KVCacheDataTypeE0ELb1EEEvPT_PKS2_PKT0_S8_ifPKiSA_iPKfiiiSC_SC_iiiii, .Lfunc_end6-_ZN4vllm25paged_attention_v1_kernelIffLi128ELi8ELi128ELNS_18Fp8KVCacheDataTypeE0ELb1EEEvPT_PKS2_PKT0_S8_ifPKiSA_iPKfiiiSC_SC_iiiii
                                        ; -- End function
	.set _ZN4vllm25paged_attention_v1_kernelIffLi128ELi8ELi128ELNS_18Fp8KVCacheDataTypeE0ELb1EEEvPT_PKS2_PKT0_S8_ifPKiSA_iPKfiiiSC_SC_iiiii.num_vgpr, 57
	.set _ZN4vllm25paged_attention_v1_kernelIffLi128ELi8ELi128ELNS_18Fp8KVCacheDataTypeE0ELb1EEEvPT_PKS2_PKT0_S8_ifPKiSA_iPKfiiiSC_SC_iiiii.num_agpr, 0
	.set _ZN4vllm25paged_attention_v1_kernelIffLi128ELi8ELi128ELNS_18Fp8KVCacheDataTypeE0ELb1EEEvPT_PKS2_PKT0_S8_ifPKiSA_iPKfiiiSC_SC_iiiii.numbered_sgpr, 44
	.set _ZN4vllm25paged_attention_v1_kernelIffLi128ELi8ELi128ELNS_18Fp8KVCacheDataTypeE0ELb1EEEvPT_PKS2_PKT0_S8_ifPKiSA_iPKfiiiSC_SC_iiiii.num_named_barrier, 0
	.set _ZN4vllm25paged_attention_v1_kernelIffLi128ELi8ELi128ELNS_18Fp8KVCacheDataTypeE0ELb1EEEvPT_PKS2_PKT0_S8_ifPKiSA_iPKfiiiSC_SC_iiiii.private_seg_size, 0
	.set _ZN4vllm25paged_attention_v1_kernelIffLi128ELi8ELi128ELNS_18Fp8KVCacheDataTypeE0ELb1EEEvPT_PKS2_PKT0_S8_ifPKiSA_iPKfiiiSC_SC_iiiii.uses_vcc, 1
	.set _ZN4vllm25paged_attention_v1_kernelIffLi128ELi8ELi128ELNS_18Fp8KVCacheDataTypeE0ELb1EEEvPT_PKS2_PKT0_S8_ifPKiSA_iPKfiiiSC_SC_iiiii.uses_flat_scratch, 0
	.set _ZN4vllm25paged_attention_v1_kernelIffLi128ELi8ELi128ELNS_18Fp8KVCacheDataTypeE0ELb1EEEvPT_PKS2_PKT0_S8_ifPKiSA_iPKfiiiSC_SC_iiiii.has_dyn_sized_stack, 0
	.set _ZN4vllm25paged_attention_v1_kernelIffLi128ELi8ELi128ELNS_18Fp8KVCacheDataTypeE0ELb1EEEvPT_PKS2_PKT0_S8_ifPKiSA_iPKfiiiSC_SC_iiiii.has_recursion, 0
	.set _ZN4vllm25paged_attention_v1_kernelIffLi128ELi8ELi128ELNS_18Fp8KVCacheDataTypeE0ELb1EEEvPT_PKS2_PKT0_S8_ifPKiSA_iPKfiiiSC_SC_iiiii.has_indirect_call, 0
	.section	.AMDGPU.csdata,"",@progbits
; Kernel info:
; codeLenInByte = 4080
; TotalNumSgprs: 48
; NumVgprs: 57
; ScratchSize: 0
; MemoryBound: 0
; FloatMode: 240
; IeeeMode: 1
; LDSByteSize: 528 bytes/workgroup (compile time only)
; SGPRBlocks: 5
; VGPRBlocks: 14
; NumSGPRsForWavesPerEU: 48
; NumVGPRsForWavesPerEU: 57
; Occupancy: 4
; WaveLimiterHint : 1
; COMPUTE_PGM_RSRC2:SCRATCH_EN: 0
; COMPUTE_PGM_RSRC2:USER_SGPR: 6
; COMPUTE_PGM_RSRC2:TRAP_HANDLER: 0
; COMPUTE_PGM_RSRC2:TGID_X_EN: 1
; COMPUTE_PGM_RSRC2:TGID_Y_EN: 1
; COMPUTE_PGM_RSRC2:TGID_Z_EN: 1
; COMPUTE_PGM_RSRC2:TIDIG_COMP_CNT: 0
	.section	.text._ZN4vllm25paged_attention_v1_kernelIffLi192ELi8ELi128ELNS_18Fp8KVCacheDataTypeE0ELb1EEEvPT_PKS2_PKT0_S8_ifPKiSA_iPKfiiiSC_SC_iiiii,"axG",@progbits,_ZN4vllm25paged_attention_v1_kernelIffLi192ELi8ELi128ELNS_18Fp8KVCacheDataTypeE0ELb1EEEvPT_PKS2_PKT0_S8_ifPKiSA_iPKfiiiSC_SC_iiiii,comdat
	.protected	_ZN4vllm25paged_attention_v1_kernelIffLi192ELi8ELi128ELNS_18Fp8KVCacheDataTypeE0ELb1EEEvPT_PKS2_PKT0_S8_ifPKiSA_iPKfiiiSC_SC_iiiii ; -- Begin function _ZN4vllm25paged_attention_v1_kernelIffLi192ELi8ELi128ELNS_18Fp8KVCacheDataTypeE0ELb1EEEvPT_PKS2_PKT0_S8_ifPKiSA_iPKfiiiSC_SC_iiiii
	.globl	_ZN4vllm25paged_attention_v1_kernelIffLi192ELi8ELi128ELNS_18Fp8KVCacheDataTypeE0ELb1EEEvPT_PKS2_PKT0_S8_ifPKiSA_iPKfiiiSC_SC_iiiii
	.p2align	8
	.type	_ZN4vllm25paged_attention_v1_kernelIffLi192ELi8ELi128ELNS_18Fp8KVCacheDataTypeE0ELb1EEEvPT_PKS2_PKT0_S8_ifPKiSA_iPKfiiiSC_SC_iiiii,@function
_ZN4vllm25paged_attention_v1_kernelIffLi192ELi8ELi128ELNS_18Fp8KVCacheDataTypeE0ELb1EEEvPT_PKS2_PKT0_S8_ifPKiSA_iPKfiiiSC_SC_iiiii: ; @_ZN4vllm25paged_attention_v1_kernelIffLi192ELi8ELi128ELNS_18Fp8KVCacheDataTypeE0ELb1EEEvPT_PKS2_PKT0_S8_ifPKiSA_iPKfiiiSC_SC_iiiii
; %bb.0:
	s_load_dword s9, s[4:5], 0x80
	s_load_dwordx2 s[0:1], s[4:5], 0x30
	s_load_dwordx2 s[30:31], s[4:5], 0x20
	s_mov_b32 s10, s7
	s_ashr_i32 s11, s7, 31
	s_lshl_b64 s[2:3], s[10:11], 2
	s_waitcnt lgkmcnt(0)
	s_add_u32 s0, s0, s2
	s_addc_u32 s1, s1, s3
	s_abs_i32 s2, s30
	v_cvt_f32_u32_e32 v1, s2
	s_sub_i32 s11, 0, s2
	s_abs_i32 s7, s9
	s_xor_b32 s3, s9, s30
	v_rcp_iflag_f32_e32 v1, v1
	s_ashr_i32 s3, s3, 31
	s_mov_b32 s42, 0
	v_mul_f32_e32 v1, 0x4f7ffffe, v1
	v_cvt_u32_f32_e32 v1, v1
	v_readfirstlane_b32 s12, v1
	s_mul_i32 s11, s11, s12
	s_mul_hi_u32 s11, s12, s11
	s_add_i32 s12, s12, s11
	s_mul_hi_u32 s11, s7, s12
	s_mul_i32 s12, s11, s2
	s_sub_i32 s7, s7, s12
	s_add_i32 s12, s11, 1
	s_sub_i32 s13, s7, s2
	s_cmp_ge_u32 s7, s2
	s_cselect_b32 s11, s12, s11
	s_cselect_b32 s7, s13, s7
	s_add_i32 s12, s11, 1
	s_cmp_ge_u32 s7, s2
	s_cselect_b32 s2, s12, s11
	s_xor_b32 s2, s2, s3
	s_sub_i32 s11, s2, s3
	s_abs_i32 s22, s11
	v_cvt_f32_u32_e32 v1, s22
	s_load_dwordx2 s[2:3], s[4:5], 0x40
	s_sub_i32 s7, 0, s22
	s_abs_i32 s23, s6
	v_rcp_iflag_f32_e32 v1, v1
	v_mul_f32_e32 v1, 0x4f7ffffe, v1
	v_cvt_u32_f32_e32 v1, v1
	v_readfirstlane_b32 s12, v1
	s_mul_i32 s7, s7, s12
	s_mul_hi_u32 s7, s12, s7
	s_add_i32 s12, s12, s7
	s_waitcnt lgkmcnt(0)
	s_cmp_eq_u64 s[2:3], 0
	s_mul_hi_u32 s24, s23, s12
	s_cbranch_scc1 .LBB7_2
; %bb.1:
	s_ashr_i32 s7, s6, 31
	s_lshl_b64 s[12:13], s[6:7], 2
	s_add_u32 s2, s2, s12
	s_addc_u32 s3, s3, s13
	s_load_dword s42, s[2:3], 0x0
.LBB7_2:
	s_load_dword s33, s[0:1], 0x0
	s_ashr_i32 s25, s11, 31
	s_load_dword s11, s[4:5], 0x88
	s_load_dwordx4 s[12:15], s[4:5], 0x48
	s_movk_i32 s0, 0xc0
	s_ashr_i32 s7, s6, 31
	v_and_b32_e32 v1, 7, v0
	s_mul_i32 s20, s6, 0xc0
	v_cmp_gt_u32_e32 vcc, s0, v0
	v_lshlrev_b32_e32 v3, 2, v0
	s_and_saveexec_b64 s[0:1], vcc
	s_cbranch_execz .LBB7_5
; %bb.3:
	s_load_dwordx2 s[2:3], s[4:5], 0x8
	s_waitcnt lgkmcnt(0)
	s_mul_i32 s16, s12, s10
	s_ashr_i32 s17, s16, 31
	s_lshl_b64 s[16:17], s[16:17], 2
	v_lshrrev_b32_e32 v4, 3, v0
	s_add_u32 s12, s2, s16
	s_addc_u32 s15, s3, s17
	s_ashr_i32 s21, s20, 31
	s_lshl_b64 s[2:3], s[20:21], 2
	s_add_u32 s2, s12, s2
	s_addc_u32 s3, s15, s3
	global_load_dword v5, v3, s[2:3]
	s_movk_i32 s12, 0x60
	v_lshlrev_b32_e32 v2, 2, v4
	v_mad_u32_u24 v2, v1, s12, v2
	v_cmp_gt_u32_e32 vcc, 64, v0
	s_waitcnt vmcnt(0)
	ds_write_b32 v2, v5
	s_and_b64 exec, exec, vcc
	s_cbranch_execz .LBB7_5
; %bb.4:
	v_lshlrev_b32_e32 v4, 5, v4
	v_lshlrev_b32_e32 v5, 2, v1
	s_movk_i32 s12, 0x200
	v_or3_b32 v4, v4, v5, s12
	global_load_dword v4, v4, s[2:3]
	s_waitcnt vmcnt(0)
	ds_write_b32 v2, v4 offset:64
.LBB7_5:
	s_or_b64 exec, exec, s[0:1]
	s_mul_i32 s1, s24, s22
	s_sub_i32 s1, s23, s1
	s_xor_b32 s0, s7, s25
	s_add_i32 s2, s24, 1
	s_sub_i32 s7, s1, s22
	s_load_dwordx4 s[16:19], s[4:5], 0x68
	s_load_dword s3, s[4:5], 0x78
	s_cmp_ge_u32 s1, s22
	s_cselect_b32 s2, s2, s24
	s_cselect_b32 s1, s7, s1
	s_add_i32 s7, s2, 1
	s_cmp_ge_u32 s1, s22
	s_cselect_b32 s1, s7, s2
	s_waitcnt lgkmcnt(0)
	s_abs_i32 s21, s19
	v_cvt_f32_u32_e32 v2, s21
	s_xor_b32 s1, s1, s0
	s_sub_i32 s2, s1, s0
	s_sub_i32 s0, 0, s21
	v_rcp_iflag_f32_e32 v2, v2
	s_add_i32 s15, s33, -1
	s_abs_i32 s7, s15
	v_mul_f32_e32 v2, 0x4f7ffffe, v2
	v_cvt_u32_f32_e32 v2, v2
	s_barrier
	v_readfirstlane_b32 s40, v2
	s_mul_i32 s0, s0, s40
	s_mul_hi_u32 s0, s40, s0
	s_add_i32 s40, s40, s0
	s_cmp_lt_i32 s3, 0
	s_mul_hi_u32 s12, s7, s40
	s_cbranch_scc0 .LBB7_7
; %bb.6:
	s_mul_i32 s0, s16, s30
	s_add_i32 s0, s2, s0
	s_mul_i32 s0, s0, s3
	s_sub_i32 s41, 1, s0
	s_mov_b64 s[0:1], 0
	s_branch .LBB7_8
.LBB7_7:
	s_mov_b64 s[0:1], -1
                                        ; implicit-def: $sgpr41
.LBB7_8:
	s_load_dwordx2 s[24:25], s[4:5], 0x28
	s_ashr_i32 s15, s15, 31
	s_andn2_b64 vcc, exec, s[0:1]
	s_ashr_i32 s19, s19, 31
	s_cbranch_vccnz .LBB7_10
; %bb.9:
	s_mul_i32 s0, s9, s16
	s_add_i32 s0, s0, s6
	s_mul_i32 s0, s0, s3
	s_add_i32 s41, s0, 1
.LBB7_10:
	s_load_dword s0, s[4:5], 0x38
	s_load_dwordx2 s[22:23], s[4:5], 0x0
	s_load_dwordx2 s[28:29], s[4:5], 0x18
	s_mul_i32 s3, s12, s21
	s_xor_b32 s1, s15, s19
	s_waitcnt lgkmcnt(0)
	s_mul_i32 s26, s0, s10
	s_sub_i32 s0, s7, s3
	s_ashr_i32 s27, s26, 31
	s_add_i32 s3, s12, 1
	s_sub_i32 s6, s0, s21
	s_cmp_ge_u32 s0, s21
	s_cselect_b32 s3, s3, s12
	s_cselect_b32 s0, s6, s0
	s_add_i32 s6, s3, 1
	s_cmp_ge_u32 s0, s21
	s_cselect_b32 s0, s6, s3
	s_xor_b32 s0, s0, s1
	s_sub_i32 s12, s0, s1
	s_add_i32 s0, s33, 7
	s_ashr_i32 s1, s0, 31
	s_lshr_b32 s1, s1, 29
	s_add_i32 s0, s0, s1
	s_ashr_i32 s16, s0, 3
	v_lshrrev_b32_e32 v31, 6, v0
	v_cmp_gt_i32_e64 s[0:1], s16, v31
	v_mov_b32_e32 v8, 0xff7fffff
	s_mul_i32 s14, s2, s14
	v_lshrrev_b32_e32 v4, 4, v0
	v_lshlrev_b32_e32 v32, 3, v31
	v_mbcnt_lo_u32_b32 v5, -1, 0
	s_and_saveexec_b64 s[34:35], s[0:1]
	s_cbranch_execz .LBB7_22
; %bb.11:
	s_load_dwordx2 s[2:3], s[4:5], 0x10
	s_ashr_i32 s15, s14, 31
	s_sub_i32 s30, s12, s17
	s_lshl_b64 s[4:5], s[14:15], 2
	v_bfe_u32 v6, v0, 3, 3
	s_waitcnt lgkmcnt(0)
	s_add_u32 s2, s2, s4
	s_addc_u32 s3, s3, s5
	s_abs_i32 s15, s18
	v_cvt_f32_u32_e32 v2, s15
	v_lshlrev_b32_e32 v7, 4, v6
	v_mov_b32_e32 v9, s3
	v_add_co_u32_e64 v7, s[2:3], s2, v7
	v_rcp_iflag_f32_e32 v2, v2
	v_and_b32_e32 v10, 3, v0
	v_addc_co_u32_e64 v9, s[2:3], 0, v9, s[2:3]
	v_mul_f32_e32 v2, 0x4f7ffffe, v2
	v_lshlrev_b32_e32 v10, 2, v10
	v_cvt_u32_f32_e32 v2, v2
	v_add_co_u32_e64 v10, s[2:3], v7, v10
	v_addc_co_u32_e64 v11, s[2:3], 0, v9, s[2:3]
	s_sub_i32 s2, 0, s15
	v_cmp_eq_u32_e32 vcc, 0, v1
	v_mul_u32_u24_e32 v7, 0x60, v1
	v_mul_lo_u32 v1, s2, v2
	v_lshlrev_b32_e32 v9, 5, v0
	v_and_b32_e32 v9, 0x80, v9
	v_add_co_u32_e64 v9, s[4:5], v10, v9
	v_mul_hi_u32 v1, v2, v1
	v_addc_co_u32_e64 v10, s[4:5], 0, v11, s[4:5]
	s_lshl_b64 s[4:5], s[26:27], 2
	v_lshlrev_b32_e32 v8, 2, v6
	s_add_u32 s4, s24, s4
	v_add_u32_e32 v11, v2, v1
	v_and_b32_e32 v1, 60, v4
	s_addc_u32 s5, s25, s5
	v_lshl_or_b32 v8, v31, 5, v8
	v_mbcnt_hi_u32_b32 v16, -1, v5
	v_mov_b32_e32 v2, s5
	v_add_co_u32_e64 v1, s[4:5], s4, v1
	v_subrev_u32_e32 v13, s33, v6
	v_add_u32_e32 v14, 0x310, v8
	v_and_b32_e32 v8, 64, v16
	s_mov_b32 s43, s13
	v_cmp_neq_f32_e64 s[2:3], s42, 0
	v_addc_co_u32_e64 v2, s[4:5], 0, v2, s[4:5]
	v_lshlrev_b32_e32 v12, 3, v31
	v_add_u32_e32 v13, 1, v13
	v_mov_b32_e32 v15, 0xff7fffff
	s_mov_b64 s[36:37], 0
	s_movk_i32 s44, 0x1000
	v_add_u32_e32 v17, 64, v8
	v_xor_b32_e32 v18, 4, v16
	v_xor_b32_e32 v19, 2, v16
	v_mov_b32_e32 v8, 0xff7fffff
	v_mov_b32_e32 v20, v31
	s_branch .LBB7_14
.LBB7_12:                               ;   in Loop: Header=BB7_14 Depth=1
	s_or_b64 exec, exec, s[38:39]
.LBB7_13:                               ;   in Loop: Header=BB7_14 Depth=1
	s_or_b64 exec, exec, s[6:7]
	v_add_co_u32_e64 v1, s[4:5], 8, v1
	v_add_u32_e32 v20, 2, v20
	v_addc_co_u32_e64 v2, s[4:5], 0, v2, s[4:5]
	v_cmp_le_i32_e64 s[4:5], s16, v20
	v_add_u32_e32 v12, 16, v12
	s_or_b64 s[36:37], s[4:5], s[36:37]
	v_add_u32_e32 v14, 64, v14
	s_andn2_b64 exec, exec, s[36:37]
	s_cbranch_execz .LBB7_21
.LBB7_14:                               ; =>This Inner Loop Header: Depth=1
	v_mul_hi_u32 v21, v12, s40
	s_waitcnt lgkmcnt(0)
	v_mul_lo_u32 v22, v21, s21
	v_add_u32_e32 v23, 1, v21
	v_sub_u32_e32 v22, v12, v22
	v_cmp_le_u32_e64 s[4:5], s21, v22
	v_cndmask_b32_e64 v21, v21, v23, s[4:5]
	v_subrev_u32_e32 v23, s21, v22
	v_cndmask_b32_e64 v22, v22, v23, s[4:5]
	v_add_u32_e32 v23, 1, v21
	v_cmp_le_u32_e64 s[4:5], s21, v22
	v_cndmask_b32_e64 v21, v21, v23, s[4:5]
	v_xor_b32_e32 v21, s19, v21
	v_subrev_u32_e32 v21, s19, v21
	v_add_u32_e32 v22, s41, v21
	v_sub_u32_e32 v23, 0, v22
	v_max_i32_e32 v23, v22, v23
	v_mul_hi_u32 v24, v23, v11
	v_ashrrev_i32_e32 v22, 31, v22
	v_cmp_ge_i32_e64 s[6:7], s30, v21
	v_mul_lo_u32 v24, v24, s15
	v_sub_u32_e32 v23, v23, v24
	v_subrev_u32_e32 v24, s15, v23
	v_cmp_le_u32_e64 s[4:5], s15, v23
	v_cndmask_b32_e64 v23, v23, v24, s[4:5]
	v_subrev_u32_e32 v24, s15, v23
	v_cmp_le_u32_e64 s[4:5], s15, v23
	v_cndmask_b32_e64 v23, v23, v24, s[4:5]
	v_xor_b32_e32 v23, v23, v22
	v_sub_u32_e32 v22, v23, v22
	v_cmp_ne_u32_e64 s[4:5], 0, v22
	s_and_b64 s[4:5], s[4:5], s[6:7]
	s_and_saveexec_b64 s[6:7], s[4:5]
	s_xor_b64 s[4:5], exec, s[6:7]
	s_cbranch_execz .LBB7_18
; %bb.15:                               ;   in Loop: Header=BB7_14 Depth=1
	s_and_saveexec_b64 s[6:7], vcc
; %bb.16:                               ;   in Loop: Header=BB7_14 Depth=1
	ds_write_b32 v14, v15
; %bb.17:                               ;   in Loop: Header=BB7_14 Depth=1
	s_or_b64 exec, exec, s[6:7]
.LBB7_18:                               ;   in Loop: Header=BB7_14 Depth=1
	s_andn2_saveexec_b64 s[6:7], s[4:5]
	s_cbranch_execz .LBB7_13
; %bb.19:                               ;   in Loop: Header=BB7_14 Depth=1
	global_load_dword v21, v[1:2], off
	s_waitcnt vmcnt(0)
	v_mad_i64_i32 v[21:22], s[4:5], v21, s43, 0
	v_lshlrev_b64 v[21:22], 2, v[21:22]
	v_add_co_u32_e64 v33, s[4:5], v9, v21
	v_addc_co_u32_e64 v34, s[4:5], v10, v22, s[4:5]
	global_load_dword v21, v[33:34], off offset:256
	ds_read_b128 v[22:25], v7
	global_load_dword v30, v[33:34], off offset:512
	global_load_dword v35, v[33:34], off offset:768
	;; [unrolled: 1-line block ×6, first 2 shown]
	ds_read_b128 v[26:29], v7 offset:16
	s_waitcnt vmcnt(6) lgkmcnt(1)
	v_mul_f32_e32 v21, v23, v21
	global_load_dword v23, v[33:34], off
	s_waitcnt vmcnt(0)
	v_fmac_f32_e32 v21, v22, v23
	v_fmac_f32_e32 v21, v24, v30
	;; [unrolled: 1-line block ×3, first 2 shown]
	global_load_dword v30, v[33:34], off offset:2048
	global_load_dword v35, v[33:34], off offset:2304
	;; [unrolled: 1-line block ×4, first 2 shown]
	s_waitcnt lgkmcnt(0)
	v_fmac_f32_e32 v21, v26, v36
	v_fmac_f32_e32 v21, v27, v37
	;; [unrolled: 1-line block ×4, first 2 shown]
	ds_read_b128 v[22:25], v7 offset:32
	global_load_dword v36, v[33:34], off offset:3072
	global_load_dword v37, v[33:34], off offset:3328
	;; [unrolled: 1-line block ×4, first 2 shown]
	ds_read_b128 v[26:29], v7 offset:48
	s_waitcnt vmcnt(7) lgkmcnt(1)
	v_fmac_f32_e32 v21, v22, v30
	s_waitcnt vmcnt(6)
	v_fmac_f32_e32 v21, v23, v35
	v_add_co_u32_e64 v22, s[4:5], s44, v33
	s_waitcnt vmcnt(5)
	v_fmac_f32_e32 v21, v24, v40
	v_addc_co_u32_e64 v23, s[4:5], 0, v34, s[4:5]
	s_waitcnt vmcnt(4)
	v_fmac_f32_e32 v21, v25, v41
	global_load_dword v30, v[22:23], off
	global_load_dword v33, v[22:23], off offset:256
	global_load_dword v34, v[22:23], off offset:512
	;; [unrolled: 1-line block ×7, first 2 shown]
	s_waitcnt vmcnt(11) lgkmcnt(0)
	v_fmac_f32_e32 v21, v26, v36
	s_waitcnt vmcnt(10)
	v_fmac_f32_e32 v21, v27, v37
	s_waitcnt vmcnt(9)
	;; [unrolled: 2-line block ×3, first 2 shown]
	v_fmac_f32_e32 v21, v29, v39
	ds_read_b128 v[22:25], v7 offset:64
	ds_read_b128 v[26:29], v7 offset:80
	v_cmp_lt_i32_e64 s[4:5], v18, v17
	s_waitcnt vmcnt(7) lgkmcnt(1)
	v_fmac_f32_e32 v21, v22, v30
	s_waitcnt vmcnt(6)
	v_fmac_f32_e32 v21, v23, v33
	s_waitcnt vmcnt(5)
	;; [unrolled: 2-line block ×3, first 2 shown]
	v_fmac_f32_e32 v21, v25, v35
	s_waitcnt vmcnt(3) lgkmcnt(0)
	v_fmac_f32_e32 v21, v26, v40
	s_waitcnt vmcnt(2)
	v_fmac_f32_e32 v21, v27, v41
	v_cndmask_b32_e64 v22, v16, v18, s[4:5]
	s_waitcnt vmcnt(1)
	v_fmac_f32_e32 v21, v28, v42
	v_lshlrev_b32_e32 v22, 2, v22
	s_waitcnt vmcnt(0)
	v_fmac_f32_e32 v21, v29, v43
	ds_bpermute_b32 v22, v22, v21
	v_cmp_lt_i32_e64 s[4:5], v19, v17
	v_cndmask_b32_e64 v23, v16, v19, s[4:5]
	v_lshlrev_b32_e32 v23, 2, v23
	s_waitcnt lgkmcnt(0)
	v_add_f32_e32 v21, v21, v22
	ds_bpermute_b32 v22, v23, v21
	v_xor_b32_e32 v23, 1, v16
	v_cmp_lt_i32_e64 s[4:5], v23, v17
	v_cndmask_b32_e64 v23, v16, v23, s[4:5]
	v_lshlrev_b32_e32 v23, 2, v23
	s_waitcnt lgkmcnt(0)
	v_add_f32_e32 v21, v21, v22
	ds_bpermute_b32 v22, v23, v21
	s_and_saveexec_b64 s[38:39], vcc
	s_cbranch_execz .LBB7_12
; %bb.20:                               ;   in Loop: Header=BB7_14 Depth=1
	v_add_u32_e32 v23, v13, v12
	v_cvt_f32_i32_e32 v23, v23
	s_waitcnt lgkmcnt(0)
	v_add_f32_e32 v21, v21, v22
	v_add_u32_e32 v24, v6, v12
	v_cmp_gt_i32_e64 s[4:5], s33, v24
	v_mul_f32_e32 v22, s42, v23
	v_cndmask_b32_e64 v22, 0, v22, s[2:3]
	v_fmac_f32_e32 v22, s31, v21
	v_cndmask_b32_e64 v21, 0, v22, s[4:5]
	ds_write_b32 v14, v21
	v_max_f32_e32 v21, v8, v8
	v_max_f32_e32 v21, v21, v22
	v_cndmask_b32_e64 v8, v8, v21, s[4:5]
	s_branch .LBB7_12
.LBB7_21:
	s_or_b64 exec, exec, s[36:37]
.LBB7_22:
	s_or_b64 exec, exec, s[34:35]
	v_mbcnt_hi_u32_b32 v1, -1, v5
	v_and_b32_e32 v10, 64, v1
	v_add_u32_e32 v2, 64, v10
	v_xor_b32_e32 v5, 32, v1
	v_cmp_lt_i32_e32 vcc, v5, v2
	v_cndmask_b32_e32 v5, v1, v5, vcc
	v_lshlrev_b32_e32 v6, 2, v5
	ds_bpermute_b32 v5, v6, v8
	v_max_f32_e32 v7, v8, v8
	v_xor_b32_e32 v8, 16, v1
	v_cmp_lt_i32_e32 vcc, v8, v2
	v_xor_b32_e32 v9, 8, v1
	s_waitcnt lgkmcnt(0)
	v_max_f32_e32 v5, v5, v5
	v_max_f32_e32 v5, v7, v5
	v_cndmask_b32_e32 v7, v1, v8, vcc
	v_lshlrev_b32_e32 v8, 2, v7
	ds_bpermute_b32 v7, v8, v5
	v_cmp_lt_i32_e32 vcc, v9, v2
	v_and_b32_e32 v33, 63, v0
	s_waitcnt lgkmcnt(0)
	v_max_f32_e32 v7, v7, v7
	v_max_f32_e32 v7, v5, v7
	v_cndmask_b32_e32 v5, v1, v9, vcc
	v_lshlrev_b32_e32 v9, 2, v5
	ds_bpermute_b32 v11, v9, v7
	v_cmp_eq_u32_e32 vcc, 0, v33
	v_lshlrev_b32_e32 v5, 2, v31
	s_and_saveexec_b64 s[2:3], vcc
	s_cbranch_execz .LBB7_24
; %bb.23:
	s_waitcnt lgkmcnt(0)
	v_max_f32_e32 v11, v11, v11
	v_max_f32_e32 v7, v7, v7
	v_max_f32_e32 v7, v7, v11
	ds_write_b32 v5, v7 offset:768
.LBB7_24:
	s_or_b64 exec, exec, s[2:3]
	v_cmp_gt_u32_e64 s[2:3], 2, v33
	s_waitcnt lgkmcnt(0)
	v_mov_b32_e32 v11, 0xff7fffff
	v_lshlrev_b32_e32 v7, 2, v33
	s_barrier
	s_and_saveexec_b64 s[4:5], s[2:3]
; %bb.25:
	ds_read_b32 v11, v7 offset:768
; %bb.26:
	s_or_b64 exec, exec, s[4:5]
	v_xor_b32_e32 v12, 1, v1
	v_cmp_lt_i32_e64 s[4:5], v12, v2
	v_cndmask_b32_e64 v12, v1, v12, s[4:5]
	v_lshlrev_b32_e32 v34, 2, v12
	s_waitcnt lgkmcnt(0)
	ds_bpermute_b32 v12, v34, v11
	v_max_f32_e32 v11, v11, v11
	v_lshlrev_b32_e32 v10, 2, v10
	s_lshl_b32 s4, s16, 3
	s_min_i32 s15, s4, s33
	s_waitcnt lgkmcnt(0)
	v_max_f32_e32 v12, v12, v12
	v_max_f32_e32 v11, v11, v12
	ds_bpermute_b32 v11, v10, v11
	v_cmp_gt_i32_e64 s[4:5], s15, v0
	v_mov_b32_e32 v10, 0
	s_and_saveexec_b64 s[30:31], s[4:5]
	s_cbranch_execz .LBB7_30
; %bb.27:
	v_mov_b32_e32 v10, 0x310
	v_lshl_add_u32 v12, v0, 2, v10
	v_mov_b32_e32 v10, 0
	s_mov_b64 s[34:35], 0
	v_mov_b32_e32 v13, v0
.LBB7_28:                               ; =>This Inner Loop Header: Depth=1
	ds_read_b32 v14, v12
	v_add_u32_e32 v13, 0x80, v13
	v_cmp_le_i32_e64 s[6:7], s15, v13
	s_or_b64 s[34:35], s[6:7], s[34:35]
	s_waitcnt lgkmcnt(0)
	v_sub_f32_e32 v14, v14, v11
	v_mul_f32_e32 v14, 0x3fb8aa3b, v14
	v_exp_f32_e32 v14, v14
	ds_write_b32 v12, v14
	v_add_f32_e32 v10, v10, v14
	v_add_u32_e32 v12, 0x200, v12
	s_andn2_b64 exec, exec, s[34:35]
	s_cbranch_execnz .LBB7_28
; %bb.29:
	s_or_b64 exec, exec, s[34:35]
.LBB7_30:
	s_or_b64 exec, exec, s[30:31]
	ds_bpermute_b32 v6, v6, v10
	s_waitcnt lgkmcnt(0)
	v_add_f32_e32 v6, v10, v6
	ds_bpermute_b32 v8, v8, v6
	s_waitcnt lgkmcnt(0)
	v_add_f32_e32 v6, v6, v8
	ds_bpermute_b32 v8, v9, v6
	v_xor_b32_e32 v9, 4, v1
	v_cmp_lt_i32_e64 s[6:7], v9, v2
	v_cndmask_b32_e64 v9, v1, v9, s[6:7]
	v_lshlrev_b32_e32 v9, 2, v9
	s_waitcnt lgkmcnt(0)
	v_add_f32_e32 v6, v6, v8
	ds_bpermute_b32 v8, v9, v6
	v_xor_b32_e32 v9, 2, v1
	v_cmp_lt_i32_e64 s[6:7], v9, v2
	v_cndmask_b32_e64 v2, v1, v9, s[6:7]
	v_lshlrev_b32_e32 v2, 2, v2
	s_waitcnt lgkmcnt(0)
	v_add_f32_e32 v6, v6, v8
	ds_bpermute_b32 v2, v2, v6
	s_waitcnt lgkmcnt(0)
	v_add_f32_e32 v2, v6, v2
	ds_bpermute_b32 v6, v34, v2
	s_waitcnt lgkmcnt(0)
	v_add_f32_e32 v2, v2, v6
	s_and_saveexec_b64 s[6:7], vcc
; %bb.31:
	ds_write_b32 v5, v2 offset:776
; %bb.32:
	s_or_b64 exec, exec, s[6:7]
	s_waitcnt lgkmcnt(0)
	s_barrier
	s_and_saveexec_b64 s[6:7], s[2:3]
; %bb.33:
	ds_read_b32 v2, v7 offset:776
; %bb.34:
	s_or_b64 exec, exec, s[6:7]
	s_waitcnt lgkmcnt(0)
	ds_bpermute_b32 v5, v34, v2
	v_lshlrev_b32_e32 v1, 2, v1
	v_and_b32_e32 v1, 0x100, v1
	s_waitcnt lgkmcnt(0)
	v_add_f32_e32 v2, v2, v5
	ds_bpermute_b32 v1, v1, v2
	s_and_saveexec_b64 s[2:3], s[4:5]
	s_cbranch_execz .LBB7_37
; %bb.35:
	s_waitcnt lgkmcnt(0)
	v_add_f32_e32 v2, 0x358637bd, v1
	v_div_scale_f32 v1, s[4:5], v2, v2, 1.0
	v_div_scale_f32 v5, vcc, 1.0, v2, 1.0
	s_mov_b64 s[4:5], 0
	v_rcp_f32_e32 v6, v1
	v_fma_f32 v7, -v1, v6, 1.0
	v_fmac_f32_e32 v6, v7, v6
	v_mul_f32_e32 v7, v5, v6
	v_fma_f32 v8, -v1, v7, v5
	v_fmac_f32_e32 v7, v8, v6
	v_fma_f32 v1, -v1, v7, v5
	v_div_fmas_f32 v5, v1, v6, v7
	v_mov_b32_e32 v1, 0x310
	v_lshl_add_u32 v1, v0, 2, v1
	v_div_fixup_f32 v2, v5, v2, 1.0
	v_mov_b32_e32 v5, v0
.LBB7_36:                               ; =>This Inner Loop Header: Depth=1
	ds_read_b32 v6, v1
	v_add_u32_e32 v5, 0x80, v5
	v_cmp_le_i32_e32 vcc, s15, v5
	s_or_b64 s[4:5], vcc, s[4:5]
	s_waitcnt lgkmcnt(0)
	v_mul_f32_e32 v6, v2, v6
	ds_write_b32 v1, v6
	v_add_u32_e32 v1, 0x200, v1
	s_andn2_b64 exec, exec, s[4:5]
	s_cbranch_execnz .LBB7_36
.LBB7_37:
	s_or_b64 exec, exec, s[2:3]
	v_mov_b32_e32 v42, 0
	v_and_b32_e32 v35, 1, v0
	v_mov_b32_e32 v41, 0
	v_mov_b32_e32 v39, 0
	;; [unrolled: 1-line block ×5, first 2 shown]
	s_waitcnt lgkmcnt(0)
	s_barrier
	s_and_saveexec_b64 s[2:3], s[0:1]
	s_cbranch_execz .LBB7_55
; %bb.38:
	s_ashr_i32 s15, s14, 31
	s_sub_i32 s17, s12, s17
	s_lshl_b64 s[0:1], s[14:15], 2
	s_add_u32 s0, s28, s0
	s_addc_u32 s1, s29, s1
	s_abs_i32 s14, s18
	v_cvt_f32_u32_e32 v1, s14
	s_sub_i32 s4, 0, s14
	v_and_b32_e32 v40, 4, v3
	v_and_b32_e32 v3, 60, v4
	v_rcp_iflag_f32_e32 v1, v1
	v_lshlrev_b32_e32 v2, 4, v0
	v_and_b32_e32 v2, 0x3f0, v2
	s_add_i32 s18, s16, -1
	v_mul_f32_e32 v1, 0x4f7ffffe, v1
	v_cvt_u32_f32_e32 v1, v1
	v_mov_b32_e32 v5, s1
	v_add_co_u32_e32 v43, vcc, s0, v2
	v_mul_lo_u32 v4, s4, v1
	s_lshl_b64 s[0:1], s[26:27], 2
	s_add_u32 s0, s24, s0
	v_addc_co_u32_e32 v44, vcc, 0, v5, vcc
	v_mul_hi_u32 v4, v1, v4
	s_addc_u32 s1, s25, s1
	v_add_co_u32_e32 v29, vcc, s0, v3
	v_add_u32_e32 v45, v1, v4
	v_mov_b32_e32 v1, s1
	v_addc_co_u32_e32 v30, vcc, 0, v1, vcc
	v_lshlrev_b32_e32 v1, 4, v35
	v_lshl_or_b32 v1, v31, 5, v1
	s_mov_b32 s15, s13
	v_mov_b32_e32 v36, 0
	v_add_u32_e32 v46, 0x310, v1
	s_mov_b64 s[4:5], 0
	v_mov_b32_e32 v37, 0
	v_mov_b32_e32 v38, 0
	;; [unrolled: 1-line block ×5, first 2 shown]
	s_branch .LBB7_41
.LBB7_39:                               ;   in Loop: Header=BB7_41 Depth=1
	s_or_b64 exec, exec, s[12:13]
	s_waitcnt vmcnt(1) lgkmcnt(0)
	v_mul_f32_e32 v25, v1, v25
	v_mul_f32_e32 v17, v1, v17
	;; [unrolled: 1-line block ×5, first 2 shown]
	s_waitcnt vmcnt(0)
	v_mul_f32_e32 v1, v1, v21
	v_fmac_f32_e32 v25, v2, v26
	v_fmac_f32_e32 v17, v2, v18
	;; [unrolled: 1-line block ×18, first 2 shown]
	v_add_f32_e32 v37, v37, v25
	v_add_f32_e32 v38, v38, v17
	;; [unrolled: 1-line block ×6, first 2 shown]
.LBB7_40:                               ;   in Loop: Header=BB7_41 Depth=1
	s_or_b64 exec, exec, s[6:7]
	v_add_co_u32_e32 v29, vcc, 8, v29
	v_add_u32_e32 v31, 2, v31
	v_addc_co_u32_e32 v30, vcc, 0, v30, vcc
	v_cmp_le_i32_e32 vcc, s16, v31
	v_add_u32_e32 v32, 16, v32
	s_or_b64 s[4:5], vcc, s[4:5]
	v_add_u32_e32 v46, 64, v46
	s_andn2_b64 exec, exec, s[4:5]
	s_cbranch_execz .LBB7_54
.LBB7_41:                               ; =>This Inner Loop Header: Depth=1
	v_mul_hi_u32 v1, v32, s40
	v_mul_lo_u32 v2, v1, s21
	v_add_u32_e32 v3, 1, v1
	v_sub_u32_e32 v2, v32, v2
	v_cmp_le_u32_e32 vcc, s21, v2
	v_cndmask_b32_e32 v1, v1, v3, vcc
	v_subrev_u32_e32 v3, s21, v2
	v_cndmask_b32_e32 v2, v2, v3, vcc
	v_add_u32_e32 v3, 1, v1
	v_cmp_le_u32_e32 vcc, s21, v2
	v_cndmask_b32_e32 v1, v1, v3, vcc
	v_xor_b32_e32 v1, s19, v1
	v_subrev_u32_e32 v1, s19, v1
	v_add_u32_e32 v2, s41, v1
	v_sub_u32_e32 v3, 0, v2
	v_max_i32_e32 v3, v2, v3
	v_mul_hi_u32 v4, v3, v45
	v_ashrrev_i32_e32 v2, 31, v2
	v_cmp_lt_i32_e64 s[0:1], s17, v1
	v_mul_lo_u32 v4, v4, s14
	v_sub_u32_e32 v3, v3, v4
	v_subrev_u32_e32 v4, s14, v3
	v_cmp_le_u32_e32 vcc, s14, v3
	v_cndmask_b32_e32 v3, v3, v4, vcc
	v_subrev_u32_e32 v4, s14, v3
	v_cmp_le_u32_e32 vcc, s14, v3
	v_cndmask_b32_e32 v3, v3, v4, vcc
	v_xor_b32_e32 v3, v3, v2
	v_sub_u32_e32 v2, v3, v2
	v_cmp_eq_u32_e32 vcc, 0, v2
	s_or_b64 s[0:1], vcc, s[0:1]
	s_and_saveexec_b64 s[6:7], s[0:1]
	s_cbranch_execz .LBB7_40
; %bb.42:                               ;   in Loop: Header=BB7_41 Depth=1
	global_load_dword v1, v[29:30], off
	v_add_u32_e32 v47, v40, v32
	v_add_u32_e32 v50, 1, v47
	v_add_u32_e32 v49, 2, v47
	v_add_u32_e32 v48, 3, v47
	s_waitcnt vmcnt(0)
	v_mad_i64_i32 v[1:2], s[0:1], v1, s15, 0
	v_cmp_eq_u32_e64 s[0:1], s18, v31
	v_lshlrev_b64 v[1:2], 2, v[1:2]
	v_add_co_u32_e32 v21, vcc, v43, v1
	v_addc_co_u32_e32 v22, vcc, v44, v2, vcc
	global_load_dwordx4 v[5:8], v[21:22], off
	ds_read_b128 v[1:4], v46
	s_and_saveexec_b64 s[12:13], s[0:1]
	s_cbranch_execnz .LBB7_51
; %bb.43:                               ;   in Loop: Header=BB7_41 Depth=1
	s_or_b64 exec, exec, s[12:13]
	global_load_dwordx4 v[9:12], v[21:22], off offset:1024
	s_and_saveexec_b64 s[12:13], s[0:1]
	s_cbranch_execnz .LBB7_52
.LBB7_44:                               ;   in Loop: Header=BB7_41 Depth=1
	s_or_b64 exec, exec, s[12:13]
	global_load_dwordx4 v[13:16], v[21:22], off offset:2048
	s_and_saveexec_b64 s[12:13], s[0:1]
	s_cbranch_execnz .LBB7_53
.LBB7_45:                               ;   in Loop: Header=BB7_41 Depth=1
	s_or_b64 exec, exec, s[12:13]
	global_load_dwordx4 v[17:20], v[21:22], off offset:3072
	s_and_saveexec_b64 s[12:13], s[0:1]
	s_cbranch_execz .LBB7_47
.LBB7_46:                               ;   in Loop: Header=BB7_41 Depth=1
	v_cmp_gt_i32_e32 vcc, s33, v47
	s_waitcnt vmcnt(0)
	v_cndmask_b32_e32 v17, 0, v17, vcc
	v_cmp_gt_i32_e32 vcc, s33, v50
	v_cndmask_b32_e32 v18, 0, v18, vcc
	v_cmp_gt_i32_e32 vcc, s33, v49
	;; [unrolled: 2-line block ×3, first 2 shown]
	v_cndmask_b32_e32 v20, 0, v20, vcc
.LBB7_47:                               ;   in Loop: Header=BB7_41 Depth=1
	s_or_b64 exec, exec, s[12:13]
	v_add_co_u32_e32 v23, vcc, 0x1000, v21
	v_addc_co_u32_e32 v24, vcc, 0, v22, vcc
	global_load_dwordx4 v[25:28], v[23:24], off
	s_and_saveexec_b64 s[12:13], s[0:1]
	s_cbranch_execz .LBB7_49
; %bb.48:                               ;   in Loop: Header=BB7_41 Depth=1
	v_cmp_gt_i32_e32 vcc, s33, v47
	s_waitcnt vmcnt(0)
	v_cndmask_b32_e32 v25, 0, v25, vcc
	v_cmp_gt_i32_e32 vcc, s33, v50
	v_cndmask_b32_e32 v26, 0, v26, vcc
	v_cmp_gt_i32_e32 vcc, s33, v49
	;; [unrolled: 2-line block ×3, first 2 shown]
	v_cndmask_b32_e32 v28, 0, v28, vcc
.LBB7_49:                               ;   in Loop: Header=BB7_41 Depth=1
	s_or_b64 exec, exec, s[12:13]
	v_add_co_u32_e32 v21, vcc, 0x1000, v21
	v_addc_co_u32_e32 v22, vcc, 0, v22, vcc
	global_load_dwordx4 v[21:24], v[21:22], off offset:1024
	s_and_saveexec_b64 s[12:13], s[0:1]
	s_cbranch_execz .LBB7_39
; %bb.50:                               ;   in Loop: Header=BB7_41 Depth=1
	v_cmp_gt_i32_e32 vcc, s33, v47
	s_waitcnt vmcnt(0)
	v_cndmask_b32_e32 v21, 0, v21, vcc
	v_cmp_gt_i32_e32 vcc, s33, v50
	v_cndmask_b32_e32 v22, 0, v22, vcc
	v_cmp_gt_i32_e32 vcc, s33, v49
	;; [unrolled: 2-line block ×3, first 2 shown]
	v_cndmask_b32_e32 v24, 0, v24, vcc
	s_branch .LBB7_39
.LBB7_51:                               ;   in Loop: Header=BB7_41 Depth=1
	v_cmp_gt_i32_e32 vcc, s33, v47
	s_waitcnt vmcnt(0)
	v_cndmask_b32_e32 v5, 0, v5, vcc
	v_cmp_gt_i32_e32 vcc, s33, v50
	v_cndmask_b32_e32 v6, 0, v6, vcc
	v_cmp_gt_i32_e32 vcc, s33, v49
	;; [unrolled: 2-line block ×3, first 2 shown]
	v_cndmask_b32_e32 v8, 0, v8, vcc
	s_or_b64 exec, exec, s[12:13]
	global_load_dwordx4 v[9:12], v[21:22], off offset:1024
	s_and_saveexec_b64 s[12:13], s[0:1]
	s_cbranch_execz .LBB7_44
.LBB7_52:                               ;   in Loop: Header=BB7_41 Depth=1
	v_cmp_gt_i32_e32 vcc, s33, v47
	s_waitcnt vmcnt(0)
	v_cndmask_b32_e32 v9, 0, v9, vcc
	v_cmp_gt_i32_e32 vcc, s33, v50
	v_cndmask_b32_e32 v10, 0, v10, vcc
	v_cmp_gt_i32_e32 vcc, s33, v49
	;; [unrolled: 2-line block ×3, first 2 shown]
	v_cndmask_b32_e32 v12, 0, v12, vcc
	s_or_b64 exec, exec, s[12:13]
	global_load_dwordx4 v[13:16], v[21:22], off offset:2048
	s_and_saveexec_b64 s[12:13], s[0:1]
	s_cbranch_execz .LBB7_45
.LBB7_53:                               ;   in Loop: Header=BB7_41 Depth=1
	v_cmp_gt_i32_e32 vcc, s33, v47
	s_waitcnt vmcnt(0)
	v_cndmask_b32_e32 v13, 0, v13, vcc
	v_cmp_gt_i32_e32 vcc, s33, v50
	v_cndmask_b32_e32 v14, 0, v14, vcc
	v_cmp_gt_i32_e32 vcc, s33, v49
	v_cndmask_b32_e32 v15, 0, v15, vcc
	v_cmp_gt_i32_e32 vcc, s33, v48
	v_cndmask_b32_e32 v16, 0, v16, vcc
	s_or_b64 exec, exec, s[12:13]
	global_load_dwordx4 v[17:20], v[21:22], off offset:3072
	s_and_saveexec_b64 s[12:13], s[0:1]
	s_cbranch_execnz .LBB7_46
	s_branch .LBB7_47
.LBB7_54:
	s_or_b64 exec, exec, s[4:5]
.LBB7_55:
	s_or_b64 exec, exec, s[2:3]
	ds_bpermute_b32 v1, v34, v42
	ds_bpermute_b32 v2, v34, v41
	;; [unrolled: 1-line block ×6, first 2 shown]
	v_and_b32_e32 v7, 0x3c1, v0
	s_waitcnt lgkmcnt(5)
	v_add_f32_e32 v1, v42, v1
	s_waitcnt lgkmcnt(4)
	v_add_f32_e32 v2, v41, v2
	;; [unrolled: 2-line block ×6, first 2 shown]
	v_cmp_eq_u32_e32 vcc, 64, v7
	s_barrier
	s_and_saveexec_b64 s[0:1], vcc
	s_cbranch_execz .LBB7_57
; %bb.56:
	v_mov_b32_e32 v8, 0x310
	v_lshl_add_u32 v8, v33, 1, v8
	ds_write2_b32 v8, v1, v2 offset1:32
	ds_write2_b32 v8, v3, v4 offset0:64 offset1:96
	ds_write2_b32 v8, v5, v6 offset0:128 offset1:160
.LBB7_57:
	s_or_b64 exec, exec, s[0:1]
	v_cmp_gt_u32_e32 vcc, 64, v0
	v_lshrrev_b32_e32 v0, 1, v0
	s_waitcnt lgkmcnt(0)
	s_barrier
	s_and_saveexec_b64 s[0:1], vcc
	s_cbranch_execz .LBB7_66
; %bb.58:
	v_mov_b32_e32 v8, 0x310
	v_cmp_eq_u32_e32 vcc, 0, v35
	v_lshl_add_u32 v8, v0, 2, v8
	s_and_saveexec_b64 s[2:3], vcc
	s_cbranch_execnz .LBB7_69
; %bb.59:
	s_or_b64 exec, exec, s[2:3]
	s_and_saveexec_b64 s[2:3], vcc
	s_cbranch_execnz .LBB7_70
.LBB7_60:
	s_or_b64 exec, exec, s[2:3]
	s_and_saveexec_b64 s[2:3], vcc
	s_cbranch_execnz .LBB7_71
.LBB7_61:
	s_or_b64 exec, exec, s[2:3]
	s_and_saveexec_b64 s[2:3], vcc
	s_cbranch_execnz .LBB7_72
.LBB7_62:
	s_or_b64 exec, exec, s[2:3]
	s_and_saveexec_b64 s[2:3], vcc
	s_cbranch_execnz .LBB7_73
.LBB7_63:
	s_or_b64 exec, exec, s[2:3]
	s_and_saveexec_b64 s[2:3], vcc
	s_cbranch_execz .LBB7_65
.LBB7_64:
	ds_read_b32 v8, v8 offset:640
	s_waitcnt lgkmcnt(0)
	v_add_f32_e32 v6, v6, v8
.LBB7_65:
	s_or_b64 exec, exec, s[2:3]
.LBB7_66:
	s_or_b64 exec, exec, s[0:1]
	v_cmp_eq_u32_e32 vcc, 0, v7
	s_barrier
	s_and_saveexec_b64 s[0:1], vcc
	s_cbranch_execz .LBB7_68
; %bb.67:
	s_mul_i32 s0, s10, s11
	s_mul_i32 s0, s0, s9
	s_mulk_i32 s0, 0xc0
	s_ashr_i32 s1, s0, 31
	s_lshl_b64 s[0:1], s[0:1], 2
	s_add_u32 s2, s22, s0
	s_mul_i32 s0, s11, s20
	s_addc_u32 s3, s23, s1
	s_ashr_i32 s1, s0, 31
	s_lshl_b64 s[0:1], s[0:1], 2
	s_add_u32 s2, s2, s0
	s_mul_i32 s0, s8, 0xc0
	s_addc_u32 s3, s3, s1
	s_ashr_i32 s1, s0, 31
	s_lshl_b64 s[0:1], s[0:1], 2
	s_add_u32 s0, s2, s0
	s_addc_u32 s1, s3, s1
	v_lshlrev_b32_e32 v0, 2, v0
	global_store_dword v0, v1, s[0:1]
	global_store_dword v0, v2, s[0:1] offset:128
	global_store_dword v0, v3, s[0:1] offset:256
	;; [unrolled: 1-line block ×5, first 2 shown]
.LBB7_68:
	s_endpgm
.LBB7_69:
	ds_read_b32 v9, v8
	s_waitcnt lgkmcnt(0)
	v_add_f32_e32 v1, v1, v9
	s_or_b64 exec, exec, s[2:3]
	s_and_saveexec_b64 s[2:3], vcc
	s_cbranch_execz .LBB7_60
.LBB7_70:
	ds_read_b32 v9, v8 offset:128
	s_waitcnt lgkmcnt(0)
	v_add_f32_e32 v2, v2, v9
	s_or_b64 exec, exec, s[2:3]
	s_and_saveexec_b64 s[2:3], vcc
	s_cbranch_execz .LBB7_61
.LBB7_71:
	ds_read_b32 v9, v8 offset:256
	s_waitcnt lgkmcnt(0)
	v_add_f32_e32 v3, v3, v9
	s_or_b64 exec, exec, s[2:3]
	s_and_saveexec_b64 s[2:3], vcc
	s_cbranch_execz .LBB7_62
.LBB7_72:
	ds_read_b32 v9, v8 offset:384
	s_waitcnt lgkmcnt(0)
	v_add_f32_e32 v4, v4, v9
	s_or_b64 exec, exec, s[2:3]
	s_and_saveexec_b64 s[2:3], vcc
	s_cbranch_execz .LBB7_63
.LBB7_73:
	ds_read_b32 v9, v8 offset:512
	s_waitcnt lgkmcnt(0)
	v_add_f32_e32 v5, v5, v9
	s_or_b64 exec, exec, s[2:3]
	s_and_saveexec_b64 s[2:3], vcc
	s_cbranch_execnz .LBB7_64
	s_branch .LBB7_65
	.section	.rodata,"a",@progbits
	.p2align	6, 0x0
	.amdhsa_kernel _ZN4vllm25paged_attention_v1_kernelIffLi192ELi8ELi128ELNS_18Fp8KVCacheDataTypeE0ELb1EEEvPT_PKS2_PKT0_S8_ifPKiSA_iPKfiiiSC_SC_iiiii
		.amdhsa_group_segment_fixed_size 784
		.amdhsa_private_segment_fixed_size 0
		.amdhsa_kernarg_size 384
		.amdhsa_user_sgpr_count 6
		.amdhsa_user_sgpr_private_segment_buffer 1
		.amdhsa_user_sgpr_dispatch_ptr 0
		.amdhsa_user_sgpr_queue_ptr 0
		.amdhsa_user_sgpr_kernarg_segment_ptr 1
		.amdhsa_user_sgpr_dispatch_id 0
		.amdhsa_user_sgpr_flat_scratch_init 0
		.amdhsa_user_sgpr_private_segment_size 0
		.amdhsa_uses_dynamic_stack 0
		.amdhsa_system_sgpr_private_segment_wavefront_offset 0
		.amdhsa_system_sgpr_workgroup_id_x 1
		.amdhsa_system_sgpr_workgroup_id_y 1
		.amdhsa_system_sgpr_workgroup_id_z 1
		.amdhsa_system_sgpr_workgroup_info 0
		.amdhsa_system_vgpr_workitem_id 0
		.amdhsa_next_free_vgpr 51
		.amdhsa_next_free_sgpr 45
		.amdhsa_reserve_vcc 1
		.amdhsa_reserve_flat_scratch 0
		.amdhsa_float_round_mode_32 0
		.amdhsa_float_round_mode_16_64 0
		.amdhsa_float_denorm_mode_32 3
		.amdhsa_float_denorm_mode_16_64 3
		.amdhsa_dx10_clamp 1
		.amdhsa_ieee_mode 1
		.amdhsa_fp16_overflow 0
		.amdhsa_exception_fp_ieee_invalid_op 0
		.amdhsa_exception_fp_denorm_src 0
		.amdhsa_exception_fp_ieee_div_zero 0
		.amdhsa_exception_fp_ieee_overflow 0
		.amdhsa_exception_fp_ieee_underflow 0
		.amdhsa_exception_fp_ieee_inexact 0
		.amdhsa_exception_int_div_zero 0
	.end_amdhsa_kernel
	.section	.text._ZN4vllm25paged_attention_v1_kernelIffLi192ELi8ELi128ELNS_18Fp8KVCacheDataTypeE0ELb1EEEvPT_PKS2_PKT0_S8_ifPKiSA_iPKfiiiSC_SC_iiiii,"axG",@progbits,_ZN4vllm25paged_attention_v1_kernelIffLi192ELi8ELi128ELNS_18Fp8KVCacheDataTypeE0ELb1EEEvPT_PKS2_PKT0_S8_ifPKiSA_iPKfiiiSC_SC_iiiii,comdat
.Lfunc_end7:
	.size	_ZN4vllm25paged_attention_v1_kernelIffLi192ELi8ELi128ELNS_18Fp8KVCacheDataTypeE0ELb1EEEvPT_PKS2_PKT0_S8_ifPKiSA_iPKfiiiSC_SC_iiiii, .Lfunc_end7-_ZN4vllm25paged_attention_v1_kernelIffLi192ELi8ELi128ELNS_18Fp8KVCacheDataTypeE0ELb1EEEvPT_PKS2_PKT0_S8_ifPKiSA_iPKfiiiSC_SC_iiiii
                                        ; -- End function
	.set _ZN4vllm25paged_attention_v1_kernelIffLi192ELi8ELi128ELNS_18Fp8KVCacheDataTypeE0ELb1EEEvPT_PKS2_PKT0_S8_ifPKiSA_iPKfiiiSC_SC_iiiii.num_vgpr, 51
	.set _ZN4vllm25paged_attention_v1_kernelIffLi192ELi8ELi128ELNS_18Fp8KVCacheDataTypeE0ELb1EEEvPT_PKS2_PKT0_S8_ifPKiSA_iPKfiiiSC_SC_iiiii.num_agpr, 0
	.set _ZN4vllm25paged_attention_v1_kernelIffLi192ELi8ELi128ELNS_18Fp8KVCacheDataTypeE0ELb1EEEvPT_PKS2_PKT0_S8_ifPKiSA_iPKfiiiSC_SC_iiiii.numbered_sgpr, 45
	.set _ZN4vllm25paged_attention_v1_kernelIffLi192ELi8ELi128ELNS_18Fp8KVCacheDataTypeE0ELb1EEEvPT_PKS2_PKT0_S8_ifPKiSA_iPKfiiiSC_SC_iiiii.num_named_barrier, 0
	.set _ZN4vllm25paged_attention_v1_kernelIffLi192ELi8ELi128ELNS_18Fp8KVCacheDataTypeE0ELb1EEEvPT_PKS2_PKT0_S8_ifPKiSA_iPKfiiiSC_SC_iiiii.private_seg_size, 0
	.set _ZN4vllm25paged_attention_v1_kernelIffLi192ELi8ELi128ELNS_18Fp8KVCacheDataTypeE0ELb1EEEvPT_PKS2_PKT0_S8_ifPKiSA_iPKfiiiSC_SC_iiiii.uses_vcc, 1
	.set _ZN4vllm25paged_attention_v1_kernelIffLi192ELi8ELi128ELNS_18Fp8KVCacheDataTypeE0ELb1EEEvPT_PKS2_PKT0_S8_ifPKiSA_iPKfiiiSC_SC_iiiii.uses_flat_scratch, 0
	.set _ZN4vllm25paged_attention_v1_kernelIffLi192ELi8ELi128ELNS_18Fp8KVCacheDataTypeE0ELb1EEEvPT_PKS2_PKT0_S8_ifPKiSA_iPKfiiiSC_SC_iiiii.has_dyn_sized_stack, 0
	.set _ZN4vllm25paged_attention_v1_kernelIffLi192ELi8ELi128ELNS_18Fp8KVCacheDataTypeE0ELb1EEEvPT_PKS2_PKT0_S8_ifPKiSA_iPKfiiiSC_SC_iiiii.has_recursion, 0
	.set _ZN4vllm25paged_attention_v1_kernelIffLi192ELi8ELi128ELNS_18Fp8KVCacheDataTypeE0ELb1EEEvPT_PKS2_PKT0_S8_ifPKiSA_iPKfiiiSC_SC_iiiii.has_indirect_call, 0
	.section	.AMDGPU.csdata,"",@progbits
; Kernel info:
; codeLenInByte = 4544
; TotalNumSgprs: 49
; NumVgprs: 51
; ScratchSize: 0
; MemoryBound: 0
; FloatMode: 240
; IeeeMode: 1
; LDSByteSize: 784 bytes/workgroup (compile time only)
; SGPRBlocks: 6
; VGPRBlocks: 12
; NumSGPRsForWavesPerEU: 49
; NumVGPRsForWavesPerEU: 51
; Occupancy: 4
; WaveLimiterHint : 1
; COMPUTE_PGM_RSRC2:SCRATCH_EN: 0
; COMPUTE_PGM_RSRC2:USER_SGPR: 6
; COMPUTE_PGM_RSRC2:TRAP_HANDLER: 0
; COMPUTE_PGM_RSRC2:TGID_X_EN: 1
; COMPUTE_PGM_RSRC2:TGID_Y_EN: 1
; COMPUTE_PGM_RSRC2:TGID_Z_EN: 1
; COMPUTE_PGM_RSRC2:TIDIG_COMP_CNT: 0
	.section	.text._ZN4vllm25paged_attention_v1_kernelIffLi256ELi8ELi128ELNS_18Fp8KVCacheDataTypeE0ELb1EEEvPT_PKS2_PKT0_S8_ifPKiSA_iPKfiiiSC_SC_iiiii,"axG",@progbits,_ZN4vllm25paged_attention_v1_kernelIffLi256ELi8ELi128ELNS_18Fp8KVCacheDataTypeE0ELb1EEEvPT_PKS2_PKT0_S8_ifPKiSA_iPKfiiiSC_SC_iiiii,comdat
	.protected	_ZN4vllm25paged_attention_v1_kernelIffLi256ELi8ELi128ELNS_18Fp8KVCacheDataTypeE0ELb1EEEvPT_PKS2_PKT0_S8_ifPKiSA_iPKfiiiSC_SC_iiiii ; -- Begin function _ZN4vllm25paged_attention_v1_kernelIffLi256ELi8ELi128ELNS_18Fp8KVCacheDataTypeE0ELb1EEEvPT_PKS2_PKT0_S8_ifPKiSA_iPKfiiiSC_SC_iiiii
	.globl	_ZN4vllm25paged_attention_v1_kernelIffLi256ELi8ELi128ELNS_18Fp8KVCacheDataTypeE0ELb1EEEvPT_PKS2_PKT0_S8_ifPKiSA_iPKfiiiSC_SC_iiiii
	.p2align	8
	.type	_ZN4vllm25paged_attention_v1_kernelIffLi256ELi8ELi128ELNS_18Fp8KVCacheDataTypeE0ELb1EEEvPT_PKS2_PKT0_S8_ifPKiSA_iPKfiiiSC_SC_iiiii,@function
_ZN4vllm25paged_attention_v1_kernelIffLi256ELi8ELi128ELNS_18Fp8KVCacheDataTypeE0ELb1EEEvPT_PKS2_PKT0_S8_ifPKiSA_iPKfiiiSC_SC_iiiii: ; @_ZN4vllm25paged_attention_v1_kernelIffLi256ELi8ELi128ELNS_18Fp8KVCacheDataTypeE0ELb1EEEvPT_PKS2_PKT0_S8_ifPKiSA_iPKfiiiSC_SC_iiiii
; %bb.0:
	s_load_dword s9, s[4:5], 0x80
	s_load_dwordx2 s[0:1], s[4:5], 0x30
	s_load_dwordx2 s[30:31], s[4:5], 0x20
	s_mov_b32 s10, s7
	s_ashr_i32 s11, s7, 31
	s_lshl_b64 s[2:3], s[10:11], 2
	s_waitcnt lgkmcnt(0)
	s_add_u32 s0, s0, s2
	s_addc_u32 s1, s1, s3
	s_abs_i32 s2, s30
	v_cvt_f32_u32_e32 v1, s2
	s_sub_i32 s11, 0, s2
	s_abs_i32 s7, s9
	s_xor_b32 s3, s9, s30
	v_rcp_iflag_f32_e32 v1, v1
	s_ashr_i32 s3, s3, 31
	s_mov_b32 s42, 0
	v_mul_f32_e32 v1, 0x4f7ffffe, v1
	v_cvt_u32_f32_e32 v1, v1
	v_readfirstlane_b32 s12, v1
	s_mul_i32 s11, s11, s12
	s_mul_hi_u32 s11, s12, s11
	s_add_i32 s12, s12, s11
	s_mul_hi_u32 s11, s7, s12
	s_mul_i32 s12, s11, s2
	s_sub_i32 s7, s7, s12
	s_add_i32 s12, s11, 1
	s_sub_i32 s13, s7, s2
	s_cmp_ge_u32 s7, s2
	s_cselect_b32 s11, s12, s11
	s_cselect_b32 s7, s13, s7
	s_add_i32 s12, s11, 1
	s_cmp_ge_u32 s7, s2
	s_cselect_b32 s2, s12, s11
	s_xor_b32 s2, s2, s3
	s_sub_i32 s11, s2, s3
	s_abs_i32 s22, s11
	v_cvt_f32_u32_e32 v1, s22
	s_load_dwordx2 s[2:3], s[4:5], 0x40
	s_sub_i32 s7, 0, s22
	s_abs_i32 s23, s6
	v_rcp_iflag_f32_e32 v1, v1
	v_mul_f32_e32 v1, 0x4f7ffffe, v1
	v_cvt_u32_f32_e32 v1, v1
	v_readfirstlane_b32 s12, v1
	s_mul_i32 s7, s7, s12
	s_mul_hi_u32 s7, s12, s7
	s_add_i32 s12, s12, s7
	s_waitcnt lgkmcnt(0)
	s_cmp_eq_u64 s[2:3], 0
	s_mul_hi_u32 s24, s23, s12
	s_cbranch_scc1 .LBB8_2
; %bb.1:
	s_ashr_i32 s7, s6, 31
	s_lshl_b64 s[12:13], s[6:7], 2
	s_add_u32 s2, s2, s12
	s_addc_u32 s3, s3, s13
	s_load_dword s42, s[2:3], 0x0
.LBB8_2:
	s_load_dword s33, s[0:1], 0x0
	s_ashr_i32 s25, s11, 31
	s_load_dword s11, s[4:5], 0x88
	s_load_dwordx4 s[12:15], s[4:5], 0x48
	s_movk_i32 s0, 0x100
	s_ashr_i32 s7, s6, 31
	v_and_b32_e32 v1, 7, v0
	s_lshl_b32 s20, s6, 8
	v_cmp_gt_u32_e32 vcc, s0, v0
	v_lshlrev_b32_e32 v3, 2, v0
	s_and_saveexec_b64 s[0:1], vcc
	s_cbranch_execz .LBB8_5
; %bb.3:
	s_load_dwordx2 s[2:3], s[4:5], 0x8
	s_waitcnt lgkmcnt(0)
	s_mul_i32 s16, s12, s10
	s_ashr_i32 s17, s16, 31
	s_lshl_b64 s[16:17], s[16:17], 2
	v_lshrrev_b32_e32 v2, 3, v0
	s_add_u32 s12, s2, s16
	s_addc_u32 s15, s3, s17
	s_ashr_i32 s21, s20, 31
	s_lshl_b64 s[2:3], s[20:21], 2
	s_add_u32 s2, s12, s2
	s_addc_u32 s3, s15, s3
	global_load_dword v5, v3, s[2:3]
	s_movk_i32 s12, 0x80
	v_lshlrev_b32_e32 v4, 2, v2
	v_lshl_add_u32 v4, v1, 7, v4
	v_cmp_gt_u32_e32 vcc, s12, v0
	s_waitcnt vmcnt(0)
	ds_write_b32 v4, v5
	s_and_b64 exec, exec, vcc
	s_cbranch_execz .LBB8_5
; %bb.4:
	v_lshlrev_b32_e32 v2, 5, v2
	v_lshlrev_b32_e32 v5, 2, v1
	s_movk_i32 s12, 0x200
	v_or3_b32 v2, v2, v5, s12
	global_load_dword v2, v2, s[2:3]
	s_waitcnt vmcnt(0)
	ds_write_b32 v4, v2 offset:64
.LBB8_5:
	s_or_b64 exec, exec, s[0:1]
	s_mul_i32 s1, s24, s22
	s_sub_i32 s1, s23, s1
	s_xor_b32 s0, s7, s25
	s_add_i32 s2, s24, 1
	s_sub_i32 s7, s1, s22
	s_load_dwordx4 s[16:19], s[4:5], 0x68
	s_load_dword s3, s[4:5], 0x78
	s_cmp_ge_u32 s1, s22
	s_cselect_b32 s2, s2, s24
	s_cselect_b32 s1, s7, s1
	s_add_i32 s7, s2, 1
	s_cmp_ge_u32 s1, s22
	s_cselect_b32 s1, s7, s2
	s_waitcnt lgkmcnt(0)
	s_abs_i32 s21, s19
	v_cvt_f32_u32_e32 v2, s21
	s_xor_b32 s1, s1, s0
	s_sub_i32 s2, s1, s0
	s_sub_i32 s0, 0, s21
	v_rcp_iflag_f32_e32 v2, v2
	s_add_i32 s15, s33, -1
	s_abs_i32 s7, s15
	v_mul_f32_e32 v2, 0x4f7ffffe, v2
	v_cvt_u32_f32_e32 v2, v2
	s_barrier
	v_readfirstlane_b32 s40, v2
	s_mul_i32 s0, s0, s40
	s_mul_hi_u32 s0, s40, s0
	s_add_i32 s40, s40, s0
	s_cmp_lt_i32 s3, 0
	s_mul_hi_u32 s12, s7, s40
	s_cbranch_scc0 .LBB8_7
; %bb.6:
	s_mul_i32 s0, s16, s30
	s_add_i32 s0, s2, s0
	s_mul_i32 s0, s0, s3
	s_sub_i32 s41, 1, s0
	s_mov_b64 s[0:1], 0
	s_branch .LBB8_8
.LBB8_7:
	s_mov_b64 s[0:1], -1
                                        ; implicit-def: $sgpr41
.LBB8_8:
	s_load_dwordx2 s[24:25], s[4:5], 0x28
	s_ashr_i32 s15, s15, 31
	s_andn2_b64 vcc, exec, s[0:1]
	s_ashr_i32 s19, s19, 31
	s_cbranch_vccnz .LBB8_10
; %bb.9:
	s_mul_i32 s0, s9, s16
	s_add_i32 s0, s0, s6
	s_mul_i32 s0, s0, s3
	s_add_i32 s41, s0, 1
.LBB8_10:
	s_load_dword s0, s[4:5], 0x38
	s_load_dwordx2 s[22:23], s[4:5], 0x0
	s_load_dwordx2 s[28:29], s[4:5], 0x18
	s_mul_i32 s3, s12, s21
	s_xor_b32 s1, s15, s19
	s_waitcnt lgkmcnt(0)
	s_mul_i32 s26, s0, s10
	s_sub_i32 s0, s7, s3
	s_ashr_i32 s27, s26, 31
	s_add_i32 s3, s12, 1
	s_sub_i32 s6, s0, s21
	s_cmp_ge_u32 s0, s21
	s_cselect_b32 s3, s3, s12
	s_cselect_b32 s0, s6, s0
	s_add_i32 s6, s3, 1
	s_cmp_ge_u32 s0, s21
	s_cselect_b32 s0, s6, s3
	s_xor_b32 s0, s0, s1
	s_sub_i32 s12, s0, s1
	s_add_i32 s0, s33, 7
	s_ashr_i32 s1, s0, 31
	s_lshr_b32 s1, s1, 29
	s_add_i32 s0, s0, s1
	s_ashr_i32 s16, s0, 3
	v_lshrrev_b32_e32 v39, 6, v0
	v_cmp_gt_i32_e64 s[0:1], s16, v39
	v_mov_b32_e32 v8, 0xff7fffff
	s_mul_i32 s14, s2, s14
	v_lshrrev_b32_e32 v4, 4, v0
	v_lshlrev_b32_e32 v40, 3, v39
	v_mbcnt_lo_u32_b32 v5, -1, 0
	s_and_saveexec_b64 s[34:35], s[0:1]
	s_cbranch_execz .LBB8_22
; %bb.11:
	s_load_dwordx2 s[2:3], s[4:5], 0x10
	s_ashr_i32 s15, s14, 31
	s_sub_i32 s30, s12, s17
	s_lshl_b64 s[4:5], s[14:15], 2
	v_bfe_u32 v6, v0, 3, 3
	s_waitcnt lgkmcnt(0)
	s_add_u32 s2, s2, s4
	s_addc_u32 s3, s3, s5
	s_abs_i32 s15, s18
	v_cvt_f32_u32_e32 v2, s15
	v_lshlrev_b32_e32 v7, 4, v6
	v_mov_b32_e32 v9, s3
	v_add_co_u32_e64 v7, s[2:3], s2, v7
	v_rcp_iflag_f32_e32 v2, v2
	v_and_b32_e32 v10, 3, v0
	v_addc_co_u32_e64 v9, s[2:3], 0, v9, s[2:3]
	v_mul_f32_e32 v2, 0x4f7ffffe, v2
	v_lshlrev_b32_e32 v10, 2, v10
	v_cvt_u32_f32_e32 v2, v2
	v_add_co_u32_e64 v10, s[2:3], v7, v10
	v_addc_co_u32_e64 v11, s[2:3], 0, v9, s[2:3]
	s_sub_i32 s2, 0, s15
	v_cmp_eq_u32_e32 vcc, 0, v1
	v_lshlrev_b32_e32 v7, 7, v1
	v_mul_lo_u32 v1, s2, v2
	v_lshlrev_b32_e32 v9, 5, v0
	v_and_b32_e32 v9, 0x80, v9
	v_add_co_u32_e64 v9, s[4:5], v10, v9
	v_mul_hi_u32 v1, v2, v1
	v_addc_co_u32_e64 v10, s[4:5], 0, v11, s[4:5]
	s_lshl_b64 s[4:5], s[26:27], 2
	v_lshlrev_b32_e32 v8, 2, v6
	s_add_u32 s4, s24, s4
	v_add_u32_e32 v11, v2, v1
	v_and_b32_e32 v1, 60, v4
	s_addc_u32 s5, s25, s5
	v_lshl_or_b32 v8, v39, 5, v8
	v_mbcnt_hi_u32_b32 v16, -1, v5
	v_mov_b32_e32 v2, s5
	v_add_co_u32_e64 v1, s[4:5], s4, v1
	v_subrev_u32_e32 v13, s33, v6
	v_add_u32_e32 v14, 0x410, v8
	v_and_b32_e32 v8, 64, v16
	s_mov_b32 s43, s13
	v_cmp_neq_f32_e64 s[2:3], s42, 0
	v_addc_co_u32_e64 v2, s[4:5], 0, v2, s[4:5]
	v_lshlrev_b32_e32 v12, 3, v39
	v_add_u32_e32 v13, 1, v13
	v_mov_b32_e32 v15, 0xff7fffff
	s_mov_b64 s[36:37], 0
	s_movk_i32 s44, 0x1000
	v_add_u32_e32 v17, 64, v8
	v_xor_b32_e32 v18, 4, v16
	v_xor_b32_e32 v19, 2, v16
	v_mov_b32_e32 v8, 0xff7fffff
	v_mov_b32_e32 v20, v39
	s_branch .LBB8_14
.LBB8_12:                               ;   in Loop: Header=BB8_14 Depth=1
	s_or_b64 exec, exec, s[38:39]
.LBB8_13:                               ;   in Loop: Header=BB8_14 Depth=1
	s_or_b64 exec, exec, s[6:7]
	v_add_co_u32_e64 v1, s[4:5], 8, v1
	v_add_u32_e32 v20, 2, v20
	v_addc_co_u32_e64 v2, s[4:5], 0, v2, s[4:5]
	v_cmp_le_i32_e64 s[4:5], s16, v20
	v_add_u32_e32 v12, 16, v12
	s_or_b64 s[36:37], s[4:5], s[36:37]
	v_add_u32_e32 v14, 64, v14
	s_andn2_b64 exec, exec, s[36:37]
	s_cbranch_execz .LBB8_21
.LBB8_14:                               ; =>This Inner Loop Header: Depth=1
	v_mul_hi_u32 v21, v12, s40
	s_waitcnt lgkmcnt(0)
	v_mul_lo_u32 v22, v21, s21
	v_add_u32_e32 v23, 1, v21
	v_sub_u32_e32 v22, v12, v22
	v_cmp_le_u32_e64 s[4:5], s21, v22
	v_cndmask_b32_e64 v21, v21, v23, s[4:5]
	v_subrev_u32_e32 v23, s21, v22
	v_cndmask_b32_e64 v22, v22, v23, s[4:5]
	v_add_u32_e32 v23, 1, v21
	v_cmp_le_u32_e64 s[4:5], s21, v22
	v_cndmask_b32_e64 v21, v21, v23, s[4:5]
	v_xor_b32_e32 v21, s19, v21
	v_subrev_u32_e32 v21, s19, v21
	v_add_u32_e32 v22, s41, v21
	v_sub_u32_e32 v23, 0, v22
	v_max_i32_e32 v23, v22, v23
	v_mul_hi_u32 v24, v23, v11
	v_ashrrev_i32_e32 v22, 31, v22
	v_cmp_ge_i32_e64 s[6:7], s30, v21
	v_mul_lo_u32 v24, v24, s15
	v_sub_u32_e32 v23, v23, v24
	v_subrev_u32_e32 v24, s15, v23
	v_cmp_le_u32_e64 s[4:5], s15, v23
	v_cndmask_b32_e64 v23, v23, v24, s[4:5]
	v_subrev_u32_e32 v24, s15, v23
	v_cmp_le_u32_e64 s[4:5], s15, v23
	v_cndmask_b32_e64 v23, v23, v24, s[4:5]
	v_xor_b32_e32 v23, v23, v22
	v_sub_u32_e32 v22, v23, v22
	v_cmp_ne_u32_e64 s[4:5], 0, v22
	s_and_b64 s[4:5], s[4:5], s[6:7]
	s_and_saveexec_b64 s[6:7], s[4:5]
	s_xor_b64 s[4:5], exec, s[6:7]
	s_cbranch_execz .LBB8_18
; %bb.15:                               ;   in Loop: Header=BB8_14 Depth=1
	s_and_saveexec_b64 s[6:7], vcc
; %bb.16:                               ;   in Loop: Header=BB8_14 Depth=1
	ds_write_b32 v14, v15
; %bb.17:                               ;   in Loop: Header=BB8_14 Depth=1
	s_or_b64 exec, exec, s[6:7]
.LBB8_18:                               ;   in Loop: Header=BB8_14 Depth=1
	s_andn2_saveexec_b64 s[6:7], s[4:5]
	s_cbranch_execz .LBB8_13
; %bb.19:                               ;   in Loop: Header=BB8_14 Depth=1
	global_load_dword v21, v[1:2], off
	s_waitcnt vmcnt(0)
	v_mad_i64_i32 v[21:22], s[4:5], v21, s43, 0
	v_lshlrev_b64 v[21:22], 2, v[21:22]
	v_add_co_u32_e64 v30, s[4:5], v9, v21
	v_addc_co_u32_e64 v31, s[4:5], v10, v22, s[4:5]
	global_load_dword v21, v[30:31], off offset:256
	ds_read_b128 v[22:25], v7
	global_load_dword v32, v[30:31], off offset:512
	global_load_dword v33, v[30:31], off offset:768
	global_load_dword v34, v[30:31], off offset:1024
	global_load_dword v35, v[30:31], off offset:1280
	global_load_dword v36, v[30:31], off offset:1536
	global_load_dword v37, v[30:31], off offset:1792
	ds_read_b128 v[26:29], v7 offset:16
	s_waitcnt vmcnt(6) lgkmcnt(1)
	v_mul_f32_e32 v21, v23, v21
	global_load_dword v23, v[30:31], off
	s_waitcnt vmcnt(0)
	v_fmac_f32_e32 v21, v22, v23
	v_fmac_f32_e32 v21, v24, v32
	;; [unrolled: 1-line block ×3, first 2 shown]
	global_load_dword v32, v[30:31], off offset:2048
	global_load_dword v33, v[30:31], off offset:2304
	;; [unrolled: 1-line block ×4, first 2 shown]
	s_waitcnt lgkmcnt(0)
	v_fmac_f32_e32 v21, v26, v34
	v_fmac_f32_e32 v21, v27, v35
	;; [unrolled: 1-line block ×4, first 2 shown]
	ds_read_b128 v[22:25], v7 offset:32
	global_load_dword v34, v[30:31], off offset:3072
	global_load_dword v35, v[30:31], off offset:3328
	;; [unrolled: 1-line block ×4, first 2 shown]
	v_add_co_u32_e64 v30, s[4:5], s44, v30
	v_addc_co_u32_e64 v31, s[4:5], 0, v31, s[4:5]
	ds_read_b128 v[26:29], v7 offset:48
	v_cmp_lt_i32_e64 s[4:5], v18, v17
	s_waitcnt vmcnt(7) lgkmcnt(1)
	v_fmac_f32_e32 v21, v22, v32
	s_waitcnt vmcnt(6)
	v_fmac_f32_e32 v21, v23, v33
	s_waitcnt vmcnt(5)
	;; [unrolled: 2-line block ×3, first 2 shown]
	v_fmac_f32_e32 v21, v25, v41
	global_load_dword v32, v[30:31], off
	global_load_dword v33, v[30:31], off offset:256
	global_load_dword v38, v[30:31], off offset:512
	;; [unrolled: 1-line block ×3, first 2 shown]
	ds_read_b128 v[22:25], v7 offset:64
	s_waitcnt vmcnt(7) lgkmcnt(1)
	v_fmac_f32_e32 v21, v26, v34
	s_waitcnt vmcnt(6)
	v_fmac_f32_e32 v21, v27, v35
	s_waitcnt vmcnt(5)
	;; [unrolled: 2-line block ×3, first 2 shown]
	v_fmac_f32_e32 v21, v29, v37
	global_load_dword v34, v[30:31], off offset:1024
	global_load_dword v35, v[30:31], off offset:1280
	;; [unrolled: 1-line block ×4, first 2 shown]
	ds_read_b128 v[26:29], v7 offset:80
	s_waitcnt vmcnt(7) lgkmcnt(1)
	v_fmac_f32_e32 v21, v22, v32
	s_waitcnt vmcnt(6)
	v_fmac_f32_e32 v21, v23, v33
	s_waitcnt vmcnt(5)
	;; [unrolled: 2-line block ×3, first 2 shown]
	v_fmac_f32_e32 v21, v25, v41
	global_load_dword v32, v[30:31], off offset:2048
	global_load_dword v33, v[30:31], off offset:2304
	;; [unrolled: 1-line block ×7, first 2 shown]
	s_nop 0
	global_load_dword v30, v[30:31], off offset:3840
	s_waitcnt vmcnt(11) lgkmcnt(0)
	v_fmac_f32_e32 v21, v26, v34
	s_waitcnt vmcnt(10)
	v_fmac_f32_e32 v21, v27, v35
	s_waitcnt vmcnt(9)
	;; [unrolled: 2-line block ×3, first 2 shown]
	v_fmac_f32_e32 v21, v29, v37
	ds_read_b128 v[22:25], v7 offset:96
	ds_read_b128 v[26:29], v7 offset:112
	s_waitcnt vmcnt(7) lgkmcnt(1)
	v_fmac_f32_e32 v21, v22, v32
	s_waitcnt vmcnt(6)
	v_fmac_f32_e32 v21, v23, v33
	s_waitcnt vmcnt(5)
	;; [unrolled: 2-line block ×3, first 2 shown]
	v_fmac_f32_e32 v21, v25, v41
	s_waitcnt vmcnt(3) lgkmcnt(0)
	v_fmac_f32_e32 v21, v26, v42
	s_waitcnt vmcnt(2)
	v_fmac_f32_e32 v21, v27, v43
	v_cndmask_b32_e64 v22, v16, v18, s[4:5]
	s_waitcnt vmcnt(1)
	v_fmac_f32_e32 v21, v28, v44
	v_lshlrev_b32_e32 v22, 2, v22
	s_waitcnt vmcnt(0)
	v_fmac_f32_e32 v21, v29, v30
	ds_bpermute_b32 v22, v22, v21
	v_cmp_lt_i32_e64 s[4:5], v19, v17
	v_cndmask_b32_e64 v23, v16, v19, s[4:5]
	v_lshlrev_b32_e32 v23, 2, v23
	s_waitcnt lgkmcnt(0)
	v_add_f32_e32 v21, v21, v22
	ds_bpermute_b32 v22, v23, v21
	v_xor_b32_e32 v23, 1, v16
	v_cmp_lt_i32_e64 s[4:5], v23, v17
	v_cndmask_b32_e64 v23, v16, v23, s[4:5]
	v_lshlrev_b32_e32 v23, 2, v23
	s_waitcnt lgkmcnt(0)
	v_add_f32_e32 v21, v21, v22
	ds_bpermute_b32 v22, v23, v21
	s_and_saveexec_b64 s[38:39], vcc
	s_cbranch_execz .LBB8_12
; %bb.20:                               ;   in Loop: Header=BB8_14 Depth=1
	v_add_u32_e32 v23, v13, v12
	v_cvt_f32_i32_e32 v23, v23
	s_waitcnt lgkmcnt(0)
	v_add_f32_e32 v21, v21, v22
	v_add_u32_e32 v24, v6, v12
	v_cmp_gt_i32_e64 s[4:5], s33, v24
	v_mul_f32_e32 v22, s42, v23
	v_cndmask_b32_e64 v22, 0, v22, s[2:3]
	v_fmac_f32_e32 v22, s31, v21
	v_cndmask_b32_e64 v21, 0, v22, s[4:5]
	ds_write_b32 v14, v21
	v_max_f32_e32 v21, v8, v8
	v_max_f32_e32 v21, v21, v22
	v_cndmask_b32_e64 v8, v8, v21, s[4:5]
	s_branch .LBB8_12
.LBB8_21:
	s_or_b64 exec, exec, s[36:37]
.LBB8_22:
	s_or_b64 exec, exec, s[34:35]
	v_mbcnt_hi_u32_b32 v1, -1, v5
	v_and_b32_e32 v10, 64, v1
	v_add_u32_e32 v2, 64, v10
	v_xor_b32_e32 v5, 32, v1
	v_cmp_lt_i32_e32 vcc, v5, v2
	v_cndmask_b32_e32 v5, v1, v5, vcc
	v_lshlrev_b32_e32 v6, 2, v5
	ds_bpermute_b32 v5, v6, v8
	v_max_f32_e32 v7, v8, v8
	v_xor_b32_e32 v8, 16, v1
	v_cmp_lt_i32_e32 vcc, v8, v2
	v_xor_b32_e32 v9, 8, v1
	s_waitcnt lgkmcnt(0)
	v_max_f32_e32 v5, v5, v5
	v_max_f32_e32 v5, v7, v5
	v_cndmask_b32_e32 v7, v1, v8, vcc
	v_lshlrev_b32_e32 v8, 2, v7
	ds_bpermute_b32 v7, v8, v5
	v_cmp_lt_i32_e32 vcc, v9, v2
	v_and_b32_e32 v41, 63, v0
	s_waitcnt lgkmcnt(0)
	v_max_f32_e32 v7, v7, v7
	v_max_f32_e32 v7, v5, v7
	v_cndmask_b32_e32 v5, v1, v9, vcc
	v_lshlrev_b32_e32 v9, 2, v5
	ds_bpermute_b32 v11, v9, v7
	v_cmp_eq_u32_e32 vcc, 0, v41
	v_lshlrev_b32_e32 v5, 2, v39
	s_and_saveexec_b64 s[2:3], vcc
	s_cbranch_execz .LBB8_24
; %bb.23:
	s_waitcnt lgkmcnt(0)
	v_max_f32_e32 v11, v11, v11
	v_max_f32_e32 v7, v7, v7
	;; [unrolled: 1-line block ×3, first 2 shown]
	ds_write_b32 v5, v7 offset:1024
.LBB8_24:
	s_or_b64 exec, exec, s[2:3]
	v_cmp_gt_u32_e64 s[2:3], 2, v41
	s_waitcnt lgkmcnt(0)
	v_mov_b32_e32 v11, 0xff7fffff
	v_lshlrev_b32_e32 v7, 2, v41
	s_barrier
	s_and_saveexec_b64 s[4:5], s[2:3]
; %bb.25:
	ds_read_b32 v11, v7 offset:1024
; %bb.26:
	s_or_b64 exec, exec, s[4:5]
	v_xor_b32_e32 v12, 1, v1
	v_cmp_lt_i32_e64 s[4:5], v12, v2
	v_cndmask_b32_e64 v12, v1, v12, s[4:5]
	v_lshlrev_b32_e32 v42, 2, v12
	s_waitcnt lgkmcnt(0)
	ds_bpermute_b32 v12, v42, v11
	v_max_f32_e32 v11, v11, v11
	v_lshlrev_b32_e32 v10, 2, v10
	s_lshl_b32 s4, s16, 3
	s_min_i32 s15, s4, s33
	s_waitcnt lgkmcnt(0)
	v_max_f32_e32 v12, v12, v12
	v_max_f32_e32 v11, v11, v12
	ds_bpermute_b32 v11, v10, v11
	v_cmp_gt_i32_e64 s[4:5], s15, v0
	v_mov_b32_e32 v10, 0
	s_and_saveexec_b64 s[30:31], s[4:5]
	s_cbranch_execz .LBB8_30
; %bb.27:
	v_mov_b32_e32 v10, 0x410
	v_lshl_add_u32 v12, v0, 2, v10
	v_mov_b32_e32 v10, 0
	s_mov_b64 s[34:35], 0
	v_mov_b32_e32 v13, v0
.LBB8_28:                               ; =>This Inner Loop Header: Depth=1
	ds_read_b32 v14, v12
	v_add_u32_e32 v13, 0x80, v13
	v_cmp_le_i32_e64 s[6:7], s15, v13
	s_or_b64 s[34:35], s[6:7], s[34:35]
	s_waitcnt lgkmcnt(0)
	v_sub_f32_e32 v14, v14, v11
	v_mul_f32_e32 v14, 0x3fb8aa3b, v14
	v_exp_f32_e32 v14, v14
	ds_write_b32 v12, v14
	v_add_f32_e32 v10, v10, v14
	v_add_u32_e32 v12, 0x200, v12
	s_andn2_b64 exec, exec, s[34:35]
	s_cbranch_execnz .LBB8_28
; %bb.29:
	s_or_b64 exec, exec, s[34:35]
.LBB8_30:
	s_or_b64 exec, exec, s[30:31]
	ds_bpermute_b32 v6, v6, v10
	s_waitcnt lgkmcnt(0)
	v_add_f32_e32 v6, v10, v6
	ds_bpermute_b32 v8, v8, v6
	s_waitcnt lgkmcnt(0)
	v_add_f32_e32 v6, v6, v8
	ds_bpermute_b32 v8, v9, v6
	v_xor_b32_e32 v9, 4, v1
	v_cmp_lt_i32_e64 s[6:7], v9, v2
	v_cndmask_b32_e64 v9, v1, v9, s[6:7]
	v_lshlrev_b32_e32 v9, 2, v9
	s_waitcnt lgkmcnt(0)
	v_add_f32_e32 v6, v6, v8
	ds_bpermute_b32 v8, v9, v6
	v_xor_b32_e32 v9, 2, v1
	v_cmp_lt_i32_e64 s[6:7], v9, v2
	v_cndmask_b32_e64 v2, v1, v9, s[6:7]
	v_lshlrev_b32_e32 v2, 2, v2
	s_waitcnt lgkmcnt(0)
	v_add_f32_e32 v6, v6, v8
	ds_bpermute_b32 v2, v2, v6
	s_waitcnt lgkmcnt(0)
	v_add_f32_e32 v2, v6, v2
	ds_bpermute_b32 v6, v42, v2
	s_waitcnt lgkmcnt(0)
	v_add_f32_e32 v2, v2, v6
	s_and_saveexec_b64 s[6:7], vcc
; %bb.31:
	ds_write_b32 v5, v2 offset:1032
; %bb.32:
	s_or_b64 exec, exec, s[6:7]
	s_waitcnt lgkmcnt(0)
	s_barrier
	s_and_saveexec_b64 s[6:7], s[2:3]
; %bb.33:
	ds_read_b32 v2, v7 offset:1032
; %bb.34:
	s_or_b64 exec, exec, s[6:7]
	s_waitcnt lgkmcnt(0)
	ds_bpermute_b32 v5, v42, v2
	v_lshlrev_b32_e32 v1, 2, v1
	v_and_b32_e32 v1, 0x100, v1
	s_waitcnt lgkmcnt(0)
	v_add_f32_e32 v2, v2, v5
	ds_bpermute_b32 v1, v1, v2
	s_and_saveexec_b64 s[2:3], s[4:5]
	s_cbranch_execz .LBB8_37
; %bb.35:
	s_waitcnt lgkmcnt(0)
	v_add_f32_e32 v2, 0x358637bd, v1
	v_div_scale_f32 v1, s[4:5], v2, v2, 1.0
	v_div_scale_f32 v5, vcc, 1.0, v2, 1.0
	s_mov_b64 s[4:5], 0
	v_rcp_f32_e32 v6, v1
	v_fma_f32 v7, -v1, v6, 1.0
	v_fmac_f32_e32 v6, v7, v6
	v_mul_f32_e32 v7, v5, v6
	v_fma_f32 v8, -v1, v7, v5
	v_fmac_f32_e32 v7, v8, v6
	v_fma_f32 v1, -v1, v7, v5
	v_div_fmas_f32 v5, v1, v6, v7
	v_mov_b32_e32 v1, 0x410
	v_lshl_add_u32 v1, v0, 2, v1
	v_div_fixup_f32 v2, v5, v2, 1.0
	v_mov_b32_e32 v5, v0
.LBB8_36:                               ; =>This Inner Loop Header: Depth=1
	ds_read_b32 v6, v1
	v_add_u32_e32 v5, 0x80, v5
	v_cmp_le_i32_e32 vcc, s15, v5
	s_or_b64 s[4:5], vcc, s[4:5]
	s_waitcnt lgkmcnt(0)
	v_mul_f32_e32 v6, v2, v6
	ds_write_b32 v1, v6
	v_add_u32_e32 v1, 0x200, v1
	s_andn2_b64 exec, exec, s[4:5]
	s_cbranch_execnz .LBB8_36
.LBB8_37:
	s_or_b64 exec, exec, s[2:3]
	v_mov_b32_e32 v51, 0
	v_and_b32_e32 v43, 1, v0
	v_mov_b32_e32 v52, 0
	v_mov_b32_e32 v50, 0
	;; [unrolled: 1-line block ×7, first 2 shown]
	s_waitcnt lgkmcnt(0)
	s_barrier
	s_and_saveexec_b64 s[2:3], s[0:1]
	s_cbranch_execz .LBB8_59
; %bb.38:
	s_ashr_i32 s15, s14, 31
	s_sub_i32 s17, s12, s17
	s_lshl_b64 s[0:1], s[14:15], 2
	s_add_u32 s0, s28, s0
	s_addc_u32 s1, s29, s1
	s_abs_i32 s14, s18
	v_cvt_f32_u32_e32 v1, s14
	s_sub_i32 s4, 0, s14
	v_and_b32_e32 v49, 4, v3
	v_and_b32_e32 v3, 60, v4
	v_rcp_iflag_f32_e32 v1, v1
	v_lshlrev_b32_e32 v2, 4, v0
	v_and_b32_e32 v2, 0x3f0, v2
	s_add_i32 s18, s16, -1
	v_mul_f32_e32 v1, 0x4f7ffffe, v1
	v_cvt_u32_f32_e32 v1, v1
	v_mov_b32_e32 v5, s1
	v_add_co_u32_e32 v53, vcc, s0, v2
	v_mul_lo_u32 v4, s4, v1
	s_lshl_b64 s[0:1], s[26:27], 2
	s_add_u32 s0, s24, s0
	v_addc_co_u32_e32 v54, vcc, 0, v5, vcc
	v_mul_hi_u32 v4, v1, v4
	s_addc_u32 s1, s25, s1
	v_add_co_u32_e32 v37, vcc, s0, v3
	v_add_u32_e32 v55, v1, v4
	v_mov_b32_e32 v1, s1
	v_addc_co_u32_e32 v38, vcc, 0, v1, vcc
	v_lshlrev_b32_e32 v1, 4, v43
	v_lshl_or_b32 v1, v39, 5, v1
	s_mov_b32 s15, s13
	v_mov_b32_e32 v44, 0
	v_add_u32_e32 v56, 0x410, v1
	s_mov_b64 s[4:5], 0
	v_mov_b32_e32 v45, 0
	v_mov_b32_e32 v46, 0
	;; [unrolled: 1-line block ×7, first 2 shown]
	s_branch .LBB8_41
.LBB8_39:                               ;   in Loop: Header=BB8_41 Depth=1
	s_or_b64 exec, exec, s[12:13]
	s_waitcnt vmcnt(1) lgkmcnt(0)
	v_mul_f32_e32 v33, v1, v33
	v_mul_f32_e32 v25, v1, v25
	;; [unrolled: 1-line block ×7, first 2 shown]
	s_waitcnt vmcnt(0)
	v_mul_f32_e32 v1, v1, v29
	v_fmac_f32_e32 v33, v2, v34
	v_fmac_f32_e32 v25, v2, v26
	v_fmac_f32_e32 v21, v2, v22
	v_fmac_f32_e32 v17, v2, v18
	v_fmac_f32_e32 v13, v2, v14
	v_fmac_f32_e32 v9, v2, v10
	v_fmac_f32_e32 v5, v2, v6
	v_fmac_f32_e32 v1, v2, v30
	v_fmac_f32_e32 v33, v3, v35
	v_fmac_f32_e32 v25, v3, v27
	v_fmac_f32_e32 v21, v3, v23
	v_fmac_f32_e32 v17, v3, v19
	v_fmac_f32_e32 v13, v3, v15
	v_fmac_f32_e32 v9, v3, v11
	v_fmac_f32_e32 v5, v3, v7
	v_fmac_f32_e32 v1, v3, v31
	v_fmac_f32_e32 v33, v4, v36
	v_fmac_f32_e32 v25, v4, v28
	v_fmac_f32_e32 v21, v4, v24
	v_fmac_f32_e32 v17, v4, v20
	v_fmac_f32_e32 v13, v4, v16
	v_fmac_f32_e32 v9, v4, v12
	v_fmac_f32_e32 v5, v4, v8
	v_fmac_f32_e32 v1, v4, v32
	v_add_f32_e32 v45, v45, v33
	v_add_f32_e32 v46, v46, v25
	;; [unrolled: 1-line block ×8, first 2 shown]
.LBB8_40:                               ;   in Loop: Header=BB8_41 Depth=1
	s_or_b64 exec, exec, s[6:7]
	v_add_co_u32_e32 v37, vcc, 8, v37
	v_add_u32_e32 v39, 2, v39
	v_addc_co_u32_e32 v38, vcc, 0, v38, vcc
	v_cmp_le_i32_e32 vcc, s16, v39
	v_add_u32_e32 v40, 16, v40
	s_or_b64 s[4:5], vcc, s[4:5]
	v_add_u32_e32 v56, 64, v56
	s_andn2_b64 exec, exec, s[4:5]
	s_cbranch_execz .LBB8_58
.LBB8_41:                               ; =>This Inner Loop Header: Depth=1
	v_mul_hi_u32 v1, v40, s40
	v_mul_lo_u32 v2, v1, s21
	v_add_u32_e32 v3, 1, v1
	v_sub_u32_e32 v2, v40, v2
	v_cmp_le_u32_e32 vcc, s21, v2
	v_cndmask_b32_e32 v1, v1, v3, vcc
	v_subrev_u32_e32 v3, s21, v2
	v_cndmask_b32_e32 v2, v2, v3, vcc
	v_add_u32_e32 v3, 1, v1
	v_cmp_le_u32_e32 vcc, s21, v2
	v_cndmask_b32_e32 v1, v1, v3, vcc
	v_xor_b32_e32 v1, s19, v1
	v_subrev_u32_e32 v1, s19, v1
	v_add_u32_e32 v2, s41, v1
	v_sub_u32_e32 v3, 0, v2
	v_max_i32_e32 v3, v2, v3
	v_mul_hi_u32 v4, v3, v55
	v_ashrrev_i32_e32 v2, 31, v2
	v_cmp_lt_i32_e64 s[0:1], s17, v1
	v_mul_lo_u32 v4, v4, s14
	v_sub_u32_e32 v3, v3, v4
	v_subrev_u32_e32 v4, s14, v3
	v_cmp_le_u32_e32 vcc, s14, v3
	v_cndmask_b32_e32 v3, v3, v4, vcc
	v_subrev_u32_e32 v4, s14, v3
	v_cmp_le_u32_e32 vcc, s14, v3
	v_cndmask_b32_e32 v3, v3, v4, vcc
	v_xor_b32_e32 v3, v3, v2
	v_sub_u32_e32 v2, v3, v2
	v_cmp_eq_u32_e32 vcc, 0, v2
	s_or_b64 s[0:1], vcc, s[0:1]
	s_and_saveexec_b64 s[6:7], s[0:1]
	s_cbranch_execz .LBB8_40
; %bb.42:                               ;   in Loop: Header=BB8_41 Depth=1
	global_load_dword v1, v[37:38], off
	v_add_u32_e32 v57, v49, v40
	v_add_u32_e32 v60, 1, v57
	;; [unrolled: 1-line block ×4, first 2 shown]
	s_waitcnt vmcnt(0)
	v_mad_i64_i32 v[1:2], s[0:1], v1, s15, 0
	v_cmp_eq_u32_e64 s[0:1], s18, v39
	v_lshlrev_b64 v[1:2], 2, v[1:2]
	v_add_co_u32_e32 v29, vcc, v53, v1
	v_addc_co_u32_e32 v30, vcc, v54, v2, vcc
	global_load_dwordx4 v[5:8], v[29:30], off
	ds_read_b128 v[1:4], v56
	s_and_saveexec_b64 s[12:13], s[0:1]
	s_cbranch_execnz .LBB8_55
; %bb.43:                               ;   in Loop: Header=BB8_41 Depth=1
	s_or_b64 exec, exec, s[12:13]
	global_load_dwordx4 v[9:12], v[29:30], off offset:1024
	s_and_saveexec_b64 s[12:13], s[0:1]
	s_cbranch_execnz .LBB8_56
.LBB8_44:                               ;   in Loop: Header=BB8_41 Depth=1
	s_or_b64 exec, exec, s[12:13]
	global_load_dwordx4 v[13:16], v[29:30], off offset:2048
	s_and_saveexec_b64 s[12:13], s[0:1]
	s_cbranch_execnz .LBB8_57
.LBB8_45:                               ;   in Loop: Header=BB8_41 Depth=1
	s_or_b64 exec, exec, s[12:13]
	global_load_dwordx4 v[17:20], v[29:30], off offset:3072
	s_and_saveexec_b64 s[12:13], s[0:1]
	s_cbranch_execz .LBB8_47
.LBB8_46:                               ;   in Loop: Header=BB8_41 Depth=1
	v_cmp_gt_i32_e32 vcc, s33, v57
	s_waitcnt vmcnt(0)
	v_cndmask_b32_e32 v17, 0, v17, vcc
	v_cmp_gt_i32_e32 vcc, s33, v60
	v_cndmask_b32_e32 v18, 0, v18, vcc
	v_cmp_gt_i32_e32 vcc, s33, v59
	;; [unrolled: 2-line block ×3, first 2 shown]
	v_cndmask_b32_e32 v20, 0, v20, vcc
.LBB8_47:                               ;   in Loop: Header=BB8_41 Depth=1
	s_or_b64 exec, exec, s[12:13]
	v_add_co_u32_e32 v21, vcc, 0x1000, v29
	v_addc_co_u32_e32 v22, vcc, 0, v30, vcc
	global_load_dwordx4 v[21:24], v[21:22], off
	s_and_saveexec_b64 s[12:13], s[0:1]
	s_cbranch_execz .LBB8_49
; %bb.48:                               ;   in Loop: Header=BB8_41 Depth=1
	v_cmp_gt_i32_e32 vcc, s33, v57
	s_waitcnt vmcnt(0)
	v_cndmask_b32_e32 v21, 0, v21, vcc
	v_cmp_gt_i32_e32 vcc, s33, v60
	v_cndmask_b32_e32 v22, 0, v22, vcc
	v_cmp_gt_i32_e32 vcc, s33, v59
	v_cndmask_b32_e32 v23, 0, v23, vcc
	v_cmp_gt_i32_e32 vcc, s33, v58
	v_cndmask_b32_e32 v24, 0, v24, vcc
.LBB8_49:                               ;   in Loop: Header=BB8_41 Depth=1
	s_or_b64 exec, exec, s[12:13]
	v_add_co_u32_e32 v25, vcc, 0x1000, v29
	v_addc_co_u32_e32 v26, vcc, 0, v30, vcc
	global_load_dwordx4 v[25:28], v[25:26], off offset:1024
	s_and_saveexec_b64 s[12:13], s[0:1]
	s_cbranch_execz .LBB8_51
; %bb.50:                               ;   in Loop: Header=BB8_41 Depth=1
	v_cmp_gt_i32_e32 vcc, s33, v57
	s_waitcnt vmcnt(0)
	v_cndmask_b32_e32 v25, 0, v25, vcc
	v_cmp_gt_i32_e32 vcc, s33, v60
	v_cndmask_b32_e32 v26, 0, v26, vcc
	v_cmp_gt_i32_e32 vcc, s33, v59
	v_cndmask_b32_e32 v27, 0, v27, vcc
	v_cmp_gt_i32_e32 vcc, s33, v58
	v_cndmask_b32_e32 v28, 0, v28, vcc
.LBB8_51:                               ;   in Loop: Header=BB8_41 Depth=1
	s_or_b64 exec, exec, s[12:13]
	v_add_co_u32_e32 v31, vcc, 0x1000, v29
	v_addc_co_u32_e32 v32, vcc, 0, v30, vcc
	global_load_dwordx4 v[33:36], v[31:32], off offset:2048
	;; [unrolled: 17-line block ×3, first 2 shown]
	s_and_saveexec_b64 s[12:13], s[0:1]
	s_cbranch_execz .LBB8_39
; %bb.54:                               ;   in Loop: Header=BB8_41 Depth=1
	v_cmp_gt_i32_e32 vcc, s33, v57
	s_waitcnt vmcnt(0)
	v_cndmask_b32_e32 v29, 0, v29, vcc
	v_cmp_gt_i32_e32 vcc, s33, v60
	v_cndmask_b32_e32 v30, 0, v30, vcc
	v_cmp_gt_i32_e32 vcc, s33, v59
	;; [unrolled: 2-line block ×3, first 2 shown]
	v_cndmask_b32_e32 v32, 0, v32, vcc
	s_branch .LBB8_39
.LBB8_55:                               ;   in Loop: Header=BB8_41 Depth=1
	v_cmp_gt_i32_e32 vcc, s33, v57
	s_waitcnt vmcnt(0)
	v_cndmask_b32_e32 v5, 0, v5, vcc
	v_cmp_gt_i32_e32 vcc, s33, v60
	v_cndmask_b32_e32 v6, 0, v6, vcc
	v_cmp_gt_i32_e32 vcc, s33, v59
	;; [unrolled: 2-line block ×3, first 2 shown]
	v_cndmask_b32_e32 v8, 0, v8, vcc
	s_or_b64 exec, exec, s[12:13]
	global_load_dwordx4 v[9:12], v[29:30], off offset:1024
	s_and_saveexec_b64 s[12:13], s[0:1]
	s_cbranch_execz .LBB8_44
.LBB8_56:                               ;   in Loop: Header=BB8_41 Depth=1
	v_cmp_gt_i32_e32 vcc, s33, v57
	s_waitcnt vmcnt(0)
	v_cndmask_b32_e32 v9, 0, v9, vcc
	v_cmp_gt_i32_e32 vcc, s33, v60
	v_cndmask_b32_e32 v10, 0, v10, vcc
	v_cmp_gt_i32_e32 vcc, s33, v59
	;; [unrolled: 2-line block ×3, first 2 shown]
	v_cndmask_b32_e32 v12, 0, v12, vcc
	s_or_b64 exec, exec, s[12:13]
	global_load_dwordx4 v[13:16], v[29:30], off offset:2048
	s_and_saveexec_b64 s[12:13], s[0:1]
	s_cbranch_execz .LBB8_45
.LBB8_57:                               ;   in Loop: Header=BB8_41 Depth=1
	v_cmp_gt_i32_e32 vcc, s33, v57
	s_waitcnt vmcnt(0)
	v_cndmask_b32_e32 v13, 0, v13, vcc
	v_cmp_gt_i32_e32 vcc, s33, v60
	v_cndmask_b32_e32 v14, 0, v14, vcc
	v_cmp_gt_i32_e32 vcc, s33, v59
	;; [unrolled: 2-line block ×3, first 2 shown]
	v_cndmask_b32_e32 v16, 0, v16, vcc
	s_or_b64 exec, exec, s[12:13]
	global_load_dwordx4 v[17:20], v[29:30], off offset:3072
	s_and_saveexec_b64 s[12:13], s[0:1]
	s_cbranch_execnz .LBB8_46
	s_branch .LBB8_47
.LBB8_58:
	s_or_b64 exec, exec, s[4:5]
.LBB8_59:
	s_or_b64 exec, exec, s[2:3]
	ds_bpermute_b32 v1, v42, v51
	ds_bpermute_b32 v2, v42, v52
	;; [unrolled: 1-line block ×8, first 2 shown]
	v_and_b32_e32 v9, 0x3c1, v0
	s_waitcnt lgkmcnt(7)
	v_add_f32_e32 v1, v51, v1
	s_waitcnt lgkmcnt(6)
	v_add_f32_e32 v2, v52, v2
	;; [unrolled: 2-line block ×8, first 2 shown]
	v_cmp_eq_u32_e32 vcc, 64, v9
	s_barrier
	s_and_saveexec_b64 s[0:1], vcc
	s_cbranch_execz .LBB8_61
; %bb.60:
	v_mov_b32_e32 v10, 0x410
	v_lshl_add_u32 v10, v41, 1, v10
	ds_write2_b32 v10, v1, v2 offset1:32
	ds_write2_b32 v10, v3, v4 offset0:64 offset1:96
	ds_write2_b32 v10, v5, v6 offset0:128 offset1:160
	;; [unrolled: 1-line block ×3, first 2 shown]
.LBB8_61:
	s_or_b64 exec, exec, s[0:1]
	v_cmp_gt_u32_e32 vcc, 64, v0
	v_lshrrev_b32_e32 v0, 1, v0
	s_waitcnt lgkmcnt(0)
	s_barrier
	s_and_saveexec_b64 s[0:1], vcc
	s_cbranch_execz .LBB8_72
; %bb.62:
	v_mov_b32_e32 v10, 0x410
	v_cmp_eq_u32_e32 vcc, 0, v43
	v_lshl_add_u32 v10, v0, 2, v10
	s_and_saveexec_b64 s[2:3], vcc
	s_cbranch_execnz .LBB8_75
; %bb.63:
	s_or_b64 exec, exec, s[2:3]
	s_and_saveexec_b64 s[2:3], vcc
	s_cbranch_execnz .LBB8_76
.LBB8_64:
	s_or_b64 exec, exec, s[2:3]
	s_and_saveexec_b64 s[2:3], vcc
	s_cbranch_execnz .LBB8_77
.LBB8_65:
	s_or_b64 exec, exec, s[2:3]
	s_and_saveexec_b64 s[2:3], vcc
	s_cbranch_execnz .LBB8_78
.LBB8_66:
	s_or_b64 exec, exec, s[2:3]
	s_and_saveexec_b64 s[2:3], vcc
	s_cbranch_execnz .LBB8_79
.LBB8_67:
	s_or_b64 exec, exec, s[2:3]
	s_and_saveexec_b64 s[2:3], vcc
	s_cbranch_execnz .LBB8_80
.LBB8_68:
	s_or_b64 exec, exec, s[2:3]
	s_and_saveexec_b64 s[2:3], vcc
	s_cbranch_execnz .LBB8_81
.LBB8_69:
	s_or_b64 exec, exec, s[2:3]
	s_and_saveexec_b64 s[2:3], vcc
	s_cbranch_execz .LBB8_71
.LBB8_70:
	ds_read_b32 v10, v10 offset:896
	s_waitcnt lgkmcnt(0)
	v_add_f32_e32 v8, v8, v10
.LBB8_71:
	s_or_b64 exec, exec, s[2:3]
.LBB8_72:
	s_or_b64 exec, exec, s[0:1]
	v_cmp_eq_u32_e32 vcc, 0, v9
	s_barrier
	s_and_saveexec_b64 s[0:1], vcc
	s_cbranch_execz .LBB8_74
; %bb.73:
	s_mul_i32 s0, s10, s11
	s_mul_i32 s0, s0, s9
	s_lshl_b32 s0, s0, 8
	s_ashr_i32 s1, s0, 31
	s_lshl_b64 s[0:1], s[0:1], 2
	s_add_u32 s2, s22, s0
	s_mul_i32 s0, s11, s20
	s_addc_u32 s3, s23, s1
	s_ashr_i32 s1, s0, 31
	s_lshl_b64 s[0:1], s[0:1], 2
	s_add_u32 s2, s2, s0
	s_addc_u32 s3, s3, s1
	s_lshl_b32 s0, s8, 8
	s_ashr_i32 s1, s0, 31
	s_lshl_b64 s[0:1], s[0:1], 2
	s_add_u32 s0, s2, s0
	s_addc_u32 s1, s3, s1
	v_lshlrev_b32_e32 v0, 2, v0
	global_store_dword v0, v1, s[0:1]
	global_store_dword v0, v2, s[0:1] offset:128
	global_store_dword v0, v3, s[0:1] offset:256
	global_store_dword v0, v4, s[0:1] offset:384
	global_store_dword v0, v5, s[0:1] offset:512
	global_store_dword v0, v6, s[0:1] offset:640
	global_store_dword v0, v7, s[0:1] offset:768
	global_store_dword v0, v8, s[0:1] offset:896
.LBB8_74:
	s_endpgm
.LBB8_75:
	ds_read_b32 v11, v10
	s_waitcnt lgkmcnt(0)
	v_add_f32_e32 v1, v1, v11
	s_or_b64 exec, exec, s[2:3]
	s_and_saveexec_b64 s[2:3], vcc
	s_cbranch_execz .LBB8_64
.LBB8_76:
	ds_read_b32 v11, v10 offset:128
	s_waitcnt lgkmcnt(0)
	v_add_f32_e32 v2, v2, v11
	s_or_b64 exec, exec, s[2:3]
	s_and_saveexec_b64 s[2:3], vcc
	s_cbranch_execz .LBB8_65
.LBB8_77:
	ds_read_b32 v11, v10 offset:256
	s_waitcnt lgkmcnt(0)
	v_add_f32_e32 v3, v3, v11
	s_or_b64 exec, exec, s[2:3]
	s_and_saveexec_b64 s[2:3], vcc
	s_cbranch_execz .LBB8_66
.LBB8_78:
	ds_read_b32 v11, v10 offset:384
	s_waitcnt lgkmcnt(0)
	v_add_f32_e32 v4, v4, v11
	s_or_b64 exec, exec, s[2:3]
	s_and_saveexec_b64 s[2:3], vcc
	s_cbranch_execz .LBB8_67
.LBB8_79:
	ds_read_b32 v11, v10 offset:512
	s_waitcnt lgkmcnt(0)
	v_add_f32_e32 v5, v5, v11
	s_or_b64 exec, exec, s[2:3]
	s_and_saveexec_b64 s[2:3], vcc
	s_cbranch_execz .LBB8_68
.LBB8_80:
	ds_read_b32 v11, v10 offset:640
	s_waitcnt lgkmcnt(0)
	v_add_f32_e32 v6, v6, v11
	s_or_b64 exec, exec, s[2:3]
	s_and_saveexec_b64 s[2:3], vcc
	s_cbranch_execz .LBB8_69
.LBB8_81:
	ds_read_b32 v11, v10 offset:768
	s_waitcnt lgkmcnt(0)
	v_add_f32_e32 v7, v7, v11
	s_or_b64 exec, exec, s[2:3]
	s_and_saveexec_b64 s[2:3], vcc
	s_cbranch_execnz .LBB8_70
	s_branch .LBB8_71
	.section	.rodata,"a",@progbits
	.p2align	6, 0x0
	.amdhsa_kernel _ZN4vllm25paged_attention_v1_kernelIffLi256ELi8ELi128ELNS_18Fp8KVCacheDataTypeE0ELb1EEEvPT_PKS2_PKT0_S8_ifPKiSA_iPKfiiiSC_SC_iiiii
		.amdhsa_group_segment_fixed_size 1040
		.amdhsa_private_segment_fixed_size 0
		.amdhsa_kernarg_size 384
		.amdhsa_user_sgpr_count 6
		.amdhsa_user_sgpr_private_segment_buffer 1
		.amdhsa_user_sgpr_dispatch_ptr 0
		.amdhsa_user_sgpr_queue_ptr 0
		.amdhsa_user_sgpr_kernarg_segment_ptr 1
		.amdhsa_user_sgpr_dispatch_id 0
		.amdhsa_user_sgpr_flat_scratch_init 0
		.amdhsa_user_sgpr_private_segment_size 0
		.amdhsa_uses_dynamic_stack 0
		.amdhsa_system_sgpr_private_segment_wavefront_offset 0
		.amdhsa_system_sgpr_workgroup_id_x 1
		.amdhsa_system_sgpr_workgroup_id_y 1
		.amdhsa_system_sgpr_workgroup_id_z 1
		.amdhsa_system_sgpr_workgroup_info 0
		.amdhsa_system_vgpr_workitem_id 0
		.amdhsa_next_free_vgpr 61
		.amdhsa_next_free_sgpr 45
		.amdhsa_reserve_vcc 1
		.amdhsa_reserve_flat_scratch 0
		.amdhsa_float_round_mode_32 0
		.amdhsa_float_round_mode_16_64 0
		.amdhsa_float_denorm_mode_32 3
		.amdhsa_float_denorm_mode_16_64 3
		.amdhsa_dx10_clamp 1
		.amdhsa_ieee_mode 1
		.amdhsa_fp16_overflow 0
		.amdhsa_exception_fp_ieee_invalid_op 0
		.amdhsa_exception_fp_denorm_src 0
		.amdhsa_exception_fp_ieee_div_zero 0
		.amdhsa_exception_fp_ieee_overflow 0
		.amdhsa_exception_fp_ieee_underflow 0
		.amdhsa_exception_fp_ieee_inexact 0
		.amdhsa_exception_int_div_zero 0
	.end_amdhsa_kernel
	.section	.text._ZN4vllm25paged_attention_v1_kernelIffLi256ELi8ELi128ELNS_18Fp8KVCacheDataTypeE0ELb1EEEvPT_PKS2_PKT0_S8_ifPKiSA_iPKfiiiSC_SC_iiiii,"axG",@progbits,_ZN4vllm25paged_attention_v1_kernelIffLi256ELi8ELi128ELNS_18Fp8KVCacheDataTypeE0ELb1EEEvPT_PKS2_PKT0_S8_ifPKiSA_iPKfiiiSC_SC_iiiii,comdat
.Lfunc_end8:
	.size	_ZN4vllm25paged_attention_v1_kernelIffLi256ELi8ELi128ELNS_18Fp8KVCacheDataTypeE0ELb1EEEvPT_PKS2_PKT0_S8_ifPKiSA_iPKfiiiSC_SC_iiiii, .Lfunc_end8-_ZN4vllm25paged_attention_v1_kernelIffLi256ELi8ELi128ELNS_18Fp8KVCacheDataTypeE0ELb1EEEvPT_PKS2_PKT0_S8_ifPKiSA_iPKfiiiSC_SC_iiiii
                                        ; -- End function
	.set _ZN4vllm25paged_attention_v1_kernelIffLi256ELi8ELi128ELNS_18Fp8KVCacheDataTypeE0ELb1EEEvPT_PKS2_PKT0_S8_ifPKiSA_iPKfiiiSC_SC_iiiii.num_vgpr, 61
	.set _ZN4vllm25paged_attention_v1_kernelIffLi256ELi8ELi128ELNS_18Fp8KVCacheDataTypeE0ELb1EEEvPT_PKS2_PKT0_S8_ifPKiSA_iPKfiiiSC_SC_iiiii.num_agpr, 0
	.set _ZN4vllm25paged_attention_v1_kernelIffLi256ELi8ELi128ELNS_18Fp8KVCacheDataTypeE0ELb1EEEvPT_PKS2_PKT0_S8_ifPKiSA_iPKfiiiSC_SC_iiiii.numbered_sgpr, 45
	.set _ZN4vllm25paged_attention_v1_kernelIffLi256ELi8ELi128ELNS_18Fp8KVCacheDataTypeE0ELb1EEEvPT_PKS2_PKT0_S8_ifPKiSA_iPKfiiiSC_SC_iiiii.num_named_barrier, 0
	.set _ZN4vllm25paged_attention_v1_kernelIffLi256ELi8ELi128ELNS_18Fp8KVCacheDataTypeE0ELb1EEEvPT_PKS2_PKT0_S8_ifPKiSA_iPKfiiiSC_SC_iiiii.private_seg_size, 0
	.set _ZN4vllm25paged_attention_v1_kernelIffLi256ELi8ELi128ELNS_18Fp8KVCacheDataTypeE0ELb1EEEvPT_PKS2_PKT0_S8_ifPKiSA_iPKfiiiSC_SC_iiiii.uses_vcc, 1
	.set _ZN4vllm25paged_attention_v1_kernelIffLi256ELi8ELi128ELNS_18Fp8KVCacheDataTypeE0ELb1EEEvPT_PKS2_PKT0_S8_ifPKiSA_iPKfiiiSC_SC_iiiii.uses_flat_scratch, 0
	.set _ZN4vllm25paged_attention_v1_kernelIffLi256ELi8ELi128ELNS_18Fp8KVCacheDataTypeE0ELb1EEEvPT_PKS2_PKT0_S8_ifPKiSA_iPKfiiiSC_SC_iiiii.has_dyn_sized_stack, 0
	.set _ZN4vllm25paged_attention_v1_kernelIffLi256ELi8ELi128ELNS_18Fp8KVCacheDataTypeE0ELb1EEEvPT_PKS2_PKT0_S8_ifPKiSA_iPKfiiiSC_SC_iiiii.has_recursion, 0
	.set _ZN4vllm25paged_attention_v1_kernelIffLi256ELi8ELi128ELNS_18Fp8KVCacheDataTypeE0ELb1EEEvPT_PKS2_PKT0_S8_ifPKiSA_iPKfiiiSC_SC_iiiii.has_indirect_call, 0
	.section	.AMDGPU.csdata,"",@progbits
; Kernel info:
; codeLenInByte = 5008
; TotalNumSgprs: 49
; NumVgprs: 61
; ScratchSize: 0
; MemoryBound: 0
; FloatMode: 240
; IeeeMode: 1
; LDSByteSize: 1040 bytes/workgroup (compile time only)
; SGPRBlocks: 6
; VGPRBlocks: 15
; NumSGPRsForWavesPerEU: 49
; NumVGPRsForWavesPerEU: 61
; Occupancy: 4
; WaveLimiterHint : 1
; COMPUTE_PGM_RSRC2:SCRATCH_EN: 0
; COMPUTE_PGM_RSRC2:USER_SGPR: 6
; COMPUTE_PGM_RSRC2:TRAP_HANDLER: 0
; COMPUTE_PGM_RSRC2:TGID_X_EN: 1
; COMPUTE_PGM_RSRC2:TGID_Y_EN: 1
; COMPUTE_PGM_RSRC2:TGID_Z_EN: 1
; COMPUTE_PGM_RSRC2:TIDIG_COMP_CNT: 0
	.section	.text._ZN4vllm25paged_attention_v1_kernelIffLi32ELi8ELi128ELNS_18Fp8KVCacheDataTypeE0ELb0EEEvPT_PKS2_PKT0_S8_ifPKiSA_iPKfiiiSC_SC_iiiii,"axG",@progbits,_ZN4vllm25paged_attention_v1_kernelIffLi32ELi8ELi128ELNS_18Fp8KVCacheDataTypeE0ELb0EEEvPT_PKS2_PKT0_S8_ifPKiSA_iPKfiiiSC_SC_iiiii,comdat
	.protected	_ZN4vllm25paged_attention_v1_kernelIffLi32ELi8ELi128ELNS_18Fp8KVCacheDataTypeE0ELb0EEEvPT_PKS2_PKT0_S8_ifPKiSA_iPKfiiiSC_SC_iiiii ; -- Begin function _ZN4vllm25paged_attention_v1_kernelIffLi32ELi8ELi128ELNS_18Fp8KVCacheDataTypeE0ELb0EEEvPT_PKS2_PKT0_S8_ifPKiSA_iPKfiiiSC_SC_iiiii
	.globl	_ZN4vllm25paged_attention_v1_kernelIffLi32ELi8ELi128ELNS_18Fp8KVCacheDataTypeE0ELb0EEEvPT_PKS2_PKT0_S8_ifPKiSA_iPKfiiiSC_SC_iiiii
	.p2align	8
	.type	_ZN4vllm25paged_attention_v1_kernelIffLi32ELi8ELi128ELNS_18Fp8KVCacheDataTypeE0ELb0EEEvPT_PKS2_PKT0_S8_ifPKiSA_iPKfiiiSC_SC_iiiii,@function
_ZN4vllm25paged_attention_v1_kernelIffLi32ELi8ELi128ELNS_18Fp8KVCacheDataTypeE0ELb0EEEvPT_PKS2_PKT0_S8_ifPKiSA_iPKfiiiSC_SC_iiiii: ; @_ZN4vllm25paged_attention_v1_kernelIffLi32ELi8ELi128ELNS_18Fp8KVCacheDataTypeE0ELb0EEEvPT_PKS2_PKT0_S8_ifPKiSA_iPKfiiiSC_SC_iiiii
; %bb.0:
	s_load_dword s9, s[4:5], 0x80
	s_load_dwordx2 s[0:1], s[4:5], 0x30
	s_load_dwordx2 s[26:27], s[4:5], 0x20
	s_mov_b32 s10, s7
	s_ashr_i32 s11, s7, 31
	s_lshl_b64 s[2:3], s[10:11], 2
	s_waitcnt lgkmcnt(0)
	s_add_u32 s0, s0, s2
	s_addc_u32 s1, s1, s3
	s_abs_i32 s2, s26
	v_cvt_f32_u32_e32 v1, s2
	s_sub_i32 s11, 0, s2
	s_abs_i32 s7, s9
	s_xor_b32 s3, s9, s26
	v_rcp_iflag_f32_e32 v1, v1
	s_ashr_i32 s3, s3, 31
	s_mov_b32 s26, 0
	v_mul_f32_e32 v1, 0x4f7ffffe, v1
	v_cvt_u32_f32_e32 v1, v1
	v_readfirstlane_b32 s12, v1
	s_mul_i32 s11, s11, s12
	s_mul_hi_u32 s11, s12, s11
	s_add_i32 s12, s12, s11
	s_mul_hi_u32 s11, s7, s12
	s_mul_i32 s12, s11, s2
	s_sub_i32 s7, s7, s12
	s_add_i32 s12, s11, 1
	s_sub_i32 s13, s7, s2
	s_cmp_ge_u32 s7, s2
	s_cselect_b32 s11, s12, s11
	s_cselect_b32 s7, s13, s7
	s_add_i32 s12, s11, 1
	s_cmp_ge_u32 s7, s2
	s_cselect_b32 s2, s12, s11
	s_xor_b32 s2, s2, s3
	s_sub_i32 s12, s2, s3
	s_abs_i32 s18, s12
	v_cvt_f32_u32_e32 v1, s18
	s_load_dwordx2 s[2:3], s[4:5], 0x40
	s_sub_i32 s7, 0, s18
	s_abs_i32 s19, s6
	v_rcp_iflag_f32_e32 v1, v1
	v_mul_f32_e32 v1, 0x4f7ffffe, v1
	v_cvt_u32_f32_e32 v1, v1
	v_readfirstlane_b32 s11, v1
	s_mul_i32 s7, s7, s11
	s_mul_hi_u32 s7, s11, s7
	s_add_i32 s11, s11, s7
	s_waitcnt lgkmcnt(0)
	s_cmp_eq_u64 s[2:3], 0
	s_mul_hi_u32 s22, s19, s11
	s_cbranch_scc1 .LBB9_2
; %bb.1:
	s_ashr_i32 s7, s6, 31
	s_lshl_b64 s[14:15], s[6:7], 2
	s_add_u32 s2, s2, s14
	s_addc_u32 s3, s3, s15
	s_load_dword s26, s[2:3], 0x0
.LBB9_2:
	s_load_dword s11, s[0:1], 0x0
	s_ashr_i32 s3, s12, 31
	s_load_dwordx4 s[12:15], s[4:5], 0x48
	s_ashr_i32 s2, s6, 31
	v_and_b32_e32 v5, 7, v0
	s_lshl_b32 s16, s6, 5
	v_cmp_gt_u32_e32 vcc, 32, v0
	v_lshlrev_b32_e32 v7, 2, v0
	v_lshrrev_b32_e32 v11, 1, v0
	s_and_saveexec_b64 s[0:1], vcc
	s_cbranch_execz .LBB9_4
; %bb.3:
	s_load_dwordx2 s[6:7], s[4:5], 0x8
	s_waitcnt lgkmcnt(0)
	s_mul_i32 s20, s12, s10
	s_ashr_i32 s21, s20, 31
	s_lshl_b64 s[20:21], s[20:21], 2
	v_and_b32_e32 v2, 0x1fc, v11
	s_add_u32 s12, s6, s20
	s_addc_u32 s15, s7, s21
	s_ashr_i32 s17, s16, 31
	s_lshl_b64 s[6:7], s[16:17], 2
	s_add_u32 s6, s12, s6
	s_addc_u32 s7, s15, s7
	global_load_dword v1, v7, s[6:7]
	v_lshl_add_u32 v2, v5, 4, v2
	s_waitcnt vmcnt(0)
	ds_write_b32 v2, v1
.LBB9_4:
	s_or_b64 exec, exec, s[0:1]
	s_waitcnt lgkmcnt(0)
	s_add_i32 s1, s11, 7
	s_ashr_i32 s6, s1, 31
	s_lshr_b32 s6, s6, 29
	s_add_i32 s1, s1, s6
	s_ashr_i32 s17, s1, 3
	s_xor_b32 s1, s2, s3
	s_mul_i32 s2, s22, s18
	s_sub_i32 s2, s19, s2
	s_add_i32 s3, s22, 1
	s_sub_i32 s6, s2, s18
	s_load_dwordx2 s[20:21], s[4:5], 0x28
	s_load_dword s0, s[4:5], 0x38
	s_cmp_ge_u32 s2, s18
	s_cselect_b32 s3, s3, s22
	s_cselect_b32 s2, s6, s2
	s_add_i32 s6, s3, 1
	s_cmp_ge_u32 s2, s18
	s_cselect_b32 s2, s6, s3
	v_lshrrev_b32_e32 v12, 6, v0
	s_xor_b32 s2, s2, s1
	s_waitcnt lgkmcnt(0)
	s_mul_i32 s22, s0, s10
	s_sub_i32 s15, s2, s1
	s_ashr_i32 s23, s22, 31
	v_cmp_gt_i32_e64 s[0:1], s17, v12
	v_cmp_le_i32_e32 vcc, s17, v12
	v_mbcnt_lo_u32_b32 v6, -1, 0
	s_barrier
                                        ; implicit-def: $vgpr9
                                        ; implicit-def: $vgpr15
                                        ; implicit-def: $vgpr10
	s_and_saveexec_b64 s[2:3], vcc
	s_xor_b64 s[2:3], exec, s[2:3]
; %bb.5:
	v_mbcnt_hi_u32_b32 v9, -1, v6
	v_and_b32_e32 v15, 64, v9
	v_add_u32_e32 v10, 64, v15
                                        ; implicit-def: $vgpr5
                                        ; implicit-def: $vgpr6
; %bb.6:
	s_or_saveexec_b64 s[6:7], s[2:3]
	s_load_dwordx2 s[18:19], s[4:5], 0x0
	s_load_dwordx2 s[24:25], s[4:5], 0x18
	s_load_dword s12, s[4:5], 0x88
	v_mov_b32_e32 v13, 0xff7fffff
	s_mul_i32 s14, s15, s14
	v_lshrrev_b32_e32 v8, 4, v0
	s_xor_b64 exec, exec, s[6:7]
	s_cbranch_execz .LBB9_12
; %bb.7:
	s_load_dwordx2 s[2:3], s[4:5], 0x10
	s_ashr_i32 s15, s14, 31
	s_lshl_b64 s[4:5], s[14:15], 2
	v_bfe_u32 v13, v0, 3, 3
	v_lshlrev_b32_e32 v1, 4, v13
	s_waitcnt lgkmcnt(0)
	s_add_u32 s2, s2, s4
	s_addc_u32 s3, s3, s5
	v_mov_b32_e32 v2, s3
	v_add_co_u32_e32 v1, vcc, s2, v1
	v_and_b32_e32 v3, 3, v0
	v_addc_co_u32_e32 v2, vcc, 0, v2, vcc
	v_lshlrev_b32_e32 v3, 2, v3
	v_mbcnt_hi_u32_b32 v9, -1, v6
	v_add_co_u32_e32 v18, vcc, v1, v3
	v_and_b32_e32 v15, 64, v9
	v_addc_co_u32_e32 v19, vcc, 0, v2, vcc
	v_add_u32_e32 v10, 64, v15
	v_xor_b32_e32 v6, 4, v9
	v_cmp_lt_i32_e32 vcc, v6, v10
	v_cndmask_b32_e32 v6, v9, v6, vcc
	v_lshlrev_b32_e32 v14, 2, v6
	v_xor_b32_e32 v6, 2, v9
	v_cmp_lt_i32_e32 vcc, v6, v10
	v_cndmask_b32_e32 v6, v9, v6, vcc
	v_lshlrev_b32_e32 v16, 2, v6
	v_xor_b32_e32 v6, 1, v9
	v_cmp_lt_i32_e32 vcc, v6, v10
	v_lshlrev_b32_e32 v1, 4, v5
	v_cndmask_b32_e32 v6, v9, v6, vcc
	v_cmp_eq_u32_e32 vcc, 0, v5
	v_lshlrev_b32_e32 v5, 5, v0
	v_and_b32_e32 v5, 0x80, v5
	v_add_co_u32_e64 v18, s[4:5], v18, v5
	v_addc_co_u32_e64 v19, s[4:5], 0, v19, s[4:5]
	v_lshlrev_b32_e32 v21, 2, v13
	ds_read_b128 v[1:4], v1
	s_sub_i32 s15, 1, s11
	s_lshl_b64 s[4:5], s[22:23], 2
	v_lshl_or_b32 v5, v12, 5, v21
	s_add_u32 s4, s20, s4
	v_add_u32_e32 v21, 0x90, v5
	v_and_b32_e32 v5, 60, v8
	s_addc_u32 s5, s21, s5
	v_lshlrev_b32_e32 v17, 2, v6
	v_mov_b32_e32 v6, s5
	v_add_co_u32_e64 v5, s[4:5], s4, v5
	s_mov_b32 s33, s13
	v_cmp_neq_f32_e64 s[2:3], s26, 0
	v_lshl_or_b32 v20, v12, 3, v13
	v_addc_co_u32_e64 v6, s[4:5], 0, v6, s[4:5]
	v_mov_b32_e32 v13, 0xff7fffff
	s_mov_b64 s[28:29], 0
	v_mov_b32_e32 v22, v12
	s_branch .LBB9_9
.LBB9_8:                                ;   in Loop: Header=BB9_9 Depth=1
	s_or_b64 exec, exec, s[30:31]
	v_add_u32_e32 v22, 2, v22
	v_cmp_le_i32_e64 s[4:5], s17, v22
	s_or_b64 s[28:29], s[4:5], s[28:29]
	v_add_co_u32_e64 v5, s[4:5], 8, v5
	v_add_u32_e32 v20, 16, v20
	v_add_u32_e32 v21, 64, v21
	v_addc_co_u32_e64 v6, s[4:5], 0, v6, s[4:5]
	s_andn2_b64 exec, exec, s[28:29]
	s_cbranch_execz .LBB9_11
.LBB9_9:                                ; =>This Inner Loop Header: Depth=1
	global_load_dword v23, v[5:6], off
	s_waitcnt vmcnt(0) lgkmcnt(0)
	v_mad_i64_i32 v[23:24], s[4:5], v23, s33, 0
	v_lshlrev_b64 v[23:24], 2, v[23:24]
	v_add_co_u32_e64 v23, s[4:5], v18, v23
	v_addc_co_u32_e64 v24, s[4:5], v19, v24, s[4:5]
	global_load_dword v25, v[23:24], off offset:256
	global_load_dword v26, v[23:24], off
	global_load_dword v27, v[23:24], off offset:512
	global_load_dword v28, v[23:24], off offset:768
	s_waitcnt vmcnt(3) lgkmcnt(0)
	v_mul_f32_e32 v23, v2, v25
	s_waitcnt vmcnt(2)
	v_fmac_f32_e32 v23, v1, v26
	s_waitcnt vmcnt(1)
	v_fmac_f32_e32 v23, v3, v27
	;; [unrolled: 2-line block ×3, first 2 shown]
	ds_bpermute_b32 v24, v14, v23
	s_waitcnt lgkmcnt(0)
	v_add_f32_e32 v23, v23, v24
	ds_bpermute_b32 v24, v16, v23
	s_waitcnt lgkmcnt(0)
	v_add_f32_e32 v23, v23, v24
	ds_bpermute_b32 v24, v17, v23
	s_and_saveexec_b64 s[30:31], vcc
	s_cbranch_execz .LBB9_8
; %bb.10:                               ;   in Loop: Header=BB9_9 Depth=1
	v_add_u32_e32 v25, s15, v20
	v_cvt_f32_i32_e32 v25, v25
	s_waitcnt lgkmcnt(0)
	v_add_f32_e32 v23, v23, v24
	v_cmp_gt_i32_e64 s[4:5], s11, v20
	v_max_f32_e32 v24, v13, v13
	v_mul_f32_e32 v25, s26, v25
	v_cndmask_b32_e64 v25, 0, v25, s[2:3]
	v_fmac_f32_e32 v25, s27, v23
	v_cndmask_b32_e64 v23, 0, v25, s[4:5]
	ds_write_b32 v21, v23
	v_max_f32_e32 v23, v24, v25
	v_cndmask_b32_e64 v13, v13, v23, s[4:5]
	s_branch .LBB9_8
.LBB9_11:
	s_or_b64 exec, exec, s[28:29]
.LBB9_12:
	s_or_b64 exec, exec, s[6:7]
	v_xor_b32_e32 v1, 32, v9
	v_cmp_lt_i32_e32 vcc, v1, v10
	v_cndmask_b32_e32 v1, v9, v1, vcc
	v_lshlrev_b32_e32 v2, 2, v1
	ds_bpermute_b32 v1, v2, v13
	v_xor_b32_e32 v4, 16, v9
	v_max_f32_e32 v3, v13, v13
	v_cmp_lt_i32_e32 vcc, v4, v10
	v_xor_b32_e32 v5, 8, v9
	s_waitcnt lgkmcnt(0)
	v_max_f32_e32 v1, v1, v1
	v_max_f32_e32 v1, v3, v1
	v_cndmask_b32_e32 v3, v9, v4, vcc
	v_lshlrev_b32_e32 v4, 2, v3
	ds_bpermute_b32 v3, v4, v1
	v_cmp_lt_i32_e32 vcc, v5, v10
	v_and_b32_e32 v13, 63, v0
	s_waitcnt lgkmcnt(0)
	v_max_f32_e32 v3, v3, v3
	v_max_f32_e32 v3, v1, v3
	v_cndmask_b32_e32 v1, v9, v5, vcc
	v_lshlrev_b32_e32 v5, 2, v1
	ds_bpermute_b32 v6, v5, v3
	v_cmp_eq_u32_e32 vcc, 0, v13
	v_lshlrev_b32_e32 v1, 2, v12
	s_and_saveexec_b64 s[2:3], vcc
	s_cbranch_execz .LBB9_14
; %bb.13:
	s_waitcnt lgkmcnt(0)
	v_max_f32_e32 v6, v6, v6
	v_max_f32_e32 v3, v3, v3
	;; [unrolled: 1-line block ×3, first 2 shown]
	ds_write_b32 v1, v3 offset:128
.LBB9_14:
	s_or_b64 exec, exec, s[2:3]
	v_cmp_gt_u32_e64 s[2:3], 2, v13
	s_waitcnt lgkmcnt(0)
	v_mov_b32_e32 v6, 0xff7fffff
	v_lshlrev_b32_e32 v3, 2, v13
	s_barrier
	s_and_saveexec_b64 s[4:5], s[2:3]
; %bb.15:
	ds_read_b32 v6, v3 offset:128
; %bb.16:
	s_or_b64 exec, exec, s[4:5]
	v_xor_b32_e32 v14, 1, v9
	v_cmp_lt_i32_e64 s[4:5], v14, v10
	v_cndmask_b32_e64 v14, v9, v14, s[4:5]
	v_lshlrev_b32_e32 v14, 2, v14
	s_waitcnt lgkmcnt(0)
	ds_bpermute_b32 v16, v14, v6
	v_max_f32_e32 v6, v6, v6
	v_lshlrev_b32_e32 v15, 2, v15
	s_lshl_b32 s4, s17, 3
	s_min_i32 s15, s4, s11
	s_waitcnt lgkmcnt(0)
	v_max_f32_e32 v16, v16, v16
	v_max_f32_e32 v6, v6, v16
	ds_bpermute_b32 v15, v15, v6
	v_cmp_gt_i32_e64 s[4:5], s15, v0
	v_mov_b32_e32 v6, 0
	s_and_saveexec_b64 s[26:27], s[4:5]
	s_cbranch_execz .LBB9_20
; %bb.17:
	v_mov_b32_e32 v6, 0x90
	v_lshl_add_u32 v16, v0, 2, v6
	v_mov_b32_e32 v6, 0
	s_mov_b64 s[28:29], 0
	v_mov_b32_e32 v17, v0
.LBB9_18:                               ; =>This Inner Loop Header: Depth=1
	ds_read_b32 v18, v16
	v_add_u32_e32 v17, 0x80, v17
	v_cmp_le_i32_e64 s[6:7], s15, v17
	s_or_b64 s[28:29], s[6:7], s[28:29]
	s_waitcnt lgkmcnt(0)
	v_sub_f32_e32 v18, v18, v15
	v_mul_f32_e32 v18, 0x3fb8aa3b, v18
	v_exp_f32_e32 v18, v18
	ds_write_b32 v16, v18
	v_add_f32_e32 v6, v6, v18
	v_add_u32_e32 v16, 0x200, v16
	s_andn2_b64 exec, exec, s[28:29]
	s_cbranch_execnz .LBB9_18
; %bb.19:
	s_or_b64 exec, exec, s[28:29]
.LBB9_20:
	s_or_b64 exec, exec, s[26:27]
	ds_bpermute_b32 v2, v2, v6
	s_waitcnt lgkmcnt(0)
	v_add_f32_e32 v2, v6, v2
	ds_bpermute_b32 v4, v4, v2
	s_waitcnt lgkmcnt(0)
	v_add_f32_e32 v2, v2, v4
	ds_bpermute_b32 v4, v5, v2
	v_xor_b32_e32 v5, 4, v9
	v_cmp_lt_i32_e64 s[6:7], v5, v10
	v_cndmask_b32_e64 v5, v9, v5, s[6:7]
	v_lshlrev_b32_e32 v5, 2, v5
	s_waitcnt lgkmcnt(0)
	v_add_f32_e32 v2, v2, v4
	ds_bpermute_b32 v4, v5, v2
	v_xor_b32_e32 v5, 2, v9
	v_cmp_lt_i32_e64 s[6:7], v5, v10
	v_cndmask_b32_e64 v5, v9, v5, s[6:7]
	s_waitcnt lgkmcnt(0)
	v_add_f32_e32 v2, v2, v4
	v_lshlrev_b32_e32 v4, 2, v5
	ds_bpermute_b32 v4, v4, v2
	s_waitcnt lgkmcnt(0)
	v_add_f32_e32 v2, v2, v4
	ds_bpermute_b32 v4, v14, v2
	s_waitcnt lgkmcnt(0)
	v_add_f32_e32 v2, v2, v4
	s_and_saveexec_b64 s[6:7], vcc
; %bb.21:
	ds_write_b32 v1, v2 offset:136
; %bb.22:
	s_or_b64 exec, exec, s[6:7]
	s_waitcnt lgkmcnt(0)
	s_barrier
	s_and_saveexec_b64 s[6:7], s[2:3]
; %bb.23:
	ds_read_b32 v2, v3 offset:136
; %bb.24:
	s_or_b64 exec, exec, s[6:7]
	s_waitcnt lgkmcnt(0)
	ds_bpermute_b32 v1, v14, v2
	v_lshlrev_b32_e32 v3, 2, v9
	s_waitcnt lgkmcnt(0)
	v_add_f32_e32 v1, v2, v1
	v_and_b32_e32 v2, 0xffffff00, v3
	ds_bpermute_b32 v1, v2, v1
	s_and_saveexec_b64 s[2:3], s[4:5]
	s_cbranch_execz .LBB9_27
; %bb.25:
	s_waitcnt lgkmcnt(0)
	v_add_f32_e32 v2, 0x358637bd, v1
	v_div_scale_f32 v1, s[4:5], v2, v2, 1.0
	v_div_scale_f32 v3, vcc, 1.0, v2, 1.0
	s_mov_b64 s[4:5], 0
	v_rcp_f32_e32 v4, v1
	v_fma_f32 v5, -v1, v4, 1.0
	v_fmac_f32_e32 v4, v5, v4
	v_mul_f32_e32 v5, v3, v4
	v_fma_f32 v6, -v1, v5, v3
	v_fmac_f32_e32 v5, v6, v4
	v_fma_f32 v1, -v1, v5, v3
	v_div_fmas_f32 v3, v1, v4, v5
	v_mov_b32_e32 v1, 0x90
	v_lshl_add_u32 v1, v0, 2, v1
	v_div_fixup_f32 v2, v3, v2, 1.0
	v_mov_b32_e32 v3, v0
.LBB9_26:                               ; =>This Inner Loop Header: Depth=1
	ds_read_b32 v4, v1
	v_add_u32_e32 v3, 0x80, v3
	v_cmp_le_i32_e32 vcc, s15, v3
	s_or_b64 s[4:5], vcc, s[4:5]
	s_waitcnt lgkmcnt(0)
	v_mul_f32_e32 v4, v2, v4
	ds_write_b32 v1, v4
	v_add_u32_e32 v1, 0x200, v1
	s_andn2_b64 exec, exec, s[4:5]
	s_cbranch_execnz .LBB9_26
.LBB9_27:
	s_or_b64 exec, exec, s[2:3]
	v_mov_b32_e32 v15, 0
	s_waitcnt lgkmcnt(0)
	s_barrier
	s_and_saveexec_b64 s[2:3], s[0:1]
	s_cbranch_execz .LBB9_33
; %bb.28:
	s_ashr_i32 s15, s14, 31
	s_lshl_b64 s[0:1], s[14:15], 2
	v_lshlrev_b32_e32 v2, 4, v0
	s_add_u32 s0, s24, s0
	v_and_b32_e32 v2, 0x3f0, v2
	v_and_b32_e32 v1, 4, v7
	v_add_co_u32_e32 v16, vcc, s0, v2
	v_lshlrev_b32_e32 v2, 3, v12
	s_addc_u32 s1, s25, s1
	v_or3_b32 v18, v2, v1, 3
	v_and_b32_e32 v1, 1, v0
	v_mov_b32_e32 v3, s1
	s_add_i32 s7, s17, -1
	v_lshlrev_b32_e32 v1, 4, v1
	s_lshl_b64 s[0:1], s[22:23], 2
	v_lshl_or_b32 v1, v12, 5, v1
	s_add_u32 s0, s20, s0
	v_addc_co_u32_e32 v17, vcc, 0, v3, vcc
	v_add_u32_e32 v19, 0x90, v1
	v_and_b32_e32 v1, 60, v8
	s_addc_u32 s1, s21, s1
	v_mov_b32_e32 v2, s1
	v_add_co_u32_e32 v9, vcc, s0, v1
	s_mov_b32 s6, s13
	v_mov_b32_e32 v15, 0
	v_addc_co_u32_e32 v10, vcc, 0, v2, vcc
	s_mov_b64 s[0:1], 0
	s_branch .LBB9_30
.LBB9_29:                               ;   in Loop: Header=BB9_30 Depth=1
	s_or_b64 exec, exec, s[4:5]
	s_waitcnt vmcnt(0) lgkmcnt(0)
	v_mul_f32_e32 v1, v5, v1
	v_fmac_f32_e32 v1, v6, v2
	v_add_u32_e32 v12, 2, v12
	v_fmac_f32_e32 v1, v7, v3
	v_cmp_le_i32_e32 vcc, s17, v12
	v_fmac_f32_e32 v1, v8, v4
	s_or_b64 s[0:1], vcc, s[0:1]
	v_add_co_u32_e32 v9, vcc, 8, v9
	v_add_f32_e32 v15, v15, v1
	v_add_u32_e32 v18, 16, v18
	v_add_u32_e32 v19, 64, v19
	v_addc_co_u32_e32 v10, vcc, 0, v10, vcc
	s_andn2_b64 exec, exec, s[0:1]
	s_cbranch_execz .LBB9_32
.LBB9_30:                               ; =>This Inner Loop Header: Depth=1
	global_load_dword v1, v[9:10], off
	ds_read_b128 v[5:8], v19
	s_waitcnt vmcnt(0)
	v_mad_i64_i32 v[1:2], s[4:5], v1, s6, 0
	v_lshlrev_b64 v[1:2], 2, v[1:2]
	v_add_co_u32_e32 v1, vcc, v16, v1
	v_addc_co_u32_e32 v2, vcc, v17, v2, vcc
	global_load_dwordx4 v[1:4], v[1:2], off
	v_cmp_eq_u32_e32 vcc, s7, v12
	s_and_saveexec_b64 s[4:5], vcc
	s_cbranch_execz .LBB9_29
; %bb.31:                               ;   in Loop: Header=BB9_30 Depth=1
	v_add_u32_e32 v20, -3, v18
	v_cmp_gt_i32_e32 vcc, s11, v20
	v_add_u32_e32 v20, -2, v18
	s_waitcnt vmcnt(0)
	v_cndmask_b32_e32 v1, 0, v1, vcc
	v_cmp_gt_i32_e32 vcc, s11, v20
	v_add_u32_e32 v20, -1, v18
	v_cndmask_b32_e32 v2, 0, v2, vcc
	v_cmp_gt_i32_e32 vcc, s11, v20
	v_cndmask_b32_e32 v3, 0, v3, vcc
	v_cmp_gt_i32_e32 vcc, s11, v18
	v_cndmask_b32_e32 v4, 0, v4, vcc
	s_branch .LBB9_29
.LBB9_32:
	s_or_b64 exec, exec, s[0:1]
.LBB9_33:
	s_or_b64 exec, exec, s[2:3]
	ds_bpermute_b32 v2, v14, v15
	v_and_b32_e32 v1, 0x3c1, v0
	v_cmp_eq_u32_e32 vcc, 64, v1
	s_waitcnt lgkmcnt(0)
	s_barrier
	v_add_f32_e32 v0, v15, v2
	s_and_saveexec_b64 s[0:1], vcc
; %bb.34:
	v_mov_b32_e32 v2, 0x90
	v_lshl_add_u32 v2, v13, 1, v2
	ds_write_b32 v2, v0
; %bb.35:
	s_or_b64 exec, exec, s[0:1]
	v_cmp_eq_u32_e32 vcc, 0, v1
	s_waitcnt lgkmcnt(0)
	s_barrier
	s_and_saveexec_b64 s[0:1], vcc
	s_cbranch_execz .LBB9_37
; %bb.36:
	v_mov_b32_e32 v1, 0x90
	v_lshl_add_u32 v1, v11, 2, v1
	ds_read_b32 v1, v1
	s_waitcnt lgkmcnt(0)
	v_add_f32_e32 v0, v0, v1
.LBB9_37:
	s_or_b64 exec, exec, s[0:1]
	s_barrier
	s_and_saveexec_b64 s[0:1], vcc
	s_cbranch_execz .LBB9_39
; %bb.38:
	s_mul_i32 s0, s10, s12
	s_mul_i32 s0, s0, s9
	s_lshl_b32 s0, s0, 5
	s_ashr_i32 s1, s0, 31
	s_lshl_b64 s[0:1], s[0:1], 2
	s_add_u32 s2, s18, s0
	s_mul_i32 s0, s12, s16
	s_addc_u32 s3, s19, s1
	s_ashr_i32 s1, s0, 31
	s_lshl_b64 s[0:1], s[0:1], 2
	s_add_u32 s2, s2, s0
	s_addc_u32 s3, s3, s1
	s_lshl_b32 s0, s8, 5
	s_ashr_i32 s1, s0, 31
	s_lshl_b64 s[0:1], s[0:1], 2
	s_add_u32 s0, s2, s0
	s_addc_u32 s1, s3, s1
	v_lshlrev_b32_e32 v1, 2, v11
	global_store_dword v1, v0, s[0:1]
.LBB9_39:
	s_endpgm
	.section	.rodata,"a",@progbits
	.p2align	6, 0x0
	.amdhsa_kernel _ZN4vllm25paged_attention_v1_kernelIffLi32ELi8ELi128ELNS_18Fp8KVCacheDataTypeE0ELb0EEEvPT_PKS2_PKT0_S8_ifPKiSA_iPKfiiiSC_SC_iiiii
		.amdhsa_group_segment_fixed_size 144
		.amdhsa_private_segment_fixed_size 0
		.amdhsa_kernarg_size 384
		.amdhsa_user_sgpr_count 6
		.amdhsa_user_sgpr_private_segment_buffer 1
		.amdhsa_user_sgpr_dispatch_ptr 0
		.amdhsa_user_sgpr_queue_ptr 0
		.amdhsa_user_sgpr_kernarg_segment_ptr 1
		.amdhsa_user_sgpr_dispatch_id 0
		.amdhsa_user_sgpr_flat_scratch_init 0
		.amdhsa_user_sgpr_private_segment_size 0
		.amdhsa_uses_dynamic_stack 0
		.amdhsa_system_sgpr_private_segment_wavefront_offset 0
		.amdhsa_system_sgpr_workgroup_id_x 1
		.amdhsa_system_sgpr_workgroup_id_y 1
		.amdhsa_system_sgpr_workgroup_id_z 1
		.amdhsa_system_sgpr_workgroup_info 0
		.amdhsa_system_vgpr_workitem_id 0
		.amdhsa_next_free_vgpr 29
		.amdhsa_next_free_sgpr 34
		.amdhsa_reserve_vcc 1
		.amdhsa_reserve_flat_scratch 0
		.amdhsa_float_round_mode_32 0
		.amdhsa_float_round_mode_16_64 0
		.amdhsa_float_denorm_mode_32 3
		.amdhsa_float_denorm_mode_16_64 3
		.amdhsa_dx10_clamp 1
		.amdhsa_ieee_mode 1
		.amdhsa_fp16_overflow 0
		.amdhsa_exception_fp_ieee_invalid_op 0
		.amdhsa_exception_fp_denorm_src 0
		.amdhsa_exception_fp_ieee_div_zero 0
		.amdhsa_exception_fp_ieee_overflow 0
		.amdhsa_exception_fp_ieee_underflow 0
		.amdhsa_exception_fp_ieee_inexact 0
		.amdhsa_exception_int_div_zero 0
	.end_amdhsa_kernel
	.section	.text._ZN4vllm25paged_attention_v1_kernelIffLi32ELi8ELi128ELNS_18Fp8KVCacheDataTypeE0ELb0EEEvPT_PKS2_PKT0_S8_ifPKiSA_iPKfiiiSC_SC_iiiii,"axG",@progbits,_ZN4vllm25paged_attention_v1_kernelIffLi32ELi8ELi128ELNS_18Fp8KVCacheDataTypeE0ELb0EEEvPT_PKS2_PKT0_S8_ifPKiSA_iPKfiiiSC_SC_iiiii,comdat
.Lfunc_end9:
	.size	_ZN4vllm25paged_attention_v1_kernelIffLi32ELi8ELi128ELNS_18Fp8KVCacheDataTypeE0ELb0EEEvPT_PKS2_PKT0_S8_ifPKiSA_iPKfiiiSC_SC_iiiii, .Lfunc_end9-_ZN4vllm25paged_attention_v1_kernelIffLi32ELi8ELi128ELNS_18Fp8KVCacheDataTypeE0ELb0EEEvPT_PKS2_PKT0_S8_ifPKiSA_iPKfiiiSC_SC_iiiii
                                        ; -- End function
	.set _ZN4vllm25paged_attention_v1_kernelIffLi32ELi8ELi128ELNS_18Fp8KVCacheDataTypeE0ELb0EEEvPT_PKS2_PKT0_S8_ifPKiSA_iPKfiiiSC_SC_iiiii.num_vgpr, 29
	.set _ZN4vllm25paged_attention_v1_kernelIffLi32ELi8ELi128ELNS_18Fp8KVCacheDataTypeE0ELb0EEEvPT_PKS2_PKT0_S8_ifPKiSA_iPKfiiiSC_SC_iiiii.num_agpr, 0
	.set _ZN4vllm25paged_attention_v1_kernelIffLi32ELi8ELi128ELNS_18Fp8KVCacheDataTypeE0ELb0EEEvPT_PKS2_PKT0_S8_ifPKiSA_iPKfiiiSC_SC_iiiii.numbered_sgpr, 34
	.set _ZN4vllm25paged_attention_v1_kernelIffLi32ELi8ELi128ELNS_18Fp8KVCacheDataTypeE0ELb0EEEvPT_PKS2_PKT0_S8_ifPKiSA_iPKfiiiSC_SC_iiiii.num_named_barrier, 0
	.set _ZN4vllm25paged_attention_v1_kernelIffLi32ELi8ELi128ELNS_18Fp8KVCacheDataTypeE0ELb0EEEvPT_PKS2_PKT0_S8_ifPKiSA_iPKfiiiSC_SC_iiiii.private_seg_size, 0
	.set _ZN4vllm25paged_attention_v1_kernelIffLi32ELi8ELi128ELNS_18Fp8KVCacheDataTypeE0ELb0EEEvPT_PKS2_PKT0_S8_ifPKiSA_iPKfiiiSC_SC_iiiii.uses_vcc, 1
	.set _ZN4vllm25paged_attention_v1_kernelIffLi32ELi8ELi128ELNS_18Fp8KVCacheDataTypeE0ELb0EEEvPT_PKS2_PKT0_S8_ifPKiSA_iPKfiiiSC_SC_iiiii.uses_flat_scratch, 0
	.set _ZN4vllm25paged_attention_v1_kernelIffLi32ELi8ELi128ELNS_18Fp8KVCacheDataTypeE0ELb0EEEvPT_PKS2_PKT0_S8_ifPKiSA_iPKfiiiSC_SC_iiiii.has_dyn_sized_stack, 0
	.set _ZN4vllm25paged_attention_v1_kernelIffLi32ELi8ELi128ELNS_18Fp8KVCacheDataTypeE0ELb0EEEvPT_PKS2_PKT0_S8_ifPKiSA_iPKfiiiSC_SC_iiiii.has_recursion, 0
	.set _ZN4vllm25paged_attention_v1_kernelIffLi32ELi8ELi128ELNS_18Fp8KVCacheDataTypeE0ELb0EEEvPT_PKS2_PKT0_S8_ifPKiSA_iPKfiiiSC_SC_iiiii.has_indirect_call, 0
	.section	.AMDGPU.csdata,"",@progbits
; Kernel info:
; codeLenInByte = 2520
; TotalNumSgprs: 38
; NumVgprs: 29
; ScratchSize: 0
; MemoryBound: 0
; FloatMode: 240
; IeeeMode: 1
; LDSByteSize: 144 bytes/workgroup (compile time only)
; SGPRBlocks: 4
; VGPRBlocks: 7
; NumSGPRsForWavesPerEU: 38
; NumVGPRsForWavesPerEU: 29
; Occupancy: 8
; WaveLimiterHint : 1
; COMPUTE_PGM_RSRC2:SCRATCH_EN: 0
; COMPUTE_PGM_RSRC2:USER_SGPR: 6
; COMPUTE_PGM_RSRC2:TRAP_HANDLER: 0
; COMPUTE_PGM_RSRC2:TGID_X_EN: 1
; COMPUTE_PGM_RSRC2:TGID_Y_EN: 1
; COMPUTE_PGM_RSRC2:TGID_Z_EN: 1
; COMPUTE_PGM_RSRC2:TIDIG_COMP_CNT: 0
	.section	.text._ZN4vllm25paged_attention_v1_kernelIffLi64ELi8ELi128ELNS_18Fp8KVCacheDataTypeE0ELb0EEEvPT_PKS2_PKT0_S8_ifPKiSA_iPKfiiiSC_SC_iiiii,"axG",@progbits,_ZN4vllm25paged_attention_v1_kernelIffLi64ELi8ELi128ELNS_18Fp8KVCacheDataTypeE0ELb0EEEvPT_PKS2_PKT0_S8_ifPKiSA_iPKfiiiSC_SC_iiiii,comdat
	.protected	_ZN4vllm25paged_attention_v1_kernelIffLi64ELi8ELi128ELNS_18Fp8KVCacheDataTypeE0ELb0EEEvPT_PKS2_PKT0_S8_ifPKiSA_iPKfiiiSC_SC_iiiii ; -- Begin function _ZN4vllm25paged_attention_v1_kernelIffLi64ELi8ELi128ELNS_18Fp8KVCacheDataTypeE0ELb0EEEvPT_PKS2_PKT0_S8_ifPKiSA_iPKfiiiSC_SC_iiiii
	.globl	_ZN4vllm25paged_attention_v1_kernelIffLi64ELi8ELi128ELNS_18Fp8KVCacheDataTypeE0ELb0EEEvPT_PKS2_PKT0_S8_ifPKiSA_iPKfiiiSC_SC_iiiii
	.p2align	8
	.type	_ZN4vllm25paged_attention_v1_kernelIffLi64ELi8ELi128ELNS_18Fp8KVCacheDataTypeE0ELb0EEEvPT_PKS2_PKT0_S8_ifPKiSA_iPKfiiiSC_SC_iiiii,@function
_ZN4vllm25paged_attention_v1_kernelIffLi64ELi8ELi128ELNS_18Fp8KVCacheDataTypeE0ELb0EEEvPT_PKS2_PKT0_S8_ifPKiSA_iPKfiiiSC_SC_iiiii: ; @_ZN4vllm25paged_attention_v1_kernelIffLi64ELi8ELi128ELNS_18Fp8KVCacheDataTypeE0ELb0EEEvPT_PKS2_PKT0_S8_ifPKiSA_iPKfiiiSC_SC_iiiii
; %bb.0:
	s_load_dword s9, s[4:5], 0x80
	s_load_dwordx2 s[0:1], s[4:5], 0x30
	s_load_dwordx2 s[10:11], s[4:5], 0x20
	s_mov_b32 s16, s7
	s_ashr_i32 s17, s7, 31
	s_lshl_b64 s[2:3], s[16:17], 2
	s_waitcnt lgkmcnt(0)
	s_add_u32 s0, s0, s2
	s_addc_u32 s1, s1, s3
	s_abs_i32 s2, s10
	v_cvt_f32_u32_e32 v1, s2
	s_xor_b32 s3, s9, s10
	s_sub_i32 s10, 0, s2
	s_abs_i32 s7, s9
	v_rcp_iflag_f32_e32 v1, v1
	s_ashr_i32 s3, s3, 31
	v_mul_f32_e32 v1, 0x4f7ffffe, v1
	v_cvt_u32_f32_e32 v1, v1
	v_readfirstlane_b32 s12, v1
	s_mul_i32 s10, s10, s12
	s_mul_hi_u32 s10, s12, s10
	s_add_i32 s12, s12, s10
	s_mul_hi_u32 s10, s7, s12
	s_mul_i32 s12, s10, s2
	s_sub_i32 s7, s7, s12
	s_add_i32 s12, s10, 1
	s_sub_i32 s13, s7, s2
	s_cmp_ge_u32 s7, s2
	s_cselect_b32 s10, s12, s10
	s_cselect_b32 s7, s13, s7
	s_add_i32 s12, s10, 1
	s_cmp_ge_u32 s7, s2
	s_cselect_b32 s2, s12, s10
	s_xor_b32 s2, s2, s3
	s_sub_i32 s12, s2, s3
	s_abs_i32 s20, s12
	v_cvt_f32_u32_e32 v1, s20
	s_load_dwordx2 s[2:3], s[4:5], 0x40
	s_sub_i32 s7, 0, s20
	s_abs_i32 s21, s6
	v_rcp_iflag_f32_e32 v1, v1
	s_mov_b32 s10, 0
	v_mul_f32_e32 v1, 0x4f7ffffe, v1
	v_cvt_u32_f32_e32 v1, v1
	v_readfirstlane_b32 s13, v1
	s_mul_i32 s7, s7, s13
	s_mul_hi_u32 s7, s13, s7
	s_add_i32 s13, s13, s7
	s_waitcnt lgkmcnt(0)
	s_cmp_eq_u64 s[2:3], 0
	s_mul_hi_u32 s24, s21, s13
	s_cbranch_scc1 .LBB10_2
; %bb.1:
	s_ashr_i32 s7, s6, 31
	s_lshl_b64 s[14:15], s[6:7], 2
	s_add_u32 s2, s2, s14
	s_addc_u32 s3, s3, s15
	s_load_dword s10, s[2:3], 0x0
.LBB10_2:
	s_load_dword s17, s[0:1], 0x0
	s_ashr_i32 s25, s12, 31
	s_load_dwordx4 s[12:15], s[4:5], 0x48
	s_ashr_i32 s7, s6, 31
	v_and_b32_e32 v1, 7, v0
	s_lshl_b32 s18, s6, 6
	v_cmp_gt_u32_e64 s[0:1], 64, v0
	v_lshlrev_b32_e32 v11, 2, v0
	v_lshrrev_b32_e32 v15, 1, v0
	s_and_saveexec_b64 s[2:3], s[0:1]
	s_cbranch_execz .LBB10_4
; %bb.3:
	s_load_dwordx2 s[22:23], s[4:5], 0x8
	s_waitcnt lgkmcnt(0)
	s_mul_i32 s26, s12, s16
	s_ashr_i32 s27, s26, 31
	s_lshl_b64 s[26:27], s[26:27], 2
	v_and_b32_e32 v3, 0x1fc, v15
	s_add_u32 s6, s22, s26
	s_addc_u32 s12, s23, s27
	s_ashr_i32 s19, s18, 31
	s_lshl_b64 s[22:23], s[18:19], 2
	s_add_u32 s22, s6, s22
	s_addc_u32 s23, s12, s23
	global_load_dword v2, v11, s[22:23]
	v_lshl_add_u32 v3, v1, 5, v3
	s_waitcnt vmcnt(0)
	ds_write_b32 v3, v2
.LBB10_4:
	s_or_b64 exec, exec, s[2:3]
	s_waitcnt lgkmcnt(0)
	s_add_i32 s3, s17, 7
	s_ashr_i32 s6, s3, 31
	s_lshr_b32 s6, s6, 29
	s_add_i32 s3, s3, s6
	s_mul_i32 s6, s24, s20
	s_sub_i32 s6, s21, s6
	s_ashr_i32 s19, s3, 3
	s_xor_b32 s3, s7, s25
	s_add_i32 s7, s24, 1
	s_sub_i32 s12, s6, s20
	s_load_dwordx2 s[22:23], s[4:5], 0x28
	s_load_dword s2, s[4:5], 0x38
	s_cmp_ge_u32 s6, s20
	s_cselect_b32 s7, s7, s24
	s_cselect_b32 s6, s12, s6
	s_add_i32 s12, s7, 1
	s_cmp_ge_u32 s6, s20
	s_cselect_b32 s6, s12, s7
	v_lshrrev_b32_e32 v16, 6, v0
	s_xor_b32 s6, s6, s3
	s_waitcnt lgkmcnt(0)
	s_mul_i32 s24, s2, s16
	s_sub_i32 s15, s6, s3
	s_ashr_i32 s25, s24, 31
	v_cmp_gt_i32_e64 s[2:3], s19, v16
	v_cmp_le_i32_e32 vcc, s19, v16
	v_mbcnt_lo_u32_b32 v2, -1, 0
	s_barrier
                                        ; implicit-def: $vgpr13
                                        ; implicit-def: $vgpr19
                                        ; implicit-def: $vgpr14
	s_and_saveexec_b64 s[6:7], vcc
	s_xor_b64 s[6:7], exec, s[6:7]
; %bb.5:
	v_mbcnt_hi_u32_b32 v13, -1, v2
	v_and_b32_e32 v19, 64, v13
	v_add_u32_e32 v14, 64, v19
                                        ; implicit-def: $vgpr1
                                        ; implicit-def: $vgpr2
; %bb.6:
	s_or_saveexec_b64 s[28:29], s[6:7]
	s_load_dwordx2 s[20:21], s[4:5], 0x0
	s_load_dwordx2 s[26:27], s[4:5], 0x18
	s_load_dword s12, s[4:5], 0x88
	v_mov_b32_e32 v20, 0xff7fffff
	s_mul_i32 s14, s15, s14
	v_lshrrev_b32_e32 v12, 4, v0
	s_xor_b64 exec, exec, s[28:29]
	s_cbranch_execz .LBB10_12
; %bb.7:
	s_load_dwordx2 s[4:5], s[4:5], 0x10
	s_ashr_i32 s15, s14, 31
	s_lshl_b64 s[6:7], s[14:15], 2
	v_bfe_u32 v3, v0, 3, 3
	v_lshlrev_b32_e32 v5, 4, v3
	s_waitcnt lgkmcnt(0)
	s_add_u32 s4, s4, s6
	s_addc_u32 s5, s5, s7
	v_mov_b32_e32 v6, s5
	v_add_co_u32_e32 v5, vcc, s4, v5
	v_and_b32_e32 v7, 3, v0
	v_addc_co_u32_e32 v6, vcc, 0, v6, vcc
	v_lshlrev_b32_e32 v7, 2, v7
	v_mbcnt_hi_u32_b32 v13, -1, v2
	v_add_co_u32_e32 v5, vcc, v5, v7
	v_and_b32_e32 v19, 64, v13
	v_addc_co_u32_e32 v6, vcc, 0, v6, vcc
	v_add_u32_e32 v14, 64, v19
	v_xor_b32_e32 v2, 4, v13
	v_cmp_lt_i32_e32 vcc, v2, v14
	v_cndmask_b32_e32 v2, v13, v2, vcc
	v_lshlrev_b32_e32 v17, 2, v2
	v_xor_b32_e32 v2, 2, v13
	v_cmp_lt_i32_e32 vcc, v2, v14
	v_cndmask_b32_e32 v2, v13, v2, vcc
	v_lshlrev_b32_e32 v18, 2, v2
	v_xor_b32_e32 v2, 1, v13
	v_cmp_lt_i32_e32 vcc, v2, v14
	v_lshlrev_b32_e32 v7, 5, v1
	v_cndmask_b32_e32 v2, v13, v2, vcc
	v_cmp_eq_u32_e32 vcc, 0, v1
	v_lshlrev_b32_e32 v1, 5, v0
	v_and_b32_e32 v1, 0x80, v1
	v_lshlrev_b32_e32 v4, 2, v3
	v_add_co_u32_e64 v22, s[6:7], v5, v1
	v_addc_co_u32_e64 v23, s[6:7], 0, v6, s[6:7]
	v_lshl_or_b32 v1, v16, 5, v4
	v_lshlrev_b32_e32 v21, 2, v2
	s_sub_i32 s15, 1, s17
	v_lshl_or_b32 v24, v16, 3, v3
	v_add_u32_e32 v25, 0x110, v1
	s_lshl_b64 s[6:7], s[24:25], 2
	ds_read_b128 v[1:4], v7
	ds_read_b128 v[5:8], v7 offset:16
	s_add_u32 s6, s22, s6
	v_and_b32_e32 v9, 60, v12
	s_addc_u32 s7, s23, s7
	v_mov_b32_e32 v10, s7
	v_add_co_u32_e64 v9, s[6:7], s6, v9
	s_mov_b32 s33, s13
	v_cmp_neq_f32_e64 s[4:5], s10, 0
	v_addc_co_u32_e64 v10, s[6:7], 0, v10, s[6:7]
	v_mov_b32_e32 v20, 0xff7fffff
	s_mov_b64 s[30:31], 0
	v_mov_b32_e32 v26, v16
	s_branch .LBB10_9
.LBB10_8:                               ;   in Loop: Header=BB10_9 Depth=1
	s_or_b64 exec, exec, s[34:35]
	v_add_u32_e32 v26, 2, v26
	v_cmp_le_i32_e64 s[6:7], s19, v26
	s_or_b64 s[30:31], s[6:7], s[30:31]
	v_add_co_u32_e64 v9, s[6:7], 8, v9
	v_add_u32_e32 v24, 16, v24
	v_add_u32_e32 v25, 64, v25
	v_addc_co_u32_e64 v10, s[6:7], 0, v10, s[6:7]
	s_andn2_b64 exec, exec, s[30:31]
	s_cbranch_execz .LBB10_11
.LBB10_9:                               ; =>This Inner Loop Header: Depth=1
	global_load_dword v27, v[9:10], off
	s_waitcnt vmcnt(0) lgkmcnt(0)
	v_mad_i64_i32 v[27:28], s[6:7], v27, s33, 0
	v_lshlrev_b64 v[27:28], 2, v[27:28]
	v_add_co_u32_e64 v27, s[6:7], v22, v27
	v_addc_co_u32_e64 v28, s[6:7], v23, v28, s[6:7]
	global_load_dword v29, v[27:28], off offset:256
	global_load_dword v30, v[27:28], off
	global_load_dword v31, v[27:28], off offset:512
	global_load_dword v32, v[27:28], off offset:768
	;; [unrolled: 1-line block ×5, first 2 shown]
	s_nop 0
	global_load_dword v27, v[27:28], off offset:1792
	s_waitcnt vmcnt(7) lgkmcnt(1)
	v_mul_f32_e32 v28, v2, v29
	s_waitcnt vmcnt(6)
	v_fmac_f32_e32 v28, v1, v30
	s_waitcnt vmcnt(5)
	v_fmac_f32_e32 v28, v3, v31
	s_waitcnt vmcnt(4)
	v_fmac_f32_e32 v28, v4, v32
	s_waitcnt vmcnt(3) lgkmcnt(0)
	v_fmac_f32_e32 v28, v5, v33
	s_waitcnt vmcnt(2)
	v_fmac_f32_e32 v28, v6, v34
	s_waitcnt vmcnt(1)
	;; [unrolled: 2-line block ×3, first 2 shown]
	v_fmac_f32_e32 v28, v8, v27
	ds_bpermute_b32 v27, v17, v28
	s_waitcnt lgkmcnt(0)
	v_add_f32_e32 v27, v28, v27
	ds_bpermute_b32 v28, v18, v27
	s_waitcnt lgkmcnt(0)
	v_add_f32_e32 v27, v27, v28
	ds_bpermute_b32 v28, v21, v27
	s_and_saveexec_b64 s[34:35], vcc
	s_cbranch_execz .LBB10_8
; %bb.10:                               ;   in Loop: Header=BB10_9 Depth=1
	v_add_u32_e32 v29, s15, v24
	v_cvt_f32_i32_e32 v29, v29
	s_waitcnt lgkmcnt(0)
	v_add_f32_e32 v27, v27, v28
	v_cmp_gt_i32_e64 s[6:7], s17, v24
	v_max_f32_e32 v28, v20, v20
	v_mul_f32_e32 v29, s10, v29
	v_cndmask_b32_e64 v29, 0, v29, s[4:5]
	v_fmac_f32_e32 v29, s11, v27
	v_cndmask_b32_e64 v27, 0, v29, s[6:7]
	ds_write_b32 v25, v27
	v_max_f32_e32 v27, v28, v29
	v_cndmask_b32_e64 v20, v20, v27, s[6:7]
	s_branch .LBB10_8
.LBB10_11:
	s_or_b64 exec, exec, s[30:31]
.LBB10_12:
	s_or_b64 exec, exec, s[28:29]
	v_xor_b32_e32 v1, 32, v13
	v_cmp_lt_i32_e32 vcc, v1, v14
	v_cndmask_b32_e32 v1, v13, v1, vcc
	v_lshlrev_b32_e32 v2, 2, v1
	ds_bpermute_b32 v1, v2, v20
	v_xor_b32_e32 v4, 16, v13
	v_max_f32_e32 v3, v20, v20
	v_cmp_lt_i32_e32 vcc, v4, v14
	v_xor_b32_e32 v5, 8, v13
	s_waitcnt lgkmcnt(0)
	v_max_f32_e32 v1, v1, v1
	v_max_f32_e32 v1, v3, v1
	v_cndmask_b32_e32 v3, v13, v4, vcc
	v_lshlrev_b32_e32 v4, 2, v3
	ds_bpermute_b32 v3, v4, v1
	v_cmp_lt_i32_e32 vcc, v5, v14
	v_and_b32_e32 v17, 63, v0
	s_waitcnt lgkmcnt(0)
	v_max_f32_e32 v3, v3, v3
	v_max_f32_e32 v3, v1, v3
	v_cndmask_b32_e32 v1, v13, v5, vcc
	v_lshlrev_b32_e32 v5, 2, v1
	ds_bpermute_b32 v6, v5, v3
	v_cmp_eq_u32_e32 vcc, 0, v17
	v_lshlrev_b32_e32 v1, 2, v16
	s_and_saveexec_b64 s[4:5], vcc
	s_cbranch_execz .LBB10_14
; %bb.13:
	s_waitcnt lgkmcnt(0)
	v_max_f32_e32 v6, v6, v6
	v_max_f32_e32 v3, v3, v3
	;; [unrolled: 1-line block ×3, first 2 shown]
	ds_write_b32 v1, v3 offset:256
.LBB10_14:
	s_or_b64 exec, exec, s[4:5]
	v_cmp_gt_u32_e64 s[4:5], 2, v17
	s_waitcnt lgkmcnt(0)
	v_mov_b32_e32 v6, 0xff7fffff
	v_lshlrev_b32_e32 v3, 2, v17
	s_barrier
	s_and_saveexec_b64 s[6:7], s[4:5]
; %bb.15:
	ds_read_b32 v6, v3 offset:256
; %bb.16:
	s_or_b64 exec, exec, s[6:7]
	v_xor_b32_e32 v7, 1, v13
	v_cmp_lt_i32_e64 s[6:7], v7, v14
	v_cndmask_b32_e64 v7, v13, v7, s[6:7]
	v_lshlrev_b32_e32 v18, 2, v7
	s_waitcnt lgkmcnt(0)
	ds_bpermute_b32 v7, v18, v6
	v_max_f32_e32 v6, v6, v6
	s_lshl_b32 s6, s19, 3
	s_min_i32 s15, s6, s17
	v_cmp_gt_i32_e64 s[6:7], s15, v0
	s_waitcnt lgkmcnt(0)
	v_max_f32_e32 v7, v7, v7
	v_max_f32_e32 v6, v6, v7
	v_lshlrev_b32_e32 v7, 2, v19
	ds_bpermute_b32 v7, v7, v6
	v_mov_b32_e32 v6, 0
	s_and_saveexec_b64 s[28:29], s[6:7]
	s_cbranch_execz .LBB10_20
; %bb.17:
	v_mov_b32_e32 v6, 0x110
	v_lshl_add_u32 v8, v0, 2, v6
	v_mov_b32_e32 v6, 0
	s_mov_b64 s[30:31], 0
	v_mov_b32_e32 v9, v0
.LBB10_18:                              ; =>This Inner Loop Header: Depth=1
	ds_read_b32 v10, v8
	v_add_u32_e32 v9, 0x80, v9
	v_cmp_le_i32_e64 s[10:11], s15, v9
	s_or_b64 s[30:31], s[10:11], s[30:31]
	s_waitcnt lgkmcnt(0)
	v_sub_f32_e32 v10, v10, v7
	v_mul_f32_e32 v10, 0x3fb8aa3b, v10
	v_exp_f32_e32 v10, v10
	ds_write_b32 v8, v10
	v_add_f32_e32 v6, v6, v10
	v_add_u32_e32 v8, 0x200, v8
	s_andn2_b64 exec, exec, s[30:31]
	s_cbranch_execnz .LBB10_18
; %bb.19:
	s_or_b64 exec, exec, s[30:31]
.LBB10_20:
	s_or_b64 exec, exec, s[28:29]
	ds_bpermute_b32 v2, v2, v6
	s_waitcnt lgkmcnt(0)
	v_add_f32_e32 v2, v6, v2
	ds_bpermute_b32 v4, v4, v2
	s_waitcnt lgkmcnt(0)
	v_add_f32_e32 v2, v2, v4
	ds_bpermute_b32 v4, v5, v2
	v_xor_b32_e32 v5, 4, v13
	v_cmp_lt_i32_e64 s[10:11], v5, v14
	v_cndmask_b32_e64 v5, v13, v5, s[10:11]
	v_lshlrev_b32_e32 v5, 2, v5
	s_waitcnt lgkmcnt(0)
	v_add_f32_e32 v2, v2, v4
	ds_bpermute_b32 v4, v5, v2
	v_xor_b32_e32 v5, 2, v13
	v_cmp_lt_i32_e64 s[10:11], v5, v14
	v_cndmask_b32_e64 v5, v13, v5, s[10:11]
	s_waitcnt lgkmcnt(0)
	v_add_f32_e32 v2, v2, v4
	v_lshlrev_b32_e32 v4, 2, v5
	ds_bpermute_b32 v4, v4, v2
	s_waitcnt lgkmcnt(0)
	v_add_f32_e32 v2, v2, v4
	ds_bpermute_b32 v4, v18, v2
	s_waitcnt lgkmcnt(0)
	v_add_f32_e32 v2, v2, v4
	s_and_saveexec_b64 s[10:11], vcc
; %bb.21:
	ds_write_b32 v1, v2 offset:264
; %bb.22:
	s_or_b64 exec, exec, s[10:11]
	s_waitcnt lgkmcnt(0)
	s_barrier
	s_and_saveexec_b64 s[10:11], s[4:5]
; %bb.23:
	ds_read_b32 v2, v3 offset:264
; %bb.24:
	s_or_b64 exec, exec, s[10:11]
	s_waitcnt lgkmcnt(0)
	ds_bpermute_b32 v1, v18, v2
	v_lshlrev_b32_e32 v3, 2, v13
	s_waitcnt lgkmcnt(0)
	v_add_f32_e32 v1, v2, v1
	v_and_b32_e32 v2, 0xffffff00, v3
	ds_bpermute_b32 v1, v2, v1
	s_and_saveexec_b64 s[4:5], s[6:7]
	s_cbranch_execz .LBB10_27
; %bb.25:
	s_waitcnt lgkmcnt(0)
	v_add_f32_e32 v2, 0x358637bd, v1
	v_div_scale_f32 v1, s[6:7], v2, v2, 1.0
	v_div_scale_f32 v3, vcc, 1.0, v2, 1.0
	s_mov_b64 s[6:7], 0
	v_rcp_f32_e32 v4, v1
	v_fma_f32 v5, -v1, v4, 1.0
	v_fmac_f32_e32 v4, v5, v4
	v_mul_f32_e32 v5, v3, v4
	v_fma_f32 v6, -v1, v5, v3
	v_fmac_f32_e32 v5, v6, v4
	v_fma_f32 v1, -v1, v5, v3
	v_div_fmas_f32 v3, v1, v4, v5
	v_mov_b32_e32 v1, 0x110
	v_lshl_add_u32 v1, v0, 2, v1
	v_div_fixup_f32 v2, v3, v2, 1.0
	v_mov_b32_e32 v3, v0
.LBB10_26:                              ; =>This Inner Loop Header: Depth=1
	ds_read_b32 v4, v1
	v_add_u32_e32 v3, 0x80, v3
	v_cmp_le_i32_e32 vcc, s15, v3
	s_or_b64 s[6:7], vcc, s[6:7]
	s_waitcnt lgkmcnt(0)
	v_mul_f32_e32 v4, v2, v4
	ds_write_b32 v1, v4
	v_add_u32_e32 v1, 0x200, v1
	s_andn2_b64 exec, exec, s[6:7]
	s_cbranch_execnz .LBB10_26
.LBB10_27:
	s_or_b64 exec, exec, s[4:5]
	v_mov_b32_e32 v21, 0
	v_and_b32_e32 v19, 1, v0
	v_mov_b32_e32 v20, 0
	s_waitcnt lgkmcnt(0)
	s_barrier
	s_and_saveexec_b64 s[4:5], s[2:3]
	s_cbranch_execz .LBB10_35
; %bb.28:
	s_ashr_i32 s15, s14, 31
	s_lshl_b64 s[2:3], s[14:15], 2
	v_lshlrev_b32_e32 v2, 4, v0
	s_add_u32 s2, s26, s2
	v_and_b32_e32 v2, 0x3f0, v2
	v_and_b32_e32 v1, 4, v11
	s_addc_u32 s3, s27, s3
	v_add_co_u32_e32 v22, vcc, s2, v2
	v_lshlrev_b32_e32 v2, 3, v16
	s_add_i32 s14, s19, -1
	v_mov_b32_e32 v3, s3
	v_or3_b32 v24, v2, v1, 3
	v_lshlrev_b32_e32 v1, 4, v19
	s_lshl_b64 s[2:3], s[24:25], 2
	v_lshl_or_b32 v1, v16, 5, v1
	s_add_u32 s2, s22, s2
	v_addc_co_u32_e32 v23, vcc, 0, v3, vcc
	v_add_u32_e32 v25, 0x110, v1
	v_and_b32_e32 v1, 60, v12
	s_addc_u32 s3, s23, s3
	v_mov_b32_e32 v2, s3
	v_add_co_u32_e32 v13, vcc, s2, v1
	v_mov_b32_e32 v20, 0
	v_addc_co_u32_e32 v14, vcc, 0, v2, vcc
	s_mov_b64 s[6:7], 0
	v_mov_b32_e32 v21, 0
	s_branch .LBB10_30
.LBB10_29:                              ;   in Loop: Header=BB10_30 Depth=1
	s_or_b64 exec, exec, s[2:3]
	s_waitcnt vmcnt(1) lgkmcnt(0)
	v_mul_f32_e32 v5, v1, v5
	s_waitcnt vmcnt(0)
	v_mul_f32_e32 v1, v1, v9
	v_fmac_f32_e32 v5, v2, v6
	v_fmac_f32_e32 v1, v2, v10
	v_add_u32_e32 v16, 2, v16
	v_fmac_f32_e32 v5, v3, v7
	v_fmac_f32_e32 v1, v3, v11
	v_cmp_le_i32_e32 vcc, s19, v16
	v_fmac_f32_e32 v5, v4, v8
	v_fmac_f32_e32 v1, v4, v12
	s_or_b64 s[6:7], vcc, s[6:7]
	v_add_co_u32_e32 v13, vcc, 8, v13
	v_add_f32_e32 v21, v21, v5
	v_add_f32_e32 v20, v20, v1
	v_add_u32_e32 v24, 16, v24
	v_add_u32_e32 v25, 64, v25
	v_addc_co_u32_e32 v14, vcc, 0, v14, vcc
	s_andn2_b64 exec, exec, s[6:7]
	s_cbranch_execz .LBB10_34
.LBB10_30:                              ; =>This Inner Loop Header: Depth=1
	global_load_dword v1, v[13:14], off
	v_add_u32_e32 v26, -3, v24
	v_add_u32_e32 v28, -2, v24
	;; [unrolled: 1-line block ×3, first 2 shown]
	s_waitcnt vmcnt(0)
	v_mad_i64_i32 v[1:2], s[2:3], v1, s13, 0
	v_lshlrev_b64 v[1:2], 2, v[1:2]
	v_add_co_u32_e32 v9, vcc, v22, v1
	v_addc_co_u32_e32 v10, vcc, v23, v2, vcc
	global_load_dwordx4 v[5:8], v[9:10], off
	ds_read_b128 v[1:4], v25
	v_cmp_eq_u32_e32 vcc, s14, v16
	s_and_saveexec_b64 s[10:11], vcc
	s_cbranch_execz .LBB10_32
; %bb.31:                               ;   in Loop: Header=BB10_30 Depth=1
	v_cmp_gt_i32_e64 s[2:3], s17, v26
	s_waitcnt vmcnt(0)
	v_cndmask_b32_e64 v5, 0, v5, s[2:3]
	v_cmp_gt_i32_e64 s[2:3], s17, v28
	v_cndmask_b32_e64 v6, 0, v6, s[2:3]
	v_cmp_gt_i32_e64 s[2:3], s17, v27
	;; [unrolled: 2-line block ×3, first 2 shown]
	v_cndmask_b32_e64 v8, 0, v8, s[2:3]
.LBB10_32:                              ;   in Loop: Header=BB10_30 Depth=1
	s_or_b64 exec, exec, s[10:11]
	global_load_dwordx4 v[9:12], v[9:10], off offset:1024
	s_and_saveexec_b64 s[2:3], vcc
	s_cbranch_execz .LBB10_29
; %bb.33:                               ;   in Loop: Header=BB10_30 Depth=1
	v_cmp_gt_i32_e32 vcc, s17, v26
	s_waitcnt vmcnt(0)
	v_cndmask_b32_e32 v9, 0, v9, vcc
	v_cmp_gt_i32_e32 vcc, s17, v28
	v_cndmask_b32_e32 v10, 0, v10, vcc
	v_cmp_gt_i32_e32 vcc, s17, v27
	v_cndmask_b32_e32 v11, 0, v11, vcc
	v_cmp_gt_i32_e32 vcc, s17, v24
	v_cndmask_b32_e32 v12, 0, v12, vcc
	s_branch .LBB10_29
.LBB10_34:
	s_or_b64 exec, exec, s[6:7]
.LBB10_35:
	s_or_b64 exec, exec, s[4:5]
	ds_bpermute_b32 v1, v18, v21
	ds_bpermute_b32 v2, v18, v20
	v_and_b32_e32 v0, 0x3c1, v0
	v_cmp_eq_u32_e32 vcc, 64, v0
	s_waitcnt lgkmcnt(0)
	v_add_f32_e32 v1, v21, v1
	v_add_f32_e32 v2, v20, v2
	s_barrier
	s_and_saveexec_b64 s[2:3], vcc
; %bb.36:
	v_mov_b32_e32 v3, 0x110
	v_lshl_add_u32 v3, v17, 1, v3
	ds_write2_b32 v3, v1, v2 offset1:32
; %bb.37:
	s_or_b64 exec, exec, s[2:3]
	s_waitcnt lgkmcnt(0)
	s_barrier
	s_and_saveexec_b64 s[2:3], s[0:1]
	s_cbranch_execz .LBB10_43
; %bb.38:
	v_mov_b32_e32 v3, 0x110
	v_cmp_eq_u32_e32 vcc, 0, v19
	v_lshl_add_u32 v3, v15, 2, v3
	s_and_saveexec_b64 s[0:1], vcc
	s_cbranch_execz .LBB10_40
; %bb.39:
	ds_read_b32 v4, v3
	s_waitcnt lgkmcnt(0)
	v_add_f32_e32 v1, v1, v4
.LBB10_40:
	s_or_b64 exec, exec, s[0:1]
	s_and_saveexec_b64 s[0:1], vcc
	s_cbranch_execz .LBB10_42
; %bb.41:
	ds_read_b32 v3, v3 offset:128
	s_waitcnt lgkmcnt(0)
	v_add_f32_e32 v2, v2, v3
.LBB10_42:
	s_or_b64 exec, exec, s[0:1]
.LBB10_43:
	s_or_b64 exec, exec, s[2:3]
	v_cmp_eq_u32_e32 vcc, 0, v0
	s_barrier
	s_and_saveexec_b64 s[0:1], vcc
	s_cbranch_execz .LBB10_45
; %bb.44:
	s_mul_i32 s0, s16, s12
	s_mul_i32 s0, s0, s9
	s_lshl_b32 s0, s0, 6
	s_ashr_i32 s1, s0, 31
	s_lshl_b64 s[0:1], s[0:1], 2
	s_add_u32 s2, s20, s0
	s_mul_i32 s0, s12, s18
	s_addc_u32 s3, s21, s1
	s_ashr_i32 s1, s0, 31
	s_lshl_b64 s[0:1], s[0:1], 2
	s_add_u32 s2, s2, s0
	s_addc_u32 s3, s3, s1
	s_lshl_b32 s0, s8, 6
	s_ashr_i32 s1, s0, 31
	s_lshl_b64 s[0:1], s[0:1], 2
	s_add_u32 s0, s2, s0
	s_addc_u32 s1, s3, s1
	v_lshlrev_b32_e32 v0, 2, v15
	global_store_dword v0, v1, s[0:1]
	global_store_dword v0, v2, s[0:1] offset:128
.LBB10_45:
	s_endpgm
	.section	.rodata,"a",@progbits
	.p2align	6, 0x0
	.amdhsa_kernel _ZN4vllm25paged_attention_v1_kernelIffLi64ELi8ELi128ELNS_18Fp8KVCacheDataTypeE0ELb0EEEvPT_PKS2_PKT0_S8_ifPKiSA_iPKfiiiSC_SC_iiiii
		.amdhsa_group_segment_fixed_size 272
		.amdhsa_private_segment_fixed_size 0
		.amdhsa_kernarg_size 384
		.amdhsa_user_sgpr_count 6
		.amdhsa_user_sgpr_private_segment_buffer 1
		.amdhsa_user_sgpr_dispatch_ptr 0
		.amdhsa_user_sgpr_queue_ptr 0
		.amdhsa_user_sgpr_kernarg_segment_ptr 1
		.amdhsa_user_sgpr_dispatch_id 0
		.amdhsa_user_sgpr_flat_scratch_init 0
		.amdhsa_user_sgpr_private_segment_size 0
		.amdhsa_uses_dynamic_stack 0
		.amdhsa_system_sgpr_private_segment_wavefront_offset 0
		.amdhsa_system_sgpr_workgroup_id_x 1
		.amdhsa_system_sgpr_workgroup_id_y 1
		.amdhsa_system_sgpr_workgroup_id_z 1
		.amdhsa_system_sgpr_workgroup_info 0
		.amdhsa_system_vgpr_workitem_id 0
		.amdhsa_next_free_vgpr 36
		.amdhsa_next_free_sgpr 36
		.amdhsa_reserve_vcc 1
		.amdhsa_reserve_flat_scratch 0
		.amdhsa_float_round_mode_32 0
		.amdhsa_float_round_mode_16_64 0
		.amdhsa_float_denorm_mode_32 3
		.amdhsa_float_denorm_mode_16_64 3
		.amdhsa_dx10_clamp 1
		.amdhsa_ieee_mode 1
		.amdhsa_fp16_overflow 0
		.amdhsa_exception_fp_ieee_invalid_op 0
		.amdhsa_exception_fp_denorm_src 0
		.amdhsa_exception_fp_ieee_div_zero 0
		.amdhsa_exception_fp_ieee_overflow 0
		.amdhsa_exception_fp_ieee_underflow 0
		.amdhsa_exception_fp_ieee_inexact 0
		.amdhsa_exception_int_div_zero 0
	.end_amdhsa_kernel
	.section	.text._ZN4vllm25paged_attention_v1_kernelIffLi64ELi8ELi128ELNS_18Fp8KVCacheDataTypeE0ELb0EEEvPT_PKS2_PKT0_S8_ifPKiSA_iPKfiiiSC_SC_iiiii,"axG",@progbits,_ZN4vllm25paged_attention_v1_kernelIffLi64ELi8ELi128ELNS_18Fp8KVCacheDataTypeE0ELb0EEEvPT_PKS2_PKT0_S8_ifPKiSA_iPKfiiiSC_SC_iiiii,comdat
.Lfunc_end10:
	.size	_ZN4vllm25paged_attention_v1_kernelIffLi64ELi8ELi128ELNS_18Fp8KVCacheDataTypeE0ELb0EEEvPT_PKS2_PKT0_S8_ifPKiSA_iPKfiiiSC_SC_iiiii, .Lfunc_end10-_ZN4vllm25paged_attention_v1_kernelIffLi64ELi8ELi128ELNS_18Fp8KVCacheDataTypeE0ELb0EEEvPT_PKS2_PKT0_S8_ifPKiSA_iPKfiiiSC_SC_iiiii
                                        ; -- End function
	.set _ZN4vllm25paged_attention_v1_kernelIffLi64ELi8ELi128ELNS_18Fp8KVCacheDataTypeE0ELb0EEEvPT_PKS2_PKT0_S8_ifPKiSA_iPKfiiiSC_SC_iiiii.num_vgpr, 36
	.set _ZN4vllm25paged_attention_v1_kernelIffLi64ELi8ELi128ELNS_18Fp8KVCacheDataTypeE0ELb0EEEvPT_PKS2_PKT0_S8_ifPKiSA_iPKfiiiSC_SC_iiiii.num_agpr, 0
	.set _ZN4vllm25paged_attention_v1_kernelIffLi64ELi8ELi128ELNS_18Fp8KVCacheDataTypeE0ELb0EEEvPT_PKS2_PKT0_S8_ifPKiSA_iPKfiiiSC_SC_iiiii.numbered_sgpr, 36
	.set _ZN4vllm25paged_attention_v1_kernelIffLi64ELi8ELi128ELNS_18Fp8KVCacheDataTypeE0ELb0EEEvPT_PKS2_PKT0_S8_ifPKiSA_iPKfiiiSC_SC_iiiii.num_named_barrier, 0
	.set _ZN4vllm25paged_attention_v1_kernelIffLi64ELi8ELi128ELNS_18Fp8KVCacheDataTypeE0ELb0EEEvPT_PKS2_PKT0_S8_ifPKiSA_iPKfiiiSC_SC_iiiii.private_seg_size, 0
	.set _ZN4vllm25paged_attention_v1_kernelIffLi64ELi8ELi128ELNS_18Fp8KVCacheDataTypeE0ELb0EEEvPT_PKS2_PKT0_S8_ifPKiSA_iPKfiiiSC_SC_iiiii.uses_vcc, 1
	.set _ZN4vllm25paged_attention_v1_kernelIffLi64ELi8ELi128ELNS_18Fp8KVCacheDataTypeE0ELb0EEEvPT_PKS2_PKT0_S8_ifPKiSA_iPKfiiiSC_SC_iiiii.uses_flat_scratch, 0
	.set _ZN4vllm25paged_attention_v1_kernelIffLi64ELi8ELi128ELNS_18Fp8KVCacheDataTypeE0ELb0EEEvPT_PKS2_PKT0_S8_ifPKiSA_iPKfiiiSC_SC_iiiii.has_dyn_sized_stack, 0
	.set _ZN4vllm25paged_attention_v1_kernelIffLi64ELi8ELi128ELNS_18Fp8KVCacheDataTypeE0ELb0EEEvPT_PKS2_PKT0_S8_ifPKiSA_iPKfiiiSC_SC_iiiii.has_recursion, 0
	.set _ZN4vllm25paged_attention_v1_kernelIffLi64ELi8ELi128ELNS_18Fp8KVCacheDataTypeE0ELb0EEEvPT_PKS2_PKT0_S8_ifPKiSA_iPKfiiiSC_SC_iiiii.has_indirect_call, 0
	.section	.AMDGPU.csdata,"",@progbits
; Kernel info:
; codeLenInByte = 2780
; TotalNumSgprs: 40
; NumVgprs: 36
; ScratchSize: 0
; MemoryBound: 0
; FloatMode: 240
; IeeeMode: 1
; LDSByteSize: 272 bytes/workgroup (compile time only)
; SGPRBlocks: 4
; VGPRBlocks: 8
; NumSGPRsForWavesPerEU: 40
; NumVGPRsForWavesPerEU: 36
; Occupancy: 7
; WaveLimiterHint : 1
; COMPUTE_PGM_RSRC2:SCRATCH_EN: 0
; COMPUTE_PGM_RSRC2:USER_SGPR: 6
; COMPUTE_PGM_RSRC2:TRAP_HANDLER: 0
; COMPUTE_PGM_RSRC2:TGID_X_EN: 1
; COMPUTE_PGM_RSRC2:TGID_Y_EN: 1
; COMPUTE_PGM_RSRC2:TGID_Z_EN: 1
; COMPUTE_PGM_RSRC2:TIDIG_COMP_CNT: 0
	.section	.text._ZN4vllm25paged_attention_v1_kernelIffLi80ELi8ELi128ELNS_18Fp8KVCacheDataTypeE0ELb0EEEvPT_PKS2_PKT0_S8_ifPKiSA_iPKfiiiSC_SC_iiiii,"axG",@progbits,_ZN4vllm25paged_attention_v1_kernelIffLi80ELi8ELi128ELNS_18Fp8KVCacheDataTypeE0ELb0EEEvPT_PKS2_PKT0_S8_ifPKiSA_iPKfiiiSC_SC_iiiii,comdat
	.protected	_ZN4vllm25paged_attention_v1_kernelIffLi80ELi8ELi128ELNS_18Fp8KVCacheDataTypeE0ELb0EEEvPT_PKS2_PKT0_S8_ifPKiSA_iPKfiiiSC_SC_iiiii ; -- Begin function _ZN4vllm25paged_attention_v1_kernelIffLi80ELi8ELi128ELNS_18Fp8KVCacheDataTypeE0ELb0EEEvPT_PKS2_PKT0_S8_ifPKiSA_iPKfiiiSC_SC_iiiii
	.globl	_ZN4vllm25paged_attention_v1_kernelIffLi80ELi8ELi128ELNS_18Fp8KVCacheDataTypeE0ELb0EEEvPT_PKS2_PKT0_S8_ifPKiSA_iPKfiiiSC_SC_iiiii
	.p2align	8
	.type	_ZN4vllm25paged_attention_v1_kernelIffLi80ELi8ELi128ELNS_18Fp8KVCacheDataTypeE0ELb0EEEvPT_PKS2_PKT0_S8_ifPKiSA_iPKfiiiSC_SC_iiiii,@function
_ZN4vllm25paged_attention_v1_kernelIffLi80ELi8ELi128ELNS_18Fp8KVCacheDataTypeE0ELb0EEEvPT_PKS2_PKT0_S8_ifPKiSA_iPKfiiiSC_SC_iiiii: ; @_ZN4vllm25paged_attention_v1_kernelIffLi80ELi8ELi128ELNS_18Fp8KVCacheDataTypeE0ELb0EEEvPT_PKS2_PKT0_S8_ifPKiSA_iPKfiiiSC_SC_iiiii
; %bb.0:
	s_load_dword s9, s[4:5], 0x80
	s_load_dwordx2 s[0:1], s[4:5], 0x30
	s_load_dwordx2 s[26:27], s[4:5], 0x20
	s_mov_b32 s10, s7
	s_ashr_i32 s11, s7, 31
	s_lshl_b64 s[2:3], s[10:11], 2
	s_waitcnt lgkmcnt(0)
	s_add_u32 s0, s0, s2
	s_addc_u32 s1, s1, s3
	s_abs_i32 s2, s26
	v_cvt_f32_u32_e32 v1, s2
	s_sub_i32 s11, 0, s2
	s_abs_i32 s7, s9
	s_xor_b32 s3, s9, s26
	v_rcp_iflag_f32_e32 v1, v1
	s_ashr_i32 s3, s3, 31
	s_mov_b32 s26, 0
	v_mul_f32_e32 v1, 0x4f7ffffe, v1
	v_cvt_u32_f32_e32 v1, v1
	v_readfirstlane_b32 s12, v1
	s_mul_i32 s11, s11, s12
	s_mul_hi_u32 s11, s12, s11
	s_add_i32 s12, s12, s11
	s_mul_hi_u32 s11, s7, s12
	s_mul_i32 s12, s11, s2
	s_sub_i32 s7, s7, s12
	s_add_i32 s12, s11, 1
	s_sub_i32 s13, s7, s2
	s_cmp_ge_u32 s7, s2
	s_cselect_b32 s11, s12, s11
	s_cselect_b32 s7, s13, s7
	s_add_i32 s12, s11, 1
	s_cmp_ge_u32 s7, s2
	s_cselect_b32 s2, s12, s11
	s_xor_b32 s2, s2, s3
	s_sub_i32 s12, s2, s3
	s_abs_i32 s11, s12
	v_cvt_f32_u32_e32 v1, s11
	s_load_dwordx2 s[2:3], s[4:5], 0x40
	s_sub_i32 s7, 0, s11
	s_abs_i32 s18, s6
	v_rcp_iflag_f32_e32 v1, v1
	v_mul_f32_e32 v1, 0x4f7ffffe, v1
	v_cvt_u32_f32_e32 v1, v1
	v_readfirstlane_b32 s13, v1
	s_mul_i32 s7, s7, s13
	s_mul_hi_u32 s7, s13, s7
	s_add_i32 s13, s13, s7
	s_waitcnt lgkmcnt(0)
	s_cmp_eq_u64 s[2:3], 0
	s_mul_hi_u32 s19, s18, s13
	s_cbranch_scc1 .LBB11_2
; %bb.1:
	s_ashr_i32 s7, s6, 31
	s_lshl_b64 s[14:15], s[6:7], 2
	s_add_u32 s2, s2, s14
	s_addc_u32 s3, s3, s15
	s_load_dword s26, s[2:3], 0x0
.LBB11_2:
	s_load_dword s33, s[0:1], 0x0
	s_ashr_i32 s3, s12, 31
	s_load_dwordx4 s[12:15], s[4:5], 0x48
	s_movk_i32 s0, 0x50
	s_ashr_i32 s2, s6, 31
	v_and_b32_e32 v1, 7, v0
	s_mul_i32 s16, s6, 0x50
	v_cmp_gt_u32_e32 vcc, s0, v0
	v_lshlrev_b32_e32 v13, 2, v0
	v_lshrrev_b32_e32 v19, 1, v0
	s_and_saveexec_b64 s[0:1], vcc
	s_cbranch_execz .LBB11_4
; %bb.3:
	s_load_dwordx2 s[6:7], s[4:5], 0x8
	s_waitcnt lgkmcnt(0)
	s_mul_i32 s20, s12, s10
	s_ashr_i32 s21, s20, 31
	s_lshl_b64 s[20:21], s[20:21], 2
	v_and_b32_e32 v3, 0x1fc, v19
	s_add_u32 s12, s6, s20
	s_addc_u32 s15, s7, s21
	s_ashr_i32 s17, s16, 31
	s_lshl_b64 s[6:7], s[16:17], 2
	s_add_u32 s6, s12, s6
	s_addc_u32 s7, s15, s7
	global_load_dword v2, v13, s[6:7]
	v_mad_u32_u24 v3, v1, 40, v3
	s_waitcnt vmcnt(0)
	ds_write_b32 v3, v2
.LBB11_4:
	s_or_b64 exec, exec, s[0:1]
	s_waitcnt lgkmcnt(0)
	s_add_i32 s1, s33, 7
	s_ashr_i32 s6, s1, 31
	s_lshr_b32 s6, s6, 29
	s_add_i32 s1, s1, s6
	s_ashr_i32 s17, s1, 3
	s_xor_b32 s1, s2, s3
	s_mul_i32 s2, s19, s11
	s_sub_i32 s2, s18, s2
	s_add_i32 s3, s19, 1
	s_sub_i32 s6, s2, s11
	s_load_dwordx2 s[20:21], s[4:5], 0x28
	s_load_dword s0, s[4:5], 0x38
	s_cmp_ge_u32 s2, s11
	s_cselect_b32 s3, s3, s19
	s_cselect_b32 s2, s6, s2
	s_add_i32 s6, s3, 1
	s_cmp_ge_u32 s2, s11
	s_cselect_b32 s2, s6, s3
	v_lshrrev_b32_e32 v20, 6, v0
	s_xor_b32 s2, s2, s1
	s_waitcnt lgkmcnt(0)
	s_mul_i32 s22, s0, s10
	s_sub_i32 s12, s2, s1
	s_ashr_i32 s23, s22, 31
	v_cmp_le_i32_e64 s[0:1], s17, v20
	v_mbcnt_lo_u32_b32 v2, -1, 0
	s_barrier
                                        ; implicit-def: $vgpr15
                                        ; implicit-def: $vgpr17
                                        ; implicit-def: $vgpr16
	s_and_saveexec_b64 s[2:3], s[0:1]
	s_xor_b64 s[2:3], exec, s[2:3]
; %bb.5:
	v_mbcnt_hi_u32_b32 v15, -1, v2
	v_and_b32_e32 v17, 64, v15
	v_add_u32_e32 v16, 64, v17
                                        ; implicit-def: $vgpr1
                                        ; implicit-def: $vgpr2
; %bb.6:
	s_or_saveexec_b64 s[6:7], s[2:3]
	s_load_dwordx2 s[18:19], s[4:5], 0x0
	s_load_dwordx2 s[24:25], s[4:5], 0x18
	s_load_dword s11, s[4:5], 0x88
	v_mov_b32_e32 v22, 0xff7fffff
	s_mul_i32 s14, s12, s14
	v_lshrrev_b32_e32 v14, 4, v0
	s_xor_b64 exec, exec, s[6:7]
	s_cbranch_execz .LBB11_12
; %bb.7:
	s_load_dwordx2 s[2:3], s[4:5], 0x10
	s_ashr_i32 s15, s14, 31
	s_lshl_b64 s[4:5], s[14:15], 2
	v_bfe_u32 v3, v0, 3, 3
	v_lshlrev_b32_e32 v5, 4, v3
	s_waitcnt lgkmcnt(0)
	s_add_u32 s2, s2, s4
	s_addc_u32 s3, s3, s5
	v_mov_b32_e32 v6, s3
	v_add_co_u32_e32 v5, vcc, s2, v5
	v_and_b32_e32 v7, 3, v0
	v_addc_co_u32_e32 v6, vcc, 0, v6, vcc
	v_lshlrev_b32_e32 v7, 2, v7
	v_mbcnt_hi_u32_b32 v15, -1, v2
	v_add_co_u32_e32 v5, vcc, v5, v7
	v_and_b32_e32 v17, 64, v15
	v_addc_co_u32_e32 v6, vcc, 0, v6, vcc
	v_add_u32_e32 v16, 64, v17
	v_xor_b32_e32 v2, 4, v15
	v_cmp_lt_i32_e32 vcc, v2, v16
	v_cndmask_b32_e32 v2, v15, v2, vcc
	v_lshlrev_b32_e32 v18, 2, v2
	v_xor_b32_e32 v2, 2, v15
	v_cmp_lt_i32_e32 vcc, v2, v16
	v_cndmask_b32_e32 v2, v15, v2, vcc
	v_lshlrev_b32_e32 v21, 2, v2
	v_xor_b32_e32 v2, 1, v15
	v_cmp_lt_i32_e32 vcc, v2, v16
	v_mul_u32_u24_e32 v7, 40, v1
	v_cndmask_b32_e32 v2, v15, v2, vcc
	v_cmp_eq_u32_e32 vcc, 0, v1
	v_lshlrev_b32_e32 v1, 5, v0
	v_and_b32_e32 v1, 0x80, v1
	v_lshlrev_b32_e32 v4, 2, v3
	v_add_co_u32_e64 v24, s[4:5], v5, v1
	v_addc_co_u32_e64 v25, s[4:5], 0, v6, s[4:5]
	v_lshl_or_b32 v1, v20, 5, v4
	ds_read_b64 v[9:10], v7 offset:32
	v_lshlrev_b32_e32 v23, 2, v2
	s_sub_i32 s15, 1, s33
	v_lshl_or_b32 v26, v20, 3, v3
	v_add_u32_e32 v27, 0x150, v1
	s_lshl_b64 s[4:5], s[22:23], 2
	ds_read2_b64 v[1:4], v7 offset1:1
	ds_read2_b64 v[5:8], v7 offset0:2 offset1:3
	s_add_u32 s4, s20, s4
	v_and_b32_e32 v11, 60, v14
	s_addc_u32 s5, s21, s5
	v_mov_b32_e32 v12, s5
	v_add_co_u32_e64 v11, s[4:5], s4, v11
	s_mov_b32 s12, s13
	v_cmp_neq_f32_e64 s[2:3], s26, 0
	v_addc_co_u32_e64 v12, s[4:5], 0, v12, s[4:5]
	v_mov_b32_e32 v22, 0xff7fffff
	s_mov_b64 s[28:29], 0
	v_mov_b32_e32 v28, v20
	s_branch .LBB11_9
.LBB11_8:                               ;   in Loop: Header=BB11_9 Depth=1
	s_or_b64 exec, exec, s[30:31]
	v_add_u32_e32 v28, 2, v28
	v_cmp_le_i32_e64 s[4:5], s17, v28
	s_or_b64 s[28:29], s[4:5], s[28:29]
	v_add_co_u32_e64 v11, s[4:5], 8, v11
	v_add_u32_e32 v26, 16, v26
	v_add_u32_e32 v27, 64, v27
	v_addc_co_u32_e64 v12, s[4:5], 0, v12, s[4:5]
	s_andn2_b64 exec, exec, s[28:29]
	s_cbranch_execz .LBB11_11
.LBB11_9:                               ; =>This Inner Loop Header: Depth=1
	global_load_dword v29, v[11:12], off
	s_waitcnt vmcnt(0) lgkmcnt(0)
	v_mad_i64_i32 v[29:30], s[4:5], v29, s12, 0
	v_lshlrev_b64 v[29:30], 2, v[29:30]
	v_add_co_u32_e64 v29, s[4:5], v24, v29
	v_addc_co_u32_e64 v30, s[4:5], v25, v30, s[4:5]
	global_load_dword v31, v[29:30], off offset:256
	global_load_dword v32, v[29:30], off
	global_load_dword v33, v[29:30], off offset:512
	global_load_dword v34, v[29:30], off offset:768
	;; [unrolled: 1-line block ×7, first 2 shown]
	s_nop 0
	global_load_dword v29, v[29:30], off offset:2304
	s_waitcnt vmcnt(9) lgkmcnt(1)
	v_mul_f32_e32 v30, v2, v31
	s_waitcnt vmcnt(8)
	v_fmac_f32_e32 v30, v1, v32
	s_waitcnt vmcnt(7)
	v_fmac_f32_e32 v30, v3, v33
	;; [unrolled: 2-line block ×3, first 2 shown]
	s_waitcnt vmcnt(5) lgkmcnt(0)
	v_fmac_f32_e32 v30, v5, v35
	s_waitcnt vmcnt(4)
	v_fmac_f32_e32 v30, v6, v36
	s_waitcnt vmcnt(3)
	;; [unrolled: 2-line block ×5, first 2 shown]
	v_fmac_f32_e32 v30, v10, v29
	ds_bpermute_b32 v29, v18, v30
	s_waitcnt lgkmcnt(0)
	v_add_f32_e32 v29, v30, v29
	ds_bpermute_b32 v30, v21, v29
	s_waitcnt lgkmcnt(0)
	v_add_f32_e32 v29, v29, v30
	ds_bpermute_b32 v30, v23, v29
	s_and_saveexec_b64 s[30:31], vcc
	s_cbranch_execz .LBB11_8
; %bb.10:                               ;   in Loop: Header=BB11_9 Depth=1
	v_add_u32_e32 v31, s15, v26
	v_cvt_f32_i32_e32 v31, v31
	s_waitcnt lgkmcnt(0)
	v_add_f32_e32 v29, v29, v30
	v_cmp_gt_i32_e64 s[4:5], s33, v26
	v_max_f32_e32 v30, v22, v22
	v_mul_f32_e32 v31, s26, v31
	v_cndmask_b32_e64 v31, 0, v31, s[2:3]
	v_fmac_f32_e32 v31, s27, v29
	v_cndmask_b32_e64 v29, 0, v31, s[4:5]
	ds_write_b32 v27, v29
	v_max_f32_e32 v29, v30, v31
	v_cndmask_b32_e64 v22, v22, v29, s[4:5]
	s_branch .LBB11_8
.LBB11_11:
	s_or_b64 exec, exec, s[28:29]
.LBB11_12:
	s_or_b64 exec, exec, s[6:7]
	v_xor_b32_e32 v1, 32, v15
	v_cmp_lt_i32_e32 vcc, v1, v16
	v_cndmask_b32_e32 v1, v15, v1, vcc
	v_lshlrev_b32_e32 v3, 2, v1
	ds_bpermute_b32 v1, v3, v22
	v_xor_b32_e32 v4, 16, v15
	v_max_f32_e32 v2, v22, v22
	v_cmp_lt_i32_e32 vcc, v4, v16
	v_xor_b32_e32 v6, 8, v15
	s_waitcnt lgkmcnt(0)
	v_max_f32_e32 v1, v1, v1
	v_max_f32_e32 v1, v2, v1
	v_cndmask_b32_e32 v2, v15, v4, vcc
	v_lshlrev_b32_e32 v5, 2, v2
	ds_bpermute_b32 v2, v5, v1
	v_cmp_lt_i32_e32 vcc, v6, v16
	s_waitcnt lgkmcnt(0)
	v_max_f32_e32 v2, v2, v2
	v_max_f32_e32 v4, v1, v2
	v_cndmask_b32_e32 v1, v15, v6, vcc
	v_lshlrev_b32_e32 v6, 2, v1
	ds_bpermute_b32 v7, v6, v4
	v_and_b32_e32 v1, 63, v0
	v_cmp_eq_u32_e32 vcc, 0, v1
	v_lshlrev_b32_e32 v2, 2, v20
	s_and_saveexec_b64 s[2:3], vcc
	s_cbranch_execz .LBB11_14
; %bb.13:
	s_waitcnt lgkmcnt(0)
	v_max_f32_e32 v7, v7, v7
	v_max_f32_e32 v4, v4, v4
	;; [unrolled: 1-line block ×3, first 2 shown]
	ds_write_b32 v2, v4 offset:320
.LBB11_14:
	s_or_b64 exec, exec, s[2:3]
	v_cmp_gt_u32_e64 s[2:3], 2, v1
	s_waitcnt lgkmcnt(0)
	v_mov_b32_e32 v7, 0xff7fffff
	v_lshlrev_b32_e32 v4, 2, v1
	s_barrier
	s_and_saveexec_b64 s[4:5], s[2:3]
; %bb.15:
	ds_read_b32 v7, v4 offset:320
; %bb.16:
	s_or_b64 exec, exec, s[4:5]
	v_xor_b32_e32 v8, 1, v15
	v_cmp_lt_i32_e64 s[4:5], v8, v16
	v_cndmask_b32_e64 v8, v15, v8, s[4:5]
	v_lshlrev_b32_e32 v21, 2, v8
	s_waitcnt lgkmcnt(0)
	ds_bpermute_b32 v8, v21, v7
	v_max_f32_e32 v7, v7, v7
	s_lshl_b32 s4, s17, 3
	s_min_i32 s12, s4, s33
	v_cmp_gt_i32_e64 s[4:5], s12, v0
	s_waitcnt lgkmcnt(0)
	v_max_f32_e32 v8, v8, v8
	v_max_f32_e32 v7, v7, v8
	v_lshlrev_b32_e32 v8, 2, v17
	ds_bpermute_b32 v8, v8, v7
	v_mov_b32_e32 v7, 0
	s_and_saveexec_b64 s[26:27], s[4:5]
	s_cbranch_execz .LBB11_20
; %bb.17:
	v_mov_b32_e32 v7, 0x150
	v_lshl_add_u32 v9, v0, 2, v7
	v_mov_b32_e32 v7, 0
	s_mov_b64 s[28:29], 0
	v_mov_b32_e32 v10, v0
.LBB11_18:                              ; =>This Inner Loop Header: Depth=1
	ds_read_b32 v11, v9
	v_add_u32_e32 v10, 0x80, v10
	v_cmp_le_i32_e64 s[6:7], s12, v10
	s_or_b64 s[28:29], s[6:7], s[28:29]
	s_waitcnt lgkmcnt(0)
	v_sub_f32_e32 v11, v11, v8
	v_mul_f32_e32 v11, 0x3fb8aa3b, v11
	v_exp_f32_e32 v11, v11
	ds_write_b32 v9, v11
	v_add_f32_e32 v7, v7, v11
	v_add_u32_e32 v9, 0x200, v9
	s_andn2_b64 exec, exec, s[28:29]
	s_cbranch_execnz .LBB11_18
; %bb.19:
	s_or_b64 exec, exec, s[28:29]
.LBB11_20:
	s_or_b64 exec, exec, s[26:27]
	ds_bpermute_b32 v3, v3, v7
	s_waitcnt lgkmcnt(0)
	v_add_f32_e32 v3, v7, v3
	ds_bpermute_b32 v5, v5, v3
	s_waitcnt lgkmcnt(0)
	v_add_f32_e32 v3, v3, v5
	ds_bpermute_b32 v5, v6, v3
	v_xor_b32_e32 v6, 4, v15
	v_cmp_lt_i32_e64 s[6:7], v6, v16
	v_cndmask_b32_e64 v6, v15, v6, s[6:7]
	v_lshlrev_b32_e32 v6, 2, v6
	s_waitcnt lgkmcnt(0)
	v_add_f32_e32 v3, v3, v5
	ds_bpermute_b32 v5, v6, v3
	v_xor_b32_e32 v6, 2, v15
	v_cmp_lt_i32_e64 s[6:7], v6, v16
	v_cndmask_b32_e64 v6, v15, v6, s[6:7]
	s_waitcnt lgkmcnt(0)
	v_add_f32_e32 v3, v3, v5
	v_lshlrev_b32_e32 v5, 2, v6
	ds_bpermute_b32 v5, v5, v3
	s_waitcnt lgkmcnt(0)
	v_add_f32_e32 v3, v3, v5
	ds_bpermute_b32 v5, v21, v3
	s_waitcnt lgkmcnt(0)
	v_add_f32_e32 v3, v3, v5
	s_and_saveexec_b64 s[6:7], vcc
; %bb.21:
	ds_write_b32 v2, v3 offset:328
; %bb.22:
	s_or_b64 exec, exec, s[6:7]
	s_waitcnt lgkmcnt(0)
	s_barrier
	s_and_saveexec_b64 s[6:7], s[2:3]
; %bb.23:
	ds_read_b32 v3, v4 offset:328
; %bb.24:
	s_or_b64 exec, exec, s[6:7]
	s_waitcnt lgkmcnt(0)
	ds_bpermute_b32 v2, v21, v3
	v_lshlrev_b32_e32 v4, 2, v15
	s_waitcnt lgkmcnt(0)
	v_add_f32_e32 v2, v3, v2
	v_and_b32_e32 v3, 0xffffff00, v4
	ds_bpermute_b32 v2, v3, v2
	s_and_saveexec_b64 s[2:3], s[4:5]
	s_cbranch_execz .LBB11_27
; %bb.25:
	s_waitcnt lgkmcnt(0)
	v_add_f32_e32 v3, 0x358637bd, v2
	v_div_scale_f32 v2, s[4:5], v3, v3, 1.0
	v_div_scale_f32 v4, vcc, 1.0, v3, 1.0
	s_mov_b64 s[4:5], 0
	v_rcp_f32_e32 v5, v2
	v_fma_f32 v6, -v2, v5, 1.0
	v_fmac_f32_e32 v5, v6, v5
	v_mul_f32_e32 v6, v4, v5
	v_fma_f32 v7, -v2, v6, v4
	v_fmac_f32_e32 v6, v7, v5
	v_fma_f32 v2, -v2, v6, v4
	v_div_fmas_f32 v4, v2, v5, v6
	v_mov_b32_e32 v2, 0x150
	v_lshl_add_u32 v2, v0, 2, v2
	v_div_fixup_f32 v3, v4, v3, 1.0
	v_mov_b32_e32 v4, v0
.LBB11_26:                              ; =>This Inner Loop Header: Depth=1
	ds_read_b32 v5, v2
	v_add_u32_e32 v4, 0x80, v4
	v_cmp_le_i32_e32 vcc, s12, v4
	s_or_b64 s[4:5], vcc, s[4:5]
	s_waitcnt lgkmcnt(0)
	v_mul_f32_e32 v5, v3, v5
	ds_write_b32 v2, v5
	v_add_u32_e32 v2, 0x200, v2
	s_andn2_b64 exec, exec, s[4:5]
	s_cbranch_execnz .LBB11_26
.LBB11_27:
	s_or_b64 exec, exec, s[2:3]
	v_lshrrev_b32_e32 v22, 1, v1
	s_waitcnt lgkmcnt(0)
	s_barrier
	s_and_saveexec_b64 s[2:3], s[0:1]
	s_xor_b64 s[0:1], exec, s[2:3]
; %bb.28:
	v_lshrrev_b32_e32 v22, 1, v1
                                        ; implicit-def: $vgpr20
                                        ; implicit-def: $vgpr13
                                        ; implicit-def: $vgpr14
; %bb.29:
	s_or_saveexec_b64 s[4:5], s[0:1]
	v_mov_b32_e32 v25, 0
	v_and_b32_e32 v23, 1, v0
	v_mov_b32_e32 v26, 0
	v_mov_b32_e32 v24, 0
	s_xor_b64 exec, exec, s[4:5]
	s_cbranch_execz .LBB11_41
; %bb.30:
	s_ashr_i32 s15, s14, 31
	s_lshl_b64 s[0:1], s[14:15], 2
	v_and_b32_e32 v1, 4, v13
	s_add_u32 s14, s24, s0
	v_or_b32_e32 v3, 64, v22
	s_movk_i32 s0, 0x50
	v_lshlrev_b32_e32 v4, 3, v20
	s_addc_u32 s2, s25, s1
	s_add_i32 s15, s17, -1
	v_lshl_or_b32 v2, v22, 3, v1
	v_cmp_gt_u32_e32 vcc, s0, v3
	v_lshl_or_b32 v3, v3, 3, v1
	v_or3_b32 v27, v4, v1, 3
	v_lshlrev_b32_e32 v1, 4, v23
	s_lshl_b64 s[0:1], s[22:23], 2
	v_lshl_or_b32 v1, v20, 5, v1
	s_add_u32 s0, s20, s0
	v_add_u32_e32 v28, 0x150, v1
	v_and_b32_e32 v1, 60, v14
	s_addc_u32 s1, s21, s1
	v_mov_b32_e32 v4, s1
	v_add_co_u32_e64 v17, s[0:1], s0, v1
	s_mov_b32 s26, s13
	v_mov_b32_e32 v24, 0
	v_addc_co_u32_e64 v18, s[0:1], 0, v4, s[0:1]
	s_mov_b64 s[6:7], 0
	v_mov_b32_e32 v29, s2
	v_lshlrev_b32_e32 v30, 2, v2
	v_lshlrev_b32_e32 v31, 2, v3
	v_mov_b32_e32 v26, 0
	v_mov_b32_e32 v25, 0
	s_branch .LBB11_33
.LBB11_31:                              ;   in Loop: Header=BB11_33 Depth=1
	s_or_b64 exec, exec, s[2:3]
	s_waitcnt vmcnt(0) lgkmcnt(0)
	v_mul_f32_e32 v13, v5, v13
	v_fmac_f32_e32 v13, v6, v14
	v_fmac_f32_e32 v13, v7, v15
	;; [unrolled: 1-line block ×3, first 2 shown]
	v_add_f32_e32 v24, v24, v13
.LBB11_32:                              ;   in Loop: Header=BB11_33 Depth=1
	s_or_b64 exec, exec, s[12:13]
	s_waitcnt vmcnt(0) lgkmcnt(0)
	v_mul_f32_e32 v9, v5, v9
	v_mul_f32_e32 v1, v5, v1
	v_fmac_f32_e32 v9, v6, v10
	v_fmac_f32_e32 v1, v6, v2
	v_add_u32_e32 v20, 2, v20
	v_fmac_f32_e32 v9, v7, v11
	v_fmac_f32_e32 v1, v7, v3
	v_cmp_le_i32_e64 s[0:1], s17, v20
	v_fmac_f32_e32 v9, v8, v12
	v_fmac_f32_e32 v1, v8, v4
	s_or_b64 s[6:7], s[0:1], s[6:7]
	v_add_co_u32_e64 v17, s[0:1], 8, v17
	v_add_f32_e32 v26, v26, v9
	v_add_f32_e32 v25, v25, v1
	v_add_u32_e32 v27, 16, v27
	v_add_u32_e32 v28, 64, v28
	v_addc_co_u32_e64 v18, s[0:1], 0, v18, s[0:1]
	s_andn2_b64 exec, exec, s[6:7]
	s_cbranch_execz .LBB11_40
.LBB11_33:                              ; =>This Inner Loop Header: Depth=1
	global_load_dword v1, v[17:18], off
	ds_read_b128 v[5:8], v28
	v_add_u32_e32 v32, -3, v27
	s_waitcnt vmcnt(0)
	v_mad_i64_i32 v[1:2], s[0:1], v1, s26, 0
	v_lshlrev_b64 v[1:2], 2, v[1:2]
	v_add_co_u32_e64 v13, s[0:1], s14, v1
	v_addc_co_u32_e64 v14, s[0:1], v29, v2, s[0:1]
	v_add_co_u32_e64 v9, s[0:1], v13, v30
	v_addc_co_u32_e64 v10, s[0:1], 0, v14, s[0:1]
	global_load_dwordx4 v[1:4], v[9:10], off
	v_cmp_eq_u32_e64 s[0:1], s15, v20
	s_and_saveexec_b64 s[12:13], s[0:1]
	s_cbranch_execnz .LBB11_36
; %bb.34:                               ;   in Loop: Header=BB11_33 Depth=1
	s_or_b64 exec, exec, s[12:13]
	global_load_dwordx4 v[9:12], v[9:10], off offset:1024
	s_and_saveexec_b64 s[12:13], s[0:1]
	s_cbranch_execnz .LBB11_37
.LBB11_35:                              ;   in Loop: Header=BB11_33 Depth=1
	s_or_b64 exec, exec, s[12:13]
	s_and_saveexec_b64 s[12:13], vcc
	s_cbranch_execz .LBB11_32
	s_branch .LBB11_38
.LBB11_36:                              ;   in Loop: Header=BB11_33 Depth=1
	v_cmp_gt_i32_e64 s[2:3], s33, v32
	v_add_u32_e32 v11, -2, v27
	s_waitcnt vmcnt(0)
	v_cndmask_b32_e64 v1, 0, v1, s[2:3]
	v_cmp_gt_i32_e64 s[2:3], s33, v11
	v_add_u32_e32 v11, -1, v27
	v_cndmask_b32_e64 v2, 0, v2, s[2:3]
	v_cmp_gt_i32_e64 s[2:3], s33, v11
	v_cndmask_b32_e64 v3, 0, v3, s[2:3]
	v_cmp_gt_i32_e64 s[2:3], s33, v27
	v_cndmask_b32_e64 v4, 0, v4, s[2:3]
	s_or_b64 exec, exec, s[12:13]
	global_load_dwordx4 v[9:12], v[9:10], off offset:1024
	s_and_saveexec_b64 s[12:13], s[0:1]
	s_cbranch_execz .LBB11_35
.LBB11_37:                              ;   in Loop: Header=BB11_33 Depth=1
	v_cmp_gt_i32_e64 s[2:3], s33, v32
	v_add_u32_e32 v15, -2, v27
	s_waitcnt vmcnt(0)
	v_cndmask_b32_e64 v9, 0, v9, s[2:3]
	v_cmp_gt_i32_e64 s[2:3], s33, v15
	v_add_u32_e32 v15, -1, v27
	v_cndmask_b32_e64 v10, 0, v10, s[2:3]
	v_cmp_gt_i32_e64 s[2:3], s33, v15
	v_cndmask_b32_e64 v11, 0, v11, s[2:3]
	v_cmp_gt_i32_e64 s[2:3], s33, v27
	v_cndmask_b32_e64 v12, 0, v12, s[2:3]
	s_or_b64 exec, exec, s[12:13]
	s_and_saveexec_b64 s[12:13], vcc
	s_cbranch_execz .LBB11_32
.LBB11_38:                              ;   in Loop: Header=BB11_33 Depth=1
	v_add_co_u32_e64 v13, s[2:3], v13, v31
	v_addc_co_u32_e64 v14, s[2:3], 0, v14, s[2:3]
	global_load_dwordx4 v[13:16], v[13:14], off
	s_and_saveexec_b64 s[2:3], s[0:1]
	s_cbranch_execz .LBB11_31
; %bb.39:                               ;   in Loop: Header=BB11_33 Depth=1
	v_cmp_gt_i32_e64 s[0:1], s33, v32
	v_add_u32_e32 v32, -2, v27
	s_waitcnt vmcnt(0)
	v_cndmask_b32_e64 v13, 0, v13, s[0:1]
	v_cmp_gt_i32_e64 s[0:1], s33, v32
	v_add_u32_e32 v32, -1, v27
	v_cndmask_b32_e64 v14, 0, v14, s[0:1]
	v_cmp_gt_i32_e64 s[0:1], s33, v32
	v_cndmask_b32_e64 v15, 0, v15, s[0:1]
	v_cmp_gt_i32_e64 s[0:1], s33, v27
	v_cndmask_b32_e64 v16, 0, v16, s[0:1]
	s_branch .LBB11_31
.LBB11_40:
	s_or_b64 exec, exec, s[6:7]
.LBB11_41:
	s_or_b64 exec, exec, s[4:5]
	ds_bpermute_b32 v1, v21, v25
	ds_bpermute_b32 v4, v21, v24
	;; [unrolled: 1-line block ×3, first 2 shown]
	v_cmp_eq_u32_e32 vcc, 0, v23
	s_waitcnt lgkmcnt(0)
	v_add_f32_e32 v3, v25, v1
	v_add_f32_e32 v1, v24, v4
	v_and_b32_e32 v4, 0x3c0, v0
	v_add_f32_e32 v2, v26, v2
	v_cmp_eq_u32_e64 s[0:1], 64, v4
	s_barrier
	s_and_saveexec_b64 s[2:3], s[0:1]
	s_cbranch_execz .LBB11_46
; %bb.42:
	s_and_saveexec_b64 s[0:1], vcc
; %bb.43:
	v_mov_b32_e32 v4, 0x150
	v_lshl_add_u32 v4, v22, 2, v4
	ds_write2_b32 v4, v3, v2 offset1:32
; %bb.44:
	s_or_b64 exec, exec, s[0:1]
	v_or_b32_e32 v4, 64, v22
	s_movk_i32 s0, 0x50
	v_cmp_gt_u32_e64 s[0:1], s0, v4
	s_and_b64 s[0:1], vcc, s[0:1]
	s_and_b64 exec, exec, s[0:1]
; %bb.45:
	v_mov_b32_e32 v4, 0x150
	v_lshl_add_u32 v4, v22, 2, v4
	ds_write_b32 v4, v1 offset:256
.LBB11_46:
	s_or_b64 exec, exec, s[2:3]
	v_cmp_gt_u32_e64 s[0:1], 64, v0
	s_waitcnt lgkmcnt(0)
	s_barrier
	s_and_saveexec_b64 s[4:5], s[0:1]
	s_cbranch_execz .LBB11_54
; %bb.47:
	s_and_saveexec_b64 s[2:3], vcc
	s_cbranch_execz .LBB11_49
; %bb.48:
	v_mov_b32_e32 v0, 0x150
	v_lshl_add_u32 v0, v19, 2, v0
	ds_read_b32 v0, v0
	s_waitcnt lgkmcnt(0)
	v_add_f32_e32 v3, v3, v0
.LBB11_49:
	s_or_b64 exec, exec, s[2:3]
	v_or_b32_e32 v0, 32, v19
	s_movk_i32 s6, 0x50
	v_cmp_gt_u32_e64 s[2:3], s6, v0
	s_and_b64 s[12:13], vcc, s[2:3]
	s_and_saveexec_b64 s[2:3], s[12:13]
	s_cbranch_execz .LBB11_51
; %bb.50:
	v_mov_b32_e32 v0, 0x150
	v_lshl_add_u32 v0, v19, 2, v0
	ds_read_b32 v0, v0 offset:128
	s_waitcnt lgkmcnt(0)
	v_add_f32_e32 v2, v2, v0
.LBB11_51:
	s_or_b64 exec, exec, s[2:3]
	v_or_b32_e32 v0, 64, v19
	v_cmp_gt_u32_e64 s[2:3], s6, v0
	s_and_b64 s[6:7], vcc, s[2:3]
	s_and_saveexec_b64 s[2:3], s[6:7]
	s_cbranch_execz .LBB11_53
; %bb.52:
	v_mov_b32_e32 v0, 0x150
	v_lshl_add_u32 v0, v19, 2, v0
	ds_read_b32 v0, v0 offset:256
	s_waitcnt lgkmcnt(0)
	v_add_f32_e32 v1, v1, v0
.LBB11_53:
	s_or_b64 exec, exec, s[2:3]
.LBB11_54:
	s_or_b64 exec, exec, s[4:5]
	s_barrier
	s_and_saveexec_b64 s[2:3], s[0:1]
	s_cbranch_execz .LBB11_61
; %bb.55:
	s_mul_i32 s0, s10, s11
	s_mul_i32 s0, s0, s9
	s_mulk_i32 s0, 0x50
	s_ashr_i32 s1, s0, 31
	s_lshl_b64 s[0:1], s[0:1], 2
	s_add_u32 s2, s18, s0
	s_mul_i32 s0, s11, s16
	s_addc_u32 s3, s19, s1
	s_ashr_i32 s1, s0, 31
	s_lshl_b64 s[0:1], s[0:1], 2
	s_add_u32 s2, s2, s0
	s_mul_i32 s0, s8, 0x50
	s_addc_u32 s3, s3, s1
	s_ashr_i32 s1, s0, 31
	s_lshl_b64 s[0:1], s[0:1], 2
	s_add_u32 s2, s2, s0
	s_movk_i32 s4, 0x50
	s_addc_u32 s3, s3, s1
	v_lshlrev_b32_e32 v0, 2, v19
	s_and_saveexec_b64 s[0:1], vcc
	s_cbranch_execz .LBB11_57
; %bb.56:
	global_store_dword v0, v3, s[2:3]
.LBB11_57:
	s_or_b64 exec, exec, s[0:1]
	v_or_b32_e32 v3, 32, v19
	v_cmp_gt_u32_e64 s[0:1], s4, v3
	s_and_b64 s[4:5], vcc, s[0:1]
	s_and_saveexec_b64 s[0:1], s[4:5]
	s_cbranch_execz .LBB11_59
; %bb.58:
	global_store_dword v0, v2, s[2:3] offset:128
.LBB11_59:
	s_or_b64 exec, exec, s[0:1]
	v_or_b32_e32 v2, 64, v19
	s_movk_i32 s0, 0x50
	v_cmp_gt_u32_e64 s[0:1], s0, v2
	s_and_b64 s[0:1], vcc, s[0:1]
	s_and_b64 exec, exec, s[0:1]
	s_cbranch_execz .LBB11_61
; %bb.60:
	global_store_dword v0, v1, s[2:3] offset:256
.LBB11_61:
	s_endpgm
	.section	.rodata,"a",@progbits
	.p2align	6, 0x0
	.amdhsa_kernel _ZN4vllm25paged_attention_v1_kernelIffLi80ELi8ELi128ELNS_18Fp8KVCacheDataTypeE0ELb0EEEvPT_PKS2_PKT0_S8_ifPKiSA_iPKfiiiSC_SC_iiiii
		.amdhsa_group_segment_fixed_size 336
		.amdhsa_private_segment_fixed_size 0
		.amdhsa_kernarg_size 384
		.amdhsa_user_sgpr_count 6
		.amdhsa_user_sgpr_private_segment_buffer 1
		.amdhsa_user_sgpr_dispatch_ptr 0
		.amdhsa_user_sgpr_queue_ptr 0
		.amdhsa_user_sgpr_kernarg_segment_ptr 1
		.amdhsa_user_sgpr_dispatch_id 0
		.amdhsa_user_sgpr_flat_scratch_init 0
		.amdhsa_user_sgpr_private_segment_size 0
		.amdhsa_uses_dynamic_stack 0
		.amdhsa_system_sgpr_private_segment_wavefront_offset 0
		.amdhsa_system_sgpr_workgroup_id_x 1
		.amdhsa_system_sgpr_workgroup_id_y 1
		.amdhsa_system_sgpr_workgroup_id_z 1
		.amdhsa_system_sgpr_workgroup_info 0
		.amdhsa_system_vgpr_workitem_id 0
		.amdhsa_next_free_vgpr 40
		.amdhsa_next_free_sgpr 34
		.amdhsa_reserve_vcc 1
		.amdhsa_reserve_flat_scratch 0
		.amdhsa_float_round_mode_32 0
		.amdhsa_float_round_mode_16_64 0
		.amdhsa_float_denorm_mode_32 3
		.amdhsa_float_denorm_mode_16_64 3
		.amdhsa_dx10_clamp 1
		.amdhsa_ieee_mode 1
		.amdhsa_fp16_overflow 0
		.amdhsa_exception_fp_ieee_invalid_op 0
		.amdhsa_exception_fp_denorm_src 0
		.amdhsa_exception_fp_ieee_div_zero 0
		.amdhsa_exception_fp_ieee_overflow 0
		.amdhsa_exception_fp_ieee_underflow 0
		.amdhsa_exception_fp_ieee_inexact 0
		.amdhsa_exception_int_div_zero 0
	.end_amdhsa_kernel
	.section	.text._ZN4vllm25paged_attention_v1_kernelIffLi80ELi8ELi128ELNS_18Fp8KVCacheDataTypeE0ELb0EEEvPT_PKS2_PKT0_S8_ifPKiSA_iPKfiiiSC_SC_iiiii,"axG",@progbits,_ZN4vllm25paged_attention_v1_kernelIffLi80ELi8ELi128ELNS_18Fp8KVCacheDataTypeE0ELb0EEEvPT_PKS2_PKT0_S8_ifPKiSA_iPKfiiiSC_SC_iiiii,comdat
.Lfunc_end11:
	.size	_ZN4vllm25paged_attention_v1_kernelIffLi80ELi8ELi128ELNS_18Fp8KVCacheDataTypeE0ELb0EEEvPT_PKS2_PKT0_S8_ifPKiSA_iPKfiiiSC_SC_iiiii, .Lfunc_end11-_ZN4vllm25paged_attention_v1_kernelIffLi80ELi8ELi128ELNS_18Fp8KVCacheDataTypeE0ELb0EEEvPT_PKS2_PKT0_S8_ifPKiSA_iPKfiiiSC_SC_iiiii
                                        ; -- End function
	.set _ZN4vllm25paged_attention_v1_kernelIffLi80ELi8ELi128ELNS_18Fp8KVCacheDataTypeE0ELb0EEEvPT_PKS2_PKT0_S8_ifPKiSA_iPKfiiiSC_SC_iiiii.num_vgpr, 40
	.set _ZN4vllm25paged_attention_v1_kernelIffLi80ELi8ELi128ELNS_18Fp8KVCacheDataTypeE0ELb0EEEvPT_PKS2_PKT0_S8_ifPKiSA_iPKfiiiSC_SC_iiiii.num_agpr, 0
	.set _ZN4vllm25paged_attention_v1_kernelIffLi80ELi8ELi128ELNS_18Fp8KVCacheDataTypeE0ELb0EEEvPT_PKS2_PKT0_S8_ifPKiSA_iPKfiiiSC_SC_iiiii.numbered_sgpr, 34
	.set _ZN4vllm25paged_attention_v1_kernelIffLi80ELi8ELi128ELNS_18Fp8KVCacheDataTypeE0ELb0EEEvPT_PKS2_PKT0_S8_ifPKiSA_iPKfiiiSC_SC_iiiii.num_named_barrier, 0
	.set _ZN4vllm25paged_attention_v1_kernelIffLi80ELi8ELi128ELNS_18Fp8KVCacheDataTypeE0ELb0EEEvPT_PKS2_PKT0_S8_ifPKiSA_iPKfiiiSC_SC_iiiii.private_seg_size, 0
	.set _ZN4vllm25paged_attention_v1_kernelIffLi80ELi8ELi128ELNS_18Fp8KVCacheDataTypeE0ELb0EEEvPT_PKS2_PKT0_S8_ifPKiSA_iPKfiiiSC_SC_iiiii.uses_vcc, 1
	.set _ZN4vllm25paged_attention_v1_kernelIffLi80ELi8ELi128ELNS_18Fp8KVCacheDataTypeE0ELb0EEEvPT_PKS2_PKT0_S8_ifPKiSA_iPKfiiiSC_SC_iiiii.uses_flat_scratch, 0
	.set _ZN4vllm25paged_attention_v1_kernelIffLi80ELi8ELi128ELNS_18Fp8KVCacheDataTypeE0ELb0EEEvPT_PKS2_PKT0_S8_ifPKiSA_iPKfiiiSC_SC_iiiii.has_dyn_sized_stack, 0
	.set _ZN4vllm25paged_attention_v1_kernelIffLi80ELi8ELi128ELNS_18Fp8KVCacheDataTypeE0ELb0EEEvPT_PKS2_PKT0_S8_ifPKiSA_iPKfiiiSC_SC_iiiii.has_recursion, 0
	.set _ZN4vllm25paged_attention_v1_kernelIffLi80ELi8ELi128ELNS_18Fp8KVCacheDataTypeE0ELb0EEEvPT_PKS2_PKT0_S8_ifPKiSA_iPKfiiiSC_SC_iiiii.has_indirect_call, 0
	.section	.AMDGPU.csdata,"",@progbits
; Kernel info:
; codeLenInByte = 3396
; TotalNumSgprs: 38
; NumVgprs: 40
; ScratchSize: 0
; MemoryBound: 0
; FloatMode: 240
; IeeeMode: 1
; LDSByteSize: 336 bytes/workgroup (compile time only)
; SGPRBlocks: 4
; VGPRBlocks: 9
; NumSGPRsForWavesPerEU: 38
; NumVGPRsForWavesPerEU: 40
; Occupancy: 6
; WaveLimiterHint : 1
; COMPUTE_PGM_RSRC2:SCRATCH_EN: 0
; COMPUTE_PGM_RSRC2:USER_SGPR: 6
; COMPUTE_PGM_RSRC2:TRAP_HANDLER: 0
; COMPUTE_PGM_RSRC2:TGID_X_EN: 1
; COMPUTE_PGM_RSRC2:TGID_Y_EN: 1
; COMPUTE_PGM_RSRC2:TGID_Z_EN: 1
; COMPUTE_PGM_RSRC2:TIDIG_COMP_CNT: 0
	.section	.text._ZN4vllm25paged_attention_v1_kernelIffLi96ELi8ELi128ELNS_18Fp8KVCacheDataTypeE0ELb0EEEvPT_PKS2_PKT0_S8_ifPKiSA_iPKfiiiSC_SC_iiiii,"axG",@progbits,_ZN4vllm25paged_attention_v1_kernelIffLi96ELi8ELi128ELNS_18Fp8KVCacheDataTypeE0ELb0EEEvPT_PKS2_PKT0_S8_ifPKiSA_iPKfiiiSC_SC_iiiii,comdat
	.protected	_ZN4vllm25paged_attention_v1_kernelIffLi96ELi8ELi128ELNS_18Fp8KVCacheDataTypeE0ELb0EEEvPT_PKS2_PKT0_S8_ifPKiSA_iPKfiiiSC_SC_iiiii ; -- Begin function _ZN4vllm25paged_attention_v1_kernelIffLi96ELi8ELi128ELNS_18Fp8KVCacheDataTypeE0ELb0EEEvPT_PKS2_PKT0_S8_ifPKiSA_iPKfiiiSC_SC_iiiii
	.globl	_ZN4vllm25paged_attention_v1_kernelIffLi96ELi8ELi128ELNS_18Fp8KVCacheDataTypeE0ELb0EEEvPT_PKS2_PKT0_S8_ifPKiSA_iPKfiiiSC_SC_iiiii
	.p2align	8
	.type	_ZN4vllm25paged_attention_v1_kernelIffLi96ELi8ELi128ELNS_18Fp8KVCacheDataTypeE0ELb0EEEvPT_PKS2_PKT0_S8_ifPKiSA_iPKfiiiSC_SC_iiiii,@function
_ZN4vllm25paged_attention_v1_kernelIffLi96ELi8ELi128ELNS_18Fp8KVCacheDataTypeE0ELb0EEEvPT_PKS2_PKT0_S8_ifPKiSA_iPKfiiiSC_SC_iiiii: ; @_ZN4vllm25paged_attention_v1_kernelIffLi96ELi8ELi128ELNS_18Fp8KVCacheDataTypeE0ELb0EEEvPT_PKS2_PKT0_S8_ifPKiSA_iPKfiiiSC_SC_iiiii
; %bb.0:
	s_load_dword s9, s[4:5], 0x80
	s_load_dwordx2 s[0:1], s[4:5], 0x30
	s_load_dwordx2 s[26:27], s[4:5], 0x20
	s_mov_b32 s10, s7
	s_ashr_i32 s11, s7, 31
	s_lshl_b64 s[2:3], s[10:11], 2
	s_waitcnt lgkmcnt(0)
	s_add_u32 s0, s0, s2
	s_addc_u32 s1, s1, s3
	s_abs_i32 s2, s26
	v_cvt_f32_u32_e32 v1, s2
	s_sub_i32 s11, 0, s2
	s_abs_i32 s7, s9
	s_xor_b32 s3, s9, s26
	v_rcp_iflag_f32_e32 v1, v1
	s_ashr_i32 s3, s3, 31
	s_mov_b32 s26, 0
	v_mul_f32_e32 v1, 0x4f7ffffe, v1
	v_cvt_u32_f32_e32 v1, v1
	v_readfirstlane_b32 s12, v1
	s_mul_i32 s11, s11, s12
	s_mul_hi_u32 s11, s12, s11
	s_add_i32 s12, s12, s11
	s_mul_hi_u32 s11, s7, s12
	s_mul_i32 s12, s11, s2
	s_sub_i32 s7, s7, s12
	s_add_i32 s12, s11, 1
	s_sub_i32 s13, s7, s2
	s_cmp_ge_u32 s7, s2
	s_cselect_b32 s11, s12, s11
	s_cselect_b32 s7, s13, s7
	s_add_i32 s12, s11, 1
	s_cmp_ge_u32 s7, s2
	s_cselect_b32 s2, s12, s11
	s_xor_b32 s2, s2, s3
	s_sub_i32 s12, s2, s3
	s_abs_i32 s11, s12
	v_cvt_f32_u32_e32 v1, s11
	s_load_dwordx2 s[2:3], s[4:5], 0x40
	s_sub_i32 s7, 0, s11
	s_abs_i32 s18, s6
	v_rcp_iflag_f32_e32 v1, v1
	v_mul_f32_e32 v1, 0x4f7ffffe, v1
	v_cvt_u32_f32_e32 v1, v1
	v_readfirstlane_b32 s13, v1
	s_mul_i32 s7, s7, s13
	s_mul_hi_u32 s7, s13, s7
	s_add_i32 s13, s13, s7
	s_waitcnt lgkmcnt(0)
	s_cmp_eq_u64 s[2:3], 0
	s_mul_hi_u32 s19, s18, s13
	s_cbranch_scc1 .LBB12_2
; %bb.1:
	s_ashr_i32 s7, s6, 31
	s_lshl_b64 s[14:15], s[6:7], 2
	s_add_u32 s2, s2, s14
	s_addc_u32 s3, s3, s15
	s_load_dword s26, s[2:3], 0x0
.LBB12_2:
	s_load_dword s33, s[0:1], 0x0
	s_ashr_i32 s3, s12, 31
	s_load_dwordx4 s[12:15], s[4:5], 0x48
	s_movk_i32 s0, 0x60
	s_ashr_i32 s2, s6, 31
	v_and_b32_e32 v1, 7, v0
	s_mul_i32 s16, s6, 0x60
	v_cmp_gt_u32_e32 vcc, s0, v0
	v_lshlrev_b32_e32 v15, 2, v0
	v_lshrrev_b32_e32 v19, 1, v0
	s_and_saveexec_b64 s[0:1], vcc
	s_cbranch_execz .LBB12_4
; %bb.3:
	s_load_dwordx2 s[6:7], s[4:5], 0x8
	s_waitcnt lgkmcnt(0)
	s_mul_i32 s20, s12, s10
	s_ashr_i32 s21, s20, 31
	s_lshl_b64 s[20:21], s[20:21], 2
	v_and_b32_e32 v3, 0x1fc, v19
	s_add_u32 s12, s6, s20
	s_addc_u32 s15, s7, s21
	s_ashr_i32 s17, s16, 31
	s_lshl_b64 s[6:7], s[16:17], 2
	s_add_u32 s6, s12, s6
	s_addc_u32 s7, s15, s7
	global_load_dword v2, v15, s[6:7]
	v_mad_u32_u24 v3, v1, 48, v3
	s_waitcnt vmcnt(0)
	ds_write_b32 v3, v2
.LBB12_4:
	s_or_b64 exec, exec, s[0:1]
	s_waitcnt lgkmcnt(0)
	s_add_i32 s1, s33, 7
	s_ashr_i32 s6, s1, 31
	s_lshr_b32 s6, s6, 29
	s_add_i32 s1, s1, s6
	s_ashr_i32 s12, s1, 3
	s_xor_b32 s1, s2, s3
	s_mul_i32 s2, s19, s11
	s_sub_i32 s2, s18, s2
	s_add_i32 s3, s19, 1
	s_sub_i32 s6, s2, s11
	s_load_dwordx2 s[20:21], s[4:5], 0x28
	s_load_dword s0, s[4:5], 0x38
	s_cmp_ge_u32 s2, s11
	s_cselect_b32 s3, s3, s19
	s_cselect_b32 s2, s6, s2
	s_add_i32 s6, s3, 1
	s_cmp_ge_u32 s2, s11
	s_cselect_b32 s2, s6, s3
	v_lshrrev_b32_e32 v20, 6, v0
	s_xor_b32 s2, s2, s1
	s_waitcnt lgkmcnt(0)
	s_mul_i32 s22, s0, s10
	s_sub_i32 s15, s2, s1
	s_ashr_i32 s23, s22, 31
	v_cmp_gt_i32_e64 s[0:1], s12, v20
	v_cmp_le_i32_e32 vcc, s12, v20
	v_mbcnt_lo_u32_b32 v2, -1, 0
	s_barrier
                                        ; implicit-def: $vgpr17
                                        ; implicit-def: $vgpr23
                                        ; implicit-def: $vgpr18
	s_and_saveexec_b64 s[2:3], vcc
	s_xor_b64 s[2:3], exec, s[2:3]
; %bb.5:
	v_mbcnt_hi_u32_b32 v17, -1, v2
	v_and_b32_e32 v23, 64, v17
	v_add_u32_e32 v18, 64, v23
                                        ; implicit-def: $vgpr1
                                        ; implicit-def: $vgpr2
; %bb.6:
	s_or_saveexec_b64 s[6:7], s[2:3]
	s_load_dwordx2 s[18:19], s[4:5], 0x0
	s_load_dwordx2 s[24:25], s[4:5], 0x18
	s_load_dword s11, s[4:5], 0x88
	v_mov_b32_e32 v24, 0xff7fffff
	s_mul_i32 s14, s15, s14
	v_lshrrev_b32_e32 v16, 4, v0
	s_xor_b64 exec, exec, s[6:7]
	s_cbranch_execz .LBB12_12
; %bb.7:
	s_load_dwordx2 s[2:3], s[4:5], 0x10
	s_ashr_i32 s15, s14, 31
	s_lshl_b64 s[4:5], s[14:15], 2
	v_bfe_u32 v3, v0, 3, 3
	v_lshlrev_b32_e32 v5, 4, v3
	s_waitcnt lgkmcnt(0)
	s_add_u32 s2, s2, s4
	s_addc_u32 s3, s3, s5
	v_mov_b32_e32 v6, s3
	v_add_co_u32_e32 v5, vcc, s2, v5
	v_and_b32_e32 v7, 3, v0
	v_addc_co_u32_e32 v6, vcc, 0, v6, vcc
	v_lshlrev_b32_e32 v7, 2, v7
	v_mbcnt_hi_u32_b32 v17, -1, v2
	v_add_co_u32_e32 v5, vcc, v5, v7
	v_and_b32_e32 v23, 64, v17
	v_addc_co_u32_e32 v6, vcc, 0, v6, vcc
	v_add_u32_e32 v18, 64, v23
	v_xor_b32_e32 v2, 4, v17
	v_cmp_lt_i32_e32 vcc, v2, v18
	v_cndmask_b32_e32 v2, v17, v2, vcc
	v_lshlrev_b32_e32 v21, 2, v2
	v_xor_b32_e32 v2, 2, v17
	v_cmp_lt_i32_e32 vcc, v2, v18
	v_cndmask_b32_e32 v2, v17, v2, vcc
	v_lshlrev_b32_e32 v22, 2, v2
	v_xor_b32_e32 v2, 1, v17
	v_cmp_lt_i32_e32 vcc, v2, v18
	v_mul_u32_u24_e32 v9, 48, v1
	v_cndmask_b32_e32 v2, v17, v2, vcc
	v_cmp_eq_u32_e32 vcc, 0, v1
	v_lshlrev_b32_e32 v1, 5, v0
	v_lshlrev_b32_e32 v4, 2, v3
	v_and_b32_e32 v1, 0x80, v1
	v_add_co_u32_e64 v26, s[4:5], v5, v1
	v_lshl_or_b32 v1, v20, 5, v4
	v_lshlrev_b32_e32 v25, 2, v2
	v_addc_co_u32_e64 v27, s[4:5], 0, v6, s[4:5]
	v_lshl_or_b32 v28, v20, 3, v3
	v_add_u32_e32 v29, 0x190, v1
	ds_read_b128 v[1:4], v9
	ds_read_b128 v[5:8], v9 offset:16
	ds_read_b128 v[9:12], v9 offset:32
	s_sub_i32 s15, 1, s33
	s_lshl_b64 s[4:5], s[22:23], 2
	s_add_u32 s4, s20, s4
	v_and_b32_e32 v13, 60, v16
	s_addc_u32 s5, s21, s5
	v_mov_b32_e32 v14, s5
	v_add_co_u32_e64 v13, s[4:5], s4, v13
	s_mov_b32 s17, s13
	v_cmp_neq_f32_e64 s[2:3], s26, 0
	v_addc_co_u32_e64 v14, s[4:5], 0, v14, s[4:5]
	v_mov_b32_e32 v24, 0xff7fffff
	s_mov_b64 s[28:29], 0
	v_mov_b32_e32 v30, v20
	s_branch .LBB12_9
.LBB12_8:                               ;   in Loop: Header=BB12_9 Depth=1
	s_or_b64 exec, exec, s[30:31]
	v_add_u32_e32 v30, 2, v30
	v_cmp_le_i32_e64 s[4:5], s12, v30
	s_or_b64 s[28:29], s[4:5], s[28:29]
	v_add_co_u32_e64 v13, s[4:5], 8, v13
	v_add_u32_e32 v28, 16, v28
	v_add_u32_e32 v29, 64, v29
	v_addc_co_u32_e64 v14, s[4:5], 0, v14, s[4:5]
	s_andn2_b64 exec, exec, s[28:29]
	s_cbranch_execz .LBB12_11
.LBB12_9:                               ; =>This Inner Loop Header: Depth=1
	global_load_dword v31, v[13:14], off
	s_waitcnt vmcnt(0) lgkmcnt(0)
	v_mad_i64_i32 v[31:32], s[4:5], v31, s17, 0
	v_lshlrev_b64 v[31:32], 2, v[31:32]
	v_add_co_u32_e64 v31, s[4:5], v26, v31
	v_addc_co_u32_e64 v32, s[4:5], v27, v32, s[4:5]
	global_load_dword v33, v[31:32], off offset:256
	global_load_dword v34, v[31:32], off offset:512
	;; [unrolled: 1-line block ×7, first 2 shown]
	global_load_dword v40, v[31:32], off
	global_load_dword v41, v[31:32], off offset:2048
	global_load_dword v42, v[31:32], off offset:2304
	;; [unrolled: 1-line block ×3, first 2 shown]
	s_nop 0
	global_load_dword v31, v[31:32], off offset:2816
	s_waitcnt vmcnt(11) lgkmcnt(2)
	v_mul_f32_e32 v32, v2, v33
	s_waitcnt vmcnt(4)
	v_fmac_f32_e32 v32, v1, v40
	v_fmac_f32_e32 v32, v3, v34
	;; [unrolled: 1-line block ×3, first 2 shown]
	s_waitcnt lgkmcnt(1)
	v_fmac_f32_e32 v32, v5, v36
	v_fmac_f32_e32 v32, v6, v37
	;; [unrolled: 1-line block ×4, first 2 shown]
	s_waitcnt vmcnt(3) lgkmcnt(0)
	v_fmac_f32_e32 v32, v9, v41
	s_waitcnt vmcnt(2)
	v_fmac_f32_e32 v32, v10, v42
	s_waitcnt vmcnt(1)
	;; [unrolled: 2-line block ×3, first 2 shown]
	v_fmac_f32_e32 v32, v12, v31
	ds_bpermute_b32 v31, v21, v32
	s_waitcnt lgkmcnt(0)
	v_add_f32_e32 v31, v32, v31
	ds_bpermute_b32 v32, v22, v31
	s_waitcnt lgkmcnt(0)
	v_add_f32_e32 v31, v31, v32
	ds_bpermute_b32 v32, v25, v31
	s_and_saveexec_b64 s[30:31], vcc
	s_cbranch_execz .LBB12_8
; %bb.10:                               ;   in Loop: Header=BB12_9 Depth=1
	v_add_u32_e32 v33, s15, v28
	v_cvt_f32_i32_e32 v33, v33
	s_waitcnt lgkmcnt(0)
	v_add_f32_e32 v31, v31, v32
	v_cmp_gt_i32_e64 s[4:5], s33, v28
	v_max_f32_e32 v32, v24, v24
	v_mul_f32_e32 v33, s26, v33
	v_cndmask_b32_e64 v33, 0, v33, s[2:3]
	v_fmac_f32_e32 v33, s27, v31
	v_cndmask_b32_e64 v31, 0, v33, s[4:5]
	ds_write_b32 v29, v31
	v_max_f32_e32 v31, v32, v33
	v_cndmask_b32_e64 v24, v24, v31, s[4:5]
	s_branch .LBB12_8
.LBB12_11:
	s_or_b64 exec, exec, s[28:29]
.LBB12_12:
	s_or_b64 exec, exec, s[6:7]
	v_xor_b32_e32 v1, 32, v17
	v_cmp_lt_i32_e32 vcc, v1, v18
	v_cndmask_b32_e32 v1, v17, v1, vcc
	v_lshlrev_b32_e32 v2, 2, v1
	ds_bpermute_b32 v1, v2, v24
	v_xor_b32_e32 v4, 16, v17
	v_max_f32_e32 v3, v24, v24
	v_cmp_lt_i32_e32 vcc, v4, v18
	v_xor_b32_e32 v5, 8, v17
	s_waitcnt lgkmcnt(0)
	v_max_f32_e32 v1, v1, v1
	v_max_f32_e32 v1, v3, v1
	v_cndmask_b32_e32 v3, v17, v4, vcc
	v_lshlrev_b32_e32 v4, 2, v3
	ds_bpermute_b32 v3, v4, v1
	v_cmp_lt_i32_e32 vcc, v5, v18
	v_and_b32_e32 v21, 63, v0
	s_waitcnt lgkmcnt(0)
	v_max_f32_e32 v3, v3, v3
	v_max_f32_e32 v3, v1, v3
	v_cndmask_b32_e32 v1, v17, v5, vcc
	v_lshlrev_b32_e32 v5, 2, v1
	ds_bpermute_b32 v6, v5, v3
	v_cmp_eq_u32_e32 vcc, 0, v21
	v_lshlrev_b32_e32 v1, 2, v20
	s_and_saveexec_b64 s[2:3], vcc
	s_cbranch_execz .LBB12_14
; %bb.13:
	s_waitcnt lgkmcnt(0)
	v_max_f32_e32 v6, v6, v6
	v_max_f32_e32 v3, v3, v3
	;; [unrolled: 1-line block ×3, first 2 shown]
	ds_write_b32 v1, v3 offset:384
.LBB12_14:
	s_or_b64 exec, exec, s[2:3]
	v_cmp_gt_u32_e64 s[2:3], 2, v21
	s_waitcnt lgkmcnt(0)
	v_mov_b32_e32 v6, 0xff7fffff
	v_lshlrev_b32_e32 v3, 2, v21
	s_barrier
	s_and_saveexec_b64 s[4:5], s[2:3]
; %bb.15:
	ds_read_b32 v6, v3 offset:384
; %bb.16:
	s_or_b64 exec, exec, s[4:5]
	v_xor_b32_e32 v7, 1, v17
	v_cmp_lt_i32_e64 s[4:5], v7, v18
	v_cndmask_b32_e64 v7, v17, v7, s[4:5]
	v_lshlrev_b32_e32 v22, 2, v7
	s_waitcnt lgkmcnt(0)
	ds_bpermute_b32 v7, v22, v6
	v_max_f32_e32 v6, v6, v6
	s_lshl_b32 s4, s12, 3
	s_min_i32 s15, s4, s33
	v_cmp_gt_i32_e64 s[4:5], s15, v0
	s_waitcnt lgkmcnt(0)
	v_max_f32_e32 v7, v7, v7
	v_max_f32_e32 v6, v6, v7
	v_lshlrev_b32_e32 v7, 2, v23
	ds_bpermute_b32 v7, v7, v6
	v_mov_b32_e32 v6, 0
	s_and_saveexec_b64 s[26:27], s[4:5]
	s_cbranch_execz .LBB12_20
; %bb.17:
	v_mov_b32_e32 v6, 0x190
	v_lshl_add_u32 v8, v0, 2, v6
	v_mov_b32_e32 v6, 0
	s_mov_b64 s[28:29], 0
	v_mov_b32_e32 v9, v0
.LBB12_18:                              ; =>This Inner Loop Header: Depth=1
	ds_read_b32 v10, v8
	v_add_u32_e32 v9, 0x80, v9
	v_cmp_le_i32_e64 s[6:7], s15, v9
	s_or_b64 s[28:29], s[6:7], s[28:29]
	s_waitcnt lgkmcnt(0)
	v_sub_f32_e32 v10, v10, v7
	v_mul_f32_e32 v10, 0x3fb8aa3b, v10
	v_exp_f32_e32 v10, v10
	ds_write_b32 v8, v10
	v_add_f32_e32 v6, v6, v10
	v_add_u32_e32 v8, 0x200, v8
	s_andn2_b64 exec, exec, s[28:29]
	s_cbranch_execnz .LBB12_18
; %bb.19:
	s_or_b64 exec, exec, s[28:29]
.LBB12_20:
	s_or_b64 exec, exec, s[26:27]
	ds_bpermute_b32 v2, v2, v6
	s_waitcnt lgkmcnt(0)
	v_add_f32_e32 v2, v6, v2
	ds_bpermute_b32 v4, v4, v2
	s_waitcnt lgkmcnt(0)
	v_add_f32_e32 v2, v2, v4
	ds_bpermute_b32 v4, v5, v2
	v_xor_b32_e32 v5, 4, v17
	v_cmp_lt_i32_e64 s[6:7], v5, v18
	v_cndmask_b32_e64 v5, v17, v5, s[6:7]
	v_lshlrev_b32_e32 v5, 2, v5
	s_waitcnt lgkmcnt(0)
	v_add_f32_e32 v2, v2, v4
	ds_bpermute_b32 v4, v5, v2
	v_xor_b32_e32 v5, 2, v17
	v_cmp_lt_i32_e64 s[6:7], v5, v18
	v_cndmask_b32_e64 v5, v17, v5, s[6:7]
	s_waitcnt lgkmcnt(0)
	v_add_f32_e32 v2, v2, v4
	v_lshlrev_b32_e32 v4, 2, v5
	ds_bpermute_b32 v4, v4, v2
	s_waitcnt lgkmcnt(0)
	v_add_f32_e32 v2, v2, v4
	ds_bpermute_b32 v4, v22, v2
	s_waitcnt lgkmcnt(0)
	v_add_f32_e32 v2, v2, v4
	s_and_saveexec_b64 s[6:7], vcc
; %bb.21:
	ds_write_b32 v1, v2 offset:392
; %bb.22:
	s_or_b64 exec, exec, s[6:7]
	s_waitcnt lgkmcnt(0)
	s_barrier
	s_and_saveexec_b64 s[6:7], s[2:3]
; %bb.23:
	ds_read_b32 v2, v3 offset:392
; %bb.24:
	s_or_b64 exec, exec, s[6:7]
	s_waitcnt lgkmcnt(0)
	ds_bpermute_b32 v1, v22, v2
	v_lshlrev_b32_e32 v3, 2, v17
	s_waitcnt lgkmcnt(0)
	v_add_f32_e32 v1, v2, v1
	v_and_b32_e32 v2, 0xffffff00, v3
	ds_bpermute_b32 v1, v2, v1
	s_and_saveexec_b64 s[2:3], s[4:5]
	s_cbranch_execz .LBB12_27
; %bb.25:
	s_waitcnt lgkmcnt(0)
	v_add_f32_e32 v2, 0x358637bd, v1
	v_div_scale_f32 v1, s[4:5], v2, v2, 1.0
	v_div_scale_f32 v3, vcc, 1.0, v2, 1.0
	s_mov_b64 s[4:5], 0
	v_rcp_f32_e32 v4, v1
	v_fma_f32 v5, -v1, v4, 1.0
	v_fmac_f32_e32 v4, v5, v4
	v_mul_f32_e32 v5, v3, v4
	v_fma_f32 v6, -v1, v5, v3
	v_fmac_f32_e32 v5, v6, v4
	v_fma_f32 v1, -v1, v5, v3
	v_div_fmas_f32 v3, v1, v4, v5
	v_mov_b32_e32 v1, 0x190
	v_lshl_add_u32 v1, v0, 2, v1
	v_div_fixup_f32 v2, v3, v2, 1.0
	v_mov_b32_e32 v3, v0
.LBB12_26:                              ; =>This Inner Loop Header: Depth=1
	ds_read_b32 v4, v1
	v_add_u32_e32 v3, 0x80, v3
	v_cmp_le_i32_e32 vcc, s15, v3
	s_or_b64 s[4:5], vcc, s[4:5]
	s_waitcnt lgkmcnt(0)
	v_mul_f32_e32 v4, v2, v4
	ds_write_b32 v1, v4
	v_add_u32_e32 v1, 0x200, v1
	s_andn2_b64 exec, exec, s[4:5]
	s_cbranch_execnz .LBB12_26
.LBB12_27:
	s_or_b64 exec, exec, s[2:3]
	v_mov_b32_e32 v25, 0
	v_and_b32_e32 v23, 1, v0
	v_mov_b32_e32 v26, 0
	v_mov_b32_e32 v24, 0
	s_waitcnt lgkmcnt(0)
	s_barrier
	s_and_saveexec_b64 s[2:3], s[0:1]
	s_cbranch_execz .LBB12_37
; %bb.28:
	s_ashr_i32 s15, s14, 31
	s_lshl_b64 s[0:1], s[14:15], 2
	v_lshlrev_b32_e32 v2, 4, v0
	s_add_u32 s0, s24, s0
	v_and_b32_e32 v2, 0x3f0, v2
	v_and_b32_e32 v1, 4, v15
	s_addc_u32 s1, s25, s1
	v_add_co_u32_e32 v27, vcc, s0, v2
	v_lshlrev_b32_e32 v2, 3, v20
	s_add_i32 s14, s12, -1
	v_mov_b32_e32 v3, s1
	v_or3_b32 v29, v2, v1, 3
	v_lshlrev_b32_e32 v1, 4, v23
	s_lshl_b64 s[0:1], s[22:23], 2
	v_lshl_or_b32 v1, v20, 5, v1
	s_add_u32 s0, s20, s0
	v_addc_co_u32_e32 v28, vcc, 0, v3, vcc
	v_add_u32_e32 v30, 0x190, v1
	v_and_b32_e32 v1, 60, v16
	s_addc_u32 s1, s21, s1
	v_mov_b32_e32 v2, s1
	v_add_co_u32_e32 v17, vcc, s0, v1
	v_mov_b32_e32 v24, 0
	v_addc_co_u32_e32 v18, vcc, 0, v2, vcc
	s_mov_b64 s[4:5], 0
	v_mov_b32_e32 v26, 0
	v_mov_b32_e32 v25, 0
	s_branch .LBB12_30
.LBB12_29:                              ;   in Loop: Header=BB12_30 Depth=1
	s_or_b64 exec, exec, s[0:1]
	s_waitcnt vmcnt(1) lgkmcnt(0)
	v_mul_f32_e32 v9, v1, v9
	v_mul_f32_e32 v5, v1, v5
	s_waitcnt vmcnt(0)
	v_mul_f32_e32 v1, v1, v13
	v_fmac_f32_e32 v9, v2, v10
	v_fmac_f32_e32 v5, v2, v6
	;; [unrolled: 1-line block ×3, first 2 shown]
	v_add_u32_e32 v20, 2, v20
	v_fmac_f32_e32 v9, v3, v11
	v_fmac_f32_e32 v5, v3, v7
	;; [unrolled: 1-line block ×3, first 2 shown]
	v_cmp_le_i32_e32 vcc, s12, v20
	v_fmac_f32_e32 v9, v4, v12
	v_fmac_f32_e32 v5, v4, v8
	;; [unrolled: 1-line block ×3, first 2 shown]
	s_or_b64 s[4:5], vcc, s[4:5]
	v_add_co_u32_e32 v17, vcc, 8, v17
	v_add_f32_e32 v26, v26, v9
	v_add_f32_e32 v25, v25, v5
	;; [unrolled: 1-line block ×3, first 2 shown]
	v_add_u32_e32 v29, 16, v29
	v_add_u32_e32 v30, 64, v30
	v_addc_co_u32_e32 v18, vcc, 0, v18, vcc
	s_andn2_b64 exec, exec, s[4:5]
	s_cbranch_execz .LBB12_36
.LBB12_30:                              ; =>This Inner Loop Header: Depth=1
	global_load_dword v1, v[17:18], off
	v_add_u32_e32 v31, -3, v29
	v_add_u32_e32 v33, -2, v29
	;; [unrolled: 1-line block ×3, first 2 shown]
	s_waitcnt vmcnt(0)
	v_mad_i64_i32 v[1:2], s[0:1], v1, s13, 0
	v_lshlrev_b64 v[1:2], 2, v[1:2]
	v_add_co_u32_e32 v13, vcc, v27, v1
	v_addc_co_u32_e32 v14, vcc, v28, v2, vcc
	global_load_dwordx4 v[5:8], v[13:14], off
	ds_read_b128 v[1:4], v30
	v_cmp_eq_u32_e32 vcc, s14, v20
	s_and_saveexec_b64 s[6:7], vcc
	s_cbranch_execnz .LBB12_33
; %bb.31:                               ;   in Loop: Header=BB12_30 Depth=1
	s_or_b64 exec, exec, s[6:7]
	global_load_dwordx4 v[9:12], v[13:14], off offset:1024
	s_and_saveexec_b64 s[6:7], vcc
	s_cbranch_execnz .LBB12_34
.LBB12_32:                              ;   in Loop: Header=BB12_30 Depth=1
	s_or_b64 exec, exec, s[6:7]
	global_load_dwordx4 v[13:16], v[13:14], off offset:2048
	s_and_saveexec_b64 s[0:1], vcc
	s_cbranch_execz .LBB12_29
	s_branch .LBB12_35
.LBB12_33:                              ;   in Loop: Header=BB12_30 Depth=1
	v_cmp_gt_i32_e64 s[0:1], s33, v31
	s_waitcnt vmcnt(0)
	v_cndmask_b32_e64 v5, 0, v5, s[0:1]
	v_cmp_gt_i32_e64 s[0:1], s33, v33
	v_cndmask_b32_e64 v6, 0, v6, s[0:1]
	v_cmp_gt_i32_e64 s[0:1], s33, v32
	;; [unrolled: 2-line block ×3, first 2 shown]
	v_cndmask_b32_e64 v8, 0, v8, s[0:1]
	s_or_b64 exec, exec, s[6:7]
	global_load_dwordx4 v[9:12], v[13:14], off offset:1024
	s_and_saveexec_b64 s[6:7], vcc
	s_cbranch_execz .LBB12_32
.LBB12_34:                              ;   in Loop: Header=BB12_30 Depth=1
	v_cmp_gt_i32_e64 s[0:1], s33, v31
	s_waitcnt vmcnt(0)
	v_cndmask_b32_e64 v9, 0, v9, s[0:1]
	v_cmp_gt_i32_e64 s[0:1], s33, v33
	v_cndmask_b32_e64 v10, 0, v10, s[0:1]
	v_cmp_gt_i32_e64 s[0:1], s33, v32
	;; [unrolled: 2-line block ×3, first 2 shown]
	v_cndmask_b32_e64 v12, 0, v12, s[0:1]
	s_or_b64 exec, exec, s[6:7]
	global_load_dwordx4 v[13:16], v[13:14], off offset:2048
	s_and_saveexec_b64 s[0:1], vcc
	s_cbranch_execz .LBB12_29
.LBB12_35:                              ;   in Loop: Header=BB12_30 Depth=1
	v_cmp_gt_i32_e32 vcc, s33, v31
	s_waitcnt vmcnt(0)
	v_cndmask_b32_e32 v13, 0, v13, vcc
	v_cmp_gt_i32_e32 vcc, s33, v33
	v_cndmask_b32_e32 v14, 0, v14, vcc
	v_cmp_gt_i32_e32 vcc, s33, v32
	;; [unrolled: 2-line block ×3, first 2 shown]
	v_cndmask_b32_e32 v16, 0, v16, vcc
	s_branch .LBB12_29
.LBB12_36:
	s_or_b64 exec, exec, s[4:5]
.LBB12_37:
	s_or_b64 exec, exec, s[2:3]
	ds_bpermute_b32 v1, v22, v25
	ds_bpermute_b32 v2, v22, v26
	;; [unrolled: 1-line block ×3, first 2 shown]
	v_and_b32_e32 v4, 0x3c1, v0
	v_cmp_eq_u32_e32 vcc, 64, v4
	s_waitcnt lgkmcnt(2)
	v_add_f32_e32 v1, v25, v1
	s_waitcnt lgkmcnt(1)
	v_add_f32_e32 v2, v26, v2
	;; [unrolled: 2-line block ×3, first 2 shown]
	s_barrier
	s_and_saveexec_b64 s[0:1], vcc
	s_cbranch_execz .LBB12_39
; %bb.38:
	v_mov_b32_e32 v5, 0x190
	v_lshl_add_u32 v5, v21, 1, v5
	ds_write2_b32 v5, v1, v2 offset1:32
	ds_write_b32 v5, v3 offset:256
.LBB12_39:
	s_or_b64 exec, exec, s[0:1]
	v_cmp_gt_u32_e32 vcc, 64, v0
	s_waitcnt lgkmcnt(0)
	s_barrier
	s_and_saveexec_b64 s[0:1], vcc
	s_cbranch_execz .LBB12_45
; %bb.40:
	v_mov_b32_e32 v0, 0x190
	v_cmp_eq_u32_e32 vcc, 0, v23
	v_lshl_add_u32 v0, v19, 2, v0
	s_and_saveexec_b64 s[2:3], vcc
	s_cbranch_execnz .LBB12_48
; %bb.41:
	s_or_b64 exec, exec, s[2:3]
	s_and_saveexec_b64 s[2:3], vcc
	s_cbranch_execnz .LBB12_49
.LBB12_42:
	s_or_b64 exec, exec, s[2:3]
	s_and_saveexec_b64 s[2:3], vcc
	s_cbranch_execz .LBB12_44
.LBB12_43:
	ds_read_b32 v0, v0 offset:256
	s_waitcnt lgkmcnt(0)
	v_add_f32_e32 v3, v3, v0
.LBB12_44:
	s_or_b64 exec, exec, s[2:3]
.LBB12_45:
	s_or_b64 exec, exec, s[0:1]
	v_cmp_eq_u32_e32 vcc, 0, v4
	s_barrier
	s_and_saveexec_b64 s[0:1], vcc
	s_cbranch_execz .LBB12_47
; %bb.46:
	s_mul_i32 s0, s10, s11
	s_mul_i32 s0, s0, s9
	s_mulk_i32 s0, 0x60
	s_ashr_i32 s1, s0, 31
	s_lshl_b64 s[0:1], s[0:1], 2
	s_add_u32 s2, s18, s0
	s_mul_i32 s0, s11, s16
	s_addc_u32 s3, s19, s1
	s_ashr_i32 s1, s0, 31
	s_lshl_b64 s[0:1], s[0:1], 2
	s_add_u32 s2, s2, s0
	s_mul_i32 s0, s8, 0x60
	s_addc_u32 s3, s3, s1
	s_ashr_i32 s1, s0, 31
	s_lshl_b64 s[0:1], s[0:1], 2
	s_add_u32 s0, s2, s0
	s_addc_u32 s1, s3, s1
	v_lshlrev_b32_e32 v0, 2, v19
	global_store_dword v0, v1, s[0:1]
	global_store_dword v0, v2, s[0:1] offset:128
	global_store_dword v0, v3, s[0:1] offset:256
.LBB12_47:
	s_endpgm
.LBB12_48:
	ds_read_b32 v5, v0
	s_waitcnt lgkmcnt(0)
	v_add_f32_e32 v1, v1, v5
	s_or_b64 exec, exec, s[2:3]
	s_and_saveexec_b64 s[2:3], vcc
	s_cbranch_execz .LBB12_42
.LBB12_49:
	ds_read_b32 v5, v0 offset:128
	s_waitcnt lgkmcnt(0)
	v_add_f32_e32 v2, v2, v5
	s_or_b64 exec, exec, s[2:3]
	s_and_saveexec_b64 s[2:3], vcc
	s_cbranch_execnz .LBB12_43
	s_branch .LBB12_44
	.section	.rodata,"a",@progbits
	.p2align	6, 0x0
	.amdhsa_kernel _ZN4vllm25paged_attention_v1_kernelIffLi96ELi8ELi128ELNS_18Fp8KVCacheDataTypeE0ELb0EEEvPT_PKS2_PKT0_S8_ifPKiSA_iPKfiiiSC_SC_iiiii
		.amdhsa_group_segment_fixed_size 400
		.amdhsa_private_segment_fixed_size 0
		.amdhsa_kernarg_size 384
		.amdhsa_user_sgpr_count 6
		.amdhsa_user_sgpr_private_segment_buffer 1
		.amdhsa_user_sgpr_dispatch_ptr 0
		.amdhsa_user_sgpr_queue_ptr 0
		.amdhsa_user_sgpr_kernarg_segment_ptr 1
		.amdhsa_user_sgpr_dispatch_id 0
		.amdhsa_user_sgpr_flat_scratch_init 0
		.amdhsa_user_sgpr_private_segment_size 0
		.amdhsa_uses_dynamic_stack 0
		.amdhsa_system_sgpr_private_segment_wavefront_offset 0
		.amdhsa_system_sgpr_workgroup_id_x 1
		.amdhsa_system_sgpr_workgroup_id_y 1
		.amdhsa_system_sgpr_workgroup_id_z 1
		.amdhsa_system_sgpr_workgroup_info 0
		.amdhsa_system_vgpr_workitem_id 0
		.amdhsa_next_free_vgpr 44
		.amdhsa_next_free_sgpr 34
		.amdhsa_reserve_vcc 1
		.amdhsa_reserve_flat_scratch 0
		.amdhsa_float_round_mode_32 0
		.amdhsa_float_round_mode_16_64 0
		.amdhsa_float_denorm_mode_32 3
		.amdhsa_float_denorm_mode_16_64 3
		.amdhsa_dx10_clamp 1
		.amdhsa_ieee_mode 1
		.amdhsa_fp16_overflow 0
		.amdhsa_exception_fp_ieee_invalid_op 0
		.amdhsa_exception_fp_denorm_src 0
		.amdhsa_exception_fp_ieee_div_zero 0
		.amdhsa_exception_fp_ieee_overflow 0
		.amdhsa_exception_fp_ieee_underflow 0
		.amdhsa_exception_fp_ieee_inexact 0
		.amdhsa_exception_int_div_zero 0
	.end_amdhsa_kernel
	.section	.text._ZN4vllm25paged_attention_v1_kernelIffLi96ELi8ELi128ELNS_18Fp8KVCacheDataTypeE0ELb0EEEvPT_PKS2_PKT0_S8_ifPKiSA_iPKfiiiSC_SC_iiiii,"axG",@progbits,_ZN4vllm25paged_attention_v1_kernelIffLi96ELi8ELi128ELNS_18Fp8KVCacheDataTypeE0ELb0EEEvPT_PKS2_PKT0_S8_ifPKiSA_iPKfiiiSC_SC_iiiii,comdat
.Lfunc_end12:
	.size	_ZN4vllm25paged_attention_v1_kernelIffLi96ELi8ELi128ELNS_18Fp8KVCacheDataTypeE0ELb0EEEvPT_PKS2_PKT0_S8_ifPKiSA_iPKfiiiSC_SC_iiiii, .Lfunc_end12-_ZN4vllm25paged_attention_v1_kernelIffLi96ELi8ELi128ELNS_18Fp8KVCacheDataTypeE0ELb0EEEvPT_PKS2_PKT0_S8_ifPKiSA_iPKfiiiSC_SC_iiiii
                                        ; -- End function
	.set _ZN4vllm25paged_attention_v1_kernelIffLi96ELi8ELi128ELNS_18Fp8KVCacheDataTypeE0ELb0EEEvPT_PKS2_PKT0_S8_ifPKiSA_iPKfiiiSC_SC_iiiii.num_vgpr, 44
	.set _ZN4vllm25paged_attention_v1_kernelIffLi96ELi8ELi128ELNS_18Fp8KVCacheDataTypeE0ELb0EEEvPT_PKS2_PKT0_S8_ifPKiSA_iPKfiiiSC_SC_iiiii.num_agpr, 0
	.set _ZN4vllm25paged_attention_v1_kernelIffLi96ELi8ELi128ELNS_18Fp8KVCacheDataTypeE0ELb0EEEvPT_PKS2_PKT0_S8_ifPKiSA_iPKfiiiSC_SC_iiiii.numbered_sgpr, 34
	.set _ZN4vllm25paged_attention_v1_kernelIffLi96ELi8ELi128ELNS_18Fp8KVCacheDataTypeE0ELb0EEEvPT_PKS2_PKT0_S8_ifPKiSA_iPKfiiiSC_SC_iiiii.num_named_barrier, 0
	.set _ZN4vllm25paged_attention_v1_kernelIffLi96ELi8ELi128ELNS_18Fp8KVCacheDataTypeE0ELb0EEEvPT_PKS2_PKT0_S8_ifPKiSA_iPKfiiiSC_SC_iiiii.private_seg_size, 0
	.set _ZN4vllm25paged_attention_v1_kernelIffLi96ELi8ELi128ELNS_18Fp8KVCacheDataTypeE0ELb0EEEvPT_PKS2_PKT0_S8_ifPKiSA_iPKfiiiSC_SC_iiiii.uses_vcc, 1
	.set _ZN4vllm25paged_attention_v1_kernelIffLi96ELi8ELi128ELNS_18Fp8KVCacheDataTypeE0ELb0EEEvPT_PKS2_PKT0_S8_ifPKiSA_iPKfiiiSC_SC_iiiii.uses_flat_scratch, 0
	.set _ZN4vllm25paged_attention_v1_kernelIffLi96ELi8ELi128ELNS_18Fp8KVCacheDataTypeE0ELb0EEEvPT_PKS2_PKT0_S8_ifPKiSA_iPKfiiiSC_SC_iiiii.has_dyn_sized_stack, 0
	.set _ZN4vllm25paged_attention_v1_kernelIffLi96ELi8ELi128ELNS_18Fp8KVCacheDataTypeE0ELb0EEEvPT_PKS2_PKT0_S8_ifPKiSA_iPKfiiiSC_SC_iiiii.has_recursion, 0
	.set _ZN4vllm25paged_attention_v1_kernelIffLi96ELi8ELi128ELNS_18Fp8KVCacheDataTypeE0ELb0EEEvPT_PKS2_PKT0_S8_ifPKiSA_iPKfiiiSC_SC_iiiii.has_indirect_call, 0
	.section	.AMDGPU.csdata,"",@progbits
; Kernel info:
; codeLenInByte = 3100
; TotalNumSgprs: 38
; NumVgprs: 44
; ScratchSize: 0
; MemoryBound: 0
; FloatMode: 240
; IeeeMode: 1
; LDSByteSize: 400 bytes/workgroup (compile time only)
; SGPRBlocks: 4
; VGPRBlocks: 10
; NumSGPRsForWavesPerEU: 38
; NumVGPRsForWavesPerEU: 44
; Occupancy: 5
; WaveLimiterHint : 1
; COMPUTE_PGM_RSRC2:SCRATCH_EN: 0
; COMPUTE_PGM_RSRC2:USER_SGPR: 6
; COMPUTE_PGM_RSRC2:TRAP_HANDLER: 0
; COMPUTE_PGM_RSRC2:TGID_X_EN: 1
; COMPUTE_PGM_RSRC2:TGID_Y_EN: 1
; COMPUTE_PGM_RSRC2:TGID_Z_EN: 1
; COMPUTE_PGM_RSRC2:TIDIG_COMP_CNT: 0
	.section	.text._ZN4vllm25paged_attention_v1_kernelIffLi112ELi8ELi128ELNS_18Fp8KVCacheDataTypeE0ELb0EEEvPT_PKS2_PKT0_S8_ifPKiSA_iPKfiiiSC_SC_iiiii,"axG",@progbits,_ZN4vllm25paged_attention_v1_kernelIffLi112ELi8ELi128ELNS_18Fp8KVCacheDataTypeE0ELb0EEEvPT_PKS2_PKT0_S8_ifPKiSA_iPKfiiiSC_SC_iiiii,comdat
	.protected	_ZN4vllm25paged_attention_v1_kernelIffLi112ELi8ELi128ELNS_18Fp8KVCacheDataTypeE0ELb0EEEvPT_PKS2_PKT0_S8_ifPKiSA_iPKfiiiSC_SC_iiiii ; -- Begin function _ZN4vllm25paged_attention_v1_kernelIffLi112ELi8ELi128ELNS_18Fp8KVCacheDataTypeE0ELb0EEEvPT_PKS2_PKT0_S8_ifPKiSA_iPKfiiiSC_SC_iiiii
	.globl	_ZN4vllm25paged_attention_v1_kernelIffLi112ELi8ELi128ELNS_18Fp8KVCacheDataTypeE0ELb0EEEvPT_PKS2_PKT0_S8_ifPKiSA_iPKfiiiSC_SC_iiiii
	.p2align	8
	.type	_ZN4vllm25paged_attention_v1_kernelIffLi112ELi8ELi128ELNS_18Fp8KVCacheDataTypeE0ELb0EEEvPT_PKS2_PKT0_S8_ifPKiSA_iPKfiiiSC_SC_iiiii,@function
_ZN4vllm25paged_attention_v1_kernelIffLi112ELi8ELi128ELNS_18Fp8KVCacheDataTypeE0ELb0EEEvPT_PKS2_PKT0_S8_ifPKiSA_iPKfiiiSC_SC_iiiii: ; @_ZN4vllm25paged_attention_v1_kernelIffLi112ELi8ELi128ELNS_18Fp8KVCacheDataTypeE0ELb0EEEvPT_PKS2_PKT0_S8_ifPKiSA_iPKfiiiSC_SC_iiiii
; %bb.0:
	s_load_dword s9, s[4:5], 0x80
	s_load_dwordx2 s[0:1], s[4:5], 0x30
	s_load_dwordx2 s[26:27], s[4:5], 0x20
	s_mov_b32 s10, s7
	s_ashr_i32 s11, s7, 31
	s_lshl_b64 s[2:3], s[10:11], 2
	s_waitcnt lgkmcnt(0)
	s_add_u32 s0, s0, s2
	s_addc_u32 s1, s1, s3
	s_abs_i32 s2, s26
	v_cvt_f32_u32_e32 v1, s2
	s_sub_i32 s11, 0, s2
	s_abs_i32 s7, s9
	s_xor_b32 s3, s9, s26
	v_rcp_iflag_f32_e32 v1, v1
	s_ashr_i32 s3, s3, 31
	s_mov_b32 s26, 0
	v_mul_f32_e32 v1, 0x4f7ffffe, v1
	v_cvt_u32_f32_e32 v1, v1
	v_readfirstlane_b32 s12, v1
	s_mul_i32 s11, s11, s12
	s_mul_hi_u32 s11, s12, s11
	s_add_i32 s12, s12, s11
	s_mul_hi_u32 s11, s7, s12
	s_mul_i32 s12, s11, s2
	s_sub_i32 s7, s7, s12
	s_add_i32 s12, s11, 1
	s_sub_i32 s13, s7, s2
	s_cmp_ge_u32 s7, s2
	s_cselect_b32 s11, s12, s11
	s_cselect_b32 s7, s13, s7
	s_add_i32 s12, s11, 1
	s_cmp_ge_u32 s7, s2
	s_cselect_b32 s2, s12, s11
	s_xor_b32 s2, s2, s3
	s_sub_i32 s12, s2, s3
	s_abs_i32 s11, s12
	v_cvt_f32_u32_e32 v1, s11
	s_load_dwordx2 s[2:3], s[4:5], 0x40
	s_sub_i32 s7, 0, s11
	s_abs_i32 s18, s6
	v_rcp_iflag_f32_e32 v1, v1
	v_mul_f32_e32 v1, 0x4f7ffffe, v1
	v_cvt_u32_f32_e32 v1, v1
	v_readfirstlane_b32 s13, v1
	s_mul_i32 s7, s7, s13
	s_mul_hi_u32 s7, s13, s7
	s_add_i32 s13, s13, s7
	s_waitcnt lgkmcnt(0)
	s_cmp_eq_u64 s[2:3], 0
	s_mul_hi_u32 s19, s18, s13
	s_cbranch_scc1 .LBB13_2
; %bb.1:
	s_ashr_i32 s7, s6, 31
	s_lshl_b64 s[14:15], s[6:7], 2
	s_add_u32 s2, s2, s14
	s_addc_u32 s3, s3, s15
	s_load_dword s26, s[2:3], 0x0
.LBB13_2:
	s_load_dword s33, s[0:1], 0x0
	s_ashr_i32 s3, s12, 31
	s_load_dwordx4 s[12:15], s[4:5], 0x48
	s_movk_i32 s0, 0x70
	s_ashr_i32 s2, s6, 31
	v_and_b32_e32 v1, 7, v0
	s_mul_i32 s16, s6, 0x70
	v_cmp_gt_u32_e32 vcc, s0, v0
	v_lshlrev_b32_e32 v17, 2, v0
	v_lshrrev_b32_e32 v23, 1, v0
	s_and_saveexec_b64 s[0:1], vcc
	s_cbranch_execz .LBB13_4
; %bb.3:
	s_load_dwordx2 s[6:7], s[4:5], 0x8
	s_waitcnt lgkmcnt(0)
	s_mul_i32 s20, s12, s10
	s_ashr_i32 s21, s20, 31
	s_lshl_b64 s[20:21], s[20:21], 2
	v_and_b32_e32 v3, 0x1fc, v23
	s_add_u32 s12, s6, s20
	s_addc_u32 s15, s7, s21
	s_ashr_i32 s17, s16, 31
	s_lshl_b64 s[6:7], s[16:17], 2
	s_add_u32 s6, s12, s6
	s_addc_u32 s7, s15, s7
	global_load_dword v2, v17, s[6:7]
	v_mad_u32_u24 v3, v1, 56, v3
	s_waitcnt vmcnt(0)
	ds_write_b32 v3, v2
.LBB13_4:
	s_or_b64 exec, exec, s[0:1]
	s_waitcnt lgkmcnt(0)
	s_add_i32 s1, s33, 7
	s_ashr_i32 s6, s1, 31
	s_lshr_b32 s6, s6, 29
	s_add_i32 s1, s1, s6
	s_ashr_i32 s17, s1, 3
	s_xor_b32 s1, s2, s3
	s_mul_i32 s2, s19, s11
	s_sub_i32 s2, s18, s2
	s_add_i32 s3, s19, 1
	s_sub_i32 s6, s2, s11
	s_load_dwordx2 s[20:21], s[4:5], 0x28
	s_load_dword s0, s[4:5], 0x38
	s_cmp_ge_u32 s2, s11
	s_cselect_b32 s3, s3, s19
	s_cselect_b32 s2, s6, s2
	s_add_i32 s6, s3, 1
	s_cmp_ge_u32 s2, s11
	s_cselect_b32 s2, s6, s3
	v_lshrrev_b32_e32 v24, 6, v0
	s_xor_b32 s2, s2, s1
	s_waitcnt lgkmcnt(0)
	s_mul_i32 s22, s0, s10
	s_sub_i32 s12, s2, s1
	s_ashr_i32 s23, s22, 31
	v_cmp_le_i32_e64 s[0:1], s17, v24
	v_mbcnt_lo_u32_b32 v2, -1, 0
	s_barrier
                                        ; implicit-def: $vgpr19
                                        ; implicit-def: $vgpr21
                                        ; implicit-def: $vgpr20
	s_and_saveexec_b64 s[2:3], s[0:1]
	s_xor_b64 s[2:3], exec, s[2:3]
; %bb.5:
	v_mbcnt_hi_u32_b32 v19, -1, v2
	v_and_b32_e32 v21, 64, v19
	v_add_u32_e32 v20, 64, v21
                                        ; implicit-def: $vgpr1
                                        ; implicit-def: $vgpr2
; %bb.6:
	s_or_saveexec_b64 s[6:7], s[2:3]
	s_load_dwordx2 s[18:19], s[4:5], 0x0
	s_load_dwordx2 s[24:25], s[4:5], 0x18
	s_load_dword s11, s[4:5], 0x88
	v_mov_b32_e32 v27, 0xff7fffff
	s_mul_i32 s14, s12, s14
	v_lshrrev_b32_e32 v18, 4, v0
	s_xor_b64 exec, exec, s[6:7]
	s_cbranch_execz .LBB13_12
; %bb.7:
	s_load_dwordx2 s[2:3], s[4:5], 0x10
	s_ashr_i32 s15, s14, 31
	s_lshl_b64 s[4:5], s[14:15], 2
	v_bfe_u32 v3, v0, 3, 3
	v_lshlrev_b32_e32 v5, 4, v3
	s_waitcnt lgkmcnt(0)
	s_add_u32 s2, s2, s4
	s_addc_u32 s3, s3, s5
	v_mov_b32_e32 v6, s3
	v_add_co_u32_e32 v5, vcc, s2, v5
	v_and_b32_e32 v7, 3, v0
	v_addc_co_u32_e32 v6, vcc, 0, v6, vcc
	v_lshlrev_b32_e32 v7, 2, v7
	v_mbcnt_hi_u32_b32 v19, -1, v2
	v_add_co_u32_e32 v5, vcc, v5, v7
	v_and_b32_e32 v21, 64, v19
	v_addc_co_u32_e32 v6, vcc, 0, v6, vcc
	v_add_u32_e32 v20, 64, v21
	v_xor_b32_e32 v2, 4, v19
	v_cmp_lt_i32_e32 vcc, v2, v20
	v_cndmask_b32_e32 v2, v19, v2, vcc
	v_lshlrev_b32_e32 v22, 2, v2
	v_xor_b32_e32 v2, 2, v19
	v_cmp_lt_i32_e32 vcc, v2, v20
	v_cndmask_b32_e32 v2, v19, v2, vcc
	v_lshlrev_b32_e32 v25, 2, v2
	v_xor_b32_e32 v2, 1, v19
	v_cmp_lt_i32_e32 vcc, v2, v20
	v_mul_u32_u24_e32 v9, 56, v1
	v_cndmask_b32_e32 v2, v19, v2, vcc
	v_cmp_eq_u32_e32 vcc, 0, v1
	v_lshlrev_b32_e32 v1, 5, v0
	v_lshlrev_b32_e32 v4, 2, v3
	v_and_b32_e32 v1, 0x80, v1
	v_add_co_u32_e64 v28, s[4:5], v5, v1
	v_lshl_or_b32 v1, v24, 5, v4
	v_lshlrev_b32_e32 v26, 2, v2
	v_addc_co_u32_e64 v29, s[4:5], 0, v6, s[4:5]
	v_lshl_or_b32 v30, v24, 3, v3
	v_add_u32_e32 v31, 0x1d0, v1
	ds_read_b64 v[13:14], v9 offset:48
	ds_read2_b64 v[1:4], v9 offset0:4 offset1:5
	ds_read2_b64 v[5:8], v9 offset1:1
	ds_read2_b64 v[9:12], v9 offset0:2 offset1:3
	s_sub_i32 s15, 1, s33
	s_lshl_b64 s[4:5], s[22:23], 2
	s_add_u32 s4, s20, s4
	v_and_b32_e32 v15, 60, v18
	s_addc_u32 s5, s21, s5
	v_mov_b32_e32 v16, s5
	v_add_co_u32_e64 v15, s[4:5], s4, v15
	s_mov_b32 s12, s13
	v_cmp_neq_f32_e64 s[2:3], s26, 0
	v_addc_co_u32_e64 v16, s[4:5], 0, v16, s[4:5]
	v_mov_b32_e32 v27, 0xff7fffff
	s_mov_b64 s[28:29], 0
	v_mov_b32_e32 v32, v24
	s_branch .LBB13_9
.LBB13_8:                               ;   in Loop: Header=BB13_9 Depth=1
	s_or_b64 exec, exec, s[30:31]
	v_add_u32_e32 v32, 2, v32
	v_cmp_le_i32_e64 s[4:5], s17, v32
	s_or_b64 s[28:29], s[4:5], s[28:29]
	v_add_co_u32_e64 v15, s[4:5], 8, v15
	v_add_u32_e32 v30, 16, v30
	v_add_u32_e32 v31, 64, v31
	v_addc_co_u32_e64 v16, s[4:5], 0, v16, s[4:5]
	s_andn2_b64 exec, exec, s[28:29]
	s_cbranch_execz .LBB13_11
.LBB13_9:                               ; =>This Inner Loop Header: Depth=1
	global_load_dword v33, v[15:16], off
	s_waitcnt vmcnt(0) lgkmcnt(0)
	v_mad_i64_i32 v[33:34], s[4:5], v33, s12, 0
	v_lshlrev_b64 v[33:34], 2, v[33:34]
	v_add_co_u32_e64 v33, s[4:5], v28, v33
	v_addc_co_u32_e64 v34, s[4:5], v29, v34, s[4:5]
	global_load_dword v35, v[33:34], off offset:256
	global_load_dword v36, v[33:34], off offset:512
	;; [unrolled: 1-line block ×7, first 2 shown]
	global_load_dword v42, v[33:34], off
	global_load_dword v43, v[33:34], off offset:2048
	global_load_dword v44, v[33:34], off offset:2304
	;; [unrolled: 1-line block ×5, first 2 shown]
	s_nop 0
	global_load_dword v33, v[33:34], off offset:3328
	s_waitcnt vmcnt(13) lgkmcnt(1)
	v_mul_f32_e32 v34, v6, v35
	s_waitcnt vmcnt(6)
	v_fmac_f32_e32 v34, v5, v42
	v_fmac_f32_e32 v34, v7, v36
	;; [unrolled: 1-line block ×3, first 2 shown]
	s_waitcnt lgkmcnt(0)
	v_fmac_f32_e32 v34, v9, v38
	v_fmac_f32_e32 v34, v10, v39
	v_fmac_f32_e32 v34, v11, v40
	v_fmac_f32_e32 v34, v12, v41
	s_waitcnt vmcnt(5)
	v_fmac_f32_e32 v34, v1, v43
	s_waitcnt vmcnt(4)
	v_fmac_f32_e32 v34, v2, v44
	;; [unrolled: 2-line block ×6, first 2 shown]
	ds_bpermute_b32 v33, v22, v34
	s_waitcnt lgkmcnt(0)
	v_add_f32_e32 v33, v34, v33
	ds_bpermute_b32 v34, v25, v33
	s_waitcnt lgkmcnt(0)
	v_add_f32_e32 v33, v33, v34
	ds_bpermute_b32 v34, v26, v33
	s_and_saveexec_b64 s[30:31], vcc
	s_cbranch_execz .LBB13_8
; %bb.10:                               ;   in Loop: Header=BB13_9 Depth=1
	v_add_u32_e32 v35, s15, v30
	v_cvt_f32_i32_e32 v35, v35
	s_waitcnt lgkmcnt(0)
	v_add_f32_e32 v33, v33, v34
	v_cmp_gt_i32_e64 s[4:5], s33, v30
	v_max_f32_e32 v34, v27, v27
	v_mul_f32_e32 v35, s26, v35
	v_cndmask_b32_e64 v35, 0, v35, s[2:3]
	v_fmac_f32_e32 v35, s27, v33
	v_cndmask_b32_e64 v33, 0, v35, s[4:5]
	ds_write_b32 v31, v33
	v_max_f32_e32 v33, v34, v35
	v_cndmask_b32_e64 v27, v27, v33, s[4:5]
	s_branch .LBB13_8
.LBB13_11:
	s_or_b64 exec, exec, s[28:29]
.LBB13_12:
	s_or_b64 exec, exec, s[6:7]
	v_xor_b32_e32 v1, 32, v19
	v_cmp_lt_i32_e32 vcc, v1, v20
	v_cndmask_b32_e32 v1, v19, v1, vcc
	v_lshlrev_b32_e32 v3, 2, v1
	ds_bpermute_b32 v1, v3, v27
	v_xor_b32_e32 v4, 16, v19
	v_max_f32_e32 v2, v27, v27
	v_cmp_lt_i32_e32 vcc, v4, v20
	v_xor_b32_e32 v6, 8, v19
	s_waitcnt lgkmcnt(0)
	v_max_f32_e32 v1, v1, v1
	v_max_f32_e32 v1, v2, v1
	v_cndmask_b32_e32 v2, v19, v4, vcc
	v_lshlrev_b32_e32 v5, 2, v2
	ds_bpermute_b32 v2, v5, v1
	v_cmp_lt_i32_e32 vcc, v6, v20
	s_waitcnt lgkmcnt(0)
	v_max_f32_e32 v2, v2, v2
	v_max_f32_e32 v4, v1, v2
	v_cndmask_b32_e32 v1, v19, v6, vcc
	v_lshlrev_b32_e32 v6, 2, v1
	ds_bpermute_b32 v7, v6, v4
	v_and_b32_e32 v1, 63, v0
	v_cmp_eq_u32_e32 vcc, 0, v1
	v_lshlrev_b32_e32 v2, 2, v24
	s_and_saveexec_b64 s[2:3], vcc
	s_cbranch_execz .LBB13_14
; %bb.13:
	s_waitcnt lgkmcnt(0)
	v_max_f32_e32 v7, v7, v7
	v_max_f32_e32 v4, v4, v4
	;; [unrolled: 1-line block ×3, first 2 shown]
	ds_write_b32 v2, v4 offset:448
.LBB13_14:
	s_or_b64 exec, exec, s[2:3]
	v_cmp_gt_u32_e64 s[2:3], 2, v1
	s_waitcnt lgkmcnt(0)
	v_mov_b32_e32 v7, 0xff7fffff
	v_lshlrev_b32_e32 v4, 2, v1
	s_barrier
	s_and_saveexec_b64 s[4:5], s[2:3]
; %bb.15:
	ds_read_b32 v7, v4 offset:448
; %bb.16:
	s_or_b64 exec, exec, s[4:5]
	v_xor_b32_e32 v8, 1, v19
	v_cmp_lt_i32_e64 s[4:5], v8, v20
	v_cndmask_b32_e64 v8, v19, v8, s[4:5]
	v_lshlrev_b32_e32 v25, 2, v8
	s_waitcnt lgkmcnt(0)
	ds_bpermute_b32 v8, v25, v7
	v_max_f32_e32 v7, v7, v7
	s_lshl_b32 s4, s17, 3
	s_min_i32 s12, s4, s33
	v_cmp_gt_i32_e64 s[4:5], s12, v0
	s_waitcnt lgkmcnt(0)
	v_max_f32_e32 v8, v8, v8
	v_max_f32_e32 v7, v7, v8
	v_lshlrev_b32_e32 v8, 2, v21
	ds_bpermute_b32 v8, v8, v7
	v_mov_b32_e32 v7, 0
	s_and_saveexec_b64 s[26:27], s[4:5]
	s_cbranch_execz .LBB13_20
; %bb.17:
	v_mov_b32_e32 v7, 0x1d0
	v_lshl_add_u32 v9, v0, 2, v7
	v_mov_b32_e32 v7, 0
	s_mov_b64 s[28:29], 0
	v_mov_b32_e32 v10, v0
.LBB13_18:                              ; =>This Inner Loop Header: Depth=1
	ds_read_b32 v11, v9
	v_add_u32_e32 v10, 0x80, v10
	v_cmp_le_i32_e64 s[6:7], s12, v10
	s_or_b64 s[28:29], s[6:7], s[28:29]
	s_waitcnt lgkmcnt(0)
	v_sub_f32_e32 v11, v11, v8
	v_mul_f32_e32 v11, 0x3fb8aa3b, v11
	v_exp_f32_e32 v11, v11
	ds_write_b32 v9, v11
	v_add_f32_e32 v7, v7, v11
	v_add_u32_e32 v9, 0x200, v9
	s_andn2_b64 exec, exec, s[28:29]
	s_cbranch_execnz .LBB13_18
; %bb.19:
	s_or_b64 exec, exec, s[28:29]
.LBB13_20:
	s_or_b64 exec, exec, s[26:27]
	ds_bpermute_b32 v3, v3, v7
	s_waitcnt lgkmcnt(0)
	v_add_f32_e32 v3, v7, v3
	ds_bpermute_b32 v5, v5, v3
	s_waitcnt lgkmcnt(0)
	v_add_f32_e32 v3, v3, v5
	ds_bpermute_b32 v5, v6, v3
	v_xor_b32_e32 v6, 4, v19
	v_cmp_lt_i32_e64 s[6:7], v6, v20
	v_cndmask_b32_e64 v6, v19, v6, s[6:7]
	v_lshlrev_b32_e32 v6, 2, v6
	s_waitcnt lgkmcnt(0)
	v_add_f32_e32 v3, v3, v5
	ds_bpermute_b32 v5, v6, v3
	v_xor_b32_e32 v6, 2, v19
	v_cmp_lt_i32_e64 s[6:7], v6, v20
	v_cndmask_b32_e64 v6, v19, v6, s[6:7]
	s_waitcnt lgkmcnt(0)
	v_add_f32_e32 v3, v3, v5
	v_lshlrev_b32_e32 v5, 2, v6
	ds_bpermute_b32 v5, v5, v3
	s_waitcnt lgkmcnt(0)
	v_add_f32_e32 v3, v3, v5
	ds_bpermute_b32 v5, v25, v3
	s_waitcnt lgkmcnt(0)
	v_add_f32_e32 v3, v3, v5
	s_and_saveexec_b64 s[6:7], vcc
; %bb.21:
	ds_write_b32 v2, v3 offset:456
; %bb.22:
	s_or_b64 exec, exec, s[6:7]
	s_waitcnt lgkmcnt(0)
	s_barrier
	s_and_saveexec_b64 s[6:7], s[2:3]
; %bb.23:
	ds_read_b32 v3, v4 offset:456
; %bb.24:
	s_or_b64 exec, exec, s[6:7]
	s_waitcnt lgkmcnt(0)
	ds_bpermute_b32 v2, v25, v3
	v_lshlrev_b32_e32 v4, 2, v19
	s_waitcnt lgkmcnt(0)
	v_add_f32_e32 v2, v3, v2
	v_and_b32_e32 v3, 0xffffff00, v4
	ds_bpermute_b32 v2, v3, v2
	s_and_saveexec_b64 s[2:3], s[4:5]
	s_cbranch_execz .LBB13_27
; %bb.25:
	s_waitcnt lgkmcnt(0)
	v_add_f32_e32 v3, 0x358637bd, v2
	v_div_scale_f32 v2, s[4:5], v3, v3, 1.0
	v_div_scale_f32 v4, vcc, 1.0, v3, 1.0
	s_mov_b64 s[4:5], 0
	v_rcp_f32_e32 v5, v2
	v_fma_f32 v6, -v2, v5, 1.0
	v_fmac_f32_e32 v5, v6, v5
	v_mul_f32_e32 v6, v4, v5
	v_fma_f32 v7, -v2, v6, v4
	v_fmac_f32_e32 v6, v7, v5
	v_fma_f32 v2, -v2, v6, v4
	v_div_fmas_f32 v4, v2, v5, v6
	v_mov_b32_e32 v2, 0x1d0
	v_lshl_add_u32 v2, v0, 2, v2
	v_div_fixup_f32 v3, v4, v3, 1.0
	v_mov_b32_e32 v4, v0
.LBB13_26:                              ; =>This Inner Loop Header: Depth=1
	ds_read_b32 v5, v2
	v_add_u32_e32 v4, 0x80, v4
	v_cmp_le_i32_e32 vcc, s12, v4
	s_or_b64 s[4:5], vcc, s[4:5]
	s_waitcnt lgkmcnt(0)
	v_mul_f32_e32 v5, v3, v5
	ds_write_b32 v2, v5
	v_add_u32_e32 v2, 0x200, v2
	s_andn2_b64 exec, exec, s[4:5]
	s_cbranch_execnz .LBB13_26
.LBB13_27:
	s_or_b64 exec, exec, s[2:3]
	v_lshrrev_b32_e32 v26, 1, v1
	s_waitcnt lgkmcnt(0)
	s_barrier
	s_and_saveexec_b64 s[2:3], s[0:1]
	s_xor_b64 s[0:1], exec, s[2:3]
; %bb.28:
	v_lshrrev_b32_e32 v26, 1, v1
                                        ; implicit-def: $vgpr24
                                        ; implicit-def: $vgpr17
                                        ; implicit-def: $vgpr18
; %bb.29:
	s_or_saveexec_b64 s[4:5], s[0:1]
	v_mov_b32_e32 v29, 0
	v_and_b32_e32 v27, 1, v0
	v_mov_b32_e32 v31, 0
	v_mov_b32_e32 v30, 0
	;; [unrolled: 1-line block ×3, first 2 shown]
	s_xor_b64 exec, exec, s[4:5]
	s_cbranch_execz .LBB13_43
; %bb.30:
	s_ashr_i32 s15, s14, 31
	s_lshl_b64 s[0:1], s[14:15], 2
	v_and_b32_e32 v1, 4, v17
	s_add_u32 s14, s24, s0
	v_or_b32_e32 v3, 0x60, v26
	s_movk_i32 s0, 0x70
	v_lshlrev_b32_e32 v4, 3, v24
	s_addc_u32 s2, s25, s1
	s_add_i32 s15, s17, -1
	v_lshl_or_b32 v2, v26, 3, v1
	v_cmp_gt_u32_e32 vcc, s0, v3
	v_lshl_or_b32 v3, v3, 3, v1
	v_or3_b32 v32, v4, v1, 3
	v_lshlrev_b32_e32 v1, 4, v27
	s_lshl_b64 s[0:1], s[22:23], 2
	v_lshl_or_b32 v1, v24, 5, v1
	s_add_u32 s0, s20, s0
	v_add_u32_e32 v33, 0x1d0, v1
	v_and_b32_e32 v1, 60, v18
	s_addc_u32 s1, s21, s1
	v_mov_b32_e32 v4, s1
	v_add_co_u32_e64 v21, s[0:1], s0, v1
	s_mov_b32 s26, s13
	v_mov_b32_e32 v28, 0
	v_addc_co_u32_e64 v22, s[0:1], 0, v4, s[0:1]
	s_mov_b64 s[6:7], 0
	v_mov_b32_e32 v34, s2
	v_lshlrev_b32_e32 v35, 2, v2
	v_lshlrev_b32_e32 v36, 2, v3
	v_mov_b32_e32 v30, 0
	v_mov_b32_e32 v31, 0
	;; [unrolled: 1-line block ×3, first 2 shown]
	s_branch .LBB13_33
.LBB13_31:                              ;   in Loop: Header=BB13_33 Depth=1
	s_or_b64 exec, exec, s[2:3]
	s_waitcnt vmcnt(0) lgkmcnt(0)
	v_mul_f32_e32 v17, v5, v17
	v_fmac_f32_e32 v17, v6, v18
	v_fmac_f32_e32 v17, v7, v19
	;; [unrolled: 1-line block ×3, first 2 shown]
	v_add_f32_e32 v28, v28, v17
.LBB13_32:                              ;   in Loop: Header=BB13_33 Depth=1
	s_or_b64 exec, exec, s[12:13]
	s_waitcnt vmcnt(0) lgkmcnt(0)
	v_mul_f32_e32 v13, v5, v13
	v_mul_f32_e32 v9, v5, v9
	;; [unrolled: 1-line block ×3, first 2 shown]
	v_fmac_f32_e32 v13, v6, v14
	v_fmac_f32_e32 v9, v6, v10
	;; [unrolled: 1-line block ×3, first 2 shown]
	v_add_u32_e32 v24, 2, v24
	v_fmac_f32_e32 v13, v7, v15
	v_fmac_f32_e32 v9, v7, v11
	;; [unrolled: 1-line block ×3, first 2 shown]
	v_cmp_le_i32_e64 s[0:1], s17, v24
	v_fmac_f32_e32 v13, v8, v16
	v_fmac_f32_e32 v9, v8, v12
	;; [unrolled: 1-line block ×3, first 2 shown]
	s_or_b64 s[6:7], s[0:1], s[6:7]
	v_add_co_u32_e64 v21, s[0:1], 8, v21
	v_add_f32_e32 v30, v30, v13
	v_add_f32_e32 v31, v31, v9
	;; [unrolled: 1-line block ×3, first 2 shown]
	v_add_u32_e32 v32, 16, v32
	v_add_u32_e32 v33, 64, v33
	v_addc_co_u32_e64 v22, s[0:1], 0, v22, s[0:1]
	s_andn2_b64 exec, exec, s[6:7]
	s_cbranch_execz .LBB13_42
.LBB13_33:                              ; =>This Inner Loop Header: Depth=1
	global_load_dword v1, v[21:22], off
	ds_read_b128 v[5:8], v33
	v_add_u32_e32 v37, -3, v32
	s_waitcnt vmcnt(0)
	v_mad_i64_i32 v[1:2], s[0:1], v1, s26, 0
	v_lshlrev_b64 v[1:2], 2, v[1:2]
	v_add_co_u32_e64 v17, s[0:1], s14, v1
	v_addc_co_u32_e64 v18, s[0:1], v34, v2, s[0:1]
	v_add_co_u32_e64 v13, s[0:1], v17, v35
	v_addc_co_u32_e64 v14, s[0:1], 0, v18, s[0:1]
	global_load_dwordx4 v[1:4], v[13:14], off
	v_cmp_eq_u32_e64 s[0:1], s15, v24
	s_and_saveexec_b64 s[12:13], s[0:1]
	s_cbranch_execnz .LBB13_37
; %bb.34:                               ;   in Loop: Header=BB13_33 Depth=1
	s_or_b64 exec, exec, s[12:13]
	global_load_dwordx4 v[9:12], v[13:14], off offset:1024
	s_and_saveexec_b64 s[12:13], s[0:1]
	s_cbranch_execnz .LBB13_38
.LBB13_35:                              ;   in Loop: Header=BB13_33 Depth=1
	s_or_b64 exec, exec, s[12:13]
	global_load_dwordx4 v[13:16], v[13:14], off offset:2048
	s_and_saveexec_b64 s[12:13], s[0:1]
	s_cbranch_execnz .LBB13_39
.LBB13_36:                              ;   in Loop: Header=BB13_33 Depth=1
	s_or_b64 exec, exec, s[12:13]
	s_and_saveexec_b64 s[12:13], vcc
	s_cbranch_execz .LBB13_32
	s_branch .LBB13_40
.LBB13_37:                              ;   in Loop: Header=BB13_33 Depth=1
	v_cmp_gt_i32_e64 s[2:3], s33, v37
	v_add_u32_e32 v9, -2, v32
	s_waitcnt vmcnt(0)
	v_cndmask_b32_e64 v1, 0, v1, s[2:3]
	v_cmp_gt_i32_e64 s[2:3], s33, v9
	v_add_u32_e32 v9, -1, v32
	v_cndmask_b32_e64 v2, 0, v2, s[2:3]
	v_cmp_gt_i32_e64 s[2:3], s33, v9
	v_cndmask_b32_e64 v3, 0, v3, s[2:3]
	v_cmp_gt_i32_e64 s[2:3], s33, v32
	v_cndmask_b32_e64 v4, 0, v4, s[2:3]
	s_or_b64 exec, exec, s[12:13]
	global_load_dwordx4 v[9:12], v[13:14], off offset:1024
	s_and_saveexec_b64 s[12:13], s[0:1]
	s_cbranch_execz .LBB13_35
.LBB13_38:                              ;   in Loop: Header=BB13_33 Depth=1
	v_cmp_gt_i32_e64 s[2:3], s33, v37
	v_add_u32_e32 v15, -2, v32
	s_waitcnt vmcnt(0)
	v_cndmask_b32_e64 v9, 0, v9, s[2:3]
	v_cmp_gt_i32_e64 s[2:3], s33, v15
	v_add_u32_e32 v15, -1, v32
	v_cndmask_b32_e64 v10, 0, v10, s[2:3]
	v_cmp_gt_i32_e64 s[2:3], s33, v15
	v_cndmask_b32_e64 v11, 0, v11, s[2:3]
	v_cmp_gt_i32_e64 s[2:3], s33, v32
	v_cndmask_b32_e64 v12, 0, v12, s[2:3]
	s_or_b64 exec, exec, s[12:13]
	global_load_dwordx4 v[13:16], v[13:14], off offset:2048
	s_and_saveexec_b64 s[12:13], s[0:1]
	s_cbranch_execz .LBB13_36
.LBB13_39:                              ;   in Loop: Header=BB13_33 Depth=1
	v_cmp_gt_i32_e64 s[2:3], s33, v37
	v_add_u32_e32 v19, -2, v32
	s_waitcnt vmcnt(0)
	v_cndmask_b32_e64 v13, 0, v13, s[2:3]
	v_cmp_gt_i32_e64 s[2:3], s33, v19
	v_add_u32_e32 v19, -1, v32
	v_cndmask_b32_e64 v14, 0, v14, s[2:3]
	v_cmp_gt_i32_e64 s[2:3], s33, v19
	v_cndmask_b32_e64 v15, 0, v15, s[2:3]
	v_cmp_gt_i32_e64 s[2:3], s33, v32
	v_cndmask_b32_e64 v16, 0, v16, s[2:3]
	s_or_b64 exec, exec, s[12:13]
	s_and_saveexec_b64 s[12:13], vcc
	s_cbranch_execz .LBB13_32
.LBB13_40:                              ;   in Loop: Header=BB13_33 Depth=1
	v_add_co_u32_e64 v17, s[2:3], v17, v36
	v_addc_co_u32_e64 v18, s[2:3], 0, v18, s[2:3]
	global_load_dwordx4 v[17:20], v[17:18], off
	s_and_saveexec_b64 s[2:3], s[0:1]
	s_cbranch_execz .LBB13_31
; %bb.41:                               ;   in Loop: Header=BB13_33 Depth=1
	v_cmp_gt_i32_e64 s[0:1], s33, v37
	v_add_u32_e32 v37, -2, v32
	s_waitcnt vmcnt(0)
	v_cndmask_b32_e64 v17, 0, v17, s[0:1]
	v_cmp_gt_i32_e64 s[0:1], s33, v37
	v_add_u32_e32 v37, -1, v32
	v_cndmask_b32_e64 v18, 0, v18, s[0:1]
	v_cmp_gt_i32_e64 s[0:1], s33, v37
	v_cndmask_b32_e64 v19, 0, v19, s[0:1]
	v_cmp_gt_i32_e64 s[0:1], s33, v32
	v_cndmask_b32_e64 v20, 0, v20, s[0:1]
	s_branch .LBB13_31
.LBB13_42:
	s_or_b64 exec, exec, s[6:7]
.LBB13_43:
	s_or_b64 exec, exec, s[4:5]
	ds_bpermute_b32 v2, v25, v31
	ds_bpermute_b32 v5, v25, v30
	;; [unrolled: 1-line block ×4, first 2 shown]
	v_cmp_eq_u32_e32 vcc, 0, v27
	s_waitcnt lgkmcnt(3)
	v_add_f32_e32 v3, v31, v2
	s_waitcnt lgkmcnt(2)
	v_add_f32_e32 v2, v30, v5
	v_and_b32_e32 v5, 0x3c0, v0
	s_waitcnt lgkmcnt(1)
	v_add_f32_e32 v4, v29, v1
	s_waitcnt lgkmcnt(0)
	v_add_f32_e32 v1, v28, v6
	v_cmp_eq_u32_e64 s[0:1], 64, v5
	s_barrier
	s_and_saveexec_b64 s[2:3], s[0:1]
	s_cbranch_execz .LBB13_48
; %bb.44:
	s_and_saveexec_b64 s[0:1], vcc
	s_cbranch_execz .LBB13_46
; %bb.45:
	v_mov_b32_e32 v5, 0x1d0
	v_lshl_add_u32 v5, v26, 2, v5
	ds_write2_b32 v5, v4, v3 offset1:32
	ds_write_b32 v5, v2 offset:256
.LBB13_46:
	s_or_b64 exec, exec, s[0:1]
	v_or_b32_e32 v5, 0x60, v26
	s_movk_i32 s0, 0x70
	v_cmp_gt_u32_e64 s[0:1], s0, v5
	s_and_b64 s[0:1], vcc, s[0:1]
	s_and_b64 exec, exec, s[0:1]
; %bb.47:
	v_mov_b32_e32 v5, 0x1d0
	v_lshl_add_u32 v5, v26, 2, v5
	ds_write_b32 v5, v1 offset:384
.LBB13_48:
	s_or_b64 exec, exec, s[2:3]
	v_cmp_gt_u32_e64 s[0:1], 64, v0
	s_waitcnt lgkmcnt(0)
	s_barrier
	s_and_saveexec_b64 s[4:5], s[0:1]
	s_cbranch_execz .LBB13_58
; %bb.49:
	s_and_saveexec_b64 s[2:3], vcc
	s_cbranch_execz .LBB13_51
; %bb.50:
	v_mov_b32_e32 v0, 0x1d0
	v_lshl_add_u32 v0, v23, 2, v0
	ds_read_b32 v0, v0
	s_waitcnt lgkmcnt(0)
	v_add_f32_e32 v4, v4, v0
.LBB13_51:
	s_or_b64 exec, exec, s[2:3]
	v_or_b32_e32 v0, 32, v23
	s_movk_i32 s6, 0x70
	v_cmp_gt_u32_e64 s[2:3], s6, v0
	s_and_b64 s[12:13], vcc, s[2:3]
	s_and_saveexec_b64 s[2:3], s[12:13]
	s_cbranch_execz .LBB13_53
; %bb.52:
	v_mov_b32_e32 v0, 0x1d0
	v_lshl_add_u32 v0, v23, 2, v0
	ds_read_b32 v0, v0 offset:128
	s_waitcnt lgkmcnt(0)
	v_add_f32_e32 v3, v3, v0
.LBB13_53:
	s_or_b64 exec, exec, s[2:3]
	v_or_b32_e32 v0, 64, v23
	v_cmp_gt_u32_e64 s[2:3], s6, v0
	s_and_b64 s[6:7], vcc, s[2:3]
	s_and_saveexec_b64 s[2:3], s[6:7]
	s_cbranch_execz .LBB13_55
; %bb.54:
	v_mov_b32_e32 v0, 0x1d0
	v_lshl_add_u32 v0, v23, 2, v0
	ds_read_b32 v0, v0 offset:256
	s_waitcnt lgkmcnt(0)
	v_add_f32_e32 v2, v2, v0
.LBB13_55:
	s_or_b64 exec, exec, s[2:3]
	v_or_b32_e32 v0, 0x60, v23
	s_movk_i32 s2, 0x70
	v_cmp_gt_u32_e64 s[2:3], s2, v0
	s_and_b64 s[6:7], vcc, s[2:3]
	s_and_saveexec_b64 s[2:3], s[6:7]
	s_cbranch_execz .LBB13_57
; %bb.56:
	v_mov_b32_e32 v0, 0x1d0
	v_lshl_add_u32 v0, v23, 2, v0
	ds_read_b32 v0, v0 offset:384
	s_waitcnt lgkmcnt(0)
	v_add_f32_e32 v1, v1, v0
.LBB13_57:
	s_or_b64 exec, exec, s[2:3]
.LBB13_58:
	s_or_b64 exec, exec, s[4:5]
	s_barrier
	s_and_saveexec_b64 s[2:3], s[0:1]
	s_cbranch_execz .LBB13_67
; %bb.59:
	s_mul_i32 s0, s10, s11
	s_mul_i32 s0, s0, s9
	s_mulk_i32 s0, 0x70
	s_ashr_i32 s1, s0, 31
	s_lshl_b64 s[0:1], s[0:1], 2
	s_add_u32 s2, s18, s0
	s_mul_i32 s0, s11, s16
	s_addc_u32 s3, s19, s1
	s_ashr_i32 s1, s0, 31
	s_lshl_b64 s[0:1], s[0:1], 2
	s_add_u32 s2, s2, s0
	s_mul_i32 s0, s8, 0x70
	s_addc_u32 s3, s3, s1
	s_ashr_i32 s1, s0, 31
	s_lshl_b64 s[0:1], s[0:1], 2
	s_add_u32 s2, s2, s0
	s_movk_i32 s4, 0x70
	s_addc_u32 s3, s3, s1
	v_lshlrev_b32_e32 v0, 2, v23
	s_and_saveexec_b64 s[0:1], vcc
	s_cbranch_execz .LBB13_61
; %bb.60:
	global_store_dword v0, v4, s[2:3]
.LBB13_61:
	s_or_b64 exec, exec, s[0:1]
	v_or_b32_e32 v4, 32, v23
	v_cmp_gt_u32_e64 s[0:1], s4, v4
	s_and_b64 s[4:5], vcc, s[0:1]
	s_and_saveexec_b64 s[0:1], s[4:5]
	s_cbranch_execz .LBB13_63
; %bb.62:
	global_store_dword v0, v3, s[2:3] offset:128
.LBB13_63:
	s_or_b64 exec, exec, s[0:1]
	v_or_b32_e32 v3, 64, v23
	s_movk_i32 s4, 0x70
	v_cmp_gt_u32_e64 s[0:1], s4, v3
	s_and_b64 s[6:7], vcc, s[0:1]
	s_and_saveexec_b64 s[0:1], s[6:7]
	s_cbranch_execz .LBB13_65
; %bb.64:
	global_store_dword v0, v2, s[2:3] offset:256
.LBB13_65:
	s_or_b64 exec, exec, s[0:1]
	v_or_b32_e32 v2, 0x60, v23
	v_cmp_gt_u32_e64 s[0:1], s4, v2
	s_and_b64 s[0:1], vcc, s[0:1]
	s_and_b64 exec, exec, s[0:1]
	s_cbranch_execz .LBB13_67
; %bb.66:
	global_store_dword v0, v1, s[2:3] offset:384
.LBB13_67:
	s_endpgm
	.section	.rodata,"a",@progbits
	.p2align	6, 0x0
	.amdhsa_kernel _ZN4vllm25paged_attention_v1_kernelIffLi112ELi8ELi128ELNS_18Fp8KVCacheDataTypeE0ELb0EEEvPT_PKS2_PKT0_S8_ifPKiSA_iPKfiiiSC_SC_iiiii
		.amdhsa_group_segment_fixed_size 464
		.amdhsa_private_segment_fixed_size 0
		.amdhsa_kernarg_size 384
		.amdhsa_user_sgpr_count 6
		.amdhsa_user_sgpr_private_segment_buffer 1
		.amdhsa_user_sgpr_dispatch_ptr 0
		.amdhsa_user_sgpr_queue_ptr 0
		.amdhsa_user_sgpr_kernarg_segment_ptr 1
		.amdhsa_user_sgpr_dispatch_id 0
		.amdhsa_user_sgpr_flat_scratch_init 0
		.amdhsa_user_sgpr_private_segment_size 0
		.amdhsa_uses_dynamic_stack 0
		.amdhsa_system_sgpr_private_segment_wavefront_offset 0
		.amdhsa_system_sgpr_workgroup_id_x 1
		.amdhsa_system_sgpr_workgroup_id_y 1
		.amdhsa_system_sgpr_workgroup_id_z 1
		.amdhsa_system_sgpr_workgroup_info 0
		.amdhsa_system_vgpr_workitem_id 0
		.amdhsa_next_free_vgpr 48
		.amdhsa_next_free_sgpr 34
		.amdhsa_reserve_vcc 1
		.amdhsa_reserve_flat_scratch 0
		.amdhsa_float_round_mode_32 0
		.amdhsa_float_round_mode_16_64 0
		.amdhsa_float_denorm_mode_32 3
		.amdhsa_float_denorm_mode_16_64 3
		.amdhsa_dx10_clamp 1
		.amdhsa_ieee_mode 1
		.amdhsa_fp16_overflow 0
		.amdhsa_exception_fp_ieee_invalid_op 0
		.amdhsa_exception_fp_denorm_src 0
		.amdhsa_exception_fp_ieee_div_zero 0
		.amdhsa_exception_fp_ieee_overflow 0
		.amdhsa_exception_fp_ieee_underflow 0
		.amdhsa_exception_fp_ieee_inexact 0
		.amdhsa_exception_int_div_zero 0
	.end_amdhsa_kernel
	.section	.text._ZN4vllm25paged_attention_v1_kernelIffLi112ELi8ELi128ELNS_18Fp8KVCacheDataTypeE0ELb0EEEvPT_PKS2_PKT0_S8_ifPKiSA_iPKfiiiSC_SC_iiiii,"axG",@progbits,_ZN4vllm25paged_attention_v1_kernelIffLi112ELi8ELi128ELNS_18Fp8KVCacheDataTypeE0ELb0EEEvPT_PKS2_PKT0_S8_ifPKiSA_iPKfiiiSC_SC_iiiii,comdat
.Lfunc_end13:
	.size	_ZN4vllm25paged_attention_v1_kernelIffLi112ELi8ELi128ELNS_18Fp8KVCacheDataTypeE0ELb0EEEvPT_PKS2_PKT0_S8_ifPKiSA_iPKfiiiSC_SC_iiiii, .Lfunc_end13-_ZN4vllm25paged_attention_v1_kernelIffLi112ELi8ELi128ELNS_18Fp8KVCacheDataTypeE0ELb0EEEvPT_PKS2_PKT0_S8_ifPKiSA_iPKfiiiSC_SC_iiiii
                                        ; -- End function
	.set _ZN4vllm25paged_attention_v1_kernelIffLi112ELi8ELi128ELNS_18Fp8KVCacheDataTypeE0ELb0EEEvPT_PKS2_PKT0_S8_ifPKiSA_iPKfiiiSC_SC_iiiii.num_vgpr, 48
	.set _ZN4vllm25paged_attention_v1_kernelIffLi112ELi8ELi128ELNS_18Fp8KVCacheDataTypeE0ELb0EEEvPT_PKS2_PKT0_S8_ifPKiSA_iPKfiiiSC_SC_iiiii.num_agpr, 0
	.set _ZN4vllm25paged_attention_v1_kernelIffLi112ELi8ELi128ELNS_18Fp8KVCacheDataTypeE0ELb0EEEvPT_PKS2_PKT0_S8_ifPKiSA_iPKfiiiSC_SC_iiiii.numbered_sgpr, 34
	.set _ZN4vllm25paged_attention_v1_kernelIffLi112ELi8ELi128ELNS_18Fp8KVCacheDataTypeE0ELb0EEEvPT_PKS2_PKT0_S8_ifPKiSA_iPKfiiiSC_SC_iiiii.num_named_barrier, 0
	.set _ZN4vllm25paged_attention_v1_kernelIffLi112ELi8ELi128ELNS_18Fp8KVCacheDataTypeE0ELb0EEEvPT_PKS2_PKT0_S8_ifPKiSA_iPKfiiiSC_SC_iiiii.private_seg_size, 0
	.set _ZN4vllm25paged_attention_v1_kernelIffLi112ELi8ELi128ELNS_18Fp8KVCacheDataTypeE0ELb0EEEvPT_PKS2_PKT0_S8_ifPKiSA_iPKfiiiSC_SC_iiiii.uses_vcc, 1
	.set _ZN4vllm25paged_attention_v1_kernelIffLi112ELi8ELi128ELNS_18Fp8KVCacheDataTypeE0ELb0EEEvPT_PKS2_PKT0_S8_ifPKiSA_iPKfiiiSC_SC_iiiii.uses_flat_scratch, 0
	.set _ZN4vllm25paged_attention_v1_kernelIffLi112ELi8ELi128ELNS_18Fp8KVCacheDataTypeE0ELb0EEEvPT_PKS2_PKT0_S8_ifPKiSA_iPKfiiiSC_SC_iiiii.has_dyn_sized_stack, 0
	.set _ZN4vllm25paged_attention_v1_kernelIffLi112ELi8ELi128ELNS_18Fp8KVCacheDataTypeE0ELb0EEEvPT_PKS2_PKT0_S8_ifPKiSA_iPKfiiiSC_SC_iiiii.has_recursion, 0
	.set _ZN4vllm25paged_attention_v1_kernelIffLi112ELi8ELi128ELNS_18Fp8KVCacheDataTypeE0ELb0EEEvPT_PKS2_PKT0_S8_ifPKiSA_iPKfiiiSC_SC_iiiii.has_indirect_call, 0
	.section	.AMDGPU.csdata,"",@progbits
; Kernel info:
; codeLenInByte = 3744
; TotalNumSgprs: 38
; NumVgprs: 48
; ScratchSize: 0
; MemoryBound: 0
; FloatMode: 240
; IeeeMode: 1
; LDSByteSize: 464 bytes/workgroup (compile time only)
; SGPRBlocks: 4
; VGPRBlocks: 11
; NumSGPRsForWavesPerEU: 38
; NumVGPRsForWavesPerEU: 48
; Occupancy: 5
; WaveLimiterHint : 1
; COMPUTE_PGM_RSRC2:SCRATCH_EN: 0
; COMPUTE_PGM_RSRC2:USER_SGPR: 6
; COMPUTE_PGM_RSRC2:TRAP_HANDLER: 0
; COMPUTE_PGM_RSRC2:TGID_X_EN: 1
; COMPUTE_PGM_RSRC2:TGID_Y_EN: 1
; COMPUTE_PGM_RSRC2:TGID_Z_EN: 1
; COMPUTE_PGM_RSRC2:TIDIG_COMP_CNT: 0
	.section	.text._ZN4vllm25paged_attention_v1_kernelIffLi120ELi8ELi128ELNS_18Fp8KVCacheDataTypeE0ELb0EEEvPT_PKS2_PKT0_S8_ifPKiSA_iPKfiiiSC_SC_iiiii,"axG",@progbits,_ZN4vllm25paged_attention_v1_kernelIffLi120ELi8ELi128ELNS_18Fp8KVCacheDataTypeE0ELb0EEEvPT_PKS2_PKT0_S8_ifPKiSA_iPKfiiiSC_SC_iiiii,comdat
	.protected	_ZN4vllm25paged_attention_v1_kernelIffLi120ELi8ELi128ELNS_18Fp8KVCacheDataTypeE0ELb0EEEvPT_PKS2_PKT0_S8_ifPKiSA_iPKfiiiSC_SC_iiiii ; -- Begin function _ZN4vllm25paged_attention_v1_kernelIffLi120ELi8ELi128ELNS_18Fp8KVCacheDataTypeE0ELb0EEEvPT_PKS2_PKT0_S8_ifPKiSA_iPKfiiiSC_SC_iiiii
	.globl	_ZN4vllm25paged_attention_v1_kernelIffLi120ELi8ELi128ELNS_18Fp8KVCacheDataTypeE0ELb0EEEvPT_PKS2_PKT0_S8_ifPKiSA_iPKfiiiSC_SC_iiiii
	.p2align	8
	.type	_ZN4vllm25paged_attention_v1_kernelIffLi120ELi8ELi128ELNS_18Fp8KVCacheDataTypeE0ELb0EEEvPT_PKS2_PKT0_S8_ifPKiSA_iPKfiiiSC_SC_iiiii,@function
_ZN4vllm25paged_attention_v1_kernelIffLi120ELi8ELi128ELNS_18Fp8KVCacheDataTypeE0ELb0EEEvPT_PKS2_PKT0_S8_ifPKiSA_iPKfiiiSC_SC_iiiii: ; @_ZN4vllm25paged_attention_v1_kernelIffLi120ELi8ELi128ELNS_18Fp8KVCacheDataTypeE0ELb0EEEvPT_PKS2_PKT0_S8_ifPKiSA_iPKfiiiSC_SC_iiiii
; %bb.0:
	s_load_dword s9, s[4:5], 0x80
	s_load_dwordx2 s[0:1], s[4:5], 0x30
	s_load_dwordx2 s[26:27], s[4:5], 0x20
	s_mov_b32 s10, s7
	s_ashr_i32 s11, s7, 31
	s_lshl_b64 s[2:3], s[10:11], 2
	s_waitcnt lgkmcnt(0)
	s_add_u32 s0, s0, s2
	s_addc_u32 s1, s1, s3
	s_abs_i32 s2, s26
	v_cvt_f32_u32_e32 v1, s2
	s_sub_i32 s11, 0, s2
	s_abs_i32 s7, s9
	s_xor_b32 s3, s9, s26
	v_rcp_iflag_f32_e32 v1, v1
	s_ashr_i32 s3, s3, 31
	s_mov_b32 s26, 0
	v_mul_f32_e32 v1, 0x4f7ffffe, v1
	v_cvt_u32_f32_e32 v1, v1
	v_readfirstlane_b32 s12, v1
	s_mul_i32 s11, s11, s12
	s_mul_hi_u32 s11, s12, s11
	s_add_i32 s12, s12, s11
	s_mul_hi_u32 s11, s7, s12
	s_mul_i32 s12, s11, s2
	s_sub_i32 s7, s7, s12
	s_add_i32 s12, s11, 1
	s_sub_i32 s13, s7, s2
	s_cmp_ge_u32 s7, s2
	s_cselect_b32 s11, s12, s11
	s_cselect_b32 s7, s13, s7
	s_add_i32 s12, s11, 1
	s_cmp_ge_u32 s7, s2
	s_cselect_b32 s2, s12, s11
	s_xor_b32 s2, s2, s3
	s_sub_i32 s12, s2, s3
	s_abs_i32 s11, s12
	v_cvt_f32_u32_e32 v1, s11
	s_load_dwordx2 s[2:3], s[4:5], 0x40
	s_sub_i32 s7, 0, s11
	s_abs_i32 s18, s6
	v_rcp_iflag_f32_e32 v1, v1
	v_mul_f32_e32 v1, 0x4f7ffffe, v1
	v_cvt_u32_f32_e32 v1, v1
	v_readfirstlane_b32 s13, v1
	s_mul_i32 s7, s7, s13
	s_mul_hi_u32 s7, s13, s7
	s_add_i32 s13, s13, s7
	s_waitcnt lgkmcnt(0)
	s_cmp_eq_u64 s[2:3], 0
	s_mul_hi_u32 s19, s18, s13
	s_cbranch_scc1 .LBB14_2
; %bb.1:
	s_ashr_i32 s7, s6, 31
	s_lshl_b64 s[14:15], s[6:7], 2
	s_add_u32 s2, s2, s14
	s_addc_u32 s3, s3, s15
	s_load_dword s26, s[2:3], 0x0
.LBB14_2:
	s_load_dword s33, s[0:1], 0x0
	s_ashr_i32 s3, s12, 31
	s_load_dwordx4 s[12:15], s[4:5], 0x48
	s_movk_i32 s0, 0x78
	s_ashr_i32 s2, s6, 31
	v_and_b32_e32 v1, 7, v0
	s_mul_i32 s16, s6, 0x78
	v_cmp_gt_u32_e32 vcc, s0, v0
	v_lshlrev_b32_e32 v17, 2, v0
	v_lshrrev_b32_e32 v23, 1, v0
	s_and_saveexec_b64 s[0:1], vcc
	s_cbranch_execz .LBB14_4
; %bb.3:
	s_load_dwordx2 s[6:7], s[4:5], 0x8
	s_waitcnt lgkmcnt(0)
	s_mul_i32 s20, s12, s10
	s_ashr_i32 s21, s20, 31
	s_lshl_b64 s[20:21], s[20:21], 2
	v_and_b32_e32 v3, 0x1fc, v23
	s_add_u32 s12, s6, s20
	s_addc_u32 s15, s7, s21
	s_ashr_i32 s17, s16, 31
	s_lshl_b64 s[6:7], s[16:17], 2
	s_add_u32 s6, s12, s6
	s_addc_u32 s7, s15, s7
	global_load_dword v2, v17, s[6:7]
	v_mad_u32_u24 v3, v1, 60, v3
	s_waitcnt vmcnt(0)
	ds_write_b32 v3, v2
.LBB14_4:
	s_or_b64 exec, exec, s[0:1]
	s_waitcnt lgkmcnt(0)
	s_add_i32 s1, s33, 7
	s_ashr_i32 s6, s1, 31
	s_lshr_b32 s6, s6, 29
	s_add_i32 s1, s1, s6
	s_ashr_i32 s17, s1, 3
	s_xor_b32 s1, s2, s3
	s_mul_i32 s2, s19, s11
	s_sub_i32 s2, s18, s2
	s_add_i32 s3, s19, 1
	s_sub_i32 s6, s2, s11
	s_load_dwordx2 s[20:21], s[4:5], 0x28
	s_load_dword s0, s[4:5], 0x38
	s_cmp_ge_u32 s2, s11
	s_cselect_b32 s3, s3, s19
	s_cselect_b32 s2, s6, s2
	s_add_i32 s6, s3, 1
	s_cmp_ge_u32 s2, s11
	s_cselect_b32 s2, s6, s3
	v_lshrrev_b32_e32 v24, 6, v0
	s_xor_b32 s2, s2, s1
	s_waitcnt lgkmcnt(0)
	s_mul_i32 s22, s0, s10
	s_sub_i32 s12, s2, s1
	s_ashr_i32 s23, s22, 31
	v_cmp_le_i32_e64 s[0:1], s17, v24
	v_mbcnt_lo_u32_b32 v2, -1, 0
	s_barrier
                                        ; implicit-def: $vgpr19
                                        ; implicit-def: $vgpr21
                                        ; implicit-def: $vgpr20
	s_and_saveexec_b64 s[2:3], s[0:1]
	s_xor_b64 s[2:3], exec, s[2:3]
; %bb.5:
	v_mbcnt_hi_u32_b32 v19, -1, v2
	v_and_b32_e32 v21, 64, v19
	v_add_u32_e32 v20, 64, v21
                                        ; implicit-def: $vgpr1
                                        ; implicit-def: $vgpr2
; %bb.6:
	s_or_saveexec_b64 s[6:7], s[2:3]
	s_load_dwordx2 s[18:19], s[4:5], 0x0
	s_load_dwordx2 s[24:25], s[4:5], 0x18
	s_load_dword s11, s[4:5], 0x88
	v_mov_b32_e32 v26, 0xff7fffff
	s_mul_i32 s14, s12, s14
	v_lshrrev_b32_e32 v18, 4, v0
	s_xor_b64 exec, exec, s[6:7]
	s_cbranch_execz .LBB14_12
; %bb.7:
	s_load_dwordx2 s[2:3], s[4:5], 0x10
	s_ashr_i32 s15, s14, 31
	s_lshl_b64 s[4:5], s[14:15], 2
	v_bfe_u32 v3, v0, 3, 3
	v_lshlrev_b32_e32 v5, 4, v3
	s_waitcnt lgkmcnt(0)
	s_add_u32 s2, s2, s4
	s_addc_u32 s3, s3, s5
	v_mov_b32_e32 v6, s3
	v_add_co_u32_e32 v5, vcc, s2, v5
	v_and_b32_e32 v7, 3, v0
	v_addc_co_u32_e32 v6, vcc, 0, v6, vcc
	v_lshlrev_b32_e32 v7, 2, v7
	v_mbcnt_hi_u32_b32 v19, -1, v2
	v_add_co_u32_e32 v5, vcc, v5, v7
	v_and_b32_e32 v21, 64, v19
	v_addc_co_u32_e32 v6, vcc, 0, v6, vcc
	v_add_u32_e32 v20, 64, v21
	v_xor_b32_e32 v2, 4, v19
	v_cmp_lt_i32_e32 vcc, v2, v20
	v_cndmask_b32_e32 v2, v19, v2, vcc
	v_lshlrev_b32_e32 v22, 2, v2
	v_xor_b32_e32 v2, 2, v19
	v_cmp_lt_i32_e32 vcc, v2, v20
	v_cndmask_b32_e32 v2, v19, v2, vcc
	v_lshlrev_b32_e32 v25, 2, v2
	v_xor_b32_e32 v2, 1, v19
	v_cmp_lt_i32_e32 vcc, v2, v20
	v_mul_u32_u24_e32 v13, 60, v1
	v_cndmask_b32_e32 v2, v19, v2, vcc
	v_cmp_eq_u32_e32 vcc, 0, v1
	v_lshlrev_b32_e32 v1, 5, v0
	v_lshlrev_b32_e32 v4, 2, v3
	v_and_b32_e32 v1, 0x80, v1
	v_add_co_u32_e64 v28, s[4:5], v5, v1
	v_lshl_or_b32 v1, v24, 5, v4
	v_lshlrev_b32_e32 v27, 2, v2
	v_addc_co_u32_e64 v29, s[4:5], 0, v6, s[4:5]
	v_lshl_or_b32 v30, v24, 3, v3
	v_add_u32_e32 v31, 0x1f0, v1
	ds_read2_b32 v[1:2], v13 offset0:8 offset1:9
	ds_read2_b32 v[3:4], v13 offset0:10 offset1:11
	ds_read_b32 v32, v13 offset:56
	ds_read2_b32 v[5:6], v13 offset0:12 offset1:13
	ds_read2_b32 v[7:8], v13 offset1:1
	ds_read2_b32 v[9:10], v13 offset0:2 offset1:3
	ds_read2_b32 v[11:12], v13 offset0:4 offset1:5
	;; [unrolled: 1-line block ×3, first 2 shown]
	s_sub_i32 s15, 1, s33
	s_lshl_b64 s[4:5], s[22:23], 2
	s_add_u32 s4, s20, s4
	v_and_b32_e32 v15, 60, v18
	s_addc_u32 s5, s21, s5
	v_mov_b32_e32 v16, s5
	v_add_co_u32_e64 v15, s[4:5], s4, v15
	s_mov_b32 s12, s13
	v_cmp_neq_f32_e64 s[2:3], s26, 0
	v_addc_co_u32_e64 v16, s[4:5], 0, v16, s[4:5]
	s_mov_b64 s[28:29], 0
	v_mov_b32_e32 v26, 0xff7fffff
	v_mov_b32_e32 v33, v24
	s_branch .LBB14_9
.LBB14_8:                               ;   in Loop: Header=BB14_9 Depth=1
	s_or_b64 exec, exec, s[30:31]
	v_add_u32_e32 v33, 2, v33
	v_cmp_le_i32_e64 s[4:5], s17, v33
	s_or_b64 s[28:29], s[4:5], s[28:29]
	v_add_co_u32_e64 v15, s[4:5], 8, v15
	v_add_u32_e32 v30, 16, v30
	v_add_u32_e32 v31, 64, v31
	v_addc_co_u32_e64 v16, s[4:5], 0, v16, s[4:5]
	s_andn2_b64 exec, exec, s[28:29]
	s_cbranch_execz .LBB14_11
.LBB14_9:                               ; =>This Inner Loop Header: Depth=1
	global_load_dword v34, v[15:16], off
	s_waitcnt vmcnt(0) lgkmcnt(0)
	v_mad_i64_i32 v[34:35], s[4:5], v34, s12, 0
	v_lshlrev_b64 v[34:35], 2, v[34:35]
	v_add_co_u32_e64 v34, s[4:5], v28, v34
	v_addc_co_u32_e64 v35, s[4:5], v29, v35, s[4:5]
	global_load_dword v36, v[34:35], off offset:256
	global_load_dword v37, v[34:35], off offset:512
	;; [unrolled: 1-line block ×7, first 2 shown]
	global_load_dword v43, v[34:35], off
	global_load_dword v44, v[34:35], off offset:2048
	global_load_dword v45, v[34:35], off offset:2304
	;; [unrolled: 1-line block ×6, first 2 shown]
	s_nop 0
	global_load_dword v34, v[34:35], off offset:3584
	s_waitcnt vmcnt(14) lgkmcnt(3)
	v_mul_f32_e32 v35, v8, v36
	s_waitcnt vmcnt(7)
	v_fmac_f32_e32 v35, v7, v43
	s_waitcnt lgkmcnt(2)
	v_fmac_f32_e32 v35, v9, v37
	v_fmac_f32_e32 v35, v10, v38
	s_waitcnt lgkmcnt(1)
	v_fmac_f32_e32 v35, v11, v39
	;; [unrolled: 3-line block ×3, first 2 shown]
	v_fmac_f32_e32 v35, v14, v42
	s_waitcnt vmcnt(6)
	v_fmac_f32_e32 v35, v1, v44
	s_waitcnt vmcnt(5)
	;; [unrolled: 2-line block ×7, first 2 shown]
	v_fmac_f32_e32 v35, v32, v34
	ds_bpermute_b32 v34, v22, v35
	s_waitcnt lgkmcnt(0)
	v_add_f32_e32 v34, v35, v34
	ds_bpermute_b32 v35, v25, v34
	s_waitcnt lgkmcnt(0)
	v_add_f32_e32 v34, v34, v35
	ds_bpermute_b32 v35, v27, v34
	s_and_saveexec_b64 s[30:31], vcc
	s_cbranch_execz .LBB14_8
; %bb.10:                               ;   in Loop: Header=BB14_9 Depth=1
	v_add_u32_e32 v36, s15, v30
	v_cvt_f32_i32_e32 v36, v36
	s_waitcnt lgkmcnt(0)
	v_add_f32_e32 v34, v34, v35
	v_cmp_gt_i32_e64 s[4:5], s33, v30
	v_max_f32_e32 v35, v26, v26
	v_mul_f32_e32 v36, s26, v36
	v_cndmask_b32_e64 v36, 0, v36, s[2:3]
	v_fmac_f32_e32 v36, s27, v34
	v_cndmask_b32_e64 v34, 0, v36, s[4:5]
	ds_write_b32 v31, v34
	v_max_f32_e32 v34, v35, v36
	v_cndmask_b32_e64 v26, v26, v34, s[4:5]
	s_branch .LBB14_8
.LBB14_11:
	s_or_b64 exec, exec, s[28:29]
.LBB14_12:
	s_or_b64 exec, exec, s[6:7]
	v_xor_b32_e32 v1, 32, v19
	v_cmp_lt_i32_e32 vcc, v1, v20
	v_cndmask_b32_e32 v1, v19, v1, vcc
	v_lshlrev_b32_e32 v3, 2, v1
	ds_bpermute_b32 v1, v3, v26
	v_xor_b32_e32 v4, 16, v19
	v_max_f32_e32 v2, v26, v26
	v_cmp_lt_i32_e32 vcc, v4, v20
	v_xor_b32_e32 v6, 8, v19
	s_waitcnt lgkmcnt(0)
	v_max_f32_e32 v1, v1, v1
	v_max_f32_e32 v1, v2, v1
	v_cndmask_b32_e32 v2, v19, v4, vcc
	v_lshlrev_b32_e32 v5, 2, v2
	ds_bpermute_b32 v2, v5, v1
	v_cmp_lt_i32_e32 vcc, v6, v20
	s_waitcnt lgkmcnt(0)
	v_max_f32_e32 v2, v2, v2
	v_max_f32_e32 v4, v1, v2
	v_cndmask_b32_e32 v1, v19, v6, vcc
	v_lshlrev_b32_e32 v6, 2, v1
	ds_bpermute_b32 v7, v6, v4
	v_and_b32_e32 v1, 63, v0
	v_cmp_eq_u32_e32 vcc, 0, v1
	v_lshlrev_b32_e32 v2, 2, v24
	s_and_saveexec_b64 s[2:3], vcc
	s_cbranch_execz .LBB14_14
; %bb.13:
	s_waitcnt lgkmcnt(0)
	v_max_f32_e32 v7, v7, v7
	v_max_f32_e32 v4, v4, v4
	;; [unrolled: 1-line block ×3, first 2 shown]
	ds_write_b32 v2, v4 offset:480
.LBB14_14:
	s_or_b64 exec, exec, s[2:3]
	v_cmp_gt_u32_e64 s[2:3], 2, v1
	s_waitcnt lgkmcnt(0)
	v_mov_b32_e32 v7, 0xff7fffff
	v_lshlrev_b32_e32 v4, 2, v1
	s_barrier
	s_and_saveexec_b64 s[4:5], s[2:3]
; %bb.15:
	ds_read_b32 v7, v4 offset:480
; %bb.16:
	s_or_b64 exec, exec, s[4:5]
	v_xor_b32_e32 v8, 1, v19
	v_cmp_lt_i32_e64 s[4:5], v8, v20
	v_cndmask_b32_e64 v8, v19, v8, s[4:5]
	v_lshlrev_b32_e32 v25, 2, v8
	s_waitcnt lgkmcnt(0)
	ds_bpermute_b32 v8, v25, v7
	v_max_f32_e32 v7, v7, v7
	s_lshl_b32 s4, s17, 3
	s_min_i32 s12, s4, s33
	v_cmp_gt_i32_e64 s[4:5], s12, v0
	s_waitcnt lgkmcnt(0)
	v_max_f32_e32 v8, v8, v8
	v_max_f32_e32 v7, v7, v8
	v_lshlrev_b32_e32 v8, 2, v21
	ds_bpermute_b32 v8, v8, v7
	v_mov_b32_e32 v7, 0
	s_and_saveexec_b64 s[26:27], s[4:5]
	s_cbranch_execz .LBB14_20
; %bb.17:
	v_mov_b32_e32 v7, 0x1f0
	v_lshl_add_u32 v9, v0, 2, v7
	v_mov_b32_e32 v7, 0
	s_mov_b64 s[28:29], 0
	v_mov_b32_e32 v10, v0
.LBB14_18:                              ; =>This Inner Loop Header: Depth=1
	ds_read_b32 v11, v9
	v_add_u32_e32 v10, 0x80, v10
	v_cmp_le_i32_e64 s[6:7], s12, v10
	s_or_b64 s[28:29], s[6:7], s[28:29]
	s_waitcnt lgkmcnt(0)
	v_sub_f32_e32 v11, v11, v8
	v_mul_f32_e32 v11, 0x3fb8aa3b, v11
	v_exp_f32_e32 v11, v11
	ds_write_b32 v9, v11
	v_add_f32_e32 v7, v7, v11
	v_add_u32_e32 v9, 0x200, v9
	s_andn2_b64 exec, exec, s[28:29]
	s_cbranch_execnz .LBB14_18
; %bb.19:
	s_or_b64 exec, exec, s[28:29]
.LBB14_20:
	s_or_b64 exec, exec, s[26:27]
	ds_bpermute_b32 v3, v3, v7
	s_waitcnt lgkmcnt(0)
	v_add_f32_e32 v3, v7, v3
	ds_bpermute_b32 v5, v5, v3
	s_waitcnt lgkmcnt(0)
	v_add_f32_e32 v3, v3, v5
	ds_bpermute_b32 v5, v6, v3
	v_xor_b32_e32 v6, 4, v19
	v_cmp_lt_i32_e64 s[6:7], v6, v20
	v_cndmask_b32_e64 v6, v19, v6, s[6:7]
	v_lshlrev_b32_e32 v6, 2, v6
	s_waitcnt lgkmcnt(0)
	v_add_f32_e32 v3, v3, v5
	ds_bpermute_b32 v5, v6, v3
	v_xor_b32_e32 v6, 2, v19
	v_cmp_lt_i32_e64 s[6:7], v6, v20
	v_cndmask_b32_e64 v6, v19, v6, s[6:7]
	s_waitcnt lgkmcnt(0)
	v_add_f32_e32 v3, v3, v5
	v_lshlrev_b32_e32 v5, 2, v6
	ds_bpermute_b32 v5, v5, v3
	s_waitcnt lgkmcnt(0)
	v_add_f32_e32 v3, v3, v5
	ds_bpermute_b32 v5, v25, v3
	s_waitcnt lgkmcnt(0)
	v_add_f32_e32 v3, v3, v5
	s_and_saveexec_b64 s[6:7], vcc
; %bb.21:
	ds_write_b32 v2, v3 offset:488
; %bb.22:
	s_or_b64 exec, exec, s[6:7]
	s_waitcnt lgkmcnt(0)
	s_barrier
	s_and_saveexec_b64 s[6:7], s[2:3]
; %bb.23:
	ds_read_b32 v3, v4 offset:488
; %bb.24:
	s_or_b64 exec, exec, s[6:7]
	s_waitcnt lgkmcnt(0)
	ds_bpermute_b32 v2, v25, v3
	v_lshlrev_b32_e32 v4, 2, v19
	s_waitcnt lgkmcnt(0)
	v_add_f32_e32 v2, v3, v2
	v_and_b32_e32 v3, 0xffffff00, v4
	ds_bpermute_b32 v2, v3, v2
	s_and_saveexec_b64 s[2:3], s[4:5]
	s_cbranch_execz .LBB14_27
; %bb.25:
	s_waitcnt lgkmcnt(0)
	v_add_f32_e32 v3, 0x358637bd, v2
	v_div_scale_f32 v2, s[4:5], v3, v3, 1.0
	v_div_scale_f32 v4, vcc, 1.0, v3, 1.0
	s_mov_b64 s[4:5], 0
	v_rcp_f32_e32 v5, v2
	v_fma_f32 v6, -v2, v5, 1.0
	v_fmac_f32_e32 v5, v6, v5
	v_mul_f32_e32 v6, v4, v5
	v_fma_f32 v7, -v2, v6, v4
	v_fmac_f32_e32 v6, v7, v5
	v_fma_f32 v2, -v2, v6, v4
	v_div_fmas_f32 v4, v2, v5, v6
	v_mov_b32_e32 v2, 0x1f0
	v_lshl_add_u32 v2, v0, 2, v2
	v_div_fixup_f32 v3, v4, v3, 1.0
	v_mov_b32_e32 v4, v0
.LBB14_26:                              ; =>This Inner Loop Header: Depth=1
	ds_read_b32 v5, v2
	v_add_u32_e32 v4, 0x80, v4
	v_cmp_le_i32_e32 vcc, s12, v4
	s_or_b64 s[4:5], vcc, s[4:5]
	s_waitcnt lgkmcnt(0)
	v_mul_f32_e32 v5, v3, v5
	ds_write_b32 v2, v5
	v_add_u32_e32 v2, 0x200, v2
	s_andn2_b64 exec, exec, s[4:5]
	s_cbranch_execnz .LBB14_26
.LBB14_27:
	s_or_b64 exec, exec, s[2:3]
	v_lshrrev_b32_e32 v26, 1, v1
	s_waitcnt lgkmcnt(0)
	s_barrier
	s_and_saveexec_b64 s[2:3], s[0:1]
	s_xor_b64 s[0:1], exec, s[2:3]
; %bb.28:
	v_lshrrev_b32_e32 v26, 1, v1
                                        ; implicit-def: $vgpr24
                                        ; implicit-def: $vgpr17
                                        ; implicit-def: $vgpr18
; %bb.29:
	s_or_saveexec_b64 s[4:5], s[0:1]
	v_mov_b32_e32 v29, 0
	v_and_b32_e32 v27, 1, v0
	v_mov_b32_e32 v31, 0
	v_mov_b32_e32 v30, 0
	;; [unrolled: 1-line block ×3, first 2 shown]
	s_xor_b64 exec, exec, s[4:5]
	s_cbranch_execz .LBB14_43
; %bb.30:
	s_ashr_i32 s15, s14, 31
	s_lshl_b64 s[0:1], s[14:15], 2
	v_and_b32_e32 v1, 4, v17
	s_add_u32 s14, s24, s0
	v_or_b32_e32 v3, 0x60, v26
	s_movk_i32 s0, 0x78
	v_lshlrev_b32_e32 v4, 3, v24
	s_addc_u32 s2, s25, s1
	s_add_i32 s15, s17, -1
	v_lshl_or_b32 v2, v26, 3, v1
	v_cmp_gt_u32_e32 vcc, s0, v3
	v_lshl_or_b32 v3, v3, 3, v1
	v_or3_b32 v32, v4, v1, 3
	v_lshlrev_b32_e32 v1, 4, v27
	s_lshl_b64 s[0:1], s[22:23], 2
	v_lshl_or_b32 v1, v24, 5, v1
	s_add_u32 s0, s20, s0
	v_add_u32_e32 v33, 0x1f0, v1
	v_and_b32_e32 v1, 60, v18
	s_addc_u32 s1, s21, s1
	v_mov_b32_e32 v4, s1
	v_add_co_u32_e64 v21, s[0:1], s0, v1
	s_mov_b32 s26, s13
	v_mov_b32_e32 v28, 0
	v_addc_co_u32_e64 v22, s[0:1], 0, v4, s[0:1]
	s_mov_b64 s[6:7], 0
	v_mov_b32_e32 v34, s2
	v_lshlrev_b32_e32 v35, 2, v2
	v_lshlrev_b32_e32 v36, 2, v3
	v_mov_b32_e32 v30, 0
	v_mov_b32_e32 v31, 0
	;; [unrolled: 1-line block ×3, first 2 shown]
	s_branch .LBB14_33
.LBB14_31:                              ;   in Loop: Header=BB14_33 Depth=1
	s_or_b64 exec, exec, s[2:3]
	s_waitcnt vmcnt(0) lgkmcnt(0)
	v_mul_f32_e32 v17, v5, v17
	v_fmac_f32_e32 v17, v6, v18
	v_fmac_f32_e32 v17, v7, v19
	;; [unrolled: 1-line block ×3, first 2 shown]
	v_add_f32_e32 v28, v28, v17
.LBB14_32:                              ;   in Loop: Header=BB14_33 Depth=1
	s_or_b64 exec, exec, s[12:13]
	s_waitcnt vmcnt(0) lgkmcnt(0)
	v_mul_f32_e32 v13, v5, v13
	v_mul_f32_e32 v9, v5, v9
	;; [unrolled: 1-line block ×3, first 2 shown]
	v_fmac_f32_e32 v13, v6, v14
	v_fmac_f32_e32 v9, v6, v10
	;; [unrolled: 1-line block ×3, first 2 shown]
	v_add_u32_e32 v24, 2, v24
	v_fmac_f32_e32 v13, v7, v15
	v_fmac_f32_e32 v9, v7, v11
	;; [unrolled: 1-line block ×3, first 2 shown]
	v_cmp_le_i32_e64 s[0:1], s17, v24
	v_fmac_f32_e32 v13, v8, v16
	v_fmac_f32_e32 v9, v8, v12
	;; [unrolled: 1-line block ×3, first 2 shown]
	s_or_b64 s[6:7], s[0:1], s[6:7]
	v_add_co_u32_e64 v21, s[0:1], 8, v21
	v_add_f32_e32 v30, v30, v13
	v_add_f32_e32 v31, v31, v9
	;; [unrolled: 1-line block ×3, first 2 shown]
	v_add_u32_e32 v32, 16, v32
	v_add_u32_e32 v33, 64, v33
	v_addc_co_u32_e64 v22, s[0:1], 0, v22, s[0:1]
	s_andn2_b64 exec, exec, s[6:7]
	s_cbranch_execz .LBB14_42
.LBB14_33:                              ; =>This Inner Loop Header: Depth=1
	global_load_dword v1, v[21:22], off
	ds_read_b128 v[5:8], v33
	v_add_u32_e32 v37, -3, v32
	s_waitcnt vmcnt(0)
	v_mad_i64_i32 v[1:2], s[0:1], v1, s26, 0
	v_lshlrev_b64 v[1:2], 2, v[1:2]
	v_add_co_u32_e64 v17, s[0:1], s14, v1
	v_addc_co_u32_e64 v18, s[0:1], v34, v2, s[0:1]
	v_add_co_u32_e64 v13, s[0:1], v17, v35
	v_addc_co_u32_e64 v14, s[0:1], 0, v18, s[0:1]
	global_load_dwordx4 v[1:4], v[13:14], off
	v_cmp_eq_u32_e64 s[0:1], s15, v24
	s_and_saveexec_b64 s[12:13], s[0:1]
	s_cbranch_execnz .LBB14_37
; %bb.34:                               ;   in Loop: Header=BB14_33 Depth=1
	s_or_b64 exec, exec, s[12:13]
	global_load_dwordx4 v[9:12], v[13:14], off offset:1024
	s_and_saveexec_b64 s[12:13], s[0:1]
	s_cbranch_execnz .LBB14_38
.LBB14_35:                              ;   in Loop: Header=BB14_33 Depth=1
	s_or_b64 exec, exec, s[12:13]
	global_load_dwordx4 v[13:16], v[13:14], off offset:2048
	s_and_saveexec_b64 s[12:13], s[0:1]
	s_cbranch_execnz .LBB14_39
.LBB14_36:                              ;   in Loop: Header=BB14_33 Depth=1
	s_or_b64 exec, exec, s[12:13]
	s_and_saveexec_b64 s[12:13], vcc
	s_cbranch_execz .LBB14_32
	s_branch .LBB14_40
.LBB14_37:                              ;   in Loop: Header=BB14_33 Depth=1
	v_cmp_gt_i32_e64 s[2:3], s33, v37
	v_add_u32_e32 v9, -2, v32
	s_waitcnt vmcnt(0)
	v_cndmask_b32_e64 v1, 0, v1, s[2:3]
	v_cmp_gt_i32_e64 s[2:3], s33, v9
	v_add_u32_e32 v9, -1, v32
	v_cndmask_b32_e64 v2, 0, v2, s[2:3]
	v_cmp_gt_i32_e64 s[2:3], s33, v9
	v_cndmask_b32_e64 v3, 0, v3, s[2:3]
	v_cmp_gt_i32_e64 s[2:3], s33, v32
	v_cndmask_b32_e64 v4, 0, v4, s[2:3]
	s_or_b64 exec, exec, s[12:13]
	global_load_dwordx4 v[9:12], v[13:14], off offset:1024
	s_and_saveexec_b64 s[12:13], s[0:1]
	s_cbranch_execz .LBB14_35
.LBB14_38:                              ;   in Loop: Header=BB14_33 Depth=1
	v_cmp_gt_i32_e64 s[2:3], s33, v37
	v_add_u32_e32 v15, -2, v32
	s_waitcnt vmcnt(0)
	v_cndmask_b32_e64 v9, 0, v9, s[2:3]
	v_cmp_gt_i32_e64 s[2:3], s33, v15
	v_add_u32_e32 v15, -1, v32
	v_cndmask_b32_e64 v10, 0, v10, s[2:3]
	v_cmp_gt_i32_e64 s[2:3], s33, v15
	v_cndmask_b32_e64 v11, 0, v11, s[2:3]
	v_cmp_gt_i32_e64 s[2:3], s33, v32
	v_cndmask_b32_e64 v12, 0, v12, s[2:3]
	s_or_b64 exec, exec, s[12:13]
	global_load_dwordx4 v[13:16], v[13:14], off offset:2048
	s_and_saveexec_b64 s[12:13], s[0:1]
	s_cbranch_execz .LBB14_36
.LBB14_39:                              ;   in Loop: Header=BB14_33 Depth=1
	v_cmp_gt_i32_e64 s[2:3], s33, v37
	v_add_u32_e32 v19, -2, v32
	s_waitcnt vmcnt(0)
	v_cndmask_b32_e64 v13, 0, v13, s[2:3]
	v_cmp_gt_i32_e64 s[2:3], s33, v19
	v_add_u32_e32 v19, -1, v32
	v_cndmask_b32_e64 v14, 0, v14, s[2:3]
	v_cmp_gt_i32_e64 s[2:3], s33, v19
	v_cndmask_b32_e64 v15, 0, v15, s[2:3]
	v_cmp_gt_i32_e64 s[2:3], s33, v32
	v_cndmask_b32_e64 v16, 0, v16, s[2:3]
	s_or_b64 exec, exec, s[12:13]
	s_and_saveexec_b64 s[12:13], vcc
	s_cbranch_execz .LBB14_32
.LBB14_40:                              ;   in Loop: Header=BB14_33 Depth=1
	v_add_co_u32_e64 v17, s[2:3], v17, v36
	v_addc_co_u32_e64 v18, s[2:3], 0, v18, s[2:3]
	global_load_dwordx4 v[17:20], v[17:18], off
	s_and_saveexec_b64 s[2:3], s[0:1]
	s_cbranch_execz .LBB14_31
; %bb.41:                               ;   in Loop: Header=BB14_33 Depth=1
	v_cmp_gt_i32_e64 s[0:1], s33, v37
	v_add_u32_e32 v37, -2, v32
	s_waitcnt vmcnt(0)
	v_cndmask_b32_e64 v17, 0, v17, s[0:1]
	v_cmp_gt_i32_e64 s[0:1], s33, v37
	v_add_u32_e32 v37, -1, v32
	v_cndmask_b32_e64 v18, 0, v18, s[0:1]
	v_cmp_gt_i32_e64 s[0:1], s33, v37
	v_cndmask_b32_e64 v19, 0, v19, s[0:1]
	v_cmp_gt_i32_e64 s[0:1], s33, v32
	v_cndmask_b32_e64 v20, 0, v20, s[0:1]
	s_branch .LBB14_31
.LBB14_42:
	s_or_b64 exec, exec, s[6:7]
.LBB14_43:
	s_or_b64 exec, exec, s[4:5]
	ds_bpermute_b32 v2, v25, v31
	ds_bpermute_b32 v5, v25, v30
	;; [unrolled: 1-line block ×4, first 2 shown]
	v_cmp_eq_u32_e32 vcc, 0, v27
	s_waitcnt lgkmcnt(3)
	v_add_f32_e32 v3, v31, v2
	s_waitcnt lgkmcnt(2)
	v_add_f32_e32 v2, v30, v5
	v_and_b32_e32 v5, 0x3c0, v0
	s_waitcnt lgkmcnt(1)
	v_add_f32_e32 v4, v29, v1
	s_waitcnt lgkmcnt(0)
	v_add_f32_e32 v1, v28, v6
	v_cmp_eq_u32_e64 s[0:1], 64, v5
	s_barrier
	s_and_saveexec_b64 s[2:3], s[0:1]
	s_cbranch_execz .LBB14_48
; %bb.44:
	s_and_saveexec_b64 s[0:1], vcc
	s_cbranch_execz .LBB14_46
; %bb.45:
	v_mov_b32_e32 v5, 0x1f0
	v_lshl_add_u32 v5, v26, 2, v5
	ds_write2_b32 v5, v4, v3 offset1:32
	ds_write_b32 v5, v2 offset:256
.LBB14_46:
	s_or_b64 exec, exec, s[0:1]
	v_or_b32_e32 v5, 0x60, v26
	s_movk_i32 s0, 0x78
	v_cmp_gt_u32_e64 s[0:1], s0, v5
	s_and_b64 s[0:1], vcc, s[0:1]
	s_and_b64 exec, exec, s[0:1]
; %bb.47:
	v_mov_b32_e32 v5, 0x1f0
	v_lshl_add_u32 v5, v26, 2, v5
	ds_write_b32 v5, v1 offset:384
.LBB14_48:
	s_or_b64 exec, exec, s[2:3]
	v_cmp_gt_u32_e64 s[0:1], 64, v0
	s_waitcnt lgkmcnt(0)
	s_barrier
	s_and_saveexec_b64 s[4:5], s[0:1]
	s_cbranch_execz .LBB14_58
; %bb.49:
	s_and_saveexec_b64 s[2:3], vcc
	s_cbranch_execz .LBB14_51
; %bb.50:
	v_mov_b32_e32 v0, 0x1f0
	v_lshl_add_u32 v0, v23, 2, v0
	ds_read_b32 v0, v0
	s_waitcnt lgkmcnt(0)
	v_add_f32_e32 v4, v4, v0
.LBB14_51:
	s_or_b64 exec, exec, s[2:3]
	v_or_b32_e32 v0, 32, v23
	s_movk_i32 s6, 0x78
	v_cmp_gt_u32_e64 s[2:3], s6, v0
	s_and_b64 s[12:13], vcc, s[2:3]
	s_and_saveexec_b64 s[2:3], s[12:13]
	s_cbranch_execz .LBB14_53
; %bb.52:
	v_mov_b32_e32 v0, 0x1f0
	v_lshl_add_u32 v0, v23, 2, v0
	ds_read_b32 v0, v0 offset:128
	s_waitcnt lgkmcnt(0)
	v_add_f32_e32 v3, v3, v0
.LBB14_53:
	s_or_b64 exec, exec, s[2:3]
	v_or_b32_e32 v0, 64, v23
	v_cmp_gt_u32_e64 s[2:3], s6, v0
	s_and_b64 s[6:7], vcc, s[2:3]
	s_and_saveexec_b64 s[2:3], s[6:7]
	s_cbranch_execz .LBB14_55
; %bb.54:
	v_mov_b32_e32 v0, 0x1f0
	v_lshl_add_u32 v0, v23, 2, v0
	ds_read_b32 v0, v0 offset:256
	s_waitcnt lgkmcnt(0)
	v_add_f32_e32 v2, v2, v0
.LBB14_55:
	s_or_b64 exec, exec, s[2:3]
	v_or_b32_e32 v0, 0x60, v23
	s_movk_i32 s2, 0x78
	v_cmp_gt_u32_e64 s[2:3], s2, v0
	s_and_b64 s[6:7], vcc, s[2:3]
	s_and_saveexec_b64 s[2:3], s[6:7]
	s_cbranch_execz .LBB14_57
; %bb.56:
	v_mov_b32_e32 v0, 0x1f0
	v_lshl_add_u32 v0, v23, 2, v0
	ds_read_b32 v0, v0 offset:384
	s_waitcnt lgkmcnt(0)
	v_add_f32_e32 v1, v1, v0
.LBB14_57:
	s_or_b64 exec, exec, s[2:3]
.LBB14_58:
	s_or_b64 exec, exec, s[4:5]
	s_barrier
	s_and_saveexec_b64 s[2:3], s[0:1]
	s_cbranch_execz .LBB14_67
; %bb.59:
	s_mul_i32 s0, s10, s11
	s_mul_i32 s0, s0, s9
	s_mulk_i32 s0, 0x78
	s_ashr_i32 s1, s0, 31
	s_lshl_b64 s[0:1], s[0:1], 2
	s_add_u32 s2, s18, s0
	s_mul_i32 s0, s11, s16
	s_addc_u32 s3, s19, s1
	s_ashr_i32 s1, s0, 31
	s_lshl_b64 s[0:1], s[0:1], 2
	s_add_u32 s2, s2, s0
	s_mul_i32 s0, s8, 0x78
	s_addc_u32 s3, s3, s1
	s_ashr_i32 s1, s0, 31
	s_lshl_b64 s[0:1], s[0:1], 2
	s_add_u32 s2, s2, s0
	s_movk_i32 s4, 0x78
	s_addc_u32 s3, s3, s1
	v_lshlrev_b32_e32 v0, 2, v23
	s_and_saveexec_b64 s[0:1], vcc
	s_cbranch_execz .LBB14_61
; %bb.60:
	global_store_dword v0, v4, s[2:3]
.LBB14_61:
	s_or_b64 exec, exec, s[0:1]
	v_or_b32_e32 v4, 32, v23
	v_cmp_gt_u32_e64 s[0:1], s4, v4
	s_and_b64 s[4:5], vcc, s[0:1]
	s_and_saveexec_b64 s[0:1], s[4:5]
	s_cbranch_execz .LBB14_63
; %bb.62:
	global_store_dword v0, v3, s[2:3] offset:128
.LBB14_63:
	s_or_b64 exec, exec, s[0:1]
	v_or_b32_e32 v3, 64, v23
	s_movk_i32 s4, 0x78
	v_cmp_gt_u32_e64 s[0:1], s4, v3
	s_and_b64 s[6:7], vcc, s[0:1]
	s_and_saveexec_b64 s[0:1], s[6:7]
	s_cbranch_execz .LBB14_65
; %bb.64:
	global_store_dword v0, v2, s[2:3] offset:256
.LBB14_65:
	s_or_b64 exec, exec, s[0:1]
	v_or_b32_e32 v2, 0x60, v23
	v_cmp_gt_u32_e64 s[0:1], s4, v2
	s_and_b64 s[0:1], vcc, s[0:1]
	s_and_b64 exec, exec, s[0:1]
	s_cbranch_execz .LBB14_67
; %bb.66:
	global_store_dword v0, v1, s[2:3] offset:384
.LBB14_67:
	s_endpgm
	.section	.rodata,"a",@progbits
	.p2align	6, 0x0
	.amdhsa_kernel _ZN4vllm25paged_attention_v1_kernelIffLi120ELi8ELi128ELNS_18Fp8KVCacheDataTypeE0ELb0EEEvPT_PKS2_PKT0_S8_ifPKiSA_iPKfiiiSC_SC_iiiii
		.amdhsa_group_segment_fixed_size 496
		.amdhsa_private_segment_fixed_size 0
		.amdhsa_kernarg_size 384
		.amdhsa_user_sgpr_count 6
		.amdhsa_user_sgpr_private_segment_buffer 1
		.amdhsa_user_sgpr_dispatch_ptr 0
		.amdhsa_user_sgpr_queue_ptr 0
		.amdhsa_user_sgpr_kernarg_segment_ptr 1
		.amdhsa_user_sgpr_dispatch_id 0
		.amdhsa_user_sgpr_flat_scratch_init 0
		.amdhsa_user_sgpr_private_segment_size 0
		.amdhsa_uses_dynamic_stack 0
		.amdhsa_system_sgpr_private_segment_wavefront_offset 0
		.amdhsa_system_sgpr_workgroup_id_x 1
		.amdhsa_system_sgpr_workgroup_id_y 1
		.amdhsa_system_sgpr_workgroup_id_z 1
		.amdhsa_system_sgpr_workgroup_info 0
		.amdhsa_system_vgpr_workitem_id 0
		.amdhsa_next_free_vgpr 50
		.amdhsa_next_free_sgpr 34
		.amdhsa_reserve_vcc 1
		.amdhsa_reserve_flat_scratch 0
		.amdhsa_float_round_mode_32 0
		.amdhsa_float_round_mode_16_64 0
		.amdhsa_float_denorm_mode_32 3
		.amdhsa_float_denorm_mode_16_64 3
		.amdhsa_dx10_clamp 1
		.amdhsa_ieee_mode 1
		.amdhsa_fp16_overflow 0
		.amdhsa_exception_fp_ieee_invalid_op 0
		.amdhsa_exception_fp_denorm_src 0
		.amdhsa_exception_fp_ieee_div_zero 0
		.amdhsa_exception_fp_ieee_overflow 0
		.amdhsa_exception_fp_ieee_underflow 0
		.amdhsa_exception_fp_ieee_inexact 0
		.amdhsa_exception_int_div_zero 0
	.end_amdhsa_kernel
	.section	.text._ZN4vllm25paged_attention_v1_kernelIffLi120ELi8ELi128ELNS_18Fp8KVCacheDataTypeE0ELb0EEEvPT_PKS2_PKT0_S8_ifPKiSA_iPKfiiiSC_SC_iiiii,"axG",@progbits,_ZN4vllm25paged_attention_v1_kernelIffLi120ELi8ELi128ELNS_18Fp8KVCacheDataTypeE0ELb0EEEvPT_PKS2_PKT0_S8_ifPKiSA_iPKfiiiSC_SC_iiiii,comdat
.Lfunc_end14:
	.size	_ZN4vllm25paged_attention_v1_kernelIffLi120ELi8ELi128ELNS_18Fp8KVCacheDataTypeE0ELb0EEEvPT_PKS2_PKT0_S8_ifPKiSA_iPKfiiiSC_SC_iiiii, .Lfunc_end14-_ZN4vllm25paged_attention_v1_kernelIffLi120ELi8ELi128ELNS_18Fp8KVCacheDataTypeE0ELb0EEEvPT_PKS2_PKT0_S8_ifPKiSA_iPKfiiiSC_SC_iiiii
                                        ; -- End function
	.set _ZN4vllm25paged_attention_v1_kernelIffLi120ELi8ELi128ELNS_18Fp8KVCacheDataTypeE0ELb0EEEvPT_PKS2_PKT0_S8_ifPKiSA_iPKfiiiSC_SC_iiiii.num_vgpr, 50
	.set _ZN4vllm25paged_attention_v1_kernelIffLi120ELi8ELi128ELNS_18Fp8KVCacheDataTypeE0ELb0EEEvPT_PKS2_PKT0_S8_ifPKiSA_iPKfiiiSC_SC_iiiii.num_agpr, 0
	.set _ZN4vllm25paged_attention_v1_kernelIffLi120ELi8ELi128ELNS_18Fp8KVCacheDataTypeE0ELb0EEEvPT_PKS2_PKT0_S8_ifPKiSA_iPKfiiiSC_SC_iiiii.numbered_sgpr, 34
	.set _ZN4vllm25paged_attention_v1_kernelIffLi120ELi8ELi128ELNS_18Fp8KVCacheDataTypeE0ELb0EEEvPT_PKS2_PKT0_S8_ifPKiSA_iPKfiiiSC_SC_iiiii.num_named_barrier, 0
	.set _ZN4vllm25paged_attention_v1_kernelIffLi120ELi8ELi128ELNS_18Fp8KVCacheDataTypeE0ELb0EEEvPT_PKS2_PKT0_S8_ifPKiSA_iPKfiiiSC_SC_iiiii.private_seg_size, 0
	.set _ZN4vllm25paged_attention_v1_kernelIffLi120ELi8ELi128ELNS_18Fp8KVCacheDataTypeE0ELb0EEEvPT_PKS2_PKT0_S8_ifPKiSA_iPKfiiiSC_SC_iiiii.uses_vcc, 1
	.set _ZN4vllm25paged_attention_v1_kernelIffLi120ELi8ELi128ELNS_18Fp8KVCacheDataTypeE0ELb0EEEvPT_PKS2_PKT0_S8_ifPKiSA_iPKfiiiSC_SC_iiiii.uses_flat_scratch, 0
	.set _ZN4vllm25paged_attention_v1_kernelIffLi120ELi8ELi128ELNS_18Fp8KVCacheDataTypeE0ELb0EEEvPT_PKS2_PKT0_S8_ifPKiSA_iPKfiiiSC_SC_iiiii.has_dyn_sized_stack, 0
	.set _ZN4vllm25paged_attention_v1_kernelIffLi120ELi8ELi128ELNS_18Fp8KVCacheDataTypeE0ELb0EEEvPT_PKS2_PKT0_S8_ifPKiSA_iPKfiiiSC_SC_iiiii.has_recursion, 0
	.set _ZN4vllm25paged_attention_v1_kernelIffLi120ELi8ELi128ELNS_18Fp8KVCacheDataTypeE0ELb0EEEvPT_PKS2_PKT0_S8_ifPKiSA_iPKfiiiSC_SC_iiiii.has_indirect_call, 0
	.section	.AMDGPU.csdata,"",@progbits
; Kernel info:
; codeLenInByte = 3800
; TotalNumSgprs: 38
; NumVgprs: 50
; ScratchSize: 0
; MemoryBound: 0
; FloatMode: 240
; IeeeMode: 1
; LDSByteSize: 496 bytes/workgroup (compile time only)
; SGPRBlocks: 4
; VGPRBlocks: 12
; NumSGPRsForWavesPerEU: 38
; NumVGPRsForWavesPerEU: 50
; Occupancy: 4
; WaveLimiterHint : 1
; COMPUTE_PGM_RSRC2:SCRATCH_EN: 0
; COMPUTE_PGM_RSRC2:USER_SGPR: 6
; COMPUTE_PGM_RSRC2:TRAP_HANDLER: 0
; COMPUTE_PGM_RSRC2:TGID_X_EN: 1
; COMPUTE_PGM_RSRC2:TGID_Y_EN: 1
; COMPUTE_PGM_RSRC2:TGID_Z_EN: 1
; COMPUTE_PGM_RSRC2:TIDIG_COMP_CNT: 0
	.section	.text._ZN4vllm25paged_attention_v1_kernelIffLi128ELi8ELi128ELNS_18Fp8KVCacheDataTypeE0ELb0EEEvPT_PKS2_PKT0_S8_ifPKiSA_iPKfiiiSC_SC_iiiii,"axG",@progbits,_ZN4vllm25paged_attention_v1_kernelIffLi128ELi8ELi128ELNS_18Fp8KVCacheDataTypeE0ELb0EEEvPT_PKS2_PKT0_S8_ifPKiSA_iPKfiiiSC_SC_iiiii,comdat
	.protected	_ZN4vllm25paged_attention_v1_kernelIffLi128ELi8ELi128ELNS_18Fp8KVCacheDataTypeE0ELb0EEEvPT_PKS2_PKT0_S8_ifPKiSA_iPKfiiiSC_SC_iiiii ; -- Begin function _ZN4vllm25paged_attention_v1_kernelIffLi128ELi8ELi128ELNS_18Fp8KVCacheDataTypeE0ELb0EEEvPT_PKS2_PKT0_S8_ifPKiSA_iPKfiiiSC_SC_iiiii
	.globl	_ZN4vllm25paged_attention_v1_kernelIffLi128ELi8ELi128ELNS_18Fp8KVCacheDataTypeE0ELb0EEEvPT_PKS2_PKT0_S8_ifPKiSA_iPKfiiiSC_SC_iiiii
	.p2align	8
	.type	_ZN4vllm25paged_attention_v1_kernelIffLi128ELi8ELi128ELNS_18Fp8KVCacheDataTypeE0ELb0EEEvPT_PKS2_PKT0_S8_ifPKiSA_iPKfiiiSC_SC_iiiii,@function
_ZN4vllm25paged_attention_v1_kernelIffLi128ELi8ELi128ELNS_18Fp8KVCacheDataTypeE0ELb0EEEvPT_PKS2_PKT0_S8_ifPKiSA_iPKfiiiSC_SC_iiiii: ; @_ZN4vllm25paged_attention_v1_kernelIffLi128ELi8ELi128ELNS_18Fp8KVCacheDataTypeE0ELb0EEEvPT_PKS2_PKT0_S8_ifPKiSA_iPKfiiiSC_SC_iiiii
; %bb.0:
	s_load_dword s9, s[4:5], 0x80
	s_load_dwordx2 s[0:1], s[4:5], 0x30
	s_load_dwordx2 s[26:27], s[4:5], 0x20
	s_mov_b32 s10, s7
	s_ashr_i32 s11, s7, 31
	s_lshl_b64 s[2:3], s[10:11], 2
	s_waitcnt lgkmcnt(0)
	s_add_u32 s0, s0, s2
	s_addc_u32 s1, s1, s3
	s_abs_i32 s2, s26
	v_cvt_f32_u32_e32 v1, s2
	s_sub_i32 s11, 0, s2
	s_abs_i32 s7, s9
	s_xor_b32 s3, s9, s26
	v_rcp_iflag_f32_e32 v1, v1
	s_ashr_i32 s3, s3, 31
	s_mov_b32 s26, 0
	v_mul_f32_e32 v1, 0x4f7ffffe, v1
	v_cvt_u32_f32_e32 v1, v1
	v_readfirstlane_b32 s12, v1
	s_mul_i32 s11, s11, s12
	s_mul_hi_u32 s11, s12, s11
	s_add_i32 s12, s12, s11
	s_mul_hi_u32 s11, s7, s12
	s_mul_i32 s12, s11, s2
	s_sub_i32 s7, s7, s12
	s_add_i32 s12, s11, 1
	s_sub_i32 s13, s7, s2
	s_cmp_ge_u32 s7, s2
	s_cselect_b32 s11, s12, s11
	s_cselect_b32 s7, s13, s7
	s_add_i32 s12, s11, 1
	s_cmp_ge_u32 s7, s2
	s_cselect_b32 s2, s12, s11
	s_xor_b32 s2, s2, s3
	s_sub_i32 s12, s2, s3
	s_abs_i32 s11, s12
	v_cvt_f32_u32_e32 v1, s11
	s_load_dwordx2 s[2:3], s[4:5], 0x40
	s_sub_i32 s7, 0, s11
	s_abs_i32 s18, s6
	v_rcp_iflag_f32_e32 v1, v1
	v_mul_f32_e32 v1, 0x4f7ffffe, v1
	v_cvt_u32_f32_e32 v1, v1
	v_readfirstlane_b32 s13, v1
	s_mul_i32 s7, s7, s13
	s_mul_hi_u32 s7, s13, s7
	s_add_i32 s13, s13, s7
	s_waitcnt lgkmcnt(0)
	s_cmp_eq_u64 s[2:3], 0
	s_mul_hi_u32 s19, s18, s13
	s_cbranch_scc1 .LBB15_2
; %bb.1:
	s_ashr_i32 s7, s6, 31
	s_lshl_b64 s[14:15], s[6:7], 2
	s_add_u32 s2, s2, s14
	s_addc_u32 s3, s3, s15
	s_load_dword s26, s[2:3], 0x0
.LBB15_2:
	s_load_dword s33, s[0:1], 0x0
	s_ashr_i32 s3, s12, 31
	s_load_dwordx4 s[12:15], s[4:5], 0x48
	s_movk_i32 s0, 0x80
	s_ashr_i32 s2, s6, 31
	v_and_b32_e32 v1, 7, v0
	s_lshl_b32 s16, s6, 7
	v_cmp_gt_u32_e32 vcc, s0, v0
	v_lshlrev_b32_e32 v19, 2, v0
	v_lshrrev_b32_e32 v23, 1, v0
	s_and_saveexec_b64 s[0:1], vcc
	s_cbranch_execz .LBB15_4
; %bb.3:
	s_load_dwordx2 s[6:7], s[4:5], 0x8
	s_waitcnt lgkmcnt(0)
	s_mul_i32 s20, s12, s10
	s_ashr_i32 s21, s20, 31
	s_lshl_b64 s[20:21], s[20:21], 2
	v_and_b32_e32 v3, 0x1fc, v23
	s_add_u32 s12, s6, s20
	s_addc_u32 s15, s7, s21
	s_ashr_i32 s17, s16, 31
	s_lshl_b64 s[6:7], s[16:17], 2
	s_add_u32 s6, s12, s6
	s_addc_u32 s7, s15, s7
	global_load_dword v2, v19, s[6:7]
	v_lshl_add_u32 v3, v1, 6, v3
	s_waitcnt vmcnt(0)
	ds_write_b32 v3, v2
.LBB15_4:
	s_or_b64 exec, exec, s[0:1]
	s_waitcnt lgkmcnt(0)
	s_add_i32 s1, s33, 7
	s_ashr_i32 s6, s1, 31
	s_lshr_b32 s6, s6, 29
	s_add_i32 s1, s1, s6
	s_ashr_i32 s12, s1, 3
	s_xor_b32 s1, s2, s3
	s_mul_i32 s2, s19, s11
	s_sub_i32 s2, s18, s2
	s_add_i32 s3, s19, 1
	s_sub_i32 s6, s2, s11
	s_load_dwordx2 s[20:21], s[4:5], 0x28
	s_load_dword s0, s[4:5], 0x38
	s_cmp_ge_u32 s2, s11
	s_cselect_b32 s3, s3, s19
	s_cselect_b32 s2, s6, s2
	s_add_i32 s6, s3, 1
	s_cmp_ge_u32 s2, s11
	s_cselect_b32 s2, s6, s3
	v_lshrrev_b32_e32 v24, 6, v0
	s_xor_b32 s2, s2, s1
	s_waitcnt lgkmcnt(0)
	s_mul_i32 s22, s0, s10
	s_sub_i32 s15, s2, s1
	s_ashr_i32 s23, s22, 31
	v_cmp_gt_i32_e64 s[0:1], s12, v24
	v_cmp_le_i32_e32 vcc, s12, v24
	v_mbcnt_lo_u32_b32 v2, -1, 0
	s_barrier
                                        ; implicit-def: $vgpr21
                                        ; implicit-def: $vgpr27
                                        ; implicit-def: $vgpr22
	s_and_saveexec_b64 s[2:3], vcc
	s_xor_b64 s[2:3], exec, s[2:3]
; %bb.5:
	v_mbcnt_hi_u32_b32 v21, -1, v2
	v_and_b32_e32 v27, 64, v21
	v_add_u32_e32 v22, 64, v27
                                        ; implicit-def: $vgpr1
                                        ; implicit-def: $vgpr2
; %bb.6:
	s_or_saveexec_b64 s[6:7], s[2:3]
	s_load_dwordx2 s[18:19], s[4:5], 0x0
	s_load_dwordx2 s[24:25], s[4:5], 0x18
	s_load_dword s11, s[4:5], 0x88
	v_mov_b32_e32 v29, 0xff7fffff
	s_mul_i32 s14, s15, s14
	v_lshrrev_b32_e32 v20, 4, v0
	s_xor_b64 exec, exec, s[6:7]
	s_cbranch_execz .LBB15_12
; %bb.7:
	s_load_dwordx2 s[2:3], s[4:5], 0x10
	s_ashr_i32 s15, s14, 31
	s_lshl_b64 s[4:5], s[14:15], 2
	v_bfe_u32 v3, v0, 3, 3
	v_lshlrev_b32_e32 v5, 4, v3
	s_waitcnt lgkmcnt(0)
	s_add_u32 s2, s2, s4
	s_addc_u32 s3, s3, s5
	v_mov_b32_e32 v6, s3
	v_add_co_u32_e32 v5, vcc, s2, v5
	v_and_b32_e32 v7, 3, v0
	v_addc_co_u32_e32 v6, vcc, 0, v6, vcc
	v_lshlrev_b32_e32 v7, 2, v7
	v_mbcnt_hi_u32_b32 v21, -1, v2
	v_add_co_u32_e32 v5, vcc, v5, v7
	v_and_b32_e32 v27, 64, v21
	v_addc_co_u32_e32 v6, vcc, 0, v6, vcc
	v_add_u32_e32 v22, 64, v27
	v_xor_b32_e32 v2, 4, v21
	v_cmp_lt_i32_e32 vcc, v2, v22
	v_cndmask_b32_e32 v2, v21, v2, vcc
	v_lshlrev_b32_e32 v25, 2, v2
	v_xor_b32_e32 v2, 2, v21
	v_cmp_lt_i32_e32 vcc, v2, v22
	v_cndmask_b32_e32 v2, v21, v2, vcc
	v_lshlrev_b32_e32 v26, 2, v2
	v_xor_b32_e32 v2, 1, v21
	v_cmp_lt_i32_e32 vcc, v2, v22
	v_lshlrev_b32_e32 v13, 6, v1
	v_cndmask_b32_e32 v2, v21, v2, vcc
	v_cmp_eq_u32_e32 vcc, 0, v1
	v_lshlrev_b32_e32 v1, 5, v0
	v_lshlrev_b32_e32 v4, 2, v3
	v_and_b32_e32 v1, 0x80, v1
	v_add_co_u32_e64 v30, s[4:5], v5, v1
	v_lshl_or_b32 v1, v24, 5, v4
	v_lshlrev_b32_e32 v28, 2, v2
	v_addc_co_u32_e64 v31, s[4:5], 0, v6, s[4:5]
	v_lshl_or_b32 v32, v24, 3, v3
	v_add_u32_e32 v33, 0x210, v1
	ds_read_b128 v[1:4], v13
	ds_read_b128 v[5:8], v13 offset:16
	ds_read_b128 v[9:12], v13 offset:32
	ds_read_b128 v[13:16], v13 offset:48
	s_sub_i32 s15, 1, s33
	s_lshl_b64 s[4:5], s[22:23], 2
	s_add_u32 s4, s20, s4
	v_and_b32_e32 v17, 60, v20
	s_addc_u32 s5, s21, s5
	v_mov_b32_e32 v18, s5
	v_add_co_u32_e64 v17, s[4:5], s4, v17
	s_mov_b32 s17, s13
	v_cmp_neq_f32_e64 s[2:3], s26, 0
	v_addc_co_u32_e64 v18, s[4:5], 0, v18, s[4:5]
	v_mov_b32_e32 v29, 0xff7fffff
	s_mov_b64 s[28:29], 0
	v_mov_b32_e32 v34, v24
	s_branch .LBB15_9
.LBB15_8:                               ;   in Loop: Header=BB15_9 Depth=1
	s_or_b64 exec, exec, s[30:31]
	v_add_u32_e32 v34, 2, v34
	v_cmp_le_i32_e64 s[4:5], s12, v34
	s_or_b64 s[28:29], s[4:5], s[28:29]
	v_add_co_u32_e64 v17, s[4:5], 8, v17
	v_add_u32_e32 v32, 16, v32
	v_add_u32_e32 v33, 64, v33
	v_addc_co_u32_e64 v18, s[4:5], 0, v18, s[4:5]
	s_andn2_b64 exec, exec, s[28:29]
	s_cbranch_execz .LBB15_11
.LBB15_9:                               ; =>This Inner Loop Header: Depth=1
	global_load_dword v35, v[17:18], off
	s_waitcnt vmcnt(0) lgkmcnt(0)
	v_mad_i64_i32 v[35:36], s[4:5], v35, s17, 0
	v_lshlrev_b64 v[35:36], 2, v[35:36]
	v_add_co_u32_e64 v35, s[4:5], v30, v35
	v_addc_co_u32_e64 v36, s[4:5], v31, v36, s[4:5]
	global_load_dword v37, v[35:36], off offset:256
	global_load_dword v38, v[35:36], off offset:512
	;; [unrolled: 1-line block ×7, first 2 shown]
	global_load_dword v44, v[35:36], off
	global_load_dword v45, v[35:36], off offset:2048
	global_load_dword v46, v[35:36], off offset:2304
	;; [unrolled: 1-line block ×7, first 2 shown]
	s_nop 0
	global_load_dword v35, v[35:36], off offset:3840
	s_waitcnt vmcnt(15) lgkmcnt(3)
	v_mul_f32_e32 v36, v2, v37
	s_waitcnt vmcnt(8)
	v_fmac_f32_e32 v36, v1, v44
	v_fmac_f32_e32 v36, v3, v38
	v_fmac_f32_e32 v36, v4, v39
	s_waitcnt lgkmcnt(2)
	v_fmac_f32_e32 v36, v5, v40
	v_fmac_f32_e32 v36, v6, v41
	;; [unrolled: 1-line block ×4, first 2 shown]
	s_waitcnt vmcnt(7) lgkmcnt(1)
	v_fmac_f32_e32 v36, v9, v45
	s_waitcnt vmcnt(6)
	v_fmac_f32_e32 v36, v10, v46
	s_waitcnt vmcnt(5)
	;; [unrolled: 2-line block ×3, first 2 shown]
	v_fmac_f32_e32 v36, v12, v48
	s_waitcnt vmcnt(3) lgkmcnt(0)
	v_fmac_f32_e32 v36, v13, v49
	s_waitcnt vmcnt(2)
	v_fmac_f32_e32 v36, v14, v50
	s_waitcnt vmcnt(1)
	;; [unrolled: 2-line block ×3, first 2 shown]
	v_fmac_f32_e32 v36, v16, v35
	ds_bpermute_b32 v35, v25, v36
	s_waitcnt lgkmcnt(0)
	v_add_f32_e32 v35, v36, v35
	ds_bpermute_b32 v36, v26, v35
	s_waitcnt lgkmcnt(0)
	v_add_f32_e32 v35, v35, v36
	ds_bpermute_b32 v36, v28, v35
	s_and_saveexec_b64 s[30:31], vcc
	s_cbranch_execz .LBB15_8
; %bb.10:                               ;   in Loop: Header=BB15_9 Depth=1
	v_add_u32_e32 v37, s15, v32
	v_cvt_f32_i32_e32 v37, v37
	s_waitcnt lgkmcnt(0)
	v_add_f32_e32 v35, v35, v36
	v_cmp_gt_i32_e64 s[4:5], s33, v32
	v_max_f32_e32 v36, v29, v29
	v_mul_f32_e32 v37, s26, v37
	v_cndmask_b32_e64 v37, 0, v37, s[2:3]
	v_fmac_f32_e32 v37, s27, v35
	v_cndmask_b32_e64 v35, 0, v37, s[4:5]
	ds_write_b32 v33, v35
	v_max_f32_e32 v35, v36, v37
	v_cndmask_b32_e64 v29, v29, v35, s[4:5]
	s_branch .LBB15_8
.LBB15_11:
	s_or_b64 exec, exec, s[28:29]
.LBB15_12:
	s_or_b64 exec, exec, s[6:7]
	v_xor_b32_e32 v1, 32, v21
	v_cmp_lt_i32_e32 vcc, v1, v22
	v_cndmask_b32_e32 v1, v21, v1, vcc
	v_lshlrev_b32_e32 v2, 2, v1
	ds_bpermute_b32 v1, v2, v29
	v_xor_b32_e32 v4, 16, v21
	v_max_f32_e32 v3, v29, v29
	v_cmp_lt_i32_e32 vcc, v4, v22
	v_xor_b32_e32 v5, 8, v21
	s_waitcnt lgkmcnt(0)
	v_max_f32_e32 v1, v1, v1
	v_max_f32_e32 v1, v3, v1
	v_cndmask_b32_e32 v3, v21, v4, vcc
	v_lshlrev_b32_e32 v4, 2, v3
	ds_bpermute_b32 v3, v4, v1
	v_cmp_lt_i32_e32 vcc, v5, v22
	v_and_b32_e32 v25, 63, v0
	s_waitcnt lgkmcnt(0)
	v_max_f32_e32 v3, v3, v3
	v_max_f32_e32 v3, v1, v3
	v_cndmask_b32_e32 v1, v21, v5, vcc
	v_lshlrev_b32_e32 v5, 2, v1
	ds_bpermute_b32 v6, v5, v3
	v_cmp_eq_u32_e32 vcc, 0, v25
	v_lshlrev_b32_e32 v1, 2, v24
	s_and_saveexec_b64 s[2:3], vcc
	s_cbranch_execz .LBB15_14
; %bb.13:
	s_waitcnt lgkmcnt(0)
	v_max_f32_e32 v6, v6, v6
	v_max_f32_e32 v3, v3, v3
	;; [unrolled: 1-line block ×3, first 2 shown]
	ds_write_b32 v1, v3 offset:512
.LBB15_14:
	s_or_b64 exec, exec, s[2:3]
	v_cmp_gt_u32_e64 s[2:3], 2, v25
	s_waitcnt lgkmcnt(0)
	v_mov_b32_e32 v6, 0xff7fffff
	v_lshlrev_b32_e32 v3, 2, v25
	s_barrier
	s_and_saveexec_b64 s[4:5], s[2:3]
; %bb.15:
	ds_read_b32 v6, v3 offset:512
; %bb.16:
	s_or_b64 exec, exec, s[4:5]
	v_xor_b32_e32 v7, 1, v21
	v_cmp_lt_i32_e64 s[4:5], v7, v22
	v_cndmask_b32_e64 v7, v21, v7, s[4:5]
	v_lshlrev_b32_e32 v26, 2, v7
	s_waitcnt lgkmcnt(0)
	ds_bpermute_b32 v7, v26, v6
	v_max_f32_e32 v6, v6, v6
	s_lshl_b32 s4, s12, 3
	s_min_i32 s15, s4, s33
	v_cmp_gt_i32_e64 s[4:5], s15, v0
	s_waitcnt lgkmcnt(0)
	v_max_f32_e32 v7, v7, v7
	v_max_f32_e32 v6, v6, v7
	v_lshlrev_b32_e32 v7, 2, v27
	ds_bpermute_b32 v7, v7, v6
	v_mov_b32_e32 v6, 0
	s_and_saveexec_b64 s[26:27], s[4:5]
	s_cbranch_execz .LBB15_20
; %bb.17:
	v_mov_b32_e32 v6, 0x210
	v_lshl_add_u32 v8, v0, 2, v6
	v_mov_b32_e32 v6, 0
	s_mov_b64 s[28:29], 0
	v_mov_b32_e32 v9, v0
.LBB15_18:                              ; =>This Inner Loop Header: Depth=1
	ds_read_b32 v10, v8
	v_add_u32_e32 v9, 0x80, v9
	v_cmp_le_i32_e64 s[6:7], s15, v9
	s_or_b64 s[28:29], s[6:7], s[28:29]
	s_waitcnt lgkmcnt(0)
	v_sub_f32_e32 v10, v10, v7
	v_mul_f32_e32 v10, 0x3fb8aa3b, v10
	v_exp_f32_e32 v10, v10
	ds_write_b32 v8, v10
	v_add_f32_e32 v6, v6, v10
	v_add_u32_e32 v8, 0x200, v8
	s_andn2_b64 exec, exec, s[28:29]
	s_cbranch_execnz .LBB15_18
; %bb.19:
	s_or_b64 exec, exec, s[28:29]
.LBB15_20:
	s_or_b64 exec, exec, s[26:27]
	ds_bpermute_b32 v2, v2, v6
	s_waitcnt lgkmcnt(0)
	v_add_f32_e32 v2, v6, v2
	ds_bpermute_b32 v4, v4, v2
	s_waitcnt lgkmcnt(0)
	v_add_f32_e32 v2, v2, v4
	ds_bpermute_b32 v4, v5, v2
	v_xor_b32_e32 v5, 4, v21
	v_cmp_lt_i32_e64 s[6:7], v5, v22
	v_cndmask_b32_e64 v5, v21, v5, s[6:7]
	v_lshlrev_b32_e32 v5, 2, v5
	s_waitcnt lgkmcnt(0)
	v_add_f32_e32 v2, v2, v4
	ds_bpermute_b32 v4, v5, v2
	v_xor_b32_e32 v5, 2, v21
	v_cmp_lt_i32_e64 s[6:7], v5, v22
	v_cndmask_b32_e64 v5, v21, v5, s[6:7]
	s_waitcnt lgkmcnt(0)
	v_add_f32_e32 v2, v2, v4
	v_lshlrev_b32_e32 v4, 2, v5
	ds_bpermute_b32 v4, v4, v2
	s_waitcnt lgkmcnt(0)
	v_add_f32_e32 v2, v2, v4
	ds_bpermute_b32 v4, v26, v2
	s_waitcnt lgkmcnt(0)
	v_add_f32_e32 v2, v2, v4
	s_and_saveexec_b64 s[6:7], vcc
; %bb.21:
	ds_write_b32 v1, v2 offset:520
; %bb.22:
	s_or_b64 exec, exec, s[6:7]
	s_waitcnt lgkmcnt(0)
	s_barrier
	s_and_saveexec_b64 s[6:7], s[2:3]
; %bb.23:
	ds_read_b32 v2, v3 offset:520
; %bb.24:
	s_or_b64 exec, exec, s[6:7]
	s_waitcnt lgkmcnt(0)
	ds_bpermute_b32 v1, v26, v2
	v_lshlrev_b32_e32 v3, 2, v21
	s_waitcnt lgkmcnt(0)
	v_add_f32_e32 v1, v2, v1
	v_and_b32_e32 v2, 0xffffff00, v3
	ds_bpermute_b32 v1, v2, v1
	s_and_saveexec_b64 s[2:3], s[4:5]
	s_cbranch_execz .LBB15_27
; %bb.25:
	s_waitcnt lgkmcnt(0)
	v_add_f32_e32 v2, 0x358637bd, v1
	v_div_scale_f32 v1, s[4:5], v2, v2, 1.0
	v_div_scale_f32 v3, vcc, 1.0, v2, 1.0
	s_mov_b64 s[4:5], 0
	v_rcp_f32_e32 v4, v1
	v_fma_f32 v5, -v1, v4, 1.0
	v_fmac_f32_e32 v4, v5, v4
	v_mul_f32_e32 v5, v3, v4
	v_fma_f32 v6, -v1, v5, v3
	v_fmac_f32_e32 v5, v6, v4
	v_fma_f32 v1, -v1, v5, v3
	v_div_fmas_f32 v3, v1, v4, v5
	v_mov_b32_e32 v1, 0x210
	v_lshl_add_u32 v1, v0, 2, v1
	v_div_fixup_f32 v2, v3, v2, 1.0
	v_mov_b32_e32 v3, v0
.LBB15_26:                              ; =>This Inner Loop Header: Depth=1
	ds_read_b32 v4, v1
	v_add_u32_e32 v3, 0x80, v3
	v_cmp_le_i32_e32 vcc, s15, v3
	s_or_b64 s[4:5], vcc, s[4:5]
	s_waitcnt lgkmcnt(0)
	v_mul_f32_e32 v4, v2, v4
	ds_write_b32 v1, v4
	v_add_u32_e32 v1, 0x200, v1
	s_andn2_b64 exec, exec, s[4:5]
	s_cbranch_execnz .LBB15_26
.LBB15_27:
	s_or_b64 exec, exec, s[2:3]
	v_mov_b32_e32 v29, 0
	v_and_b32_e32 v27, 1, v0
	v_mov_b32_e32 v31, 0
	v_mov_b32_e32 v30, 0
	;; [unrolled: 1-line block ×3, first 2 shown]
	s_waitcnt lgkmcnt(0)
	s_barrier
	s_and_saveexec_b64 s[2:3], s[0:1]
	s_cbranch_execz .LBB15_39
; %bb.28:
	s_ashr_i32 s15, s14, 31
	s_lshl_b64 s[0:1], s[14:15], 2
	v_lshlrev_b32_e32 v2, 4, v0
	s_add_u32 s0, s24, s0
	v_and_b32_e32 v2, 0x3f0, v2
	v_and_b32_e32 v1, 4, v19
	s_addc_u32 s1, s25, s1
	v_add_co_u32_e32 v32, vcc, s0, v2
	v_lshlrev_b32_e32 v2, 3, v24
	s_add_i32 s14, s12, -1
	v_mov_b32_e32 v3, s1
	v_or3_b32 v34, v2, v1, 3
	v_lshlrev_b32_e32 v1, 4, v27
	s_lshl_b64 s[0:1], s[22:23], 2
	v_lshl_or_b32 v1, v24, 5, v1
	s_add_u32 s0, s20, s0
	v_addc_co_u32_e32 v33, vcc, 0, v3, vcc
	v_add_u32_e32 v35, 0x210, v1
	v_and_b32_e32 v1, 60, v20
	s_addc_u32 s1, s21, s1
	v_mov_b32_e32 v2, s1
	v_add_co_u32_e32 v21, vcc, s0, v1
	v_mov_b32_e32 v28, 0
	v_addc_co_u32_e32 v22, vcc, 0, v2, vcc
	s_mov_b64 s[4:5], 0
	v_mov_b32_e32 v30, 0
	v_mov_b32_e32 v31, 0
	;; [unrolled: 1-line block ×3, first 2 shown]
	s_branch .LBB15_30
.LBB15_29:                              ;   in Loop: Header=BB15_30 Depth=1
	s_or_b64 exec, exec, s[0:1]
	s_waitcnt vmcnt(1) lgkmcnt(0)
	v_mul_f32_e32 v13, v1, v13
	v_mul_f32_e32 v9, v1, v9
	;; [unrolled: 1-line block ×3, first 2 shown]
	s_waitcnt vmcnt(0)
	v_mul_f32_e32 v1, v1, v17
	v_fmac_f32_e32 v13, v2, v14
	v_fmac_f32_e32 v9, v2, v10
	;; [unrolled: 1-line block ×4, first 2 shown]
	v_add_u32_e32 v24, 2, v24
	v_fmac_f32_e32 v13, v3, v15
	v_fmac_f32_e32 v9, v3, v11
	;; [unrolled: 1-line block ×4, first 2 shown]
	v_cmp_le_i32_e32 vcc, s12, v24
	v_fmac_f32_e32 v13, v4, v16
	v_fmac_f32_e32 v9, v4, v12
	;; [unrolled: 1-line block ×4, first 2 shown]
	s_or_b64 s[4:5], vcc, s[4:5]
	v_add_co_u32_e32 v21, vcc, 8, v21
	v_add_f32_e32 v30, v30, v13
	v_add_f32_e32 v31, v31, v9
	;; [unrolled: 1-line block ×4, first 2 shown]
	v_add_u32_e32 v34, 16, v34
	v_add_u32_e32 v35, 64, v35
	v_addc_co_u32_e32 v22, vcc, 0, v22, vcc
	s_andn2_b64 exec, exec, s[4:5]
	s_cbranch_execz .LBB15_38
.LBB15_30:                              ; =>This Inner Loop Header: Depth=1
	global_load_dword v1, v[21:22], off
	v_add_u32_e32 v36, -3, v34
	v_add_u32_e32 v38, -2, v34
	;; [unrolled: 1-line block ×3, first 2 shown]
	s_waitcnt vmcnt(0)
	v_mad_i64_i32 v[1:2], s[0:1], v1, s13, 0
	v_lshlrev_b64 v[1:2], 2, v[1:2]
	v_add_co_u32_e32 v17, vcc, v32, v1
	v_addc_co_u32_e32 v18, vcc, v33, v2, vcc
	global_load_dwordx4 v[5:8], v[17:18], off
	ds_read_b128 v[1:4], v35
	v_cmp_eq_u32_e32 vcc, s14, v24
	s_and_saveexec_b64 s[6:7], vcc
	s_cbranch_execnz .LBB15_34
; %bb.31:                               ;   in Loop: Header=BB15_30 Depth=1
	s_or_b64 exec, exec, s[6:7]
	global_load_dwordx4 v[9:12], v[17:18], off offset:1024
	s_and_saveexec_b64 s[6:7], vcc
	s_cbranch_execnz .LBB15_35
.LBB15_32:                              ;   in Loop: Header=BB15_30 Depth=1
	s_or_b64 exec, exec, s[6:7]
	global_load_dwordx4 v[13:16], v[17:18], off offset:2048
	s_and_saveexec_b64 s[6:7], vcc
	s_cbranch_execnz .LBB15_36
.LBB15_33:                              ;   in Loop: Header=BB15_30 Depth=1
	s_or_b64 exec, exec, s[6:7]
	global_load_dwordx4 v[17:20], v[17:18], off offset:3072
	s_and_saveexec_b64 s[0:1], vcc
	s_cbranch_execz .LBB15_29
	s_branch .LBB15_37
.LBB15_34:                              ;   in Loop: Header=BB15_30 Depth=1
	v_cmp_gt_i32_e64 s[0:1], s33, v36
	s_waitcnt vmcnt(0)
	v_cndmask_b32_e64 v5, 0, v5, s[0:1]
	v_cmp_gt_i32_e64 s[0:1], s33, v38
	v_cndmask_b32_e64 v6, 0, v6, s[0:1]
	v_cmp_gt_i32_e64 s[0:1], s33, v37
	;; [unrolled: 2-line block ×3, first 2 shown]
	v_cndmask_b32_e64 v8, 0, v8, s[0:1]
	s_or_b64 exec, exec, s[6:7]
	global_load_dwordx4 v[9:12], v[17:18], off offset:1024
	s_and_saveexec_b64 s[6:7], vcc
	s_cbranch_execz .LBB15_32
.LBB15_35:                              ;   in Loop: Header=BB15_30 Depth=1
	v_cmp_gt_i32_e64 s[0:1], s33, v36
	s_waitcnt vmcnt(0)
	v_cndmask_b32_e64 v9, 0, v9, s[0:1]
	v_cmp_gt_i32_e64 s[0:1], s33, v38
	v_cndmask_b32_e64 v10, 0, v10, s[0:1]
	v_cmp_gt_i32_e64 s[0:1], s33, v37
	;; [unrolled: 2-line block ×3, first 2 shown]
	v_cndmask_b32_e64 v12, 0, v12, s[0:1]
	s_or_b64 exec, exec, s[6:7]
	global_load_dwordx4 v[13:16], v[17:18], off offset:2048
	s_and_saveexec_b64 s[6:7], vcc
	s_cbranch_execz .LBB15_33
.LBB15_36:                              ;   in Loop: Header=BB15_30 Depth=1
	v_cmp_gt_i32_e64 s[0:1], s33, v36
	s_waitcnt vmcnt(0)
	v_cndmask_b32_e64 v13, 0, v13, s[0:1]
	v_cmp_gt_i32_e64 s[0:1], s33, v38
	v_cndmask_b32_e64 v14, 0, v14, s[0:1]
	v_cmp_gt_i32_e64 s[0:1], s33, v37
	;; [unrolled: 2-line block ×3, first 2 shown]
	v_cndmask_b32_e64 v16, 0, v16, s[0:1]
	s_or_b64 exec, exec, s[6:7]
	global_load_dwordx4 v[17:20], v[17:18], off offset:3072
	s_and_saveexec_b64 s[0:1], vcc
	s_cbranch_execz .LBB15_29
.LBB15_37:                              ;   in Loop: Header=BB15_30 Depth=1
	v_cmp_gt_i32_e32 vcc, s33, v36
	s_waitcnt vmcnt(0)
	v_cndmask_b32_e32 v17, 0, v17, vcc
	v_cmp_gt_i32_e32 vcc, s33, v38
	v_cndmask_b32_e32 v18, 0, v18, vcc
	v_cmp_gt_i32_e32 vcc, s33, v37
	;; [unrolled: 2-line block ×3, first 2 shown]
	v_cndmask_b32_e32 v20, 0, v20, vcc
	s_branch .LBB15_29
.LBB15_38:
	s_or_b64 exec, exec, s[4:5]
.LBB15_39:
	s_or_b64 exec, exec, s[2:3]
	ds_bpermute_b32 v1, v26, v29
	ds_bpermute_b32 v2, v26, v31
	ds_bpermute_b32 v3, v26, v30
	ds_bpermute_b32 v4, v26, v28
	v_and_b32_e32 v5, 0x3c1, v0
	s_waitcnt lgkmcnt(3)
	v_add_f32_e32 v1, v29, v1
	s_waitcnt lgkmcnt(2)
	v_add_f32_e32 v2, v31, v2
	;; [unrolled: 2-line block ×4, first 2 shown]
	v_cmp_eq_u32_e32 vcc, 64, v5
	s_barrier
	s_and_saveexec_b64 s[0:1], vcc
	s_cbranch_execz .LBB15_41
; %bb.40:
	v_mov_b32_e32 v6, 0x210
	v_lshl_add_u32 v6, v25, 1, v6
	ds_write2_b32 v6, v1, v2 offset1:32
	ds_write2_b32 v6, v3, v4 offset0:64 offset1:96
.LBB15_41:
	s_or_b64 exec, exec, s[0:1]
	v_cmp_gt_u32_e32 vcc, 64, v0
	s_waitcnt lgkmcnt(0)
	s_barrier
	s_and_saveexec_b64 s[0:1], vcc
	s_cbranch_execz .LBB15_48
; %bb.42:
	v_mov_b32_e32 v0, 0x210
	v_cmp_eq_u32_e32 vcc, 0, v27
	v_lshl_add_u32 v0, v23, 2, v0
	s_and_saveexec_b64 s[2:3], vcc
	s_cbranch_execnz .LBB15_51
; %bb.43:
	s_or_b64 exec, exec, s[2:3]
	s_and_saveexec_b64 s[2:3], vcc
	s_cbranch_execnz .LBB15_52
.LBB15_44:
	s_or_b64 exec, exec, s[2:3]
	s_and_saveexec_b64 s[2:3], vcc
	s_cbranch_execnz .LBB15_53
.LBB15_45:
	s_or_b64 exec, exec, s[2:3]
	s_and_saveexec_b64 s[2:3], vcc
	s_cbranch_execz .LBB15_47
.LBB15_46:
	ds_read_b32 v0, v0 offset:384
	s_waitcnt lgkmcnt(0)
	v_add_f32_e32 v4, v4, v0
.LBB15_47:
	s_or_b64 exec, exec, s[2:3]
.LBB15_48:
	s_or_b64 exec, exec, s[0:1]
	v_cmp_eq_u32_e32 vcc, 0, v5
	s_barrier
	s_and_saveexec_b64 s[0:1], vcc
	s_cbranch_execz .LBB15_50
; %bb.49:
	s_mul_i32 s0, s10, s11
	s_mul_i32 s0, s0, s9
	s_lshl_b32 s0, s0, 7
	s_ashr_i32 s1, s0, 31
	s_lshl_b64 s[0:1], s[0:1], 2
	s_add_u32 s2, s18, s0
	s_mul_i32 s0, s11, s16
	s_addc_u32 s3, s19, s1
	s_ashr_i32 s1, s0, 31
	s_lshl_b64 s[0:1], s[0:1], 2
	s_add_u32 s2, s2, s0
	s_addc_u32 s3, s3, s1
	s_lshl_b32 s0, s8, 7
	s_ashr_i32 s1, s0, 31
	s_lshl_b64 s[0:1], s[0:1], 2
	s_add_u32 s0, s2, s0
	s_addc_u32 s1, s3, s1
	v_lshlrev_b32_e32 v0, 2, v23
	global_store_dword v0, v1, s[0:1]
	global_store_dword v0, v2, s[0:1] offset:128
	global_store_dword v0, v3, s[0:1] offset:256
	;; [unrolled: 1-line block ×3, first 2 shown]
.LBB15_50:
	s_endpgm
.LBB15_51:
	ds_read_b32 v6, v0
	s_waitcnt lgkmcnt(0)
	v_add_f32_e32 v1, v1, v6
	s_or_b64 exec, exec, s[2:3]
	s_and_saveexec_b64 s[2:3], vcc
	s_cbranch_execz .LBB15_44
.LBB15_52:
	ds_read_b32 v6, v0 offset:128
	s_waitcnt lgkmcnt(0)
	v_add_f32_e32 v2, v2, v6
	s_or_b64 exec, exec, s[2:3]
	s_and_saveexec_b64 s[2:3], vcc
	s_cbranch_execz .LBB15_45
.LBB15_53:
	ds_read_b32 v6, v0 offset:256
	s_waitcnt lgkmcnt(0)
	v_add_f32_e32 v3, v3, v6
	s_or_b64 exec, exec, s[2:3]
	s_and_saveexec_b64 s[2:3], vcc
	s_cbranch_execnz .LBB15_46
	s_branch .LBB15_47
	.section	.rodata,"a",@progbits
	.p2align	6, 0x0
	.amdhsa_kernel _ZN4vllm25paged_attention_v1_kernelIffLi128ELi8ELi128ELNS_18Fp8KVCacheDataTypeE0ELb0EEEvPT_PKS2_PKT0_S8_ifPKiSA_iPKfiiiSC_SC_iiiii
		.amdhsa_group_segment_fixed_size 528
		.amdhsa_private_segment_fixed_size 0
		.amdhsa_kernarg_size 384
		.amdhsa_user_sgpr_count 6
		.amdhsa_user_sgpr_private_segment_buffer 1
		.amdhsa_user_sgpr_dispatch_ptr 0
		.amdhsa_user_sgpr_queue_ptr 0
		.amdhsa_user_sgpr_kernarg_segment_ptr 1
		.amdhsa_user_sgpr_dispatch_id 0
		.amdhsa_user_sgpr_flat_scratch_init 0
		.amdhsa_user_sgpr_private_segment_size 0
		.amdhsa_uses_dynamic_stack 0
		.amdhsa_system_sgpr_private_segment_wavefront_offset 0
		.amdhsa_system_sgpr_workgroup_id_x 1
		.amdhsa_system_sgpr_workgroup_id_y 1
		.amdhsa_system_sgpr_workgroup_id_z 1
		.amdhsa_system_sgpr_workgroup_info 0
		.amdhsa_system_vgpr_workitem_id 0
		.amdhsa_next_free_vgpr 52
		.amdhsa_next_free_sgpr 34
		.amdhsa_reserve_vcc 1
		.amdhsa_reserve_flat_scratch 0
		.amdhsa_float_round_mode_32 0
		.amdhsa_float_round_mode_16_64 0
		.amdhsa_float_denorm_mode_32 3
		.amdhsa_float_denorm_mode_16_64 3
		.amdhsa_dx10_clamp 1
		.amdhsa_ieee_mode 1
		.amdhsa_fp16_overflow 0
		.amdhsa_exception_fp_ieee_invalid_op 0
		.amdhsa_exception_fp_denorm_src 0
		.amdhsa_exception_fp_ieee_div_zero 0
		.amdhsa_exception_fp_ieee_overflow 0
		.amdhsa_exception_fp_ieee_underflow 0
		.amdhsa_exception_fp_ieee_inexact 0
		.amdhsa_exception_int_div_zero 0
	.end_amdhsa_kernel
	.section	.text._ZN4vllm25paged_attention_v1_kernelIffLi128ELi8ELi128ELNS_18Fp8KVCacheDataTypeE0ELb0EEEvPT_PKS2_PKT0_S8_ifPKiSA_iPKfiiiSC_SC_iiiii,"axG",@progbits,_ZN4vllm25paged_attention_v1_kernelIffLi128ELi8ELi128ELNS_18Fp8KVCacheDataTypeE0ELb0EEEvPT_PKS2_PKT0_S8_ifPKiSA_iPKfiiiSC_SC_iiiii,comdat
.Lfunc_end15:
	.size	_ZN4vllm25paged_attention_v1_kernelIffLi128ELi8ELi128ELNS_18Fp8KVCacheDataTypeE0ELb0EEEvPT_PKS2_PKT0_S8_ifPKiSA_iPKfiiiSC_SC_iiiii, .Lfunc_end15-_ZN4vllm25paged_attention_v1_kernelIffLi128ELi8ELi128ELNS_18Fp8KVCacheDataTypeE0ELb0EEEvPT_PKS2_PKT0_S8_ifPKiSA_iPKfiiiSC_SC_iiiii
                                        ; -- End function
	.set _ZN4vllm25paged_attention_v1_kernelIffLi128ELi8ELi128ELNS_18Fp8KVCacheDataTypeE0ELb0EEEvPT_PKS2_PKT0_S8_ifPKiSA_iPKfiiiSC_SC_iiiii.num_vgpr, 52
	.set _ZN4vllm25paged_attention_v1_kernelIffLi128ELi8ELi128ELNS_18Fp8KVCacheDataTypeE0ELb0EEEvPT_PKS2_PKT0_S8_ifPKiSA_iPKfiiiSC_SC_iiiii.num_agpr, 0
	.set _ZN4vllm25paged_attention_v1_kernelIffLi128ELi8ELi128ELNS_18Fp8KVCacheDataTypeE0ELb0EEEvPT_PKS2_PKT0_S8_ifPKiSA_iPKfiiiSC_SC_iiiii.numbered_sgpr, 34
	.set _ZN4vllm25paged_attention_v1_kernelIffLi128ELi8ELi128ELNS_18Fp8KVCacheDataTypeE0ELb0EEEvPT_PKS2_PKT0_S8_ifPKiSA_iPKfiiiSC_SC_iiiii.num_named_barrier, 0
	.set _ZN4vllm25paged_attention_v1_kernelIffLi128ELi8ELi128ELNS_18Fp8KVCacheDataTypeE0ELb0EEEvPT_PKS2_PKT0_S8_ifPKiSA_iPKfiiiSC_SC_iiiii.private_seg_size, 0
	.set _ZN4vllm25paged_attention_v1_kernelIffLi128ELi8ELi128ELNS_18Fp8KVCacheDataTypeE0ELb0EEEvPT_PKS2_PKT0_S8_ifPKiSA_iPKfiiiSC_SC_iiiii.uses_vcc, 1
	.set _ZN4vllm25paged_attention_v1_kernelIffLi128ELi8ELi128ELNS_18Fp8KVCacheDataTypeE0ELb0EEEvPT_PKS2_PKT0_S8_ifPKiSA_iPKfiiiSC_SC_iiiii.uses_flat_scratch, 0
	.set _ZN4vllm25paged_attention_v1_kernelIffLi128ELi8ELi128ELNS_18Fp8KVCacheDataTypeE0ELb0EEEvPT_PKS2_PKT0_S8_ifPKiSA_iPKfiiiSC_SC_iiiii.has_dyn_sized_stack, 0
	.set _ZN4vllm25paged_attention_v1_kernelIffLi128ELi8ELi128ELNS_18Fp8KVCacheDataTypeE0ELb0EEEvPT_PKS2_PKT0_S8_ifPKiSA_iPKfiiiSC_SC_iiiii.has_recursion, 0
	.set _ZN4vllm25paged_attention_v1_kernelIffLi128ELi8ELi128ELNS_18Fp8KVCacheDataTypeE0ELb0EEEvPT_PKS2_PKT0_S8_ifPKiSA_iPKfiiiSC_SC_iiiii.has_indirect_call, 0
	.section	.AMDGPU.csdata,"",@progbits
; Kernel info:
; codeLenInByte = 3364
; TotalNumSgprs: 38
; NumVgprs: 52
; ScratchSize: 0
; MemoryBound: 0
; FloatMode: 240
; IeeeMode: 1
; LDSByteSize: 528 bytes/workgroup (compile time only)
; SGPRBlocks: 4
; VGPRBlocks: 12
; NumSGPRsForWavesPerEU: 38
; NumVGPRsForWavesPerEU: 52
; Occupancy: 4
; WaveLimiterHint : 1
; COMPUTE_PGM_RSRC2:SCRATCH_EN: 0
; COMPUTE_PGM_RSRC2:USER_SGPR: 6
; COMPUTE_PGM_RSRC2:TRAP_HANDLER: 0
; COMPUTE_PGM_RSRC2:TGID_X_EN: 1
; COMPUTE_PGM_RSRC2:TGID_Y_EN: 1
; COMPUTE_PGM_RSRC2:TGID_Z_EN: 1
; COMPUTE_PGM_RSRC2:TIDIG_COMP_CNT: 0
	.section	.text._ZN4vllm25paged_attention_v1_kernelIffLi192ELi8ELi128ELNS_18Fp8KVCacheDataTypeE0ELb0EEEvPT_PKS2_PKT0_S8_ifPKiSA_iPKfiiiSC_SC_iiiii,"axG",@progbits,_ZN4vllm25paged_attention_v1_kernelIffLi192ELi8ELi128ELNS_18Fp8KVCacheDataTypeE0ELb0EEEvPT_PKS2_PKT0_S8_ifPKiSA_iPKfiiiSC_SC_iiiii,comdat
	.protected	_ZN4vllm25paged_attention_v1_kernelIffLi192ELi8ELi128ELNS_18Fp8KVCacheDataTypeE0ELb0EEEvPT_PKS2_PKT0_S8_ifPKiSA_iPKfiiiSC_SC_iiiii ; -- Begin function _ZN4vllm25paged_attention_v1_kernelIffLi192ELi8ELi128ELNS_18Fp8KVCacheDataTypeE0ELb0EEEvPT_PKS2_PKT0_S8_ifPKiSA_iPKfiiiSC_SC_iiiii
	.globl	_ZN4vllm25paged_attention_v1_kernelIffLi192ELi8ELi128ELNS_18Fp8KVCacheDataTypeE0ELb0EEEvPT_PKS2_PKT0_S8_ifPKiSA_iPKfiiiSC_SC_iiiii
	.p2align	8
	.type	_ZN4vllm25paged_attention_v1_kernelIffLi192ELi8ELi128ELNS_18Fp8KVCacheDataTypeE0ELb0EEEvPT_PKS2_PKT0_S8_ifPKiSA_iPKfiiiSC_SC_iiiii,@function
_ZN4vllm25paged_attention_v1_kernelIffLi192ELi8ELi128ELNS_18Fp8KVCacheDataTypeE0ELb0EEEvPT_PKS2_PKT0_S8_ifPKiSA_iPKfiiiSC_SC_iiiii: ; @_ZN4vllm25paged_attention_v1_kernelIffLi192ELi8ELi128ELNS_18Fp8KVCacheDataTypeE0ELb0EEEvPT_PKS2_PKT0_S8_ifPKiSA_iPKfiiiSC_SC_iiiii
; %bb.0:
	s_load_dword s9, s[4:5], 0x80
	s_load_dwordx2 s[0:1], s[4:5], 0x30
	s_load_dwordx2 s[26:27], s[4:5], 0x20
	s_mov_b32 s10, s7
	s_ashr_i32 s11, s7, 31
	s_lshl_b64 s[2:3], s[10:11], 2
	s_waitcnt lgkmcnt(0)
	s_add_u32 s0, s0, s2
	s_addc_u32 s1, s1, s3
	s_abs_i32 s2, s26
	v_cvt_f32_u32_e32 v1, s2
	s_sub_i32 s11, 0, s2
	s_abs_i32 s7, s9
	s_xor_b32 s3, s9, s26
	v_rcp_iflag_f32_e32 v1, v1
	s_ashr_i32 s3, s3, 31
	s_mov_b32 s26, 0
	v_mul_f32_e32 v1, 0x4f7ffffe, v1
	v_cvt_u32_f32_e32 v1, v1
	v_readfirstlane_b32 s12, v1
	s_mul_i32 s11, s11, s12
	s_mul_hi_u32 s11, s12, s11
	s_add_i32 s12, s12, s11
	s_mul_hi_u32 s11, s7, s12
	s_mul_i32 s12, s11, s2
	s_sub_i32 s7, s7, s12
	s_add_i32 s12, s11, 1
	s_sub_i32 s13, s7, s2
	s_cmp_ge_u32 s7, s2
	s_cselect_b32 s11, s12, s11
	s_cselect_b32 s7, s13, s7
	s_add_i32 s12, s11, 1
	s_cmp_ge_u32 s7, s2
	s_cselect_b32 s2, s12, s11
	s_xor_b32 s2, s2, s3
	s_sub_i32 s11, s2, s3
	s_abs_i32 s18, s11
	v_cvt_f32_u32_e32 v1, s18
	s_load_dwordx2 s[2:3], s[4:5], 0x40
	s_sub_i32 s7, 0, s18
	s_abs_i32 s19, s6
	v_rcp_iflag_f32_e32 v1, v1
	v_mul_f32_e32 v1, 0x4f7ffffe, v1
	v_cvt_u32_f32_e32 v1, v1
	v_readfirstlane_b32 s12, v1
	s_mul_i32 s7, s7, s12
	s_mul_hi_u32 s7, s12, s7
	s_add_i32 s12, s12, s7
	s_waitcnt lgkmcnt(0)
	s_cmp_eq_u64 s[2:3], 0
	s_mul_hi_u32 s22, s19, s12
	s_cbranch_scc1 .LBB16_2
; %bb.1:
	s_ashr_i32 s7, s6, 31
	s_lshl_b64 s[12:13], s[6:7], 2
	s_add_u32 s2, s2, s12
	s_addc_u32 s3, s3, s13
	s_load_dword s26, s[2:3], 0x0
.LBB16_2:
	s_load_dword s33, s[0:1], 0x0
	s_ashr_i32 s23, s11, 31
	s_load_dword s11, s[4:5], 0x88
	s_load_dwordx4 s[12:15], s[4:5], 0x48
	s_movk_i32 s0, 0xc0
	s_ashr_i32 s7, s6, 31
	v_and_b32_e32 v1, 7, v0
	s_mul_i32 s16, s6, 0xc0
	v_cmp_gt_u32_e32 vcc, s0, v0
	v_lshlrev_b32_e32 v11, 2, v0
	s_and_saveexec_b64 s[0:1], vcc
	s_cbranch_execz .LBB16_5
; %bb.3:
	s_load_dwordx2 s[2:3], s[4:5], 0x8
	s_waitcnt lgkmcnt(0)
	s_mul_i32 s20, s12, s10
	s_ashr_i32 s21, s20, 31
	s_lshl_b64 s[20:21], s[20:21], 2
	v_lshrrev_b32_e32 v3, 3, v0
	s_add_u32 s6, s2, s20
	s_addc_u32 s12, s3, s21
	s_ashr_i32 s17, s16, 31
	s_lshl_b64 s[2:3], s[16:17], 2
	s_add_u32 s2, s6, s2
	s_addc_u32 s3, s12, s3
	global_load_dword v4, v11, s[2:3]
	s_movk_i32 s6, 0x60
	v_lshlrev_b32_e32 v2, 2, v3
	v_mad_u32_u24 v2, v1, s6, v2
	v_cmp_gt_u32_e32 vcc, 64, v0
	s_waitcnt vmcnt(0)
	ds_write_b32 v2, v4
	s_and_b64 exec, exec, vcc
	s_cbranch_execz .LBB16_5
; %bb.4:
	v_lshlrev_b32_e32 v3, 5, v3
	v_lshlrev_b32_e32 v4, 2, v1
	s_movk_i32 s6, 0x200
	v_or3_b32 v3, v3, v4, s6
	global_load_dword v3, v3, s[2:3]
	s_waitcnt vmcnt(0)
	ds_write_b32 v2, v3 offset:64
.LBB16_5:
	s_or_b64 exec, exec, s[0:1]
	s_waitcnt lgkmcnt(0)
	s_add_i32 s1, s33, 7
	s_ashr_i32 s2, s1, 31
	s_lshr_b32 s2, s2, 29
	s_add_i32 s1, s1, s2
	s_mul_i32 s2, s22, s18
	s_sub_i32 s2, s19, s2
	s_ashr_i32 s12, s1, 3
	s_xor_b32 s1, s7, s23
	s_add_i32 s3, s22, 1
	s_sub_i32 s6, s2, s18
	s_load_dwordx2 s[20:21], s[4:5], 0x28
	s_load_dword s0, s[4:5], 0x38
	s_cmp_ge_u32 s2, s18
	s_cselect_b32 s3, s3, s22
	s_cselect_b32 s2, s6, s2
	s_add_i32 s6, s3, 1
	s_cmp_ge_u32 s2, s18
	s_cselect_b32 s2, s6, s3
	v_lshrrev_b32_e32 v31, 6, v0
	s_xor_b32 s2, s2, s1
	s_waitcnt lgkmcnt(0)
	s_mul_i32 s22, s0, s10
	s_sub_i32 s15, s2, s1
	s_ashr_i32 s23, s22, 31
	v_cmp_gt_i32_e64 s[0:1], s12, v31
	v_cmp_le_i32_e32 vcc, s12, v31
	v_mbcnt_lo_u32_b32 v2, -1, 0
	s_barrier
                                        ; implicit-def: $vgpr29
                                        ; implicit-def: $vgpr8
                                        ; implicit-def: $vgpr30
	s_and_saveexec_b64 s[2:3], vcc
	s_xor_b64 s[2:3], exec, s[2:3]
; %bb.6:
	v_mbcnt_hi_u32_b32 v29, -1, v2
	v_and_b32_e32 v8, 64, v29
	v_add_u32_e32 v30, 64, v8
                                        ; implicit-def: $vgpr1
                                        ; implicit-def: $vgpr2
; %bb.7:
	s_or_saveexec_b64 s[6:7], s[2:3]
	s_load_dwordx2 s[18:19], s[4:5], 0x0
	s_load_dwordx2 s[24:25], s[4:5], 0x18
	v_mov_b32_e32 v36, 0xff7fffff
	s_mul_i32 s14, s15, s14
	v_lshrrev_b32_e32 v12, 4, v0
	s_xor_b64 exec, exec, s[6:7]
	s_cbranch_execz .LBB16_13
; %bb.8:
	s_load_dwordx2 s[2:3], s[4:5], 0x10
	s_ashr_i32 s15, s14, 31
	s_lshl_b64 s[4:5], s[14:15], 2
	v_bfe_u32 v3, v0, 3, 3
	v_lshlrev_b32_e32 v5, 4, v3
	s_waitcnt lgkmcnt(0)
	s_add_u32 s2, s2, s4
	s_addc_u32 s3, s3, s5
	v_mov_b32_e32 v6, s3
	v_add_co_u32_e32 v5, vcc, s2, v5
	v_and_b32_e32 v7, 3, v0
	v_addc_co_u32_e32 v6, vcc, 0, v6, vcc
	v_lshlrev_b32_e32 v7, 2, v7
	v_mbcnt_hi_u32_b32 v29, -1, v2
	v_add_co_u32_e32 v5, vcc, v5, v7
	v_and_b32_e32 v2, 64, v29
	v_addc_co_u32_e32 v6, vcc, 0, v6, vcc
	v_add_u32_e32 v30, 64, v2
	v_xor_b32_e32 v2, 4, v29
	v_cmp_lt_i32_e32 vcc, v2, v30
	v_cndmask_b32_e32 v2, v29, v2, vcc
	v_lshlrev_b32_e32 v32, 2, v2
	v_xor_b32_e32 v2, 2, v29
	v_cmp_lt_i32_e32 vcc, v2, v30
	v_cndmask_b32_e32 v2, v29, v2, vcc
	v_lshlrev_b32_e32 v33, 2, v2
	v_xor_b32_e32 v2, 1, v29
	v_cmp_lt_i32_e32 vcc, v2, v30
	v_mul_u32_u24_e32 v21, 0x60, v1
	v_cndmask_b32_e32 v2, v29, v2, vcc
	v_cmp_eq_u32_e32 vcc, 0, v1
	v_lshlrev_b32_e32 v1, 5, v0
	v_and_b32_e32 v1, 0x80, v1
	v_add_co_u32_e64 v37, s[4:5], v5, v1
	v_addc_co_u32_e64 v38, s[4:5], 0, v6, s[4:5]
	v_lshlrev_b32_e32 v4, 2, v3
	s_sub_i32 s15, 1, s33
	s_lshl_b64 s[4:5], s[22:23], 2
	v_lshl_or_b32 v1, v31, 5, v4
	s_add_u32 s4, s20, s4
	v_add_u32_e32 v40, 0x310, v1
	v_and_b32_e32 v1, 60, v12
	s_addc_u32 s5, s21, s5
	v_lshlrev_b32_e32 v35, 2, v2
	v_mov_b32_e32 v2, s5
	v_add_co_u32_e64 v25, s[4:5], s4, v1
	v_lshl_or_b32 v39, v31, 3, v3
	v_addc_co_u32_e64 v26, s[4:5], 0, v2, s[4:5]
	ds_read_b128 v[1:4], v21
	ds_read_b128 v[5:8], v21 offset:16
	ds_read_b128 v[9:12], v21 offset:32
	;; [unrolled: 1-line block ×5, first 2 shown]
	s_mov_b32 s17, s13
	v_cmp_neq_f32_e64 s[2:3], s26, 0
	v_mov_b32_e32 v36, 0xff7fffff
	s_mov_b64 s[28:29], 0
	s_movk_i32 s34, 0x1000
	v_mov_b32_e32 v41, v31
	s_branch .LBB16_10
.LBB16_9:                               ;   in Loop: Header=BB16_10 Depth=1
	s_or_b64 exec, exec, s[30:31]
	v_add_u32_e32 v41, 2, v41
	v_cmp_le_i32_e64 s[4:5], s12, v41
	s_or_b64 s[28:29], s[4:5], s[28:29]
	v_add_co_u32_e64 v25, s[4:5], 8, v25
	v_add_u32_e32 v39, 16, v39
	v_add_u32_e32 v40, 64, v40
	v_addc_co_u32_e64 v26, s[4:5], 0, v26, s[4:5]
	s_andn2_b64 exec, exec, s[28:29]
	s_cbranch_execz .LBB16_12
.LBB16_10:                              ; =>This Inner Loop Header: Depth=1
	global_load_dword v42, v[25:26], off
	s_waitcnt vmcnt(0) lgkmcnt(0)
	v_mad_i64_i32 v[42:43], s[4:5], v42, s17, 0
	v_lshlrev_b64 v[42:43], 2, v[42:43]
	v_add_co_u32_e64 v42, s[4:5], v37, v42
	v_addc_co_u32_e64 v43, s[4:5], v38, v43, s[4:5]
	global_load_dword v46, v[42:43], off
	global_load_dword v47, v[42:43], off offset:256
	global_load_dword v48, v[42:43], off offset:512
	;; [unrolled: 1-line block ×7, first 2 shown]
	v_add_co_u32_e64 v44, s[4:5], s34, v42
	v_addc_co_u32_e64 v45, s[4:5], 0, v43, s[4:5]
	global_load_dword v54, v[42:43], off offset:2048
	global_load_dword v55, v[42:43], off offset:2304
	;; [unrolled: 1-line block ×7, first 2 shown]
	s_nop 0
	global_load_dword v42, v[42:43], off offset:3840
	s_nop 0
	global_load_dword v43, v[44:45], off
	global_load_dword v61, v[44:45], off offset:256
	global_load_dword v62, v[44:45], off offset:512
	;; [unrolled: 1-line block ×6, first 2 shown]
	s_nop 0
	global_load_dword v44, v[44:45], off offset:1792
	s_waitcnt vmcnt(22) lgkmcnt(5)
	v_mul_f32_e32 v45, v2, v47
	v_fmac_f32_e32 v45, v1, v46
	s_waitcnt vmcnt(21)
	v_fmac_f32_e32 v45, v3, v48
	s_waitcnt vmcnt(20)
	v_fmac_f32_e32 v45, v4, v49
	s_waitcnt vmcnt(19) lgkmcnt(4)
	v_fmac_f32_e32 v45, v5, v50
	s_waitcnt vmcnt(18)
	v_fmac_f32_e32 v45, v6, v51
	s_waitcnt vmcnt(17)
	v_fmac_f32_e32 v45, v7, v52
	s_waitcnt vmcnt(16)
	v_fmac_f32_e32 v45, v8, v53
	s_waitcnt vmcnt(15) lgkmcnt(3)
	v_fmac_f32_e32 v45, v9, v54
	s_waitcnt vmcnt(14)
	;; [unrolled: 8-line block ×5, first 2 shown]
	v_fmac_f32_e32 v45, v22, v28
	s_waitcnt vmcnt(1)
	v_fmac_f32_e32 v45, v23, v34
	s_waitcnt vmcnt(0)
	v_fmac_f32_e32 v45, v24, v44
	ds_bpermute_b32 v27, v32, v45
	s_waitcnt lgkmcnt(0)
	v_add_f32_e32 v27, v45, v27
	ds_bpermute_b32 v28, v33, v27
	s_waitcnt lgkmcnt(0)
	v_add_f32_e32 v42, v27, v28
	ds_bpermute_b32 v43, v35, v42
	s_and_saveexec_b64 s[30:31], vcc
	s_cbranch_execz .LBB16_9
; %bb.11:                               ;   in Loop: Header=BB16_10 Depth=1
	v_add_u32_e32 v27, s15, v39
	v_cvt_f32_i32_e32 v27, v27
	s_waitcnt lgkmcnt(0)
	v_add_f32_e32 v28, v42, v43
	v_max_f32_e32 v34, v36, v36
	v_cmp_gt_i32_e64 s[4:5], s33, v39
	v_mul_f32_e32 v27, s26, v27
	v_cndmask_b32_e64 v27, 0, v27, s[2:3]
	v_fmac_f32_e32 v27, s27, v28
	v_cndmask_b32_e64 v28, 0, v27, s[4:5]
	v_max_f32_e32 v27, v34, v27
	v_cndmask_b32_e64 v36, v36, v27, s[4:5]
	ds_write_b32 v40, v28
	s_branch .LBB16_9
.LBB16_12:
	s_or_b64 exec, exec, s[28:29]
	v_lshlrev_b32_e32 v11, 2, v0
	v_lshrrev_b32_e32 v12, 4, v0
	v_and_b32_e32 v8, 64, v29
.LBB16_13:
	s_or_b64 exec, exec, s[6:7]
	v_xor_b32_e32 v1, 32, v29
	v_cmp_lt_i32_e32 vcc, v1, v30
	v_cndmask_b32_e32 v1, v29, v1, vcc
	v_lshlrev_b32_e32 v2, 2, v1
	ds_bpermute_b32 v1, v2, v36
	v_xor_b32_e32 v4, 16, v29
	v_max_f32_e32 v3, v36, v36
	v_cmp_lt_i32_e32 vcc, v4, v30
	v_xor_b32_e32 v5, 8, v29
	s_waitcnt lgkmcnt(0)
	v_max_f32_e32 v1, v1, v1
	v_max_f32_e32 v1, v3, v1
	v_cndmask_b32_e32 v3, v29, v4, vcc
	v_lshlrev_b32_e32 v4, 2, v3
	ds_bpermute_b32 v3, v4, v1
	v_cmp_lt_i32_e32 vcc, v5, v30
	v_and_b32_e32 v32, 63, v0
	s_waitcnt lgkmcnt(0)
	v_max_f32_e32 v3, v3, v3
	v_max_f32_e32 v3, v1, v3
	v_cndmask_b32_e32 v1, v29, v5, vcc
	v_lshlrev_b32_e32 v5, 2, v1
	ds_bpermute_b32 v6, v5, v3
	v_cmp_eq_u32_e32 vcc, 0, v32
	v_lshlrev_b32_e32 v1, 2, v31
	s_and_saveexec_b64 s[2:3], vcc
	s_cbranch_execz .LBB16_15
; %bb.14:
	s_waitcnt lgkmcnt(0)
	v_max_f32_e32 v6, v6, v6
	v_max_f32_e32 v3, v3, v3
	;; [unrolled: 1-line block ×3, first 2 shown]
	ds_write_b32 v1, v3 offset:768
.LBB16_15:
	s_or_b64 exec, exec, s[2:3]
	v_cmp_gt_u32_e64 s[2:3], 2, v32
	s_waitcnt lgkmcnt(0)
	v_mov_b32_e32 v6, 0xff7fffff
	v_lshlrev_b32_e32 v3, 2, v32
	s_barrier
	s_and_saveexec_b64 s[4:5], s[2:3]
; %bb.16:
	ds_read_b32 v6, v3 offset:768
; %bb.17:
	s_or_b64 exec, exec, s[4:5]
	v_xor_b32_e32 v7, 1, v29
	v_cmp_lt_i32_e64 s[4:5], v7, v30
	v_cndmask_b32_e64 v7, v29, v7, s[4:5]
	v_lshlrev_b32_e32 v33, 2, v7
	s_waitcnt lgkmcnt(0)
	ds_bpermute_b32 v7, v33, v6
	v_max_f32_e32 v6, v6, v6
	s_lshl_b32 s4, s12, 3
	s_min_i32 s15, s4, s33
	v_cmp_gt_i32_e64 s[4:5], s15, v0
	s_waitcnt lgkmcnt(0)
	v_max_f32_e32 v7, v7, v7
	v_max_f32_e32 v6, v6, v7
	v_lshlrev_b32_e32 v7, 2, v8
	ds_bpermute_b32 v7, v7, v6
	v_mov_b32_e32 v6, 0
	s_and_saveexec_b64 s[26:27], s[4:5]
	s_cbranch_execz .LBB16_21
; %bb.18:
	v_mov_b32_e32 v6, 0x310
	v_lshl_add_u32 v8, v0, 2, v6
	v_mov_b32_e32 v6, 0
	s_mov_b64 s[28:29], 0
	v_mov_b32_e32 v9, v0
.LBB16_19:                              ; =>This Inner Loop Header: Depth=1
	ds_read_b32 v10, v8
	v_add_u32_e32 v9, 0x80, v9
	v_cmp_le_i32_e64 s[6:7], s15, v9
	s_or_b64 s[28:29], s[6:7], s[28:29]
	s_waitcnt lgkmcnt(0)
	v_sub_f32_e32 v10, v10, v7
	v_mul_f32_e32 v10, 0x3fb8aa3b, v10
	v_exp_f32_e32 v10, v10
	ds_write_b32 v8, v10
	v_add_f32_e32 v6, v6, v10
	v_add_u32_e32 v8, 0x200, v8
	s_andn2_b64 exec, exec, s[28:29]
	s_cbranch_execnz .LBB16_19
; %bb.20:
	s_or_b64 exec, exec, s[28:29]
.LBB16_21:
	s_or_b64 exec, exec, s[26:27]
	ds_bpermute_b32 v2, v2, v6
	s_waitcnt lgkmcnt(0)
	v_add_f32_e32 v2, v6, v2
	ds_bpermute_b32 v4, v4, v2
	s_waitcnt lgkmcnt(0)
	v_add_f32_e32 v2, v2, v4
	ds_bpermute_b32 v4, v5, v2
	v_xor_b32_e32 v5, 4, v29
	v_cmp_lt_i32_e64 s[6:7], v5, v30
	v_cndmask_b32_e64 v5, v29, v5, s[6:7]
	v_lshlrev_b32_e32 v5, 2, v5
	s_waitcnt lgkmcnt(0)
	v_add_f32_e32 v2, v2, v4
	ds_bpermute_b32 v4, v5, v2
	v_xor_b32_e32 v5, 2, v29
	v_cmp_lt_i32_e64 s[6:7], v5, v30
	v_cndmask_b32_e64 v5, v29, v5, s[6:7]
	s_waitcnt lgkmcnt(0)
	v_add_f32_e32 v2, v2, v4
	v_lshlrev_b32_e32 v4, 2, v5
	ds_bpermute_b32 v4, v4, v2
	s_waitcnt lgkmcnt(0)
	v_add_f32_e32 v2, v2, v4
	ds_bpermute_b32 v4, v33, v2
	s_waitcnt lgkmcnt(0)
	v_add_f32_e32 v2, v2, v4
	s_and_saveexec_b64 s[6:7], vcc
; %bb.22:
	ds_write_b32 v1, v2 offset:776
; %bb.23:
	s_or_b64 exec, exec, s[6:7]
	s_waitcnt lgkmcnt(0)
	s_barrier
	s_and_saveexec_b64 s[6:7], s[2:3]
; %bb.24:
	ds_read_b32 v2, v3 offset:776
; %bb.25:
	s_or_b64 exec, exec, s[6:7]
	s_waitcnt lgkmcnt(0)
	ds_bpermute_b32 v1, v33, v2
	v_lshlrev_b32_e32 v3, 2, v29
	s_waitcnt lgkmcnt(0)
	v_add_f32_e32 v1, v2, v1
	v_and_b32_e32 v2, 0xffffff00, v3
	ds_bpermute_b32 v1, v2, v1
	s_and_saveexec_b64 s[2:3], s[4:5]
	s_cbranch_execz .LBB16_28
; %bb.26:
	s_waitcnt lgkmcnt(0)
	v_add_f32_e32 v2, 0x358637bd, v1
	v_div_scale_f32 v1, s[4:5], v2, v2, 1.0
	v_div_scale_f32 v3, vcc, 1.0, v2, 1.0
	s_mov_b64 s[4:5], 0
	v_rcp_f32_e32 v4, v1
	v_fma_f32 v5, -v1, v4, 1.0
	v_fmac_f32_e32 v4, v5, v4
	v_mul_f32_e32 v5, v3, v4
	v_fma_f32 v6, -v1, v5, v3
	v_fmac_f32_e32 v5, v6, v4
	v_fma_f32 v1, -v1, v5, v3
	v_div_fmas_f32 v3, v1, v4, v5
	v_mov_b32_e32 v1, 0x310
	v_lshl_add_u32 v1, v0, 2, v1
	v_div_fixup_f32 v2, v3, v2, 1.0
	v_mov_b32_e32 v3, v0
.LBB16_27:                              ; =>This Inner Loop Header: Depth=1
	ds_read_b32 v4, v1
	v_add_u32_e32 v3, 0x80, v3
	v_cmp_le_i32_e32 vcc, s15, v3
	s_or_b64 s[4:5], vcc, s[4:5]
	s_waitcnt lgkmcnt(0)
	v_mul_f32_e32 v4, v2, v4
	ds_write_b32 v1, v4
	v_add_u32_e32 v1, 0x200, v1
	s_andn2_b64 exec, exec, s[4:5]
	s_cbranch_execnz .LBB16_27
.LBB16_28:
	s_or_b64 exec, exec, s[2:3]
	v_mov_b32_e32 v40, 0
	v_and_b32_e32 v34, 1, v0
	v_mov_b32_e32 v39, 0
	v_mov_b32_e32 v38, 0
	;; [unrolled: 1-line block ×5, first 2 shown]
	s_waitcnt lgkmcnt(0)
	s_barrier
	s_and_saveexec_b64 s[2:3], s[0:1]
	s_cbranch_execz .LBB16_44
; %bb.29:
	s_ashr_i32 s15, s14, 31
	s_lshl_b64 s[0:1], s[14:15], 2
	v_lshlrev_b32_e32 v2, 4, v0
	s_add_u32 s0, s24, s0
	v_and_b32_e32 v2, 0x3f0, v2
	v_and_b32_e32 v1, 4, v11
	s_addc_u32 s1, s25, s1
	v_add_co_u32_e32 v41, vcc, s0, v2
	v_lshlrev_b32_e32 v2, 3, v31
	s_add_i32 s14, s12, -1
	v_mov_b32_e32 v3, s1
	v_or3_b32 v43, v2, v1, 3
	v_lshlrev_b32_e32 v1, 4, v34
	s_lshl_b64 s[0:1], s[22:23], 2
	v_lshl_or_b32 v1, v31, 5, v1
	s_add_u32 s0, s20, s0
	v_addc_co_u32_e32 v42, vcc, 0, v3, vcc
	v_add_u32_e32 v44, 0x310, v1
	v_and_b32_e32 v1, 60, v12
	s_addc_u32 s1, s21, s1
	v_mov_b32_e32 v2, s1
	v_add_co_u32_e32 v29, vcc, s0, v1
	v_mov_b32_e32 v35, 0
	v_addc_co_u32_e32 v30, vcc, 0, v2, vcc
	s_mov_b64 s[4:5], 0
	v_mov_b32_e32 v36, 0
	v_mov_b32_e32 v37, 0
	;; [unrolled: 1-line block ×5, first 2 shown]
	s_branch .LBB16_31
.LBB16_30:                              ;   in Loop: Header=BB16_31 Depth=1
	s_or_b64 exec, exec, s[6:7]
	s_waitcnt vmcnt(1) lgkmcnt(0)
	v_mul_f32_e32 v25, v1, v25
	v_mul_f32_e32 v17, v1, v17
	;; [unrolled: 1-line block ×5, first 2 shown]
	s_waitcnt vmcnt(0)
	v_mul_f32_e32 v1, v1, v21
	v_fmac_f32_e32 v25, v2, v26
	v_fmac_f32_e32 v17, v2, v18
	;; [unrolled: 1-line block ×6, first 2 shown]
	v_add_u32_e32 v31, 2, v31
	v_fmac_f32_e32 v25, v3, v27
	v_fmac_f32_e32 v17, v3, v19
	;; [unrolled: 1-line block ×6, first 2 shown]
	v_cmp_le_i32_e32 vcc, s12, v31
	v_fmac_f32_e32 v25, v4, v28
	v_fmac_f32_e32 v17, v4, v20
	;; [unrolled: 1-line block ×6, first 2 shown]
	s_or_b64 s[4:5], vcc, s[4:5]
	v_add_co_u32_e32 v29, vcc, 8, v29
	v_add_f32_e32 v36, v36, v25
	v_add_f32_e32 v37, v37, v17
	;; [unrolled: 1-line block ×6, first 2 shown]
	v_add_u32_e32 v43, 16, v43
	v_add_u32_e32 v44, 64, v44
	v_addc_co_u32_e32 v30, vcc, 0, v30, vcc
	s_andn2_b64 exec, exec, s[4:5]
	s_cbranch_execz .LBB16_43
.LBB16_31:                              ; =>This Inner Loop Header: Depth=1
	global_load_dword v1, v[29:30], off
	v_add_u32_e32 v45, -3, v43
	v_add_u32_e32 v47, -2, v43
	;; [unrolled: 1-line block ×3, first 2 shown]
	s_waitcnt vmcnt(0)
	v_mad_i64_i32 v[1:2], s[0:1], v1, s13, 0
	v_cmp_eq_u32_e64 s[0:1], s14, v31
	v_lshlrev_b64 v[1:2], 2, v[1:2]
	v_add_co_u32_e32 v21, vcc, v41, v1
	v_addc_co_u32_e32 v22, vcc, v42, v2, vcc
	global_load_dwordx4 v[5:8], v[21:22], off
	ds_read_b128 v[1:4], v44
	s_and_saveexec_b64 s[6:7], s[0:1]
	s_cbranch_execnz .LBB16_40
; %bb.32:                               ;   in Loop: Header=BB16_31 Depth=1
	s_or_b64 exec, exec, s[6:7]
	global_load_dwordx4 v[9:12], v[21:22], off offset:1024
	s_and_saveexec_b64 s[6:7], s[0:1]
	s_cbranch_execnz .LBB16_41
.LBB16_33:                              ;   in Loop: Header=BB16_31 Depth=1
	s_or_b64 exec, exec, s[6:7]
	global_load_dwordx4 v[13:16], v[21:22], off offset:2048
	s_and_saveexec_b64 s[6:7], s[0:1]
	s_cbranch_execnz .LBB16_42
.LBB16_34:                              ;   in Loop: Header=BB16_31 Depth=1
	s_or_b64 exec, exec, s[6:7]
	global_load_dwordx4 v[17:20], v[21:22], off offset:3072
	s_and_saveexec_b64 s[6:7], s[0:1]
	s_cbranch_execz .LBB16_36
.LBB16_35:                              ;   in Loop: Header=BB16_31 Depth=1
	v_cmp_gt_i32_e32 vcc, s33, v45
	s_waitcnt vmcnt(0)
	v_cndmask_b32_e32 v17, 0, v17, vcc
	v_cmp_gt_i32_e32 vcc, s33, v47
	v_cndmask_b32_e32 v18, 0, v18, vcc
	v_cmp_gt_i32_e32 vcc, s33, v46
	v_cndmask_b32_e32 v19, 0, v19, vcc
	v_cmp_gt_i32_e32 vcc, s33, v43
	v_cndmask_b32_e32 v20, 0, v20, vcc
.LBB16_36:                              ;   in Loop: Header=BB16_31 Depth=1
	s_or_b64 exec, exec, s[6:7]
	v_add_co_u32_e32 v23, vcc, 0x1000, v21
	v_addc_co_u32_e32 v24, vcc, 0, v22, vcc
	global_load_dwordx4 v[25:28], v[23:24], off
	s_and_saveexec_b64 s[6:7], s[0:1]
	s_cbranch_execz .LBB16_38
; %bb.37:                               ;   in Loop: Header=BB16_31 Depth=1
	v_cmp_gt_i32_e32 vcc, s33, v45
	s_waitcnt vmcnt(0)
	v_cndmask_b32_e32 v25, 0, v25, vcc
	v_cmp_gt_i32_e32 vcc, s33, v47
	v_cndmask_b32_e32 v26, 0, v26, vcc
	v_cmp_gt_i32_e32 vcc, s33, v46
	;; [unrolled: 2-line block ×3, first 2 shown]
	v_cndmask_b32_e32 v28, 0, v28, vcc
.LBB16_38:                              ;   in Loop: Header=BB16_31 Depth=1
	s_or_b64 exec, exec, s[6:7]
	v_add_co_u32_e32 v21, vcc, 0x1000, v21
	v_addc_co_u32_e32 v22, vcc, 0, v22, vcc
	global_load_dwordx4 v[21:24], v[21:22], off offset:1024
	s_and_saveexec_b64 s[6:7], s[0:1]
	s_cbranch_execz .LBB16_30
; %bb.39:                               ;   in Loop: Header=BB16_31 Depth=1
	v_cmp_gt_i32_e32 vcc, s33, v45
	s_waitcnt vmcnt(0)
	v_cndmask_b32_e32 v21, 0, v21, vcc
	v_cmp_gt_i32_e32 vcc, s33, v47
	v_cndmask_b32_e32 v22, 0, v22, vcc
	v_cmp_gt_i32_e32 vcc, s33, v46
	;; [unrolled: 2-line block ×3, first 2 shown]
	v_cndmask_b32_e32 v24, 0, v24, vcc
	s_branch .LBB16_30
.LBB16_40:                              ;   in Loop: Header=BB16_31 Depth=1
	v_cmp_gt_i32_e32 vcc, s33, v45
	s_waitcnt vmcnt(0)
	v_cndmask_b32_e32 v5, 0, v5, vcc
	v_cmp_gt_i32_e32 vcc, s33, v47
	v_cndmask_b32_e32 v6, 0, v6, vcc
	v_cmp_gt_i32_e32 vcc, s33, v46
	;; [unrolled: 2-line block ×3, first 2 shown]
	v_cndmask_b32_e32 v8, 0, v8, vcc
	s_or_b64 exec, exec, s[6:7]
	global_load_dwordx4 v[9:12], v[21:22], off offset:1024
	s_and_saveexec_b64 s[6:7], s[0:1]
	s_cbranch_execz .LBB16_33
.LBB16_41:                              ;   in Loop: Header=BB16_31 Depth=1
	v_cmp_gt_i32_e32 vcc, s33, v45
	s_waitcnt vmcnt(0)
	v_cndmask_b32_e32 v9, 0, v9, vcc
	v_cmp_gt_i32_e32 vcc, s33, v47
	v_cndmask_b32_e32 v10, 0, v10, vcc
	v_cmp_gt_i32_e32 vcc, s33, v46
	;; [unrolled: 2-line block ×3, first 2 shown]
	v_cndmask_b32_e32 v12, 0, v12, vcc
	s_or_b64 exec, exec, s[6:7]
	global_load_dwordx4 v[13:16], v[21:22], off offset:2048
	s_and_saveexec_b64 s[6:7], s[0:1]
	s_cbranch_execz .LBB16_34
.LBB16_42:                              ;   in Loop: Header=BB16_31 Depth=1
	v_cmp_gt_i32_e32 vcc, s33, v45
	s_waitcnt vmcnt(0)
	v_cndmask_b32_e32 v13, 0, v13, vcc
	v_cmp_gt_i32_e32 vcc, s33, v47
	v_cndmask_b32_e32 v14, 0, v14, vcc
	v_cmp_gt_i32_e32 vcc, s33, v46
	;; [unrolled: 2-line block ×3, first 2 shown]
	v_cndmask_b32_e32 v16, 0, v16, vcc
	s_or_b64 exec, exec, s[6:7]
	global_load_dwordx4 v[17:20], v[21:22], off offset:3072
	s_and_saveexec_b64 s[6:7], s[0:1]
	s_cbranch_execnz .LBB16_35
	s_branch .LBB16_36
.LBB16_43:
	s_or_b64 exec, exec, s[4:5]
.LBB16_44:
	s_or_b64 exec, exec, s[2:3]
	ds_bpermute_b32 v1, v33, v40
	ds_bpermute_b32 v2, v33, v39
	;; [unrolled: 1-line block ×6, first 2 shown]
	v_and_b32_e32 v7, 0x3c1, v0
	s_waitcnt lgkmcnt(5)
	v_add_f32_e32 v1, v40, v1
	s_waitcnt lgkmcnt(4)
	v_add_f32_e32 v2, v39, v2
	;; [unrolled: 2-line block ×6, first 2 shown]
	v_cmp_eq_u32_e32 vcc, 64, v7
	s_barrier
	s_and_saveexec_b64 s[0:1], vcc
	s_cbranch_execz .LBB16_46
; %bb.45:
	v_mov_b32_e32 v8, 0x310
	v_lshl_add_u32 v8, v32, 1, v8
	ds_write2_b32 v8, v1, v2 offset1:32
	ds_write2_b32 v8, v3, v4 offset0:64 offset1:96
	ds_write2_b32 v8, v5, v6 offset0:128 offset1:160
.LBB16_46:
	s_or_b64 exec, exec, s[0:1]
	v_cmp_gt_u32_e32 vcc, 64, v0
	v_lshrrev_b32_e32 v0, 1, v0
	s_waitcnt lgkmcnt(0)
	s_barrier
	s_and_saveexec_b64 s[0:1], vcc
	s_cbranch_execz .LBB16_55
; %bb.47:
	v_mov_b32_e32 v8, 0x310
	v_cmp_eq_u32_e32 vcc, 0, v34
	v_lshl_add_u32 v8, v0, 2, v8
	s_and_saveexec_b64 s[2:3], vcc
	s_cbranch_execnz .LBB16_58
; %bb.48:
	s_or_b64 exec, exec, s[2:3]
	s_and_saveexec_b64 s[2:3], vcc
	s_cbranch_execnz .LBB16_59
.LBB16_49:
	s_or_b64 exec, exec, s[2:3]
	s_and_saveexec_b64 s[2:3], vcc
	s_cbranch_execnz .LBB16_60
.LBB16_50:
	s_or_b64 exec, exec, s[2:3]
	s_and_saveexec_b64 s[2:3], vcc
	s_cbranch_execnz .LBB16_61
.LBB16_51:
	s_or_b64 exec, exec, s[2:3]
	s_and_saveexec_b64 s[2:3], vcc
	s_cbranch_execnz .LBB16_62
.LBB16_52:
	s_or_b64 exec, exec, s[2:3]
	s_and_saveexec_b64 s[2:3], vcc
	s_cbranch_execz .LBB16_54
.LBB16_53:
	ds_read_b32 v8, v8 offset:640
	s_waitcnt lgkmcnt(0)
	v_add_f32_e32 v6, v6, v8
.LBB16_54:
	s_or_b64 exec, exec, s[2:3]
.LBB16_55:
	s_or_b64 exec, exec, s[0:1]
	v_cmp_eq_u32_e32 vcc, 0, v7
	s_barrier
	s_and_saveexec_b64 s[0:1], vcc
	s_cbranch_execz .LBB16_57
; %bb.56:
	s_mul_i32 s0, s10, s11
	s_mul_i32 s0, s0, s9
	s_mulk_i32 s0, 0xc0
	s_ashr_i32 s1, s0, 31
	s_lshl_b64 s[0:1], s[0:1], 2
	s_add_u32 s2, s18, s0
	s_mul_i32 s0, s11, s16
	s_addc_u32 s3, s19, s1
	s_ashr_i32 s1, s0, 31
	s_lshl_b64 s[0:1], s[0:1], 2
	s_add_u32 s2, s2, s0
	s_mul_i32 s0, s8, 0xc0
	s_addc_u32 s3, s3, s1
	s_ashr_i32 s1, s0, 31
	s_lshl_b64 s[0:1], s[0:1], 2
	s_add_u32 s0, s2, s0
	s_addc_u32 s1, s3, s1
	v_lshlrev_b32_e32 v0, 2, v0
	global_store_dword v0, v1, s[0:1]
	global_store_dword v0, v2, s[0:1] offset:128
	global_store_dword v0, v3, s[0:1] offset:256
	;; [unrolled: 1-line block ×5, first 2 shown]
.LBB16_57:
	s_endpgm
.LBB16_58:
	ds_read_b32 v9, v8
	s_waitcnt lgkmcnt(0)
	v_add_f32_e32 v1, v1, v9
	s_or_b64 exec, exec, s[2:3]
	s_and_saveexec_b64 s[2:3], vcc
	s_cbranch_execz .LBB16_49
.LBB16_59:
	ds_read_b32 v9, v8 offset:128
	s_waitcnt lgkmcnt(0)
	v_add_f32_e32 v2, v2, v9
	s_or_b64 exec, exec, s[2:3]
	s_and_saveexec_b64 s[2:3], vcc
	s_cbranch_execz .LBB16_50
.LBB16_60:
	ds_read_b32 v9, v8 offset:256
	s_waitcnt lgkmcnt(0)
	v_add_f32_e32 v3, v3, v9
	s_or_b64 exec, exec, s[2:3]
	s_and_saveexec_b64 s[2:3], vcc
	s_cbranch_execz .LBB16_51
.LBB16_61:
	ds_read_b32 v9, v8 offset:384
	s_waitcnt lgkmcnt(0)
	v_add_f32_e32 v4, v4, v9
	s_or_b64 exec, exec, s[2:3]
	s_and_saveexec_b64 s[2:3], vcc
	s_cbranch_execz .LBB16_52
.LBB16_62:
	ds_read_b32 v9, v8 offset:512
	s_waitcnt lgkmcnt(0)
	v_add_f32_e32 v5, v5, v9
	s_or_b64 exec, exec, s[2:3]
	s_and_saveexec_b64 s[2:3], vcc
	s_cbranch_execnz .LBB16_53
	s_branch .LBB16_54
	.section	.rodata,"a",@progbits
	.p2align	6, 0x0
	.amdhsa_kernel _ZN4vllm25paged_attention_v1_kernelIffLi192ELi8ELi128ELNS_18Fp8KVCacheDataTypeE0ELb0EEEvPT_PKS2_PKT0_S8_ifPKiSA_iPKfiiiSC_SC_iiiii
		.amdhsa_group_segment_fixed_size 784
		.amdhsa_private_segment_fixed_size 0
		.amdhsa_kernarg_size 384
		.amdhsa_user_sgpr_count 6
		.amdhsa_user_sgpr_private_segment_buffer 1
		.amdhsa_user_sgpr_dispatch_ptr 0
		.amdhsa_user_sgpr_queue_ptr 0
		.amdhsa_user_sgpr_kernarg_segment_ptr 1
		.amdhsa_user_sgpr_dispatch_id 0
		.amdhsa_user_sgpr_flat_scratch_init 0
		.amdhsa_user_sgpr_private_segment_size 0
		.amdhsa_uses_dynamic_stack 0
		.amdhsa_system_sgpr_private_segment_wavefront_offset 0
		.amdhsa_system_sgpr_workgroup_id_x 1
		.amdhsa_system_sgpr_workgroup_id_y 1
		.amdhsa_system_sgpr_workgroup_id_z 1
		.amdhsa_system_sgpr_workgroup_info 0
		.amdhsa_system_vgpr_workitem_id 0
		.amdhsa_next_free_vgpr 64
		.amdhsa_next_free_sgpr 35
		.amdhsa_reserve_vcc 1
		.amdhsa_reserve_flat_scratch 0
		.amdhsa_float_round_mode_32 0
		.amdhsa_float_round_mode_16_64 0
		.amdhsa_float_denorm_mode_32 3
		.amdhsa_float_denorm_mode_16_64 3
		.amdhsa_dx10_clamp 1
		.amdhsa_ieee_mode 1
		.amdhsa_fp16_overflow 0
		.amdhsa_exception_fp_ieee_invalid_op 0
		.amdhsa_exception_fp_denorm_src 0
		.amdhsa_exception_fp_ieee_div_zero 0
		.amdhsa_exception_fp_ieee_overflow 0
		.amdhsa_exception_fp_ieee_underflow 0
		.amdhsa_exception_fp_ieee_inexact 0
		.amdhsa_exception_int_div_zero 0
	.end_amdhsa_kernel
	.section	.text._ZN4vllm25paged_attention_v1_kernelIffLi192ELi8ELi128ELNS_18Fp8KVCacheDataTypeE0ELb0EEEvPT_PKS2_PKT0_S8_ifPKiSA_iPKfiiiSC_SC_iiiii,"axG",@progbits,_ZN4vllm25paged_attention_v1_kernelIffLi192ELi8ELi128ELNS_18Fp8KVCacheDataTypeE0ELb0EEEvPT_PKS2_PKT0_S8_ifPKiSA_iPKfiiiSC_SC_iiiii,comdat
.Lfunc_end16:
	.size	_ZN4vllm25paged_attention_v1_kernelIffLi192ELi8ELi128ELNS_18Fp8KVCacheDataTypeE0ELb0EEEvPT_PKS2_PKT0_S8_ifPKiSA_iPKfiiiSC_SC_iiiii, .Lfunc_end16-_ZN4vllm25paged_attention_v1_kernelIffLi192ELi8ELi128ELNS_18Fp8KVCacheDataTypeE0ELb0EEEvPT_PKS2_PKT0_S8_ifPKiSA_iPKfiiiSC_SC_iiiii
                                        ; -- End function
	.set _ZN4vllm25paged_attention_v1_kernelIffLi192ELi8ELi128ELNS_18Fp8KVCacheDataTypeE0ELb0EEEvPT_PKS2_PKT0_S8_ifPKiSA_iPKfiiiSC_SC_iiiii.num_vgpr, 64
	.set _ZN4vllm25paged_attention_v1_kernelIffLi192ELi8ELi128ELNS_18Fp8KVCacheDataTypeE0ELb0EEEvPT_PKS2_PKT0_S8_ifPKiSA_iPKfiiiSC_SC_iiiii.num_agpr, 0
	.set _ZN4vllm25paged_attention_v1_kernelIffLi192ELi8ELi128ELNS_18Fp8KVCacheDataTypeE0ELb0EEEvPT_PKS2_PKT0_S8_ifPKiSA_iPKfiiiSC_SC_iiiii.numbered_sgpr, 35
	.set _ZN4vllm25paged_attention_v1_kernelIffLi192ELi8ELi128ELNS_18Fp8KVCacheDataTypeE0ELb0EEEvPT_PKS2_PKT0_S8_ifPKiSA_iPKfiiiSC_SC_iiiii.num_named_barrier, 0
	.set _ZN4vllm25paged_attention_v1_kernelIffLi192ELi8ELi128ELNS_18Fp8KVCacheDataTypeE0ELb0EEEvPT_PKS2_PKT0_S8_ifPKiSA_iPKfiiiSC_SC_iiiii.private_seg_size, 0
	.set _ZN4vllm25paged_attention_v1_kernelIffLi192ELi8ELi128ELNS_18Fp8KVCacheDataTypeE0ELb0EEEvPT_PKS2_PKT0_S8_ifPKiSA_iPKfiiiSC_SC_iiiii.uses_vcc, 1
	.set _ZN4vllm25paged_attention_v1_kernelIffLi192ELi8ELi128ELNS_18Fp8KVCacheDataTypeE0ELb0EEEvPT_PKS2_PKT0_S8_ifPKiSA_iPKfiiiSC_SC_iiiii.uses_flat_scratch, 0
	.set _ZN4vllm25paged_attention_v1_kernelIffLi192ELi8ELi128ELNS_18Fp8KVCacheDataTypeE0ELb0EEEvPT_PKS2_PKT0_S8_ifPKiSA_iPKfiiiSC_SC_iiiii.has_dyn_sized_stack, 0
	.set _ZN4vllm25paged_attention_v1_kernelIffLi192ELi8ELi128ELNS_18Fp8KVCacheDataTypeE0ELb0EEEvPT_PKS2_PKT0_S8_ifPKiSA_iPKfiiiSC_SC_iiiii.has_recursion, 0
	.set _ZN4vllm25paged_attention_v1_kernelIffLi192ELi8ELi128ELNS_18Fp8KVCacheDataTypeE0ELb0EEEvPT_PKS2_PKT0_S8_ifPKiSA_iPKfiiiSC_SC_iiiii.has_indirect_call, 0
	.section	.AMDGPU.csdata,"",@progbits
; Kernel info:
; codeLenInByte = 3868
; TotalNumSgprs: 39
; NumVgprs: 64
; ScratchSize: 0
; MemoryBound: 0
; FloatMode: 240
; IeeeMode: 1
; LDSByteSize: 784 bytes/workgroup (compile time only)
; SGPRBlocks: 4
; VGPRBlocks: 15
; NumSGPRsForWavesPerEU: 39
; NumVGPRsForWavesPerEU: 64
; Occupancy: 4
; WaveLimiterHint : 1
; COMPUTE_PGM_RSRC2:SCRATCH_EN: 0
; COMPUTE_PGM_RSRC2:USER_SGPR: 6
; COMPUTE_PGM_RSRC2:TRAP_HANDLER: 0
; COMPUTE_PGM_RSRC2:TGID_X_EN: 1
; COMPUTE_PGM_RSRC2:TGID_Y_EN: 1
; COMPUTE_PGM_RSRC2:TGID_Z_EN: 1
; COMPUTE_PGM_RSRC2:TIDIG_COMP_CNT: 0
	.section	.text._ZN4vllm25paged_attention_v1_kernelIffLi256ELi8ELi128ELNS_18Fp8KVCacheDataTypeE0ELb0EEEvPT_PKS2_PKT0_S8_ifPKiSA_iPKfiiiSC_SC_iiiii,"axG",@progbits,_ZN4vllm25paged_attention_v1_kernelIffLi256ELi8ELi128ELNS_18Fp8KVCacheDataTypeE0ELb0EEEvPT_PKS2_PKT0_S8_ifPKiSA_iPKfiiiSC_SC_iiiii,comdat
	.protected	_ZN4vllm25paged_attention_v1_kernelIffLi256ELi8ELi128ELNS_18Fp8KVCacheDataTypeE0ELb0EEEvPT_PKS2_PKT0_S8_ifPKiSA_iPKfiiiSC_SC_iiiii ; -- Begin function _ZN4vllm25paged_attention_v1_kernelIffLi256ELi8ELi128ELNS_18Fp8KVCacheDataTypeE0ELb0EEEvPT_PKS2_PKT0_S8_ifPKiSA_iPKfiiiSC_SC_iiiii
	.globl	_ZN4vllm25paged_attention_v1_kernelIffLi256ELi8ELi128ELNS_18Fp8KVCacheDataTypeE0ELb0EEEvPT_PKS2_PKT0_S8_ifPKiSA_iPKfiiiSC_SC_iiiii
	.p2align	8
	.type	_ZN4vllm25paged_attention_v1_kernelIffLi256ELi8ELi128ELNS_18Fp8KVCacheDataTypeE0ELb0EEEvPT_PKS2_PKT0_S8_ifPKiSA_iPKfiiiSC_SC_iiiii,@function
_ZN4vllm25paged_attention_v1_kernelIffLi256ELi8ELi128ELNS_18Fp8KVCacheDataTypeE0ELb0EEEvPT_PKS2_PKT0_S8_ifPKiSA_iPKfiiiSC_SC_iiiii: ; @_ZN4vllm25paged_attention_v1_kernelIffLi256ELi8ELi128ELNS_18Fp8KVCacheDataTypeE0ELb0EEEvPT_PKS2_PKT0_S8_ifPKiSA_iPKfiiiSC_SC_iiiii
; %bb.0:
	s_mov_b64 s[38:39], s[2:3]
	s_mov_b64 s[36:37], s[0:1]
	s_add_u32 s36, s36, s9
	s_load_dword s9, s[4:5], 0x80
	s_load_dwordx2 s[0:1], s[4:5], 0x30
	s_load_dwordx2 s[26:27], s[4:5], 0x20
	s_addc_u32 s37, s37, 0
	s_mov_b32 s10, s7
	s_ashr_i32 s11, s7, 31
	s_lshl_b64 s[2:3], s[10:11], 2
	s_waitcnt lgkmcnt(0)
	s_add_u32 s0, s0, s2
	s_addc_u32 s1, s1, s3
	s_abs_i32 s2, s26
	v_cvt_f32_u32_e32 v1, s2
	s_sub_i32 s11, 0, s2
	s_abs_i32 s7, s9
	s_xor_b32 s3, s9, s26
	v_rcp_iflag_f32_e32 v1, v1
	s_ashr_i32 s3, s3, 31
	v_mov_b32_e32 v39, v0
	s_mov_b32 s26, 0
	v_mul_f32_e32 v1, 0x4f7ffffe, v1
	v_cvt_u32_f32_e32 v1, v1
	v_readfirstlane_b32 s12, v1
	s_mul_i32 s11, s11, s12
	s_mul_hi_u32 s11, s12, s11
	s_add_i32 s12, s12, s11
	s_mul_hi_u32 s11, s7, s12
	s_mul_i32 s12, s11, s2
	s_sub_i32 s7, s7, s12
	s_add_i32 s12, s11, 1
	s_sub_i32 s13, s7, s2
	s_cmp_ge_u32 s7, s2
	s_cselect_b32 s11, s12, s11
	s_cselect_b32 s7, s13, s7
	s_add_i32 s12, s11, 1
	s_cmp_ge_u32 s7, s2
	s_cselect_b32 s2, s12, s11
	s_xor_b32 s2, s2, s3
	s_sub_i32 s11, s2, s3
	s_abs_i32 s18, s11
	v_cvt_f32_u32_e32 v1, s18
	s_load_dwordx2 s[2:3], s[4:5], 0x40
	s_sub_i32 s7, 0, s18
	s_abs_i32 s19, s6
	v_rcp_iflag_f32_e32 v1, v1
	v_mul_f32_e32 v1, 0x4f7ffffe, v1
	v_cvt_u32_f32_e32 v1, v1
	v_readfirstlane_b32 s12, v1
	s_mul_i32 s7, s7, s12
	s_mul_hi_u32 s7, s12, s7
	s_add_i32 s12, s12, s7
	s_waitcnt lgkmcnt(0)
	s_cmp_eq_u64 s[2:3], 0
	s_mul_hi_u32 s22, s19, s12
	s_cbranch_scc1 .LBB17_2
; %bb.1:
	s_ashr_i32 s7, s6, 31
	s_lshl_b64 s[12:13], s[6:7], 2
	s_add_u32 s2, s2, s12
	s_addc_u32 s3, s3, s13
	s_load_dword s26, s[2:3], 0x0
.LBB17_2:
	s_load_dword s33, s[0:1], 0x0
	s_ashr_i32 s23, s11, 31
	s_load_dword s11, s[4:5], 0x88
	s_load_dwordx4 s[12:15], s[4:5], 0x48
	s_movk_i32 s0, 0x100
	s_ashr_i32 s7, s6, 31
	v_and_b32_e32 v1, 7, v39
	s_lshl_b32 s16, s6, 8
	v_cmp_gt_u32_e32 vcc, s0, v39
	v_lshlrev_b32_e32 v10, 2, v39
	s_and_saveexec_b64 s[0:1], vcc
	s_cbranch_execz .LBB17_5
; %bb.3:
	s_load_dwordx2 s[2:3], s[4:5], 0x8
	s_waitcnt lgkmcnt(0)
	s_mul_i32 s20, s12, s10
	s_ashr_i32 s21, s20, 31
	s_lshl_b64 s[20:21], s[20:21], 2
	v_lshrrev_b32_e32 v2, 3, v39
	s_add_u32 s6, s2, s20
	s_addc_u32 s12, s3, s21
	s_ashr_i32 s17, s16, 31
	s_lshl_b64 s[2:3], s[16:17], 2
	s_add_u32 s2, s6, s2
	s_addc_u32 s3, s12, s3
	global_load_dword v4, v10, s[2:3]
	s_movk_i32 s6, 0x80
	v_lshlrev_b32_e32 v3, 2, v2
	v_lshl_add_u32 v3, v1, 7, v3
	v_cmp_gt_u32_e32 vcc, s6, v39
	s_waitcnt vmcnt(0)
	ds_write_b32 v3, v4
	s_and_b64 exec, exec, vcc
	s_cbranch_execz .LBB17_5
; %bb.4:
	v_lshlrev_b32_e32 v2, 5, v2
	v_lshlrev_b32_e32 v4, 2, v1
	s_movk_i32 s6, 0x200
	v_or3_b32 v2, v2, v4, s6
	global_load_dword v2, v2, s[2:3]
	s_waitcnt vmcnt(0)
	ds_write_b32 v3, v2 offset:64
.LBB17_5:
	s_or_b64 exec, exec, s[0:1]
	s_waitcnt lgkmcnt(0)
	s_add_i32 s1, s33, 7
	s_ashr_i32 s2, s1, 31
	s_lshr_b32 s2, s2, 29
	s_add_i32 s1, s1, s2
	s_mul_i32 s2, s22, s18
	s_sub_i32 s2, s19, s2
	s_ashr_i32 s12, s1, 3
	s_xor_b32 s1, s7, s23
	s_add_i32 s3, s22, 1
	s_sub_i32 s6, s2, s18
	s_load_dwordx2 s[20:21], s[4:5], 0x28
	s_load_dword s0, s[4:5], 0x38
	s_cmp_ge_u32 s2, s18
	s_cselect_b32 s3, s3, s22
	s_cselect_b32 s2, s6, s2
	s_add_i32 s6, s3, 1
	s_cmp_ge_u32 s2, s18
	s_cselect_b32 s2, s6, s3
	v_lshrrev_b32_e32 v58, 6, v39
	s_xor_b32 s2, s2, s1
	s_waitcnt lgkmcnt(0)
	s_mul_i32 s22, s0, s10
	s_sub_i32 s15, s2, s1
	s_ashr_i32 s23, s22, 31
	v_cmp_gt_i32_e64 s[0:1], s12, v58
	v_cmp_le_i32_e32 vcc, s12, v58
	v_mbcnt_lo_u32_b32 v2, -1, 0
	s_barrier
                                        ; implicit-def: $vgpr12
                                        ; implicit-def: $vgpr7
                                        ; implicit-def: $vgpr13
	s_and_saveexec_b64 s[2:3], vcc
	s_xor_b64 s[2:3], exec, s[2:3]
; %bb.6:
	v_mbcnt_hi_u32_b32 v12, -1, v2
	v_and_b32_e32 v7, 64, v12
	v_add_u32_e32 v13, 64, v7
                                        ; implicit-def: $vgpr1
                                        ; implicit-def: $vgpr2
; %bb.7:
	s_or_saveexec_b64 s[6:7], s[2:3]
	s_load_dwordx2 s[18:19], s[4:5], 0x0
	s_load_dwordx2 s[24:25], s[4:5], 0x18
	v_mov_b32_e32 v0, 0xff7fffff
	s_mul_i32 s14, s15, s14
	v_lshrrev_b32_e32 v11, 4, v39
	s_xor_b64 exec, exec, s[6:7]
	s_cbranch_execz .LBB17_13
; %bb.8:
	s_load_dwordx2 s[2:3], s[4:5], 0x10
	s_ashr_i32 s15, s14, 31
	s_lshl_b64 s[4:5], s[14:15], 2
	v_bfe_u32 v3, v39, 3, 3
	v_lshlrev_b32_e32 v5, 4, v3
	s_waitcnt lgkmcnt(0)
	s_add_u32 s2, s2, s4
	s_addc_u32 s3, s3, s5
	v_mov_b32_e32 v6, s3
	v_add_co_u32_e32 v5, vcc, s2, v5
	v_and_b32_e32 v7, 3, v39
	v_addc_co_u32_e32 v6, vcc, 0, v6, vcc
	v_lshlrev_b32_e32 v7, 2, v7
	v_mbcnt_hi_u32_b32 v0, -1, v2
	v_add_co_u32_e32 v5, vcc, v5, v7
	v_and_b32_e32 v2, 64, v0
	v_addc_co_u32_e32 v6, vcc, 0, v6, vcc
	buffer_store_dword v2, off, s[36:39], 0 offset:92 ; 4-byte Folded Spill
	v_add_u32_e32 v7, 64, v2
	v_xor_b32_e32 v2, 4, v0
	v_cmp_lt_i32_e32 vcc, v2, v7
	v_cndmask_b32_e32 v2, v0, v2, vcc
	v_lshlrev_b32_e32 v2, 2, v2
	buffer_store_dword v2, off, s[36:39], 0 offset:4 ; 4-byte Folded Spill
	v_xor_b32_e32 v2, 2, v0
	v_cmp_lt_i32_e32 vcc, v2, v7
	v_cndmask_b32_e32 v2, v0, v2, vcc
	v_lshlrev_b32_e32 v2, 2, v2
	buffer_store_dword v2, off, s[36:39], 0 offset:8 ; 4-byte Folded Spill
	v_xor_b32_e32 v2, 1, v0
	v_cmp_lt_i32_e32 vcc, v2, v7
	v_lshlrev_b32_e32 v29, 7, v1
	v_cndmask_b32_e32 v2, v0, v2, vcc
	v_cmp_eq_u32_e32 vcc, 0, v1
	v_lshlrev_b32_e32 v1, 5, v39
	buffer_store_dword v0, off, s[36:39], 0 offset:88 ; 4-byte Folded Spill
	v_lshlrev_b32_e32 v0, 2, v2
	v_and_b32_e32 v1, 0x80, v1
	buffer_store_dword v0, off, s[36:39], 0 offset:12 ; 4-byte Folded Spill
	v_add_co_u32_e64 v0, s[4:5], v5, v1
	buffer_store_dword v0, off, s[36:39], 0 offset:16 ; 4-byte Folded Spill
	v_addc_co_u32_e64 v0, s[4:5], 0, v6, s[4:5]
	v_lshlrev_b32_e32 v4, 2, v3
	s_sub_i32 s15, 1, s33
	s_lshl_b64 s[4:5], s[22:23], 2
	v_lshl_or_b32 v1, v58, 5, v4
	s_add_u32 s4, s20, s4
	v_add_u32_e32 v48, 0x410, v1
	v_and_b32_e32 v1, 60, v11
	s_addc_u32 s5, s21, s5
	v_mov_b32_e32 v2, s5
	v_add_co_u32_e64 v33, s[4:5], s4, v1
	buffer_store_dword v0, off, s[36:39], 0 offset:20 ; 4-byte Folded Spill
	v_lshl_or_b32 v47, v58, 3, v3
	v_addc_co_u32_e64 v34, s[4:5], 0, v2, s[4:5]
	ds_read_b128 v[0:3], v29
	buffer_store_dword v10, off, s[36:39], 0 offset:80 ; 4-byte Folded Spill
	buffer_store_dword v39, off, s[36:39], 0 offset:72 ; 4-byte Folded Spill
	;; [unrolled: 1-line block ×3, first 2 shown]
	s_waitcnt lgkmcnt(0)
	buffer_store_dword v0, off, s[36:39], 0 offset:24 ; 4-byte Folded Spill
	s_nop 0
	buffer_store_dword v1, off, s[36:39], 0 offset:28 ; 4-byte Folded Spill
	buffer_store_dword v2, off, s[36:39], 0 offset:32 ; 4-byte Folded Spill
	buffer_store_dword v3, off, s[36:39], 0 offset:36 ; 4-byte Folded Spill
	ds_read_b128 v[0:3], v29 offset:16
	s_waitcnt lgkmcnt(0)
	buffer_store_dword v0, off, s[36:39], 0 offset:40 ; 4-byte Folded Spill
	s_nop 0
	buffer_store_dword v1, off, s[36:39], 0 offset:44 ; 4-byte Folded Spill
	buffer_store_dword v2, off, s[36:39], 0 offset:48 ; 4-byte Folded Spill
	buffer_store_dword v3, off, s[36:39], 0 offset:52 ; 4-byte Folded Spill
	ds_read_b128 v[0:3], v29 offset:32
	s_waitcnt lgkmcnt(0)
	buffer_store_dword v0, off, s[36:39], 0 offset:56 ; 4-byte Folded Spill
	s_nop 0
	buffer_store_dword v1, off, s[36:39], 0 offset:60 ; 4-byte Folded Spill
	buffer_store_dword v2, off, s[36:39], 0 offset:64 ; 4-byte Folded Spill
	buffer_store_dword v3, off, s[36:39], 0 offset:68 ; 4-byte Folded Spill
	ds_read_b128 v[13:16], v29 offset:48
	ds_read_b128 v[17:20], v29 offset:64
	ds_read_b128 v[21:24], v29 offset:80
	;; [unrolled: 1-line block ×4, first 2 shown]
	s_mov_b32 s17, s13
	v_cmp_neq_f32_e64 s[2:3], s26, 0
	v_mov_b32_e32 v0, 0xff7fffff
	s_mov_b64 s[28:29], 0
	s_movk_i32 s34, 0x1000
	v_mov_b32_e32 v49, v58
	buffer_store_dword v0, off, s[36:39], 0 ; 4-byte Folded Spill
	buffer_store_dword v58, off, s[36:39], 0 offset:76 ; 4-byte Folded Spill
	s_branch .LBB17_10
.LBB17_9:                               ;   in Loop: Header=BB17_10 Depth=1
	s_or_b64 exec, exec, s[30:31]
	v_add_u32_e32 v49, 2, v49
	v_cmp_le_i32_e64 s[4:5], s12, v49
	s_or_b64 s[28:29], s[4:5], s[28:29]
	v_add_co_u32_e64 v33, s[4:5], 8, v33
	v_add_u32_e32 v47, 16, v47
	v_add_u32_e32 v48, 64, v48
	v_addc_co_u32_e64 v34, s[4:5], 0, v34, s[4:5]
	s_andn2_b64 exec, exec, s[28:29]
	s_cbranch_execz .LBB17_12
.LBB17_10:                              ; =>This Inner Loop Header: Depth=1
	global_load_dword v50, v[33:34], off
	buffer_load_dword v0, off, s[36:39], 0 offset:16 ; 4-byte Folded Reload
	s_waitcnt vmcnt(1) lgkmcnt(0)
	v_mad_i64_i32 v[50:51], s[4:5], v50, s17, 0
	v_lshlrev_b64 v[50:51], 2, v[50:51]
	s_waitcnt vmcnt(0)
	v_add_co_u32_e64 v50, s[4:5], v0, v50
	buffer_load_dword v0, off, s[36:39], 0 offset:20 ; 4-byte Folded Reload
	s_waitcnt vmcnt(0)
	v_addc_co_u32_e64 v51, s[4:5], v0, v51, s[4:5]
	global_load_dword v52, v[50:51], off
	global_load_dword v53, v[50:51], off offset:256
	global_load_dword v54, v[50:51], off offset:512
	;; [unrolled: 1-line block ×15, first 2 shown]
	v_add_co_u32_e64 v50, s[4:5], s34, v50
	v_addc_co_u32_e64 v51, s[4:5], 0, v51, s[4:5]
	global_load_dword v0, v[50:51], off
	global_load_dword v37, v[50:51], off offset:256
	global_load_dword v40, v[50:51], off offset:512
	global_load_dword v41, v[50:51], off offset:768
	global_load_dword v43, v[50:51], off offset:1024
	global_load_dword v45, v[50:51], off offset:1280
	global_load_dword v46, v[50:51], off offset:1536
	global_load_dword v44, v[50:51], off offset:1792
	global_load_dword v39, v[50:51], off offset:2048
	global_load_dword v1, v[50:51], off offset:2304
	global_load_dword v2, v[50:51], off offset:2560
	global_load_dword v3, v[50:51], off offset:2816
	global_load_dword v4, v[50:51], off offset:3072
	global_load_dword v5, v[50:51], off offset:3328
	global_load_dword v6, v[50:51], off offset:3584
	global_load_dword v7, v[50:51], off offset:3840
	buffer_load_dword v9, off, s[36:39], 0 offset:24 ; 4-byte Folded Reload
	buffer_load_dword v10, off, s[36:39], 0 offset:28 ; 4-byte Folded Reload
	;; [unrolled: 1-line block ×4, first 2 shown]
	s_waitcnt vmcnt(2)
	v_mul_f32_e32 v8, v10, v53
	v_fmac_f32_e32 v8, v9, v52
	s_waitcnt vmcnt(1)
	v_fmac_f32_e32 v8, v11, v54
	s_waitcnt vmcnt(0)
	v_fmac_f32_e32 v8, v12, v55
	buffer_load_dword v9, off, s[36:39], 0 offset:40 ; 4-byte Folded Reload
	buffer_load_dword v10, off, s[36:39], 0 offset:44 ; 4-byte Folded Reload
	;; [unrolled: 1-line block ×4, first 2 shown]
	s_waitcnt vmcnt(3)
	v_fmac_f32_e32 v8, v9, v56
	s_waitcnt vmcnt(2)
	v_fmac_f32_e32 v8, v10, v57
	;; [unrolled: 2-line block ×4, first 2 shown]
	buffer_load_dword v9, off, s[36:39], 0 offset:56 ; 4-byte Folded Reload
	buffer_load_dword v10, off, s[36:39], 0 offset:60 ; 4-byte Folded Reload
	;; [unrolled: 1-line block ×4, first 2 shown]
	s_waitcnt vmcnt(3)
	v_fmac_f32_e32 v8, v9, v60
	s_waitcnt vmcnt(2)
	v_fmac_f32_e32 v8, v10, v61
	;; [unrolled: 2-line block ×4, first 2 shown]
	s_waitcnt lgkmcnt(4)
	v_fmac_f32_e32 v8, v13, v35
	v_fmac_f32_e32 v8, v14, v36
	;; [unrolled: 1-line block ×4, first 2 shown]
	s_waitcnt lgkmcnt(3)
	v_fmac_f32_e32 v8, v17, v0
	v_fmac_f32_e32 v8, v18, v37
	;; [unrolled: 1-line block ×4, first 2 shown]
	buffer_load_dword v0, off, s[36:39], 0 offset:4 ; 4-byte Folded Reload
	s_waitcnt lgkmcnt(2)
	v_fmac_f32_e32 v8, v21, v43
	v_fmac_f32_e32 v8, v22, v45
	;; [unrolled: 1-line block ×4, first 2 shown]
	s_waitcnt lgkmcnt(1)
	v_fmac_f32_e32 v8, v25, v39
	v_fmac_f32_e32 v8, v26, v1
	buffer_load_dword v1, off, s[36:39], 0 offset:8 ; 4-byte Folded Reload
	v_fmac_f32_e32 v8, v27, v2
	v_fmac_f32_e32 v8, v28, v3
	s_waitcnt lgkmcnt(0)
	v_fmac_f32_e32 v8, v29, v4
	v_fmac_f32_e32 v8, v30, v5
	;; [unrolled: 1-line block ×4, first 2 shown]
	s_waitcnt vmcnt(1)
	ds_bpermute_b32 v0, v0, v8
	s_waitcnt lgkmcnt(0)
	v_add_f32_e32 v0, v8, v0
	s_waitcnt vmcnt(0)
	ds_bpermute_b32 v1, v1, v0
	s_waitcnt lgkmcnt(0)
	v_add_f32_e32 v50, v0, v1
	buffer_load_dword v0, off, s[36:39], 0 offset:12 ; 4-byte Folded Reload
	s_waitcnt vmcnt(0)
	ds_bpermute_b32 v51, v0, v50
	s_and_saveexec_b64 s[30:31], vcc
	s_cbranch_execz .LBB17_9
; %bb.11:                               ;   in Loop: Header=BB17_10 Depth=1
	buffer_load_dword v3, off, s[36:39], 0  ; 4-byte Folded Reload
	v_add_u32_e32 v0, s15, v47
	v_cvt_f32_i32_e32 v0, v0
	s_waitcnt lgkmcnt(0)
	v_add_f32_e32 v1, v50, v51
	v_cmp_gt_i32_e64 s[4:5], s33, v47
	v_mul_f32_e32 v0, s26, v0
	v_cndmask_b32_e64 v0, 0, v0, s[2:3]
	v_fmac_f32_e32 v0, s27, v1
	v_cndmask_b32_e64 v1, 0, v0, s[4:5]
	ds_write_b32 v48, v1
	s_waitcnt vmcnt(0)
	v_max_f32_e32 v2, v3, v3
	v_max_f32_e32 v0, v2, v0
	v_cndmask_b32_e64 v3, v3, v0, s[4:5]
	buffer_store_dword v3, off, s[36:39], 0 ; 4-byte Folded Spill
	s_branch .LBB17_9
.LBB17_12:
	s_or_b64 exec, exec, s[28:29]
	buffer_load_dword v39, off, s[36:39], 0 offset:72 ; 4-byte Folded Reload
	buffer_load_dword v58, off, s[36:39], 0 offset:76 ; 4-byte Folded Reload
	;; [unrolled: 1-line block ×6, first 2 shown]
	buffer_load_dword v0, off, s[36:39], 0  ; 4-byte Folded Reload
	s_waitcnt vmcnt(1)
	v_add_u32_e32 v13, 64, v7
.LBB17_13:
	s_or_b64 exec, exec, s[6:7]
	v_xor_b32_e32 v1, 32, v12
	v_cmp_lt_i32_e32 vcc, v1, v13
	v_cndmask_b32_e32 v1, v12, v1, vcc
	v_lshlrev_b32_e32 v2, 2, v1
	s_waitcnt vmcnt(0)
	ds_bpermute_b32 v1, v2, v0
	v_xor_b32_e32 v4, 16, v12
	v_max_f32_e32 v3, v0, v0
	v_cmp_lt_i32_e32 vcc, v4, v13
	v_xor_b32_e32 v5, 8, v12
	s_waitcnt lgkmcnt(0)
	v_max_f32_e32 v1, v1, v1
	v_max_f32_e32 v1, v3, v1
	v_cndmask_b32_e32 v3, v12, v4, vcc
	v_lshlrev_b32_e32 v4, 2, v3
	ds_bpermute_b32 v3, v4, v1
	v_cmp_lt_i32_e32 vcc, v5, v13
	v_and_b32_e32 v40, 63, v39
	s_waitcnt lgkmcnt(0)
	v_max_f32_e32 v3, v3, v3
	v_max_f32_e32 v3, v1, v3
	v_cndmask_b32_e32 v1, v12, v5, vcc
	v_lshlrev_b32_e32 v5, 2, v1
	ds_bpermute_b32 v6, v5, v3
	v_cmp_eq_u32_e32 vcc, 0, v40
	v_lshlrev_b32_e32 v1, 2, v58
	s_and_saveexec_b64 s[2:3], vcc
	s_cbranch_execz .LBB17_15
; %bb.14:
	s_waitcnt lgkmcnt(0)
	v_max_f32_e32 v0, v6, v6
	v_max_f32_e32 v3, v3, v3
	;; [unrolled: 1-line block ×3, first 2 shown]
	ds_write_b32 v1, v0 offset:1024
.LBB17_15:
	s_or_b64 exec, exec, s[2:3]
	v_cmp_gt_u32_e64 s[2:3], 2, v40
	s_waitcnt lgkmcnt(0)
	v_mov_b32_e32 v6, 0xff7fffff
	v_lshlrev_b32_e32 v3, 2, v40
	s_barrier
	s_and_saveexec_b64 s[4:5], s[2:3]
; %bb.16:
	ds_read_b32 v6, v3 offset:1024
; %bb.17:
	s_or_b64 exec, exec, s[4:5]
	v_xor_b32_e32 v0, 1, v12
	v_cmp_lt_i32_e64 s[4:5], v0, v13
	v_cndmask_b32_e64 v0, v12, v0, s[4:5]
	v_lshlrev_b32_e32 v41, 2, v0
	s_waitcnt lgkmcnt(0)
	ds_bpermute_b32 v0, v41, v6
	v_max_f32_e32 v6, v6, v6
	s_lshl_b32 s4, s12, 3
	s_min_i32 s15, s4, s33
	v_cmp_gt_i32_e64 s[4:5], s15, v39
	s_waitcnt lgkmcnt(0)
	v_max_f32_e32 v0, v0, v0
	v_max_f32_e32 v0, v6, v0
	v_lshlrev_b32_e32 v6, 2, v7
	ds_bpermute_b32 v7, v6, v0
	v_mov_b32_e32 v6, 0
	s_and_saveexec_b64 s[26:27], s[4:5]
	s_cbranch_execz .LBB17_21
; %bb.18:
	v_mov_b32_e32 v0, 0x410
	v_lshl_add_u32 v8, v39, 2, v0
	v_mov_b32_e32 v6, 0
	s_mov_b64 s[28:29], 0
	v_mov_b32_e32 v9, v39
.LBB17_19:                              ; =>This Inner Loop Header: Depth=1
	ds_read_b32 v0, v8
	v_add_u32_e32 v9, 0x80, v9
	v_cmp_le_i32_e64 s[6:7], s15, v9
	s_or_b64 s[28:29], s[6:7], s[28:29]
	s_waitcnt lgkmcnt(0)
	v_sub_f32_e32 v0, v0, v7
	v_mul_f32_e32 v0, 0x3fb8aa3b, v0
	v_exp_f32_e32 v0, v0
	ds_write_b32 v8, v0
	v_add_f32_e32 v6, v6, v0
	v_add_u32_e32 v8, 0x200, v8
	s_andn2_b64 exec, exec, s[28:29]
	s_cbranch_execnz .LBB17_19
; %bb.20:
	s_or_b64 exec, exec, s[28:29]
.LBB17_21:
	s_or_b64 exec, exec, s[26:27]
	ds_bpermute_b32 v0, v2, v6
	s_waitcnt lgkmcnt(0)
	v_add_f32_e32 v0, v6, v0
	ds_bpermute_b32 v2, v4, v0
	v_xor_b32_e32 v4, 4, v12
	v_cmp_lt_i32_e64 s[6:7], v4, v13
	v_cndmask_b32_e64 v4, v12, v4, s[6:7]
	v_lshlrev_b32_e32 v4, 2, v4
	s_waitcnt lgkmcnt(0)
	v_add_f32_e32 v0, v0, v2
	ds_bpermute_b32 v2, v5, v0
	s_waitcnt lgkmcnt(0)
	v_add_f32_e32 v0, v0, v2
	ds_bpermute_b32 v2, v4, v0
	v_xor_b32_e32 v4, 2, v12
	v_cmp_lt_i32_e64 s[6:7], v4, v13
	v_cndmask_b32_e64 v4, v12, v4, s[6:7]
	s_waitcnt lgkmcnt(0)
	v_add_f32_e32 v0, v0, v2
	v_lshlrev_b32_e32 v2, 2, v4
	ds_bpermute_b32 v2, v2, v0
	s_waitcnt lgkmcnt(0)
	v_add_f32_e32 v0, v0, v2
	ds_bpermute_b32 v2, v41, v0
	s_waitcnt lgkmcnt(0)
	v_add_f32_e32 v2, v0, v2
	s_and_saveexec_b64 s[6:7], vcc
; %bb.22:
	ds_write_b32 v1, v2 offset:1032
; %bb.23:
	s_or_b64 exec, exec, s[6:7]
	s_waitcnt lgkmcnt(0)
	s_barrier
	s_and_saveexec_b64 s[6:7], s[2:3]
; %bb.24:
	ds_read_b32 v2, v3 offset:1032
; %bb.25:
	s_or_b64 exec, exec, s[6:7]
	s_waitcnt lgkmcnt(0)
	ds_bpermute_b32 v0, v41, v2
	v_lshlrev_b32_e32 v1, 2, v12
	v_and_b32_e32 v1, 0xffffff00, v1
	s_waitcnt lgkmcnt(0)
	v_add_f32_e32 v0, v2, v0
	ds_bpermute_b32 v1, v1, v0
	s_and_saveexec_b64 s[2:3], s[4:5]
	s_cbranch_execz .LBB17_28
; %bb.26:
	s_waitcnt lgkmcnt(0)
	v_add_f32_e32 v0, 0x358637bd, v1
	v_div_scale_f32 v1, s[4:5], v0, v0, 1.0
	v_div_scale_f32 v2, vcc, 1.0, v0, 1.0
	s_mov_b64 s[4:5], 0
	v_rcp_f32_e32 v3, v1
	v_fma_f32 v4, -v1, v3, 1.0
	v_fmac_f32_e32 v3, v4, v3
	v_mul_f32_e32 v4, v2, v3
	v_fma_f32 v5, -v1, v4, v2
	v_fmac_f32_e32 v4, v5, v3
	v_fma_f32 v1, -v1, v4, v2
	v_div_fmas_f32 v2, v1, v3, v4
	v_mov_b32_e32 v1, 0x410
	v_lshl_add_u32 v1, v39, 2, v1
	v_mov_b32_e32 v3, v39
	v_div_fixup_f32 v2, v2, v0, 1.0
.LBB17_27:                              ; =>This Inner Loop Header: Depth=1
	ds_read_b32 v0, v1
	v_add_u32_e32 v3, 0x80, v3
	v_cmp_le_i32_e32 vcc, s15, v3
	s_or_b64 s[4:5], vcc, s[4:5]
	s_waitcnt lgkmcnt(0)
	v_mul_f32_e32 v0, v2, v0
	ds_write_b32 v1, v0
	v_add_u32_e32 v1, 0x200, v1
	s_andn2_b64 exec, exec, s[4:5]
	s_cbranch_execnz .LBB17_27
.LBB17_28:
	s_or_b64 exec, exec, s[2:3]
	v_mov_b32_e32 v48, 0
	v_and_b32_e32 v42, 1, v39
	v_mov_b32_e32 v50, 0
	v_mov_b32_e32 v49, 0
	;; [unrolled: 1-line block ×7, first 2 shown]
	s_waitcnt lgkmcnt(0)
	s_barrier
	s_and_saveexec_b64 s[2:3], s[0:1]
	s_cbranch_execz .LBB17_48
; %bb.29:
	s_ashr_i32 s15, s14, 31
	s_lshl_b64 s[0:1], s[14:15], 2
	v_lshlrev_b32_e32 v1, 4, v39
	s_add_u32 s0, s24, s0
	v_and_b32_e32 v1, 0x3f0, v1
	v_and_b32_e32 v0, 4, v10
	s_addc_u32 s1, s25, s1
	v_add_co_u32_e32 v51, vcc, s0, v1
	v_lshlrev_b32_e32 v1, 3, v58
	s_add_i32 s14, s12, -1
	v_mov_b32_e32 v2, s1
	v_or3_b32 v53, v1, v0, 3
	v_lshlrev_b32_e32 v0, 4, v42
	s_lshl_b64 s[0:1], s[22:23], 2
	v_lshl_or_b32 v0, v58, 5, v0
	s_add_u32 s0, s20, s0
	v_addc_co_u32_e32 v52, vcc, 0, v2, vcc
	v_add_u32_e32 v54, 0x410, v0
	v_and_b32_e32 v0, 60, v11
	s_addc_u32 s1, s21, s1
	v_mov_b32_e32 v1, s1
	v_add_co_u32_e32 v37, vcc, s0, v0
	v_mov_b32_e32 v43, 0
	v_addc_co_u32_e32 v38, vcc, 0, v1, vcc
	s_mov_b64 s[4:5], 0
	v_mov_b32_e32 v44, 0
	v_mov_b32_e32 v45, 0
	;; [unrolled: 1-line block ×7, first 2 shown]
	s_branch .LBB17_31
.LBB17_30:                              ;   in Loop: Header=BB17_31 Depth=1
	s_or_b64 exec, exec, s[6:7]
	s_waitcnt vmcnt(1) lgkmcnt(0)
	v_mul_f32_e32 v0, v1, v33
	v_fmac_f32_e32 v0, v2, v34
	v_fmac_f32_e32 v0, v3, v35
	v_fmac_f32_e32 v0, v4, v36
	v_add_f32_e32 v44, v44, v0
	v_mul_f32_e32 v0, v1, v25
	v_fmac_f32_e32 v0, v2, v26
	v_fmac_f32_e32 v0, v3, v27
	v_fmac_f32_e32 v0, v4, v28
	v_add_f32_e32 v45, v45, v0
	;; [unrolled: 5-line block ×7, first 2 shown]
	s_waitcnt vmcnt(0)
	v_mul_f32_e32 v0, v1, v29
	v_fmac_f32_e32 v0, v2, v30
	v_add_u32_e32 v58, 2, v58
	v_fmac_f32_e32 v0, v3, v31
	v_cmp_le_i32_e32 vcc, s12, v58
	v_fmac_f32_e32 v0, v4, v32
	s_or_b64 s[4:5], vcc, s[4:5]
	v_add_co_u32_e32 v37, vcc, 8, v37
	v_add_f32_e32 v43, v43, v0
	v_add_u32_e32 v53, 16, v53
	v_add_u32_e32 v54, 64, v54
	v_addc_co_u32_e32 v38, vcc, 0, v38, vcc
	s_andn2_b64 exec, exec, s[4:5]
	s_cbranch_execz .LBB17_47
.LBB17_31:                              ; =>This Inner Loop Header: Depth=1
	global_load_dword v0, v[37:38], off
	v_add_u32_e32 v55, -3, v53
	v_add_u32_e32 v57, -2, v53
	v_add_u32_e32 v56, -1, v53
	s_waitcnt vmcnt(0)
	v_mad_i64_i32 v[1:2], s[0:1], v0, s13, 0
	v_cmp_eq_u32_e64 s[0:1], s14, v58
	v_lshlrev_b64 v[1:2], 2, v[1:2]
	v_add_co_u32_e32 v29, vcc, v51, v1
	v_addc_co_u32_e32 v30, vcc, v52, v2, vcc
	global_load_dwordx4 v[5:8], v[29:30], off
	ds_read_b128 v[1:4], v54
	s_and_saveexec_b64 s[6:7], s[0:1]
	s_cbranch_execnz .LBB17_44
; %bb.32:                               ;   in Loop: Header=BB17_31 Depth=1
	s_or_b64 exec, exec, s[6:7]
	global_load_dwordx4 v[9:12], v[29:30], off offset:1024
	s_and_saveexec_b64 s[6:7], s[0:1]
	s_cbranch_execnz .LBB17_45
.LBB17_33:                              ;   in Loop: Header=BB17_31 Depth=1
	s_or_b64 exec, exec, s[6:7]
	global_load_dwordx4 v[13:16], v[29:30], off offset:2048
	s_and_saveexec_b64 s[6:7], s[0:1]
	s_cbranch_execnz .LBB17_46
.LBB17_34:                              ;   in Loop: Header=BB17_31 Depth=1
	s_or_b64 exec, exec, s[6:7]
	global_load_dwordx4 v[17:20], v[29:30], off offset:3072
	s_and_saveexec_b64 s[6:7], s[0:1]
	s_cbranch_execz .LBB17_36
.LBB17_35:                              ;   in Loop: Header=BB17_31 Depth=1
	v_cmp_gt_i32_e32 vcc, s33, v55
	s_waitcnt vmcnt(0)
	v_cndmask_b32_e32 v17, 0, v17, vcc
	v_cmp_gt_i32_e32 vcc, s33, v57
	v_cndmask_b32_e32 v18, 0, v18, vcc
	v_cmp_gt_i32_e32 vcc, s33, v56
	;; [unrolled: 2-line block ×3, first 2 shown]
	v_cndmask_b32_e32 v20, 0, v20, vcc
.LBB17_36:                              ;   in Loop: Header=BB17_31 Depth=1
	s_or_b64 exec, exec, s[6:7]
	v_add_co_u32_e32 v21, vcc, 0x1000, v29
	v_addc_co_u32_e32 v22, vcc, 0, v30, vcc
	global_load_dwordx4 v[21:24], v[21:22], off
	s_and_saveexec_b64 s[6:7], s[0:1]
	s_cbranch_execz .LBB17_38
; %bb.37:                               ;   in Loop: Header=BB17_31 Depth=1
	v_cmp_gt_i32_e32 vcc, s33, v55
	s_waitcnt vmcnt(0)
	v_cndmask_b32_e32 v21, 0, v21, vcc
	v_cmp_gt_i32_e32 vcc, s33, v57
	v_cndmask_b32_e32 v22, 0, v22, vcc
	v_cmp_gt_i32_e32 vcc, s33, v56
	v_cndmask_b32_e32 v23, 0, v23, vcc
	v_cmp_gt_i32_e32 vcc, s33, v53
	v_cndmask_b32_e32 v24, 0, v24, vcc
.LBB17_38:                              ;   in Loop: Header=BB17_31 Depth=1
	s_or_b64 exec, exec, s[6:7]
	v_add_co_u32_e32 v25, vcc, 0x1000, v29
	v_addc_co_u32_e32 v26, vcc, 0, v30, vcc
	global_load_dwordx4 v[25:28], v[25:26], off offset:1024
	s_and_saveexec_b64 s[6:7], s[0:1]
	s_cbranch_execz .LBB17_40
; %bb.39:                               ;   in Loop: Header=BB17_31 Depth=1
	v_cmp_gt_i32_e32 vcc, s33, v55
	s_waitcnt vmcnt(0)
	v_cndmask_b32_e32 v25, 0, v25, vcc
	v_cmp_gt_i32_e32 vcc, s33, v57
	v_cndmask_b32_e32 v26, 0, v26, vcc
	v_cmp_gt_i32_e32 vcc, s33, v56
	v_cndmask_b32_e32 v27, 0, v27, vcc
	v_cmp_gt_i32_e32 vcc, s33, v53
	v_cndmask_b32_e32 v28, 0, v28, vcc
.LBB17_40:                              ;   in Loop: Header=BB17_31 Depth=1
	s_or_b64 exec, exec, s[6:7]
	v_add_co_u32_e32 v31, vcc, 0x1000, v29
	v_addc_co_u32_e32 v32, vcc, 0, v30, vcc
	global_load_dwordx4 v[33:36], v[31:32], off offset:2048
	;; [unrolled: 17-line block ×3, first 2 shown]
	s_and_saveexec_b64 s[6:7], s[0:1]
	s_cbranch_execz .LBB17_30
; %bb.43:                               ;   in Loop: Header=BB17_31 Depth=1
	v_cmp_gt_i32_e32 vcc, s33, v55
	s_waitcnt vmcnt(0)
	v_cndmask_b32_e32 v29, 0, v29, vcc
	v_cmp_gt_i32_e32 vcc, s33, v57
	v_cndmask_b32_e32 v30, 0, v30, vcc
	v_cmp_gt_i32_e32 vcc, s33, v56
	;; [unrolled: 2-line block ×3, first 2 shown]
	v_cndmask_b32_e32 v32, 0, v32, vcc
	s_branch .LBB17_30
.LBB17_44:                              ;   in Loop: Header=BB17_31 Depth=1
	v_cmp_gt_i32_e32 vcc, s33, v55
	s_waitcnt vmcnt(0)
	v_cndmask_b32_e32 v5, 0, v5, vcc
	v_cmp_gt_i32_e32 vcc, s33, v57
	v_cndmask_b32_e32 v6, 0, v6, vcc
	v_cmp_gt_i32_e32 vcc, s33, v56
	;; [unrolled: 2-line block ×3, first 2 shown]
	v_cndmask_b32_e32 v8, 0, v8, vcc
	s_or_b64 exec, exec, s[6:7]
	global_load_dwordx4 v[9:12], v[29:30], off offset:1024
	s_and_saveexec_b64 s[6:7], s[0:1]
	s_cbranch_execz .LBB17_33
.LBB17_45:                              ;   in Loop: Header=BB17_31 Depth=1
	v_cmp_gt_i32_e32 vcc, s33, v55
	s_waitcnt vmcnt(0)
	v_cndmask_b32_e32 v9, 0, v9, vcc
	v_cmp_gt_i32_e32 vcc, s33, v57
	v_cndmask_b32_e32 v10, 0, v10, vcc
	v_cmp_gt_i32_e32 vcc, s33, v56
	;; [unrolled: 2-line block ×3, first 2 shown]
	v_cndmask_b32_e32 v12, 0, v12, vcc
	s_or_b64 exec, exec, s[6:7]
	global_load_dwordx4 v[13:16], v[29:30], off offset:2048
	s_and_saveexec_b64 s[6:7], s[0:1]
	s_cbranch_execz .LBB17_34
.LBB17_46:                              ;   in Loop: Header=BB17_31 Depth=1
	v_cmp_gt_i32_e32 vcc, s33, v55
	s_waitcnt vmcnt(0)
	v_cndmask_b32_e32 v13, 0, v13, vcc
	v_cmp_gt_i32_e32 vcc, s33, v57
	v_cndmask_b32_e32 v14, 0, v14, vcc
	v_cmp_gt_i32_e32 vcc, s33, v56
	;; [unrolled: 2-line block ×3, first 2 shown]
	v_cndmask_b32_e32 v16, 0, v16, vcc
	s_or_b64 exec, exec, s[6:7]
	global_load_dwordx4 v[17:20], v[29:30], off offset:3072
	s_and_saveexec_b64 s[6:7], s[0:1]
	s_cbranch_execnz .LBB17_35
	s_branch .LBB17_36
.LBB17_47:
	s_or_b64 exec, exec, s[4:5]
.LBB17_48:
	s_or_b64 exec, exec, s[2:3]
	ds_bpermute_b32 v0, v41, v48
	ds_bpermute_b32 v2, v41, v50
	;; [unrolled: 1-line block ×5, first 2 shown]
	s_waitcnt lgkmcnt(4)
	v_add_f32_e32 v1, v48, v0
	ds_bpermute_b32 v0, v41, v47
	ds_bpermute_b32 v7, v41, v44
	ds_bpermute_b32 v8, v41, v43
	v_and_b32_e32 v9, 0x3c1, v39
	s_waitcnt lgkmcnt(6)
	v_add_f32_e32 v2, v50, v2
	s_waitcnt lgkmcnt(5)
	v_add_f32_e32 v3, v49, v3
	;; [unrolled: 2-line block ×3, first 2 shown]
	v_add_f32_e32 v5, v46, v5
	v_add_f32_e32 v6, v45, v6
	s_waitcnt lgkmcnt(1)
	v_add_f32_e32 v7, v44, v7
	s_waitcnt lgkmcnt(0)
	v_add_f32_e32 v8, v43, v8
	v_cmp_eq_u32_e32 vcc, 64, v9
	s_barrier
	s_and_saveexec_b64 s[0:1], vcc
	s_cbranch_execz .LBB17_50
; %bb.49:
	v_mov_b32_e32 v0, 0x410
	v_lshl_add_u32 v0, v40, 1, v0
	ds_write2_b32 v0, v1, v2 offset1:32
	ds_write2_b32 v0, v3, v4 offset0:64 offset1:96
	ds_write2_b32 v0, v5, v6 offset0:128 offset1:160
	;; [unrolled: 1-line block ×3, first 2 shown]
.LBB17_50:
	s_or_b64 exec, exec, s[0:1]
	v_cmp_gt_u32_e32 vcc, 64, v39
	v_lshrrev_b32_e32 v0, 1, v39
	s_waitcnt lgkmcnt(0)
	s_barrier
	s_and_saveexec_b64 s[0:1], vcc
	s_cbranch_execz .LBB17_61
; %bb.51:
	v_mov_b32_e32 v10, 0x410
	v_cmp_eq_u32_e32 vcc, 0, v42
	v_lshl_add_u32 v10, v0, 2, v10
	s_and_saveexec_b64 s[2:3], vcc
	s_cbranch_execnz .LBB17_64
; %bb.52:
	s_or_b64 exec, exec, s[2:3]
	s_and_saveexec_b64 s[2:3], vcc
	s_cbranch_execnz .LBB17_65
.LBB17_53:
	s_or_b64 exec, exec, s[2:3]
	s_and_saveexec_b64 s[2:3], vcc
	s_cbranch_execnz .LBB17_66
.LBB17_54:
	s_or_b64 exec, exec, s[2:3]
	s_and_saveexec_b64 s[2:3], vcc
	s_cbranch_execnz .LBB17_67
.LBB17_55:
	s_or_b64 exec, exec, s[2:3]
	s_and_saveexec_b64 s[2:3], vcc
	s_cbranch_execnz .LBB17_68
.LBB17_56:
	s_or_b64 exec, exec, s[2:3]
	s_and_saveexec_b64 s[2:3], vcc
	s_cbranch_execnz .LBB17_69
.LBB17_57:
	s_or_b64 exec, exec, s[2:3]
	s_and_saveexec_b64 s[2:3], vcc
	s_cbranch_execnz .LBB17_70
.LBB17_58:
	s_or_b64 exec, exec, s[2:3]
	s_and_saveexec_b64 s[2:3], vcc
	s_cbranch_execz .LBB17_60
.LBB17_59:
	ds_read_b32 v10, v10 offset:896
	s_waitcnt lgkmcnt(0)
	v_add_f32_e32 v8, v8, v10
.LBB17_60:
	s_or_b64 exec, exec, s[2:3]
.LBB17_61:
	s_or_b64 exec, exec, s[0:1]
	v_cmp_eq_u32_e32 vcc, 0, v9
	s_barrier
	s_and_saveexec_b64 s[0:1], vcc
	s_cbranch_execz .LBB17_63
; %bb.62:
	s_mul_i32 s0, s10, s11
	s_mul_i32 s0, s0, s9
	s_lshl_b32 s0, s0, 8
	s_ashr_i32 s1, s0, 31
	s_lshl_b64 s[0:1], s[0:1], 2
	s_add_u32 s2, s18, s0
	s_mul_i32 s0, s11, s16
	s_addc_u32 s3, s19, s1
	s_ashr_i32 s1, s0, 31
	s_lshl_b64 s[0:1], s[0:1], 2
	s_add_u32 s2, s2, s0
	s_addc_u32 s3, s3, s1
	s_lshl_b32 s0, s8, 8
	s_ashr_i32 s1, s0, 31
	s_lshl_b64 s[0:1], s[0:1], 2
	s_add_u32 s0, s2, s0
	s_addc_u32 s1, s3, s1
	v_lshlrev_b32_e32 v0, 2, v0
	global_store_dword v0, v1, s[0:1]
	global_store_dword v0, v2, s[0:1] offset:128
	global_store_dword v0, v3, s[0:1] offset:256
	;; [unrolled: 1-line block ×7, first 2 shown]
.LBB17_63:
	s_endpgm
.LBB17_64:
	ds_read_b32 v11, v10
	s_waitcnt lgkmcnt(0)
	v_add_f32_e32 v1, v1, v11
	s_or_b64 exec, exec, s[2:3]
	s_and_saveexec_b64 s[2:3], vcc
	s_cbranch_execz .LBB17_53
.LBB17_65:
	ds_read_b32 v11, v10 offset:128
	s_waitcnt lgkmcnt(0)
	v_add_f32_e32 v2, v2, v11
	s_or_b64 exec, exec, s[2:3]
	s_and_saveexec_b64 s[2:3], vcc
	s_cbranch_execz .LBB17_54
.LBB17_66:
	ds_read_b32 v11, v10 offset:256
	s_waitcnt lgkmcnt(0)
	v_add_f32_e32 v3, v3, v11
	s_or_b64 exec, exec, s[2:3]
	s_and_saveexec_b64 s[2:3], vcc
	s_cbranch_execz .LBB17_55
.LBB17_67:
	ds_read_b32 v11, v10 offset:384
	s_waitcnt lgkmcnt(0)
	v_add_f32_e32 v4, v4, v11
	s_or_b64 exec, exec, s[2:3]
	s_and_saveexec_b64 s[2:3], vcc
	s_cbranch_execz .LBB17_56
.LBB17_68:
	ds_read_b32 v11, v10 offset:512
	s_waitcnt lgkmcnt(0)
	v_add_f32_e32 v5, v5, v11
	s_or_b64 exec, exec, s[2:3]
	s_and_saveexec_b64 s[2:3], vcc
	s_cbranch_execz .LBB17_57
.LBB17_69:
	ds_read_b32 v11, v10 offset:640
	s_waitcnt lgkmcnt(0)
	v_add_f32_e32 v6, v6, v11
	s_or_b64 exec, exec, s[2:3]
	s_and_saveexec_b64 s[2:3], vcc
	s_cbranch_execz .LBB17_58
.LBB17_70:
	ds_read_b32 v11, v10 offset:768
	s_waitcnt lgkmcnt(0)
	v_add_f32_e32 v7, v7, v11
	s_or_b64 exec, exec, s[2:3]
	s_and_saveexec_b64 s[2:3], vcc
	s_cbranch_execnz .LBB17_59
	s_branch .LBB17_60
	.section	.rodata,"a",@progbits
	.p2align	6, 0x0
	.amdhsa_kernel _ZN4vllm25paged_attention_v1_kernelIffLi256ELi8ELi128ELNS_18Fp8KVCacheDataTypeE0ELb0EEEvPT_PKS2_PKT0_S8_ifPKiSA_iPKfiiiSC_SC_iiiii
		.amdhsa_group_segment_fixed_size 1040
		.amdhsa_private_segment_fixed_size 100
		.amdhsa_kernarg_size 384
		.amdhsa_user_sgpr_count 6
		.amdhsa_user_sgpr_private_segment_buffer 1
		.amdhsa_user_sgpr_dispatch_ptr 0
		.amdhsa_user_sgpr_queue_ptr 0
		.amdhsa_user_sgpr_kernarg_segment_ptr 1
		.amdhsa_user_sgpr_dispatch_id 0
		.amdhsa_user_sgpr_flat_scratch_init 0
		.amdhsa_user_sgpr_private_segment_size 0
		.amdhsa_uses_dynamic_stack 0
		.amdhsa_system_sgpr_private_segment_wavefront_offset 1
		.amdhsa_system_sgpr_workgroup_id_x 1
		.amdhsa_system_sgpr_workgroup_id_y 1
		.amdhsa_system_sgpr_workgroup_id_z 1
		.amdhsa_system_sgpr_workgroup_info 0
		.amdhsa_system_vgpr_workitem_id 0
		.amdhsa_next_free_vgpr 64
		.amdhsa_next_free_sgpr 40
		.amdhsa_reserve_vcc 1
		.amdhsa_reserve_flat_scratch 0
		.amdhsa_float_round_mode_32 0
		.amdhsa_float_round_mode_16_64 0
		.amdhsa_float_denorm_mode_32 3
		.amdhsa_float_denorm_mode_16_64 3
		.amdhsa_dx10_clamp 1
		.amdhsa_ieee_mode 1
		.amdhsa_fp16_overflow 0
		.amdhsa_exception_fp_ieee_invalid_op 0
		.amdhsa_exception_fp_denorm_src 0
		.amdhsa_exception_fp_ieee_div_zero 0
		.amdhsa_exception_fp_ieee_overflow 0
		.amdhsa_exception_fp_ieee_underflow 0
		.amdhsa_exception_fp_ieee_inexact 0
		.amdhsa_exception_int_div_zero 0
	.end_amdhsa_kernel
	.section	.text._ZN4vllm25paged_attention_v1_kernelIffLi256ELi8ELi128ELNS_18Fp8KVCacheDataTypeE0ELb0EEEvPT_PKS2_PKT0_S8_ifPKiSA_iPKfiiiSC_SC_iiiii,"axG",@progbits,_ZN4vllm25paged_attention_v1_kernelIffLi256ELi8ELi128ELNS_18Fp8KVCacheDataTypeE0ELb0EEEvPT_PKS2_PKT0_S8_ifPKiSA_iPKfiiiSC_SC_iiiii,comdat
.Lfunc_end17:
	.size	_ZN4vllm25paged_attention_v1_kernelIffLi256ELi8ELi128ELNS_18Fp8KVCacheDataTypeE0ELb0EEEvPT_PKS2_PKT0_S8_ifPKiSA_iPKfiiiSC_SC_iiiii, .Lfunc_end17-_ZN4vllm25paged_attention_v1_kernelIffLi256ELi8ELi128ELNS_18Fp8KVCacheDataTypeE0ELb0EEEvPT_PKS2_PKT0_S8_ifPKiSA_iPKfiiiSC_SC_iiiii
                                        ; -- End function
	.set _ZN4vllm25paged_attention_v1_kernelIffLi256ELi8ELi128ELNS_18Fp8KVCacheDataTypeE0ELb0EEEvPT_PKS2_PKT0_S8_ifPKiSA_iPKfiiiSC_SC_iiiii.num_vgpr, 64
	.set _ZN4vllm25paged_attention_v1_kernelIffLi256ELi8ELi128ELNS_18Fp8KVCacheDataTypeE0ELb0EEEvPT_PKS2_PKT0_S8_ifPKiSA_iPKfiiiSC_SC_iiiii.num_agpr, 0
	.set _ZN4vllm25paged_attention_v1_kernelIffLi256ELi8ELi128ELNS_18Fp8KVCacheDataTypeE0ELb0EEEvPT_PKS2_PKT0_S8_ifPKiSA_iPKfiiiSC_SC_iiiii.numbered_sgpr, 40
	.set _ZN4vllm25paged_attention_v1_kernelIffLi256ELi8ELi128ELNS_18Fp8KVCacheDataTypeE0ELb0EEEvPT_PKS2_PKT0_S8_ifPKiSA_iPKfiiiSC_SC_iiiii.num_named_barrier, 0
	.set _ZN4vllm25paged_attention_v1_kernelIffLi256ELi8ELi128ELNS_18Fp8KVCacheDataTypeE0ELb0EEEvPT_PKS2_PKT0_S8_ifPKiSA_iPKfiiiSC_SC_iiiii.private_seg_size, 100
	.set _ZN4vllm25paged_attention_v1_kernelIffLi256ELi8ELi128ELNS_18Fp8KVCacheDataTypeE0ELb0EEEvPT_PKS2_PKT0_S8_ifPKiSA_iPKfiiiSC_SC_iiiii.uses_vcc, 1
	.set _ZN4vllm25paged_attention_v1_kernelIffLi256ELi8ELi128ELNS_18Fp8KVCacheDataTypeE0ELb0EEEvPT_PKS2_PKT0_S8_ifPKiSA_iPKfiiiSC_SC_iiiii.uses_flat_scratch, 0
	.set _ZN4vllm25paged_attention_v1_kernelIffLi256ELi8ELi128ELNS_18Fp8KVCacheDataTypeE0ELb0EEEvPT_PKS2_PKT0_S8_ifPKiSA_iPKfiiiSC_SC_iiiii.has_dyn_sized_stack, 0
	.set _ZN4vllm25paged_attention_v1_kernelIffLi256ELi8ELi128ELNS_18Fp8KVCacheDataTypeE0ELb0EEEvPT_PKS2_PKT0_S8_ifPKiSA_iPKfiiiSC_SC_iiiii.has_recursion, 0
	.set _ZN4vllm25paged_attention_v1_kernelIffLi256ELi8ELi128ELNS_18Fp8KVCacheDataTypeE0ELb0EEEvPT_PKS2_PKT0_S8_ifPKiSA_iPKfiiiSC_SC_iiiii.has_indirect_call, 0
	.section	.AMDGPU.csdata,"",@progbits
; Kernel info:
; codeLenInByte = 4716
; TotalNumSgprs: 44
; NumVgprs: 64
; ScratchSize: 100
; MemoryBound: 0
; FloatMode: 240
; IeeeMode: 1
; LDSByteSize: 1040 bytes/workgroup (compile time only)
; SGPRBlocks: 5
; VGPRBlocks: 15
; NumSGPRsForWavesPerEU: 44
; NumVGPRsForWavesPerEU: 64
; Occupancy: 4
; WaveLimiterHint : 1
; COMPUTE_PGM_RSRC2:SCRATCH_EN: 1
; COMPUTE_PGM_RSRC2:USER_SGPR: 6
; COMPUTE_PGM_RSRC2:TRAP_HANDLER: 0
; COMPUTE_PGM_RSRC2:TGID_X_EN: 1
; COMPUTE_PGM_RSRC2:TGID_Y_EN: 1
; COMPUTE_PGM_RSRC2:TGID_Z_EN: 1
; COMPUTE_PGM_RSRC2:TIDIG_COMP_CNT: 0
	.section	.text._ZN4vllm25paged_attention_v1_kernelIffLi32ELi16ELi128ELNS_18Fp8KVCacheDataTypeE0ELb1EEEvPT_PKS2_PKT0_S8_ifPKiSA_iPKfiiiSC_SC_iiiii,"axG",@progbits,_ZN4vllm25paged_attention_v1_kernelIffLi32ELi16ELi128ELNS_18Fp8KVCacheDataTypeE0ELb1EEEvPT_PKS2_PKT0_S8_ifPKiSA_iPKfiiiSC_SC_iiiii,comdat
	.protected	_ZN4vllm25paged_attention_v1_kernelIffLi32ELi16ELi128ELNS_18Fp8KVCacheDataTypeE0ELb1EEEvPT_PKS2_PKT0_S8_ifPKiSA_iPKfiiiSC_SC_iiiii ; -- Begin function _ZN4vllm25paged_attention_v1_kernelIffLi32ELi16ELi128ELNS_18Fp8KVCacheDataTypeE0ELb1EEEvPT_PKS2_PKT0_S8_ifPKiSA_iPKfiiiSC_SC_iiiii
	.globl	_ZN4vllm25paged_attention_v1_kernelIffLi32ELi16ELi128ELNS_18Fp8KVCacheDataTypeE0ELb1EEEvPT_PKS2_PKT0_S8_ifPKiSA_iPKfiiiSC_SC_iiiii
	.p2align	8
	.type	_ZN4vllm25paged_attention_v1_kernelIffLi32ELi16ELi128ELNS_18Fp8KVCacheDataTypeE0ELb1EEEvPT_PKS2_PKT0_S8_ifPKiSA_iPKfiiiSC_SC_iiiii,@function
_ZN4vllm25paged_attention_v1_kernelIffLi32ELi16ELi128ELNS_18Fp8KVCacheDataTypeE0ELb1EEEvPT_PKS2_PKT0_S8_ifPKiSA_iPKfiiiSC_SC_iiiii: ; @_ZN4vllm25paged_attention_v1_kernelIffLi32ELi16ELi128ELNS_18Fp8KVCacheDataTypeE0ELb1EEEvPT_PKS2_PKT0_S8_ifPKiSA_iPKfiiiSC_SC_iiiii
; %bb.0:
	s_load_dword s9, s[4:5], 0x80
	s_load_dwordx2 s[0:1], s[4:5], 0x30
	s_load_dwordx2 s[30:31], s[4:5], 0x20
	s_mov_b32 s10, s7
	s_ashr_i32 s11, s7, 31
	s_lshl_b64 s[2:3], s[10:11], 2
	s_waitcnt lgkmcnt(0)
	s_add_u32 s0, s0, s2
	s_addc_u32 s1, s1, s3
	s_abs_i32 s2, s30
	v_cvt_f32_u32_e32 v1, s2
	s_sub_i32 s11, 0, s2
	s_abs_i32 s7, s9
	s_xor_b32 s3, s9, s30
	v_rcp_iflag_f32_e32 v1, v1
	s_ashr_i32 s3, s3, 31
	s_mov_b32 s42, 0
	v_mul_f32_e32 v1, 0x4f7ffffe, v1
	v_cvt_u32_f32_e32 v1, v1
	v_readfirstlane_b32 s12, v1
	s_mul_i32 s11, s11, s12
	s_mul_hi_u32 s11, s12, s11
	s_add_i32 s12, s12, s11
	s_mul_hi_u32 s11, s7, s12
	s_mul_i32 s12, s11, s2
	s_sub_i32 s7, s7, s12
	s_add_i32 s12, s11, 1
	s_sub_i32 s13, s7, s2
	s_cmp_ge_u32 s7, s2
	s_cselect_b32 s11, s12, s11
	s_cselect_b32 s7, s13, s7
	s_add_i32 s12, s11, 1
	s_cmp_ge_u32 s7, s2
	s_cselect_b32 s2, s12, s11
	s_xor_b32 s2, s2, s3
	s_sub_i32 s12, s2, s3
	s_abs_i32 s22, s12
	v_cvt_f32_u32_e32 v1, s22
	s_load_dwordx2 s[2:3], s[4:5], 0x40
	s_sub_i32 s7, 0, s22
	s_abs_i32 s23, s6
	v_rcp_iflag_f32_e32 v1, v1
	v_mul_f32_e32 v1, 0x4f7ffffe, v1
	v_cvt_u32_f32_e32 v1, v1
	v_readfirstlane_b32 s11, v1
	s_mul_i32 s7, s7, s11
	s_mul_hi_u32 s7, s11, s7
	s_add_i32 s11, s11, s7
	s_waitcnt lgkmcnt(0)
	s_cmp_eq_u64 s[2:3], 0
	s_mul_hi_u32 s24, s23, s11
	s_cbranch_scc1 .LBB18_2
; %bb.1:
	s_ashr_i32 s7, s6, 31
	s_lshl_b64 s[14:15], s[6:7], 2
	s_add_u32 s2, s2, s14
	s_addc_u32 s3, s3, s15
	s_load_dword s42, s[2:3], 0x0
.LBB18_2:
	s_load_dword s11, s[0:1], 0x0
	s_ashr_i32 s7, s12, 31
	s_load_dwordx4 s[12:15], s[4:5], 0x48
	v_lshrrev_b32_e32 v16, 2, v0
	s_ashr_i32 s2, s6, 31
	v_and_b32_e32 v17, 3, v0
	s_lshl_b32 s20, s6, 5
	v_cmp_gt_u32_e32 vcc, 32, v0
	v_lshlrev_b32_e32 v3, 2, v0
	v_lshlrev_b32_e32 v15, 2, v16
	s_and_saveexec_b64 s[0:1], vcc
	s_cbranch_execz .LBB18_4
; %bb.3:
	s_load_dwordx2 s[16:17], s[4:5], 0x8
	s_waitcnt lgkmcnt(0)
	s_mul_i32 s18, s12, s10
	s_ashr_i32 s19, s18, 31
	s_lshl_b64 s[18:19], s[18:19], 2
	v_lshl_add_u32 v2, v17, 5, v15
	s_add_u32 s3, s16, s18
	s_addc_u32 s12, s17, s19
	s_ashr_i32 s21, s20, 31
	s_lshl_b64 s[16:17], s[20:21], 2
	s_add_u32 s16, s3, s16
	s_addc_u32 s17, s12, s17
	global_load_dword v1, v3, s[16:17]
	s_waitcnt vmcnt(0)
	ds_write_b32 v2, v1
.LBB18_4:
	s_or_b64 exec, exec, s[0:1]
	s_mul_i32 s1, s24, s22
	s_sub_i32 s1, s23, s1
	s_xor_b32 s0, s2, s7
	s_add_i32 s2, s24, 1
	s_sub_i32 s7, s1, s22
	s_load_dwordx4 s[16:19], s[4:5], 0x68
	s_load_dword s3, s[4:5], 0x78
	s_cmp_ge_u32 s1, s22
	s_cselect_b32 s2, s2, s24
	s_cselect_b32 s1, s7, s1
	s_add_i32 s7, s2, 1
	s_cmp_ge_u32 s1, s22
	s_cselect_b32 s1, s7, s2
	s_waitcnt lgkmcnt(0)
	s_abs_i32 s21, s19
	v_cvt_f32_u32_e32 v1, s21
	s_xor_b32 s1, s1, s0
	s_sub_i32 s2, s1, s0
	s_sub_i32 s0, 0, s21
	v_rcp_iflag_f32_e32 v1, v1
	s_add_i32 s15, s11, -1
	s_abs_i32 s7, s15
	v_mul_f32_e32 v1, 0x4f7ffffe, v1
	v_cvt_u32_f32_e32 v1, v1
	s_barrier
	v_readfirstlane_b32 s33, v1
	s_mul_i32 s0, s0, s33
	s_mul_hi_u32 s0, s33, s0
	s_add_i32 s33, s33, s0
	s_cmp_lt_i32 s3, 0
	s_mul_hi_u32 s12, s7, s33
	s_cbranch_scc0 .LBB18_6
; %bb.5:
	s_mul_i32 s0, s16, s30
	s_add_i32 s0, s2, s0
	s_mul_i32 s0, s0, s3
	s_sub_i32 s40, 1, s0
	s_mov_b64 s[0:1], 0
	s_branch .LBB18_7
.LBB18_6:
	s_mov_b64 s[0:1], -1
                                        ; implicit-def: $sgpr40
.LBB18_7:
	s_load_dwordx2 s[24:25], s[4:5], 0x28
	s_ashr_i32 s15, s15, 31
	s_andn2_b64 vcc, exec, s[0:1]
	s_ashr_i32 s19, s19, 31
	s_cbranch_vccnz .LBB18_9
; %bb.8:
	s_mul_i32 s0, s9, s16
	s_add_i32 s0, s0, s6
	s_mul_i32 s0, s0, s3
	s_add_i32 s40, s0, 1
.LBB18_9:
	s_load_dword s0, s[4:5], 0x38
	s_load_dwordx2 s[22:23], s[4:5], 0x0
	s_load_dwordx2 s[28:29], s[4:5], 0x18
	s_load_dword s16, s[4:5], 0x88
	s_xor_b32 s1, s15, s19
	s_waitcnt lgkmcnt(0)
	s_mul_i32 s26, s0, s10
	s_mul_i32 s0, s12, s21
	s_sub_i32 s0, s7, s0
	s_ashr_i32 s27, s26, 31
	s_add_i32 s3, s12, 1
	s_sub_i32 s6, s0, s21
	s_cmp_ge_u32 s0, s21
	s_cselect_b32 s3, s3, s12
	s_cselect_b32 s0, s6, s0
	s_add_i32 s6, s3, 1
	s_cmp_ge_u32 s0, s21
	s_cselect_b32 s0, s6, s3
	s_xor_b32 s0, s0, s1
	s_sub_i32 s12, s0, s1
	s_add_i32 s0, s11, 15
	s_ashr_i32 s1, s0, 31
	s_lshr_b32 s1, s1, 28
	s_add_i32 s0, s0, s1
	s_ashr_i32 s41, s0, 4
	v_lshrrev_b32_e32 v18, 6, v0
	v_cmp_gt_i32_e64 s[0:1], s41, v18
	v_mov_b32_e32 v8, 0xff7fffff
	s_mul_i32 s14, s2, s14
	v_lshrrev_b32_e32 v4, 4, v0
	v_lshlrev_b32_e32 v19, 4, v18
	v_mbcnt_lo_u32_b32 v5, -1, 0
	s_and_saveexec_b64 s[34:35], s[0:1]
	s_cbranch_execz .LBB18_21
; %bb.10:
	s_load_dwordx2 s[2:3], s[4:5], 0x10
	s_ashr_i32 s15, s14, 31
	s_sub_i32 s30, s12, s17
	s_lshl_b64 s[4:5], s[14:15], 2
	v_bfe_u32 v6, v0, 2, 4
	s_waitcnt lgkmcnt(0)
	s_add_u32 s2, s2, s4
	s_addc_u32 s3, s3, s5
	s_abs_i32 s15, s18
	v_cvt_f32_u32_e32 v1, s15
	v_mov_b32_e32 v9, s3
	s_sub_i32 s3, 0, s15
	v_lshlrev_b32_e32 v7, 4, v6
	v_rcp_iflag_f32_e32 v1, v1
	s_lshl_b64 s[4:5], s[26:27], 2
	v_lshlrev_b32_e32 v2, 2, v17
	v_lshlrev_b32_e32 v8, 2, v6
	v_mul_f32_e32 v1, 0x4f7ffffe, v1
	v_cvt_u32_f32_e32 v1, v1
	s_add_u32 s4, s24, s4
	s_addc_u32 s5, s25, s5
	v_lshl_or_b32 v8, v18, 6, v8
	v_mul_lo_u32 v10, s3, v1
	v_add_co_u32_e64 v7, s[2:3], s2, v7
	v_addc_co_u32_e64 v9, s[2:3], 0, v9, s[2:3]
	v_mul_hi_u32 v11, v1, v10
	v_add_co_u32_e64 v7, s[2:3], v7, v2
	v_mbcnt_hi_u32_b32 v21, -1, v5
	v_add_u32_e32 v11, v1, v11
	v_and_b32_e32 v1, 60, v4
	v_addc_co_u32_e64 v9, s[2:3], 0, v9, s[2:3]
	v_mov_b32_e32 v2, s5
	v_add_co_u32_e64 v1, s[4:5], s4, v1
	v_subrev_u32_e32 v13, s11, v6
	v_add_u32_e32 v14, 0x90, v8
	v_and_b32_e32 v8, 64, v21
	v_cmp_eq_u32_e32 vcc, 0, v17
	s_mov_b32 s43, s13
	v_lshlrev_b32_e32 v10, 5, v17
	v_cmp_neq_f32_e64 s[2:3], s42, 0
	v_addc_co_u32_e64 v2, s[4:5], 0, v2, s[4:5]
	v_lshlrev_b32_e32 v12, 4, v18
	v_add_u32_e32 v13, 1, v13
	v_mov_b32_e32 v20, 0xff7fffff
	s_mov_b64 s[36:37], 0
	v_add_u32_e32 v22, 64, v8
	v_xor_b32_e32 v23, 2, v21
	v_xor_b32_e32 v24, 1, v21
	v_mov_b32_e32 v8, 0xff7fffff
	v_mov_b32_e32 v25, v18
	s_branch .LBB18_13
.LBB18_11:                              ;   in Loop: Header=BB18_13 Depth=1
	s_or_b64 exec, exec, s[38:39]
.LBB18_12:                              ;   in Loop: Header=BB18_13 Depth=1
	s_or_b64 exec, exec, s[6:7]
	v_add_co_u32_e64 v1, s[4:5], 8, v1
	v_add_u32_e32 v25, 2, v25
	v_addc_co_u32_e64 v2, s[4:5], 0, v2, s[4:5]
	v_cmp_le_i32_e64 s[4:5], s41, v25
	v_add_u32_e32 v12, 32, v12
	s_or_b64 s[36:37], s[4:5], s[36:37]
	v_add_u32_e32 v14, 0x80, v14
	s_andn2_b64 exec, exec, s[36:37]
	s_cbranch_execz .LBB18_20
.LBB18_13:                              ; =>This Inner Loop Header: Depth=1
	v_mul_hi_u32 v26, v12, s33
	s_waitcnt lgkmcnt(0)
	v_mul_lo_u32 v27, v26, s21
	v_add_u32_e32 v28, 1, v26
	v_sub_u32_e32 v27, v12, v27
	v_cmp_le_u32_e64 s[4:5], s21, v27
	v_cndmask_b32_e64 v26, v26, v28, s[4:5]
	v_subrev_u32_e32 v28, s21, v27
	v_cndmask_b32_e64 v27, v27, v28, s[4:5]
	v_add_u32_e32 v28, 1, v26
	v_cmp_le_u32_e64 s[4:5], s21, v27
	v_cndmask_b32_e64 v26, v26, v28, s[4:5]
	v_xor_b32_e32 v26, s19, v26
	v_subrev_u32_e32 v26, s19, v26
	v_add_u32_e32 v27, s40, v26
	v_sub_u32_e32 v28, 0, v27
	v_max_i32_e32 v28, v27, v28
	v_mul_hi_u32 v29, v28, v11
	v_ashrrev_i32_e32 v27, 31, v27
	v_cmp_ge_i32_e64 s[6:7], s30, v26
	v_mul_lo_u32 v29, v29, s15
	v_sub_u32_e32 v28, v28, v29
	v_subrev_u32_e32 v29, s15, v28
	v_cmp_le_u32_e64 s[4:5], s15, v28
	v_cndmask_b32_e64 v28, v28, v29, s[4:5]
	v_subrev_u32_e32 v29, s15, v28
	v_cmp_le_u32_e64 s[4:5], s15, v28
	v_cndmask_b32_e64 v28, v28, v29, s[4:5]
	v_xor_b32_e32 v28, v28, v27
	v_sub_u32_e32 v27, v28, v27
	v_cmp_ne_u32_e64 s[4:5], 0, v27
	s_and_b64 s[4:5], s[4:5], s[6:7]
	s_and_saveexec_b64 s[6:7], s[4:5]
	s_xor_b64 s[4:5], exec, s[6:7]
	s_cbranch_execz .LBB18_17
; %bb.14:                               ;   in Loop: Header=BB18_13 Depth=1
	s_and_saveexec_b64 s[6:7], vcc
; %bb.15:                               ;   in Loop: Header=BB18_13 Depth=1
	ds_write_b32 v14, v20
; %bb.16:                               ;   in Loop: Header=BB18_13 Depth=1
	s_or_b64 exec, exec, s[6:7]
.LBB18_17:                              ;   in Loop: Header=BB18_13 Depth=1
	s_andn2_saveexec_b64 s[6:7], s[4:5]
	s_cbranch_execz .LBB18_12
; %bb.18:                               ;   in Loop: Header=BB18_13 Depth=1
	global_load_dword v26, v[1:2], off
	s_waitcnt vmcnt(0)
	v_mad_i64_i32 v[26:27], s[4:5], v26, s43, 0
	v_lshlrev_b64 v[26:27], 2, v[26:27]
	v_add_co_u32_e64 v26, s[4:5], v7, v26
	v_addc_co_u32_e64 v27, s[4:5], v9, v27, s[4:5]
	global_load_dword v34, v[26:27], off offset:256
	global_load_dword v35, v[26:27], off
	global_load_dword v36, v[26:27], off offset:512
	global_load_dword v37, v[26:27], off offset:768
	;; [unrolled: 1-line block ×6, first 2 shown]
	ds_read_b128 v[26:29], v10
	ds_read_b128 v[30:33], v10 offset:16
	v_cmp_lt_i32_e64 s[4:5], v23, v22
	v_cndmask_b32_e64 v42, v21, v23, s[4:5]
	v_lshlrev_b32_e32 v42, 2, v42
	v_cmp_lt_i32_e64 s[4:5], v24, v22
	s_waitcnt vmcnt(7) lgkmcnt(1)
	v_mul_f32_e32 v27, v27, v34
	s_waitcnt vmcnt(6)
	v_fmac_f32_e32 v27, v26, v35
	s_waitcnt vmcnt(5)
	v_fmac_f32_e32 v27, v28, v36
	;; [unrolled: 2-line block ×3, first 2 shown]
	s_waitcnt vmcnt(3) lgkmcnt(0)
	v_fmac_f32_e32 v27, v30, v38
	s_waitcnt vmcnt(2)
	v_fmac_f32_e32 v27, v31, v39
	s_waitcnt vmcnt(1)
	;; [unrolled: 2-line block ×3, first 2 shown]
	v_fmac_f32_e32 v27, v33, v41
	ds_bpermute_b32 v26, v42, v27
	v_cndmask_b32_e64 v28, v21, v24, s[4:5]
	v_lshlrev_b32_e32 v28, 2, v28
	s_waitcnt lgkmcnt(0)
	v_add_f32_e32 v26, v27, v26
	ds_bpermute_b32 v27, v28, v26
	s_and_saveexec_b64 s[38:39], vcc
	s_cbranch_execz .LBB18_11
; %bb.19:                               ;   in Loop: Header=BB18_13 Depth=1
	v_add_u32_e32 v28, v13, v12
	v_cvt_f32_i32_e32 v28, v28
	s_waitcnt lgkmcnt(0)
	v_add_f32_e32 v26, v26, v27
	v_add_u32_e32 v29, v6, v12
	v_cmp_gt_i32_e64 s[4:5], s11, v29
	v_mul_f32_e32 v27, s42, v28
	v_cndmask_b32_e64 v27, 0, v27, s[2:3]
	v_fmac_f32_e32 v27, s31, v26
	v_cndmask_b32_e64 v26, 0, v27, s[4:5]
	ds_write_b32 v14, v26
	v_max_f32_e32 v26, v8, v8
	v_max_f32_e32 v26, v26, v27
	v_cndmask_b32_e64 v8, v8, v26, s[4:5]
	s_branch .LBB18_11
.LBB18_20:
	s_or_b64 exec, exec, s[36:37]
.LBB18_21:
	s_or_b64 exec, exec, s[34:35]
	v_mbcnt_hi_u32_b32 v1, -1, v5
	v_and_b32_e32 v11, 64, v1
	v_add_u32_e32 v2, 64, v11
	v_xor_b32_e32 v5, 32, v1
	v_cmp_lt_i32_e32 vcc, v5, v2
	v_cndmask_b32_e32 v5, v1, v5, vcc
	v_lshlrev_b32_e32 v5, 2, v5
	ds_bpermute_b32 v6, v5, v8
	v_max_f32_e32 v7, v8, v8
	v_xor_b32_e32 v8, 16, v1
	v_cmp_lt_i32_e32 vcc, v8, v2
	v_xor_b32_e32 v9, 8, v1
	s_waitcnt lgkmcnt(0)
	v_max_f32_e32 v6, v6, v6
	v_max_f32_e32 v7, v7, v6
	v_cndmask_b32_e32 v6, v1, v8, vcc
	v_lshlrev_b32_e32 v6, 2, v6
	ds_bpermute_b32 v8, v6, v7
	v_cmp_lt_i32_e32 vcc, v9, v2
	v_xor_b32_e32 v10, 4, v1
	v_and_b32_e32 v20, 63, v0
	s_waitcnt lgkmcnt(0)
	v_max_f32_e32 v8, v8, v8
	v_max_f32_e32 v7, v7, v8
	v_cndmask_b32_e32 v8, v1, v9, vcc
	v_lshlrev_b32_e32 v9, 2, v8
	ds_bpermute_b32 v8, v9, v7
	v_cmp_lt_i32_e32 vcc, v10, v2
	s_waitcnt lgkmcnt(0)
	v_max_f32_e32 v8, v8, v8
	v_max_f32_e32 v8, v7, v8
	v_cndmask_b32_e32 v7, v1, v10, vcc
	v_lshlrev_b32_e32 v10, 2, v7
	ds_bpermute_b32 v12, v10, v8
	v_cmp_eq_u32_e32 vcc, 0, v20
	v_lshlrev_b32_e32 v7, 2, v18
	s_and_saveexec_b64 s[2:3], vcc
	s_cbranch_execz .LBB18_23
; %bb.22:
	s_waitcnt lgkmcnt(0)
	v_max_f32_e32 v12, v12, v12
	v_max_f32_e32 v8, v8, v8
	;; [unrolled: 1-line block ×3, first 2 shown]
	ds_write_b32 v7, v8 offset:128
.LBB18_23:
	s_or_b64 exec, exec, s[2:3]
	v_cmp_gt_u32_e64 s[2:3], 2, v20
	s_waitcnt lgkmcnt(0)
	v_mov_b32_e32 v12, 0xff7fffff
	v_lshlrev_b32_e32 v8, 2, v20
	s_barrier
	s_and_saveexec_b64 s[4:5], s[2:3]
; %bb.24:
	ds_read_b32 v12, v8 offset:128
; %bb.25:
	s_or_b64 exec, exec, s[4:5]
	v_xor_b32_e32 v13, 1, v1
	v_cmp_lt_i32_e64 s[4:5], v13, v2
	v_cndmask_b32_e64 v13, v1, v13, s[4:5]
	v_lshlrev_b32_e32 v21, 2, v13
	s_waitcnt lgkmcnt(0)
	ds_bpermute_b32 v13, v21, v12
	v_max_f32_e32 v12, v12, v12
	v_lshlrev_b32_e32 v11, 2, v11
	s_lshl_b32 s4, s41, 4
	s_min_i32 s15, s4, s11
	s_waitcnt lgkmcnt(0)
	v_max_f32_e32 v13, v13, v13
	v_max_f32_e32 v12, v12, v13
	ds_bpermute_b32 v12, v11, v12
	v_cmp_gt_i32_e64 s[4:5], s15, v0
	v_mov_b32_e32 v11, 0
	s_and_saveexec_b64 s[30:31], s[4:5]
	s_cbranch_execz .LBB18_29
; %bb.26:
	v_mov_b32_e32 v11, 0x90
	v_lshl_add_u32 v13, v0, 2, v11
	v_mov_b32_e32 v11, 0
	s_mov_b64 s[34:35], 0
	v_mov_b32_e32 v14, v0
.LBB18_27:                              ; =>This Inner Loop Header: Depth=1
	ds_read_b32 v22, v13
	v_add_u32_e32 v14, 0x80, v14
	v_cmp_le_i32_e64 s[6:7], s15, v14
	s_or_b64 s[34:35], s[6:7], s[34:35]
	s_waitcnt lgkmcnt(0)
	v_sub_f32_e32 v22, v22, v12
	v_mul_f32_e32 v22, 0x3fb8aa3b, v22
	v_exp_f32_e32 v22, v22
	ds_write_b32 v13, v22
	v_add_f32_e32 v11, v11, v22
	v_add_u32_e32 v13, 0x200, v13
	s_andn2_b64 exec, exec, s[34:35]
	s_cbranch_execnz .LBB18_27
; %bb.28:
	s_or_b64 exec, exec, s[34:35]
.LBB18_29:
	s_or_b64 exec, exec, s[30:31]
	ds_bpermute_b32 v5, v5, v11
	s_waitcnt lgkmcnt(0)
	v_add_f32_e32 v5, v11, v5
	ds_bpermute_b32 v6, v6, v5
	s_waitcnt lgkmcnt(0)
	v_add_f32_e32 v5, v5, v6
	ds_bpermute_b32 v6, v9, v5
	v_xor_b32_e32 v9, 2, v1
	v_cmp_lt_i32_e64 s[6:7], v9, v2
	v_cndmask_b32_e64 v2, v1, v9, s[6:7]
	v_lshlrev_b32_e32 v22, 2, v2
	s_waitcnt lgkmcnt(0)
	v_add_f32_e32 v5, v5, v6
	ds_bpermute_b32 v6, v10, v5
	s_waitcnt lgkmcnt(0)
	v_add_f32_e32 v5, v5, v6
	ds_bpermute_b32 v2, v22, v5
	;; [unrolled: 3-line block ×3, first 2 shown]
	s_waitcnt lgkmcnt(0)
	v_add_f32_e32 v2, v2, v5
	s_and_saveexec_b64 s[6:7], vcc
; %bb.30:
	ds_write_b32 v7, v2 offset:136
; %bb.31:
	s_or_b64 exec, exec, s[6:7]
	s_waitcnt lgkmcnt(0)
	s_barrier
	s_and_saveexec_b64 s[6:7], s[2:3]
; %bb.32:
	ds_read_b32 v2, v8 offset:136
; %bb.33:
	s_or_b64 exec, exec, s[6:7]
	s_waitcnt lgkmcnt(0)
	ds_bpermute_b32 v5, v21, v2
	v_lshlrev_b32_e32 v1, 2, v1
	v_and_b32_e32 v1, 0x100, v1
	s_waitcnt lgkmcnt(0)
	v_add_f32_e32 v2, v2, v5
	ds_bpermute_b32 v1, v1, v2
	s_and_saveexec_b64 s[2:3], s[4:5]
	s_cbranch_execz .LBB18_36
; %bb.34:
	s_waitcnt lgkmcnt(0)
	v_add_f32_e32 v2, 0x358637bd, v1
	v_div_scale_f32 v1, s[4:5], v2, v2, 1.0
	v_div_scale_f32 v5, vcc, 1.0, v2, 1.0
	s_mov_b64 s[4:5], 0
	v_rcp_f32_e32 v6, v1
	v_fma_f32 v7, -v1, v6, 1.0
	v_fmac_f32_e32 v6, v7, v6
	v_mul_f32_e32 v7, v5, v6
	v_fma_f32 v8, -v1, v7, v5
	v_fmac_f32_e32 v7, v8, v6
	v_fma_f32 v1, -v1, v7, v5
	v_div_fmas_f32 v5, v1, v6, v7
	v_mov_b32_e32 v1, 0x90
	v_lshl_add_u32 v1, v0, 2, v1
	v_div_fixup_f32 v2, v5, v2, 1.0
	v_mov_b32_e32 v5, v0
.LBB18_35:                              ; =>This Inner Loop Header: Depth=1
	ds_read_b32 v6, v1
	v_add_u32_e32 v5, 0x80, v5
	v_cmp_le_i32_e32 vcc, s15, v5
	s_or_b64 s[4:5], vcc, s[4:5]
	s_waitcnt lgkmcnt(0)
	v_mul_f32_e32 v6, v2, v6
	ds_write_b32 v1, v6
	v_add_u32_e32 v1, 0x200, v1
	s_andn2_b64 exec, exec, s[4:5]
	s_cbranch_execnz .LBB18_35
.LBB18_36:
	s_or_b64 exec, exec, s[2:3]
	v_mov_b32_e32 v25, 0
	v_mov_b32_e32 v23, 0
	s_waitcnt lgkmcnt(0)
	s_barrier
	s_and_saveexec_b64 s[2:3], s[0:1]
	s_cbranch_execz .LBB18_46
; %bb.37:
	s_ashr_i32 s15, s14, 31
	s_sub_i32 s17, s12, s17
	s_lshl_b64 s[0:1], s[14:15], 2
	s_add_u32 s0, s28, s0
	s_addc_u32 s1, s29, s1
	s_abs_i32 s14, s18
	v_cvt_f32_u32_e32 v1, s14
	s_sub_i32 s4, 0, s14
	v_and_b32_e32 v24, 12, v3
	v_and_b32_e32 v3, 60, v4
	v_rcp_iflag_f32_e32 v1, v1
	v_lshlrev_b32_e32 v2, 4, v0
	v_and_b32_e32 v2, 0x3f0, v2
	s_add_i32 s18, s41, -1
	v_mul_f32_e32 v1, 0x4f7ffffe, v1
	v_cvt_u32_f32_e32 v1, v1
	v_mov_b32_e32 v5, s1
	v_add_co_u32_e32 v26, vcc, s0, v2
	v_mul_lo_u32 v4, s4, v1
	s_lshl_b64 s[0:1], s[26:27], 2
	s_add_u32 s0, s24, s0
	v_addc_co_u32_e32 v27, vcc, 0, v5, vcc
	v_mul_hi_u32 v4, v1, v4
	s_addc_u32 s1, s25, s1
	v_add_co_u32_e32 v13, vcc, s0, v3
	v_add_u32_e32 v28, v1, v4
	v_mov_b32_e32 v1, s1
	v_addc_co_u32_e32 v14, vcc, 0, v1, vcc
	v_lshlrev_b32_e32 v1, 4, v17
	v_lshl_or_b32 v1, v18, 6, v1
	s_mov_b32 s15, s13
	v_mov_b32_e32 v23, 0
	v_add_u32_e32 v29, 0x90, v1
	s_mov_b64 s[4:5], 0
	v_mov_b32_e32 v25, 0
	s_branch .LBB18_40
.LBB18_38:                              ;   in Loop: Header=BB18_40 Depth=1
	s_or_b64 exec, exec, s[0:1]
	s_waitcnt vmcnt(1) lgkmcnt(0)
	v_mul_f32_e32 v5, v1, v5
	s_waitcnt vmcnt(0)
	v_mul_f32_e32 v1, v1, v9
	v_fmac_f32_e32 v5, v2, v6
	v_fmac_f32_e32 v1, v2, v10
	;; [unrolled: 1-line block ×6, first 2 shown]
	v_add_f32_e32 v25, v25, v5
	v_add_f32_e32 v23, v23, v1
.LBB18_39:                              ;   in Loop: Header=BB18_40 Depth=1
	s_or_b64 exec, exec, s[6:7]
	v_add_co_u32_e32 v13, vcc, 8, v13
	v_add_u32_e32 v18, 2, v18
	v_addc_co_u32_e32 v14, vcc, 0, v14, vcc
	v_cmp_le_i32_e32 vcc, s41, v18
	v_add_u32_e32 v19, 32, v19
	s_or_b64 s[4:5], vcc, s[4:5]
	v_add_u32_e32 v29, 0x80, v29
	s_andn2_b64 exec, exec, s[4:5]
	s_cbranch_execz .LBB18_45
.LBB18_40:                              ; =>This Inner Loop Header: Depth=1
	v_mul_hi_u32 v1, v19, s33
	v_mul_lo_u32 v2, v1, s21
	v_add_u32_e32 v3, 1, v1
	v_sub_u32_e32 v2, v19, v2
	v_cmp_le_u32_e32 vcc, s21, v2
	v_cndmask_b32_e32 v1, v1, v3, vcc
	v_subrev_u32_e32 v3, s21, v2
	v_cndmask_b32_e32 v2, v2, v3, vcc
	v_add_u32_e32 v3, 1, v1
	v_cmp_le_u32_e32 vcc, s21, v2
	v_cndmask_b32_e32 v1, v1, v3, vcc
	v_xor_b32_e32 v1, s19, v1
	v_subrev_u32_e32 v1, s19, v1
	v_add_u32_e32 v2, s40, v1
	v_sub_u32_e32 v3, 0, v2
	v_max_i32_e32 v3, v2, v3
	v_mul_hi_u32 v4, v3, v28
	v_ashrrev_i32_e32 v2, 31, v2
	v_cmp_lt_i32_e64 s[0:1], s17, v1
	v_mul_lo_u32 v4, v4, s14
	v_sub_u32_e32 v3, v3, v4
	v_subrev_u32_e32 v4, s14, v3
	v_cmp_le_u32_e32 vcc, s14, v3
	v_cndmask_b32_e32 v3, v3, v4, vcc
	v_subrev_u32_e32 v4, s14, v3
	v_cmp_le_u32_e32 vcc, s14, v3
	v_cndmask_b32_e32 v3, v3, v4, vcc
	v_xor_b32_e32 v3, v3, v2
	v_sub_u32_e32 v2, v3, v2
	v_cmp_eq_u32_e32 vcc, 0, v2
	s_or_b64 s[0:1], vcc, s[0:1]
	s_and_saveexec_b64 s[6:7], s[0:1]
	s_cbranch_execz .LBB18_39
; %bb.41:                               ;   in Loop: Header=BB18_40 Depth=1
	global_load_dword v1, v[13:14], off
	v_add_u32_e32 v30, v24, v19
	v_add_u32_e32 v33, 1, v30
	;; [unrolled: 1-line block ×4, first 2 shown]
	s_waitcnt vmcnt(0)
	v_mad_i64_i32 v[1:2], s[0:1], v1, s15, 0
	v_lshlrev_b64 v[1:2], 2, v[1:2]
	v_add_co_u32_e32 v9, vcc, v26, v1
	v_addc_co_u32_e32 v10, vcc, v27, v2, vcc
	global_load_dwordx4 v[5:8], v[9:10], off
	ds_read_b128 v[1:4], v29
	v_cmp_eq_u32_e32 vcc, s18, v18
	s_and_saveexec_b64 s[12:13], vcc
	s_cbranch_execz .LBB18_43
; %bb.42:                               ;   in Loop: Header=BB18_40 Depth=1
	v_cmp_gt_i32_e64 s[0:1], s11, v30
	s_waitcnt vmcnt(0)
	v_cndmask_b32_e64 v5, 0, v5, s[0:1]
	v_cmp_gt_i32_e64 s[0:1], s11, v33
	v_cndmask_b32_e64 v6, 0, v6, s[0:1]
	v_cmp_gt_i32_e64 s[0:1], s11, v32
	;; [unrolled: 2-line block ×3, first 2 shown]
	v_cndmask_b32_e64 v8, 0, v8, s[0:1]
.LBB18_43:                              ;   in Loop: Header=BB18_40 Depth=1
	s_or_b64 exec, exec, s[12:13]
	global_load_dwordx4 v[9:12], v[9:10], off offset:1024
	s_and_saveexec_b64 s[0:1], vcc
	s_cbranch_execz .LBB18_38
; %bb.44:                               ;   in Loop: Header=BB18_40 Depth=1
	v_cmp_gt_i32_e32 vcc, s11, v30
	s_waitcnt vmcnt(0)
	v_cndmask_b32_e32 v9, 0, v9, vcc
	v_cmp_gt_i32_e32 vcc, s11, v33
	v_cndmask_b32_e32 v10, 0, v10, vcc
	v_cmp_gt_i32_e32 vcc, s11, v32
	;; [unrolled: 2-line block ×3, first 2 shown]
	v_cndmask_b32_e32 v12, 0, v12, vcc
	s_branch .LBB18_38
.LBB18_45:
	s_or_b64 exec, exec, s[4:5]
.LBB18_46:
	s_or_b64 exec, exec, s[2:3]
	ds_bpermute_b32 v1, v22, v25
	ds_bpermute_b32 v2, v22, v23
	v_and_b32_e32 v3, 0x3c3, v0
	v_cmp_eq_u32_e32 vcc, 64, v3
	s_waitcnt lgkmcnt(0)
	v_add_f32_e32 v1, v25, v1
	v_add_f32_e32 v2, v23, v2
	ds_bpermute_b32 v4, v21, v1
	ds_bpermute_b32 v5, v21, v2
	s_waitcnt lgkmcnt(0)
	s_barrier
	v_add_f32_e32 v1, v1, v4
	v_add_f32_e32 v2, v2, v5
	s_and_saveexec_b64 s[0:1], vcc
; %bb.47:
	v_add_u32_e32 v4, 0x90, v20
	ds_write2_b32 v4, v1, v2 offset1:16
; %bb.48:
	s_or_b64 exec, exec, s[0:1]
	v_cmp_gt_u32_e32 vcc, 64, v0
	s_waitcnt lgkmcnt(0)
	s_barrier
	s_and_saveexec_b64 s[0:1], vcc
	s_cbranch_execz .LBB18_54
; %bb.49:
	v_mov_b32_e32 v0, 0x90
	v_cmp_eq_u32_e32 vcc, 0, v17
	v_lshl_add_u32 v0, v16, 2, v0
	s_and_saveexec_b64 s[2:3], vcc
	s_cbranch_execz .LBB18_51
; %bb.50:
	ds_read_b32 v4, v0
	s_waitcnt lgkmcnt(0)
	v_add_f32_e32 v1, v1, v4
.LBB18_51:
	s_or_b64 exec, exec, s[2:3]
	s_and_saveexec_b64 s[2:3], vcc
	s_cbranch_execz .LBB18_53
; %bb.52:
	ds_read_b32 v0, v0 offset:64
	s_waitcnt lgkmcnt(0)
	v_add_f32_e32 v2, v2, v0
.LBB18_53:
	s_or_b64 exec, exec, s[2:3]
.LBB18_54:
	s_or_b64 exec, exec, s[0:1]
	v_cmp_eq_u32_e32 vcc, 0, v3
	s_barrier
	s_and_saveexec_b64 s[0:1], vcc
	s_cbranch_execz .LBB18_56
; %bb.55:
	s_mul_i32 s0, s10, s16
	s_mul_i32 s0, s0, s9
	s_lshl_b32 s0, s0, 5
	s_ashr_i32 s1, s0, 31
	s_lshl_b64 s[0:1], s[0:1], 2
	s_add_u32 s2, s22, s0
	s_mul_i32 s0, s16, s20
	s_addc_u32 s3, s23, s1
	s_ashr_i32 s1, s0, 31
	s_lshl_b64 s[0:1], s[0:1], 2
	s_add_u32 s2, s2, s0
	s_addc_u32 s3, s3, s1
	s_lshl_b32 s0, s8, 5
	s_ashr_i32 s1, s0, 31
	s_lshl_b64 s[0:1], s[0:1], 2
	s_add_u32 s0, s2, s0
	s_addc_u32 s1, s3, s1
	global_store_dword v15, v1, s[0:1]
	global_store_dword v15, v2, s[0:1] offset:64
.LBB18_56:
	s_endpgm
	.section	.rodata,"a",@progbits
	.p2align	6, 0x0
	.amdhsa_kernel _ZN4vllm25paged_attention_v1_kernelIffLi32ELi16ELi128ELNS_18Fp8KVCacheDataTypeE0ELb1EEEvPT_PKS2_PKT0_S8_ifPKiSA_iPKfiiiSC_SC_iiiii
		.amdhsa_group_segment_fixed_size 144
		.amdhsa_private_segment_fixed_size 0
		.amdhsa_kernarg_size 384
		.amdhsa_user_sgpr_count 6
		.amdhsa_user_sgpr_private_segment_buffer 1
		.amdhsa_user_sgpr_dispatch_ptr 0
		.amdhsa_user_sgpr_queue_ptr 0
		.amdhsa_user_sgpr_kernarg_segment_ptr 1
		.amdhsa_user_sgpr_dispatch_id 0
		.amdhsa_user_sgpr_flat_scratch_init 0
		.amdhsa_user_sgpr_private_segment_size 0
		.amdhsa_uses_dynamic_stack 0
		.amdhsa_system_sgpr_private_segment_wavefront_offset 0
		.amdhsa_system_sgpr_workgroup_id_x 1
		.amdhsa_system_sgpr_workgroup_id_y 1
		.amdhsa_system_sgpr_workgroup_id_z 1
		.amdhsa_system_sgpr_workgroup_info 0
		.amdhsa_system_vgpr_workitem_id 0
		.amdhsa_next_free_vgpr 43
		.amdhsa_next_free_sgpr 44
		.amdhsa_reserve_vcc 1
		.amdhsa_reserve_flat_scratch 0
		.amdhsa_float_round_mode_32 0
		.amdhsa_float_round_mode_16_64 0
		.amdhsa_float_denorm_mode_32 3
		.amdhsa_float_denorm_mode_16_64 3
		.amdhsa_dx10_clamp 1
		.amdhsa_ieee_mode 1
		.amdhsa_fp16_overflow 0
		.amdhsa_exception_fp_ieee_invalid_op 0
		.amdhsa_exception_fp_denorm_src 0
		.amdhsa_exception_fp_ieee_div_zero 0
		.amdhsa_exception_fp_ieee_overflow 0
		.amdhsa_exception_fp_ieee_underflow 0
		.amdhsa_exception_fp_ieee_inexact 0
		.amdhsa_exception_int_div_zero 0
	.end_amdhsa_kernel
	.section	.text._ZN4vllm25paged_attention_v1_kernelIffLi32ELi16ELi128ELNS_18Fp8KVCacheDataTypeE0ELb1EEEvPT_PKS2_PKT0_S8_ifPKiSA_iPKfiiiSC_SC_iiiii,"axG",@progbits,_ZN4vllm25paged_attention_v1_kernelIffLi32ELi16ELi128ELNS_18Fp8KVCacheDataTypeE0ELb1EEEvPT_PKS2_PKT0_S8_ifPKiSA_iPKfiiiSC_SC_iiiii,comdat
.Lfunc_end18:
	.size	_ZN4vllm25paged_attention_v1_kernelIffLi32ELi16ELi128ELNS_18Fp8KVCacheDataTypeE0ELb1EEEvPT_PKS2_PKT0_S8_ifPKiSA_iPKfiiiSC_SC_iiiii, .Lfunc_end18-_ZN4vllm25paged_attention_v1_kernelIffLi32ELi16ELi128ELNS_18Fp8KVCacheDataTypeE0ELb1EEEvPT_PKS2_PKT0_S8_ifPKiSA_iPKfiiiSC_SC_iiiii
                                        ; -- End function
	.set _ZN4vllm25paged_attention_v1_kernelIffLi32ELi16ELi128ELNS_18Fp8KVCacheDataTypeE0ELb1EEEvPT_PKS2_PKT0_S8_ifPKiSA_iPKfiiiSC_SC_iiiii.num_vgpr, 43
	.set _ZN4vllm25paged_attention_v1_kernelIffLi32ELi16ELi128ELNS_18Fp8KVCacheDataTypeE0ELb1EEEvPT_PKS2_PKT0_S8_ifPKiSA_iPKfiiiSC_SC_iiiii.num_agpr, 0
	.set _ZN4vllm25paged_attention_v1_kernelIffLi32ELi16ELi128ELNS_18Fp8KVCacheDataTypeE0ELb1EEEvPT_PKS2_PKT0_S8_ifPKiSA_iPKfiiiSC_SC_iiiii.numbered_sgpr, 44
	.set _ZN4vllm25paged_attention_v1_kernelIffLi32ELi16ELi128ELNS_18Fp8KVCacheDataTypeE0ELb1EEEvPT_PKS2_PKT0_S8_ifPKiSA_iPKfiiiSC_SC_iiiii.num_named_barrier, 0
	.set _ZN4vllm25paged_attention_v1_kernelIffLi32ELi16ELi128ELNS_18Fp8KVCacheDataTypeE0ELb1EEEvPT_PKS2_PKT0_S8_ifPKiSA_iPKfiiiSC_SC_iiiii.private_seg_size, 0
	.set _ZN4vllm25paged_attention_v1_kernelIffLi32ELi16ELi128ELNS_18Fp8KVCacheDataTypeE0ELb1EEEvPT_PKS2_PKT0_S8_ifPKiSA_iPKfiiiSC_SC_iiiii.uses_vcc, 1
	.set _ZN4vllm25paged_attention_v1_kernelIffLi32ELi16ELi128ELNS_18Fp8KVCacheDataTypeE0ELb1EEEvPT_PKS2_PKT0_S8_ifPKiSA_iPKfiiiSC_SC_iiiii.uses_flat_scratch, 0
	.set _ZN4vllm25paged_attention_v1_kernelIffLi32ELi16ELi128ELNS_18Fp8KVCacheDataTypeE0ELb1EEEvPT_PKS2_PKT0_S8_ifPKiSA_iPKfiiiSC_SC_iiiii.has_dyn_sized_stack, 0
	.set _ZN4vllm25paged_attention_v1_kernelIffLi32ELi16ELi128ELNS_18Fp8KVCacheDataTypeE0ELb1EEEvPT_PKS2_PKT0_S8_ifPKiSA_iPKfiiiSC_SC_iiiii.has_recursion, 0
	.set _ZN4vllm25paged_attention_v1_kernelIffLi32ELi16ELi128ELNS_18Fp8KVCacheDataTypeE0ELb1EEEvPT_PKS2_PKT0_S8_ifPKiSA_iPKfiiiSC_SC_iiiii.has_indirect_call, 0
	.section	.AMDGPU.csdata,"",@progbits
; Kernel info:
; codeLenInByte = 3448
; TotalNumSgprs: 48
; NumVgprs: 43
; ScratchSize: 0
; MemoryBound: 0
; FloatMode: 240
; IeeeMode: 1
; LDSByteSize: 144 bytes/workgroup (compile time only)
; SGPRBlocks: 5
; VGPRBlocks: 10
; NumSGPRsForWavesPerEU: 48
; NumVGPRsForWavesPerEU: 43
; Occupancy: 5
; WaveLimiterHint : 1
; COMPUTE_PGM_RSRC2:SCRATCH_EN: 0
; COMPUTE_PGM_RSRC2:USER_SGPR: 6
; COMPUTE_PGM_RSRC2:TRAP_HANDLER: 0
; COMPUTE_PGM_RSRC2:TGID_X_EN: 1
; COMPUTE_PGM_RSRC2:TGID_Y_EN: 1
; COMPUTE_PGM_RSRC2:TGID_Z_EN: 1
; COMPUTE_PGM_RSRC2:TIDIG_COMP_CNT: 0
	.section	.text._ZN4vllm25paged_attention_v1_kernelIffLi64ELi16ELi128ELNS_18Fp8KVCacheDataTypeE0ELb1EEEvPT_PKS2_PKT0_S8_ifPKiSA_iPKfiiiSC_SC_iiiii,"axG",@progbits,_ZN4vllm25paged_attention_v1_kernelIffLi64ELi16ELi128ELNS_18Fp8KVCacheDataTypeE0ELb1EEEvPT_PKS2_PKT0_S8_ifPKiSA_iPKfiiiSC_SC_iiiii,comdat
	.protected	_ZN4vllm25paged_attention_v1_kernelIffLi64ELi16ELi128ELNS_18Fp8KVCacheDataTypeE0ELb1EEEvPT_PKS2_PKT0_S8_ifPKiSA_iPKfiiiSC_SC_iiiii ; -- Begin function _ZN4vllm25paged_attention_v1_kernelIffLi64ELi16ELi128ELNS_18Fp8KVCacheDataTypeE0ELb1EEEvPT_PKS2_PKT0_S8_ifPKiSA_iPKfiiiSC_SC_iiiii
	.globl	_ZN4vllm25paged_attention_v1_kernelIffLi64ELi16ELi128ELNS_18Fp8KVCacheDataTypeE0ELb1EEEvPT_PKS2_PKT0_S8_ifPKiSA_iPKfiiiSC_SC_iiiii
	.p2align	8
	.type	_ZN4vllm25paged_attention_v1_kernelIffLi64ELi16ELi128ELNS_18Fp8KVCacheDataTypeE0ELb1EEEvPT_PKS2_PKT0_S8_ifPKiSA_iPKfiiiSC_SC_iiiii,@function
_ZN4vllm25paged_attention_v1_kernelIffLi64ELi16ELi128ELNS_18Fp8KVCacheDataTypeE0ELb1EEEvPT_PKS2_PKT0_S8_ifPKiSA_iPKfiiiSC_SC_iiiii: ; @_ZN4vllm25paged_attention_v1_kernelIffLi64ELi16ELi128ELNS_18Fp8KVCacheDataTypeE0ELb1EEEvPT_PKS2_PKT0_S8_ifPKiSA_iPKfiiiSC_SC_iiiii
; %bb.0:
	s_load_dword s9, s[4:5], 0x80
	s_load_dwordx2 s[0:1], s[4:5], 0x30
	s_load_dwordx2 s[34:35], s[4:5], 0x20
	s_mov_b32 s20, s7
	s_ashr_i32 s21, s7, 31
	s_lshl_b64 s[2:3], s[20:21], 2
	s_waitcnt lgkmcnt(0)
	s_add_u32 s0, s0, s2
	s_addc_u32 s1, s1, s3
	s_abs_i32 s2, s34
	v_cvt_f32_u32_e32 v1, s2
	s_sub_i32 s10, 0, s2
	s_abs_i32 s7, s9
	s_xor_b32 s3, s9, s34
	v_rcp_iflag_f32_e32 v1, v1
	s_ashr_i32 s3, s3, 31
	s_mov_b32 s44, 0
	v_mul_f32_e32 v1, 0x4f7ffffe, v1
	v_cvt_u32_f32_e32 v1, v1
	v_readfirstlane_b32 s11, v1
	s_mul_i32 s10, s10, s11
	s_mul_hi_u32 s10, s11, s10
	s_add_i32 s11, s11, s10
	s_mul_hi_u32 s10, s7, s11
	s_mul_i32 s11, s10, s2
	s_sub_i32 s7, s7, s11
	s_add_i32 s11, s10, 1
	s_sub_i32 s12, s7, s2
	s_cmp_ge_u32 s7, s2
	s_cselect_b32 s10, s11, s10
	s_cselect_b32 s7, s12, s7
	s_add_i32 s11, s10, 1
	s_cmp_ge_u32 s7, s2
	s_cselect_b32 s2, s11, s10
	s_xor_b32 s2, s2, s3
	s_sub_i32 s11, s2, s3
	s_abs_i32 s10, s11
	v_cvt_f32_u32_e32 v1, s10
	s_load_dwordx2 s[2:3], s[4:5], 0x40
	s_sub_i32 s7, 0, s10
	s_abs_i32 s24, s6
	v_rcp_iflag_f32_e32 v1, v1
	v_mul_f32_e32 v1, 0x4f7ffffe, v1
	v_cvt_u32_f32_e32 v1, v1
	v_readfirstlane_b32 s12, v1
	s_mul_i32 s7, s7, s12
	s_mul_hi_u32 s7, s12, s7
	s_add_i32 s12, s12, s7
	s_waitcnt lgkmcnt(0)
	s_cmp_eq_u64 s[2:3], 0
	s_mul_hi_u32 s25, s24, s12
	s_cbranch_scc1 .LBB19_2
; %bb.1:
	s_ashr_i32 s7, s6, 31
	s_lshl_b64 s[12:13], s[6:7], 2
	s_add_u32 s2, s2, s12
	s_addc_u32 s3, s3, s13
	s_load_dword s44, s[2:3], 0x0
.LBB19_2:
	s_load_dword s21, s[0:1], 0x0
	s_load_dwordx4 s[12:15], s[4:5], 0x48
	v_lshrrev_b32_e32 v24, 2, v0
	s_ashr_i32 s7, s6, 31
	s_ashr_i32 s26, s11, 31
	v_and_b32_e32 v25, 3, v0
	s_lshl_b32 s22, s6, 6
	v_cmp_gt_u32_e64 s[0:1], 64, v0
	v_lshlrev_b32_e32 v3, 2, v0
	v_lshlrev_b32_e32 v23, 2, v24
	s_and_saveexec_b64 s[2:3], s[0:1]
	s_cbranch_execz .LBB19_4
; %bb.3:
	s_load_dwordx2 s[16:17], s[4:5], 0x8
	s_waitcnt lgkmcnt(0)
	s_mul_i32 s18, s12, s20
	s_ashr_i32 s19, s18, 31
	s_lshl_b64 s[18:19], s[18:19], 2
	v_lshl_add_u32 v2, v25, 6, v23
	s_add_u32 s11, s16, s18
	s_addc_u32 s12, s17, s19
	s_ashr_i32 s23, s22, 31
	s_lshl_b64 s[16:17], s[22:23], 2
	s_add_u32 s16, s11, s16
	s_addc_u32 s17, s12, s17
	global_load_dword v1, v3, s[16:17]
	s_waitcnt vmcnt(0)
	ds_write_b32 v2, v1
.LBB19_4:
	s_or_b64 exec, exec, s[2:3]
	s_mul_i32 s3, s25, s10
	s_sub_i32 s3, s24, s3
	s_xor_b32 s2, s7, s26
	s_add_i32 s7, s25, 1
	s_waitcnt lgkmcnt(0)
	s_sub_i32 s12, s3, s10
	s_load_dwordx4 s[16:19], s[4:5], 0x68
	s_load_dword s11, s[4:5], 0x78
	s_cmp_ge_u32 s3, s10
	s_cselect_b32 s7, s7, s25
	s_cselect_b32 s3, s12, s3
	s_add_i32 s12, s7, 1
	s_cmp_ge_u32 s3, s10
	s_cselect_b32 s3, s12, s7
	s_waitcnt lgkmcnt(0)
	s_abs_i32 s23, s19
	v_cvt_f32_u32_e32 v1, s23
	s_xor_b32 s3, s3, s2
	s_sub_i32 s7, s3, s2
	s_sub_i32 s2, 0, s23
	v_rcp_iflag_f32_e32 v1, v1
	s_add_i32 s15, s21, -1
	s_abs_i32 s10, s15
	v_mul_f32_e32 v1, 0x4f7ffffe, v1
	v_cvt_u32_f32_e32 v1, v1
	s_barrier
	v_readfirstlane_b32 s33, v1
	s_mul_i32 s2, s2, s33
	s_mul_hi_u32 s2, s33, s2
	s_add_i32 s33, s33, s2
	s_cmp_lt_i32 s11, 0
	s_mul_hi_u32 s12, s10, s33
	s_cbranch_scc0 .LBB19_6
; %bb.5:
	s_mul_i32 s2, s16, s34
	s_add_i32 s2, s7, s2
	s_mul_i32 s2, s2, s11
	s_sub_i32 s42, 1, s2
	s_mov_b64 s[2:3], 0
	s_branch .LBB19_7
.LBB19_6:
	s_mov_b64 s[2:3], -1
                                        ; implicit-def: $sgpr42
.LBB19_7:
	s_load_dwordx2 s[26:27], s[4:5], 0x28
	s_ashr_i32 s15, s15, 31
	s_andn2_b64 vcc, exec, s[2:3]
	s_ashr_i32 s19, s19, 31
	s_cbranch_vccnz .LBB19_9
; %bb.8:
	s_mul_i32 s2, s9, s16
	s_add_i32 s2, s2, s6
	s_mul_i32 s2, s2, s11
	s_add_i32 s42, s2, 1
.LBB19_9:
	s_load_dword s2, s[4:5], 0x38
	s_load_dwordx2 s[24:25], s[4:5], 0x0
	s_load_dwordx2 s[30:31], s[4:5], 0x18
	s_load_dword s16, s[4:5], 0x88
	s_xor_b32 s3, s15, s19
	s_waitcnt lgkmcnt(0)
	s_mul_i32 s28, s2, s20
	s_mul_i32 s2, s12, s23
	s_sub_i32 s2, s10, s2
	s_ashr_i32 s29, s28, 31
	s_add_i32 s6, s12, 1
	s_sub_i32 s10, s2, s23
	s_cmp_ge_u32 s2, s23
	s_cselect_b32 s6, s6, s12
	s_cselect_b32 s2, s10, s2
	s_add_i32 s10, s6, 1
	s_cmp_ge_u32 s2, s23
	s_cselect_b32 s2, s10, s6
	s_xor_b32 s2, s2, s3
	s_sub_i32 s12, s2, s3
	s_add_i32 s2, s21, 15
	s_ashr_i32 s3, s2, 31
	s_lshr_b32 s3, s3, 28
	s_add_i32 s2, s2, s3
	s_ashr_i32 s43, s2, 4
	v_lshrrev_b32_e32 v26, 6, v0
	v_cmp_gt_i32_e64 s[2:3], s43, v26
	v_mov_b32_e32 v8, 0xff7fffff
	s_mul_i32 s14, s7, s14
	v_lshrrev_b32_e32 v4, 4, v0
	v_lshlrev_b32_e32 v27, 4, v26
	v_mbcnt_lo_u32_b32 v5, -1, 0
	s_and_saveexec_b64 s[36:37], s[2:3]
	s_cbranch_execz .LBB19_21
; %bb.10:
	s_load_dwordx2 s[4:5], s[4:5], 0x10
	s_ashr_i32 s15, s14, 31
	s_sub_i32 s34, s12, s17
	s_lshl_b64 s[6:7], s[14:15], 2
	v_bfe_u32 v6, v0, 2, 4
	s_waitcnt lgkmcnt(0)
	s_add_u32 s4, s4, s6
	s_addc_u32 s5, s5, s7
	s_abs_i32 s15, s18
	v_cvt_f32_u32_e32 v1, s15
	v_mov_b32_e32 v9, s5
	s_sub_i32 s5, 0, s15
	v_lshlrev_b32_e32 v7, 4, v6
	v_rcp_iflag_f32_e32 v1, v1
	s_lshl_b64 s[6:7], s[28:29], 2
	v_lshlrev_b32_e32 v2, 2, v25
	v_lshlrev_b32_e32 v8, 2, v6
	v_mul_f32_e32 v1, 0x4f7ffffe, v1
	v_cvt_u32_f32_e32 v1, v1
	s_add_u32 s6, s26, s6
	s_addc_u32 s7, s27, s7
	v_lshl_or_b32 v8, v26, 6, v8
	v_mul_lo_u32 v10, s5, v1
	v_add_co_u32_e64 v7, s[4:5], s4, v7
	v_addc_co_u32_e64 v9, s[4:5], 0, v9, s[4:5]
	v_mul_hi_u32 v11, v1, v10
	v_add_co_u32_e64 v7, s[4:5], v7, v2
	v_mbcnt_hi_u32_b32 v16, -1, v5
	v_add_u32_e32 v11, v1, v11
	v_and_b32_e32 v1, 60, v4
	v_addc_co_u32_e64 v9, s[4:5], 0, v9, s[4:5]
	v_mov_b32_e32 v2, s7
	v_add_co_u32_e64 v1, s[6:7], s6, v1
	v_subrev_u32_e32 v13, s21, v6
	v_add_u32_e32 v14, 0x110, v8
	v_and_b32_e32 v8, 64, v16
	v_cmp_eq_u32_e32 vcc, 0, v25
	s_mov_b32 s45, s13
	v_lshlrev_b32_e32 v10, 6, v25
	v_cmp_neq_f32_e64 s[4:5], s44, 0
	v_addc_co_u32_e64 v2, s[6:7], 0, v2, s[6:7]
	v_lshlrev_b32_e32 v12, 4, v26
	v_add_u32_e32 v13, 1, v13
	v_mov_b32_e32 v15, 0xff7fffff
	s_mov_b64 s[38:39], 0
	v_add_u32_e32 v17, 64, v8
	v_xor_b32_e32 v18, 2, v16
	v_xor_b32_e32 v19, 1, v16
	v_mov_b32_e32 v8, 0xff7fffff
	v_mov_b32_e32 v20, v26
	s_branch .LBB19_13
.LBB19_11:                              ;   in Loop: Header=BB19_13 Depth=1
	s_or_b64 exec, exec, s[40:41]
.LBB19_12:                              ;   in Loop: Header=BB19_13 Depth=1
	s_or_b64 exec, exec, s[10:11]
	v_add_co_u32_e64 v1, s[6:7], 8, v1
	v_add_u32_e32 v20, 2, v20
	v_addc_co_u32_e64 v2, s[6:7], 0, v2, s[6:7]
	v_cmp_le_i32_e64 s[6:7], s43, v20
	v_add_u32_e32 v12, 32, v12
	s_or_b64 s[38:39], s[6:7], s[38:39]
	v_add_u32_e32 v14, 0x80, v14
	s_andn2_b64 exec, exec, s[38:39]
	s_cbranch_execz .LBB19_20
.LBB19_13:                              ; =>This Inner Loop Header: Depth=1
	v_mul_hi_u32 v21, v12, s33
	s_waitcnt lgkmcnt(0)
	v_mul_lo_u32 v22, v21, s23
	v_add_u32_e32 v28, 1, v21
	v_sub_u32_e32 v22, v12, v22
	v_cmp_le_u32_e64 s[6:7], s23, v22
	v_cndmask_b32_e64 v21, v21, v28, s[6:7]
	v_subrev_u32_e32 v28, s23, v22
	v_cndmask_b32_e64 v22, v22, v28, s[6:7]
	v_add_u32_e32 v28, 1, v21
	v_cmp_le_u32_e64 s[6:7], s23, v22
	v_cndmask_b32_e64 v21, v21, v28, s[6:7]
	v_xor_b32_e32 v21, s19, v21
	v_subrev_u32_e32 v21, s19, v21
	v_add_u32_e32 v22, s42, v21
	v_sub_u32_e32 v28, 0, v22
	v_max_i32_e32 v28, v22, v28
	v_mul_hi_u32 v29, v28, v11
	v_ashrrev_i32_e32 v22, 31, v22
	v_cmp_ge_i32_e64 s[10:11], s34, v21
	v_mul_lo_u32 v29, v29, s15
	v_sub_u32_e32 v28, v28, v29
	v_subrev_u32_e32 v29, s15, v28
	v_cmp_le_u32_e64 s[6:7], s15, v28
	v_cndmask_b32_e64 v28, v28, v29, s[6:7]
	v_subrev_u32_e32 v29, s15, v28
	v_cmp_le_u32_e64 s[6:7], s15, v28
	v_cndmask_b32_e64 v28, v28, v29, s[6:7]
	v_xor_b32_e32 v28, v28, v22
	v_sub_u32_e32 v22, v28, v22
	v_cmp_ne_u32_e64 s[6:7], 0, v22
	s_and_b64 s[6:7], s[6:7], s[10:11]
	s_and_saveexec_b64 s[10:11], s[6:7]
	s_xor_b64 s[6:7], exec, s[10:11]
	s_cbranch_execz .LBB19_17
; %bb.14:                               ;   in Loop: Header=BB19_13 Depth=1
	s_and_saveexec_b64 s[10:11], vcc
; %bb.15:                               ;   in Loop: Header=BB19_13 Depth=1
	ds_write_b32 v14, v15
; %bb.16:                               ;   in Loop: Header=BB19_13 Depth=1
	s_or_b64 exec, exec, s[10:11]
.LBB19_17:                              ;   in Loop: Header=BB19_13 Depth=1
	s_andn2_saveexec_b64 s[10:11], s[6:7]
	s_cbranch_execz .LBB19_12
; %bb.18:                               ;   in Loop: Header=BB19_13 Depth=1
	global_load_dword v21, v[1:2], off
	s_waitcnt vmcnt(0)
	v_mad_i64_i32 v[21:22], s[6:7], v21, s45, 0
	v_lshlrev_b64 v[21:22], 2, v[21:22]
	v_add_co_u32_e64 v21, s[6:7], v7, v21
	v_addc_co_u32_e64 v22, s[6:7], v9, v22, s[6:7]
	global_load_dword v44, v[21:22], off offset:256
	global_load_dword v45, v[21:22], off offset:512
	;; [unrolled: 1-line block ×7, first 2 shown]
	global_load_dword v51, v[21:22], off
	global_load_dword v52, v[21:22], off offset:2048
	global_load_dword v53, v[21:22], off offset:2304
	;; [unrolled: 1-line block ×7, first 2 shown]
	s_nop 0
	global_load_dword v21, v[21:22], off offset:3840
	ds_read_b128 v[28:31], v10
	ds_read_b128 v[32:35], v10 offset:16
	ds_read_b128 v[36:39], v10 offset:32
	;; [unrolled: 1-line block ×3, first 2 shown]
	v_cmp_lt_i32_e64 s[6:7], v18, v17
	v_cndmask_b32_e64 v22, v16, v18, s[6:7]
	v_lshlrev_b32_e32 v22, 2, v22
	v_cmp_lt_i32_e64 s[6:7], v19, v17
	s_waitcnt vmcnt(15) lgkmcnt(3)
	v_mul_f32_e32 v29, v29, v44
	s_waitcnt vmcnt(8)
	v_fmac_f32_e32 v29, v28, v51
	v_fmac_f32_e32 v29, v30, v45
	;; [unrolled: 1-line block ×3, first 2 shown]
	s_waitcnt lgkmcnt(2)
	v_fmac_f32_e32 v29, v32, v47
	v_fmac_f32_e32 v29, v33, v48
	;; [unrolled: 1-line block ×4, first 2 shown]
	s_waitcnt vmcnt(7) lgkmcnt(1)
	v_fmac_f32_e32 v29, v36, v52
	s_waitcnt vmcnt(6)
	v_fmac_f32_e32 v29, v37, v53
	s_waitcnt vmcnt(5)
	;; [unrolled: 2-line block ×3, first 2 shown]
	v_fmac_f32_e32 v29, v39, v55
	s_waitcnt vmcnt(3) lgkmcnt(0)
	v_fmac_f32_e32 v29, v40, v56
	s_waitcnt vmcnt(2)
	v_fmac_f32_e32 v29, v41, v57
	s_waitcnt vmcnt(1)
	;; [unrolled: 2-line block ×3, first 2 shown]
	v_fmac_f32_e32 v29, v43, v21
	ds_bpermute_b32 v21, v22, v29
	v_cndmask_b32_e64 v22, v16, v19, s[6:7]
	v_lshlrev_b32_e32 v22, 2, v22
	s_waitcnt lgkmcnt(0)
	v_add_f32_e32 v21, v29, v21
	ds_bpermute_b32 v22, v22, v21
	s_and_saveexec_b64 s[40:41], vcc
	s_cbranch_execz .LBB19_11
; %bb.19:                               ;   in Loop: Header=BB19_13 Depth=1
	v_add_u32_e32 v28, v13, v12
	v_cvt_f32_i32_e32 v28, v28
	s_waitcnt lgkmcnt(0)
	v_add_f32_e32 v21, v21, v22
	v_add_u32_e32 v29, v6, v12
	v_cmp_gt_i32_e64 s[6:7], s21, v29
	v_mul_f32_e32 v22, s44, v28
	v_cndmask_b32_e64 v22, 0, v22, s[4:5]
	v_fmac_f32_e32 v22, s35, v21
	v_cndmask_b32_e64 v21, 0, v22, s[6:7]
	ds_write_b32 v14, v21
	v_max_f32_e32 v21, v8, v8
	v_max_f32_e32 v21, v21, v22
	v_cndmask_b32_e64 v8, v8, v21, s[6:7]
	s_branch .LBB19_11
.LBB19_20:
	s_or_b64 exec, exec, s[38:39]
.LBB19_21:
	s_or_b64 exec, exec, s[36:37]
	v_mbcnt_hi_u32_b32 v1, -1, v5
	v_and_b32_e32 v11, 64, v1
	v_add_u32_e32 v2, 64, v11
	v_xor_b32_e32 v5, 32, v1
	v_cmp_lt_i32_e32 vcc, v5, v2
	v_cndmask_b32_e32 v5, v1, v5, vcc
	v_lshlrev_b32_e32 v5, 2, v5
	ds_bpermute_b32 v6, v5, v8
	v_max_f32_e32 v7, v8, v8
	v_xor_b32_e32 v8, 16, v1
	v_cmp_lt_i32_e32 vcc, v8, v2
	v_xor_b32_e32 v9, 8, v1
	s_waitcnt lgkmcnt(0)
	v_max_f32_e32 v6, v6, v6
	v_max_f32_e32 v7, v7, v6
	v_cndmask_b32_e32 v6, v1, v8, vcc
	v_lshlrev_b32_e32 v6, 2, v6
	ds_bpermute_b32 v8, v6, v7
	v_cmp_lt_i32_e32 vcc, v9, v2
	v_xor_b32_e32 v10, 4, v1
	v_and_b32_e32 v28, 63, v0
	s_waitcnt lgkmcnt(0)
	v_max_f32_e32 v8, v8, v8
	v_max_f32_e32 v7, v7, v8
	v_cndmask_b32_e32 v8, v1, v9, vcc
	v_lshlrev_b32_e32 v9, 2, v8
	ds_bpermute_b32 v8, v9, v7
	v_cmp_lt_i32_e32 vcc, v10, v2
	s_waitcnt lgkmcnt(0)
	v_max_f32_e32 v8, v8, v8
	v_max_f32_e32 v8, v7, v8
	v_cndmask_b32_e32 v7, v1, v10, vcc
	v_lshlrev_b32_e32 v10, 2, v7
	ds_bpermute_b32 v12, v10, v8
	v_cmp_eq_u32_e32 vcc, 0, v28
	v_lshlrev_b32_e32 v7, 2, v26
	s_and_saveexec_b64 s[4:5], vcc
	s_cbranch_execz .LBB19_23
; %bb.22:
	s_waitcnt lgkmcnt(0)
	v_max_f32_e32 v12, v12, v12
	v_max_f32_e32 v8, v8, v8
	;; [unrolled: 1-line block ×3, first 2 shown]
	ds_write_b32 v7, v8 offset:256
.LBB19_23:
	s_or_b64 exec, exec, s[4:5]
	v_cmp_gt_u32_e64 s[4:5], 2, v28
	s_waitcnt lgkmcnt(0)
	v_mov_b32_e32 v12, 0xff7fffff
	v_lshlrev_b32_e32 v8, 2, v28
	s_barrier
	s_and_saveexec_b64 s[6:7], s[4:5]
; %bb.24:
	ds_read_b32 v12, v8 offset:256
; %bb.25:
	s_or_b64 exec, exec, s[6:7]
	v_xor_b32_e32 v13, 1, v1
	v_cmp_lt_i32_e64 s[6:7], v13, v2
	v_cndmask_b32_e64 v13, v1, v13, s[6:7]
	v_lshlrev_b32_e32 v29, 2, v13
	s_waitcnt lgkmcnt(0)
	ds_bpermute_b32 v13, v29, v12
	v_max_f32_e32 v12, v12, v12
	v_lshlrev_b32_e32 v11, 2, v11
	s_lshl_b32 s6, s43, 4
	s_min_i32 s15, s6, s21
	s_waitcnt lgkmcnt(0)
	v_max_f32_e32 v13, v13, v13
	v_max_f32_e32 v12, v12, v13
	ds_bpermute_b32 v12, v11, v12
	v_cmp_gt_i32_e64 s[6:7], s15, v0
	v_mov_b32_e32 v11, 0
	s_and_saveexec_b64 s[34:35], s[6:7]
	s_cbranch_execz .LBB19_29
; %bb.26:
	v_mov_b32_e32 v11, 0x110
	v_lshl_add_u32 v13, v0, 2, v11
	v_mov_b32_e32 v11, 0
	s_mov_b64 s[36:37], 0
	v_mov_b32_e32 v14, v0
.LBB19_27:                              ; =>This Inner Loop Header: Depth=1
	ds_read_b32 v15, v13
	v_add_u32_e32 v14, 0x80, v14
	v_cmp_le_i32_e64 s[10:11], s15, v14
	s_or_b64 s[36:37], s[10:11], s[36:37]
	s_waitcnt lgkmcnt(0)
	v_sub_f32_e32 v15, v15, v12
	v_mul_f32_e32 v15, 0x3fb8aa3b, v15
	v_exp_f32_e32 v15, v15
	ds_write_b32 v13, v15
	v_add_f32_e32 v11, v11, v15
	v_add_u32_e32 v13, 0x200, v13
	s_andn2_b64 exec, exec, s[36:37]
	s_cbranch_execnz .LBB19_27
; %bb.28:
	s_or_b64 exec, exec, s[36:37]
.LBB19_29:
	s_or_b64 exec, exec, s[34:35]
	ds_bpermute_b32 v5, v5, v11
	s_waitcnt lgkmcnt(0)
	v_add_f32_e32 v5, v11, v5
	ds_bpermute_b32 v6, v6, v5
	s_waitcnt lgkmcnt(0)
	v_add_f32_e32 v5, v5, v6
	ds_bpermute_b32 v6, v9, v5
	v_xor_b32_e32 v9, 2, v1
	v_cmp_lt_i32_e64 s[10:11], v9, v2
	v_cndmask_b32_e64 v2, v1, v9, s[10:11]
	v_lshlrev_b32_e32 v30, 2, v2
	s_waitcnt lgkmcnt(0)
	v_add_f32_e32 v5, v5, v6
	ds_bpermute_b32 v6, v10, v5
	s_waitcnt lgkmcnt(0)
	v_add_f32_e32 v5, v5, v6
	ds_bpermute_b32 v2, v30, v5
	;; [unrolled: 3-line block ×3, first 2 shown]
	s_waitcnt lgkmcnt(0)
	v_add_f32_e32 v2, v2, v5
	s_and_saveexec_b64 s[10:11], vcc
; %bb.30:
	ds_write_b32 v7, v2 offset:264
; %bb.31:
	s_or_b64 exec, exec, s[10:11]
	s_waitcnt lgkmcnt(0)
	s_barrier
	s_and_saveexec_b64 s[10:11], s[4:5]
; %bb.32:
	ds_read_b32 v2, v8 offset:264
; %bb.33:
	s_or_b64 exec, exec, s[10:11]
	s_waitcnt lgkmcnt(0)
	ds_bpermute_b32 v5, v29, v2
	v_lshlrev_b32_e32 v1, 2, v1
	v_and_b32_e32 v1, 0x100, v1
	s_waitcnt lgkmcnt(0)
	v_add_f32_e32 v2, v2, v5
	ds_bpermute_b32 v1, v1, v2
	s_and_saveexec_b64 s[4:5], s[6:7]
	s_cbranch_execz .LBB19_36
; %bb.34:
	s_waitcnt lgkmcnt(0)
	v_add_f32_e32 v2, 0x358637bd, v1
	v_div_scale_f32 v1, s[6:7], v2, v2, 1.0
	v_div_scale_f32 v5, vcc, 1.0, v2, 1.0
	s_mov_b64 s[6:7], 0
	v_rcp_f32_e32 v6, v1
	v_fma_f32 v7, -v1, v6, 1.0
	v_fmac_f32_e32 v6, v7, v6
	v_mul_f32_e32 v7, v5, v6
	v_fma_f32 v8, -v1, v7, v5
	v_fmac_f32_e32 v7, v8, v6
	v_fma_f32 v1, -v1, v7, v5
	v_div_fmas_f32 v5, v1, v6, v7
	v_mov_b32_e32 v1, 0x110
	v_lshl_add_u32 v1, v0, 2, v1
	v_div_fixup_f32 v2, v5, v2, 1.0
	v_mov_b32_e32 v5, v0
.LBB19_35:                              ; =>This Inner Loop Header: Depth=1
	ds_read_b32 v6, v1
	v_add_u32_e32 v5, 0x80, v5
	v_cmp_le_i32_e32 vcc, s15, v5
	s_or_b64 s[6:7], vcc, s[6:7]
	s_waitcnt lgkmcnt(0)
	v_mul_f32_e32 v6, v2, v6
	ds_write_b32 v1, v6
	v_add_u32_e32 v1, 0x200, v1
	s_andn2_b64 exec, exec, s[6:7]
	s_cbranch_execnz .LBB19_35
.LBB19_36:
	s_or_b64 exec, exec, s[4:5]
	v_mov_b32_e32 v35, 0
	v_mov_b32_e32 v34, 0
	;; [unrolled: 1-line block ×4, first 2 shown]
	s_waitcnt lgkmcnt(0)
	s_barrier
	s_and_saveexec_b64 s[4:5], s[2:3]
	s_cbranch_execz .LBB19_50
; %bb.37:
	s_ashr_i32 s15, s14, 31
	s_sub_i32 s17, s12, s17
	s_lshl_b64 s[2:3], s[14:15], 2
	s_add_u32 s2, s30, s2
	s_addc_u32 s3, s31, s3
	s_abs_i32 s14, s18
	v_cvt_f32_u32_e32 v1, s14
	s_sub_i32 s6, 0, s14
	v_and_b32_e32 v33, 12, v3
	v_and_b32_e32 v3, 60, v4
	v_rcp_iflag_f32_e32 v1, v1
	v_lshlrev_b32_e32 v2, 4, v0
	v_and_b32_e32 v2, 0x3f0, v2
	s_add_i32 s18, s43, -1
	v_mul_f32_e32 v1, 0x4f7ffffe, v1
	v_cvt_u32_f32_e32 v1, v1
	v_mov_b32_e32 v5, s3
	v_add_co_u32_e32 v36, vcc, s2, v2
	v_mul_lo_u32 v4, s6, v1
	s_lshl_b64 s[2:3], s[28:29], 2
	s_add_u32 s2, s26, s2
	v_addc_co_u32_e32 v37, vcc, 0, v5, vcc
	v_mul_hi_u32 v4, v1, v4
	s_addc_u32 s3, s27, s3
	v_add_co_u32_e32 v21, vcc, s2, v3
	v_add_u32_e32 v38, v1, v4
	v_mov_b32_e32 v1, s3
	v_addc_co_u32_e32 v22, vcc, 0, v1, vcc
	v_lshlrev_b32_e32 v1, 4, v25
	v_lshl_or_b32 v1, v26, 6, v1
	s_mov_b32 s15, s13
	v_mov_b32_e32 v31, 0
	v_add_u32_e32 v39, 0x110, v1
	s_mov_b64 s[6:7], 0
	v_mov_b32_e32 v32, 0
	v_mov_b32_e32 v34, 0
	;; [unrolled: 1-line block ×3, first 2 shown]
	s_branch .LBB19_40
.LBB19_38:                              ;   in Loop: Header=BB19_40 Depth=1
	s_or_b64 exec, exec, s[2:3]
	s_waitcnt vmcnt(1) lgkmcnt(0)
	v_mul_f32_e32 v13, v1, v13
	v_mul_f32_e32 v9, v1, v9
	v_mul_f32_e32 v5, v1, v5
	s_waitcnt vmcnt(0)
	v_mul_f32_e32 v1, v1, v17
	v_fmac_f32_e32 v13, v2, v14
	v_fmac_f32_e32 v9, v2, v10
	v_fmac_f32_e32 v5, v2, v6
	v_fmac_f32_e32 v1, v2, v18
	v_fmac_f32_e32 v13, v3, v15
	v_fmac_f32_e32 v9, v3, v11
	v_fmac_f32_e32 v5, v3, v7
	v_fmac_f32_e32 v1, v3, v19
	v_fmac_f32_e32 v13, v4, v16
	v_fmac_f32_e32 v9, v4, v12
	v_fmac_f32_e32 v5, v4, v8
	v_fmac_f32_e32 v1, v4, v20
	v_add_f32_e32 v32, v32, v13
	v_add_f32_e32 v34, v34, v9
	;; [unrolled: 1-line block ×4, first 2 shown]
.LBB19_39:                              ;   in Loop: Header=BB19_40 Depth=1
	s_or_b64 exec, exec, s[10:11]
	v_add_co_u32_e32 v21, vcc, 8, v21
	v_add_u32_e32 v26, 2, v26
	v_addc_co_u32_e32 v22, vcc, 0, v22, vcc
	v_cmp_le_i32_e32 vcc, s43, v26
	v_add_u32_e32 v27, 32, v27
	s_or_b64 s[6:7], vcc, s[6:7]
	v_add_u32_e32 v39, 0x80, v39
	s_andn2_b64 exec, exec, s[6:7]
	s_cbranch_execz .LBB19_49
.LBB19_40:                              ; =>This Inner Loop Header: Depth=1
	v_mul_hi_u32 v1, v27, s33
	v_mul_lo_u32 v2, v1, s23
	v_add_u32_e32 v3, 1, v1
	v_sub_u32_e32 v2, v27, v2
	v_cmp_le_u32_e32 vcc, s23, v2
	v_cndmask_b32_e32 v1, v1, v3, vcc
	v_subrev_u32_e32 v3, s23, v2
	v_cndmask_b32_e32 v2, v2, v3, vcc
	v_add_u32_e32 v3, 1, v1
	v_cmp_le_u32_e32 vcc, s23, v2
	v_cndmask_b32_e32 v1, v1, v3, vcc
	v_xor_b32_e32 v1, s19, v1
	v_subrev_u32_e32 v1, s19, v1
	v_add_u32_e32 v2, s42, v1
	v_sub_u32_e32 v3, 0, v2
	v_max_i32_e32 v3, v2, v3
	v_mul_hi_u32 v4, v3, v38
	v_ashrrev_i32_e32 v2, 31, v2
	v_cmp_lt_i32_e64 s[2:3], s17, v1
	v_mul_lo_u32 v4, v4, s14
	v_sub_u32_e32 v3, v3, v4
	v_subrev_u32_e32 v4, s14, v3
	v_cmp_le_u32_e32 vcc, s14, v3
	v_cndmask_b32_e32 v3, v3, v4, vcc
	v_subrev_u32_e32 v4, s14, v3
	v_cmp_le_u32_e32 vcc, s14, v3
	v_cndmask_b32_e32 v3, v3, v4, vcc
	v_xor_b32_e32 v3, v3, v2
	v_sub_u32_e32 v2, v3, v2
	v_cmp_eq_u32_e32 vcc, 0, v2
	s_or_b64 s[2:3], vcc, s[2:3]
	s_and_saveexec_b64 s[10:11], s[2:3]
	s_cbranch_execz .LBB19_39
; %bb.41:                               ;   in Loop: Header=BB19_40 Depth=1
	global_load_dword v1, v[21:22], off
	v_add_u32_e32 v40, v33, v27
	v_add_u32_e32 v43, 1, v40
	;; [unrolled: 1-line block ×4, first 2 shown]
	s_waitcnt vmcnt(0)
	v_mad_i64_i32 v[1:2], s[2:3], v1, s15, 0
	v_lshlrev_b64 v[1:2], 2, v[1:2]
	v_add_co_u32_e32 v17, vcc, v36, v1
	v_addc_co_u32_e32 v18, vcc, v37, v2, vcc
	global_load_dwordx4 v[5:8], v[17:18], off
	ds_read_b128 v[1:4], v39
	v_cmp_eq_u32_e32 vcc, s18, v26
	s_and_saveexec_b64 s[12:13], vcc
	s_cbranch_execnz .LBB19_45
; %bb.42:                               ;   in Loop: Header=BB19_40 Depth=1
	s_or_b64 exec, exec, s[12:13]
	global_load_dwordx4 v[9:12], v[17:18], off offset:1024
	s_and_saveexec_b64 s[12:13], vcc
	s_cbranch_execnz .LBB19_46
.LBB19_43:                              ;   in Loop: Header=BB19_40 Depth=1
	s_or_b64 exec, exec, s[12:13]
	global_load_dwordx4 v[13:16], v[17:18], off offset:2048
	s_and_saveexec_b64 s[12:13], vcc
	s_cbranch_execnz .LBB19_47
.LBB19_44:                              ;   in Loop: Header=BB19_40 Depth=1
	s_or_b64 exec, exec, s[12:13]
	global_load_dwordx4 v[17:20], v[17:18], off offset:3072
	s_and_saveexec_b64 s[2:3], vcc
	s_cbranch_execz .LBB19_38
	s_branch .LBB19_48
.LBB19_45:                              ;   in Loop: Header=BB19_40 Depth=1
	v_cmp_gt_i32_e64 s[2:3], s21, v40
	s_waitcnt vmcnt(0)
	v_cndmask_b32_e64 v5, 0, v5, s[2:3]
	v_cmp_gt_i32_e64 s[2:3], s21, v43
	v_cndmask_b32_e64 v6, 0, v6, s[2:3]
	v_cmp_gt_i32_e64 s[2:3], s21, v42
	;; [unrolled: 2-line block ×3, first 2 shown]
	v_cndmask_b32_e64 v8, 0, v8, s[2:3]
	s_or_b64 exec, exec, s[12:13]
	global_load_dwordx4 v[9:12], v[17:18], off offset:1024
	s_and_saveexec_b64 s[12:13], vcc
	s_cbranch_execz .LBB19_43
.LBB19_46:                              ;   in Loop: Header=BB19_40 Depth=1
	v_cmp_gt_i32_e64 s[2:3], s21, v40
	s_waitcnt vmcnt(0)
	v_cndmask_b32_e64 v9, 0, v9, s[2:3]
	v_cmp_gt_i32_e64 s[2:3], s21, v43
	v_cndmask_b32_e64 v10, 0, v10, s[2:3]
	v_cmp_gt_i32_e64 s[2:3], s21, v42
	;; [unrolled: 2-line block ×3, first 2 shown]
	v_cndmask_b32_e64 v12, 0, v12, s[2:3]
	s_or_b64 exec, exec, s[12:13]
	global_load_dwordx4 v[13:16], v[17:18], off offset:2048
	s_and_saveexec_b64 s[12:13], vcc
	s_cbranch_execz .LBB19_44
.LBB19_47:                              ;   in Loop: Header=BB19_40 Depth=1
	v_cmp_gt_i32_e64 s[2:3], s21, v40
	s_waitcnt vmcnt(0)
	v_cndmask_b32_e64 v13, 0, v13, s[2:3]
	v_cmp_gt_i32_e64 s[2:3], s21, v43
	v_cndmask_b32_e64 v14, 0, v14, s[2:3]
	v_cmp_gt_i32_e64 s[2:3], s21, v42
	;; [unrolled: 2-line block ×3, first 2 shown]
	v_cndmask_b32_e64 v16, 0, v16, s[2:3]
	s_or_b64 exec, exec, s[12:13]
	global_load_dwordx4 v[17:20], v[17:18], off offset:3072
	s_and_saveexec_b64 s[2:3], vcc
	s_cbranch_execz .LBB19_38
.LBB19_48:                              ;   in Loop: Header=BB19_40 Depth=1
	v_cmp_gt_i32_e32 vcc, s21, v40
	s_waitcnt vmcnt(0)
	v_cndmask_b32_e32 v17, 0, v17, vcc
	v_cmp_gt_i32_e32 vcc, s21, v43
	v_cndmask_b32_e32 v18, 0, v18, vcc
	v_cmp_gt_i32_e32 vcc, s21, v42
	;; [unrolled: 2-line block ×3, first 2 shown]
	v_cndmask_b32_e32 v20, 0, v20, vcc
	s_branch .LBB19_38
.LBB19_49:
	s_or_b64 exec, exec, s[6:7]
.LBB19_50:
	s_or_b64 exec, exec, s[4:5]
	ds_bpermute_b32 v1, v30, v35
	ds_bpermute_b32 v2, v30, v34
	;; [unrolled: 1-line block ×4, first 2 shown]
	v_and_b32_e32 v0, 0x3c3, v0
	s_waitcnt lgkmcnt(3)
	v_add_f32_e32 v1, v35, v1
	s_waitcnt lgkmcnt(2)
	v_add_f32_e32 v2, v34, v2
	;; [unrolled: 2-line block ×4, first 2 shown]
	ds_bpermute_b32 v5, v29, v1
	ds_bpermute_b32 v6, v29, v2
	;; [unrolled: 1-line block ×4, first 2 shown]
	v_cmp_eq_u32_e32 vcc, 64, v0
	s_waitcnt lgkmcnt(3)
	v_add_f32_e32 v1, v1, v5
	s_waitcnt lgkmcnt(2)
	v_add_f32_e32 v2, v2, v6
	;; [unrolled: 2-line block ×4, first 2 shown]
	s_barrier
	s_and_saveexec_b64 s[2:3], vcc
	s_cbranch_execz .LBB19_52
; %bb.51:
	v_add_u32_e32 v5, 0x110, v28
	ds_write2_b32 v5, v1, v2 offset1:16
	ds_write2_b32 v5, v3, v4 offset0:32 offset1:48
.LBB19_52:
	s_or_b64 exec, exec, s[2:3]
	s_waitcnt lgkmcnt(0)
	s_barrier
	s_and_saveexec_b64 s[2:3], s[0:1]
	s_cbranch_execz .LBB19_59
; %bb.53:
	v_mov_b32_e32 v5, 0x110
	v_cmp_eq_u32_e32 vcc, 0, v25
	v_lshl_add_u32 v5, v24, 2, v5
	s_and_saveexec_b64 s[0:1], vcc
	s_cbranch_execnz .LBB19_62
; %bb.54:
	s_or_b64 exec, exec, s[0:1]
	s_and_saveexec_b64 s[0:1], vcc
	s_cbranch_execnz .LBB19_63
.LBB19_55:
	s_or_b64 exec, exec, s[0:1]
	s_and_saveexec_b64 s[0:1], vcc
	s_cbranch_execnz .LBB19_64
.LBB19_56:
	s_or_b64 exec, exec, s[0:1]
	s_and_saveexec_b64 s[0:1], vcc
	s_cbranch_execz .LBB19_58
.LBB19_57:
	ds_read_b32 v5, v5 offset:192
	s_waitcnt lgkmcnt(0)
	v_add_f32_e32 v4, v4, v5
.LBB19_58:
	s_or_b64 exec, exec, s[0:1]
.LBB19_59:
	s_or_b64 exec, exec, s[2:3]
	v_cmp_eq_u32_e32 vcc, 0, v0
	s_barrier
	s_and_saveexec_b64 s[0:1], vcc
	s_cbranch_execz .LBB19_61
; %bb.60:
	s_mul_i32 s0, s20, s16
	s_mul_i32 s0, s0, s9
	s_lshl_b32 s0, s0, 6
	s_ashr_i32 s1, s0, 31
	s_lshl_b64 s[0:1], s[0:1], 2
	s_add_u32 s2, s24, s0
	s_mul_i32 s0, s16, s22
	s_addc_u32 s3, s25, s1
	s_ashr_i32 s1, s0, 31
	s_lshl_b64 s[0:1], s[0:1], 2
	s_add_u32 s2, s2, s0
	s_addc_u32 s3, s3, s1
	s_lshl_b32 s0, s8, 6
	s_ashr_i32 s1, s0, 31
	s_lshl_b64 s[0:1], s[0:1], 2
	s_add_u32 s0, s2, s0
	s_addc_u32 s1, s3, s1
	global_store_dword v23, v1, s[0:1]
	global_store_dword v23, v2, s[0:1] offset:64
	global_store_dword v23, v3, s[0:1] offset:128
	;; [unrolled: 1-line block ×3, first 2 shown]
.LBB19_61:
	s_endpgm
.LBB19_62:
	ds_read_b32 v6, v5
	s_waitcnt lgkmcnt(0)
	v_add_f32_e32 v1, v1, v6
	s_or_b64 exec, exec, s[0:1]
	s_and_saveexec_b64 s[0:1], vcc
	s_cbranch_execz .LBB19_55
.LBB19_63:
	ds_read_b32 v6, v5 offset:64
	s_waitcnt lgkmcnt(0)
	v_add_f32_e32 v2, v2, v6
	s_or_b64 exec, exec, s[0:1]
	s_and_saveexec_b64 s[0:1], vcc
	s_cbranch_execz .LBB19_56
.LBB19_64:
	ds_read_b32 v6, v5 offset:128
	s_waitcnt lgkmcnt(0)
	v_add_f32_e32 v3, v3, v6
	s_or_b64 exec, exec, s[0:1]
	s_and_saveexec_b64 s[0:1], vcc
	s_cbranch_execnz .LBB19_57
	s_branch .LBB19_58
	.section	.rodata,"a",@progbits
	.p2align	6, 0x0
	.amdhsa_kernel _ZN4vllm25paged_attention_v1_kernelIffLi64ELi16ELi128ELNS_18Fp8KVCacheDataTypeE0ELb1EEEvPT_PKS2_PKT0_S8_ifPKiSA_iPKfiiiSC_SC_iiiii
		.amdhsa_group_segment_fixed_size 272
		.amdhsa_private_segment_fixed_size 0
		.amdhsa_kernarg_size 384
		.amdhsa_user_sgpr_count 6
		.amdhsa_user_sgpr_private_segment_buffer 1
		.amdhsa_user_sgpr_dispatch_ptr 0
		.amdhsa_user_sgpr_queue_ptr 0
		.amdhsa_user_sgpr_kernarg_segment_ptr 1
		.amdhsa_user_sgpr_dispatch_id 0
		.amdhsa_user_sgpr_flat_scratch_init 0
		.amdhsa_user_sgpr_private_segment_size 0
		.amdhsa_uses_dynamic_stack 0
		.amdhsa_system_sgpr_private_segment_wavefront_offset 0
		.amdhsa_system_sgpr_workgroup_id_x 1
		.amdhsa_system_sgpr_workgroup_id_y 1
		.amdhsa_system_sgpr_workgroup_id_z 1
		.amdhsa_system_sgpr_workgroup_info 0
		.amdhsa_system_vgpr_workitem_id 0
		.amdhsa_next_free_vgpr 59
		.amdhsa_next_free_sgpr 46
		.amdhsa_reserve_vcc 1
		.amdhsa_reserve_flat_scratch 0
		.amdhsa_float_round_mode_32 0
		.amdhsa_float_round_mode_16_64 0
		.amdhsa_float_denorm_mode_32 3
		.amdhsa_float_denorm_mode_16_64 3
		.amdhsa_dx10_clamp 1
		.amdhsa_ieee_mode 1
		.amdhsa_fp16_overflow 0
		.amdhsa_exception_fp_ieee_invalid_op 0
		.amdhsa_exception_fp_denorm_src 0
		.amdhsa_exception_fp_ieee_div_zero 0
		.amdhsa_exception_fp_ieee_overflow 0
		.amdhsa_exception_fp_ieee_underflow 0
		.amdhsa_exception_fp_ieee_inexact 0
		.amdhsa_exception_int_div_zero 0
	.end_amdhsa_kernel
	.section	.text._ZN4vllm25paged_attention_v1_kernelIffLi64ELi16ELi128ELNS_18Fp8KVCacheDataTypeE0ELb1EEEvPT_PKS2_PKT0_S8_ifPKiSA_iPKfiiiSC_SC_iiiii,"axG",@progbits,_ZN4vllm25paged_attention_v1_kernelIffLi64ELi16ELi128ELNS_18Fp8KVCacheDataTypeE0ELb1EEEvPT_PKS2_PKT0_S8_ifPKiSA_iPKfiiiSC_SC_iiiii,comdat
.Lfunc_end19:
	.size	_ZN4vllm25paged_attention_v1_kernelIffLi64ELi16ELi128ELNS_18Fp8KVCacheDataTypeE0ELb1EEEvPT_PKS2_PKT0_S8_ifPKiSA_iPKfiiiSC_SC_iiiii, .Lfunc_end19-_ZN4vllm25paged_attention_v1_kernelIffLi64ELi16ELi128ELNS_18Fp8KVCacheDataTypeE0ELb1EEEvPT_PKS2_PKT0_S8_ifPKiSA_iPKfiiiSC_SC_iiiii
                                        ; -- End function
	.set _ZN4vllm25paged_attention_v1_kernelIffLi64ELi16ELi128ELNS_18Fp8KVCacheDataTypeE0ELb1EEEvPT_PKS2_PKT0_S8_ifPKiSA_iPKfiiiSC_SC_iiiii.num_vgpr, 59
	.set _ZN4vllm25paged_attention_v1_kernelIffLi64ELi16ELi128ELNS_18Fp8KVCacheDataTypeE0ELb1EEEvPT_PKS2_PKT0_S8_ifPKiSA_iPKfiiiSC_SC_iiiii.num_agpr, 0
	.set _ZN4vllm25paged_attention_v1_kernelIffLi64ELi16ELi128ELNS_18Fp8KVCacheDataTypeE0ELb1EEEvPT_PKS2_PKT0_S8_ifPKiSA_iPKfiiiSC_SC_iiiii.numbered_sgpr, 46
	.set _ZN4vllm25paged_attention_v1_kernelIffLi64ELi16ELi128ELNS_18Fp8KVCacheDataTypeE0ELb1EEEvPT_PKS2_PKT0_S8_ifPKiSA_iPKfiiiSC_SC_iiiii.num_named_barrier, 0
	.set _ZN4vllm25paged_attention_v1_kernelIffLi64ELi16ELi128ELNS_18Fp8KVCacheDataTypeE0ELb1EEEvPT_PKS2_PKT0_S8_ifPKiSA_iPKfiiiSC_SC_iiiii.private_seg_size, 0
	.set _ZN4vllm25paged_attention_v1_kernelIffLi64ELi16ELi128ELNS_18Fp8KVCacheDataTypeE0ELb1EEEvPT_PKS2_PKT0_S8_ifPKiSA_iPKfiiiSC_SC_iiiii.uses_vcc, 1
	.set _ZN4vllm25paged_attention_v1_kernelIffLi64ELi16ELi128ELNS_18Fp8KVCacheDataTypeE0ELb1EEEvPT_PKS2_PKT0_S8_ifPKiSA_iPKfiiiSC_SC_iiiii.uses_flat_scratch, 0
	.set _ZN4vllm25paged_attention_v1_kernelIffLi64ELi16ELi128ELNS_18Fp8KVCacheDataTypeE0ELb1EEEvPT_PKS2_PKT0_S8_ifPKiSA_iPKfiiiSC_SC_iiiii.has_dyn_sized_stack, 0
	.set _ZN4vllm25paged_attention_v1_kernelIffLi64ELi16ELi128ELNS_18Fp8KVCacheDataTypeE0ELb1EEEvPT_PKS2_PKT0_S8_ifPKiSA_iPKfiiiSC_SC_iiiii.has_recursion, 0
	.set _ZN4vllm25paged_attention_v1_kernelIffLi64ELi16ELi128ELNS_18Fp8KVCacheDataTypeE0ELb1EEEvPT_PKS2_PKT0_S8_ifPKiSA_iPKfiiiSC_SC_iiiii.has_indirect_call, 0
	.section	.AMDGPU.csdata,"",@progbits
; Kernel info:
; codeLenInByte = 4072
; TotalNumSgprs: 50
; NumVgprs: 59
; ScratchSize: 0
; MemoryBound: 0
; FloatMode: 240
; IeeeMode: 1
; LDSByteSize: 272 bytes/workgroup (compile time only)
; SGPRBlocks: 6
; VGPRBlocks: 14
; NumSGPRsForWavesPerEU: 50
; NumVGPRsForWavesPerEU: 59
; Occupancy: 4
; WaveLimiterHint : 1
; COMPUTE_PGM_RSRC2:SCRATCH_EN: 0
; COMPUTE_PGM_RSRC2:USER_SGPR: 6
; COMPUTE_PGM_RSRC2:TRAP_HANDLER: 0
; COMPUTE_PGM_RSRC2:TGID_X_EN: 1
; COMPUTE_PGM_RSRC2:TGID_Y_EN: 1
; COMPUTE_PGM_RSRC2:TGID_Z_EN: 1
; COMPUTE_PGM_RSRC2:TIDIG_COMP_CNT: 0
	.section	.text._ZN4vllm25paged_attention_v1_kernelIffLi80ELi16ELi128ELNS_18Fp8KVCacheDataTypeE0ELb1EEEvPT_PKS2_PKT0_S8_ifPKiSA_iPKfiiiSC_SC_iiiii,"axG",@progbits,_ZN4vllm25paged_attention_v1_kernelIffLi80ELi16ELi128ELNS_18Fp8KVCacheDataTypeE0ELb1EEEvPT_PKS2_PKT0_S8_ifPKiSA_iPKfiiiSC_SC_iiiii,comdat
	.protected	_ZN4vllm25paged_attention_v1_kernelIffLi80ELi16ELi128ELNS_18Fp8KVCacheDataTypeE0ELb1EEEvPT_PKS2_PKT0_S8_ifPKiSA_iPKfiiiSC_SC_iiiii ; -- Begin function _ZN4vllm25paged_attention_v1_kernelIffLi80ELi16ELi128ELNS_18Fp8KVCacheDataTypeE0ELb1EEEvPT_PKS2_PKT0_S8_ifPKiSA_iPKfiiiSC_SC_iiiii
	.globl	_ZN4vllm25paged_attention_v1_kernelIffLi80ELi16ELi128ELNS_18Fp8KVCacheDataTypeE0ELb1EEEvPT_PKS2_PKT0_S8_ifPKiSA_iPKfiiiSC_SC_iiiii
	.p2align	8
	.type	_ZN4vllm25paged_attention_v1_kernelIffLi80ELi16ELi128ELNS_18Fp8KVCacheDataTypeE0ELb1EEEvPT_PKS2_PKT0_S8_ifPKiSA_iPKfiiiSC_SC_iiiii,@function
_ZN4vllm25paged_attention_v1_kernelIffLi80ELi16ELi128ELNS_18Fp8KVCacheDataTypeE0ELb1EEEvPT_PKS2_PKT0_S8_ifPKiSA_iPKfiiiSC_SC_iiiii: ; @_ZN4vllm25paged_attention_v1_kernelIffLi80ELi16ELi128ELNS_18Fp8KVCacheDataTypeE0ELb1EEEvPT_PKS2_PKT0_S8_ifPKiSA_iPKfiiiSC_SC_iiiii
; %bb.0:
	s_load_dword s9, s[4:5], 0x80
	s_load_dwordx2 s[0:1], s[4:5], 0x30
	s_load_dwordx2 s[30:31], s[4:5], 0x20
	s_mov_b32 s10, s7
	s_ashr_i32 s11, s7, 31
	s_lshl_b64 s[2:3], s[10:11], 2
	s_waitcnt lgkmcnt(0)
	s_add_u32 s0, s0, s2
	s_addc_u32 s1, s1, s3
	s_abs_i32 s2, s30
	v_cvt_f32_u32_e32 v1, s2
	s_sub_i32 s11, 0, s2
	s_abs_i32 s7, s9
	s_xor_b32 s3, s9, s30
	v_rcp_iflag_f32_e32 v1, v1
	s_ashr_i32 s3, s3, 31
	s_mov_b32 s42, 0
	v_mul_f32_e32 v1, 0x4f7ffffe, v1
	v_cvt_u32_f32_e32 v1, v1
	v_readfirstlane_b32 s12, v1
	s_mul_i32 s11, s11, s12
	s_mul_hi_u32 s11, s12, s11
	s_add_i32 s12, s12, s11
	s_mul_hi_u32 s11, s7, s12
	s_mul_i32 s12, s11, s2
	s_sub_i32 s7, s7, s12
	s_add_i32 s12, s11, 1
	s_sub_i32 s13, s7, s2
	s_cmp_ge_u32 s7, s2
	s_cselect_b32 s11, s12, s11
	s_cselect_b32 s7, s13, s7
	s_add_i32 s12, s11, 1
	s_cmp_ge_u32 s7, s2
	s_cselect_b32 s2, s12, s11
	s_xor_b32 s2, s2, s3
	s_sub_i32 s12, s2, s3
	s_abs_i32 s11, s12
	v_cvt_f32_u32_e32 v1, s11
	s_load_dwordx2 s[2:3], s[4:5], 0x40
	s_sub_i32 s7, 0, s11
	s_abs_i32 s22, s6
	v_rcp_iflag_f32_e32 v1, v1
	v_mul_f32_e32 v1, 0x4f7ffffe, v1
	v_cvt_u32_f32_e32 v1, v1
	v_readfirstlane_b32 s13, v1
	s_mul_i32 s7, s7, s13
	s_mul_hi_u32 s7, s13, s7
	s_add_i32 s13, s13, s7
	s_waitcnt lgkmcnt(0)
	s_cmp_eq_u64 s[2:3], 0
	s_mul_hi_u32 s23, s22, s13
	s_cbranch_scc1 .LBB20_2
; %bb.1:
	s_ashr_i32 s7, s6, 31
	s_lshl_b64 s[14:15], s[6:7], 2
	s_add_u32 s2, s2, s14
	s_addc_u32 s3, s3, s15
	s_load_dword s42, s[2:3], 0x0
.LBB20_2:
	s_load_dword s33, s[0:1], 0x0
	s_ashr_i32 s7, s12, 31
	s_load_dwordx4 s[12:15], s[4:5], 0x48
	v_lshrrev_b32_e32 v28, 2, v0
	s_movk_i32 s3, 0x50
	s_ashr_i32 s2, s6, 31
	v_and_b32_e32 v29, 3, v0
	s_mul_i32 s20, s6, 0x50
	v_cmp_gt_u32_e32 vcc, s3, v0
	v_lshlrev_b32_e32 v3, 2, v0
	v_lshlrev_b32_e32 v27, 2, v28
	s_and_saveexec_b64 s[0:1], vcc
	s_cbranch_execz .LBB20_4
; %bb.3:
	s_load_dwordx2 s[16:17], s[4:5], 0x8
	s_waitcnt lgkmcnt(0)
	s_mul_i32 s18, s12, s10
	s_ashr_i32 s19, s18, 31
	s_lshl_b64 s[18:19], s[18:19], 2
	v_mad_u32_u24 v2, v29, s3, v27
	s_add_u32 s12, s16, s18
	s_addc_u32 s15, s17, s19
	s_ashr_i32 s21, s20, 31
	s_lshl_b64 s[16:17], s[20:21], 2
	s_add_u32 s16, s12, s16
	s_addc_u32 s17, s15, s17
	global_load_dword v1, v3, s[16:17]
	s_waitcnt vmcnt(0)
	ds_write_b32 v2, v1
.LBB20_4:
	s_or_b64 exec, exec, s[0:1]
	s_mul_i32 s1, s23, s11
	s_sub_i32 s1, s22, s1
	s_xor_b32 s0, s2, s7
	s_add_i32 s2, s23, 1
	s_sub_i32 s7, s1, s11
	s_load_dwordx4 s[16:19], s[4:5], 0x68
	s_load_dword s3, s[4:5], 0x78
	s_cmp_ge_u32 s1, s11
	s_cselect_b32 s2, s2, s23
	s_cselect_b32 s1, s7, s1
	s_add_i32 s7, s2, 1
	s_cmp_ge_u32 s1, s11
	s_cselect_b32 s1, s7, s2
	s_waitcnt lgkmcnt(0)
	s_abs_i32 s21, s19
	v_cvt_f32_u32_e32 v1, s21
	s_xor_b32 s1, s1, s0
	s_sub_i32 s2, s1, s0
	s_sub_i32 s0, 0, s21
	v_rcp_iflag_f32_e32 v1, v1
	s_add_i32 s11, s33, -1
	s_abs_i32 s7, s11
	v_mul_f32_e32 v1, 0x4f7ffffe, v1
	v_cvt_u32_f32_e32 v1, v1
	s_barrier
	v_readfirstlane_b32 s40, v1
	s_mul_i32 s0, s0, s40
	s_mul_hi_u32 s0, s40, s0
	s_add_i32 s40, s40, s0
	s_cmp_lt_i32 s3, 0
	s_mul_hi_u32 s12, s7, s40
	s_cbranch_scc0 .LBB20_6
; %bb.5:
	s_mul_i32 s0, s16, s30
	s_add_i32 s0, s2, s0
	s_mul_i32 s0, s0, s3
	s_sub_i32 s41, 1, s0
	s_mov_b64 s[0:1], 0
	s_branch .LBB20_7
.LBB20_6:
	s_mov_b64 s[0:1], -1
                                        ; implicit-def: $sgpr41
.LBB20_7:
	s_load_dwordx2 s[24:25], s[4:5], 0x28
	s_ashr_i32 s15, s11, 31
	s_andn2_b64 vcc, exec, s[0:1]
	s_ashr_i32 s19, s19, 31
	s_cbranch_vccnz .LBB20_9
; %bb.8:
	s_mul_i32 s0, s9, s16
	s_add_i32 s0, s0, s6
	s_mul_i32 s0, s0, s3
	s_add_i32 s41, s0, 1
.LBB20_9:
	s_load_dword s0, s[4:5], 0x38
	s_load_dwordx2 s[22:23], s[4:5], 0x0
	s_load_dwordx2 s[28:29], s[4:5], 0x18
	s_load_dword s11, s[4:5], 0x88
	s_xor_b32 s1, s15, s19
	s_waitcnt lgkmcnt(0)
	s_mul_i32 s26, s0, s10
	s_mul_i32 s0, s12, s21
	s_sub_i32 s0, s7, s0
	s_ashr_i32 s27, s26, 31
	s_add_i32 s3, s12, 1
	s_sub_i32 s6, s0, s21
	s_cmp_ge_u32 s0, s21
	s_cselect_b32 s3, s3, s12
	s_cselect_b32 s0, s6, s0
	s_add_i32 s6, s3, 1
	s_cmp_ge_u32 s0, s21
	s_cselect_b32 s0, s6, s3
	s_xor_b32 s0, s0, s1
	s_sub_i32 s12, s0, s1
	s_add_i32 s0, s33, 15
	s_ashr_i32 s1, s0, 31
	s_lshr_b32 s1, s1, 28
	s_add_i32 s0, s0, s1
	s_ashr_i32 s16, s0, 4
	v_lshrrev_b32_e32 v30, 6, v0
	v_cmp_gt_i32_e64 s[0:1], s16, v30
	v_mov_b32_e32 v9, 0xff7fffff
	s_mul_i32 s14, s2, s14
	v_lshrrev_b32_e32 v4, 4, v0
	v_lshlrev_b32_e32 v31, 4, v30
	v_mbcnt_lo_u32_b32 v5, -1, 0
	s_and_saveexec_b64 s[34:35], s[0:1]
	s_cbranch_execz .LBB20_21
; %bb.10:
	s_load_dwordx2 s[2:3], s[4:5], 0x10
	s_ashr_i32 s15, s14, 31
	s_sub_i32 s30, s12, s17
	s_lshl_b64 s[4:5], s[14:15], 2
	v_bfe_u32 v6, v0, 2, 4
	s_waitcnt lgkmcnt(0)
	s_add_u32 s2, s2, s4
	s_addc_u32 s3, s3, s5
	s_abs_i32 s15, s18
	v_cvt_f32_u32_e32 v1, s15
	v_mov_b32_e32 v8, s3
	s_sub_i32 s3, 0, s15
	v_lshlrev_b32_e32 v7, 4, v6
	v_rcp_iflag_f32_e32 v1, v1
	s_lshl_b64 s[4:5], s[26:27], 2
	v_lshlrev_b32_e32 v2, 2, v29
	v_lshlrev_b32_e32 v9, 2, v6
	v_mul_f32_e32 v1, 0x4f7ffffe, v1
	v_cvt_u32_f32_e32 v1, v1
	s_add_u32 s4, s24, s4
	s_addc_u32 s5, s25, s5
	v_lshl_or_b32 v9, v30, 6, v9
	v_mul_lo_u32 v10, s3, v1
	v_add_co_u32_e64 v7, s[2:3], s2, v7
	v_addc_co_u32_e64 v8, s[2:3], 0, v8, s[2:3]
	v_mul_hi_u32 v11, v1, v10
	v_add_co_u32_e64 v7, s[2:3], v7, v2
	v_mbcnt_hi_u32_b32 v16, -1, v5
	v_add_u32_e32 v11, v1, v11
	v_and_b32_e32 v1, 60, v4
	v_addc_co_u32_e64 v8, s[2:3], 0, v8, s[2:3]
	v_mov_b32_e32 v2, s5
	v_add_co_u32_e64 v1, s[4:5], s4, v1
	v_subrev_u32_e32 v13, s33, v6
	v_add_u32_e32 v14, 0x150, v9
	v_and_b32_e32 v9, 64, v16
	v_cmp_eq_u32_e32 vcc, 0, v29
	s_mov_b32 s43, s13
	v_mul_u32_u24_e32 v10, 0x50, v29
	v_cmp_neq_f32_e64 s[2:3], s42, 0
	v_addc_co_u32_e64 v2, s[4:5], 0, v2, s[4:5]
	v_lshlrev_b32_e32 v12, 4, v30
	v_add_u32_e32 v13, 1, v13
	v_mov_b32_e32 v15, 0xff7fffff
	s_mov_b64 s[36:37], 0
	s_movk_i32 s44, 0x1000
	v_add_u32_e32 v17, 64, v9
	v_xor_b32_e32 v18, 2, v16
	v_xor_b32_e32 v19, 1, v16
	v_mov_b32_e32 v9, 0xff7fffff
	v_mov_b32_e32 v20, v30
	s_branch .LBB20_13
.LBB20_11:                              ;   in Loop: Header=BB20_13 Depth=1
	s_or_b64 exec, exec, s[38:39]
.LBB20_12:                              ;   in Loop: Header=BB20_13 Depth=1
	s_or_b64 exec, exec, s[6:7]
	v_add_co_u32_e64 v1, s[4:5], 8, v1
	v_add_u32_e32 v20, 2, v20
	v_addc_co_u32_e64 v2, s[4:5], 0, v2, s[4:5]
	v_cmp_le_i32_e64 s[4:5], s16, v20
	v_add_u32_e32 v12, 32, v12
	s_or_b64 s[36:37], s[4:5], s[36:37]
	v_add_u32_e32 v14, 0x80, v14
	s_andn2_b64 exec, exec, s[36:37]
	s_cbranch_execz .LBB20_20
.LBB20_13:                              ; =>This Inner Loop Header: Depth=1
	v_mul_hi_u32 v21, v12, s40
	s_waitcnt lgkmcnt(0)
	v_mul_lo_u32 v22, v21, s21
	v_add_u32_e32 v23, 1, v21
	v_sub_u32_e32 v22, v12, v22
	v_cmp_le_u32_e64 s[4:5], s21, v22
	v_cndmask_b32_e64 v21, v21, v23, s[4:5]
	v_subrev_u32_e32 v23, s21, v22
	v_cndmask_b32_e64 v22, v22, v23, s[4:5]
	v_add_u32_e32 v23, 1, v21
	v_cmp_le_u32_e64 s[4:5], s21, v22
	v_cndmask_b32_e64 v21, v21, v23, s[4:5]
	v_xor_b32_e32 v21, s19, v21
	v_subrev_u32_e32 v21, s19, v21
	v_add_u32_e32 v22, s41, v21
	v_sub_u32_e32 v23, 0, v22
	v_max_i32_e32 v23, v22, v23
	v_mul_hi_u32 v24, v23, v11
	v_ashrrev_i32_e32 v22, 31, v22
	v_cmp_ge_i32_e64 s[6:7], s30, v21
	v_mul_lo_u32 v24, v24, s15
	v_sub_u32_e32 v23, v23, v24
	v_subrev_u32_e32 v24, s15, v23
	v_cmp_le_u32_e64 s[4:5], s15, v23
	v_cndmask_b32_e64 v23, v23, v24, s[4:5]
	v_subrev_u32_e32 v24, s15, v23
	v_cmp_le_u32_e64 s[4:5], s15, v23
	v_cndmask_b32_e64 v23, v23, v24, s[4:5]
	v_xor_b32_e32 v23, v23, v22
	v_sub_u32_e32 v22, v23, v22
	v_cmp_ne_u32_e64 s[4:5], 0, v22
	s_and_b64 s[4:5], s[4:5], s[6:7]
	s_and_saveexec_b64 s[6:7], s[4:5]
	s_xor_b64 s[4:5], exec, s[6:7]
	s_cbranch_execz .LBB20_17
; %bb.14:                               ;   in Loop: Header=BB20_13 Depth=1
	s_and_saveexec_b64 s[6:7], vcc
; %bb.15:                               ;   in Loop: Header=BB20_13 Depth=1
	ds_write_b32 v14, v15
; %bb.16:                               ;   in Loop: Header=BB20_13 Depth=1
	s_or_b64 exec, exec, s[6:7]
.LBB20_17:                              ;   in Loop: Header=BB20_13 Depth=1
	s_andn2_saveexec_b64 s[6:7], s[4:5]
	s_cbranch_execz .LBB20_12
; %bb.18:                               ;   in Loop: Header=BB20_13 Depth=1
	global_load_dword v21, v[1:2], off
	s_waitcnt vmcnt(0)
	v_mad_i64_i32 v[21:22], s[4:5], v21, s43, 0
	v_lshlrev_b64 v[21:22], 2, v[21:22]
	v_add_co_u32_e64 v21, s[4:5], v7, v21
	v_addc_co_u32_e64 v22, s[4:5], v8, v22, s[4:5]
	global_load_dword v25, v[21:22], off offset:256
	global_load_dword v26, v[21:22], off
	global_load_dword v36, v[21:22], off offset:512
	global_load_dword v37, v[21:22], off offset:768
	;; [unrolled: 1-line block ×10, first 2 shown]
	v_add_co_u32_e64 v23, s[4:5], s44, v21
	v_addc_co_u32_e64 v24, s[4:5], 0, v22, s[4:5]
	global_load_dword v47, v[21:22], off offset:3072
	global_load_dword v48, v[21:22], off offset:3328
	;; [unrolled: 1-line block ×4, first 2 shown]
	global_load_dword v51, v[23:24], off
	global_load_dword v52, v[23:24], off offset:256
	global_load_dword v53, v[23:24], off offset:512
	;; [unrolled: 1-line block ×3, first 2 shown]
	ds_read_b128 v[21:24], v10
	ds_read_b128 v[32:35], v10 offset:16
	v_cmp_lt_i32_e64 s[4:5], v18, v17
	s_waitcnt vmcnt(19) lgkmcnt(1)
	v_mul_f32_e32 v25, v22, v25
	s_waitcnt vmcnt(18)
	v_fmac_f32_e32 v25, v21, v26
	s_waitcnt vmcnt(17)
	v_fmac_f32_e32 v25, v23, v36
	;; [unrolled: 2-line block ×3, first 2 shown]
	ds_read_b128 v[21:24], v10 offset:32
	s_waitcnt vmcnt(15) lgkmcnt(1)
	v_fmac_f32_e32 v25, v32, v38
	s_waitcnt vmcnt(14)
	v_fmac_f32_e32 v25, v33, v40
	s_waitcnt vmcnt(13)
	v_fmac_f32_e32 v25, v34, v41
	ds_read_b128 v[36:39], v10 offset:48
	s_waitcnt vmcnt(12)
	v_fmac_f32_e32 v25, v35, v42
	s_waitcnt vmcnt(11) lgkmcnt(1)
	v_fmac_f32_e32 v25, v21, v43
	s_waitcnt vmcnt(10)
	v_fmac_f32_e32 v25, v22, v44
	s_waitcnt vmcnt(9)
	v_fmac_f32_e32 v25, v23, v45
	ds_read_b128 v[32:35], v10 offset:64
	s_waitcnt vmcnt(8)
	v_fmac_f32_e32 v25, v24, v46
	s_waitcnt vmcnt(7) lgkmcnt(1)
	v_fmac_f32_e32 v25, v36, v47
	s_waitcnt vmcnt(6)
	v_fmac_f32_e32 v25, v37, v48
	s_waitcnt vmcnt(5)
	;; [unrolled: 2-line block ×3, first 2 shown]
	v_fmac_f32_e32 v25, v39, v50
	s_waitcnt vmcnt(3) lgkmcnt(0)
	v_fmac_f32_e32 v25, v32, v51
	s_waitcnt vmcnt(2)
	v_fmac_f32_e32 v25, v33, v52
	v_cndmask_b32_e64 v26, v16, v18, s[4:5]
	s_waitcnt vmcnt(1)
	v_fmac_f32_e32 v25, v34, v53
	v_lshlrev_b32_e32 v21, 2, v26
	s_waitcnt vmcnt(0)
	v_fmac_f32_e32 v25, v35, v54
	ds_bpermute_b32 v21, v21, v25
	v_cmp_lt_i32_e64 s[4:5], v19, v17
	v_cndmask_b32_e64 v22, v16, v19, s[4:5]
	v_lshlrev_b32_e32 v22, 2, v22
	s_waitcnt lgkmcnt(0)
	v_add_f32_e32 v21, v25, v21
	ds_bpermute_b32 v22, v22, v21
	s_and_saveexec_b64 s[38:39], vcc
	s_cbranch_execz .LBB20_11
; %bb.19:                               ;   in Loop: Header=BB20_13 Depth=1
	v_add_u32_e32 v23, v13, v12
	v_cvt_f32_i32_e32 v23, v23
	s_waitcnt lgkmcnt(0)
	v_add_f32_e32 v21, v21, v22
	v_add_u32_e32 v24, v6, v12
	v_cmp_gt_i32_e64 s[4:5], s33, v24
	v_mul_f32_e32 v22, s42, v23
	v_cndmask_b32_e64 v22, 0, v22, s[2:3]
	v_fmac_f32_e32 v22, s31, v21
	v_cndmask_b32_e64 v21, 0, v22, s[4:5]
	ds_write_b32 v14, v21
	v_max_f32_e32 v21, v9, v9
	v_max_f32_e32 v21, v21, v22
	v_cndmask_b32_e64 v9, v9, v21, s[4:5]
	s_branch .LBB20_11
.LBB20_20:
	s_or_b64 exec, exec, s[36:37]
.LBB20_21:
	s_or_b64 exec, exec, s[34:35]
	v_mbcnt_hi_u32_b32 v1, -1, v5
	v_and_b32_e32 v11, 64, v1
	v_add_u32_e32 v2, 64, v11
	v_xor_b32_e32 v5, 32, v1
	v_cmp_lt_i32_e32 vcc, v5, v2
	v_cndmask_b32_e32 v5, v1, v5, vcc
	v_lshlrev_b32_e32 v5, 2, v5
	ds_bpermute_b32 v6, v5, v9
	v_xor_b32_e32 v8, 16, v1
	v_max_f32_e32 v7, v9, v9
	v_cmp_lt_i32_e32 vcc, v8, v2
	v_xor_b32_e32 v9, 8, v1
	s_waitcnt lgkmcnt(0)
	v_max_f32_e32 v6, v6, v6
	v_max_f32_e32 v7, v7, v6
	v_cndmask_b32_e32 v6, v1, v8, vcc
	v_lshlrev_b32_e32 v6, 2, v6
	ds_bpermute_b32 v8, v6, v7
	v_cmp_lt_i32_e32 vcc, v9, v2
	v_xor_b32_e32 v10, 4, v1
	v_and_b32_e32 v32, 63, v0
	s_waitcnt lgkmcnt(0)
	v_max_f32_e32 v8, v8, v8
	v_max_f32_e32 v7, v7, v8
	v_cndmask_b32_e32 v8, v1, v9, vcc
	v_lshlrev_b32_e32 v9, 2, v8
	ds_bpermute_b32 v8, v9, v7
	v_cmp_lt_i32_e32 vcc, v10, v2
	s_waitcnt lgkmcnt(0)
	v_max_f32_e32 v8, v8, v8
	v_max_f32_e32 v8, v7, v8
	v_cndmask_b32_e32 v7, v1, v10, vcc
	v_lshlrev_b32_e32 v10, 2, v7
	ds_bpermute_b32 v12, v10, v8
	v_cmp_eq_u32_e32 vcc, 0, v32
	v_lshlrev_b32_e32 v7, 2, v30
	s_and_saveexec_b64 s[2:3], vcc
	s_cbranch_execz .LBB20_23
; %bb.22:
	s_waitcnt lgkmcnt(0)
	v_max_f32_e32 v12, v12, v12
	v_max_f32_e32 v8, v8, v8
	;; [unrolled: 1-line block ×3, first 2 shown]
	ds_write_b32 v7, v8 offset:320
.LBB20_23:
	s_or_b64 exec, exec, s[2:3]
	v_cmp_gt_u32_e64 s[2:3], 2, v32
	s_waitcnt lgkmcnt(0)
	v_mov_b32_e32 v12, 0xff7fffff
	v_lshlrev_b32_e32 v8, 2, v32
	s_barrier
	s_and_saveexec_b64 s[4:5], s[2:3]
; %bb.24:
	ds_read_b32 v12, v8 offset:320
; %bb.25:
	s_or_b64 exec, exec, s[4:5]
	v_xor_b32_e32 v13, 1, v1
	v_cmp_lt_i32_e64 s[4:5], v13, v2
	v_cndmask_b32_e64 v13, v1, v13, s[4:5]
	v_lshlrev_b32_e32 v33, 2, v13
	s_waitcnt lgkmcnt(0)
	ds_bpermute_b32 v13, v33, v12
	v_max_f32_e32 v12, v12, v12
	v_lshlrev_b32_e32 v11, 2, v11
	s_lshl_b32 s4, s16, 4
	s_min_i32 s15, s4, s33
	s_waitcnt lgkmcnt(0)
	v_max_f32_e32 v13, v13, v13
	v_max_f32_e32 v12, v12, v13
	ds_bpermute_b32 v12, v11, v12
	v_cmp_gt_i32_e64 s[4:5], s15, v0
	v_mov_b32_e32 v11, 0
	s_and_saveexec_b64 s[30:31], s[4:5]
	s_cbranch_execz .LBB20_29
; %bb.26:
	v_mov_b32_e32 v11, 0x150
	v_lshl_add_u32 v13, v0, 2, v11
	v_mov_b32_e32 v11, 0
	s_mov_b64 s[34:35], 0
	v_mov_b32_e32 v14, v0
.LBB20_27:                              ; =>This Inner Loop Header: Depth=1
	ds_read_b32 v15, v13
	v_add_u32_e32 v14, 0x80, v14
	v_cmp_le_i32_e64 s[6:7], s15, v14
	s_or_b64 s[34:35], s[6:7], s[34:35]
	s_waitcnt lgkmcnt(0)
	v_sub_f32_e32 v15, v15, v12
	v_mul_f32_e32 v15, 0x3fb8aa3b, v15
	v_exp_f32_e32 v15, v15
	ds_write_b32 v13, v15
	v_add_f32_e32 v11, v11, v15
	v_add_u32_e32 v13, 0x200, v13
	s_andn2_b64 exec, exec, s[34:35]
	s_cbranch_execnz .LBB20_27
; %bb.28:
	s_or_b64 exec, exec, s[34:35]
.LBB20_29:
	s_or_b64 exec, exec, s[30:31]
	ds_bpermute_b32 v5, v5, v11
	s_waitcnt lgkmcnt(0)
	v_add_f32_e32 v5, v11, v5
	ds_bpermute_b32 v6, v6, v5
	s_waitcnt lgkmcnt(0)
	v_add_f32_e32 v5, v5, v6
	ds_bpermute_b32 v6, v9, v5
	v_xor_b32_e32 v9, 2, v1
	v_cmp_lt_i32_e64 s[6:7], v9, v2
	v_cndmask_b32_e64 v2, v1, v9, s[6:7]
	v_lshlrev_b32_e32 v34, 2, v2
	s_waitcnt lgkmcnt(0)
	v_add_f32_e32 v5, v5, v6
	ds_bpermute_b32 v6, v10, v5
	s_waitcnt lgkmcnt(0)
	v_add_f32_e32 v5, v5, v6
	ds_bpermute_b32 v2, v34, v5
	;; [unrolled: 3-line block ×3, first 2 shown]
	s_waitcnt lgkmcnt(0)
	v_add_f32_e32 v2, v2, v5
	s_and_saveexec_b64 s[6:7], vcc
; %bb.30:
	ds_write_b32 v7, v2 offset:328
; %bb.31:
	s_or_b64 exec, exec, s[6:7]
	s_waitcnt lgkmcnt(0)
	s_barrier
	s_and_saveexec_b64 s[6:7], s[2:3]
; %bb.32:
	ds_read_b32 v2, v8 offset:328
; %bb.33:
	s_or_b64 exec, exec, s[6:7]
	s_waitcnt lgkmcnt(0)
	ds_bpermute_b32 v5, v33, v2
	v_lshlrev_b32_e32 v1, 2, v1
	v_and_b32_e32 v1, 0x100, v1
	s_waitcnt lgkmcnt(0)
	v_add_f32_e32 v2, v2, v5
	ds_bpermute_b32 v1, v1, v2
	s_and_saveexec_b64 s[2:3], s[4:5]
	s_cbranch_execz .LBB20_36
; %bb.34:
	s_waitcnt lgkmcnt(0)
	v_add_f32_e32 v2, 0x358637bd, v1
	v_div_scale_f32 v1, s[4:5], v2, v2, 1.0
	v_div_scale_f32 v5, vcc, 1.0, v2, 1.0
	s_mov_b64 s[4:5], 0
	v_rcp_f32_e32 v6, v1
	v_fma_f32 v7, -v1, v6, 1.0
	v_fmac_f32_e32 v6, v7, v6
	v_mul_f32_e32 v7, v5, v6
	v_fma_f32 v8, -v1, v7, v5
	v_fmac_f32_e32 v7, v8, v6
	v_fma_f32 v1, -v1, v7, v5
	v_div_fmas_f32 v5, v1, v6, v7
	v_mov_b32_e32 v1, 0x150
	v_lshl_add_u32 v1, v0, 2, v1
	v_div_fixup_f32 v2, v5, v2, 1.0
	v_mov_b32_e32 v5, v0
.LBB20_35:                              ; =>This Inner Loop Header: Depth=1
	ds_read_b32 v6, v1
	v_add_u32_e32 v5, 0x80, v5
	v_cmp_le_i32_e32 vcc, s15, v5
	s_or_b64 s[4:5], vcc, s[4:5]
	s_waitcnt lgkmcnt(0)
	v_mul_f32_e32 v6, v2, v6
	ds_write_b32 v1, v6
	v_add_u32_e32 v1, 0x200, v1
	s_andn2_b64 exec, exec, s[4:5]
	s_cbranch_execnz .LBB20_35
.LBB20_36:
	s_or_b64 exec, exec, s[2:3]
	v_mov_b32_e32 v40, 0
	v_mov_b32_e32 v39, 0
	;; [unrolled: 1-line block ×5, first 2 shown]
	s_waitcnt lgkmcnt(0)
	s_barrier
	s_and_saveexec_b64 s[2:3], s[0:1]
	s_cbranch_execz .LBB20_52
; %bb.37:
	s_ashr_i32 s15, s14, 31
	s_sub_i32 s17, s12, s17
	s_lshl_b64 s[0:1], s[14:15], 2
	s_add_u32 s0, s28, s0
	s_addc_u32 s1, s29, s1
	s_abs_i32 s14, s18
	v_cvt_f32_u32_e32 v1, s14
	s_sub_i32 s4, 0, s14
	v_and_b32_e32 v38, 12, v3
	v_and_b32_e32 v3, 60, v4
	v_rcp_iflag_f32_e32 v1, v1
	v_lshlrev_b32_e32 v2, 4, v0
	v_and_b32_e32 v2, 0x3f0, v2
	s_add_i32 s18, s16, -1
	v_mul_f32_e32 v1, 0x4f7ffffe, v1
	v_cvt_u32_f32_e32 v1, v1
	v_mov_b32_e32 v5, s1
	v_add_co_u32_e32 v41, vcc, s0, v2
	v_mul_lo_u32 v4, s4, v1
	s_lshl_b64 s[0:1], s[26:27], 2
	s_add_u32 s0, s24, s0
	v_addc_co_u32_e32 v42, vcc, 0, v5, vcc
	v_mul_hi_u32 v4, v1, v4
	s_addc_u32 s1, s25, s1
	v_add_co_u32_e32 v25, vcc, s0, v3
	v_add_u32_e32 v43, v1, v4
	v_mov_b32_e32 v1, s1
	v_addc_co_u32_e32 v26, vcc, 0, v1, vcc
	v_lshlrev_b32_e32 v1, 4, v29
	v_lshl_or_b32 v1, v30, 6, v1
	s_mov_b32 s15, s13
	v_mov_b32_e32 v35, 0
	v_add_u32_e32 v44, 0x150, v1
	s_mov_b64 s[4:5], 0
	v_mov_b32_e32 v36, 0
	v_mov_b32_e32 v37, 0
	;; [unrolled: 1-line block ×4, first 2 shown]
	s_branch .LBB20_40
.LBB20_38:                              ;   in Loop: Header=BB20_40 Depth=1
	s_or_b64 exec, exec, s[12:13]
	s_waitcnt vmcnt(1) lgkmcnt(0)
	v_mul_f32_e32 v17, v1, v17
	v_mul_f32_e32 v13, v1, v13
	;; [unrolled: 1-line block ×4, first 2 shown]
	s_waitcnt vmcnt(0)
	v_mul_f32_e32 v1, v1, v21
	v_fmac_f32_e32 v17, v2, v18
	v_fmac_f32_e32 v13, v2, v14
	;; [unrolled: 1-line block ×15, first 2 shown]
	v_add_f32_e32 v36, v36, v17
	v_add_f32_e32 v37, v37, v13
	;; [unrolled: 1-line block ×5, first 2 shown]
.LBB20_39:                              ;   in Loop: Header=BB20_40 Depth=1
	s_or_b64 exec, exec, s[6:7]
	v_add_co_u32_e32 v25, vcc, 8, v25
	v_add_u32_e32 v30, 2, v30
	v_addc_co_u32_e32 v26, vcc, 0, v26, vcc
	v_cmp_le_i32_e32 vcc, s16, v30
	v_add_u32_e32 v31, 32, v31
	s_or_b64 s[4:5], vcc, s[4:5]
	v_add_u32_e32 v44, 0x80, v44
	s_andn2_b64 exec, exec, s[4:5]
	s_cbranch_execz .LBB20_51
.LBB20_40:                              ; =>This Inner Loop Header: Depth=1
	v_mul_hi_u32 v1, v31, s40
	v_mul_lo_u32 v2, v1, s21
	v_add_u32_e32 v3, 1, v1
	v_sub_u32_e32 v2, v31, v2
	v_cmp_le_u32_e32 vcc, s21, v2
	v_cndmask_b32_e32 v1, v1, v3, vcc
	v_subrev_u32_e32 v3, s21, v2
	v_cndmask_b32_e32 v2, v2, v3, vcc
	v_add_u32_e32 v3, 1, v1
	v_cmp_le_u32_e32 vcc, s21, v2
	v_cndmask_b32_e32 v1, v1, v3, vcc
	v_xor_b32_e32 v1, s19, v1
	v_subrev_u32_e32 v1, s19, v1
	v_add_u32_e32 v2, s41, v1
	v_sub_u32_e32 v3, 0, v2
	v_max_i32_e32 v3, v2, v3
	v_mul_hi_u32 v4, v3, v43
	v_ashrrev_i32_e32 v2, 31, v2
	v_cmp_lt_i32_e64 s[0:1], s17, v1
	v_mul_lo_u32 v4, v4, s14
	v_sub_u32_e32 v3, v3, v4
	v_subrev_u32_e32 v4, s14, v3
	v_cmp_le_u32_e32 vcc, s14, v3
	v_cndmask_b32_e32 v3, v3, v4, vcc
	v_subrev_u32_e32 v4, s14, v3
	v_cmp_le_u32_e32 vcc, s14, v3
	v_cndmask_b32_e32 v3, v3, v4, vcc
	v_xor_b32_e32 v3, v3, v2
	v_sub_u32_e32 v2, v3, v2
	v_cmp_eq_u32_e32 vcc, 0, v2
	s_or_b64 s[0:1], vcc, s[0:1]
	s_and_saveexec_b64 s[6:7], s[0:1]
	s_cbranch_execz .LBB20_39
; %bb.41:                               ;   in Loop: Header=BB20_40 Depth=1
	global_load_dword v1, v[25:26], off
	v_add_u32_e32 v45, v38, v31
	v_add_u32_e32 v48, 1, v45
	;; [unrolled: 1-line block ×4, first 2 shown]
	s_waitcnt vmcnt(0)
	v_mad_i64_i32 v[1:2], s[0:1], v1, s15, 0
	v_cmp_eq_u32_e64 s[0:1], s18, v30
	v_lshlrev_b64 v[1:2], 2, v[1:2]
	v_add_co_u32_e32 v21, vcc, v41, v1
	v_addc_co_u32_e32 v22, vcc, v42, v2, vcc
	global_load_dwordx4 v[5:8], v[21:22], off
	ds_read_b128 v[1:4], v44
	s_and_saveexec_b64 s[12:13], s[0:1]
	s_cbranch_execnz .LBB20_48
; %bb.42:                               ;   in Loop: Header=BB20_40 Depth=1
	s_or_b64 exec, exec, s[12:13]
	global_load_dwordx4 v[9:12], v[21:22], off offset:1024
	s_and_saveexec_b64 s[12:13], s[0:1]
	s_cbranch_execnz .LBB20_49
.LBB20_43:                              ;   in Loop: Header=BB20_40 Depth=1
	s_or_b64 exec, exec, s[12:13]
	global_load_dwordx4 v[13:16], v[21:22], off offset:2048
	s_and_saveexec_b64 s[12:13], s[0:1]
	s_cbranch_execnz .LBB20_50
.LBB20_44:                              ;   in Loop: Header=BB20_40 Depth=1
	s_or_b64 exec, exec, s[12:13]
	global_load_dwordx4 v[17:20], v[21:22], off offset:3072
	s_and_saveexec_b64 s[12:13], s[0:1]
	s_cbranch_execz .LBB20_46
.LBB20_45:                              ;   in Loop: Header=BB20_40 Depth=1
	v_cmp_gt_i32_e32 vcc, s33, v45
	s_waitcnt vmcnt(0)
	v_cndmask_b32_e32 v17, 0, v17, vcc
	v_cmp_gt_i32_e32 vcc, s33, v48
	v_cndmask_b32_e32 v18, 0, v18, vcc
	v_cmp_gt_i32_e32 vcc, s33, v47
	;; [unrolled: 2-line block ×3, first 2 shown]
	v_cndmask_b32_e32 v20, 0, v20, vcc
.LBB20_46:                              ;   in Loop: Header=BB20_40 Depth=1
	s_or_b64 exec, exec, s[12:13]
	v_add_co_u32_e32 v21, vcc, 0x1000, v21
	v_addc_co_u32_e32 v22, vcc, 0, v22, vcc
	global_load_dwordx4 v[21:24], v[21:22], off
	s_and_saveexec_b64 s[12:13], s[0:1]
	s_cbranch_execz .LBB20_38
; %bb.47:                               ;   in Loop: Header=BB20_40 Depth=1
	v_cmp_gt_i32_e32 vcc, s33, v45
	s_waitcnt vmcnt(0)
	v_cndmask_b32_e32 v21, 0, v21, vcc
	v_cmp_gt_i32_e32 vcc, s33, v48
	v_cndmask_b32_e32 v22, 0, v22, vcc
	v_cmp_gt_i32_e32 vcc, s33, v47
	;; [unrolled: 2-line block ×3, first 2 shown]
	v_cndmask_b32_e32 v24, 0, v24, vcc
	s_branch .LBB20_38
.LBB20_48:                              ;   in Loop: Header=BB20_40 Depth=1
	v_cmp_gt_i32_e32 vcc, s33, v45
	s_waitcnt vmcnt(0)
	v_cndmask_b32_e32 v5, 0, v5, vcc
	v_cmp_gt_i32_e32 vcc, s33, v48
	v_cndmask_b32_e32 v6, 0, v6, vcc
	v_cmp_gt_i32_e32 vcc, s33, v47
	;; [unrolled: 2-line block ×3, first 2 shown]
	v_cndmask_b32_e32 v8, 0, v8, vcc
	s_or_b64 exec, exec, s[12:13]
	global_load_dwordx4 v[9:12], v[21:22], off offset:1024
	s_and_saveexec_b64 s[12:13], s[0:1]
	s_cbranch_execz .LBB20_43
.LBB20_49:                              ;   in Loop: Header=BB20_40 Depth=1
	v_cmp_gt_i32_e32 vcc, s33, v45
	s_waitcnt vmcnt(0)
	v_cndmask_b32_e32 v9, 0, v9, vcc
	v_cmp_gt_i32_e32 vcc, s33, v48
	v_cndmask_b32_e32 v10, 0, v10, vcc
	v_cmp_gt_i32_e32 vcc, s33, v47
	;; [unrolled: 2-line block ×3, first 2 shown]
	v_cndmask_b32_e32 v12, 0, v12, vcc
	s_or_b64 exec, exec, s[12:13]
	global_load_dwordx4 v[13:16], v[21:22], off offset:2048
	s_and_saveexec_b64 s[12:13], s[0:1]
	s_cbranch_execz .LBB20_44
.LBB20_50:                              ;   in Loop: Header=BB20_40 Depth=1
	v_cmp_gt_i32_e32 vcc, s33, v45
	s_waitcnt vmcnt(0)
	v_cndmask_b32_e32 v13, 0, v13, vcc
	v_cmp_gt_i32_e32 vcc, s33, v48
	v_cndmask_b32_e32 v14, 0, v14, vcc
	v_cmp_gt_i32_e32 vcc, s33, v47
	;; [unrolled: 2-line block ×3, first 2 shown]
	v_cndmask_b32_e32 v16, 0, v16, vcc
	s_or_b64 exec, exec, s[12:13]
	global_load_dwordx4 v[17:20], v[21:22], off offset:3072
	s_and_saveexec_b64 s[12:13], s[0:1]
	s_cbranch_execnz .LBB20_45
	s_branch .LBB20_46
.LBB20_51:
	s_or_b64 exec, exec, s[4:5]
.LBB20_52:
	s_or_b64 exec, exec, s[2:3]
	ds_bpermute_b32 v2, v34, v39
	ds_bpermute_b32 v1, v34, v40
	;; [unrolled: 1-line block ×5, first 2 shown]
	s_waitcnt lgkmcnt(4)
	v_add_f32_e32 v2, v39, v2
	s_waitcnt lgkmcnt(3)
	v_add_f32_e32 v1, v40, v1
	ds_bpermute_b32 v6, v33, v2
	s_waitcnt lgkmcnt(3)
	v_add_f32_e32 v3, v37, v3
	s_waitcnt lgkmcnt(2)
	v_add_f32_e32 v4, v36, v4
	;; [unrolled: 2-line block ×3, first 2 shown]
	ds_bpermute_b32 v5, v33, v1
	ds_bpermute_b32 v8, v33, v3
	;; [unrolled: 1-line block ×4, first 2 shown]
	s_waitcnt lgkmcnt(4)
	v_add_f32_e32 v2, v2, v6
	v_and_b32_e32 v6, 0x3c3, v0
	s_waitcnt lgkmcnt(3)
	v_add_f32_e32 v1, v1, v5
	s_waitcnt lgkmcnt(2)
	v_add_f32_e32 v3, v3, v8
	;; [unrolled: 2-line block ×4, first 2 shown]
	v_cmp_eq_u32_e32 vcc, 64, v6
	s_barrier
	s_and_saveexec_b64 s[0:1], vcc
	s_cbranch_execz .LBB20_54
; %bb.53:
	v_add_u32_e32 v7, 0x150, v32
	ds_write2_b32 v7, v1, v2 offset1:16
	ds_write2_b32 v7, v3, v4 offset0:32 offset1:48
	ds_write_b32 v7, v5 offset:256
.LBB20_54:
	s_or_b64 exec, exec, s[0:1]
	v_cmp_gt_u32_e32 vcc, 64, v0
	s_waitcnt lgkmcnt(0)
	s_barrier
	s_and_saveexec_b64 s[0:1], vcc
	s_cbranch_execz .LBB20_62
; %bb.55:
	v_mov_b32_e32 v0, 0x150
	v_cmp_eq_u32_e32 vcc, 0, v29
	v_lshl_add_u32 v0, v28, 2, v0
	s_and_saveexec_b64 s[2:3], vcc
	s_cbranch_execnz .LBB20_65
; %bb.56:
	s_or_b64 exec, exec, s[2:3]
	s_and_saveexec_b64 s[2:3], vcc
	s_cbranch_execnz .LBB20_66
.LBB20_57:
	s_or_b64 exec, exec, s[2:3]
	s_and_saveexec_b64 s[2:3], vcc
	s_cbranch_execnz .LBB20_67
.LBB20_58:
	s_or_b64 exec, exec, s[2:3]
	s_and_saveexec_b64 s[2:3], vcc
	s_cbranch_execnz .LBB20_68
.LBB20_59:
	s_or_b64 exec, exec, s[2:3]
	s_and_saveexec_b64 s[2:3], vcc
	s_cbranch_execz .LBB20_61
.LBB20_60:
	ds_read_b32 v0, v0 offset:256
	s_waitcnt lgkmcnt(0)
	v_add_f32_e32 v5, v5, v0
.LBB20_61:
	s_or_b64 exec, exec, s[2:3]
.LBB20_62:
	s_or_b64 exec, exec, s[0:1]
	v_cmp_eq_u32_e32 vcc, 0, v6
	s_barrier
	s_and_saveexec_b64 s[0:1], vcc
	s_cbranch_execz .LBB20_64
; %bb.63:
	s_mul_i32 s0, s10, s11
	s_mul_i32 s0, s0, s9
	s_mulk_i32 s0, 0x50
	s_ashr_i32 s1, s0, 31
	s_lshl_b64 s[0:1], s[0:1], 2
	s_add_u32 s2, s22, s0
	s_mul_i32 s0, s11, s20
	s_addc_u32 s3, s23, s1
	s_ashr_i32 s1, s0, 31
	s_lshl_b64 s[0:1], s[0:1], 2
	s_add_u32 s2, s2, s0
	s_mul_i32 s0, s8, 0x50
	s_addc_u32 s3, s3, s1
	s_ashr_i32 s1, s0, 31
	s_lshl_b64 s[0:1], s[0:1], 2
	s_add_u32 s0, s2, s0
	s_addc_u32 s1, s3, s1
	global_store_dword v27, v1, s[0:1]
	global_store_dword v27, v2, s[0:1] offset:64
	global_store_dword v27, v3, s[0:1] offset:128
	;; [unrolled: 1-line block ×4, first 2 shown]
.LBB20_64:
	s_endpgm
.LBB20_65:
	ds_read_b32 v7, v0
	s_waitcnt lgkmcnt(0)
	v_add_f32_e32 v1, v1, v7
	s_or_b64 exec, exec, s[2:3]
	s_and_saveexec_b64 s[2:3], vcc
	s_cbranch_execz .LBB20_57
.LBB20_66:
	ds_read_b32 v7, v0 offset:64
	s_waitcnt lgkmcnt(0)
	v_add_f32_e32 v2, v2, v7
	s_or_b64 exec, exec, s[2:3]
	s_and_saveexec_b64 s[2:3], vcc
	s_cbranch_execz .LBB20_58
.LBB20_67:
	ds_read_b32 v7, v0 offset:128
	s_waitcnt lgkmcnt(0)
	v_add_f32_e32 v3, v3, v7
	s_or_b64 exec, exec, s[2:3]
	s_and_saveexec_b64 s[2:3], vcc
	s_cbranch_execz .LBB20_59
.LBB20_68:
	ds_read_b32 v7, v0 offset:192
	s_waitcnt lgkmcnt(0)
	v_add_f32_e32 v4, v4, v7
	s_or_b64 exec, exec, s[2:3]
	s_and_saveexec_b64 s[2:3], vcc
	s_cbranch_execnz .LBB20_60
	s_branch .LBB20_61
	.section	.rodata,"a",@progbits
	.p2align	6, 0x0
	.amdhsa_kernel _ZN4vllm25paged_attention_v1_kernelIffLi80ELi16ELi128ELNS_18Fp8KVCacheDataTypeE0ELb1EEEvPT_PKS2_PKT0_S8_ifPKiSA_iPKfiiiSC_SC_iiiii
		.amdhsa_group_segment_fixed_size 336
		.amdhsa_private_segment_fixed_size 0
		.amdhsa_kernarg_size 384
		.amdhsa_user_sgpr_count 6
		.amdhsa_user_sgpr_private_segment_buffer 1
		.amdhsa_user_sgpr_dispatch_ptr 0
		.amdhsa_user_sgpr_queue_ptr 0
		.amdhsa_user_sgpr_kernarg_segment_ptr 1
		.amdhsa_user_sgpr_dispatch_id 0
		.amdhsa_user_sgpr_flat_scratch_init 0
		.amdhsa_user_sgpr_private_segment_size 0
		.amdhsa_uses_dynamic_stack 0
		.amdhsa_system_sgpr_private_segment_wavefront_offset 0
		.amdhsa_system_sgpr_workgroup_id_x 1
		.amdhsa_system_sgpr_workgroup_id_y 1
		.amdhsa_system_sgpr_workgroup_id_z 1
		.amdhsa_system_sgpr_workgroup_info 0
		.amdhsa_system_vgpr_workitem_id 0
		.amdhsa_next_free_vgpr 55
		.amdhsa_next_free_sgpr 45
		.amdhsa_reserve_vcc 1
		.amdhsa_reserve_flat_scratch 0
		.amdhsa_float_round_mode_32 0
		.amdhsa_float_round_mode_16_64 0
		.amdhsa_float_denorm_mode_32 3
		.amdhsa_float_denorm_mode_16_64 3
		.amdhsa_dx10_clamp 1
		.amdhsa_ieee_mode 1
		.amdhsa_fp16_overflow 0
		.amdhsa_exception_fp_ieee_invalid_op 0
		.amdhsa_exception_fp_denorm_src 0
		.amdhsa_exception_fp_ieee_div_zero 0
		.amdhsa_exception_fp_ieee_overflow 0
		.amdhsa_exception_fp_ieee_underflow 0
		.amdhsa_exception_fp_ieee_inexact 0
		.amdhsa_exception_int_div_zero 0
	.end_amdhsa_kernel
	.section	.text._ZN4vllm25paged_attention_v1_kernelIffLi80ELi16ELi128ELNS_18Fp8KVCacheDataTypeE0ELb1EEEvPT_PKS2_PKT0_S8_ifPKiSA_iPKfiiiSC_SC_iiiii,"axG",@progbits,_ZN4vllm25paged_attention_v1_kernelIffLi80ELi16ELi128ELNS_18Fp8KVCacheDataTypeE0ELb1EEEvPT_PKS2_PKT0_S8_ifPKiSA_iPKfiiiSC_SC_iiiii,comdat
.Lfunc_end20:
	.size	_ZN4vllm25paged_attention_v1_kernelIffLi80ELi16ELi128ELNS_18Fp8KVCacheDataTypeE0ELb1EEEvPT_PKS2_PKT0_S8_ifPKiSA_iPKfiiiSC_SC_iiiii, .Lfunc_end20-_ZN4vllm25paged_attention_v1_kernelIffLi80ELi16ELi128ELNS_18Fp8KVCacheDataTypeE0ELb1EEEvPT_PKS2_PKT0_S8_ifPKiSA_iPKfiiiSC_SC_iiiii
                                        ; -- End function
	.set _ZN4vllm25paged_attention_v1_kernelIffLi80ELi16ELi128ELNS_18Fp8KVCacheDataTypeE0ELb1EEEvPT_PKS2_PKT0_S8_ifPKiSA_iPKfiiiSC_SC_iiiii.num_vgpr, 55
	.set _ZN4vllm25paged_attention_v1_kernelIffLi80ELi16ELi128ELNS_18Fp8KVCacheDataTypeE0ELb1EEEvPT_PKS2_PKT0_S8_ifPKiSA_iPKfiiiSC_SC_iiiii.num_agpr, 0
	.set _ZN4vllm25paged_attention_v1_kernelIffLi80ELi16ELi128ELNS_18Fp8KVCacheDataTypeE0ELb1EEEvPT_PKS2_PKT0_S8_ifPKiSA_iPKfiiiSC_SC_iiiii.numbered_sgpr, 45
	.set _ZN4vllm25paged_attention_v1_kernelIffLi80ELi16ELi128ELNS_18Fp8KVCacheDataTypeE0ELb1EEEvPT_PKS2_PKT0_S8_ifPKiSA_iPKfiiiSC_SC_iiiii.num_named_barrier, 0
	.set _ZN4vllm25paged_attention_v1_kernelIffLi80ELi16ELi128ELNS_18Fp8KVCacheDataTypeE0ELb1EEEvPT_PKS2_PKT0_S8_ifPKiSA_iPKfiiiSC_SC_iiiii.private_seg_size, 0
	.set _ZN4vllm25paged_attention_v1_kernelIffLi80ELi16ELi128ELNS_18Fp8KVCacheDataTypeE0ELb1EEEvPT_PKS2_PKT0_S8_ifPKiSA_iPKfiiiSC_SC_iiiii.uses_vcc, 1
	.set _ZN4vllm25paged_attention_v1_kernelIffLi80ELi16ELi128ELNS_18Fp8KVCacheDataTypeE0ELb1EEEvPT_PKS2_PKT0_S8_ifPKiSA_iPKfiiiSC_SC_iiiii.uses_flat_scratch, 0
	.set _ZN4vllm25paged_attention_v1_kernelIffLi80ELi16ELi128ELNS_18Fp8KVCacheDataTypeE0ELb1EEEvPT_PKS2_PKT0_S8_ifPKiSA_iPKfiiiSC_SC_iiiii.has_dyn_sized_stack, 0
	.set _ZN4vllm25paged_attention_v1_kernelIffLi80ELi16ELi128ELNS_18Fp8KVCacheDataTypeE0ELb1EEEvPT_PKS2_PKT0_S8_ifPKiSA_iPKfiiiSC_SC_iiiii.has_recursion, 0
	.set _ZN4vllm25paged_attention_v1_kernelIffLi80ELi16ELi128ELNS_18Fp8KVCacheDataTypeE0ELb1EEEvPT_PKS2_PKT0_S8_ifPKiSA_iPKfiiiSC_SC_iiiii.has_indirect_call, 0
	.section	.AMDGPU.csdata,"",@progbits
; Kernel info:
; codeLenInByte = 4284
; TotalNumSgprs: 49
; NumVgprs: 55
; ScratchSize: 0
; MemoryBound: 0
; FloatMode: 240
; IeeeMode: 1
; LDSByteSize: 336 bytes/workgroup (compile time only)
; SGPRBlocks: 6
; VGPRBlocks: 13
; NumSGPRsForWavesPerEU: 49
; NumVGPRsForWavesPerEU: 55
; Occupancy: 4
; WaveLimiterHint : 1
; COMPUTE_PGM_RSRC2:SCRATCH_EN: 0
; COMPUTE_PGM_RSRC2:USER_SGPR: 6
; COMPUTE_PGM_RSRC2:TRAP_HANDLER: 0
; COMPUTE_PGM_RSRC2:TGID_X_EN: 1
; COMPUTE_PGM_RSRC2:TGID_Y_EN: 1
; COMPUTE_PGM_RSRC2:TGID_Z_EN: 1
; COMPUTE_PGM_RSRC2:TIDIG_COMP_CNT: 0
	.section	.text._ZN4vllm25paged_attention_v1_kernelIffLi96ELi16ELi128ELNS_18Fp8KVCacheDataTypeE0ELb1EEEvPT_PKS2_PKT0_S8_ifPKiSA_iPKfiiiSC_SC_iiiii,"axG",@progbits,_ZN4vllm25paged_attention_v1_kernelIffLi96ELi16ELi128ELNS_18Fp8KVCacheDataTypeE0ELb1EEEvPT_PKS2_PKT0_S8_ifPKiSA_iPKfiiiSC_SC_iiiii,comdat
	.protected	_ZN4vllm25paged_attention_v1_kernelIffLi96ELi16ELi128ELNS_18Fp8KVCacheDataTypeE0ELb1EEEvPT_PKS2_PKT0_S8_ifPKiSA_iPKfiiiSC_SC_iiiii ; -- Begin function _ZN4vllm25paged_attention_v1_kernelIffLi96ELi16ELi128ELNS_18Fp8KVCacheDataTypeE0ELb1EEEvPT_PKS2_PKT0_S8_ifPKiSA_iPKfiiiSC_SC_iiiii
	.globl	_ZN4vllm25paged_attention_v1_kernelIffLi96ELi16ELi128ELNS_18Fp8KVCacheDataTypeE0ELb1EEEvPT_PKS2_PKT0_S8_ifPKiSA_iPKfiiiSC_SC_iiiii
	.p2align	8
	.type	_ZN4vllm25paged_attention_v1_kernelIffLi96ELi16ELi128ELNS_18Fp8KVCacheDataTypeE0ELb1EEEvPT_PKS2_PKT0_S8_ifPKiSA_iPKfiiiSC_SC_iiiii,@function
_ZN4vllm25paged_attention_v1_kernelIffLi96ELi16ELi128ELNS_18Fp8KVCacheDataTypeE0ELb1EEEvPT_PKS2_PKT0_S8_ifPKiSA_iPKfiiiSC_SC_iiiii: ; @_ZN4vllm25paged_attention_v1_kernelIffLi96ELi16ELi128ELNS_18Fp8KVCacheDataTypeE0ELb1EEEvPT_PKS2_PKT0_S8_ifPKiSA_iPKfiiiSC_SC_iiiii
; %bb.0:
	s_load_dword s9, s[4:5], 0x80
	s_load_dwordx2 s[0:1], s[4:5], 0x30
	s_load_dwordx2 s[30:31], s[4:5], 0x20
	s_mov_b32 s10, s7
	s_ashr_i32 s11, s7, 31
	s_lshl_b64 s[2:3], s[10:11], 2
	s_waitcnt lgkmcnt(0)
	s_add_u32 s0, s0, s2
	s_addc_u32 s1, s1, s3
	s_abs_i32 s2, s30
	v_cvt_f32_u32_e32 v1, s2
	s_sub_i32 s11, 0, s2
	s_abs_i32 s7, s9
	s_xor_b32 s3, s9, s30
	v_rcp_iflag_f32_e32 v1, v1
	s_ashr_i32 s3, s3, 31
	s_mov_b32 s42, 0
	v_mul_f32_e32 v1, 0x4f7ffffe, v1
	v_cvt_u32_f32_e32 v1, v1
	v_readfirstlane_b32 s12, v1
	s_mul_i32 s11, s11, s12
	s_mul_hi_u32 s11, s12, s11
	s_add_i32 s12, s12, s11
	s_mul_hi_u32 s11, s7, s12
	s_mul_i32 s12, s11, s2
	s_sub_i32 s7, s7, s12
	s_add_i32 s12, s11, 1
	s_sub_i32 s13, s7, s2
	s_cmp_ge_u32 s7, s2
	s_cselect_b32 s11, s12, s11
	s_cselect_b32 s7, s13, s7
	s_add_i32 s12, s11, 1
	s_cmp_ge_u32 s7, s2
	s_cselect_b32 s2, s12, s11
	s_xor_b32 s2, s2, s3
	s_sub_i32 s12, s2, s3
	s_abs_i32 s11, s12
	v_cvt_f32_u32_e32 v1, s11
	s_load_dwordx2 s[2:3], s[4:5], 0x40
	s_sub_i32 s7, 0, s11
	s_abs_i32 s22, s6
	v_rcp_iflag_f32_e32 v1, v1
	v_mul_f32_e32 v1, 0x4f7ffffe, v1
	v_cvt_u32_f32_e32 v1, v1
	v_readfirstlane_b32 s13, v1
	s_mul_i32 s7, s7, s13
	s_mul_hi_u32 s7, s13, s7
	s_add_i32 s13, s13, s7
	s_waitcnt lgkmcnt(0)
	s_cmp_eq_u64 s[2:3], 0
	s_mul_hi_u32 s23, s22, s13
	s_cbranch_scc1 .LBB21_2
; %bb.1:
	s_ashr_i32 s7, s6, 31
	s_lshl_b64 s[14:15], s[6:7], 2
	s_add_u32 s2, s2, s14
	s_addc_u32 s3, s3, s15
	s_load_dword s42, s[2:3], 0x0
.LBB21_2:
	s_load_dword s33, s[0:1], 0x0
	s_ashr_i32 s7, s12, 31
	s_load_dwordx4 s[12:15], s[4:5], 0x48
	v_lshrrev_b32_e32 v32, 2, v0
	s_movk_i32 s3, 0x60
	s_ashr_i32 s2, s6, 31
	v_and_b32_e32 v33, 3, v0
	s_mul_i32 s20, s6, 0x60
	v_cmp_gt_u32_e32 vcc, s3, v0
	v_lshlrev_b32_e32 v3, 2, v0
	v_lshlrev_b32_e32 v31, 2, v32
	s_and_saveexec_b64 s[0:1], vcc
	s_cbranch_execz .LBB21_4
; %bb.3:
	s_load_dwordx2 s[16:17], s[4:5], 0x8
	s_waitcnt lgkmcnt(0)
	s_mul_i32 s18, s12, s10
	s_ashr_i32 s19, s18, 31
	s_lshl_b64 s[18:19], s[18:19], 2
	v_mad_u32_u24 v2, v33, s3, v31
	s_add_u32 s12, s16, s18
	s_addc_u32 s15, s17, s19
	s_ashr_i32 s21, s20, 31
	s_lshl_b64 s[16:17], s[20:21], 2
	s_add_u32 s16, s12, s16
	s_addc_u32 s17, s15, s17
	global_load_dword v1, v3, s[16:17]
	s_waitcnt vmcnt(0)
	ds_write_b32 v2, v1
.LBB21_4:
	s_or_b64 exec, exec, s[0:1]
	s_mul_i32 s1, s23, s11
	s_sub_i32 s1, s22, s1
	s_xor_b32 s0, s2, s7
	s_add_i32 s2, s23, 1
	s_sub_i32 s7, s1, s11
	s_load_dwordx4 s[16:19], s[4:5], 0x68
	s_load_dword s3, s[4:5], 0x78
	s_cmp_ge_u32 s1, s11
	s_cselect_b32 s2, s2, s23
	s_cselect_b32 s1, s7, s1
	s_add_i32 s7, s2, 1
	s_cmp_ge_u32 s1, s11
	s_cselect_b32 s1, s7, s2
	s_waitcnt lgkmcnt(0)
	s_abs_i32 s21, s19
	v_cvt_f32_u32_e32 v1, s21
	s_xor_b32 s1, s1, s0
	s_sub_i32 s2, s1, s0
	s_sub_i32 s0, 0, s21
	v_rcp_iflag_f32_e32 v1, v1
	s_add_i32 s11, s33, -1
	s_abs_i32 s7, s11
	v_mul_f32_e32 v1, 0x4f7ffffe, v1
	v_cvt_u32_f32_e32 v1, v1
	s_barrier
	v_readfirstlane_b32 s40, v1
	s_mul_i32 s0, s0, s40
	s_mul_hi_u32 s0, s40, s0
	s_add_i32 s40, s40, s0
	s_cmp_lt_i32 s3, 0
	s_mul_hi_u32 s12, s7, s40
	s_cbranch_scc0 .LBB21_6
; %bb.5:
	s_mul_i32 s0, s16, s30
	s_add_i32 s0, s2, s0
	s_mul_i32 s0, s0, s3
	s_sub_i32 s41, 1, s0
	s_mov_b64 s[0:1], 0
	s_branch .LBB21_7
.LBB21_6:
	s_mov_b64 s[0:1], -1
                                        ; implicit-def: $sgpr41
.LBB21_7:
	s_load_dwordx2 s[24:25], s[4:5], 0x28
	s_ashr_i32 s15, s11, 31
	s_andn2_b64 vcc, exec, s[0:1]
	s_ashr_i32 s19, s19, 31
	s_cbranch_vccnz .LBB21_9
; %bb.8:
	s_mul_i32 s0, s9, s16
	s_add_i32 s0, s0, s6
	s_mul_i32 s0, s0, s3
	s_add_i32 s41, s0, 1
.LBB21_9:
	s_load_dword s0, s[4:5], 0x38
	s_load_dwordx2 s[22:23], s[4:5], 0x0
	s_load_dwordx2 s[28:29], s[4:5], 0x18
	s_load_dword s11, s[4:5], 0x88
	s_xor_b32 s1, s15, s19
	s_waitcnt lgkmcnt(0)
	s_mul_i32 s26, s0, s10
	s_mul_i32 s0, s12, s21
	s_sub_i32 s0, s7, s0
	s_ashr_i32 s27, s26, 31
	s_add_i32 s3, s12, 1
	s_sub_i32 s6, s0, s21
	s_cmp_ge_u32 s0, s21
	s_cselect_b32 s3, s3, s12
	s_cselect_b32 s0, s6, s0
	s_add_i32 s6, s3, 1
	s_cmp_ge_u32 s0, s21
	s_cselect_b32 s0, s6, s3
	s_xor_b32 s0, s0, s1
	s_sub_i32 s12, s0, s1
	s_add_i32 s0, s33, 15
	s_ashr_i32 s1, s0, 31
	s_lshr_b32 s1, s1, 28
	s_add_i32 s0, s0, s1
	s_ashr_i32 s16, s0, 4
	v_lshrrev_b32_e32 v34, 6, v0
	v_cmp_gt_i32_e64 s[0:1], s16, v34
	v_mov_b32_e32 v9, 0xff7fffff
	s_mul_i32 s14, s2, s14
	v_lshrrev_b32_e32 v4, 4, v0
	v_lshlrev_b32_e32 v35, 4, v34
	v_mbcnt_lo_u32_b32 v5, -1, 0
	s_and_saveexec_b64 s[34:35], s[0:1]
	s_cbranch_execz .LBB21_21
; %bb.10:
	s_load_dwordx2 s[2:3], s[4:5], 0x10
	s_ashr_i32 s15, s14, 31
	s_sub_i32 s30, s12, s17
	s_lshl_b64 s[4:5], s[14:15], 2
	v_bfe_u32 v6, v0, 2, 4
	s_waitcnt lgkmcnt(0)
	s_add_u32 s2, s2, s4
	s_addc_u32 s3, s3, s5
	s_abs_i32 s15, s18
	v_cvt_f32_u32_e32 v1, s15
	v_mov_b32_e32 v8, s3
	s_sub_i32 s3, 0, s15
	v_lshlrev_b32_e32 v7, 4, v6
	v_rcp_iflag_f32_e32 v1, v1
	s_lshl_b64 s[4:5], s[26:27], 2
	v_lshlrev_b32_e32 v2, 2, v33
	v_lshlrev_b32_e32 v9, 2, v6
	v_mul_f32_e32 v1, 0x4f7ffffe, v1
	v_cvt_u32_f32_e32 v1, v1
	s_add_u32 s4, s24, s4
	s_addc_u32 s5, s25, s5
	v_lshl_or_b32 v9, v34, 6, v9
	v_mul_lo_u32 v10, s3, v1
	v_add_co_u32_e64 v7, s[2:3], s2, v7
	v_addc_co_u32_e64 v8, s[2:3], 0, v8, s[2:3]
	v_mul_hi_u32 v11, v1, v10
	v_add_co_u32_e64 v7, s[2:3], v7, v2
	v_mbcnt_hi_u32_b32 v16, -1, v5
	v_add_u32_e32 v11, v1, v11
	v_and_b32_e32 v1, 60, v4
	v_addc_co_u32_e64 v8, s[2:3], 0, v8, s[2:3]
	v_mov_b32_e32 v2, s5
	v_add_co_u32_e64 v1, s[4:5], s4, v1
	v_subrev_u32_e32 v13, s33, v6
	v_add_u32_e32 v14, 0x190, v9
	v_and_b32_e32 v9, 64, v16
	v_cmp_eq_u32_e32 vcc, 0, v33
	s_mov_b32 s43, s13
	v_mul_u32_u24_e32 v10, 0x60, v33
	v_cmp_neq_f32_e64 s[2:3], s42, 0
	v_addc_co_u32_e64 v2, s[4:5], 0, v2, s[4:5]
	v_lshlrev_b32_e32 v12, 4, v34
	v_add_u32_e32 v13, 1, v13
	v_mov_b32_e32 v15, 0xff7fffff
	s_mov_b64 s[36:37], 0
	s_movk_i32 s44, 0x1000
	v_add_u32_e32 v17, 64, v9
	v_xor_b32_e32 v18, 2, v16
	v_xor_b32_e32 v19, 1, v16
	v_mov_b32_e32 v9, 0xff7fffff
	v_mov_b32_e32 v20, v34
	s_branch .LBB21_13
.LBB21_11:                              ;   in Loop: Header=BB21_13 Depth=1
	s_or_b64 exec, exec, s[38:39]
.LBB21_12:                              ;   in Loop: Header=BB21_13 Depth=1
	s_or_b64 exec, exec, s[6:7]
	v_add_co_u32_e64 v1, s[4:5], 8, v1
	v_add_u32_e32 v20, 2, v20
	v_addc_co_u32_e64 v2, s[4:5], 0, v2, s[4:5]
	v_cmp_le_i32_e64 s[4:5], s16, v20
	v_add_u32_e32 v12, 32, v12
	s_or_b64 s[36:37], s[4:5], s[36:37]
	v_add_u32_e32 v14, 0x80, v14
	s_andn2_b64 exec, exec, s[36:37]
	s_cbranch_execz .LBB21_20
.LBB21_13:                              ; =>This Inner Loop Header: Depth=1
	v_mul_hi_u32 v21, v12, s40
	s_waitcnt lgkmcnt(0)
	v_mul_lo_u32 v22, v21, s21
	v_add_u32_e32 v23, 1, v21
	v_sub_u32_e32 v22, v12, v22
	v_cmp_le_u32_e64 s[4:5], s21, v22
	v_cndmask_b32_e64 v21, v21, v23, s[4:5]
	v_subrev_u32_e32 v23, s21, v22
	v_cndmask_b32_e64 v22, v22, v23, s[4:5]
	v_add_u32_e32 v23, 1, v21
	v_cmp_le_u32_e64 s[4:5], s21, v22
	v_cndmask_b32_e64 v21, v21, v23, s[4:5]
	v_xor_b32_e32 v21, s19, v21
	v_subrev_u32_e32 v21, s19, v21
	v_add_u32_e32 v22, s41, v21
	v_sub_u32_e32 v23, 0, v22
	v_max_i32_e32 v23, v22, v23
	v_mul_hi_u32 v24, v23, v11
	v_ashrrev_i32_e32 v22, 31, v22
	v_cmp_ge_i32_e64 s[6:7], s30, v21
	v_mul_lo_u32 v24, v24, s15
	v_sub_u32_e32 v23, v23, v24
	v_subrev_u32_e32 v24, s15, v23
	v_cmp_le_u32_e64 s[4:5], s15, v23
	v_cndmask_b32_e64 v23, v23, v24, s[4:5]
	v_subrev_u32_e32 v24, s15, v23
	v_cmp_le_u32_e64 s[4:5], s15, v23
	v_cndmask_b32_e64 v23, v23, v24, s[4:5]
	v_xor_b32_e32 v23, v23, v22
	v_sub_u32_e32 v22, v23, v22
	v_cmp_ne_u32_e64 s[4:5], 0, v22
	s_and_b64 s[4:5], s[4:5], s[6:7]
	s_and_saveexec_b64 s[6:7], s[4:5]
	s_xor_b64 s[4:5], exec, s[6:7]
	s_cbranch_execz .LBB21_17
; %bb.14:                               ;   in Loop: Header=BB21_13 Depth=1
	s_and_saveexec_b64 s[6:7], vcc
; %bb.15:                               ;   in Loop: Header=BB21_13 Depth=1
	ds_write_b32 v14, v15
; %bb.16:                               ;   in Loop: Header=BB21_13 Depth=1
	s_or_b64 exec, exec, s[6:7]
.LBB21_17:                              ;   in Loop: Header=BB21_13 Depth=1
	s_andn2_saveexec_b64 s[6:7], s[4:5]
	s_cbranch_execz .LBB21_12
; %bb.18:                               ;   in Loop: Header=BB21_13 Depth=1
	global_load_dword v21, v[1:2], off
	s_waitcnt vmcnt(0)
	v_mad_i64_i32 v[21:22], s[4:5], v21, s43, 0
	v_lshlrev_b64 v[21:22], 2, v[21:22]
	v_add_co_u32_e64 v36, s[4:5], v7, v21
	v_addc_co_u32_e64 v37, s[4:5], v8, v22, s[4:5]
	global_load_dword v21, v[36:37], off offset:256
	global_load_dword v30, v[36:37], off
	global_load_dword v38, v[36:37], off offset:512
	global_load_dword v39, v[36:37], off offset:768
	;; [unrolled: 1-line block ×6, first 2 shown]
	ds_read_b128 v[22:25], v10
	ds_read_b128 v[26:29], v10 offset:16
	s_waitcnt vmcnt(7) lgkmcnt(1)
	v_mul_f32_e32 v21, v23, v21
	s_waitcnt vmcnt(6)
	v_fmac_f32_e32 v21, v22, v30
	s_waitcnt vmcnt(5)
	v_fmac_f32_e32 v21, v24, v38
	;; [unrolled: 2-line block ×3, first 2 shown]
	global_load_dword v30, v[36:37], off offset:2048
	global_load_dword v38, v[36:37], off offset:2304
	;; [unrolled: 1-line block ×4, first 2 shown]
	s_waitcnt vmcnt(7) lgkmcnt(0)
	v_fmac_f32_e32 v21, v26, v40
	s_waitcnt vmcnt(6)
	v_fmac_f32_e32 v21, v27, v41
	s_waitcnt vmcnt(5)
	v_fmac_f32_e32 v21, v28, v42
	ds_read_b128 v[22:25], v10 offset:32
	s_waitcnt vmcnt(4)
	v_fmac_f32_e32 v21, v29, v43
	global_load_dword v40, v[36:37], off offset:3072
	global_load_dword v41, v[36:37], off offset:3328
	;; [unrolled: 1-line block ×4, first 2 shown]
	v_add_co_u32_e64 v36, s[4:5], s44, v36
	v_addc_co_u32_e64 v37, s[4:5], 0, v37, s[4:5]
	ds_read_b128 v[26:29], v10 offset:48
	v_cmp_lt_i32_e64 s[4:5], v18, v17
	s_waitcnt vmcnt(7) lgkmcnt(1)
	v_fmac_f32_e32 v21, v22, v30
	s_waitcnt vmcnt(6)
	v_fmac_f32_e32 v21, v23, v38
	s_waitcnt vmcnt(5)
	;; [unrolled: 2-line block ×3, first 2 shown]
	v_fmac_f32_e32 v21, v25, v44
	global_load_dword v30, v[36:37], off
	global_load_dword v38, v[36:37], off offset:256
	global_load_dword v39, v[36:37], off offset:512
	;; [unrolled: 1-line block ×6, first 2 shown]
	s_nop 0
	global_load_dword v36, v[36:37], off offset:1792
	v_cndmask_b32_e64 v37, v16, v18, s[4:5]
	s_waitcnt vmcnt(11) lgkmcnt(0)
	v_fmac_f32_e32 v21, v26, v40
	s_waitcnt vmcnt(10)
	v_fmac_f32_e32 v21, v27, v41
	s_waitcnt vmcnt(9)
	;; [unrolled: 2-line block ×3, first 2 shown]
	v_fmac_f32_e32 v21, v29, v43
	ds_read_b128 v[22:25], v10 offset:64
	ds_read_b128 v[26:29], v10 offset:80
	v_lshlrev_b32_e32 v37, 2, v37
	v_cmp_lt_i32_e64 s[4:5], v19, v17
	s_waitcnt vmcnt(7) lgkmcnt(1)
	v_fmac_f32_e32 v21, v22, v30
	s_waitcnt vmcnt(6)
	v_fmac_f32_e32 v21, v23, v38
	s_waitcnt vmcnt(5)
	;; [unrolled: 2-line block ×3, first 2 shown]
	v_fmac_f32_e32 v21, v25, v44
	s_waitcnt vmcnt(3) lgkmcnt(0)
	v_fmac_f32_e32 v21, v26, v45
	s_waitcnt vmcnt(2)
	v_fmac_f32_e32 v21, v27, v46
	s_waitcnt vmcnt(1)
	;; [unrolled: 2-line block ×3, first 2 shown]
	v_fmac_f32_e32 v21, v29, v36
	ds_bpermute_b32 v22, v37, v21
	v_cndmask_b32_e64 v23, v16, v19, s[4:5]
	v_lshlrev_b32_e32 v23, 2, v23
	s_waitcnt lgkmcnt(0)
	v_add_f32_e32 v21, v21, v22
	ds_bpermute_b32 v22, v23, v21
	s_and_saveexec_b64 s[38:39], vcc
	s_cbranch_execz .LBB21_11
; %bb.19:                               ;   in Loop: Header=BB21_13 Depth=1
	v_add_u32_e32 v23, v13, v12
	v_cvt_f32_i32_e32 v23, v23
	s_waitcnt lgkmcnt(0)
	v_add_f32_e32 v21, v21, v22
	v_add_u32_e32 v24, v6, v12
	v_cmp_gt_i32_e64 s[4:5], s33, v24
	v_mul_f32_e32 v22, s42, v23
	v_cndmask_b32_e64 v22, 0, v22, s[2:3]
	v_fmac_f32_e32 v22, s31, v21
	v_cndmask_b32_e64 v21, 0, v22, s[4:5]
	ds_write_b32 v14, v21
	v_max_f32_e32 v21, v9, v9
	v_max_f32_e32 v21, v21, v22
	v_cndmask_b32_e64 v9, v9, v21, s[4:5]
	s_branch .LBB21_11
.LBB21_20:
	s_or_b64 exec, exec, s[36:37]
.LBB21_21:
	s_or_b64 exec, exec, s[34:35]
	v_mbcnt_hi_u32_b32 v1, -1, v5
	v_and_b32_e32 v11, 64, v1
	v_add_u32_e32 v2, 64, v11
	v_xor_b32_e32 v5, 32, v1
	v_cmp_lt_i32_e32 vcc, v5, v2
	v_cndmask_b32_e32 v5, v1, v5, vcc
	v_lshlrev_b32_e32 v5, 2, v5
	ds_bpermute_b32 v6, v5, v9
	v_xor_b32_e32 v8, 16, v1
	v_max_f32_e32 v7, v9, v9
	v_cmp_lt_i32_e32 vcc, v8, v2
	v_xor_b32_e32 v9, 8, v1
	s_waitcnt lgkmcnt(0)
	v_max_f32_e32 v6, v6, v6
	v_max_f32_e32 v7, v7, v6
	v_cndmask_b32_e32 v6, v1, v8, vcc
	v_lshlrev_b32_e32 v6, 2, v6
	ds_bpermute_b32 v8, v6, v7
	v_cmp_lt_i32_e32 vcc, v9, v2
	v_xor_b32_e32 v10, 4, v1
	v_and_b32_e32 v36, 63, v0
	s_waitcnt lgkmcnt(0)
	v_max_f32_e32 v8, v8, v8
	v_max_f32_e32 v7, v7, v8
	v_cndmask_b32_e32 v8, v1, v9, vcc
	v_lshlrev_b32_e32 v9, 2, v8
	ds_bpermute_b32 v8, v9, v7
	v_cmp_lt_i32_e32 vcc, v10, v2
	s_waitcnt lgkmcnt(0)
	v_max_f32_e32 v8, v8, v8
	v_max_f32_e32 v8, v7, v8
	v_cndmask_b32_e32 v7, v1, v10, vcc
	v_lshlrev_b32_e32 v10, 2, v7
	ds_bpermute_b32 v12, v10, v8
	v_cmp_eq_u32_e32 vcc, 0, v36
	v_lshlrev_b32_e32 v7, 2, v34
	s_and_saveexec_b64 s[2:3], vcc
	s_cbranch_execz .LBB21_23
; %bb.22:
	s_waitcnt lgkmcnt(0)
	v_max_f32_e32 v12, v12, v12
	v_max_f32_e32 v8, v8, v8
	;; [unrolled: 1-line block ×3, first 2 shown]
	ds_write_b32 v7, v8 offset:384
.LBB21_23:
	s_or_b64 exec, exec, s[2:3]
	v_cmp_gt_u32_e64 s[2:3], 2, v36
	s_waitcnt lgkmcnt(0)
	v_mov_b32_e32 v12, 0xff7fffff
	v_lshlrev_b32_e32 v8, 2, v36
	s_barrier
	s_and_saveexec_b64 s[4:5], s[2:3]
; %bb.24:
	ds_read_b32 v12, v8 offset:384
; %bb.25:
	s_or_b64 exec, exec, s[4:5]
	v_xor_b32_e32 v13, 1, v1
	v_cmp_lt_i32_e64 s[4:5], v13, v2
	v_cndmask_b32_e64 v13, v1, v13, s[4:5]
	v_lshlrev_b32_e32 v37, 2, v13
	s_waitcnt lgkmcnt(0)
	ds_bpermute_b32 v13, v37, v12
	v_max_f32_e32 v12, v12, v12
	v_lshlrev_b32_e32 v11, 2, v11
	s_lshl_b32 s4, s16, 4
	s_min_i32 s15, s4, s33
	s_waitcnt lgkmcnt(0)
	v_max_f32_e32 v13, v13, v13
	v_max_f32_e32 v12, v12, v13
	ds_bpermute_b32 v12, v11, v12
	v_cmp_gt_i32_e64 s[4:5], s15, v0
	v_mov_b32_e32 v11, 0
	s_and_saveexec_b64 s[30:31], s[4:5]
	s_cbranch_execz .LBB21_29
; %bb.26:
	v_mov_b32_e32 v11, 0x190
	v_lshl_add_u32 v13, v0, 2, v11
	v_mov_b32_e32 v11, 0
	s_mov_b64 s[34:35], 0
	v_mov_b32_e32 v14, v0
.LBB21_27:                              ; =>This Inner Loop Header: Depth=1
	ds_read_b32 v15, v13
	v_add_u32_e32 v14, 0x80, v14
	v_cmp_le_i32_e64 s[6:7], s15, v14
	s_or_b64 s[34:35], s[6:7], s[34:35]
	s_waitcnt lgkmcnt(0)
	v_sub_f32_e32 v15, v15, v12
	v_mul_f32_e32 v15, 0x3fb8aa3b, v15
	v_exp_f32_e32 v15, v15
	ds_write_b32 v13, v15
	v_add_f32_e32 v11, v11, v15
	v_add_u32_e32 v13, 0x200, v13
	s_andn2_b64 exec, exec, s[34:35]
	s_cbranch_execnz .LBB21_27
; %bb.28:
	s_or_b64 exec, exec, s[34:35]
.LBB21_29:
	s_or_b64 exec, exec, s[30:31]
	ds_bpermute_b32 v5, v5, v11
	s_waitcnt lgkmcnt(0)
	v_add_f32_e32 v5, v11, v5
	ds_bpermute_b32 v6, v6, v5
	s_waitcnt lgkmcnt(0)
	v_add_f32_e32 v5, v5, v6
	ds_bpermute_b32 v6, v9, v5
	v_xor_b32_e32 v9, 2, v1
	v_cmp_lt_i32_e64 s[6:7], v9, v2
	v_cndmask_b32_e64 v2, v1, v9, s[6:7]
	v_lshlrev_b32_e32 v38, 2, v2
	s_waitcnt lgkmcnt(0)
	v_add_f32_e32 v5, v5, v6
	ds_bpermute_b32 v6, v10, v5
	s_waitcnt lgkmcnt(0)
	v_add_f32_e32 v5, v5, v6
	ds_bpermute_b32 v2, v38, v5
	;; [unrolled: 3-line block ×3, first 2 shown]
	s_waitcnt lgkmcnt(0)
	v_add_f32_e32 v2, v2, v5
	s_and_saveexec_b64 s[6:7], vcc
; %bb.30:
	ds_write_b32 v7, v2 offset:392
; %bb.31:
	s_or_b64 exec, exec, s[6:7]
	s_waitcnt lgkmcnt(0)
	s_barrier
	s_and_saveexec_b64 s[6:7], s[2:3]
; %bb.32:
	ds_read_b32 v2, v8 offset:392
; %bb.33:
	s_or_b64 exec, exec, s[6:7]
	s_waitcnt lgkmcnt(0)
	ds_bpermute_b32 v5, v37, v2
	v_lshlrev_b32_e32 v1, 2, v1
	v_and_b32_e32 v1, 0x100, v1
	s_waitcnt lgkmcnt(0)
	v_add_f32_e32 v2, v2, v5
	ds_bpermute_b32 v1, v1, v2
	s_and_saveexec_b64 s[2:3], s[4:5]
	s_cbranch_execz .LBB21_36
; %bb.34:
	s_waitcnt lgkmcnt(0)
	v_add_f32_e32 v2, 0x358637bd, v1
	v_div_scale_f32 v1, s[4:5], v2, v2, 1.0
	v_div_scale_f32 v5, vcc, 1.0, v2, 1.0
	s_mov_b64 s[4:5], 0
	v_rcp_f32_e32 v6, v1
	v_fma_f32 v7, -v1, v6, 1.0
	v_fmac_f32_e32 v6, v7, v6
	v_mul_f32_e32 v7, v5, v6
	v_fma_f32 v8, -v1, v7, v5
	v_fmac_f32_e32 v7, v8, v6
	v_fma_f32 v1, -v1, v7, v5
	v_div_fmas_f32 v5, v1, v6, v7
	v_mov_b32_e32 v1, 0x190
	v_lshl_add_u32 v1, v0, 2, v1
	v_div_fixup_f32 v2, v5, v2, 1.0
	v_mov_b32_e32 v5, v0
.LBB21_35:                              ; =>This Inner Loop Header: Depth=1
	ds_read_b32 v6, v1
	v_add_u32_e32 v5, 0x80, v5
	v_cmp_le_i32_e32 vcc, s15, v5
	s_or_b64 s[4:5], vcc, s[4:5]
	s_waitcnt lgkmcnt(0)
	v_mul_f32_e32 v6, v2, v6
	ds_write_b32 v1, v6
	v_add_u32_e32 v1, 0x200, v1
	s_andn2_b64 exec, exec, s[4:5]
	s_cbranch_execnz .LBB21_35
.LBB21_36:
	s_or_b64 exec, exec, s[2:3]
	v_mov_b32_e32 v44, 0
	v_mov_b32_e32 v43, 0
	;; [unrolled: 1-line block ×6, first 2 shown]
	s_waitcnt lgkmcnt(0)
	s_barrier
	s_and_saveexec_b64 s[2:3], s[0:1]
	s_cbranch_execz .LBB21_54
; %bb.37:
	s_ashr_i32 s15, s14, 31
	s_sub_i32 s17, s12, s17
	s_lshl_b64 s[0:1], s[14:15], 2
	s_add_u32 s0, s28, s0
	s_addc_u32 s1, s29, s1
	s_abs_i32 s14, s18
	v_cvt_f32_u32_e32 v1, s14
	s_sub_i32 s4, 0, s14
	v_and_b32_e32 v45, 12, v3
	v_and_b32_e32 v3, 60, v4
	v_rcp_iflag_f32_e32 v1, v1
	v_lshlrev_b32_e32 v2, 4, v0
	v_and_b32_e32 v2, 0x3f0, v2
	s_add_i32 s18, s16, -1
	v_mul_f32_e32 v1, 0x4f7ffffe, v1
	v_cvt_u32_f32_e32 v1, v1
	v_mov_b32_e32 v5, s1
	v_add_co_u32_e32 v46, vcc, s0, v2
	v_mul_lo_u32 v4, s4, v1
	s_lshl_b64 s[0:1], s[26:27], 2
	s_add_u32 s0, s24, s0
	v_addc_co_u32_e32 v47, vcc, 0, v5, vcc
	v_mul_hi_u32 v4, v1, v4
	s_addc_u32 s1, s25, s1
	v_add_co_u32_e32 v29, vcc, s0, v3
	v_add_u32_e32 v48, v1, v4
	v_mov_b32_e32 v1, s1
	v_addc_co_u32_e32 v30, vcc, 0, v1, vcc
	v_lshlrev_b32_e32 v1, 4, v33
	v_lshl_or_b32 v1, v34, 6, v1
	s_mov_b32 s15, s13
	v_mov_b32_e32 v39, 0
	v_add_u32_e32 v49, 0x190, v1
	s_mov_b64 s[4:5], 0
	v_mov_b32_e32 v40, 0
	v_mov_b32_e32 v41, 0
	;; [unrolled: 1-line block ×5, first 2 shown]
	s_branch .LBB21_40
.LBB21_38:                              ;   in Loop: Header=BB21_40 Depth=1
	s_or_b64 exec, exec, s[12:13]
	s_waitcnt vmcnt(1) lgkmcnt(0)
	v_mul_f32_e32 v25, v1, v25
	v_mul_f32_e32 v17, v1, v17
	;; [unrolled: 1-line block ×5, first 2 shown]
	s_waitcnt vmcnt(0)
	v_mul_f32_e32 v1, v1, v21
	v_fmac_f32_e32 v25, v2, v26
	v_fmac_f32_e32 v17, v2, v18
	;; [unrolled: 1-line block ×18, first 2 shown]
	v_add_f32_e32 v40, v40, v25
	v_add_f32_e32 v41, v41, v17
	;; [unrolled: 1-line block ×6, first 2 shown]
.LBB21_39:                              ;   in Loop: Header=BB21_40 Depth=1
	s_or_b64 exec, exec, s[6:7]
	v_add_co_u32_e32 v29, vcc, 8, v29
	v_add_u32_e32 v34, 2, v34
	v_addc_co_u32_e32 v30, vcc, 0, v30, vcc
	v_cmp_le_i32_e32 vcc, s16, v34
	v_add_u32_e32 v35, 32, v35
	s_or_b64 s[4:5], vcc, s[4:5]
	v_add_u32_e32 v49, 0x80, v49
	s_andn2_b64 exec, exec, s[4:5]
	s_cbranch_execz .LBB21_53
.LBB21_40:                              ; =>This Inner Loop Header: Depth=1
	v_mul_hi_u32 v1, v35, s40
	v_mul_lo_u32 v2, v1, s21
	v_add_u32_e32 v3, 1, v1
	v_sub_u32_e32 v2, v35, v2
	v_cmp_le_u32_e32 vcc, s21, v2
	v_cndmask_b32_e32 v1, v1, v3, vcc
	v_subrev_u32_e32 v3, s21, v2
	v_cndmask_b32_e32 v2, v2, v3, vcc
	v_add_u32_e32 v3, 1, v1
	v_cmp_le_u32_e32 vcc, s21, v2
	v_cndmask_b32_e32 v1, v1, v3, vcc
	v_xor_b32_e32 v1, s19, v1
	v_subrev_u32_e32 v1, s19, v1
	v_add_u32_e32 v2, s41, v1
	v_sub_u32_e32 v3, 0, v2
	v_max_i32_e32 v3, v2, v3
	v_mul_hi_u32 v4, v3, v48
	v_ashrrev_i32_e32 v2, 31, v2
	v_cmp_lt_i32_e64 s[0:1], s17, v1
	v_mul_lo_u32 v4, v4, s14
	v_sub_u32_e32 v3, v3, v4
	v_subrev_u32_e32 v4, s14, v3
	v_cmp_le_u32_e32 vcc, s14, v3
	v_cndmask_b32_e32 v3, v3, v4, vcc
	v_subrev_u32_e32 v4, s14, v3
	v_cmp_le_u32_e32 vcc, s14, v3
	v_cndmask_b32_e32 v3, v3, v4, vcc
	v_xor_b32_e32 v3, v3, v2
	v_sub_u32_e32 v2, v3, v2
	v_cmp_eq_u32_e32 vcc, 0, v2
	s_or_b64 s[0:1], vcc, s[0:1]
	s_and_saveexec_b64 s[6:7], s[0:1]
	s_cbranch_execz .LBB21_39
; %bb.41:                               ;   in Loop: Header=BB21_40 Depth=1
	global_load_dword v1, v[29:30], off
	v_add_u32_e32 v50, v45, v35
	v_add_u32_e32 v53, 1, v50
	;; [unrolled: 1-line block ×4, first 2 shown]
	s_waitcnt vmcnt(0)
	v_mad_i64_i32 v[1:2], s[0:1], v1, s15, 0
	v_cmp_eq_u32_e64 s[0:1], s18, v34
	v_lshlrev_b64 v[1:2], 2, v[1:2]
	v_add_co_u32_e32 v21, vcc, v46, v1
	v_addc_co_u32_e32 v22, vcc, v47, v2, vcc
	global_load_dwordx4 v[5:8], v[21:22], off
	ds_read_b128 v[1:4], v49
	s_and_saveexec_b64 s[12:13], s[0:1]
	s_cbranch_execnz .LBB21_50
; %bb.42:                               ;   in Loop: Header=BB21_40 Depth=1
	s_or_b64 exec, exec, s[12:13]
	global_load_dwordx4 v[9:12], v[21:22], off offset:1024
	s_and_saveexec_b64 s[12:13], s[0:1]
	s_cbranch_execnz .LBB21_51
.LBB21_43:                              ;   in Loop: Header=BB21_40 Depth=1
	s_or_b64 exec, exec, s[12:13]
	global_load_dwordx4 v[13:16], v[21:22], off offset:2048
	s_and_saveexec_b64 s[12:13], s[0:1]
	s_cbranch_execnz .LBB21_52
.LBB21_44:                              ;   in Loop: Header=BB21_40 Depth=1
	s_or_b64 exec, exec, s[12:13]
	global_load_dwordx4 v[17:20], v[21:22], off offset:3072
	s_and_saveexec_b64 s[12:13], s[0:1]
	s_cbranch_execz .LBB21_46
.LBB21_45:                              ;   in Loop: Header=BB21_40 Depth=1
	v_cmp_gt_i32_e32 vcc, s33, v50
	s_waitcnt vmcnt(0)
	v_cndmask_b32_e32 v17, 0, v17, vcc
	v_cmp_gt_i32_e32 vcc, s33, v53
	v_cndmask_b32_e32 v18, 0, v18, vcc
	v_cmp_gt_i32_e32 vcc, s33, v52
	;; [unrolled: 2-line block ×3, first 2 shown]
	v_cndmask_b32_e32 v20, 0, v20, vcc
.LBB21_46:                              ;   in Loop: Header=BB21_40 Depth=1
	s_or_b64 exec, exec, s[12:13]
	v_add_co_u32_e32 v23, vcc, 0x1000, v21
	v_addc_co_u32_e32 v24, vcc, 0, v22, vcc
	global_load_dwordx4 v[25:28], v[23:24], off
	s_and_saveexec_b64 s[12:13], s[0:1]
	s_cbranch_execz .LBB21_48
; %bb.47:                               ;   in Loop: Header=BB21_40 Depth=1
	v_cmp_gt_i32_e32 vcc, s33, v50
	s_waitcnt vmcnt(0)
	v_cndmask_b32_e32 v25, 0, v25, vcc
	v_cmp_gt_i32_e32 vcc, s33, v53
	v_cndmask_b32_e32 v26, 0, v26, vcc
	v_cmp_gt_i32_e32 vcc, s33, v52
	;; [unrolled: 2-line block ×3, first 2 shown]
	v_cndmask_b32_e32 v28, 0, v28, vcc
.LBB21_48:                              ;   in Loop: Header=BB21_40 Depth=1
	s_or_b64 exec, exec, s[12:13]
	v_add_co_u32_e32 v21, vcc, 0x1000, v21
	v_addc_co_u32_e32 v22, vcc, 0, v22, vcc
	global_load_dwordx4 v[21:24], v[21:22], off offset:1024
	s_and_saveexec_b64 s[12:13], s[0:1]
	s_cbranch_execz .LBB21_38
; %bb.49:                               ;   in Loop: Header=BB21_40 Depth=1
	v_cmp_gt_i32_e32 vcc, s33, v50
	s_waitcnt vmcnt(0)
	v_cndmask_b32_e32 v21, 0, v21, vcc
	v_cmp_gt_i32_e32 vcc, s33, v53
	v_cndmask_b32_e32 v22, 0, v22, vcc
	v_cmp_gt_i32_e32 vcc, s33, v52
	;; [unrolled: 2-line block ×3, first 2 shown]
	v_cndmask_b32_e32 v24, 0, v24, vcc
	s_branch .LBB21_38
.LBB21_50:                              ;   in Loop: Header=BB21_40 Depth=1
	v_cmp_gt_i32_e32 vcc, s33, v50
	s_waitcnt vmcnt(0)
	v_cndmask_b32_e32 v5, 0, v5, vcc
	v_cmp_gt_i32_e32 vcc, s33, v53
	v_cndmask_b32_e32 v6, 0, v6, vcc
	v_cmp_gt_i32_e32 vcc, s33, v52
	;; [unrolled: 2-line block ×3, first 2 shown]
	v_cndmask_b32_e32 v8, 0, v8, vcc
	s_or_b64 exec, exec, s[12:13]
	global_load_dwordx4 v[9:12], v[21:22], off offset:1024
	s_and_saveexec_b64 s[12:13], s[0:1]
	s_cbranch_execz .LBB21_43
.LBB21_51:                              ;   in Loop: Header=BB21_40 Depth=1
	v_cmp_gt_i32_e32 vcc, s33, v50
	s_waitcnt vmcnt(0)
	v_cndmask_b32_e32 v9, 0, v9, vcc
	v_cmp_gt_i32_e32 vcc, s33, v53
	v_cndmask_b32_e32 v10, 0, v10, vcc
	v_cmp_gt_i32_e32 vcc, s33, v52
	;; [unrolled: 2-line block ×3, first 2 shown]
	v_cndmask_b32_e32 v12, 0, v12, vcc
	s_or_b64 exec, exec, s[12:13]
	global_load_dwordx4 v[13:16], v[21:22], off offset:2048
	s_and_saveexec_b64 s[12:13], s[0:1]
	s_cbranch_execz .LBB21_44
.LBB21_52:                              ;   in Loop: Header=BB21_40 Depth=1
	v_cmp_gt_i32_e32 vcc, s33, v50
	s_waitcnt vmcnt(0)
	v_cndmask_b32_e32 v13, 0, v13, vcc
	v_cmp_gt_i32_e32 vcc, s33, v53
	v_cndmask_b32_e32 v14, 0, v14, vcc
	v_cmp_gt_i32_e32 vcc, s33, v52
	;; [unrolled: 2-line block ×3, first 2 shown]
	v_cndmask_b32_e32 v16, 0, v16, vcc
	s_or_b64 exec, exec, s[12:13]
	global_load_dwordx4 v[17:20], v[21:22], off offset:3072
	s_and_saveexec_b64 s[12:13], s[0:1]
	s_cbranch_execnz .LBB21_45
	s_branch .LBB21_46
.LBB21_53:
	s_or_b64 exec, exec, s[4:5]
.LBB21_54:
	s_or_b64 exec, exec, s[2:3]
	ds_bpermute_b32 v1, v38, v44
	ds_bpermute_b32 v2, v38, v43
	;; [unrolled: 1-line block ×5, first 2 shown]
	s_waitcnt lgkmcnt(4)
	v_add_f32_e32 v1, v44, v1
	ds_bpermute_b32 v6, v37, v1
	s_waitcnt lgkmcnt(4)
	v_add_f32_e32 v2, v43, v2
	s_waitcnt lgkmcnt(3)
	v_add_f32_e32 v3, v42, v3
	ds_bpermute_b32 v7, v37, v2
	s_waitcnt lgkmcnt(3)
	v_add_f32_e32 v4, v41, v4
	s_waitcnt lgkmcnt(1)
	v_add_f32_e32 v1, v1, v6
	ds_bpermute_b32 v6, v38, v39
	v_add_f32_e32 v5, v40, v5
	ds_bpermute_b32 v8, v37, v3
	ds_bpermute_b32 v9, v37, v4
	;; [unrolled: 1-line block ×3, first 2 shown]
	s_waitcnt lgkmcnt(3)
	v_add_f32_e32 v6, v39, v6
	ds_bpermute_b32 v11, v37, v6
	v_add_f32_e32 v2, v2, v7
	v_and_b32_e32 v7, 0x3c3, v0
	s_waitcnt lgkmcnt(3)
	v_add_f32_e32 v3, v3, v8
	s_waitcnt lgkmcnt(2)
	v_add_f32_e32 v4, v4, v9
	;; [unrolled: 2-line block ×4, first 2 shown]
	v_cmp_eq_u32_e32 vcc, 64, v7
	s_barrier
	s_and_saveexec_b64 s[0:1], vcc
	s_cbranch_execz .LBB21_56
; %bb.55:
	v_add_u32_e32 v8, 0x190, v36
	ds_write2_b32 v8, v1, v2 offset1:16
	ds_write2_b32 v8, v3, v4 offset0:32 offset1:48
	ds_write2_b32 v8, v5, v6 offset0:64 offset1:80
.LBB21_56:
	s_or_b64 exec, exec, s[0:1]
	v_cmp_gt_u32_e32 vcc, 64, v0
	s_waitcnt lgkmcnt(0)
	s_barrier
	s_and_saveexec_b64 s[0:1], vcc
	s_cbranch_execz .LBB21_65
; %bb.57:
	v_mov_b32_e32 v0, 0x190
	v_cmp_eq_u32_e32 vcc, 0, v33
	v_lshl_add_u32 v0, v32, 2, v0
	s_and_saveexec_b64 s[2:3], vcc
	s_cbranch_execnz .LBB21_68
; %bb.58:
	s_or_b64 exec, exec, s[2:3]
	s_and_saveexec_b64 s[2:3], vcc
	s_cbranch_execnz .LBB21_69
.LBB21_59:
	s_or_b64 exec, exec, s[2:3]
	s_and_saveexec_b64 s[2:3], vcc
	s_cbranch_execnz .LBB21_70
.LBB21_60:
	s_or_b64 exec, exec, s[2:3]
	s_and_saveexec_b64 s[2:3], vcc
	s_cbranch_execnz .LBB21_71
.LBB21_61:
	s_or_b64 exec, exec, s[2:3]
	s_and_saveexec_b64 s[2:3], vcc
	s_cbranch_execnz .LBB21_72
.LBB21_62:
	s_or_b64 exec, exec, s[2:3]
	s_and_saveexec_b64 s[2:3], vcc
	s_cbranch_execz .LBB21_64
.LBB21_63:
	ds_read_b32 v0, v0 offset:320
	s_waitcnt lgkmcnt(0)
	v_add_f32_e32 v6, v6, v0
.LBB21_64:
	s_or_b64 exec, exec, s[2:3]
.LBB21_65:
	s_or_b64 exec, exec, s[0:1]
	v_cmp_eq_u32_e32 vcc, 0, v7
	s_barrier
	s_and_saveexec_b64 s[0:1], vcc
	s_cbranch_execz .LBB21_67
; %bb.66:
	s_mul_i32 s0, s10, s11
	s_mul_i32 s0, s0, s9
	s_mulk_i32 s0, 0x60
	s_ashr_i32 s1, s0, 31
	s_lshl_b64 s[0:1], s[0:1], 2
	s_add_u32 s2, s22, s0
	s_mul_i32 s0, s11, s20
	s_addc_u32 s3, s23, s1
	s_ashr_i32 s1, s0, 31
	s_lshl_b64 s[0:1], s[0:1], 2
	s_add_u32 s2, s2, s0
	s_mul_i32 s0, s8, 0x60
	s_addc_u32 s3, s3, s1
	s_ashr_i32 s1, s0, 31
	s_lshl_b64 s[0:1], s[0:1], 2
	s_add_u32 s0, s2, s0
	s_addc_u32 s1, s3, s1
	global_store_dword v31, v1, s[0:1]
	global_store_dword v31, v2, s[0:1] offset:64
	global_store_dword v31, v3, s[0:1] offset:128
	global_store_dword v31, v4, s[0:1] offset:192
	global_store_dword v31, v5, s[0:1] offset:256
	global_store_dword v31, v6, s[0:1] offset:320
.LBB21_67:
	s_endpgm
.LBB21_68:
	ds_read_b32 v8, v0
	s_waitcnt lgkmcnt(0)
	v_add_f32_e32 v1, v1, v8
	s_or_b64 exec, exec, s[2:3]
	s_and_saveexec_b64 s[2:3], vcc
	s_cbranch_execz .LBB21_59
.LBB21_69:
	ds_read_b32 v8, v0 offset:64
	s_waitcnt lgkmcnt(0)
	v_add_f32_e32 v2, v2, v8
	s_or_b64 exec, exec, s[2:3]
	s_and_saveexec_b64 s[2:3], vcc
	s_cbranch_execz .LBB21_60
.LBB21_70:
	ds_read_b32 v8, v0 offset:128
	s_waitcnt lgkmcnt(0)
	v_add_f32_e32 v3, v3, v8
	s_or_b64 exec, exec, s[2:3]
	s_and_saveexec_b64 s[2:3], vcc
	s_cbranch_execz .LBB21_61
.LBB21_71:
	ds_read_b32 v8, v0 offset:192
	s_waitcnt lgkmcnt(0)
	v_add_f32_e32 v4, v4, v8
	s_or_b64 exec, exec, s[2:3]
	s_and_saveexec_b64 s[2:3], vcc
	s_cbranch_execz .LBB21_62
.LBB21_72:
	ds_read_b32 v8, v0 offset:256
	s_waitcnt lgkmcnt(0)
	v_add_f32_e32 v5, v5, v8
	s_or_b64 exec, exec, s[2:3]
	s_and_saveexec_b64 s[2:3], vcc
	s_cbranch_execnz .LBB21_63
	s_branch .LBB21_64
	.section	.rodata,"a",@progbits
	.p2align	6, 0x0
	.amdhsa_kernel _ZN4vllm25paged_attention_v1_kernelIffLi96ELi16ELi128ELNS_18Fp8KVCacheDataTypeE0ELb1EEEvPT_PKS2_PKT0_S8_ifPKiSA_iPKfiiiSC_SC_iiiii
		.amdhsa_group_segment_fixed_size 400
		.amdhsa_private_segment_fixed_size 0
		.amdhsa_kernarg_size 384
		.amdhsa_user_sgpr_count 6
		.amdhsa_user_sgpr_private_segment_buffer 1
		.amdhsa_user_sgpr_dispatch_ptr 0
		.amdhsa_user_sgpr_queue_ptr 0
		.amdhsa_user_sgpr_kernarg_segment_ptr 1
		.amdhsa_user_sgpr_dispatch_id 0
		.amdhsa_user_sgpr_flat_scratch_init 0
		.amdhsa_user_sgpr_private_segment_size 0
		.amdhsa_uses_dynamic_stack 0
		.amdhsa_system_sgpr_private_segment_wavefront_offset 0
		.amdhsa_system_sgpr_workgroup_id_x 1
		.amdhsa_system_sgpr_workgroup_id_y 1
		.amdhsa_system_sgpr_workgroup_id_z 1
		.amdhsa_system_sgpr_workgroup_info 0
		.amdhsa_system_vgpr_workitem_id 0
		.amdhsa_next_free_vgpr 54
		.amdhsa_next_free_sgpr 45
		.amdhsa_reserve_vcc 1
		.amdhsa_reserve_flat_scratch 0
		.amdhsa_float_round_mode_32 0
		.amdhsa_float_round_mode_16_64 0
		.amdhsa_float_denorm_mode_32 3
		.amdhsa_float_denorm_mode_16_64 3
		.amdhsa_dx10_clamp 1
		.amdhsa_ieee_mode 1
		.amdhsa_fp16_overflow 0
		.amdhsa_exception_fp_ieee_invalid_op 0
		.amdhsa_exception_fp_denorm_src 0
		.amdhsa_exception_fp_ieee_div_zero 0
		.amdhsa_exception_fp_ieee_overflow 0
		.amdhsa_exception_fp_ieee_underflow 0
		.amdhsa_exception_fp_ieee_inexact 0
		.amdhsa_exception_int_div_zero 0
	.end_amdhsa_kernel
	.section	.text._ZN4vllm25paged_attention_v1_kernelIffLi96ELi16ELi128ELNS_18Fp8KVCacheDataTypeE0ELb1EEEvPT_PKS2_PKT0_S8_ifPKiSA_iPKfiiiSC_SC_iiiii,"axG",@progbits,_ZN4vllm25paged_attention_v1_kernelIffLi96ELi16ELi128ELNS_18Fp8KVCacheDataTypeE0ELb1EEEvPT_PKS2_PKT0_S8_ifPKiSA_iPKfiiiSC_SC_iiiii,comdat
.Lfunc_end21:
	.size	_ZN4vllm25paged_attention_v1_kernelIffLi96ELi16ELi128ELNS_18Fp8KVCacheDataTypeE0ELb1EEEvPT_PKS2_PKT0_S8_ifPKiSA_iPKfiiiSC_SC_iiiii, .Lfunc_end21-_ZN4vllm25paged_attention_v1_kernelIffLi96ELi16ELi128ELNS_18Fp8KVCacheDataTypeE0ELb1EEEvPT_PKS2_PKT0_S8_ifPKiSA_iPKfiiiSC_SC_iiiii
                                        ; -- End function
	.set _ZN4vllm25paged_attention_v1_kernelIffLi96ELi16ELi128ELNS_18Fp8KVCacheDataTypeE0ELb1EEEvPT_PKS2_PKT0_S8_ifPKiSA_iPKfiiiSC_SC_iiiii.num_vgpr, 54
	.set _ZN4vllm25paged_attention_v1_kernelIffLi96ELi16ELi128ELNS_18Fp8KVCacheDataTypeE0ELb1EEEvPT_PKS2_PKT0_S8_ifPKiSA_iPKfiiiSC_SC_iiiii.num_agpr, 0
	.set _ZN4vllm25paged_attention_v1_kernelIffLi96ELi16ELi128ELNS_18Fp8KVCacheDataTypeE0ELb1EEEvPT_PKS2_PKT0_S8_ifPKiSA_iPKfiiiSC_SC_iiiii.numbered_sgpr, 45
	.set _ZN4vllm25paged_attention_v1_kernelIffLi96ELi16ELi128ELNS_18Fp8KVCacheDataTypeE0ELb1EEEvPT_PKS2_PKT0_S8_ifPKiSA_iPKfiiiSC_SC_iiiii.num_named_barrier, 0
	.set _ZN4vllm25paged_attention_v1_kernelIffLi96ELi16ELi128ELNS_18Fp8KVCacheDataTypeE0ELb1EEEvPT_PKS2_PKT0_S8_ifPKiSA_iPKfiiiSC_SC_iiiii.private_seg_size, 0
	.set _ZN4vllm25paged_attention_v1_kernelIffLi96ELi16ELi128ELNS_18Fp8KVCacheDataTypeE0ELb1EEEvPT_PKS2_PKT0_S8_ifPKiSA_iPKfiiiSC_SC_iiiii.uses_vcc, 1
	.set _ZN4vllm25paged_attention_v1_kernelIffLi96ELi16ELi128ELNS_18Fp8KVCacheDataTypeE0ELb1EEEvPT_PKS2_PKT0_S8_ifPKiSA_iPKfiiiSC_SC_iiiii.uses_flat_scratch, 0
	.set _ZN4vllm25paged_attention_v1_kernelIffLi96ELi16ELi128ELNS_18Fp8KVCacheDataTypeE0ELb1EEEvPT_PKS2_PKT0_S8_ifPKiSA_iPKfiiiSC_SC_iiiii.has_dyn_sized_stack, 0
	.set _ZN4vllm25paged_attention_v1_kernelIffLi96ELi16ELi128ELNS_18Fp8KVCacheDataTypeE0ELb1EEEvPT_PKS2_PKT0_S8_ifPKiSA_iPKfiiiSC_SC_iiiii.has_recursion, 0
	.set _ZN4vllm25paged_attention_v1_kernelIffLi96ELi16ELi128ELNS_18Fp8KVCacheDataTypeE0ELb1EEEvPT_PKS2_PKT0_S8_ifPKiSA_iPKfiiiSC_SC_iiiii.has_indirect_call, 0
	.section	.AMDGPU.csdata,"",@progbits
; Kernel info:
; codeLenInByte = 4528
; TotalNumSgprs: 49
; NumVgprs: 54
; ScratchSize: 0
; MemoryBound: 0
; FloatMode: 240
; IeeeMode: 1
; LDSByteSize: 400 bytes/workgroup (compile time only)
; SGPRBlocks: 6
; VGPRBlocks: 13
; NumSGPRsForWavesPerEU: 49
; NumVGPRsForWavesPerEU: 54
; Occupancy: 4
; WaveLimiterHint : 1
; COMPUTE_PGM_RSRC2:SCRATCH_EN: 0
; COMPUTE_PGM_RSRC2:USER_SGPR: 6
; COMPUTE_PGM_RSRC2:TRAP_HANDLER: 0
; COMPUTE_PGM_RSRC2:TGID_X_EN: 1
; COMPUTE_PGM_RSRC2:TGID_Y_EN: 1
; COMPUTE_PGM_RSRC2:TGID_Z_EN: 1
; COMPUTE_PGM_RSRC2:TIDIG_COMP_CNT: 0
	.section	.text._ZN4vllm25paged_attention_v1_kernelIffLi112ELi16ELi128ELNS_18Fp8KVCacheDataTypeE0ELb1EEEvPT_PKS2_PKT0_S8_ifPKiSA_iPKfiiiSC_SC_iiiii,"axG",@progbits,_ZN4vllm25paged_attention_v1_kernelIffLi112ELi16ELi128ELNS_18Fp8KVCacheDataTypeE0ELb1EEEvPT_PKS2_PKT0_S8_ifPKiSA_iPKfiiiSC_SC_iiiii,comdat
	.protected	_ZN4vllm25paged_attention_v1_kernelIffLi112ELi16ELi128ELNS_18Fp8KVCacheDataTypeE0ELb1EEEvPT_PKS2_PKT0_S8_ifPKiSA_iPKfiiiSC_SC_iiiii ; -- Begin function _ZN4vllm25paged_attention_v1_kernelIffLi112ELi16ELi128ELNS_18Fp8KVCacheDataTypeE0ELb1EEEvPT_PKS2_PKT0_S8_ifPKiSA_iPKfiiiSC_SC_iiiii
	.globl	_ZN4vllm25paged_attention_v1_kernelIffLi112ELi16ELi128ELNS_18Fp8KVCacheDataTypeE0ELb1EEEvPT_PKS2_PKT0_S8_ifPKiSA_iPKfiiiSC_SC_iiiii
	.p2align	8
	.type	_ZN4vllm25paged_attention_v1_kernelIffLi112ELi16ELi128ELNS_18Fp8KVCacheDataTypeE0ELb1EEEvPT_PKS2_PKT0_S8_ifPKiSA_iPKfiiiSC_SC_iiiii,@function
_ZN4vllm25paged_attention_v1_kernelIffLi112ELi16ELi128ELNS_18Fp8KVCacheDataTypeE0ELb1EEEvPT_PKS2_PKT0_S8_ifPKiSA_iPKfiiiSC_SC_iiiii: ; @_ZN4vllm25paged_attention_v1_kernelIffLi112ELi16ELi128ELNS_18Fp8KVCacheDataTypeE0ELb1EEEvPT_PKS2_PKT0_S8_ifPKiSA_iPKfiiiSC_SC_iiiii
; %bb.0:
	s_load_dword s9, s[4:5], 0x80
	s_load_dwordx2 s[0:1], s[4:5], 0x30
	s_load_dwordx2 s[30:31], s[4:5], 0x20
	s_mov_b32 s10, s7
	s_ashr_i32 s11, s7, 31
	s_lshl_b64 s[2:3], s[10:11], 2
	s_waitcnt lgkmcnt(0)
	s_add_u32 s0, s0, s2
	s_addc_u32 s1, s1, s3
	s_abs_i32 s2, s30
	v_cvt_f32_u32_e32 v1, s2
	s_sub_i32 s11, 0, s2
	s_abs_i32 s7, s9
	s_xor_b32 s3, s9, s30
	v_rcp_iflag_f32_e32 v1, v1
	s_ashr_i32 s3, s3, 31
	s_mov_b32 s42, 0
	v_mul_f32_e32 v1, 0x4f7ffffe, v1
	v_cvt_u32_f32_e32 v1, v1
	v_readfirstlane_b32 s12, v1
	s_mul_i32 s11, s11, s12
	s_mul_hi_u32 s11, s12, s11
	s_add_i32 s12, s12, s11
	s_mul_hi_u32 s11, s7, s12
	s_mul_i32 s12, s11, s2
	s_sub_i32 s7, s7, s12
	s_add_i32 s12, s11, 1
	s_sub_i32 s13, s7, s2
	s_cmp_ge_u32 s7, s2
	s_cselect_b32 s11, s12, s11
	s_cselect_b32 s7, s13, s7
	s_add_i32 s12, s11, 1
	s_cmp_ge_u32 s7, s2
	s_cselect_b32 s2, s12, s11
	s_xor_b32 s2, s2, s3
	s_sub_i32 s12, s2, s3
	s_abs_i32 s11, s12
	v_cvt_f32_u32_e32 v1, s11
	s_load_dwordx2 s[2:3], s[4:5], 0x40
	s_sub_i32 s7, 0, s11
	s_abs_i32 s22, s6
	v_rcp_iflag_f32_e32 v1, v1
	v_mul_f32_e32 v1, 0x4f7ffffe, v1
	v_cvt_u32_f32_e32 v1, v1
	v_readfirstlane_b32 s13, v1
	s_mul_i32 s7, s7, s13
	s_mul_hi_u32 s7, s13, s7
	s_add_i32 s13, s13, s7
	s_waitcnt lgkmcnt(0)
	s_cmp_eq_u64 s[2:3], 0
	s_mul_hi_u32 s23, s22, s13
	s_cbranch_scc1 .LBB22_2
; %bb.1:
	s_ashr_i32 s7, s6, 31
	s_lshl_b64 s[14:15], s[6:7], 2
	s_add_u32 s2, s2, s14
	s_addc_u32 s3, s3, s15
	s_load_dword s42, s[2:3], 0x0
.LBB22_2:
	s_load_dword s33, s[0:1], 0x0
	s_ashr_i32 s7, s12, 31
	s_load_dwordx4 s[12:15], s[4:5], 0x48
	v_lshrrev_b32_e32 v36, 2, v0
	s_movk_i32 s3, 0x70
	s_ashr_i32 s2, s6, 31
	v_and_b32_e32 v37, 3, v0
	s_mul_i32 s20, s6, 0x70
	v_cmp_gt_u32_e32 vcc, s3, v0
	v_lshlrev_b32_e32 v3, 2, v0
	v_lshlrev_b32_e32 v35, 2, v36
	s_and_saveexec_b64 s[0:1], vcc
	s_cbranch_execz .LBB22_4
; %bb.3:
	s_load_dwordx2 s[16:17], s[4:5], 0x8
	s_waitcnt lgkmcnt(0)
	s_mul_i32 s18, s12, s10
	s_ashr_i32 s19, s18, 31
	s_lshl_b64 s[18:19], s[18:19], 2
	v_mad_u32_u24 v2, v37, s3, v35
	s_add_u32 s12, s16, s18
	s_addc_u32 s15, s17, s19
	s_ashr_i32 s21, s20, 31
	s_lshl_b64 s[16:17], s[20:21], 2
	s_add_u32 s16, s12, s16
	s_addc_u32 s17, s15, s17
	global_load_dword v1, v3, s[16:17]
	s_waitcnt vmcnt(0)
	ds_write_b32 v2, v1
.LBB22_4:
	s_or_b64 exec, exec, s[0:1]
	s_mul_i32 s1, s23, s11
	s_sub_i32 s1, s22, s1
	s_xor_b32 s0, s2, s7
	s_add_i32 s2, s23, 1
	s_sub_i32 s7, s1, s11
	s_load_dwordx4 s[16:19], s[4:5], 0x68
	s_load_dword s3, s[4:5], 0x78
	s_cmp_ge_u32 s1, s11
	s_cselect_b32 s2, s2, s23
	s_cselect_b32 s1, s7, s1
	s_add_i32 s7, s2, 1
	s_cmp_ge_u32 s1, s11
	s_cselect_b32 s1, s7, s2
	s_waitcnt lgkmcnt(0)
	s_abs_i32 s21, s19
	v_cvt_f32_u32_e32 v1, s21
	s_xor_b32 s1, s1, s0
	s_sub_i32 s2, s1, s0
	s_sub_i32 s0, 0, s21
	v_rcp_iflag_f32_e32 v1, v1
	s_add_i32 s11, s33, -1
	s_abs_i32 s7, s11
	v_mul_f32_e32 v1, 0x4f7ffffe, v1
	v_cvt_u32_f32_e32 v1, v1
	s_barrier
	v_readfirstlane_b32 s40, v1
	s_mul_i32 s0, s0, s40
	s_mul_hi_u32 s0, s40, s0
	s_add_i32 s40, s40, s0
	s_cmp_lt_i32 s3, 0
	s_mul_hi_u32 s12, s7, s40
	s_cbranch_scc0 .LBB22_6
; %bb.5:
	s_mul_i32 s0, s16, s30
	s_add_i32 s0, s2, s0
	s_mul_i32 s0, s0, s3
	s_sub_i32 s41, 1, s0
	s_mov_b64 s[0:1], 0
	s_branch .LBB22_7
.LBB22_6:
	s_mov_b64 s[0:1], -1
                                        ; implicit-def: $sgpr41
.LBB22_7:
	s_load_dwordx2 s[24:25], s[4:5], 0x28
	s_ashr_i32 s15, s11, 31
	s_andn2_b64 vcc, exec, s[0:1]
	s_ashr_i32 s19, s19, 31
	s_cbranch_vccnz .LBB22_9
; %bb.8:
	s_mul_i32 s0, s9, s16
	s_add_i32 s0, s0, s6
	s_mul_i32 s0, s0, s3
	s_add_i32 s41, s0, 1
.LBB22_9:
	s_load_dword s0, s[4:5], 0x38
	s_load_dwordx2 s[22:23], s[4:5], 0x0
	s_load_dwordx2 s[28:29], s[4:5], 0x18
	s_load_dword s11, s[4:5], 0x88
	s_xor_b32 s1, s15, s19
	s_waitcnt lgkmcnt(0)
	s_mul_i32 s26, s0, s10
	s_mul_i32 s0, s12, s21
	s_sub_i32 s0, s7, s0
	s_ashr_i32 s27, s26, 31
	s_add_i32 s3, s12, 1
	s_sub_i32 s6, s0, s21
	s_cmp_ge_u32 s0, s21
	s_cselect_b32 s3, s3, s12
	s_cselect_b32 s0, s6, s0
	s_add_i32 s6, s3, 1
	s_cmp_ge_u32 s0, s21
	s_cselect_b32 s0, s6, s3
	s_xor_b32 s0, s0, s1
	s_sub_i32 s12, s0, s1
	s_add_i32 s0, s33, 15
	s_ashr_i32 s1, s0, 31
	s_lshr_b32 s1, s1, 28
	s_add_i32 s0, s0, s1
	s_ashr_i32 s16, s0, 4
	v_lshrrev_b32_e32 v38, 6, v0
	v_cmp_gt_i32_e64 s[0:1], s16, v38
	v_mov_b32_e32 v9, 0xff7fffff
	s_mul_i32 s14, s2, s14
	v_lshrrev_b32_e32 v4, 4, v0
	v_lshlrev_b32_e32 v39, 4, v38
	v_mbcnt_lo_u32_b32 v5, -1, 0
	s_and_saveexec_b64 s[34:35], s[0:1]
	s_cbranch_execz .LBB22_21
; %bb.10:
	s_load_dwordx2 s[2:3], s[4:5], 0x10
	s_ashr_i32 s15, s14, 31
	s_sub_i32 s30, s12, s17
	s_lshl_b64 s[4:5], s[14:15], 2
	v_bfe_u32 v6, v0, 2, 4
	s_waitcnt lgkmcnt(0)
	s_add_u32 s2, s2, s4
	s_addc_u32 s3, s3, s5
	s_abs_i32 s15, s18
	v_cvt_f32_u32_e32 v1, s15
	v_mov_b32_e32 v8, s3
	s_sub_i32 s3, 0, s15
	v_lshlrev_b32_e32 v7, 4, v6
	v_rcp_iflag_f32_e32 v1, v1
	s_lshl_b64 s[4:5], s[26:27], 2
	v_lshlrev_b32_e32 v2, 2, v37
	v_lshlrev_b32_e32 v9, 2, v6
	v_mul_f32_e32 v1, 0x4f7ffffe, v1
	v_cvt_u32_f32_e32 v1, v1
	s_add_u32 s4, s24, s4
	s_addc_u32 s5, s25, s5
	v_lshl_or_b32 v9, v38, 6, v9
	v_mul_lo_u32 v10, s3, v1
	v_add_co_u32_e64 v7, s[2:3], s2, v7
	v_addc_co_u32_e64 v8, s[2:3], 0, v8, s[2:3]
	v_mul_hi_u32 v11, v1, v10
	v_add_co_u32_e64 v7, s[2:3], v7, v2
	v_mbcnt_hi_u32_b32 v16, -1, v5
	v_add_u32_e32 v11, v1, v11
	v_and_b32_e32 v1, 60, v4
	v_addc_co_u32_e64 v8, s[2:3], 0, v8, s[2:3]
	v_mov_b32_e32 v2, s5
	v_add_co_u32_e64 v1, s[4:5], s4, v1
	v_subrev_u32_e32 v13, s33, v6
	v_add_u32_e32 v14, 0x1d0, v9
	v_and_b32_e32 v9, 64, v16
	v_cmp_eq_u32_e32 vcc, 0, v37
	s_mov_b32 s43, s13
	v_mul_u32_u24_e32 v10, 0x70, v37
	v_cmp_neq_f32_e64 s[2:3], s42, 0
	v_addc_co_u32_e64 v2, s[4:5], 0, v2, s[4:5]
	v_lshlrev_b32_e32 v12, 4, v38
	v_add_u32_e32 v13, 1, v13
	v_mov_b32_e32 v15, 0xff7fffff
	s_mov_b64 s[36:37], 0
	s_movk_i32 s44, 0x1000
	v_add_u32_e32 v17, 64, v9
	v_xor_b32_e32 v18, 2, v16
	v_xor_b32_e32 v19, 1, v16
	v_mov_b32_e32 v9, 0xff7fffff
	v_mov_b32_e32 v20, v38
	s_branch .LBB22_13
.LBB22_11:                              ;   in Loop: Header=BB22_13 Depth=1
	s_or_b64 exec, exec, s[38:39]
.LBB22_12:                              ;   in Loop: Header=BB22_13 Depth=1
	s_or_b64 exec, exec, s[6:7]
	v_add_co_u32_e64 v1, s[4:5], 8, v1
	v_add_u32_e32 v20, 2, v20
	v_addc_co_u32_e64 v2, s[4:5], 0, v2, s[4:5]
	v_cmp_le_i32_e64 s[4:5], s16, v20
	v_add_u32_e32 v12, 32, v12
	s_or_b64 s[36:37], s[4:5], s[36:37]
	v_add_u32_e32 v14, 0x80, v14
	s_andn2_b64 exec, exec, s[36:37]
	s_cbranch_execz .LBB22_20
.LBB22_13:                              ; =>This Inner Loop Header: Depth=1
	v_mul_hi_u32 v21, v12, s40
	s_waitcnt lgkmcnt(0)
	v_mul_lo_u32 v22, v21, s21
	v_add_u32_e32 v23, 1, v21
	v_sub_u32_e32 v22, v12, v22
	v_cmp_le_u32_e64 s[4:5], s21, v22
	v_cndmask_b32_e64 v21, v21, v23, s[4:5]
	v_subrev_u32_e32 v23, s21, v22
	v_cndmask_b32_e64 v22, v22, v23, s[4:5]
	v_add_u32_e32 v23, 1, v21
	v_cmp_le_u32_e64 s[4:5], s21, v22
	v_cndmask_b32_e64 v21, v21, v23, s[4:5]
	v_xor_b32_e32 v21, s19, v21
	v_subrev_u32_e32 v21, s19, v21
	v_add_u32_e32 v22, s41, v21
	v_sub_u32_e32 v23, 0, v22
	v_max_i32_e32 v23, v22, v23
	v_mul_hi_u32 v24, v23, v11
	v_ashrrev_i32_e32 v22, 31, v22
	v_cmp_ge_i32_e64 s[6:7], s30, v21
	v_mul_lo_u32 v24, v24, s15
	v_sub_u32_e32 v23, v23, v24
	v_subrev_u32_e32 v24, s15, v23
	v_cmp_le_u32_e64 s[4:5], s15, v23
	v_cndmask_b32_e64 v23, v23, v24, s[4:5]
	v_subrev_u32_e32 v24, s15, v23
	v_cmp_le_u32_e64 s[4:5], s15, v23
	v_cndmask_b32_e64 v23, v23, v24, s[4:5]
	v_xor_b32_e32 v23, v23, v22
	v_sub_u32_e32 v22, v23, v22
	v_cmp_ne_u32_e64 s[4:5], 0, v22
	s_and_b64 s[4:5], s[4:5], s[6:7]
	s_and_saveexec_b64 s[6:7], s[4:5]
	s_xor_b64 s[4:5], exec, s[6:7]
	s_cbranch_execz .LBB22_17
; %bb.14:                               ;   in Loop: Header=BB22_13 Depth=1
	s_and_saveexec_b64 s[6:7], vcc
; %bb.15:                               ;   in Loop: Header=BB22_13 Depth=1
	ds_write_b32 v14, v15
; %bb.16:                               ;   in Loop: Header=BB22_13 Depth=1
	s_or_b64 exec, exec, s[6:7]
.LBB22_17:                              ;   in Loop: Header=BB22_13 Depth=1
	s_andn2_saveexec_b64 s[6:7], s[4:5]
	s_cbranch_execz .LBB22_12
; %bb.18:                               ;   in Loop: Header=BB22_13 Depth=1
	global_load_dword v21, v[1:2], off
	s_waitcnt vmcnt(0)
	v_mad_i64_i32 v[21:22], s[4:5], v21, s43, 0
	v_lshlrev_b64 v[21:22], 2, v[21:22]
	v_add_co_u32_e64 v25, s[4:5], v7, v21
	v_addc_co_u32_e64 v26, s[4:5], v8, v22, s[4:5]
	global_load_dword v29, v[25:26], off offset:256
	global_load_dword v30, v[25:26], off
	global_load_dword v31, v[25:26], off offset:512
	global_load_dword v32, v[25:26], off offset:768
	;; [unrolled: 1-line block ×7, first 2 shown]
	ds_read_b128 v[21:24], v10
	global_load_dword v43, v[25:26], off offset:2304
	global_load_dword v44, v[25:26], off offset:2560
	;; [unrolled: 1-line block ×7, first 2 shown]
	v_add_co_u32_e64 v27, s[4:5], s44, v25
	v_addc_co_u32_e64 v28, s[4:5], 0, v26, s[4:5]
	global_load_dword v50, v[27:28], off
	global_load_dword v51, v[27:28], off offset:256
	global_load_dword v52, v[27:28], off offset:512
	;; [unrolled: 1-line block ×11, first 2 shown]
	v_cmp_lt_i32_e64 s[4:5], v18, v17
	ds_read_b128 v[25:28], v10 offset:48
	s_waitcnt vmcnt(27) lgkmcnt(1)
	v_mul_f32_e32 v56, v22, v29
	s_waitcnt vmcnt(26)
	v_fmac_f32_e32 v56, v21, v30
	s_waitcnt vmcnt(25)
	v_fmac_f32_e32 v56, v23, v31
	;; [unrolled: 2-line block ×3, first 2 shown]
	ds_read_b128 v[21:24], v10 offset:16
	ds_read_b128 v[29:32], v10 offset:80
	s_waitcnt vmcnt(23) lgkmcnt(1)
	v_fmac_f32_e32 v56, v21, v33
	s_waitcnt vmcnt(22)
	v_fmac_f32_e32 v56, v22, v34
	s_waitcnt vmcnt(21)
	;; [unrolled: 2-line block ×3, first 2 shown]
	v_fmac_f32_e32 v56, v24, v41
	ds_read_b128 v[21:24], v10 offset:32
	v_cndmask_b32_e64 v33, v16, v18, s[4:5]
	v_cmp_lt_i32_e64 s[4:5], v19, v17
	s_waitcnt vmcnt(19) lgkmcnt(0)
	v_fmac_f32_e32 v56, v21, v42
	s_waitcnt vmcnt(18)
	v_fmac_f32_e32 v56, v22, v43
	s_waitcnt vmcnt(17)
	;; [unrolled: 2-line block ×3, first 2 shown]
	v_fmac_f32_e32 v56, v24, v45
	ds_read_b128 v[21:24], v10 offset:64
	s_waitcnt vmcnt(15)
	v_fmac_f32_e32 v56, v25, v46
	s_waitcnt vmcnt(14)
	v_fmac_f32_e32 v56, v26, v47
	;; [unrolled: 2-line block ×4, first 2 shown]
	ds_read_b128 v[25:28], v10 offset:96
	s_waitcnt vmcnt(11) lgkmcnt(1)
	v_fmac_f32_e32 v56, v21, v50
	s_waitcnt vmcnt(10)
	v_fmac_f32_e32 v56, v22, v51
	s_waitcnt vmcnt(9)
	;; [unrolled: 2-line block ×7, first 2 shown]
	v_fmac_f32_e32 v56, v32, v58
	s_waitcnt vmcnt(3) lgkmcnt(0)
	v_fmac_f32_e32 v56, v25, v59
	s_waitcnt vmcnt(2)
	v_fmac_f32_e32 v56, v26, v60
	s_waitcnt vmcnt(1)
	v_fmac_f32_e32 v56, v27, v61
	v_lshlrev_b32_e32 v21, 2, v33
	s_waitcnt vmcnt(0)
	v_fmac_f32_e32 v56, v28, v62
	ds_bpermute_b32 v21, v21, v56
	v_cndmask_b32_e64 v22, v16, v19, s[4:5]
	v_lshlrev_b32_e32 v22, 2, v22
	s_waitcnt lgkmcnt(0)
	v_add_f32_e32 v21, v56, v21
	ds_bpermute_b32 v22, v22, v21
	s_and_saveexec_b64 s[38:39], vcc
	s_cbranch_execz .LBB22_11
; %bb.19:                               ;   in Loop: Header=BB22_13 Depth=1
	v_add_u32_e32 v23, v13, v12
	v_cvt_f32_i32_e32 v23, v23
	s_waitcnt lgkmcnt(0)
	v_add_f32_e32 v21, v21, v22
	v_add_u32_e32 v24, v6, v12
	v_cmp_gt_i32_e64 s[4:5], s33, v24
	v_mul_f32_e32 v22, s42, v23
	v_cndmask_b32_e64 v22, 0, v22, s[2:3]
	v_fmac_f32_e32 v22, s31, v21
	v_cndmask_b32_e64 v21, 0, v22, s[4:5]
	ds_write_b32 v14, v21
	v_max_f32_e32 v21, v9, v9
	v_max_f32_e32 v21, v21, v22
	v_cndmask_b32_e64 v9, v9, v21, s[4:5]
	s_branch .LBB22_11
.LBB22_20:
	s_or_b64 exec, exec, s[36:37]
.LBB22_21:
	s_or_b64 exec, exec, s[34:35]
	v_mbcnt_hi_u32_b32 v1, -1, v5
	v_and_b32_e32 v11, 64, v1
	v_add_u32_e32 v2, 64, v11
	v_xor_b32_e32 v5, 32, v1
	v_cmp_lt_i32_e32 vcc, v5, v2
	v_cndmask_b32_e32 v5, v1, v5, vcc
	v_lshlrev_b32_e32 v5, 2, v5
	ds_bpermute_b32 v6, v5, v9
	v_xor_b32_e32 v8, 16, v1
	v_max_f32_e32 v7, v9, v9
	v_cmp_lt_i32_e32 vcc, v8, v2
	v_xor_b32_e32 v9, 8, v1
	s_waitcnt lgkmcnt(0)
	v_max_f32_e32 v6, v6, v6
	v_max_f32_e32 v7, v7, v6
	v_cndmask_b32_e32 v6, v1, v8, vcc
	v_lshlrev_b32_e32 v6, 2, v6
	ds_bpermute_b32 v8, v6, v7
	v_cmp_lt_i32_e32 vcc, v9, v2
	v_xor_b32_e32 v10, 4, v1
	v_and_b32_e32 v40, 63, v0
	s_waitcnt lgkmcnt(0)
	v_max_f32_e32 v8, v8, v8
	v_max_f32_e32 v7, v7, v8
	v_cndmask_b32_e32 v8, v1, v9, vcc
	v_lshlrev_b32_e32 v9, 2, v8
	ds_bpermute_b32 v8, v9, v7
	v_cmp_lt_i32_e32 vcc, v10, v2
	s_waitcnt lgkmcnt(0)
	v_max_f32_e32 v8, v8, v8
	v_max_f32_e32 v8, v7, v8
	v_cndmask_b32_e32 v7, v1, v10, vcc
	v_lshlrev_b32_e32 v10, 2, v7
	ds_bpermute_b32 v12, v10, v8
	v_cmp_eq_u32_e32 vcc, 0, v40
	v_lshlrev_b32_e32 v7, 2, v38
	s_and_saveexec_b64 s[2:3], vcc
	s_cbranch_execz .LBB22_23
; %bb.22:
	s_waitcnt lgkmcnt(0)
	v_max_f32_e32 v12, v12, v12
	v_max_f32_e32 v8, v8, v8
	;; [unrolled: 1-line block ×3, first 2 shown]
	ds_write_b32 v7, v8 offset:448
.LBB22_23:
	s_or_b64 exec, exec, s[2:3]
	v_cmp_gt_u32_e64 s[2:3], 2, v40
	s_waitcnt lgkmcnt(0)
	v_mov_b32_e32 v12, 0xff7fffff
	v_lshlrev_b32_e32 v8, 2, v40
	s_barrier
	s_and_saveexec_b64 s[4:5], s[2:3]
; %bb.24:
	ds_read_b32 v12, v8 offset:448
; %bb.25:
	s_or_b64 exec, exec, s[4:5]
	v_xor_b32_e32 v13, 1, v1
	v_cmp_lt_i32_e64 s[4:5], v13, v2
	v_cndmask_b32_e64 v13, v1, v13, s[4:5]
	v_lshlrev_b32_e32 v41, 2, v13
	s_waitcnt lgkmcnt(0)
	ds_bpermute_b32 v13, v41, v12
	v_max_f32_e32 v12, v12, v12
	v_lshlrev_b32_e32 v11, 2, v11
	s_lshl_b32 s4, s16, 4
	s_min_i32 s15, s4, s33
	s_waitcnt lgkmcnt(0)
	v_max_f32_e32 v13, v13, v13
	v_max_f32_e32 v12, v12, v13
	ds_bpermute_b32 v12, v11, v12
	v_cmp_gt_i32_e64 s[4:5], s15, v0
	v_mov_b32_e32 v11, 0
	s_and_saveexec_b64 s[30:31], s[4:5]
	s_cbranch_execz .LBB22_29
; %bb.26:
	v_mov_b32_e32 v11, 0x1d0
	v_lshl_add_u32 v13, v0, 2, v11
	v_mov_b32_e32 v11, 0
	s_mov_b64 s[34:35], 0
	v_mov_b32_e32 v14, v0
.LBB22_27:                              ; =>This Inner Loop Header: Depth=1
	ds_read_b32 v15, v13
	v_add_u32_e32 v14, 0x80, v14
	v_cmp_le_i32_e64 s[6:7], s15, v14
	s_or_b64 s[34:35], s[6:7], s[34:35]
	s_waitcnt lgkmcnt(0)
	v_sub_f32_e32 v15, v15, v12
	v_mul_f32_e32 v15, 0x3fb8aa3b, v15
	v_exp_f32_e32 v15, v15
	ds_write_b32 v13, v15
	v_add_f32_e32 v11, v11, v15
	v_add_u32_e32 v13, 0x200, v13
	s_andn2_b64 exec, exec, s[34:35]
	s_cbranch_execnz .LBB22_27
; %bb.28:
	s_or_b64 exec, exec, s[34:35]
.LBB22_29:
	s_or_b64 exec, exec, s[30:31]
	ds_bpermute_b32 v5, v5, v11
	s_waitcnt lgkmcnt(0)
	v_add_f32_e32 v5, v11, v5
	ds_bpermute_b32 v6, v6, v5
	s_waitcnt lgkmcnt(0)
	v_add_f32_e32 v5, v5, v6
	ds_bpermute_b32 v6, v9, v5
	v_xor_b32_e32 v9, 2, v1
	v_cmp_lt_i32_e64 s[6:7], v9, v2
	v_cndmask_b32_e64 v2, v1, v9, s[6:7]
	v_lshlrev_b32_e32 v42, 2, v2
	s_waitcnt lgkmcnt(0)
	v_add_f32_e32 v5, v5, v6
	ds_bpermute_b32 v6, v10, v5
	s_waitcnt lgkmcnt(0)
	v_add_f32_e32 v5, v5, v6
	ds_bpermute_b32 v2, v42, v5
	;; [unrolled: 3-line block ×3, first 2 shown]
	s_waitcnt lgkmcnt(0)
	v_add_f32_e32 v2, v2, v5
	s_and_saveexec_b64 s[6:7], vcc
; %bb.30:
	ds_write_b32 v7, v2 offset:456
; %bb.31:
	s_or_b64 exec, exec, s[6:7]
	s_waitcnt lgkmcnt(0)
	s_barrier
	s_and_saveexec_b64 s[6:7], s[2:3]
; %bb.32:
	ds_read_b32 v2, v8 offset:456
; %bb.33:
	s_or_b64 exec, exec, s[6:7]
	s_waitcnt lgkmcnt(0)
	ds_bpermute_b32 v5, v41, v2
	v_lshlrev_b32_e32 v1, 2, v1
	v_and_b32_e32 v1, 0x100, v1
	s_waitcnt lgkmcnt(0)
	v_add_f32_e32 v2, v2, v5
	ds_bpermute_b32 v1, v1, v2
	s_and_saveexec_b64 s[2:3], s[4:5]
	s_cbranch_execz .LBB22_36
; %bb.34:
	s_waitcnt lgkmcnt(0)
	v_add_f32_e32 v2, 0x358637bd, v1
	v_div_scale_f32 v1, s[4:5], v2, v2, 1.0
	v_div_scale_f32 v5, vcc, 1.0, v2, 1.0
	s_mov_b64 s[4:5], 0
	v_rcp_f32_e32 v6, v1
	v_fma_f32 v7, -v1, v6, 1.0
	v_fmac_f32_e32 v6, v7, v6
	v_mul_f32_e32 v7, v5, v6
	v_fma_f32 v8, -v1, v7, v5
	v_fmac_f32_e32 v7, v8, v6
	v_fma_f32 v1, -v1, v7, v5
	v_div_fmas_f32 v5, v1, v6, v7
	v_mov_b32_e32 v1, 0x1d0
	v_lshl_add_u32 v1, v0, 2, v1
	v_div_fixup_f32 v2, v5, v2, 1.0
	v_mov_b32_e32 v5, v0
.LBB22_35:                              ; =>This Inner Loop Header: Depth=1
	ds_read_b32 v6, v1
	v_add_u32_e32 v5, 0x80, v5
	v_cmp_le_i32_e32 vcc, s15, v5
	s_or_b64 s[4:5], vcc, s[4:5]
	s_waitcnt lgkmcnt(0)
	v_mul_f32_e32 v6, v2, v6
	ds_write_b32 v1, v6
	v_add_u32_e32 v1, 0x200, v1
	s_andn2_b64 exec, exec, s[4:5]
	s_cbranch_execnz .LBB22_35
.LBB22_36:
	s_or_b64 exec, exec, s[2:3]
	v_mov_b32_e32 v50, 0
	v_mov_b32_e32 v49, 0
	;; [unrolled: 1-line block ×7, first 2 shown]
	s_waitcnt lgkmcnt(0)
	s_barrier
	s_and_saveexec_b64 s[2:3], s[0:1]
	s_cbranch_execz .LBB22_56
; %bb.37:
	s_ashr_i32 s15, s14, 31
	s_sub_i32 s17, s12, s17
	s_lshl_b64 s[0:1], s[14:15], 2
	s_add_u32 s0, s28, s0
	s_addc_u32 s1, s29, s1
	s_abs_i32 s14, s18
	v_cvt_f32_u32_e32 v1, s14
	s_sub_i32 s4, 0, s14
	v_and_b32_e32 v48, 12, v3
	v_and_b32_e32 v3, 60, v4
	v_rcp_iflag_f32_e32 v1, v1
	v_lshlrev_b32_e32 v2, 4, v0
	v_and_b32_e32 v2, 0x3f0, v2
	s_add_i32 s18, s16, -1
	v_mul_f32_e32 v1, 0x4f7ffffe, v1
	v_cvt_u32_f32_e32 v1, v1
	v_mov_b32_e32 v5, s1
	v_add_co_u32_e32 v51, vcc, s0, v2
	v_mul_lo_u32 v4, s4, v1
	s_lshl_b64 s[0:1], s[26:27], 2
	s_add_u32 s0, s24, s0
	v_addc_co_u32_e32 v52, vcc, 0, v5, vcc
	v_mul_hi_u32 v4, v1, v4
	s_addc_u32 s1, s25, s1
	v_add_co_u32_e32 v33, vcc, s0, v3
	v_add_u32_e32 v53, v1, v4
	v_mov_b32_e32 v1, s1
	v_addc_co_u32_e32 v34, vcc, 0, v1, vcc
	v_lshlrev_b32_e32 v1, 4, v37
	v_lshl_or_b32 v1, v38, 6, v1
	s_mov_b32 s15, s13
	v_mov_b32_e32 v43, 0
	v_add_u32_e32 v54, 0x1d0, v1
	s_mov_b64 s[4:5], 0
	v_mov_b32_e32 v44, 0
	v_mov_b32_e32 v45, 0
	;; [unrolled: 1-line block ×6, first 2 shown]
	s_branch .LBB22_40
.LBB22_38:                              ;   in Loop: Header=BB22_40 Depth=1
	s_or_b64 exec, exec, s[12:13]
	s_waitcnt vmcnt(1) lgkmcnt(0)
	v_mul_f32_e32 v29, v1, v29
	v_mul_f32_e32 v21, v1, v21
	;; [unrolled: 1-line block ×6, first 2 shown]
	s_waitcnt vmcnt(0)
	v_mul_f32_e32 v1, v1, v25
	v_fmac_f32_e32 v29, v2, v30
	v_fmac_f32_e32 v21, v2, v22
	;; [unrolled: 1-line block ×21, first 2 shown]
	v_add_f32_e32 v44, v44, v29
	v_add_f32_e32 v45, v45, v21
	;; [unrolled: 1-line block ×7, first 2 shown]
.LBB22_39:                              ;   in Loop: Header=BB22_40 Depth=1
	s_or_b64 exec, exec, s[6:7]
	v_add_co_u32_e32 v33, vcc, 8, v33
	v_add_u32_e32 v38, 2, v38
	v_addc_co_u32_e32 v34, vcc, 0, v34, vcc
	v_cmp_le_i32_e32 vcc, s16, v38
	v_add_u32_e32 v39, 32, v39
	s_or_b64 s[4:5], vcc, s[4:5]
	v_add_u32_e32 v54, 0x80, v54
	s_andn2_b64 exec, exec, s[4:5]
	s_cbranch_execz .LBB22_55
.LBB22_40:                              ; =>This Inner Loop Header: Depth=1
	v_mul_hi_u32 v1, v39, s40
	v_mul_lo_u32 v2, v1, s21
	v_add_u32_e32 v3, 1, v1
	v_sub_u32_e32 v2, v39, v2
	v_cmp_le_u32_e32 vcc, s21, v2
	v_cndmask_b32_e32 v1, v1, v3, vcc
	v_subrev_u32_e32 v3, s21, v2
	v_cndmask_b32_e32 v2, v2, v3, vcc
	v_add_u32_e32 v3, 1, v1
	v_cmp_le_u32_e32 vcc, s21, v2
	v_cndmask_b32_e32 v1, v1, v3, vcc
	v_xor_b32_e32 v1, s19, v1
	v_subrev_u32_e32 v1, s19, v1
	v_add_u32_e32 v2, s41, v1
	v_sub_u32_e32 v3, 0, v2
	v_max_i32_e32 v3, v2, v3
	v_mul_hi_u32 v4, v3, v53
	v_ashrrev_i32_e32 v2, 31, v2
	v_cmp_lt_i32_e64 s[0:1], s17, v1
	v_mul_lo_u32 v4, v4, s14
	v_sub_u32_e32 v3, v3, v4
	v_subrev_u32_e32 v4, s14, v3
	v_cmp_le_u32_e32 vcc, s14, v3
	v_cndmask_b32_e32 v3, v3, v4, vcc
	v_subrev_u32_e32 v4, s14, v3
	v_cmp_le_u32_e32 vcc, s14, v3
	v_cndmask_b32_e32 v3, v3, v4, vcc
	v_xor_b32_e32 v3, v3, v2
	v_sub_u32_e32 v2, v3, v2
	v_cmp_eq_u32_e32 vcc, 0, v2
	s_or_b64 s[0:1], vcc, s[0:1]
	s_and_saveexec_b64 s[6:7], s[0:1]
	s_cbranch_execz .LBB22_39
; %bb.41:                               ;   in Loop: Header=BB22_40 Depth=1
	global_load_dword v1, v[33:34], off
	v_add_u32_e32 v55, v48, v39
	v_add_u32_e32 v58, 1, v55
	;; [unrolled: 1-line block ×4, first 2 shown]
	s_waitcnt vmcnt(0)
	v_mad_i64_i32 v[1:2], s[0:1], v1, s15, 0
	v_cmp_eq_u32_e64 s[0:1], s18, v38
	v_lshlrev_b64 v[1:2], 2, v[1:2]
	v_add_co_u32_e32 v25, vcc, v51, v1
	v_addc_co_u32_e32 v26, vcc, v52, v2, vcc
	global_load_dwordx4 v[5:8], v[25:26], off
	ds_read_b128 v[1:4], v54
	s_and_saveexec_b64 s[12:13], s[0:1]
	s_cbranch_execnz .LBB22_52
; %bb.42:                               ;   in Loop: Header=BB22_40 Depth=1
	s_or_b64 exec, exec, s[12:13]
	global_load_dwordx4 v[9:12], v[25:26], off offset:1024
	s_and_saveexec_b64 s[12:13], s[0:1]
	s_cbranch_execnz .LBB22_53
.LBB22_43:                              ;   in Loop: Header=BB22_40 Depth=1
	s_or_b64 exec, exec, s[12:13]
	global_load_dwordx4 v[13:16], v[25:26], off offset:2048
	s_and_saveexec_b64 s[12:13], s[0:1]
	s_cbranch_execnz .LBB22_54
.LBB22_44:                              ;   in Loop: Header=BB22_40 Depth=1
	s_or_b64 exec, exec, s[12:13]
	global_load_dwordx4 v[17:20], v[25:26], off offset:3072
	s_and_saveexec_b64 s[12:13], s[0:1]
	s_cbranch_execz .LBB22_46
.LBB22_45:                              ;   in Loop: Header=BB22_40 Depth=1
	v_cmp_gt_i32_e32 vcc, s33, v55
	s_waitcnt vmcnt(0)
	v_cndmask_b32_e32 v17, 0, v17, vcc
	v_cmp_gt_i32_e32 vcc, s33, v58
	v_cndmask_b32_e32 v18, 0, v18, vcc
	v_cmp_gt_i32_e32 vcc, s33, v57
	;; [unrolled: 2-line block ×3, first 2 shown]
	v_cndmask_b32_e32 v20, 0, v20, vcc
.LBB22_46:                              ;   in Loop: Header=BB22_40 Depth=1
	s_or_b64 exec, exec, s[12:13]
	v_add_co_u32_e32 v21, vcc, 0x1000, v25
	v_addc_co_u32_e32 v22, vcc, 0, v26, vcc
	global_load_dwordx4 v[21:24], v[21:22], off
	s_and_saveexec_b64 s[12:13], s[0:1]
	s_cbranch_execz .LBB22_48
; %bb.47:                               ;   in Loop: Header=BB22_40 Depth=1
	v_cmp_gt_i32_e32 vcc, s33, v55
	s_waitcnt vmcnt(0)
	v_cndmask_b32_e32 v21, 0, v21, vcc
	v_cmp_gt_i32_e32 vcc, s33, v58
	v_cndmask_b32_e32 v22, 0, v22, vcc
	v_cmp_gt_i32_e32 vcc, s33, v57
	;; [unrolled: 2-line block ×3, first 2 shown]
	v_cndmask_b32_e32 v24, 0, v24, vcc
.LBB22_48:                              ;   in Loop: Header=BB22_40 Depth=1
	s_or_b64 exec, exec, s[12:13]
	v_add_co_u32_e32 v27, vcc, 0x1000, v25
	v_addc_co_u32_e32 v28, vcc, 0, v26, vcc
	global_load_dwordx4 v[29:32], v[27:28], off offset:1024
	s_and_saveexec_b64 s[12:13], s[0:1]
	s_cbranch_execz .LBB22_50
; %bb.49:                               ;   in Loop: Header=BB22_40 Depth=1
	v_cmp_gt_i32_e32 vcc, s33, v55
	s_waitcnt vmcnt(0)
	v_cndmask_b32_e32 v29, 0, v29, vcc
	v_cmp_gt_i32_e32 vcc, s33, v58
	v_cndmask_b32_e32 v30, 0, v30, vcc
	v_cmp_gt_i32_e32 vcc, s33, v57
	;; [unrolled: 2-line block ×3, first 2 shown]
	v_cndmask_b32_e32 v32, 0, v32, vcc
.LBB22_50:                              ;   in Loop: Header=BB22_40 Depth=1
	s_or_b64 exec, exec, s[12:13]
	v_add_co_u32_e32 v25, vcc, 0x1000, v25
	v_addc_co_u32_e32 v26, vcc, 0, v26, vcc
	global_load_dwordx4 v[25:28], v[25:26], off offset:2048
	s_and_saveexec_b64 s[12:13], s[0:1]
	s_cbranch_execz .LBB22_38
; %bb.51:                               ;   in Loop: Header=BB22_40 Depth=1
	v_cmp_gt_i32_e32 vcc, s33, v55
	s_waitcnt vmcnt(0)
	v_cndmask_b32_e32 v25, 0, v25, vcc
	v_cmp_gt_i32_e32 vcc, s33, v58
	v_cndmask_b32_e32 v26, 0, v26, vcc
	v_cmp_gt_i32_e32 vcc, s33, v57
	;; [unrolled: 2-line block ×3, first 2 shown]
	v_cndmask_b32_e32 v28, 0, v28, vcc
	s_branch .LBB22_38
.LBB22_52:                              ;   in Loop: Header=BB22_40 Depth=1
	v_cmp_gt_i32_e32 vcc, s33, v55
	s_waitcnt vmcnt(0)
	v_cndmask_b32_e32 v5, 0, v5, vcc
	v_cmp_gt_i32_e32 vcc, s33, v58
	v_cndmask_b32_e32 v6, 0, v6, vcc
	v_cmp_gt_i32_e32 vcc, s33, v57
	;; [unrolled: 2-line block ×3, first 2 shown]
	v_cndmask_b32_e32 v8, 0, v8, vcc
	s_or_b64 exec, exec, s[12:13]
	global_load_dwordx4 v[9:12], v[25:26], off offset:1024
	s_and_saveexec_b64 s[12:13], s[0:1]
	s_cbranch_execz .LBB22_43
.LBB22_53:                              ;   in Loop: Header=BB22_40 Depth=1
	v_cmp_gt_i32_e32 vcc, s33, v55
	s_waitcnt vmcnt(0)
	v_cndmask_b32_e32 v9, 0, v9, vcc
	v_cmp_gt_i32_e32 vcc, s33, v58
	v_cndmask_b32_e32 v10, 0, v10, vcc
	v_cmp_gt_i32_e32 vcc, s33, v57
	;; [unrolled: 2-line block ×3, first 2 shown]
	v_cndmask_b32_e32 v12, 0, v12, vcc
	s_or_b64 exec, exec, s[12:13]
	global_load_dwordx4 v[13:16], v[25:26], off offset:2048
	s_and_saveexec_b64 s[12:13], s[0:1]
	s_cbranch_execz .LBB22_44
.LBB22_54:                              ;   in Loop: Header=BB22_40 Depth=1
	v_cmp_gt_i32_e32 vcc, s33, v55
	s_waitcnt vmcnt(0)
	v_cndmask_b32_e32 v13, 0, v13, vcc
	v_cmp_gt_i32_e32 vcc, s33, v58
	v_cndmask_b32_e32 v14, 0, v14, vcc
	v_cmp_gt_i32_e32 vcc, s33, v57
	;; [unrolled: 2-line block ×3, first 2 shown]
	v_cndmask_b32_e32 v16, 0, v16, vcc
	s_or_b64 exec, exec, s[12:13]
	global_load_dwordx4 v[17:20], v[25:26], off offset:3072
	s_and_saveexec_b64 s[12:13], s[0:1]
	s_cbranch_execnz .LBB22_45
	s_branch .LBB22_46
.LBB22_55:
	s_or_b64 exec, exec, s[4:5]
.LBB22_56:
	s_or_b64 exec, exec, s[2:3]
	ds_bpermute_b32 v1, v42, v50
	ds_bpermute_b32 v2, v42, v49
	ds_bpermute_b32 v6, v42, v46
	ds_bpermute_b32 v3, v42, v47
	ds_bpermute_b32 v9, v42, v43
	s_waitcnt lgkmcnt(4)
	v_add_f32_e32 v1, v50, v1
	s_waitcnt lgkmcnt(3)
	v_add_f32_e32 v2, v49, v2
	ds_bpermute_b32 v4, v41, v1
	ds_bpermute_b32 v5, v41, v2
	s_waitcnt lgkmcnt(3)
	v_add_f32_e32 v3, v47, v3
	s_waitcnt lgkmcnt(2)
	v_add_f32_e32 v9, v43, v9
	ds_bpermute_b32 v7, v41, v3
	s_waitcnt lgkmcnt(2)
	v_add_f32_e32 v1, v1, v4
	s_waitcnt lgkmcnt(1)
	v_add_f32_e32 v2, v2, v5
	ds_bpermute_b32 v4, v42, v45
	v_add_f32_e32 v5, v46, v6
	ds_bpermute_b32 v6, v42, v44
	ds_bpermute_b32 v8, v41, v5
	;; [unrolled: 1-line block ×3, first 2 shown]
	s_waitcnt lgkmcnt(3)
	v_add_f32_e32 v10, v45, v4
	ds_bpermute_b32 v11, v41, v10
	s_waitcnt lgkmcnt(3)
	v_add_f32_e32 v6, v44, v6
	ds_bpermute_b32 v12, v41, v6
	s_waitcnt lgkmcnt(3)
	v_add_f32_e32 v4, v5, v8
	v_and_b32_e32 v8, 0x3c3, v0
	v_add_f32_e32 v3, v3, v7
	s_waitcnt lgkmcnt(1)
	v_add_f32_e32 v5, v10, v11
	s_waitcnt lgkmcnt(0)
	v_add_f32_e32 v6, v6, v12
	v_add_f32_e32 v7, v9, v13
	v_cmp_eq_u32_e32 vcc, 64, v8
	s_barrier
	s_and_saveexec_b64 s[0:1], vcc
	s_cbranch_execz .LBB22_58
; %bb.57:
	v_add_u32_e32 v9, 0x1d0, v40
	ds_write2_b32 v9, v1, v2 offset1:16
	ds_write2_b32 v9, v3, v4 offset0:32 offset1:48
	ds_write2_b32 v9, v5, v6 offset0:64 offset1:80
	ds_write_b32 v9, v7 offset:384
.LBB22_58:
	s_or_b64 exec, exec, s[0:1]
	v_cmp_gt_u32_e32 vcc, 64, v0
	s_waitcnt lgkmcnt(0)
	s_barrier
	s_and_saveexec_b64 s[0:1], vcc
	s_cbranch_execz .LBB22_68
; %bb.59:
	v_mov_b32_e32 v0, 0x1d0
	v_cmp_eq_u32_e32 vcc, 0, v37
	v_lshl_add_u32 v0, v36, 2, v0
	s_and_saveexec_b64 s[2:3], vcc
	s_cbranch_execnz .LBB22_71
; %bb.60:
	s_or_b64 exec, exec, s[2:3]
	s_and_saveexec_b64 s[2:3], vcc
	s_cbranch_execnz .LBB22_72
.LBB22_61:
	s_or_b64 exec, exec, s[2:3]
	s_and_saveexec_b64 s[2:3], vcc
	s_cbranch_execnz .LBB22_73
.LBB22_62:
	s_or_b64 exec, exec, s[2:3]
	s_and_saveexec_b64 s[2:3], vcc
	s_cbranch_execnz .LBB22_74
.LBB22_63:
	s_or_b64 exec, exec, s[2:3]
	s_and_saveexec_b64 s[2:3], vcc
	s_cbranch_execnz .LBB22_75
.LBB22_64:
	s_or_b64 exec, exec, s[2:3]
	s_and_saveexec_b64 s[2:3], vcc
	s_cbranch_execnz .LBB22_76
.LBB22_65:
	s_or_b64 exec, exec, s[2:3]
	s_and_saveexec_b64 s[2:3], vcc
	s_cbranch_execz .LBB22_67
.LBB22_66:
	ds_read_b32 v0, v0 offset:384
	s_waitcnt lgkmcnt(0)
	v_add_f32_e32 v7, v7, v0
.LBB22_67:
	s_or_b64 exec, exec, s[2:3]
.LBB22_68:
	s_or_b64 exec, exec, s[0:1]
	v_cmp_eq_u32_e32 vcc, 0, v8
	s_barrier
	s_and_saveexec_b64 s[0:1], vcc
	s_cbranch_execz .LBB22_70
; %bb.69:
	s_mul_i32 s0, s10, s11
	s_mul_i32 s0, s0, s9
	s_mulk_i32 s0, 0x70
	s_ashr_i32 s1, s0, 31
	s_lshl_b64 s[0:1], s[0:1], 2
	s_add_u32 s2, s22, s0
	s_mul_i32 s0, s11, s20
	s_addc_u32 s3, s23, s1
	s_ashr_i32 s1, s0, 31
	s_lshl_b64 s[0:1], s[0:1], 2
	s_add_u32 s2, s2, s0
	s_mul_i32 s0, s8, 0x70
	s_addc_u32 s3, s3, s1
	s_ashr_i32 s1, s0, 31
	s_lshl_b64 s[0:1], s[0:1], 2
	s_add_u32 s0, s2, s0
	s_addc_u32 s1, s3, s1
	global_store_dword v35, v1, s[0:1]
	global_store_dword v35, v2, s[0:1] offset:64
	global_store_dword v35, v3, s[0:1] offset:128
	;; [unrolled: 1-line block ×6, first 2 shown]
.LBB22_70:
	s_endpgm
.LBB22_71:
	ds_read_b32 v9, v0
	s_waitcnt lgkmcnt(0)
	v_add_f32_e32 v1, v1, v9
	s_or_b64 exec, exec, s[2:3]
	s_and_saveexec_b64 s[2:3], vcc
	s_cbranch_execz .LBB22_61
.LBB22_72:
	ds_read_b32 v9, v0 offset:64
	s_waitcnt lgkmcnt(0)
	v_add_f32_e32 v2, v2, v9
	s_or_b64 exec, exec, s[2:3]
	s_and_saveexec_b64 s[2:3], vcc
	s_cbranch_execz .LBB22_62
.LBB22_73:
	ds_read_b32 v9, v0 offset:128
	s_waitcnt lgkmcnt(0)
	v_add_f32_e32 v3, v3, v9
	s_or_b64 exec, exec, s[2:3]
	s_and_saveexec_b64 s[2:3], vcc
	s_cbranch_execz .LBB22_63
.LBB22_74:
	ds_read_b32 v9, v0 offset:192
	s_waitcnt lgkmcnt(0)
	v_add_f32_e32 v4, v4, v9
	s_or_b64 exec, exec, s[2:3]
	s_and_saveexec_b64 s[2:3], vcc
	s_cbranch_execz .LBB22_64
.LBB22_75:
	ds_read_b32 v9, v0 offset:256
	s_waitcnt lgkmcnt(0)
	v_add_f32_e32 v5, v5, v9
	s_or_b64 exec, exec, s[2:3]
	s_and_saveexec_b64 s[2:3], vcc
	s_cbranch_execz .LBB22_65
.LBB22_76:
	ds_read_b32 v9, v0 offset:320
	s_waitcnt lgkmcnt(0)
	v_add_f32_e32 v6, v6, v9
	s_or_b64 exec, exec, s[2:3]
	s_and_saveexec_b64 s[2:3], vcc
	s_cbranch_execnz .LBB22_66
	s_branch .LBB22_67
	.section	.rodata,"a",@progbits
	.p2align	6, 0x0
	.amdhsa_kernel _ZN4vllm25paged_attention_v1_kernelIffLi112ELi16ELi128ELNS_18Fp8KVCacheDataTypeE0ELb1EEEvPT_PKS2_PKT0_S8_ifPKiSA_iPKfiiiSC_SC_iiiii
		.amdhsa_group_segment_fixed_size 464
		.amdhsa_private_segment_fixed_size 0
		.amdhsa_kernarg_size 384
		.amdhsa_user_sgpr_count 6
		.amdhsa_user_sgpr_private_segment_buffer 1
		.amdhsa_user_sgpr_dispatch_ptr 0
		.amdhsa_user_sgpr_queue_ptr 0
		.amdhsa_user_sgpr_kernarg_segment_ptr 1
		.amdhsa_user_sgpr_dispatch_id 0
		.amdhsa_user_sgpr_flat_scratch_init 0
		.amdhsa_user_sgpr_private_segment_size 0
		.amdhsa_uses_dynamic_stack 0
		.amdhsa_system_sgpr_private_segment_wavefront_offset 0
		.amdhsa_system_sgpr_workgroup_id_x 1
		.amdhsa_system_sgpr_workgroup_id_y 1
		.amdhsa_system_sgpr_workgroup_id_z 1
		.amdhsa_system_sgpr_workgroup_info 0
		.amdhsa_system_vgpr_workitem_id 0
		.amdhsa_next_free_vgpr 63
		.amdhsa_next_free_sgpr 45
		.amdhsa_reserve_vcc 1
		.amdhsa_reserve_flat_scratch 0
		.amdhsa_float_round_mode_32 0
		.amdhsa_float_round_mode_16_64 0
		.amdhsa_float_denorm_mode_32 3
		.amdhsa_float_denorm_mode_16_64 3
		.amdhsa_dx10_clamp 1
		.amdhsa_ieee_mode 1
		.amdhsa_fp16_overflow 0
		.amdhsa_exception_fp_ieee_invalid_op 0
		.amdhsa_exception_fp_denorm_src 0
		.amdhsa_exception_fp_ieee_div_zero 0
		.amdhsa_exception_fp_ieee_overflow 0
		.amdhsa_exception_fp_ieee_underflow 0
		.amdhsa_exception_fp_ieee_inexact 0
		.amdhsa_exception_int_div_zero 0
	.end_amdhsa_kernel
	.section	.text._ZN4vllm25paged_attention_v1_kernelIffLi112ELi16ELi128ELNS_18Fp8KVCacheDataTypeE0ELb1EEEvPT_PKS2_PKT0_S8_ifPKiSA_iPKfiiiSC_SC_iiiii,"axG",@progbits,_ZN4vllm25paged_attention_v1_kernelIffLi112ELi16ELi128ELNS_18Fp8KVCacheDataTypeE0ELb1EEEvPT_PKS2_PKT0_S8_ifPKiSA_iPKfiiiSC_SC_iiiii,comdat
.Lfunc_end22:
	.size	_ZN4vllm25paged_attention_v1_kernelIffLi112ELi16ELi128ELNS_18Fp8KVCacheDataTypeE0ELb1EEEvPT_PKS2_PKT0_S8_ifPKiSA_iPKfiiiSC_SC_iiiii, .Lfunc_end22-_ZN4vllm25paged_attention_v1_kernelIffLi112ELi16ELi128ELNS_18Fp8KVCacheDataTypeE0ELb1EEEvPT_PKS2_PKT0_S8_ifPKiSA_iPKfiiiSC_SC_iiiii
                                        ; -- End function
	.set _ZN4vllm25paged_attention_v1_kernelIffLi112ELi16ELi128ELNS_18Fp8KVCacheDataTypeE0ELb1EEEvPT_PKS2_PKT0_S8_ifPKiSA_iPKfiiiSC_SC_iiiii.num_vgpr, 63
	.set _ZN4vllm25paged_attention_v1_kernelIffLi112ELi16ELi128ELNS_18Fp8KVCacheDataTypeE0ELb1EEEvPT_PKS2_PKT0_S8_ifPKiSA_iPKfiiiSC_SC_iiiii.num_agpr, 0
	.set _ZN4vllm25paged_attention_v1_kernelIffLi112ELi16ELi128ELNS_18Fp8KVCacheDataTypeE0ELb1EEEvPT_PKS2_PKT0_S8_ifPKiSA_iPKfiiiSC_SC_iiiii.numbered_sgpr, 45
	.set _ZN4vllm25paged_attention_v1_kernelIffLi112ELi16ELi128ELNS_18Fp8KVCacheDataTypeE0ELb1EEEvPT_PKS2_PKT0_S8_ifPKiSA_iPKfiiiSC_SC_iiiii.num_named_barrier, 0
	.set _ZN4vllm25paged_attention_v1_kernelIffLi112ELi16ELi128ELNS_18Fp8KVCacheDataTypeE0ELb1EEEvPT_PKS2_PKT0_S8_ifPKiSA_iPKfiiiSC_SC_iiiii.private_seg_size, 0
	.set _ZN4vllm25paged_attention_v1_kernelIffLi112ELi16ELi128ELNS_18Fp8KVCacheDataTypeE0ELb1EEEvPT_PKS2_PKT0_S8_ifPKiSA_iPKfiiiSC_SC_iiiii.uses_vcc, 1
	.set _ZN4vllm25paged_attention_v1_kernelIffLi112ELi16ELi128ELNS_18Fp8KVCacheDataTypeE0ELb1EEEvPT_PKS2_PKT0_S8_ifPKiSA_iPKfiiiSC_SC_iiiii.uses_flat_scratch, 0
	.set _ZN4vllm25paged_attention_v1_kernelIffLi112ELi16ELi128ELNS_18Fp8KVCacheDataTypeE0ELb1EEEvPT_PKS2_PKT0_S8_ifPKiSA_iPKfiiiSC_SC_iiiii.has_dyn_sized_stack, 0
	.set _ZN4vllm25paged_attention_v1_kernelIffLi112ELi16ELi128ELNS_18Fp8KVCacheDataTypeE0ELb1EEEvPT_PKS2_PKT0_S8_ifPKiSA_iPKfiiiSC_SC_iiiii.has_recursion, 0
	.set _ZN4vllm25paged_attention_v1_kernelIffLi112ELi16ELi128ELNS_18Fp8KVCacheDataTypeE0ELb1EEEvPT_PKS2_PKT0_S8_ifPKiSA_iPKfiiiSC_SC_iiiii.has_indirect_call, 0
	.section	.AMDGPU.csdata,"",@progbits
; Kernel info:
; codeLenInByte = 4776
; TotalNumSgprs: 49
; NumVgprs: 63
; ScratchSize: 0
; MemoryBound: 0
; FloatMode: 240
; IeeeMode: 1
; LDSByteSize: 464 bytes/workgroup (compile time only)
; SGPRBlocks: 6
; VGPRBlocks: 15
; NumSGPRsForWavesPerEU: 49
; NumVGPRsForWavesPerEU: 63
; Occupancy: 4
; WaveLimiterHint : 1
; COMPUTE_PGM_RSRC2:SCRATCH_EN: 0
; COMPUTE_PGM_RSRC2:USER_SGPR: 6
; COMPUTE_PGM_RSRC2:TRAP_HANDLER: 0
; COMPUTE_PGM_RSRC2:TGID_X_EN: 1
; COMPUTE_PGM_RSRC2:TGID_Y_EN: 1
; COMPUTE_PGM_RSRC2:TGID_Z_EN: 1
; COMPUTE_PGM_RSRC2:TIDIG_COMP_CNT: 0
	.section	.text._ZN4vllm25paged_attention_v1_kernelIffLi120ELi16ELi128ELNS_18Fp8KVCacheDataTypeE0ELb1EEEvPT_PKS2_PKT0_S8_ifPKiSA_iPKfiiiSC_SC_iiiii,"axG",@progbits,_ZN4vllm25paged_attention_v1_kernelIffLi120ELi16ELi128ELNS_18Fp8KVCacheDataTypeE0ELb1EEEvPT_PKS2_PKT0_S8_ifPKiSA_iPKfiiiSC_SC_iiiii,comdat
	.protected	_ZN4vllm25paged_attention_v1_kernelIffLi120ELi16ELi128ELNS_18Fp8KVCacheDataTypeE0ELb1EEEvPT_PKS2_PKT0_S8_ifPKiSA_iPKfiiiSC_SC_iiiii ; -- Begin function _ZN4vllm25paged_attention_v1_kernelIffLi120ELi16ELi128ELNS_18Fp8KVCacheDataTypeE0ELb1EEEvPT_PKS2_PKT0_S8_ifPKiSA_iPKfiiiSC_SC_iiiii
	.globl	_ZN4vllm25paged_attention_v1_kernelIffLi120ELi16ELi128ELNS_18Fp8KVCacheDataTypeE0ELb1EEEvPT_PKS2_PKT0_S8_ifPKiSA_iPKfiiiSC_SC_iiiii
	.p2align	8
	.type	_ZN4vllm25paged_attention_v1_kernelIffLi120ELi16ELi128ELNS_18Fp8KVCacheDataTypeE0ELb1EEEvPT_PKS2_PKT0_S8_ifPKiSA_iPKfiiiSC_SC_iiiii,@function
_ZN4vllm25paged_attention_v1_kernelIffLi120ELi16ELi128ELNS_18Fp8KVCacheDataTypeE0ELb1EEEvPT_PKS2_PKT0_S8_ifPKiSA_iPKfiiiSC_SC_iiiii: ; @_ZN4vllm25paged_attention_v1_kernelIffLi120ELi16ELi128ELNS_18Fp8KVCacheDataTypeE0ELb1EEEvPT_PKS2_PKT0_S8_ifPKiSA_iPKfiiiSC_SC_iiiii
; %bb.0:
	s_load_dword s9, s[4:5], 0x80
	s_load_dwordx2 s[0:1], s[4:5], 0x30
	s_load_dwordx2 s[30:31], s[4:5], 0x20
	s_mov_b32 s10, s7
	s_ashr_i32 s11, s7, 31
	s_lshl_b64 s[2:3], s[10:11], 2
	s_waitcnt lgkmcnt(0)
	s_add_u32 s0, s0, s2
	s_addc_u32 s1, s1, s3
	s_abs_i32 s2, s30
	v_cvt_f32_u32_e32 v1, s2
	s_sub_i32 s11, 0, s2
	s_abs_i32 s7, s9
	s_xor_b32 s3, s9, s30
	v_rcp_iflag_f32_e32 v1, v1
	s_ashr_i32 s3, s3, 31
	s_mov_b32 s43, 0
	v_mul_f32_e32 v1, 0x4f7ffffe, v1
	v_cvt_u32_f32_e32 v1, v1
	v_readfirstlane_b32 s12, v1
	s_mul_i32 s11, s11, s12
	s_mul_hi_u32 s11, s12, s11
	s_add_i32 s12, s12, s11
	s_mul_hi_u32 s11, s7, s12
	s_mul_i32 s12, s11, s2
	s_sub_i32 s7, s7, s12
	s_add_i32 s12, s11, 1
	s_sub_i32 s13, s7, s2
	s_cmp_ge_u32 s7, s2
	s_cselect_b32 s11, s12, s11
	s_cselect_b32 s7, s13, s7
	s_add_i32 s12, s11, 1
	s_cmp_ge_u32 s7, s2
	s_cselect_b32 s2, s12, s11
	s_xor_b32 s2, s2, s3
	s_sub_i32 s12, s2, s3
	s_abs_i32 s11, s12
	v_cvt_f32_u32_e32 v1, s11
	s_load_dwordx2 s[2:3], s[4:5], 0x40
	s_sub_i32 s7, 0, s11
	s_abs_i32 s22, s6
	v_rcp_iflag_f32_e32 v1, v1
	v_mul_f32_e32 v1, 0x4f7ffffe, v1
	v_cvt_u32_f32_e32 v1, v1
	v_readfirstlane_b32 s13, v1
	s_mul_i32 s7, s7, s13
	s_mul_hi_u32 s7, s13, s7
	s_add_i32 s13, s13, s7
	s_waitcnt lgkmcnt(0)
	s_cmp_eq_u64 s[2:3], 0
	s_mul_hi_u32 s23, s22, s13
	s_cbranch_scc1 .LBB23_2
; %bb.1:
	s_ashr_i32 s7, s6, 31
	s_lshl_b64 s[14:15], s[6:7], 2
	s_add_u32 s2, s2, s14
	s_addc_u32 s3, s3, s15
	s_load_dword s43, s[2:3], 0x0
.LBB23_2:
	s_load_dword s33, s[0:1], 0x0
	s_ashr_i32 s7, s12, 31
	s_load_dwordx4 s[12:15], s[4:5], 0x48
	v_lshrrev_b32_e32 v40, 2, v0
	s_movk_i32 s3, 0x78
	s_ashr_i32 s2, s6, 31
	v_and_b32_e32 v41, 3, v0
	s_mul_i32 s20, s6, 0x78
	v_cmp_gt_u32_e32 vcc, s3, v0
	v_lshlrev_b32_e32 v3, 2, v0
	v_lshlrev_b32_e32 v39, 2, v40
	s_and_saveexec_b64 s[0:1], vcc
	s_cbranch_execz .LBB23_4
; %bb.3:
	s_load_dwordx2 s[16:17], s[4:5], 0x8
	s_waitcnt lgkmcnt(0)
	s_mul_i32 s18, s12, s10
	s_ashr_i32 s19, s18, 31
	s_lshl_b64 s[18:19], s[18:19], 2
	v_mad_u32_u24 v2, v41, s3, v39
	s_add_u32 s12, s16, s18
	s_addc_u32 s15, s17, s19
	s_ashr_i32 s21, s20, 31
	s_lshl_b64 s[16:17], s[20:21], 2
	s_add_u32 s16, s12, s16
	s_addc_u32 s17, s15, s17
	global_load_dword v1, v3, s[16:17]
	s_waitcnt vmcnt(0)
	ds_write_b32 v2, v1
.LBB23_4:
	s_or_b64 exec, exec, s[0:1]
	s_mul_i32 s1, s23, s11
	s_sub_i32 s1, s22, s1
	s_xor_b32 s0, s2, s7
	s_add_i32 s2, s23, 1
	s_sub_i32 s7, s1, s11
	s_load_dwordx4 s[16:19], s[4:5], 0x68
	s_load_dword s3, s[4:5], 0x78
	s_cmp_ge_u32 s1, s11
	s_cselect_b32 s2, s2, s23
	s_cselect_b32 s1, s7, s1
	s_add_i32 s7, s2, 1
	s_cmp_ge_u32 s1, s11
	s_cselect_b32 s1, s7, s2
	s_waitcnt lgkmcnt(0)
	s_abs_i32 s21, s19
	v_cvt_f32_u32_e32 v1, s21
	s_xor_b32 s1, s1, s0
	s_sub_i32 s2, s1, s0
	s_sub_i32 s0, 0, s21
	v_rcp_iflag_f32_e32 v1, v1
	s_add_i32 s11, s33, -1
	s_abs_i32 s7, s11
	v_mul_f32_e32 v1, 0x4f7ffffe, v1
	v_cvt_u32_f32_e32 v1, v1
	s_barrier
	v_readfirstlane_b32 s40, v1
	s_mul_i32 s0, s0, s40
	s_mul_hi_u32 s0, s40, s0
	s_add_i32 s40, s40, s0
	s_cmp_lt_i32 s3, 0
	s_mul_hi_u32 s12, s7, s40
	s_cbranch_scc0 .LBB23_6
; %bb.5:
	s_mul_i32 s0, s16, s30
	s_add_i32 s0, s2, s0
	s_mul_i32 s0, s0, s3
	s_sub_i32 s41, 1, s0
	s_mov_b64 s[0:1], 0
	s_branch .LBB23_7
.LBB23_6:
	s_mov_b64 s[0:1], -1
                                        ; implicit-def: $sgpr41
.LBB23_7:
	s_load_dwordx2 s[24:25], s[4:5], 0x28
	s_ashr_i32 s15, s11, 31
	s_andn2_b64 vcc, exec, s[0:1]
	s_ashr_i32 s19, s19, 31
	s_cbranch_vccnz .LBB23_9
; %bb.8:
	s_mul_i32 s0, s9, s16
	s_add_i32 s0, s0, s6
	s_mul_i32 s0, s0, s3
	s_add_i32 s41, s0, 1
.LBB23_9:
	s_load_dword s0, s[4:5], 0x38
	s_load_dwordx2 s[22:23], s[4:5], 0x0
	s_load_dwordx2 s[28:29], s[4:5], 0x18
	s_load_dword s11, s[4:5], 0x88
	s_xor_b32 s1, s15, s19
	s_waitcnt lgkmcnt(0)
	s_mul_i32 s26, s0, s10
	s_mul_i32 s0, s12, s21
	s_sub_i32 s0, s7, s0
	s_ashr_i32 s27, s26, 31
	s_add_i32 s3, s12, 1
	s_sub_i32 s6, s0, s21
	s_cmp_ge_u32 s0, s21
	s_cselect_b32 s3, s3, s12
	s_cselect_b32 s0, s6, s0
	s_add_i32 s6, s3, 1
	s_cmp_ge_u32 s0, s21
	s_cselect_b32 s0, s6, s3
	s_xor_b32 s0, s0, s1
	s_sub_i32 s12, s0, s1
	s_add_i32 s0, s33, 15
	s_ashr_i32 s1, s0, 31
	s_lshr_b32 s1, s1, 28
	s_add_i32 s0, s0, s1
	s_ashr_i32 s42, s0, 4
	v_lshrrev_b32_e32 v42, 6, v0
	v_cmp_le_i32_e64 s[0:1], s42, v42
	v_cmp_gt_i32_e32 vcc, s42, v42
	v_mov_b32_e32 v9, 0xff7fffff
	s_mul_i32 s14, s2, s14
	v_lshrrev_b32_e32 v4, 4, v0
	v_lshlrev_b32_e32 v43, 4, v42
	v_mbcnt_lo_u32_b32 v5, -1, 0
	s_and_saveexec_b64 s[34:35], vcc
	s_cbranch_execz .LBB23_21
; %bb.10:
	s_load_dwordx2 s[2:3], s[4:5], 0x10
	s_ashr_i32 s15, s14, 31
	s_sub_i32 s16, s12, s17
	s_lshl_b64 s[4:5], s[14:15], 2
	v_bfe_u32 v6, v0, 2, 4
	s_waitcnt lgkmcnt(0)
	s_add_u32 s2, s2, s4
	s_addc_u32 s3, s3, s5
	s_abs_i32 s15, s18
	v_cvt_f32_u32_e32 v1, s15
	v_mov_b32_e32 v8, s3
	s_sub_i32 s3, 0, s15
	v_lshlrev_b32_e32 v7, 4, v6
	v_rcp_iflag_f32_e32 v1, v1
	s_lshl_b64 s[4:5], s[26:27], 2
	v_lshlrev_b32_e32 v2, 2, v41
	v_lshlrev_b32_e32 v9, 2, v6
	v_mul_f32_e32 v1, 0x4f7ffffe, v1
	v_cvt_u32_f32_e32 v1, v1
	s_add_u32 s4, s24, s4
	s_addc_u32 s5, s25, s5
	v_lshl_or_b32 v9, v42, 6, v9
	v_mul_lo_u32 v10, s3, v1
	v_add_co_u32_e64 v7, s[2:3], s2, v7
	v_addc_co_u32_e64 v8, s[2:3], 0, v8, s[2:3]
	v_mul_hi_u32 v11, v1, v10
	v_add_co_u32_e64 v7, s[2:3], v7, v2
	v_mbcnt_hi_u32_b32 v16, -1, v5
	v_add_u32_e32 v11, v1, v11
	v_and_b32_e32 v1, 60, v4
	v_addc_co_u32_e64 v8, s[2:3], 0, v8, s[2:3]
	v_mov_b32_e32 v2, s5
	v_add_co_u32_e64 v1, s[4:5], s4, v1
	v_subrev_u32_e32 v13, s33, v6
	v_add_u32_e32 v14, 0x1f0, v9
	v_and_b32_e32 v9, 64, v16
	v_cmp_eq_u32_e32 vcc, 0, v41
	s_mov_b32 s30, s13
	v_mul_u32_u24_e32 v10, 0x78, v41
	v_cmp_neq_f32_e64 s[2:3], s43, 0
	v_addc_co_u32_e64 v2, s[4:5], 0, v2, s[4:5]
	v_lshlrev_b32_e32 v12, 4, v42
	v_add_u32_e32 v13, 1, v13
	v_mov_b32_e32 v15, 0xff7fffff
	s_mov_b64 s[36:37], 0
	s_movk_i32 s44, 0x1000
	v_add_u32_e32 v17, 64, v9
	v_xor_b32_e32 v18, 2, v16
	v_xor_b32_e32 v19, 1, v16
	v_mov_b32_e32 v9, 0xff7fffff
	v_mov_b32_e32 v20, v42
	s_branch .LBB23_13
.LBB23_11:                              ;   in Loop: Header=BB23_13 Depth=1
	s_or_b64 exec, exec, s[38:39]
.LBB23_12:                              ;   in Loop: Header=BB23_13 Depth=1
	s_or_b64 exec, exec, s[6:7]
	v_add_co_u32_e64 v1, s[4:5], 8, v1
	v_add_u32_e32 v20, 2, v20
	v_addc_co_u32_e64 v2, s[4:5], 0, v2, s[4:5]
	v_cmp_le_i32_e64 s[4:5], s42, v20
	v_add_u32_e32 v12, 32, v12
	s_or_b64 s[36:37], s[4:5], s[36:37]
	v_add_u32_e32 v14, 0x80, v14
	s_andn2_b64 exec, exec, s[36:37]
	s_cbranch_execz .LBB23_20
.LBB23_13:                              ; =>This Inner Loop Header: Depth=1
	v_mul_hi_u32 v21, v12, s40
	s_waitcnt lgkmcnt(0)
	v_mul_lo_u32 v22, v21, s21
	v_add_u32_e32 v23, 1, v21
	v_sub_u32_e32 v22, v12, v22
	v_cmp_le_u32_e64 s[4:5], s21, v22
	v_cndmask_b32_e64 v21, v21, v23, s[4:5]
	v_subrev_u32_e32 v23, s21, v22
	v_cndmask_b32_e64 v22, v22, v23, s[4:5]
	v_add_u32_e32 v23, 1, v21
	v_cmp_le_u32_e64 s[4:5], s21, v22
	v_cndmask_b32_e64 v21, v21, v23, s[4:5]
	v_xor_b32_e32 v21, s19, v21
	v_subrev_u32_e32 v21, s19, v21
	v_add_u32_e32 v22, s41, v21
	v_sub_u32_e32 v23, 0, v22
	v_max_i32_e32 v23, v22, v23
	v_mul_hi_u32 v24, v23, v11
	v_ashrrev_i32_e32 v22, 31, v22
	v_cmp_ge_i32_e64 s[6:7], s16, v21
	v_mul_lo_u32 v24, v24, s15
	v_sub_u32_e32 v23, v23, v24
	v_subrev_u32_e32 v24, s15, v23
	v_cmp_le_u32_e64 s[4:5], s15, v23
	v_cndmask_b32_e64 v23, v23, v24, s[4:5]
	v_subrev_u32_e32 v24, s15, v23
	v_cmp_le_u32_e64 s[4:5], s15, v23
	v_cndmask_b32_e64 v23, v23, v24, s[4:5]
	v_xor_b32_e32 v23, v23, v22
	v_sub_u32_e32 v22, v23, v22
	v_cmp_ne_u32_e64 s[4:5], 0, v22
	s_and_b64 s[4:5], s[4:5], s[6:7]
	s_and_saveexec_b64 s[6:7], s[4:5]
	s_xor_b64 s[4:5], exec, s[6:7]
	s_cbranch_execz .LBB23_17
; %bb.14:                               ;   in Loop: Header=BB23_13 Depth=1
	s_and_saveexec_b64 s[6:7], vcc
; %bb.15:                               ;   in Loop: Header=BB23_13 Depth=1
	ds_write_b32 v14, v15
; %bb.16:                               ;   in Loop: Header=BB23_13 Depth=1
	s_or_b64 exec, exec, s[6:7]
.LBB23_17:                              ;   in Loop: Header=BB23_13 Depth=1
	s_andn2_saveexec_b64 s[6:7], s[4:5]
	s_cbranch_execz .LBB23_12
; %bb.18:                               ;   in Loop: Header=BB23_13 Depth=1
	global_load_dword v21, v[1:2], off
	s_waitcnt vmcnt(0)
	v_mad_i64_i32 v[21:22], s[4:5], v21, s30, 0
	v_lshlrev_b64 v[21:22], 2, v[21:22]
	v_add_co_u32_e64 v30, s[4:5], v7, v21
	v_addc_co_u32_e64 v31, s[4:5], v8, v22, s[4:5]
	global_load_dword v21, v[30:31], off offset:256
	global_load_dword v32, v[30:31], off
	global_load_dword v33, v[30:31], off offset:512
	global_load_dword v34, v[30:31], off offset:768
	;; [unrolled: 1-line block ×6, first 2 shown]
	ds_read2_b64 v[22:25], v10 offset1:1
	ds_read2_b64 v[26:29], v10 offset0:2 offset1:3
	s_waitcnt vmcnt(7) lgkmcnt(1)
	v_mul_f32_e32 v21, v23, v21
	s_waitcnt vmcnt(6)
	v_fmac_f32_e32 v21, v22, v32
	s_waitcnt vmcnt(5)
	v_fmac_f32_e32 v21, v24, v33
	;; [unrolled: 2-line block ×3, first 2 shown]
	global_load_dword v32, v[30:31], off offset:2048
	global_load_dword v33, v[30:31], off offset:2304
	;; [unrolled: 1-line block ×4, first 2 shown]
	s_waitcnt vmcnt(7) lgkmcnt(0)
	v_fmac_f32_e32 v21, v26, v35
	s_waitcnt vmcnt(6)
	v_fmac_f32_e32 v21, v27, v36
	ds_read2_b64 v[22:25], v10 offset0:4 offset1:5
	s_waitcnt vmcnt(5)
	v_fmac_f32_e32 v21, v28, v37
	s_waitcnt vmcnt(4)
	v_fmac_f32_e32 v21, v29, v38
	global_load_dword v35, v[30:31], off offset:3072
	global_load_dword v36, v[30:31], off offset:3328
	;; [unrolled: 1-line block ×4, first 2 shown]
	v_add_co_u32_e64 v30, s[4:5], s44, v30
	v_addc_co_u32_e64 v31, s[4:5], 0, v31, s[4:5]
	ds_read2_b64 v[26:29], v10 offset0:6 offset1:7
	v_cmp_lt_i32_e64 s[4:5], v18, v17
	s_waitcnt vmcnt(7) lgkmcnt(1)
	v_fmac_f32_e32 v21, v22, v32
	s_waitcnt vmcnt(6)
	v_fmac_f32_e32 v21, v23, v33
	s_waitcnt vmcnt(5)
	;; [unrolled: 2-line block ×3, first 2 shown]
	v_fmac_f32_e32 v21, v25, v44
	global_load_dword v32, v[30:31], off
	global_load_dword v33, v[30:31], off offset:256
	global_load_dword v34, v[30:31], off offset:512
	;; [unrolled: 1-line block ×3, first 2 shown]
	ds_read2_b64 v[22:25], v10 offset0:8 offset1:9
	s_waitcnt vmcnt(7) lgkmcnt(1)
	v_fmac_f32_e32 v21, v26, v35
	s_waitcnt vmcnt(6)
	v_fmac_f32_e32 v21, v27, v36
	global_load_dword v35, v[30:31], off offset:1024
	global_load_dword v36, v[30:31], off offset:1280
	s_waitcnt vmcnt(7)
	v_fmac_f32_e32 v21, v28, v37
	s_waitcnt vmcnt(6)
	v_fmac_f32_e32 v21, v29, v38
	ds_read2_b64 v[26:29], v10 offset0:10 offset1:11
	global_load_dword v37, v[30:31], off offset:1536
	global_load_dword v38, v[30:31], off offset:1792
	s_waitcnt vmcnt(7) lgkmcnt(1)
	v_fmac_f32_e32 v21, v22, v32
	s_waitcnt vmcnt(6)
	v_fmac_f32_e32 v21, v23, v33
	s_waitcnt vmcnt(5)
	;; [unrolled: 2-line block ×3, first 2 shown]
	v_fmac_f32_e32 v21, v25, v44
	global_load_dword v32, v[30:31], off offset:2048
	global_load_dword v33, v[30:31], off offset:2304
	;; [unrolled: 1-line block ×5, first 2 shown]
	s_nop 0
	global_load_dword v30, v[30:31], off offset:3328
	s_waitcnt vmcnt(9) lgkmcnt(0)
	v_fmac_f32_e32 v21, v26, v35
	s_waitcnt vmcnt(8)
	v_fmac_f32_e32 v21, v27, v36
	ds_read2_b64 v[22:25], v10 offset0:12 offset1:13
	ds_read_b64 v[26:27], v10 offset:112
	s_waitcnt vmcnt(7)
	v_fmac_f32_e32 v21, v28, v37
	s_waitcnt vmcnt(6)
	v_fmac_f32_e32 v21, v29, v38
	v_cndmask_b32_e64 v28, v16, v18, s[4:5]
	v_lshlrev_b32_e32 v28, 2, v28
	v_cmp_lt_i32_e64 s[4:5], v19, v17
	s_waitcnt vmcnt(5) lgkmcnt(1)
	v_fmac_f32_e32 v21, v22, v32
	s_waitcnt vmcnt(4)
	v_fmac_f32_e32 v21, v23, v33
	s_waitcnt vmcnt(3)
	;; [unrolled: 2-line block ×3, first 2 shown]
	v_fmac_f32_e32 v21, v25, v44
	s_waitcnt vmcnt(1) lgkmcnt(0)
	v_fmac_f32_e32 v21, v26, v45
	s_waitcnt vmcnt(0)
	v_fmac_f32_e32 v21, v27, v30
	ds_bpermute_b32 v22, v28, v21
	v_cndmask_b32_e64 v23, v16, v19, s[4:5]
	v_lshlrev_b32_e32 v23, 2, v23
	s_waitcnt lgkmcnt(0)
	v_add_f32_e32 v21, v21, v22
	ds_bpermute_b32 v22, v23, v21
	s_and_saveexec_b64 s[38:39], vcc
	s_cbranch_execz .LBB23_11
; %bb.19:                               ;   in Loop: Header=BB23_13 Depth=1
	v_add_u32_e32 v23, v13, v12
	v_cvt_f32_i32_e32 v23, v23
	s_waitcnt lgkmcnt(0)
	v_add_f32_e32 v21, v21, v22
	v_add_u32_e32 v24, v6, v12
	v_cmp_gt_i32_e64 s[4:5], s33, v24
	v_mul_f32_e32 v22, s43, v23
	v_cndmask_b32_e64 v22, 0, v22, s[2:3]
	v_fmac_f32_e32 v22, s31, v21
	v_cndmask_b32_e64 v21, 0, v22, s[4:5]
	ds_write_b32 v14, v21
	v_max_f32_e32 v21, v9, v9
	v_max_f32_e32 v21, v21, v22
	v_cndmask_b32_e64 v9, v9, v21, s[4:5]
	s_branch .LBB23_11
.LBB23_20:
	s_or_b64 exec, exec, s[36:37]
.LBB23_21:
	s_or_b64 exec, exec, s[34:35]
	v_mbcnt_hi_u32_b32 v2, -1, v5
	v_and_b32_e32 v12, 64, v2
	v_add_u32_e32 v5, 64, v12
	v_xor_b32_e32 v1, 32, v2
	v_cmp_lt_i32_e32 vcc, v1, v5
	v_cndmask_b32_e32 v1, v2, v1, vcc
	v_lshlrev_b32_e32 v6, 2, v1
	ds_bpermute_b32 v1, v6, v9
	v_xor_b32_e32 v8, 16, v2
	v_max_f32_e32 v7, v9, v9
	v_cmp_lt_i32_e32 vcc, v8, v5
	v_xor_b32_e32 v9, 8, v2
	s_waitcnt lgkmcnt(0)
	v_max_f32_e32 v1, v1, v1
	v_max_f32_e32 v1, v7, v1
	v_cndmask_b32_e32 v7, v2, v8, vcc
	v_lshlrev_b32_e32 v7, 2, v7
	ds_bpermute_b32 v8, v7, v1
	v_cmp_lt_i32_e32 vcc, v9, v5
	v_xor_b32_e32 v11, 4, v2
	s_waitcnt lgkmcnt(0)
	v_max_f32_e32 v8, v8, v8
	v_max_f32_e32 v1, v1, v8
	v_cndmask_b32_e32 v8, v2, v9, vcc
	v_lshlrev_b32_e32 v10, 2, v8
	ds_bpermute_b32 v8, v10, v1
	v_cmp_lt_i32_e32 vcc, v11, v5
	s_waitcnt lgkmcnt(0)
	v_max_f32_e32 v8, v8, v8
	v_max_f32_e32 v9, v1, v8
	v_cndmask_b32_e32 v1, v2, v11, vcc
	v_lshlrev_b32_e32 v11, 2, v1
	ds_bpermute_b32 v13, v11, v9
	v_and_b32_e32 v1, 63, v0
	v_cmp_eq_u32_e32 vcc, 0, v1
	v_lshlrev_b32_e32 v8, 2, v42
	s_and_saveexec_b64 s[2:3], vcc
	s_cbranch_execz .LBB23_23
; %bb.22:
	s_waitcnt lgkmcnt(0)
	v_max_f32_e32 v13, v13, v13
	v_max_f32_e32 v9, v9, v9
	v_max_f32_e32 v9, v9, v13
	ds_write_b32 v8, v9 offset:480
.LBB23_23:
	s_or_b64 exec, exec, s[2:3]
	v_cmp_gt_u32_e64 s[2:3], 2, v1
	s_waitcnt lgkmcnt(0)
	v_mov_b32_e32 v13, 0xff7fffff
	v_lshlrev_b32_e32 v9, 2, v1
	s_barrier
	s_and_saveexec_b64 s[4:5], s[2:3]
; %bb.24:
	ds_read_b32 v13, v9 offset:480
; %bb.25:
	s_or_b64 exec, exec, s[4:5]
	v_xor_b32_e32 v14, 1, v2
	v_cmp_lt_i32_e64 s[4:5], v14, v5
	v_cndmask_b32_e64 v14, v2, v14, s[4:5]
	v_lshlrev_b32_e32 v44, 2, v14
	s_waitcnt lgkmcnt(0)
	ds_bpermute_b32 v14, v44, v13
	v_max_f32_e32 v13, v13, v13
	v_lshlrev_b32_e32 v12, 2, v12
	s_lshl_b32 s4, s42, 4
	s_min_i32 s15, s4, s33
	s_waitcnt lgkmcnt(0)
	v_max_f32_e32 v14, v14, v14
	v_max_f32_e32 v13, v13, v14
	ds_bpermute_b32 v13, v12, v13
	v_cmp_gt_i32_e64 s[4:5], s15, v0
	v_mov_b32_e32 v12, 0
	s_and_saveexec_b64 s[30:31], s[4:5]
	s_cbranch_execz .LBB23_29
; %bb.26:
	v_mov_b32_e32 v12, 0x1f0
	v_lshl_add_u32 v14, v0, 2, v12
	v_mov_b32_e32 v12, 0
	s_mov_b64 s[34:35], 0
	v_mov_b32_e32 v15, v0
.LBB23_27:                              ; =>This Inner Loop Header: Depth=1
	ds_read_b32 v16, v14
	v_add_u32_e32 v15, 0x80, v15
	v_cmp_le_i32_e64 s[6:7], s15, v15
	s_or_b64 s[34:35], s[6:7], s[34:35]
	s_waitcnt lgkmcnt(0)
	v_sub_f32_e32 v16, v16, v13
	v_mul_f32_e32 v16, 0x3fb8aa3b, v16
	v_exp_f32_e32 v16, v16
	ds_write_b32 v14, v16
	v_add_f32_e32 v12, v12, v16
	v_add_u32_e32 v14, 0x200, v14
	s_andn2_b64 exec, exec, s[34:35]
	s_cbranch_execnz .LBB23_27
; %bb.28:
	s_or_b64 exec, exec, s[34:35]
.LBB23_29:
	s_or_b64 exec, exec, s[30:31]
	ds_bpermute_b32 v6, v6, v12
	s_waitcnt lgkmcnt(0)
	v_add_f32_e32 v6, v12, v6
	ds_bpermute_b32 v7, v7, v6
	s_waitcnt lgkmcnt(0)
	v_add_f32_e32 v6, v6, v7
	ds_bpermute_b32 v7, v10, v6
	v_xor_b32_e32 v10, 2, v2
	v_cmp_lt_i32_e64 s[6:7], v10, v5
	v_cndmask_b32_e64 v5, v2, v10, s[6:7]
	v_lshlrev_b32_e32 v45, 2, v5
	s_waitcnt lgkmcnt(0)
	v_add_f32_e32 v6, v6, v7
	ds_bpermute_b32 v7, v11, v6
	s_waitcnt lgkmcnt(0)
	v_add_f32_e32 v6, v6, v7
	ds_bpermute_b32 v5, v45, v6
	;; [unrolled: 3-line block ×3, first 2 shown]
	s_waitcnt lgkmcnt(0)
	v_add_f32_e32 v5, v5, v6
	s_and_saveexec_b64 s[6:7], vcc
; %bb.30:
	ds_write_b32 v8, v5 offset:488
; %bb.31:
	s_or_b64 exec, exec, s[6:7]
	s_waitcnt lgkmcnt(0)
	s_barrier
	s_and_saveexec_b64 s[6:7], s[2:3]
; %bb.32:
	ds_read_b32 v5, v9 offset:488
; %bb.33:
	s_or_b64 exec, exec, s[6:7]
	s_waitcnt lgkmcnt(0)
	ds_bpermute_b32 v6, v44, v5
	v_lshlrev_b32_e32 v2, 2, v2
	v_and_b32_e32 v2, 0x100, v2
	s_waitcnt lgkmcnt(0)
	v_add_f32_e32 v5, v5, v6
	ds_bpermute_b32 v2, v2, v5
	s_and_saveexec_b64 s[2:3], s[4:5]
	s_cbranch_execz .LBB23_36
; %bb.34:
	s_waitcnt lgkmcnt(0)
	v_add_f32_e32 v5, 0x358637bd, v2
	v_div_scale_f32 v2, s[4:5], v5, v5, 1.0
	v_div_scale_f32 v6, vcc, 1.0, v5, 1.0
	s_mov_b64 s[4:5], 0
	v_rcp_f32_e32 v7, v2
	v_fma_f32 v8, -v2, v7, 1.0
	v_fmac_f32_e32 v7, v8, v7
	v_mul_f32_e32 v8, v6, v7
	v_fma_f32 v9, -v2, v8, v6
	v_fmac_f32_e32 v8, v9, v7
	v_fma_f32 v2, -v2, v8, v6
	v_div_fmas_f32 v6, v2, v7, v8
	v_mov_b32_e32 v2, 0x1f0
	v_lshl_add_u32 v2, v0, 2, v2
	v_div_fixup_f32 v5, v6, v5, 1.0
	v_mov_b32_e32 v6, v0
.LBB23_35:                              ; =>This Inner Loop Header: Depth=1
	ds_read_b32 v7, v2
	v_add_u32_e32 v6, 0x80, v6
	v_cmp_le_i32_e32 vcc, s15, v6
	s_or_b64 s[4:5], vcc, s[4:5]
	s_waitcnt lgkmcnt(0)
	v_mul_f32_e32 v7, v5, v7
	ds_write_b32 v2, v7
	v_add_u32_e32 v2, 0x200, v2
	s_andn2_b64 exec, exec, s[4:5]
	s_cbranch_execnz .LBB23_35
.LBB23_36:
	s_or_b64 exec, exec, s[2:3]
	v_lshrrev_b32_e32 v46, 2, v1
	s_waitcnt lgkmcnt(0)
	s_barrier
	s_and_saveexec_b64 s[2:3], s[0:1]
	s_xor_b64 s[0:1], exec, s[2:3]
; %bb.37:
	v_lshrrev_b32_e32 v46, 2, v1
                                        ; implicit-def: $vgpr43
                                        ; implicit-def: $vgpr42
                                        ; implicit-def: $vgpr3
                                        ; implicit-def: $vgpr4
; %bb.38:
	s_or_saveexec_b64 s[4:5], s[0:1]
	v_mov_b32_e32 v54, 0
	v_mov_b32_e32 v53, 0
	;; [unrolled: 1-line block ×8, first 2 shown]
	s_xor_b64 exec, exec, s[4:5]
	s_cbranch_execz .LBB23_62
; %bb.39:
	s_ashr_i32 s15, s14, 31
	s_sub_i32 s30, s12, s17
	s_lshl_b64 s[0:1], s[14:15], 2
	s_add_u32 s28, s28, s0
	s_addc_u32 s29, s29, s1
	s_abs_i32 s18, s18
	v_cvt_f32_u32_e32 v1, s18
	s_sub_i32 s1, 0, s18
	v_and_b32_e32 v55, 12, v3
	v_and_b32_e32 v3, 60, v4
	v_rcp_iflag_f32_e32 v1, v1
	s_add_i32 s34, s42, -1
	s_lshl_b64 s[2:3], s[26:27], 2
	s_add_u32 s2, s24, s2
	v_mul_f32_e32 v1, 0x4f7ffffe, v1
	v_cvt_u32_f32_e32 v1, v1
	s_addc_u32 s3, s25, s3
	v_add_co_u32_e32 v37, vcc, s2, v3
	v_mul_lo_u32 v4, s1, v1
	v_or_b32_e32 v2, 0x70, v46
	s_movk_i32 s0, 0x78
	v_lshl_or_b32 v5, v46, 4, v55
	v_mul_hi_u32 v4, v1, v4
	v_cmp_gt_u32_e64 s[0:1], s0, v2
	v_lshl_or_b32 v2, v2, 4, v55
	s_mov_b32 s31, s13
	v_add_u32_e32 v56, v1, v4
	v_mov_b32_e32 v1, s3
	v_addc_co_u32_e32 v38, vcc, 0, v1, vcc
	v_lshlrev_b32_e32 v1, 4, v41
	v_lshl_or_b32 v1, v42, 6, v1
	v_mov_b32_e32 v47, 0
	v_add_u32_e32 v57, 0x1f0, v1
	s_mov_b64 s[6:7], 0
	v_lshlrev_b32_e32 v58, 2, v5
	v_lshlrev_b32_e32 v59, 2, v2
	v_mov_b32_e32 v48, 0
	v_mov_b32_e32 v49, 0
	;; [unrolled: 1-line block ×7, first 2 shown]
	s_branch .LBB23_43
.LBB23_40:                              ;   in Loop: Header=BB23_43 Depth=1
	s_or_b64 exec, exec, s[16:17]
	s_waitcnt vmcnt(0) lgkmcnt(0)
	v_mul_f32_e32 v33, v5, v33
	v_fmac_f32_e32 v33, v6, v34
	v_fmac_f32_e32 v33, v7, v35
	;; [unrolled: 1-line block ×3, first 2 shown]
	v_add_f32_e32 v47, v47, v33
.LBB23_41:                              ;   in Loop: Header=BB23_43 Depth=1
	s_or_b64 exec, exec, s[14:15]
	s_waitcnt vmcnt(0) lgkmcnt(0)
	v_mul_f32_e32 v29, v5, v29
	v_mul_f32_e32 v25, v5, v25
	;; [unrolled: 1-line block ×7, first 2 shown]
	v_fmac_f32_e32 v29, v6, v30
	v_fmac_f32_e32 v25, v6, v26
	;; [unrolled: 1-line block ×21, first 2 shown]
	v_add_f32_e32 v48, v48, v29
	v_add_f32_e32 v49, v49, v25
	;; [unrolled: 1-line block ×7, first 2 shown]
.LBB23_42:                              ;   in Loop: Header=BB23_43 Depth=1
	s_or_b64 exec, exec, s[12:13]
	v_add_co_u32_e32 v37, vcc, 8, v37
	v_add_u32_e32 v42, 2, v42
	v_addc_co_u32_e32 v38, vcc, 0, v38, vcc
	v_cmp_le_i32_e32 vcc, s42, v42
	v_add_u32_e32 v43, 32, v43
	s_or_b64 s[6:7], vcc, s[6:7]
	v_add_u32_e32 v57, 0x80, v57
	s_andn2_b64 exec, exec, s[6:7]
	s_cbranch_execz .LBB23_61
.LBB23_43:                              ; =>This Inner Loop Header: Depth=1
	v_mul_hi_u32 v1, v43, s40
	v_mul_lo_u32 v2, v1, s21
	v_add_u32_e32 v3, 1, v1
	v_sub_u32_e32 v2, v43, v2
	v_cmp_le_u32_e32 vcc, s21, v2
	v_cndmask_b32_e32 v1, v1, v3, vcc
	v_subrev_u32_e32 v3, s21, v2
	v_cndmask_b32_e32 v2, v2, v3, vcc
	v_add_u32_e32 v3, 1, v1
	v_cmp_le_u32_e32 vcc, s21, v2
	v_cndmask_b32_e32 v1, v1, v3, vcc
	v_xor_b32_e32 v1, s19, v1
	v_subrev_u32_e32 v1, s19, v1
	v_add_u32_e32 v2, s41, v1
	v_sub_u32_e32 v3, 0, v2
	v_max_i32_e32 v3, v2, v3
	v_mul_hi_u32 v4, v3, v56
	v_ashrrev_i32_e32 v2, 31, v2
	v_cmp_lt_i32_e64 s[2:3], s30, v1
	v_mul_lo_u32 v4, v4, s18
	v_sub_u32_e32 v3, v3, v4
	v_subrev_u32_e32 v4, s18, v3
	v_cmp_le_u32_e32 vcc, s18, v3
	v_cndmask_b32_e32 v3, v3, v4, vcc
	v_subrev_u32_e32 v4, s18, v3
	v_cmp_le_u32_e32 vcc, s18, v3
	v_cndmask_b32_e32 v3, v3, v4, vcc
	v_xor_b32_e32 v3, v3, v2
	v_sub_u32_e32 v2, v3, v2
	v_cmp_eq_u32_e32 vcc, 0, v2
	s_or_b64 s[2:3], vcc, s[2:3]
	s_and_saveexec_b64 s[12:13], s[2:3]
	s_cbranch_execz .LBB23_42
; %bb.44:                               ;   in Loop: Header=BB23_43 Depth=1
	global_load_dword v1, v[37:38], off
	v_mov_b32_e32 v3, s29
	ds_read_b128 v[5:8], v57
	v_add_u32_e32 v60, v55, v43
	s_waitcnt vmcnt(0)
	v_mad_i64_i32 v[1:2], s[2:3], v1, s31, 0
	v_cmp_eq_u32_e64 s[2:3], s34, v42
	v_lshlrev_b64 v[1:2], 2, v[1:2]
	v_add_co_u32_e32 v33, vcc, s28, v1
	v_addc_co_u32_e32 v34, vcc, v3, v2, vcc
	v_add_co_u32_e32 v29, vcc, v33, v58
	v_addc_co_u32_e32 v30, vcc, 0, v34, vcc
	global_load_dwordx4 v[1:4], v[29:30], off
	s_and_saveexec_b64 s[14:15], s[2:3]
	s_cbranch_execnz .LBB23_58
; %bb.45:                               ;   in Loop: Header=BB23_43 Depth=1
	s_or_b64 exec, exec, s[14:15]
	global_load_dwordx4 v[9:12], v[29:30], off offset:1024
	s_and_saveexec_b64 s[14:15], s[2:3]
	s_cbranch_execnz .LBB23_59
.LBB23_46:                              ;   in Loop: Header=BB23_43 Depth=1
	s_or_b64 exec, exec, s[14:15]
	global_load_dwordx4 v[13:16], v[29:30], off offset:2048
	s_and_saveexec_b64 s[14:15], s[2:3]
	s_cbranch_execnz .LBB23_60
.LBB23_47:                              ;   in Loop: Header=BB23_43 Depth=1
	s_or_b64 exec, exec, s[14:15]
	global_load_dwordx4 v[17:20], v[29:30], off offset:3072
	s_and_saveexec_b64 s[14:15], s[2:3]
	s_cbranch_execz .LBB23_49
.LBB23_48:                              ;   in Loop: Header=BB23_43 Depth=1
	v_cmp_gt_i32_e32 vcc, s33, v60
	v_add_u32_e32 v21, 1, v60
	s_waitcnt vmcnt(0)
	v_cndmask_b32_e32 v17, 0, v17, vcc
	v_cmp_gt_i32_e32 vcc, s33, v21
	v_add_u32_e32 v21, 2, v60
	v_cndmask_b32_e32 v18, 0, v18, vcc
	v_cmp_gt_i32_e32 vcc, s33, v21
	v_add_u32_e32 v21, 3, v60
	v_cndmask_b32_e32 v19, 0, v19, vcc
	v_cmp_gt_i32_e32 vcc, s33, v21
	v_cndmask_b32_e32 v20, 0, v20, vcc
.LBB23_49:                              ;   in Loop: Header=BB23_43 Depth=1
	s_or_b64 exec, exec, s[14:15]
	v_add_co_u32_e32 v21, vcc, 0x1000, v29
	v_addc_co_u32_e32 v22, vcc, 0, v30, vcc
	global_load_dwordx4 v[21:24], v[21:22], off
	s_and_saveexec_b64 s[14:15], s[2:3]
	s_cbranch_execz .LBB23_51
; %bb.50:                               ;   in Loop: Header=BB23_43 Depth=1
	v_cmp_gt_i32_e32 vcc, s33, v60
	v_add_u32_e32 v25, 1, v60
	s_waitcnt vmcnt(0)
	v_cndmask_b32_e32 v21, 0, v21, vcc
	v_cmp_gt_i32_e32 vcc, s33, v25
	v_add_u32_e32 v25, 2, v60
	v_cndmask_b32_e32 v22, 0, v22, vcc
	v_cmp_gt_i32_e32 vcc, s33, v25
	v_add_u32_e32 v25, 3, v60
	v_cndmask_b32_e32 v23, 0, v23, vcc
	v_cmp_gt_i32_e32 vcc, s33, v25
	v_cndmask_b32_e32 v24, 0, v24, vcc
.LBB23_51:                              ;   in Loop: Header=BB23_43 Depth=1
	s_or_b64 exec, exec, s[14:15]
	v_add_co_u32_e32 v25, vcc, 0x1000, v29
	v_addc_co_u32_e32 v26, vcc, 0, v30, vcc
	global_load_dwordx4 v[25:28], v[25:26], off offset:1024
	s_and_saveexec_b64 s[14:15], s[2:3]
	s_cbranch_execz .LBB23_53
; %bb.52:                               ;   in Loop: Header=BB23_43 Depth=1
	v_cmp_gt_i32_e32 vcc, s33, v60
	v_add_u32_e32 v31, 1, v60
	s_waitcnt vmcnt(0)
	v_cndmask_b32_e32 v25, 0, v25, vcc
	v_cmp_gt_i32_e32 vcc, s33, v31
	v_add_u32_e32 v31, 2, v60
	v_cndmask_b32_e32 v26, 0, v26, vcc
	v_cmp_gt_i32_e32 vcc, s33, v31
	v_add_u32_e32 v31, 3, v60
	v_cndmask_b32_e32 v27, 0, v27, vcc
	v_cmp_gt_i32_e32 vcc, s33, v31
	v_cndmask_b32_e32 v28, 0, v28, vcc
.LBB23_53:                              ;   in Loop: Header=BB23_43 Depth=1
	s_or_b64 exec, exec, s[14:15]
	v_add_co_u32_e32 v29, vcc, 0x1000, v29
	v_addc_co_u32_e32 v30, vcc, 0, v30, vcc
	global_load_dwordx4 v[29:32], v[29:30], off offset:2048
	s_and_saveexec_b64 s[14:15], s[2:3]
	s_cbranch_execz .LBB23_55
; %bb.54:                               ;   in Loop: Header=BB23_43 Depth=1
	v_cmp_gt_i32_e32 vcc, s33, v60
	v_add_u32_e32 v35, 1, v60
	s_waitcnt vmcnt(0)
	v_cndmask_b32_e32 v29, 0, v29, vcc
	v_cmp_gt_i32_e32 vcc, s33, v35
	v_add_u32_e32 v35, 2, v60
	v_cndmask_b32_e32 v30, 0, v30, vcc
	v_cmp_gt_i32_e32 vcc, s33, v35
	v_add_u32_e32 v35, 3, v60
	v_cndmask_b32_e32 v31, 0, v31, vcc
	v_cmp_gt_i32_e32 vcc, s33, v35
	v_cndmask_b32_e32 v32, 0, v32, vcc
.LBB23_55:                              ;   in Loop: Header=BB23_43 Depth=1
	s_or_b64 exec, exec, s[14:15]
	s_and_saveexec_b64 s[14:15], s[0:1]
	s_cbranch_execz .LBB23_41
; %bb.56:                               ;   in Loop: Header=BB23_43 Depth=1
	v_add_co_u32_e32 v33, vcc, v33, v59
	v_addc_co_u32_e32 v34, vcc, 0, v34, vcc
	global_load_dwordx4 v[33:36], v[33:34], off
	s_and_saveexec_b64 s[16:17], s[2:3]
	s_cbranch_execz .LBB23_40
; %bb.57:                               ;   in Loop: Header=BB23_43 Depth=1
	v_cmp_gt_i32_e32 vcc, s33, v60
	v_add_u32_e32 v61, 1, v60
	s_waitcnt vmcnt(0)
	v_cndmask_b32_e32 v33, 0, v33, vcc
	v_cmp_gt_i32_e32 vcc, s33, v61
	v_add_u32_e32 v61, 2, v60
	v_cndmask_b32_e32 v34, 0, v34, vcc
	v_cmp_gt_i32_e32 vcc, s33, v61
	v_add_u32_e32 v60, 3, v60
	v_cndmask_b32_e32 v35, 0, v35, vcc
	v_cmp_gt_i32_e32 vcc, s33, v60
	v_cndmask_b32_e32 v36, 0, v36, vcc
	s_branch .LBB23_40
.LBB23_58:                              ;   in Loop: Header=BB23_43 Depth=1
	v_cmp_gt_i32_e32 vcc, s33, v60
	v_add_u32_e32 v9, 1, v60
	s_waitcnt vmcnt(0)
	v_cndmask_b32_e32 v1, 0, v1, vcc
	v_cmp_gt_i32_e32 vcc, s33, v9
	v_add_u32_e32 v9, 2, v60
	v_cndmask_b32_e32 v2, 0, v2, vcc
	v_cmp_gt_i32_e32 vcc, s33, v9
	v_add_u32_e32 v9, 3, v60
	v_cndmask_b32_e32 v3, 0, v3, vcc
	v_cmp_gt_i32_e32 vcc, s33, v9
	v_cndmask_b32_e32 v4, 0, v4, vcc
	s_or_b64 exec, exec, s[14:15]
	global_load_dwordx4 v[9:12], v[29:30], off offset:1024
	s_and_saveexec_b64 s[14:15], s[2:3]
	s_cbranch_execz .LBB23_46
.LBB23_59:                              ;   in Loop: Header=BB23_43 Depth=1
	v_cmp_gt_i32_e32 vcc, s33, v60
	v_add_u32_e32 v13, 1, v60
	s_waitcnt vmcnt(0)
	v_cndmask_b32_e32 v9, 0, v9, vcc
	v_cmp_gt_i32_e32 vcc, s33, v13
	v_add_u32_e32 v13, 2, v60
	v_cndmask_b32_e32 v10, 0, v10, vcc
	v_cmp_gt_i32_e32 vcc, s33, v13
	v_add_u32_e32 v13, 3, v60
	v_cndmask_b32_e32 v11, 0, v11, vcc
	v_cmp_gt_i32_e32 vcc, s33, v13
	v_cndmask_b32_e32 v12, 0, v12, vcc
	s_or_b64 exec, exec, s[14:15]
	global_load_dwordx4 v[13:16], v[29:30], off offset:2048
	s_and_saveexec_b64 s[14:15], s[2:3]
	s_cbranch_execz .LBB23_47
.LBB23_60:                              ;   in Loop: Header=BB23_43 Depth=1
	v_cmp_gt_i32_e32 vcc, s33, v60
	v_add_u32_e32 v17, 1, v60
	s_waitcnt vmcnt(0)
	v_cndmask_b32_e32 v13, 0, v13, vcc
	v_cmp_gt_i32_e32 vcc, s33, v17
	v_add_u32_e32 v17, 2, v60
	v_cndmask_b32_e32 v14, 0, v14, vcc
	v_cmp_gt_i32_e32 vcc, s33, v17
	v_add_u32_e32 v17, 3, v60
	v_cndmask_b32_e32 v15, 0, v15, vcc
	v_cmp_gt_i32_e32 vcc, s33, v17
	v_cndmask_b32_e32 v16, 0, v16, vcc
	s_or_b64 exec, exec, s[14:15]
	global_load_dwordx4 v[17:20], v[29:30], off offset:3072
	s_and_saveexec_b64 s[14:15], s[2:3]
	s_cbranch_execnz .LBB23_48
	s_branch .LBB23_49
.LBB23_61:
	s_or_b64 exec, exec, s[6:7]
.LBB23_62:
	s_or_b64 exec, exec, s[4:5]
	ds_bpermute_b32 v1, v45, v54
	ds_bpermute_b32 v2, v45, v53
	;; [unrolled: 1-line block ×5, first 2 shown]
	s_waitcnt lgkmcnt(4)
	v_add_f32_e32 v1, v54, v1
	s_waitcnt lgkmcnt(3)
	v_add_f32_e32 v2, v53, v2
	ds_bpermute_b32 v4, v44, v1
	s_waitcnt lgkmcnt(3)
	v_add_f32_e32 v3, v52, v3
	ds_bpermute_b32 v5, v44, v2
	ds_bpermute_b32 v7, v44, v3
	s_waitcnt lgkmcnt(3)
	v_add_f32_e32 v10, v47, v10
	s_waitcnt lgkmcnt(2)
	v_add_f32_e32 v8, v1, v4
	ds_bpermute_b32 v1, v45, v50
	s_waitcnt lgkmcnt(2)
	v_add_f32_e32 v6, v2, v5
	s_waitcnt lgkmcnt(1)
	v_add_f32_e32 v5, v3, v7
	ds_bpermute_b32 v4, v45, v49
	ds_bpermute_b32 v7, v45, v48
	s_waitcnt lgkmcnt(2)
	v_add_f32_e32 v1, v50, v1
	v_add_f32_e32 v2, v51, v9
	ds_bpermute_b32 v9, v44, v1
	s_waitcnt lgkmcnt(2)
	v_add_f32_e32 v11, v49, v4
	s_waitcnt lgkmcnt(1)
	v_add_f32_e32 v13, v48, v7
	ds_bpermute_b32 v3, v44, v2
	ds_bpermute_b32 v12, v44, v11
	;; [unrolled: 1-line block ×4, first 2 shown]
	s_waitcnt lgkmcnt(4)
	v_add_f32_e32 v4, v1, v9
	v_and_b32_e32 v9, 0x3c0, v0
	s_waitcnt lgkmcnt(3)
	v_add_f32_e32 v7, v2, v3
	s_waitcnt lgkmcnt(2)
	v_add_f32_e32 v3, v11, v12
	;; [unrolled: 2-line block ×4, first 2 shown]
	v_cmp_eq_u32_e64 s[0:1], 64, v9
	v_cmp_eq_u32_e32 vcc, 0, v41
	s_barrier
	s_and_saveexec_b64 s[2:3], s[0:1]
	s_cbranch_execz .LBB23_67
; %bb.63:
	s_and_saveexec_b64 s[0:1], vcc
	s_cbranch_execz .LBB23_65
; %bb.64:
	v_mov_b32_e32 v9, 0x1f0
	v_lshl_add_u32 v9, v46, 2, v9
	ds_write2_b32 v9, v8, v6 offset1:16
	ds_write2_b32 v9, v5, v7 offset0:32 offset1:48
	ds_write2_b32 v9, v4, v3 offset0:64 offset1:80
	ds_write_b32 v9, v2 offset:384
.LBB23_65:
	s_or_b64 exec, exec, s[0:1]
	v_or_b32_e32 v9, 0x70, v46
	s_movk_i32 s0, 0x78
	v_cmp_gt_u32_e64 s[0:1], s0, v9
	s_and_b64 s[0:1], vcc, s[0:1]
	s_and_b64 exec, exec, s[0:1]
; %bb.66:
	v_mov_b32_e32 v9, 0x1f0
	v_lshl_add_u32 v9, v46, 2, v9
	ds_write_b32 v9, v1 offset:448
.LBB23_67:
	s_or_b64 exec, exec, s[2:3]
	v_cmp_gt_u32_e64 s[0:1], 64, v0
	s_waitcnt lgkmcnt(0)
	s_barrier
	s_and_saveexec_b64 s[4:5], s[0:1]
	s_cbranch_execz .LBB23_85
; %bb.68:
	s_and_saveexec_b64 s[2:3], vcc
	s_cbranch_execz .LBB23_70
; %bb.69:
	v_mov_b32_e32 v0, 0x1f0
	v_lshl_add_u32 v0, v40, 2, v0
	ds_read_b32 v0, v0
	s_waitcnt lgkmcnt(0)
	v_add_f32_e32 v8, v8, v0
.LBB23_70:
	s_or_b64 exec, exec, s[2:3]
	v_or_b32_e32 v0, 16, v40
	s_movk_i32 s6, 0x78
	v_cmp_gt_u32_e64 s[2:3], s6, v0
	s_and_b64 s[12:13], vcc, s[2:3]
	s_and_saveexec_b64 s[2:3], s[12:13]
	s_cbranch_execz .LBB23_72
; %bb.71:
	v_mov_b32_e32 v0, 0x1f0
	v_lshl_add_u32 v0, v40, 2, v0
	ds_read_b32 v0, v0 offset:64
	s_waitcnt lgkmcnt(0)
	v_add_f32_e32 v6, v6, v0
.LBB23_72:
	s_or_b64 exec, exec, s[2:3]
	v_or_b32_e32 v0, 32, v40
	v_cmp_gt_u32_e64 s[2:3], s6, v0
	s_and_b64 s[6:7], vcc, s[2:3]
	s_and_saveexec_b64 s[2:3], s[6:7]
	s_cbranch_execz .LBB23_74
; %bb.73:
	v_mov_b32_e32 v0, 0x1f0
	v_lshl_add_u32 v0, v40, 2, v0
	ds_read_b32 v0, v0 offset:128
	s_waitcnt lgkmcnt(0)
	v_add_f32_e32 v5, v5, v0
.LBB23_74:
	s_or_b64 exec, exec, s[2:3]
	v_or_b32_e32 v0, 48, v40
	s_movk_i32 s6, 0x78
	v_cmp_gt_u32_e64 s[2:3], s6, v0
	s_and_b64 s[12:13], vcc, s[2:3]
	s_and_saveexec_b64 s[2:3], s[12:13]
	s_cbranch_execz .LBB23_76
; %bb.75:
	v_mov_b32_e32 v0, 0x1f0
	v_lshl_add_u32 v0, v40, 2, v0
	ds_read_b32 v0, v0 offset:192
	s_waitcnt lgkmcnt(0)
	v_add_f32_e32 v7, v7, v0
.LBB23_76:
	s_or_b64 exec, exec, s[2:3]
	v_or_b32_e32 v0, 64, v40
	v_cmp_gt_u32_e64 s[2:3], s6, v0
	s_and_b64 s[6:7], vcc, s[2:3]
	s_and_saveexec_b64 s[2:3], s[6:7]
	s_cbranch_execz .LBB23_78
; %bb.77:
	v_mov_b32_e32 v0, 0x1f0
	v_lshl_add_u32 v0, v40, 2, v0
	ds_read_b32 v0, v0 offset:256
	s_waitcnt lgkmcnt(0)
	v_add_f32_e32 v4, v4, v0
.LBB23_78:
	;; [unrolled: 27-line block ×3, first 2 shown]
	s_or_b64 exec, exec, s[2:3]
	v_or_b32_e32 v0, 0x70, v40
	s_movk_i32 s2, 0x78
	v_cmp_gt_u32_e64 s[2:3], s2, v0
	s_and_b64 s[6:7], vcc, s[2:3]
	s_and_saveexec_b64 s[2:3], s[6:7]
	s_cbranch_execz .LBB23_84
; %bb.83:
	v_mov_b32_e32 v0, 0x1f0
	v_lshl_add_u32 v0, v40, 2, v0
	ds_read_b32 v0, v0 offset:448
	s_waitcnt lgkmcnt(0)
	v_add_f32_e32 v1, v1, v0
.LBB23_84:
	s_or_b64 exec, exec, s[2:3]
.LBB23_85:
	s_or_b64 exec, exec, s[4:5]
	s_barrier
	s_and_saveexec_b64 s[2:3], s[0:1]
	s_cbranch_execz .LBB23_102
; %bb.86:
	s_mul_i32 s0, s10, s11
	s_mul_i32 s0, s0, s9
	s_mulk_i32 s0, 0x78
	s_ashr_i32 s1, s0, 31
	s_lshl_b64 s[0:1], s[0:1], 2
	s_add_u32 s2, s22, s0
	s_mul_i32 s0, s11, s20
	s_addc_u32 s3, s23, s1
	s_ashr_i32 s1, s0, 31
	s_lshl_b64 s[0:1], s[0:1], 2
	s_add_u32 s2, s2, s0
	s_mul_i32 s0, s8, 0x78
	s_addc_u32 s3, s3, s1
	s_ashr_i32 s1, s0, 31
	s_lshl_b64 s[0:1], s[0:1], 2
	s_add_u32 s2, s2, s0
	s_movk_i32 s4, 0x78
	s_addc_u32 s3, s3, s1
	s_and_saveexec_b64 s[0:1], vcc
	s_cbranch_execz .LBB23_88
; %bb.87:
	global_store_dword v39, v8, s[2:3]
.LBB23_88:
	s_or_b64 exec, exec, s[0:1]
	v_or_b32_e32 v0, 16, v40
	v_cmp_gt_u32_e64 s[0:1], s4, v0
	s_and_b64 s[4:5], vcc, s[0:1]
	s_and_saveexec_b64 s[0:1], s[4:5]
	s_cbranch_execz .LBB23_90
; %bb.89:
	global_store_dword v39, v6, s[2:3] offset:64
.LBB23_90:
	s_or_b64 exec, exec, s[0:1]
	v_or_b32_e32 v0, 32, v40
	s_movk_i32 s4, 0x78
	v_cmp_gt_u32_e64 s[0:1], s4, v0
	s_and_b64 s[6:7], vcc, s[0:1]
	s_and_saveexec_b64 s[0:1], s[6:7]
	s_cbranch_execz .LBB23_92
; %bb.91:
	global_store_dword v39, v5, s[2:3] offset:128
.LBB23_92:
	s_or_b64 exec, exec, s[0:1]
	v_or_b32_e32 v0, 48, v40
	v_cmp_gt_u32_e64 s[0:1], s4, v0
	s_and_b64 s[4:5], vcc, s[0:1]
	s_and_saveexec_b64 s[0:1], s[4:5]
	s_cbranch_execz .LBB23_94
; %bb.93:
	global_store_dword v39, v7, s[2:3] offset:192
.LBB23_94:
	s_or_b64 exec, exec, s[0:1]
	v_or_b32_e32 v0, 64, v40
	s_movk_i32 s4, 0x78
	v_cmp_gt_u32_e64 s[0:1], s4, v0
	s_and_b64 s[6:7], vcc, s[0:1]
	s_and_saveexec_b64 s[0:1], s[6:7]
	s_cbranch_execz .LBB23_96
; %bb.95:
	global_store_dword v39, v4, s[2:3] offset:256
.LBB23_96:
	;; [unrolled: 19-line block ×3, first 2 shown]
	s_or_b64 exec, exec, s[0:1]
	v_or_b32_e32 v0, 0x70, v40
	v_cmp_gt_u32_e64 s[0:1], s4, v0
	s_and_b64 s[0:1], vcc, s[0:1]
	s_and_b64 exec, exec, s[0:1]
	s_cbranch_execz .LBB23_102
; %bb.101:
	global_store_dword v39, v1, s[2:3] offset:448
.LBB23_102:
	s_endpgm
	.section	.rodata,"a",@progbits
	.p2align	6, 0x0
	.amdhsa_kernel _ZN4vllm25paged_attention_v1_kernelIffLi120ELi16ELi128ELNS_18Fp8KVCacheDataTypeE0ELb1EEEvPT_PKS2_PKT0_S8_ifPKiSA_iPKfiiiSC_SC_iiiii
		.amdhsa_group_segment_fixed_size 496
		.amdhsa_private_segment_fixed_size 0
		.amdhsa_kernarg_size 384
		.amdhsa_user_sgpr_count 6
		.amdhsa_user_sgpr_private_segment_buffer 1
		.amdhsa_user_sgpr_dispatch_ptr 0
		.amdhsa_user_sgpr_queue_ptr 0
		.amdhsa_user_sgpr_kernarg_segment_ptr 1
		.amdhsa_user_sgpr_dispatch_id 0
		.amdhsa_user_sgpr_flat_scratch_init 0
		.amdhsa_user_sgpr_private_segment_size 0
		.amdhsa_uses_dynamic_stack 0
		.amdhsa_system_sgpr_private_segment_wavefront_offset 0
		.amdhsa_system_sgpr_workgroup_id_x 1
		.amdhsa_system_sgpr_workgroup_id_y 1
		.amdhsa_system_sgpr_workgroup_id_z 1
		.amdhsa_system_sgpr_workgroup_info 0
		.amdhsa_system_vgpr_workitem_id 0
		.amdhsa_next_free_vgpr 62
		.amdhsa_next_free_sgpr 45
		.amdhsa_reserve_vcc 1
		.amdhsa_reserve_flat_scratch 0
		.amdhsa_float_round_mode_32 0
		.amdhsa_float_round_mode_16_64 0
		.amdhsa_float_denorm_mode_32 3
		.amdhsa_float_denorm_mode_16_64 3
		.amdhsa_dx10_clamp 1
		.amdhsa_ieee_mode 1
		.amdhsa_fp16_overflow 0
		.amdhsa_exception_fp_ieee_invalid_op 0
		.amdhsa_exception_fp_denorm_src 0
		.amdhsa_exception_fp_ieee_div_zero 0
		.amdhsa_exception_fp_ieee_overflow 0
		.amdhsa_exception_fp_ieee_underflow 0
		.amdhsa_exception_fp_ieee_inexact 0
		.amdhsa_exception_int_div_zero 0
	.end_amdhsa_kernel
	.section	.text._ZN4vllm25paged_attention_v1_kernelIffLi120ELi16ELi128ELNS_18Fp8KVCacheDataTypeE0ELb1EEEvPT_PKS2_PKT0_S8_ifPKiSA_iPKfiiiSC_SC_iiiii,"axG",@progbits,_ZN4vllm25paged_attention_v1_kernelIffLi120ELi16ELi128ELNS_18Fp8KVCacheDataTypeE0ELb1EEEvPT_PKS2_PKT0_S8_ifPKiSA_iPKfiiiSC_SC_iiiii,comdat
.Lfunc_end23:
	.size	_ZN4vllm25paged_attention_v1_kernelIffLi120ELi16ELi128ELNS_18Fp8KVCacheDataTypeE0ELb1EEEvPT_PKS2_PKT0_S8_ifPKiSA_iPKfiiiSC_SC_iiiii, .Lfunc_end23-_ZN4vllm25paged_attention_v1_kernelIffLi120ELi16ELi128ELNS_18Fp8KVCacheDataTypeE0ELb1EEEvPT_PKS2_PKT0_S8_ifPKiSA_iPKfiiiSC_SC_iiiii
                                        ; -- End function
	.set _ZN4vllm25paged_attention_v1_kernelIffLi120ELi16ELi128ELNS_18Fp8KVCacheDataTypeE0ELb1EEEvPT_PKS2_PKT0_S8_ifPKiSA_iPKfiiiSC_SC_iiiii.num_vgpr, 62
	.set _ZN4vllm25paged_attention_v1_kernelIffLi120ELi16ELi128ELNS_18Fp8KVCacheDataTypeE0ELb1EEEvPT_PKS2_PKT0_S8_ifPKiSA_iPKfiiiSC_SC_iiiii.num_agpr, 0
	.set _ZN4vllm25paged_attention_v1_kernelIffLi120ELi16ELi128ELNS_18Fp8KVCacheDataTypeE0ELb1EEEvPT_PKS2_PKT0_S8_ifPKiSA_iPKfiiiSC_SC_iiiii.numbered_sgpr, 45
	.set _ZN4vllm25paged_attention_v1_kernelIffLi120ELi16ELi128ELNS_18Fp8KVCacheDataTypeE0ELb1EEEvPT_PKS2_PKT0_S8_ifPKiSA_iPKfiiiSC_SC_iiiii.num_named_barrier, 0
	.set _ZN4vllm25paged_attention_v1_kernelIffLi120ELi16ELi128ELNS_18Fp8KVCacheDataTypeE0ELb1EEEvPT_PKS2_PKT0_S8_ifPKiSA_iPKfiiiSC_SC_iiiii.private_seg_size, 0
	.set _ZN4vllm25paged_attention_v1_kernelIffLi120ELi16ELi128ELNS_18Fp8KVCacheDataTypeE0ELb1EEEvPT_PKS2_PKT0_S8_ifPKiSA_iPKfiiiSC_SC_iiiii.uses_vcc, 1
	.set _ZN4vllm25paged_attention_v1_kernelIffLi120ELi16ELi128ELNS_18Fp8KVCacheDataTypeE0ELb1EEEvPT_PKS2_PKT0_S8_ifPKiSA_iPKfiiiSC_SC_iiiii.uses_flat_scratch, 0
	.set _ZN4vllm25paged_attention_v1_kernelIffLi120ELi16ELi128ELNS_18Fp8KVCacheDataTypeE0ELb1EEEvPT_PKS2_PKT0_S8_ifPKiSA_iPKfiiiSC_SC_iiiii.has_dyn_sized_stack, 0
	.set _ZN4vllm25paged_attention_v1_kernelIffLi120ELi16ELi128ELNS_18Fp8KVCacheDataTypeE0ELb1EEEvPT_PKS2_PKT0_S8_ifPKiSA_iPKfiiiSC_SC_iiiii.has_recursion, 0
	.set _ZN4vllm25paged_attention_v1_kernelIffLi120ELi16ELi128ELNS_18Fp8KVCacheDataTypeE0ELb1EEEvPT_PKS2_PKT0_S8_ifPKiSA_iPKfiiiSC_SC_iiiii.has_indirect_call, 0
	.section	.AMDGPU.csdata,"",@progbits
; Kernel info:
; codeLenInByte = 5624
; TotalNumSgprs: 49
; NumVgprs: 62
; ScratchSize: 0
; MemoryBound: 0
; FloatMode: 240
; IeeeMode: 1
; LDSByteSize: 496 bytes/workgroup (compile time only)
; SGPRBlocks: 6
; VGPRBlocks: 15
; NumSGPRsForWavesPerEU: 49
; NumVGPRsForWavesPerEU: 62
; Occupancy: 4
; WaveLimiterHint : 1
; COMPUTE_PGM_RSRC2:SCRATCH_EN: 0
; COMPUTE_PGM_RSRC2:USER_SGPR: 6
; COMPUTE_PGM_RSRC2:TRAP_HANDLER: 0
; COMPUTE_PGM_RSRC2:TGID_X_EN: 1
; COMPUTE_PGM_RSRC2:TGID_Y_EN: 1
; COMPUTE_PGM_RSRC2:TGID_Z_EN: 1
; COMPUTE_PGM_RSRC2:TIDIG_COMP_CNT: 0
	.section	.text._ZN4vllm25paged_attention_v1_kernelIffLi128ELi16ELi128ELNS_18Fp8KVCacheDataTypeE0ELb1EEEvPT_PKS2_PKT0_S8_ifPKiSA_iPKfiiiSC_SC_iiiii,"axG",@progbits,_ZN4vllm25paged_attention_v1_kernelIffLi128ELi16ELi128ELNS_18Fp8KVCacheDataTypeE0ELb1EEEvPT_PKS2_PKT0_S8_ifPKiSA_iPKfiiiSC_SC_iiiii,comdat
	.protected	_ZN4vllm25paged_attention_v1_kernelIffLi128ELi16ELi128ELNS_18Fp8KVCacheDataTypeE0ELb1EEEvPT_PKS2_PKT0_S8_ifPKiSA_iPKfiiiSC_SC_iiiii ; -- Begin function _ZN4vllm25paged_attention_v1_kernelIffLi128ELi16ELi128ELNS_18Fp8KVCacheDataTypeE0ELb1EEEvPT_PKS2_PKT0_S8_ifPKiSA_iPKfiiiSC_SC_iiiii
	.globl	_ZN4vllm25paged_attention_v1_kernelIffLi128ELi16ELi128ELNS_18Fp8KVCacheDataTypeE0ELb1EEEvPT_PKS2_PKT0_S8_ifPKiSA_iPKfiiiSC_SC_iiiii
	.p2align	8
	.type	_ZN4vllm25paged_attention_v1_kernelIffLi128ELi16ELi128ELNS_18Fp8KVCacheDataTypeE0ELb1EEEvPT_PKS2_PKT0_S8_ifPKiSA_iPKfiiiSC_SC_iiiii,@function
_ZN4vllm25paged_attention_v1_kernelIffLi128ELi16ELi128ELNS_18Fp8KVCacheDataTypeE0ELb1EEEvPT_PKS2_PKT0_S8_ifPKiSA_iPKfiiiSC_SC_iiiii: ; @_ZN4vllm25paged_attention_v1_kernelIffLi128ELi16ELi128ELNS_18Fp8KVCacheDataTypeE0ELb1EEEvPT_PKS2_PKT0_S8_ifPKiSA_iPKfiiiSC_SC_iiiii
; %bb.0:
	s_load_dword s9, s[4:5], 0x80
	s_load_dwordx2 s[0:1], s[4:5], 0x30
	s_load_dwordx2 s[30:31], s[4:5], 0x20
	s_mov_b32 s10, s7
	s_ashr_i32 s11, s7, 31
	s_lshl_b64 s[2:3], s[10:11], 2
	s_waitcnt lgkmcnt(0)
	s_add_u32 s0, s0, s2
	s_addc_u32 s1, s1, s3
	s_abs_i32 s2, s30
	v_cvt_f32_u32_e32 v1, s2
	s_sub_i32 s11, 0, s2
	s_abs_i32 s7, s9
	s_xor_b32 s3, s9, s30
	v_rcp_iflag_f32_e32 v1, v1
	s_ashr_i32 s3, s3, 31
	s_mov_b32 s42, 0
	v_mul_f32_e32 v1, 0x4f7ffffe, v1
	v_cvt_u32_f32_e32 v1, v1
	v_readfirstlane_b32 s12, v1
	s_mul_i32 s11, s11, s12
	s_mul_hi_u32 s11, s12, s11
	s_add_i32 s12, s12, s11
	s_mul_hi_u32 s11, s7, s12
	s_mul_i32 s12, s11, s2
	s_sub_i32 s7, s7, s12
	s_add_i32 s12, s11, 1
	s_sub_i32 s13, s7, s2
	s_cmp_ge_u32 s7, s2
	s_cselect_b32 s11, s12, s11
	s_cselect_b32 s7, s13, s7
	s_add_i32 s12, s11, 1
	s_cmp_ge_u32 s7, s2
	s_cselect_b32 s2, s12, s11
	s_xor_b32 s2, s2, s3
	s_sub_i32 s12, s2, s3
	s_abs_i32 s11, s12
	v_cvt_f32_u32_e32 v1, s11
	s_load_dwordx2 s[2:3], s[4:5], 0x40
	s_sub_i32 s7, 0, s11
	s_abs_i32 s22, s6
	v_rcp_iflag_f32_e32 v1, v1
	v_mul_f32_e32 v1, 0x4f7ffffe, v1
	v_cvt_u32_f32_e32 v1, v1
	v_readfirstlane_b32 s13, v1
	s_mul_i32 s7, s7, s13
	s_mul_hi_u32 s7, s13, s7
	s_add_i32 s13, s13, s7
	s_waitcnt lgkmcnt(0)
	s_cmp_eq_u64 s[2:3], 0
	s_mul_hi_u32 s23, s22, s13
	s_cbranch_scc1 .LBB24_2
; %bb.1:
	s_ashr_i32 s7, s6, 31
	s_lshl_b64 s[14:15], s[6:7], 2
	s_add_u32 s2, s2, s14
	s_addc_u32 s3, s3, s15
	s_load_dword s42, s[2:3], 0x0
.LBB24_2:
	s_load_dword s33, s[0:1], 0x0
	s_ashr_i32 s7, s12, 31
	s_load_dwordx4 s[12:15], s[4:5], 0x48
	v_lshrrev_b32_e32 v40, 2, v0
	s_movk_i32 s0, 0x80
	s_ashr_i32 s2, s6, 31
	v_and_b32_e32 v41, 3, v0
	s_lshl_b32 s20, s6, 7
	v_cmp_gt_u32_e32 vcc, s0, v0
	v_lshlrev_b32_e32 v3, 2, v0
	v_lshlrev_b32_e32 v39, 2, v40
	s_and_saveexec_b64 s[0:1], vcc
	s_cbranch_execz .LBB24_4
; %bb.3:
	s_load_dwordx2 s[16:17], s[4:5], 0x8
	s_waitcnt lgkmcnt(0)
	s_mul_i32 s18, s12, s10
	s_ashr_i32 s19, s18, 31
	s_lshl_b64 s[18:19], s[18:19], 2
	v_lshl_add_u32 v2, v41, 7, v39
	s_add_u32 s3, s16, s18
	s_addc_u32 s12, s17, s19
	s_ashr_i32 s21, s20, 31
	s_lshl_b64 s[16:17], s[20:21], 2
	s_add_u32 s16, s3, s16
	s_addc_u32 s17, s12, s17
	global_load_dword v1, v3, s[16:17]
	s_waitcnt vmcnt(0)
	ds_write_b32 v2, v1
.LBB24_4:
	s_or_b64 exec, exec, s[0:1]
	s_mul_i32 s1, s23, s11
	s_sub_i32 s1, s22, s1
	s_xor_b32 s0, s2, s7
	s_add_i32 s2, s23, 1
	s_sub_i32 s7, s1, s11
	s_load_dwordx4 s[16:19], s[4:5], 0x68
	s_load_dword s3, s[4:5], 0x78
	s_cmp_ge_u32 s1, s11
	s_cselect_b32 s2, s2, s23
	s_cselect_b32 s1, s7, s1
	s_add_i32 s7, s2, 1
	s_cmp_ge_u32 s1, s11
	s_cselect_b32 s1, s7, s2
	s_waitcnt lgkmcnt(0)
	s_abs_i32 s21, s19
	v_cvt_f32_u32_e32 v1, s21
	s_xor_b32 s1, s1, s0
	s_sub_i32 s2, s1, s0
	s_sub_i32 s0, 0, s21
	v_rcp_iflag_f32_e32 v1, v1
	s_add_i32 s11, s33, -1
	s_abs_i32 s7, s11
	v_mul_f32_e32 v1, 0x4f7ffffe, v1
	v_cvt_u32_f32_e32 v1, v1
	s_barrier
	v_readfirstlane_b32 s40, v1
	s_mul_i32 s0, s0, s40
	s_mul_hi_u32 s0, s40, s0
	s_add_i32 s40, s40, s0
	s_cmp_lt_i32 s3, 0
	s_mul_hi_u32 s12, s7, s40
	s_cbranch_scc0 .LBB24_6
; %bb.5:
	s_mul_i32 s0, s16, s30
	s_add_i32 s0, s2, s0
	s_mul_i32 s0, s0, s3
	s_sub_i32 s41, 1, s0
	s_mov_b64 s[0:1], 0
	s_branch .LBB24_7
.LBB24_6:
	s_mov_b64 s[0:1], -1
                                        ; implicit-def: $sgpr41
.LBB24_7:
	s_load_dwordx2 s[24:25], s[4:5], 0x28
	s_ashr_i32 s15, s11, 31
	s_andn2_b64 vcc, exec, s[0:1]
	s_ashr_i32 s19, s19, 31
	s_cbranch_vccnz .LBB24_9
; %bb.8:
	s_mul_i32 s0, s9, s16
	s_add_i32 s0, s0, s6
	s_mul_i32 s0, s0, s3
	s_add_i32 s41, s0, 1
.LBB24_9:
	s_load_dword s0, s[4:5], 0x38
	s_load_dwordx2 s[22:23], s[4:5], 0x0
	s_load_dwordx2 s[28:29], s[4:5], 0x18
	s_load_dword s11, s[4:5], 0x88
	s_xor_b32 s1, s15, s19
	s_waitcnt lgkmcnt(0)
	s_mul_i32 s26, s0, s10
	s_mul_i32 s0, s12, s21
	s_sub_i32 s0, s7, s0
	s_ashr_i32 s27, s26, 31
	s_add_i32 s3, s12, 1
	s_sub_i32 s6, s0, s21
	s_cmp_ge_u32 s0, s21
	s_cselect_b32 s3, s3, s12
	s_cselect_b32 s0, s6, s0
	s_add_i32 s6, s3, 1
	s_cmp_ge_u32 s0, s21
	s_cselect_b32 s0, s6, s3
	s_xor_b32 s0, s0, s1
	s_sub_i32 s12, s0, s1
	s_add_i32 s0, s33, 15
	s_ashr_i32 s1, s0, 31
	s_lshr_b32 s1, s1, 28
	s_add_i32 s0, s0, s1
	s_ashr_i32 s16, s0, 4
	v_lshrrev_b32_e32 v42, 6, v0
	v_cmp_gt_i32_e64 s[0:1], s16, v42
	v_mov_b32_e32 v9, 0xff7fffff
	s_mul_i32 s14, s2, s14
	v_lshrrev_b32_e32 v4, 4, v0
	v_lshlrev_b32_e32 v43, 4, v42
	v_mbcnt_lo_u32_b32 v5, -1, 0
	s_and_saveexec_b64 s[34:35], s[0:1]
	s_cbranch_execz .LBB24_21
; %bb.10:
	s_load_dwordx2 s[2:3], s[4:5], 0x10
	s_ashr_i32 s15, s14, 31
	s_sub_i32 s30, s12, s17
	s_lshl_b64 s[4:5], s[14:15], 2
	v_bfe_u32 v6, v0, 2, 4
	s_waitcnt lgkmcnt(0)
	s_add_u32 s2, s2, s4
	s_addc_u32 s3, s3, s5
	s_abs_i32 s15, s18
	v_cvt_f32_u32_e32 v1, s15
	v_mov_b32_e32 v8, s3
	s_sub_i32 s3, 0, s15
	v_lshlrev_b32_e32 v7, 4, v6
	v_rcp_iflag_f32_e32 v1, v1
	s_lshl_b64 s[4:5], s[26:27], 2
	v_lshlrev_b32_e32 v2, 2, v41
	v_lshlrev_b32_e32 v9, 2, v6
	v_mul_f32_e32 v1, 0x4f7ffffe, v1
	v_cvt_u32_f32_e32 v1, v1
	s_add_u32 s4, s24, s4
	s_addc_u32 s5, s25, s5
	v_lshl_or_b32 v9, v42, 6, v9
	v_mul_lo_u32 v10, s3, v1
	v_add_co_u32_e64 v7, s[2:3], s2, v7
	v_addc_co_u32_e64 v8, s[2:3], 0, v8, s[2:3]
	v_mul_hi_u32 v11, v1, v10
	v_add_co_u32_e64 v7, s[2:3], v7, v2
	v_mbcnt_hi_u32_b32 v16, -1, v5
	v_add_u32_e32 v11, v1, v11
	v_and_b32_e32 v1, 60, v4
	v_addc_co_u32_e64 v8, s[2:3], 0, v8, s[2:3]
	v_mov_b32_e32 v2, s5
	v_add_co_u32_e64 v1, s[4:5], s4, v1
	v_subrev_u32_e32 v13, s33, v6
	v_add_u32_e32 v14, 0x210, v9
	v_and_b32_e32 v9, 64, v16
	v_cmp_eq_u32_e32 vcc, 0, v41
	s_mov_b32 s43, s13
	v_lshlrev_b32_e32 v10, 7, v41
	v_cmp_neq_f32_e64 s[2:3], s42, 0
	v_addc_co_u32_e64 v2, s[4:5], 0, v2, s[4:5]
	v_lshlrev_b32_e32 v12, 4, v42
	v_add_u32_e32 v13, 1, v13
	v_mov_b32_e32 v15, 0xff7fffff
	s_mov_b64 s[36:37], 0
	s_movk_i32 s44, 0x1000
	v_add_u32_e32 v17, 64, v9
	v_xor_b32_e32 v18, 2, v16
	v_xor_b32_e32 v19, 1, v16
	v_mov_b32_e32 v9, 0xff7fffff
	v_mov_b32_e32 v20, v42
	s_branch .LBB24_13
.LBB24_11:                              ;   in Loop: Header=BB24_13 Depth=1
	s_or_b64 exec, exec, s[38:39]
.LBB24_12:                              ;   in Loop: Header=BB24_13 Depth=1
	s_or_b64 exec, exec, s[6:7]
	v_add_co_u32_e64 v1, s[4:5], 8, v1
	v_add_u32_e32 v20, 2, v20
	v_addc_co_u32_e64 v2, s[4:5], 0, v2, s[4:5]
	v_cmp_le_i32_e64 s[4:5], s16, v20
	v_add_u32_e32 v12, 32, v12
	s_or_b64 s[36:37], s[4:5], s[36:37]
	v_add_u32_e32 v14, 0x80, v14
	s_andn2_b64 exec, exec, s[36:37]
	s_cbranch_execz .LBB24_20
.LBB24_13:                              ; =>This Inner Loop Header: Depth=1
	v_mul_hi_u32 v21, v12, s40
	s_waitcnt lgkmcnt(0)
	v_mul_lo_u32 v22, v21, s21
	v_add_u32_e32 v23, 1, v21
	v_sub_u32_e32 v22, v12, v22
	v_cmp_le_u32_e64 s[4:5], s21, v22
	v_cndmask_b32_e64 v21, v21, v23, s[4:5]
	v_subrev_u32_e32 v23, s21, v22
	v_cndmask_b32_e64 v22, v22, v23, s[4:5]
	v_add_u32_e32 v23, 1, v21
	v_cmp_le_u32_e64 s[4:5], s21, v22
	v_cndmask_b32_e64 v21, v21, v23, s[4:5]
	v_xor_b32_e32 v21, s19, v21
	v_subrev_u32_e32 v21, s19, v21
	v_add_u32_e32 v22, s41, v21
	v_sub_u32_e32 v23, 0, v22
	v_max_i32_e32 v23, v22, v23
	v_mul_hi_u32 v24, v23, v11
	v_ashrrev_i32_e32 v22, 31, v22
	v_cmp_ge_i32_e64 s[6:7], s30, v21
	v_mul_lo_u32 v24, v24, s15
	v_sub_u32_e32 v23, v23, v24
	v_subrev_u32_e32 v24, s15, v23
	v_cmp_le_u32_e64 s[4:5], s15, v23
	v_cndmask_b32_e64 v23, v23, v24, s[4:5]
	v_subrev_u32_e32 v24, s15, v23
	v_cmp_le_u32_e64 s[4:5], s15, v23
	v_cndmask_b32_e64 v23, v23, v24, s[4:5]
	v_xor_b32_e32 v23, v23, v22
	v_sub_u32_e32 v22, v23, v22
	v_cmp_ne_u32_e64 s[4:5], 0, v22
	s_and_b64 s[4:5], s[4:5], s[6:7]
	s_and_saveexec_b64 s[6:7], s[4:5]
	s_xor_b64 s[4:5], exec, s[6:7]
	s_cbranch_execz .LBB24_17
; %bb.14:                               ;   in Loop: Header=BB24_13 Depth=1
	s_and_saveexec_b64 s[6:7], vcc
; %bb.15:                               ;   in Loop: Header=BB24_13 Depth=1
	ds_write_b32 v14, v15
; %bb.16:                               ;   in Loop: Header=BB24_13 Depth=1
	s_or_b64 exec, exec, s[6:7]
.LBB24_17:                              ;   in Loop: Header=BB24_13 Depth=1
	s_andn2_saveexec_b64 s[6:7], s[4:5]
	s_cbranch_execz .LBB24_12
; %bb.18:                               ;   in Loop: Header=BB24_13 Depth=1
	global_load_dword v21, v[1:2], off
	s_waitcnt vmcnt(0)
	v_mad_i64_i32 v[21:22], s[4:5], v21, s43, 0
	v_lshlrev_b64 v[21:22], 2, v[21:22]
	v_add_co_u32_e64 v30, s[4:5], v7, v21
	v_addc_co_u32_e64 v31, s[4:5], v8, v22, s[4:5]
	global_load_dword v21, v[30:31], off offset:256
	global_load_dword v32, v[30:31], off
	global_load_dword v33, v[30:31], off offset:512
	global_load_dword v34, v[30:31], off offset:768
	;; [unrolled: 1-line block ×6, first 2 shown]
	ds_read_b128 v[22:25], v10
	ds_read_b128 v[26:29], v10 offset:16
	s_waitcnt vmcnt(7) lgkmcnt(1)
	v_mul_f32_e32 v21, v23, v21
	s_waitcnt vmcnt(6)
	v_fmac_f32_e32 v21, v22, v32
	s_waitcnt vmcnt(5)
	v_fmac_f32_e32 v21, v24, v33
	s_waitcnt vmcnt(4)
	v_fmac_f32_e32 v21, v25, v34
	global_load_dword v32, v[30:31], off offset:2048
	global_load_dword v33, v[30:31], off offset:2304
	;; [unrolled: 1-line block ×4, first 2 shown]
	s_waitcnt vmcnt(7) lgkmcnt(0)
	v_fmac_f32_e32 v21, v26, v35
	s_waitcnt vmcnt(6)
	v_fmac_f32_e32 v21, v27, v36
	s_waitcnt vmcnt(5)
	v_fmac_f32_e32 v21, v28, v37
	ds_read_b128 v[22:25], v10 offset:32
	s_waitcnt vmcnt(4)
	v_fmac_f32_e32 v21, v29, v38
	global_load_dword v35, v[30:31], off offset:3072
	global_load_dword v36, v[30:31], off offset:3328
	global_load_dword v37, v[30:31], off offset:3584
	global_load_dword v38, v[30:31], off offset:3840
	v_add_co_u32_e64 v30, s[4:5], s44, v30
	v_addc_co_u32_e64 v31, s[4:5], 0, v31, s[4:5]
	ds_read_b128 v[26:29], v10 offset:48
	v_cmp_lt_i32_e64 s[4:5], v18, v17
	s_waitcnt vmcnt(7) lgkmcnt(1)
	v_fmac_f32_e32 v21, v22, v32
	s_waitcnt vmcnt(6)
	v_fmac_f32_e32 v21, v23, v33
	s_waitcnt vmcnt(5)
	;; [unrolled: 2-line block ×3, first 2 shown]
	v_fmac_f32_e32 v21, v25, v44
	global_load_dword v32, v[30:31], off
	global_load_dword v33, v[30:31], off offset:256
	global_load_dword v34, v[30:31], off offset:512
	;; [unrolled: 1-line block ×3, first 2 shown]
	ds_read_b128 v[22:25], v10 offset:64
	s_waitcnt vmcnt(7) lgkmcnt(1)
	v_fmac_f32_e32 v21, v26, v35
	s_waitcnt vmcnt(6)
	v_fmac_f32_e32 v21, v27, v36
	s_waitcnt vmcnt(5)
	;; [unrolled: 2-line block ×3, first 2 shown]
	v_fmac_f32_e32 v21, v29, v38
	global_load_dword v35, v[30:31], off offset:1024
	global_load_dword v36, v[30:31], off offset:1280
	;; [unrolled: 1-line block ×4, first 2 shown]
	ds_read_b128 v[26:29], v10 offset:80
	s_waitcnt vmcnt(7) lgkmcnt(1)
	v_fmac_f32_e32 v21, v22, v32
	s_waitcnt vmcnt(6)
	v_fmac_f32_e32 v21, v23, v33
	s_waitcnt vmcnt(5)
	;; [unrolled: 2-line block ×3, first 2 shown]
	v_fmac_f32_e32 v21, v25, v44
	global_load_dword v32, v[30:31], off offset:2048
	global_load_dword v33, v[30:31], off offset:2304
	;; [unrolled: 1-line block ×7, first 2 shown]
	s_nop 0
	global_load_dword v30, v[30:31], off offset:3840
	v_cndmask_b32_e64 v31, v16, v18, s[4:5]
	s_waitcnt vmcnt(11) lgkmcnt(0)
	v_fmac_f32_e32 v21, v26, v35
	s_waitcnt vmcnt(10)
	v_fmac_f32_e32 v21, v27, v36
	s_waitcnt vmcnt(9)
	;; [unrolled: 2-line block ×3, first 2 shown]
	v_fmac_f32_e32 v21, v29, v38
	ds_read_b128 v[22:25], v10 offset:96
	ds_read_b128 v[26:29], v10 offset:112
	v_lshlrev_b32_e32 v31, 2, v31
	v_cmp_lt_i32_e64 s[4:5], v19, v17
	s_waitcnt vmcnt(7) lgkmcnt(1)
	v_fmac_f32_e32 v21, v22, v32
	s_waitcnt vmcnt(6)
	v_fmac_f32_e32 v21, v23, v33
	s_waitcnt vmcnt(5)
	;; [unrolled: 2-line block ×3, first 2 shown]
	v_fmac_f32_e32 v21, v25, v44
	s_waitcnt vmcnt(3) lgkmcnt(0)
	v_fmac_f32_e32 v21, v26, v45
	s_waitcnt vmcnt(2)
	v_fmac_f32_e32 v21, v27, v46
	s_waitcnt vmcnt(1)
	;; [unrolled: 2-line block ×3, first 2 shown]
	v_fmac_f32_e32 v21, v29, v30
	ds_bpermute_b32 v22, v31, v21
	v_cndmask_b32_e64 v23, v16, v19, s[4:5]
	v_lshlrev_b32_e32 v23, 2, v23
	s_waitcnt lgkmcnt(0)
	v_add_f32_e32 v21, v21, v22
	ds_bpermute_b32 v22, v23, v21
	s_and_saveexec_b64 s[38:39], vcc
	s_cbranch_execz .LBB24_11
; %bb.19:                               ;   in Loop: Header=BB24_13 Depth=1
	v_add_u32_e32 v23, v13, v12
	v_cvt_f32_i32_e32 v23, v23
	s_waitcnt lgkmcnt(0)
	v_add_f32_e32 v21, v21, v22
	v_add_u32_e32 v24, v6, v12
	v_cmp_gt_i32_e64 s[4:5], s33, v24
	v_mul_f32_e32 v22, s42, v23
	v_cndmask_b32_e64 v22, 0, v22, s[2:3]
	v_fmac_f32_e32 v22, s31, v21
	v_cndmask_b32_e64 v21, 0, v22, s[4:5]
	ds_write_b32 v14, v21
	v_max_f32_e32 v21, v9, v9
	v_max_f32_e32 v21, v21, v22
	v_cndmask_b32_e64 v9, v9, v21, s[4:5]
	s_branch .LBB24_11
.LBB24_20:
	s_or_b64 exec, exec, s[36:37]
.LBB24_21:
	s_or_b64 exec, exec, s[34:35]
	v_mbcnt_hi_u32_b32 v1, -1, v5
	v_and_b32_e32 v11, 64, v1
	v_add_u32_e32 v2, 64, v11
	v_xor_b32_e32 v5, 32, v1
	v_cmp_lt_i32_e32 vcc, v5, v2
	v_cndmask_b32_e32 v5, v1, v5, vcc
	v_lshlrev_b32_e32 v5, 2, v5
	ds_bpermute_b32 v6, v5, v9
	v_xor_b32_e32 v8, 16, v1
	v_max_f32_e32 v7, v9, v9
	v_cmp_lt_i32_e32 vcc, v8, v2
	v_xor_b32_e32 v9, 8, v1
	s_waitcnt lgkmcnt(0)
	v_max_f32_e32 v6, v6, v6
	v_max_f32_e32 v7, v7, v6
	v_cndmask_b32_e32 v6, v1, v8, vcc
	v_lshlrev_b32_e32 v6, 2, v6
	ds_bpermute_b32 v8, v6, v7
	v_cmp_lt_i32_e32 vcc, v9, v2
	v_xor_b32_e32 v10, 4, v1
	v_and_b32_e32 v44, 63, v0
	s_waitcnt lgkmcnt(0)
	v_max_f32_e32 v8, v8, v8
	v_max_f32_e32 v7, v7, v8
	v_cndmask_b32_e32 v8, v1, v9, vcc
	v_lshlrev_b32_e32 v9, 2, v8
	ds_bpermute_b32 v8, v9, v7
	v_cmp_lt_i32_e32 vcc, v10, v2
	s_waitcnt lgkmcnt(0)
	v_max_f32_e32 v8, v8, v8
	v_max_f32_e32 v8, v7, v8
	v_cndmask_b32_e32 v7, v1, v10, vcc
	v_lshlrev_b32_e32 v10, 2, v7
	ds_bpermute_b32 v12, v10, v8
	v_cmp_eq_u32_e32 vcc, 0, v44
	v_lshlrev_b32_e32 v7, 2, v42
	s_and_saveexec_b64 s[2:3], vcc
	s_cbranch_execz .LBB24_23
; %bb.22:
	s_waitcnt lgkmcnt(0)
	v_max_f32_e32 v12, v12, v12
	v_max_f32_e32 v8, v8, v8
	;; [unrolled: 1-line block ×3, first 2 shown]
	ds_write_b32 v7, v8 offset:512
.LBB24_23:
	s_or_b64 exec, exec, s[2:3]
	v_cmp_gt_u32_e64 s[2:3], 2, v44
	s_waitcnt lgkmcnt(0)
	v_mov_b32_e32 v12, 0xff7fffff
	v_lshlrev_b32_e32 v8, 2, v44
	s_barrier
	s_and_saveexec_b64 s[4:5], s[2:3]
; %bb.24:
	ds_read_b32 v12, v8 offset:512
; %bb.25:
	s_or_b64 exec, exec, s[4:5]
	v_xor_b32_e32 v13, 1, v1
	v_cmp_lt_i32_e64 s[4:5], v13, v2
	v_cndmask_b32_e64 v13, v1, v13, s[4:5]
	v_lshlrev_b32_e32 v45, 2, v13
	s_waitcnt lgkmcnt(0)
	ds_bpermute_b32 v13, v45, v12
	v_max_f32_e32 v12, v12, v12
	v_lshlrev_b32_e32 v11, 2, v11
	s_lshl_b32 s4, s16, 4
	s_min_i32 s15, s4, s33
	s_waitcnt lgkmcnt(0)
	v_max_f32_e32 v13, v13, v13
	v_max_f32_e32 v12, v12, v13
	ds_bpermute_b32 v12, v11, v12
	v_cmp_gt_i32_e64 s[4:5], s15, v0
	v_mov_b32_e32 v11, 0
	s_and_saveexec_b64 s[30:31], s[4:5]
	s_cbranch_execz .LBB24_29
; %bb.26:
	v_mov_b32_e32 v11, 0x210
	v_lshl_add_u32 v13, v0, 2, v11
	v_mov_b32_e32 v11, 0
	s_mov_b64 s[34:35], 0
	v_mov_b32_e32 v14, v0
.LBB24_27:                              ; =>This Inner Loop Header: Depth=1
	ds_read_b32 v15, v13
	v_add_u32_e32 v14, 0x80, v14
	v_cmp_le_i32_e64 s[6:7], s15, v14
	s_or_b64 s[34:35], s[6:7], s[34:35]
	s_waitcnt lgkmcnt(0)
	v_sub_f32_e32 v15, v15, v12
	v_mul_f32_e32 v15, 0x3fb8aa3b, v15
	v_exp_f32_e32 v15, v15
	ds_write_b32 v13, v15
	v_add_f32_e32 v11, v11, v15
	v_add_u32_e32 v13, 0x200, v13
	s_andn2_b64 exec, exec, s[34:35]
	s_cbranch_execnz .LBB24_27
; %bb.28:
	s_or_b64 exec, exec, s[34:35]
.LBB24_29:
	s_or_b64 exec, exec, s[30:31]
	ds_bpermute_b32 v5, v5, v11
	s_waitcnt lgkmcnt(0)
	v_add_f32_e32 v5, v11, v5
	ds_bpermute_b32 v6, v6, v5
	s_waitcnt lgkmcnt(0)
	v_add_f32_e32 v5, v5, v6
	ds_bpermute_b32 v6, v9, v5
	v_xor_b32_e32 v9, 2, v1
	v_cmp_lt_i32_e64 s[6:7], v9, v2
	v_cndmask_b32_e64 v2, v1, v9, s[6:7]
	v_lshlrev_b32_e32 v46, 2, v2
	s_waitcnt lgkmcnt(0)
	v_add_f32_e32 v5, v5, v6
	ds_bpermute_b32 v6, v10, v5
	s_waitcnt lgkmcnt(0)
	v_add_f32_e32 v5, v5, v6
	ds_bpermute_b32 v2, v46, v5
	;; [unrolled: 3-line block ×3, first 2 shown]
	s_waitcnt lgkmcnt(0)
	v_add_f32_e32 v2, v2, v5
	s_and_saveexec_b64 s[6:7], vcc
; %bb.30:
	ds_write_b32 v7, v2 offset:520
; %bb.31:
	s_or_b64 exec, exec, s[6:7]
	s_waitcnt lgkmcnt(0)
	s_barrier
	s_and_saveexec_b64 s[6:7], s[2:3]
; %bb.32:
	ds_read_b32 v2, v8 offset:520
; %bb.33:
	s_or_b64 exec, exec, s[6:7]
	s_waitcnt lgkmcnt(0)
	ds_bpermute_b32 v5, v45, v2
	v_lshlrev_b32_e32 v1, 2, v1
	v_and_b32_e32 v1, 0x100, v1
	s_waitcnt lgkmcnt(0)
	v_add_f32_e32 v2, v2, v5
	ds_bpermute_b32 v1, v1, v2
	s_and_saveexec_b64 s[2:3], s[4:5]
	s_cbranch_execz .LBB24_36
; %bb.34:
	s_waitcnt lgkmcnt(0)
	v_add_f32_e32 v2, 0x358637bd, v1
	v_div_scale_f32 v1, s[4:5], v2, v2, 1.0
	v_div_scale_f32 v5, vcc, 1.0, v2, 1.0
	s_mov_b64 s[4:5], 0
	v_rcp_f32_e32 v6, v1
	v_fma_f32 v7, -v1, v6, 1.0
	v_fmac_f32_e32 v6, v7, v6
	v_mul_f32_e32 v7, v5, v6
	v_fma_f32 v8, -v1, v7, v5
	v_fmac_f32_e32 v7, v8, v6
	v_fma_f32 v1, -v1, v7, v5
	v_div_fmas_f32 v5, v1, v6, v7
	v_mov_b32_e32 v1, 0x210
	v_lshl_add_u32 v1, v0, 2, v1
	v_div_fixup_f32 v2, v5, v2, 1.0
	v_mov_b32_e32 v5, v0
.LBB24_35:                              ; =>This Inner Loop Header: Depth=1
	ds_read_b32 v6, v1
	v_add_u32_e32 v5, 0x80, v5
	v_cmp_le_i32_e32 vcc, s15, v5
	s_or_b64 s[4:5], vcc, s[4:5]
	s_waitcnt lgkmcnt(0)
	v_mul_f32_e32 v6, v2, v6
	ds_write_b32 v1, v6
	v_add_u32_e32 v1, 0x200, v1
	s_andn2_b64 exec, exec, s[4:5]
	s_cbranch_execnz .LBB24_35
.LBB24_36:
	s_or_b64 exec, exec, s[2:3]
	v_mov_b32_e32 v54, 0
	v_mov_b32_e32 v53, 0
	;; [unrolled: 1-line block ×8, first 2 shown]
	s_waitcnt lgkmcnt(0)
	s_barrier
	s_and_saveexec_b64 s[2:3], s[0:1]
	s_cbranch_execz .LBB24_58
; %bb.37:
	s_ashr_i32 s15, s14, 31
	s_sub_i32 s17, s12, s17
	s_lshl_b64 s[0:1], s[14:15], 2
	s_add_u32 s0, s28, s0
	s_addc_u32 s1, s29, s1
	s_abs_i32 s14, s18
	v_cvt_f32_u32_e32 v1, s14
	s_sub_i32 s4, 0, s14
	v_and_b32_e32 v55, 12, v3
	v_and_b32_e32 v3, 60, v4
	v_rcp_iflag_f32_e32 v1, v1
	v_lshlrev_b32_e32 v2, 4, v0
	v_and_b32_e32 v2, 0x3f0, v2
	s_add_i32 s18, s16, -1
	v_mul_f32_e32 v1, 0x4f7ffffe, v1
	v_cvt_u32_f32_e32 v1, v1
	v_mov_b32_e32 v5, s1
	v_add_co_u32_e32 v56, vcc, s0, v2
	v_mul_lo_u32 v4, s4, v1
	s_lshl_b64 s[0:1], s[26:27], 2
	s_add_u32 s0, s24, s0
	v_addc_co_u32_e32 v57, vcc, 0, v5, vcc
	v_mul_hi_u32 v4, v1, v4
	s_addc_u32 s1, s25, s1
	v_add_co_u32_e32 v37, vcc, s0, v3
	v_add_u32_e32 v58, v1, v4
	v_mov_b32_e32 v1, s1
	v_addc_co_u32_e32 v38, vcc, 0, v1, vcc
	v_lshlrev_b32_e32 v1, 4, v41
	v_lshl_or_b32 v1, v42, 6, v1
	s_mov_b32 s15, s13
	v_mov_b32_e32 v47, 0
	v_add_u32_e32 v59, 0x210, v1
	s_mov_b64 s[4:5], 0
	v_mov_b32_e32 v48, 0
	v_mov_b32_e32 v49, 0
	;; [unrolled: 1-line block ×7, first 2 shown]
	s_branch .LBB24_40
.LBB24_38:                              ;   in Loop: Header=BB24_40 Depth=1
	s_or_b64 exec, exec, s[12:13]
	s_waitcnt vmcnt(1) lgkmcnt(0)
	v_mul_f32_e32 v33, v1, v33
	v_mul_f32_e32 v25, v1, v25
	;; [unrolled: 1-line block ×7, first 2 shown]
	s_waitcnt vmcnt(0)
	v_mul_f32_e32 v1, v1, v29
	v_fmac_f32_e32 v33, v2, v34
	v_fmac_f32_e32 v25, v2, v26
	v_fmac_f32_e32 v21, v2, v22
	v_fmac_f32_e32 v17, v2, v18
	v_fmac_f32_e32 v13, v2, v14
	v_fmac_f32_e32 v9, v2, v10
	v_fmac_f32_e32 v5, v2, v6
	v_fmac_f32_e32 v1, v2, v30
	v_fmac_f32_e32 v33, v3, v35
	v_fmac_f32_e32 v25, v3, v27
	v_fmac_f32_e32 v21, v3, v23
	v_fmac_f32_e32 v17, v3, v19
	v_fmac_f32_e32 v13, v3, v15
	v_fmac_f32_e32 v9, v3, v11
	v_fmac_f32_e32 v5, v3, v7
	v_fmac_f32_e32 v1, v3, v31
	v_fmac_f32_e32 v33, v4, v36
	v_fmac_f32_e32 v25, v4, v28
	v_fmac_f32_e32 v21, v4, v24
	v_fmac_f32_e32 v17, v4, v20
	v_fmac_f32_e32 v13, v4, v16
	v_fmac_f32_e32 v9, v4, v12
	v_fmac_f32_e32 v5, v4, v8
	v_fmac_f32_e32 v1, v4, v32
	v_add_f32_e32 v48, v48, v33
	v_add_f32_e32 v49, v49, v25
	;; [unrolled: 1-line block ×8, first 2 shown]
.LBB24_39:                              ;   in Loop: Header=BB24_40 Depth=1
	s_or_b64 exec, exec, s[6:7]
	v_add_co_u32_e32 v37, vcc, 8, v37
	v_add_u32_e32 v42, 2, v42
	v_addc_co_u32_e32 v38, vcc, 0, v38, vcc
	v_cmp_le_i32_e32 vcc, s16, v42
	v_add_u32_e32 v43, 32, v43
	s_or_b64 s[4:5], vcc, s[4:5]
	v_add_u32_e32 v59, 0x80, v59
	s_andn2_b64 exec, exec, s[4:5]
	s_cbranch_execz .LBB24_57
.LBB24_40:                              ; =>This Inner Loop Header: Depth=1
	v_mul_hi_u32 v1, v43, s40
	v_mul_lo_u32 v2, v1, s21
	v_add_u32_e32 v3, 1, v1
	v_sub_u32_e32 v2, v43, v2
	v_cmp_le_u32_e32 vcc, s21, v2
	v_cndmask_b32_e32 v1, v1, v3, vcc
	v_subrev_u32_e32 v3, s21, v2
	v_cndmask_b32_e32 v2, v2, v3, vcc
	v_add_u32_e32 v3, 1, v1
	v_cmp_le_u32_e32 vcc, s21, v2
	v_cndmask_b32_e32 v1, v1, v3, vcc
	v_xor_b32_e32 v1, s19, v1
	v_subrev_u32_e32 v1, s19, v1
	v_add_u32_e32 v2, s41, v1
	v_sub_u32_e32 v3, 0, v2
	v_max_i32_e32 v3, v2, v3
	v_mul_hi_u32 v4, v3, v58
	v_ashrrev_i32_e32 v2, 31, v2
	v_cmp_lt_i32_e64 s[0:1], s17, v1
	v_mul_lo_u32 v4, v4, s14
	v_sub_u32_e32 v3, v3, v4
	v_subrev_u32_e32 v4, s14, v3
	v_cmp_le_u32_e32 vcc, s14, v3
	v_cndmask_b32_e32 v3, v3, v4, vcc
	v_subrev_u32_e32 v4, s14, v3
	v_cmp_le_u32_e32 vcc, s14, v3
	v_cndmask_b32_e32 v3, v3, v4, vcc
	v_xor_b32_e32 v3, v3, v2
	v_sub_u32_e32 v2, v3, v2
	v_cmp_eq_u32_e32 vcc, 0, v2
	s_or_b64 s[0:1], vcc, s[0:1]
	s_and_saveexec_b64 s[6:7], s[0:1]
	s_cbranch_execz .LBB24_39
; %bb.41:                               ;   in Loop: Header=BB24_40 Depth=1
	global_load_dword v1, v[37:38], off
	v_add_u32_e32 v60, v55, v43
	v_add_u32_e32 v63, 1, v60
	;; [unrolled: 1-line block ×4, first 2 shown]
	s_waitcnt vmcnt(0)
	v_mad_i64_i32 v[1:2], s[0:1], v1, s15, 0
	v_cmp_eq_u32_e64 s[0:1], s18, v42
	v_lshlrev_b64 v[1:2], 2, v[1:2]
	v_add_co_u32_e32 v29, vcc, v56, v1
	v_addc_co_u32_e32 v30, vcc, v57, v2, vcc
	global_load_dwordx4 v[5:8], v[29:30], off
	ds_read_b128 v[1:4], v59
	s_and_saveexec_b64 s[12:13], s[0:1]
	s_cbranch_execnz .LBB24_54
; %bb.42:                               ;   in Loop: Header=BB24_40 Depth=1
	s_or_b64 exec, exec, s[12:13]
	global_load_dwordx4 v[9:12], v[29:30], off offset:1024
	s_and_saveexec_b64 s[12:13], s[0:1]
	s_cbranch_execnz .LBB24_55
.LBB24_43:                              ;   in Loop: Header=BB24_40 Depth=1
	s_or_b64 exec, exec, s[12:13]
	global_load_dwordx4 v[13:16], v[29:30], off offset:2048
	s_and_saveexec_b64 s[12:13], s[0:1]
	s_cbranch_execnz .LBB24_56
.LBB24_44:                              ;   in Loop: Header=BB24_40 Depth=1
	s_or_b64 exec, exec, s[12:13]
	global_load_dwordx4 v[17:20], v[29:30], off offset:3072
	s_and_saveexec_b64 s[12:13], s[0:1]
	s_cbranch_execz .LBB24_46
.LBB24_45:                              ;   in Loop: Header=BB24_40 Depth=1
	v_cmp_gt_i32_e32 vcc, s33, v60
	s_waitcnt vmcnt(0)
	v_cndmask_b32_e32 v17, 0, v17, vcc
	v_cmp_gt_i32_e32 vcc, s33, v63
	v_cndmask_b32_e32 v18, 0, v18, vcc
	v_cmp_gt_i32_e32 vcc, s33, v62
	;; [unrolled: 2-line block ×3, first 2 shown]
	v_cndmask_b32_e32 v20, 0, v20, vcc
.LBB24_46:                              ;   in Loop: Header=BB24_40 Depth=1
	s_or_b64 exec, exec, s[12:13]
	v_add_co_u32_e32 v21, vcc, 0x1000, v29
	v_addc_co_u32_e32 v22, vcc, 0, v30, vcc
	global_load_dwordx4 v[21:24], v[21:22], off
	s_and_saveexec_b64 s[12:13], s[0:1]
	s_cbranch_execz .LBB24_48
; %bb.47:                               ;   in Loop: Header=BB24_40 Depth=1
	v_cmp_gt_i32_e32 vcc, s33, v60
	s_waitcnt vmcnt(0)
	v_cndmask_b32_e32 v21, 0, v21, vcc
	v_cmp_gt_i32_e32 vcc, s33, v63
	v_cndmask_b32_e32 v22, 0, v22, vcc
	v_cmp_gt_i32_e32 vcc, s33, v62
	v_cndmask_b32_e32 v23, 0, v23, vcc
	v_cmp_gt_i32_e32 vcc, s33, v61
	v_cndmask_b32_e32 v24, 0, v24, vcc
.LBB24_48:                              ;   in Loop: Header=BB24_40 Depth=1
	s_or_b64 exec, exec, s[12:13]
	v_add_co_u32_e32 v25, vcc, 0x1000, v29
	v_addc_co_u32_e32 v26, vcc, 0, v30, vcc
	global_load_dwordx4 v[25:28], v[25:26], off offset:1024
	s_and_saveexec_b64 s[12:13], s[0:1]
	s_cbranch_execz .LBB24_50
; %bb.49:                               ;   in Loop: Header=BB24_40 Depth=1
	v_cmp_gt_i32_e32 vcc, s33, v60
	s_waitcnt vmcnt(0)
	v_cndmask_b32_e32 v25, 0, v25, vcc
	v_cmp_gt_i32_e32 vcc, s33, v63
	v_cndmask_b32_e32 v26, 0, v26, vcc
	v_cmp_gt_i32_e32 vcc, s33, v62
	v_cndmask_b32_e32 v27, 0, v27, vcc
	v_cmp_gt_i32_e32 vcc, s33, v61
	v_cndmask_b32_e32 v28, 0, v28, vcc
.LBB24_50:                              ;   in Loop: Header=BB24_40 Depth=1
	s_or_b64 exec, exec, s[12:13]
	v_add_co_u32_e32 v31, vcc, 0x1000, v29
	v_addc_co_u32_e32 v32, vcc, 0, v30, vcc
	global_load_dwordx4 v[33:36], v[31:32], off offset:2048
	;; [unrolled: 17-line block ×3, first 2 shown]
	s_and_saveexec_b64 s[12:13], s[0:1]
	s_cbranch_execz .LBB24_38
; %bb.53:                               ;   in Loop: Header=BB24_40 Depth=1
	v_cmp_gt_i32_e32 vcc, s33, v60
	s_waitcnt vmcnt(0)
	v_cndmask_b32_e32 v29, 0, v29, vcc
	v_cmp_gt_i32_e32 vcc, s33, v63
	v_cndmask_b32_e32 v30, 0, v30, vcc
	v_cmp_gt_i32_e32 vcc, s33, v62
	;; [unrolled: 2-line block ×3, first 2 shown]
	v_cndmask_b32_e32 v32, 0, v32, vcc
	s_branch .LBB24_38
.LBB24_54:                              ;   in Loop: Header=BB24_40 Depth=1
	v_cmp_gt_i32_e32 vcc, s33, v60
	s_waitcnt vmcnt(0)
	v_cndmask_b32_e32 v5, 0, v5, vcc
	v_cmp_gt_i32_e32 vcc, s33, v63
	v_cndmask_b32_e32 v6, 0, v6, vcc
	v_cmp_gt_i32_e32 vcc, s33, v62
	;; [unrolled: 2-line block ×3, first 2 shown]
	v_cndmask_b32_e32 v8, 0, v8, vcc
	s_or_b64 exec, exec, s[12:13]
	global_load_dwordx4 v[9:12], v[29:30], off offset:1024
	s_and_saveexec_b64 s[12:13], s[0:1]
	s_cbranch_execz .LBB24_43
.LBB24_55:                              ;   in Loop: Header=BB24_40 Depth=1
	v_cmp_gt_i32_e32 vcc, s33, v60
	s_waitcnt vmcnt(0)
	v_cndmask_b32_e32 v9, 0, v9, vcc
	v_cmp_gt_i32_e32 vcc, s33, v63
	v_cndmask_b32_e32 v10, 0, v10, vcc
	v_cmp_gt_i32_e32 vcc, s33, v62
	;; [unrolled: 2-line block ×3, first 2 shown]
	v_cndmask_b32_e32 v12, 0, v12, vcc
	s_or_b64 exec, exec, s[12:13]
	global_load_dwordx4 v[13:16], v[29:30], off offset:2048
	s_and_saveexec_b64 s[12:13], s[0:1]
	s_cbranch_execz .LBB24_44
.LBB24_56:                              ;   in Loop: Header=BB24_40 Depth=1
	v_cmp_gt_i32_e32 vcc, s33, v60
	s_waitcnt vmcnt(0)
	v_cndmask_b32_e32 v13, 0, v13, vcc
	v_cmp_gt_i32_e32 vcc, s33, v63
	v_cndmask_b32_e32 v14, 0, v14, vcc
	v_cmp_gt_i32_e32 vcc, s33, v62
	;; [unrolled: 2-line block ×3, first 2 shown]
	v_cndmask_b32_e32 v16, 0, v16, vcc
	s_or_b64 exec, exec, s[12:13]
	global_load_dwordx4 v[17:20], v[29:30], off offset:3072
	s_and_saveexec_b64 s[12:13], s[0:1]
	s_cbranch_execnz .LBB24_45
	s_branch .LBB24_46
.LBB24_57:
	s_or_b64 exec, exec, s[4:5]
.LBB24_58:
	s_or_b64 exec, exec, s[2:3]
	ds_bpermute_b32 v1, v46, v54
	ds_bpermute_b32 v2, v46, v53
	;; [unrolled: 1-line block ×5, first 2 shown]
	s_waitcnt lgkmcnt(4)
	v_add_f32_e32 v1, v54, v1
	ds_bpermute_b32 v4, v45, v1
	s_waitcnt lgkmcnt(4)
	v_add_f32_e32 v2, v53, v2
	ds_bpermute_b32 v5, v45, v2
	;; [unrolled: 3-line block ×4, first 2 shown]
	s_waitcnt lgkmcnt(2)
	v_add_f32_e32 v2, v2, v5
	v_add_f32_e32 v5, v51, v7
	ds_bpermute_b32 v7, v46, v49
	s_waitcnt lgkmcnt(2)
	v_add_f32_e32 v3, v3, v6
	s_waitcnt lgkmcnt(1)
	v_add_f32_e32 v8, v50, v4
	ds_bpermute_b32 v4, v46, v48
	ds_bpermute_b32 v6, v45, v5
	;; [unrolled: 1-line block ×3, first 2 shown]
	s_waitcnt lgkmcnt(3)
	v_add_f32_e32 v7, v49, v7
	v_add_f32_e32 v10, v47, v10
	s_waitcnt lgkmcnt(2)
	v_add_f32_e32 v12, v48, v4
	ds_bpermute_b32 v11, v45, v7
	ds_bpermute_b32 v13, v45, v12
	;; [unrolled: 1-line block ×3, first 2 shown]
	s_waitcnt lgkmcnt(4)
	v_add_f32_e32 v4, v5, v6
	s_waitcnt lgkmcnt(3)
	v_add_f32_e32 v5, v8, v9
	v_and_b32_e32 v9, 0x3c3, v0
	s_waitcnt lgkmcnt(2)
	v_add_f32_e32 v6, v7, v11
	s_waitcnt lgkmcnt(1)
	v_add_f32_e32 v7, v12, v13
	;; [unrolled: 2-line block ×3, first 2 shown]
	v_cmp_eq_u32_e32 vcc, 64, v9
	s_barrier
	s_and_saveexec_b64 s[0:1], vcc
	s_cbranch_execz .LBB24_60
; %bb.59:
	v_add_u32_e32 v10, 0x210, v44
	ds_write2_b32 v10, v1, v2 offset1:16
	ds_write2_b32 v10, v3, v4 offset0:32 offset1:48
	ds_write2_b32 v10, v5, v6 offset0:64 offset1:80
	;; [unrolled: 1-line block ×3, first 2 shown]
.LBB24_60:
	s_or_b64 exec, exec, s[0:1]
	v_cmp_gt_u32_e32 vcc, 64, v0
	s_waitcnt lgkmcnt(0)
	s_barrier
	s_and_saveexec_b64 s[0:1], vcc
	s_cbranch_execz .LBB24_71
; %bb.61:
	v_mov_b32_e32 v0, 0x210
	v_cmp_eq_u32_e32 vcc, 0, v41
	v_lshl_add_u32 v0, v40, 2, v0
	s_and_saveexec_b64 s[2:3], vcc
	s_cbranch_execnz .LBB24_74
; %bb.62:
	s_or_b64 exec, exec, s[2:3]
	s_and_saveexec_b64 s[2:3], vcc
	s_cbranch_execnz .LBB24_75
.LBB24_63:
	s_or_b64 exec, exec, s[2:3]
	s_and_saveexec_b64 s[2:3], vcc
	s_cbranch_execnz .LBB24_76
.LBB24_64:
	s_or_b64 exec, exec, s[2:3]
	s_and_saveexec_b64 s[2:3], vcc
	s_cbranch_execnz .LBB24_77
.LBB24_65:
	s_or_b64 exec, exec, s[2:3]
	s_and_saveexec_b64 s[2:3], vcc
	s_cbranch_execnz .LBB24_78
.LBB24_66:
	s_or_b64 exec, exec, s[2:3]
	s_and_saveexec_b64 s[2:3], vcc
	s_cbranch_execnz .LBB24_79
.LBB24_67:
	s_or_b64 exec, exec, s[2:3]
	s_and_saveexec_b64 s[2:3], vcc
	s_cbranch_execnz .LBB24_80
.LBB24_68:
	s_or_b64 exec, exec, s[2:3]
	s_and_saveexec_b64 s[2:3], vcc
	s_cbranch_execz .LBB24_70
.LBB24_69:
	ds_read_b32 v0, v0 offset:448
	s_waitcnt lgkmcnt(0)
	v_add_f32_e32 v8, v8, v0
.LBB24_70:
	s_or_b64 exec, exec, s[2:3]
.LBB24_71:
	s_or_b64 exec, exec, s[0:1]
	v_cmp_eq_u32_e32 vcc, 0, v9
	s_barrier
	s_and_saveexec_b64 s[0:1], vcc
	s_cbranch_execz .LBB24_73
; %bb.72:
	s_mul_i32 s0, s10, s11
	s_mul_i32 s0, s0, s9
	s_lshl_b32 s0, s0, 7
	s_ashr_i32 s1, s0, 31
	s_lshl_b64 s[0:1], s[0:1], 2
	s_add_u32 s2, s22, s0
	s_mul_i32 s0, s11, s20
	s_addc_u32 s3, s23, s1
	s_ashr_i32 s1, s0, 31
	s_lshl_b64 s[0:1], s[0:1], 2
	s_add_u32 s2, s2, s0
	s_addc_u32 s3, s3, s1
	s_lshl_b32 s0, s8, 7
	s_ashr_i32 s1, s0, 31
	s_lshl_b64 s[0:1], s[0:1], 2
	s_add_u32 s0, s2, s0
	s_addc_u32 s1, s3, s1
	global_store_dword v39, v1, s[0:1]
	global_store_dword v39, v2, s[0:1] offset:64
	global_store_dword v39, v3, s[0:1] offset:128
	;; [unrolled: 1-line block ×7, first 2 shown]
.LBB24_73:
	s_endpgm
.LBB24_74:
	ds_read_b32 v10, v0
	s_waitcnt lgkmcnt(0)
	v_add_f32_e32 v1, v1, v10
	s_or_b64 exec, exec, s[2:3]
	s_and_saveexec_b64 s[2:3], vcc
	s_cbranch_execz .LBB24_63
.LBB24_75:
	ds_read_b32 v10, v0 offset:64
	s_waitcnt lgkmcnt(0)
	v_add_f32_e32 v2, v2, v10
	s_or_b64 exec, exec, s[2:3]
	s_and_saveexec_b64 s[2:3], vcc
	s_cbranch_execz .LBB24_64
.LBB24_76:
	ds_read_b32 v10, v0 offset:128
	s_waitcnt lgkmcnt(0)
	v_add_f32_e32 v3, v3, v10
	s_or_b64 exec, exec, s[2:3]
	s_and_saveexec_b64 s[2:3], vcc
	s_cbranch_execz .LBB24_65
.LBB24_77:
	ds_read_b32 v10, v0 offset:192
	s_waitcnt lgkmcnt(0)
	v_add_f32_e32 v4, v4, v10
	s_or_b64 exec, exec, s[2:3]
	s_and_saveexec_b64 s[2:3], vcc
	s_cbranch_execz .LBB24_66
.LBB24_78:
	ds_read_b32 v10, v0 offset:256
	s_waitcnt lgkmcnt(0)
	v_add_f32_e32 v5, v5, v10
	s_or_b64 exec, exec, s[2:3]
	s_and_saveexec_b64 s[2:3], vcc
	s_cbranch_execz .LBB24_67
.LBB24_79:
	ds_read_b32 v10, v0 offset:320
	s_waitcnt lgkmcnt(0)
	v_add_f32_e32 v6, v6, v10
	s_or_b64 exec, exec, s[2:3]
	s_and_saveexec_b64 s[2:3], vcc
	s_cbranch_execz .LBB24_68
.LBB24_80:
	ds_read_b32 v10, v0 offset:384
	s_waitcnt lgkmcnt(0)
	v_add_f32_e32 v7, v7, v10
	s_or_b64 exec, exec, s[2:3]
	s_and_saveexec_b64 s[2:3], vcc
	s_cbranch_execnz .LBB24_69
	s_branch .LBB24_70
	.section	.rodata,"a",@progbits
	.p2align	6, 0x0
	.amdhsa_kernel _ZN4vllm25paged_attention_v1_kernelIffLi128ELi16ELi128ELNS_18Fp8KVCacheDataTypeE0ELb1EEEvPT_PKS2_PKT0_S8_ifPKiSA_iPKfiiiSC_SC_iiiii
		.amdhsa_group_segment_fixed_size 528
		.amdhsa_private_segment_fixed_size 0
		.amdhsa_kernarg_size 384
		.amdhsa_user_sgpr_count 6
		.amdhsa_user_sgpr_private_segment_buffer 1
		.amdhsa_user_sgpr_dispatch_ptr 0
		.amdhsa_user_sgpr_queue_ptr 0
		.amdhsa_user_sgpr_kernarg_segment_ptr 1
		.amdhsa_user_sgpr_dispatch_id 0
		.amdhsa_user_sgpr_flat_scratch_init 0
		.amdhsa_user_sgpr_private_segment_size 0
		.amdhsa_uses_dynamic_stack 0
		.amdhsa_system_sgpr_private_segment_wavefront_offset 0
		.amdhsa_system_sgpr_workgroup_id_x 1
		.amdhsa_system_sgpr_workgroup_id_y 1
		.amdhsa_system_sgpr_workgroup_id_z 1
		.amdhsa_system_sgpr_workgroup_info 0
		.amdhsa_system_vgpr_workitem_id 0
		.amdhsa_next_free_vgpr 64
		.amdhsa_next_free_sgpr 45
		.amdhsa_reserve_vcc 1
		.amdhsa_reserve_flat_scratch 0
		.amdhsa_float_round_mode_32 0
		.amdhsa_float_round_mode_16_64 0
		.amdhsa_float_denorm_mode_32 3
		.amdhsa_float_denorm_mode_16_64 3
		.amdhsa_dx10_clamp 1
		.amdhsa_ieee_mode 1
		.amdhsa_fp16_overflow 0
		.amdhsa_exception_fp_ieee_invalid_op 0
		.amdhsa_exception_fp_denorm_src 0
		.amdhsa_exception_fp_ieee_div_zero 0
		.amdhsa_exception_fp_ieee_overflow 0
		.amdhsa_exception_fp_ieee_underflow 0
		.amdhsa_exception_fp_ieee_inexact 0
		.amdhsa_exception_int_div_zero 0
	.end_amdhsa_kernel
	.section	.text._ZN4vllm25paged_attention_v1_kernelIffLi128ELi16ELi128ELNS_18Fp8KVCacheDataTypeE0ELb1EEEvPT_PKS2_PKT0_S8_ifPKiSA_iPKfiiiSC_SC_iiiii,"axG",@progbits,_ZN4vllm25paged_attention_v1_kernelIffLi128ELi16ELi128ELNS_18Fp8KVCacheDataTypeE0ELb1EEEvPT_PKS2_PKT0_S8_ifPKiSA_iPKfiiiSC_SC_iiiii,comdat
.Lfunc_end24:
	.size	_ZN4vllm25paged_attention_v1_kernelIffLi128ELi16ELi128ELNS_18Fp8KVCacheDataTypeE0ELb1EEEvPT_PKS2_PKT0_S8_ifPKiSA_iPKfiiiSC_SC_iiiii, .Lfunc_end24-_ZN4vllm25paged_attention_v1_kernelIffLi128ELi16ELi128ELNS_18Fp8KVCacheDataTypeE0ELb1EEEvPT_PKS2_PKT0_S8_ifPKiSA_iPKfiiiSC_SC_iiiii
                                        ; -- End function
	.set _ZN4vllm25paged_attention_v1_kernelIffLi128ELi16ELi128ELNS_18Fp8KVCacheDataTypeE0ELb1EEEvPT_PKS2_PKT0_S8_ifPKiSA_iPKfiiiSC_SC_iiiii.num_vgpr, 64
	.set _ZN4vllm25paged_attention_v1_kernelIffLi128ELi16ELi128ELNS_18Fp8KVCacheDataTypeE0ELb1EEEvPT_PKS2_PKT0_S8_ifPKiSA_iPKfiiiSC_SC_iiiii.num_agpr, 0
	.set _ZN4vllm25paged_attention_v1_kernelIffLi128ELi16ELi128ELNS_18Fp8KVCacheDataTypeE0ELb1EEEvPT_PKS2_PKT0_S8_ifPKiSA_iPKfiiiSC_SC_iiiii.numbered_sgpr, 45
	.set _ZN4vllm25paged_attention_v1_kernelIffLi128ELi16ELi128ELNS_18Fp8KVCacheDataTypeE0ELb1EEEvPT_PKS2_PKT0_S8_ifPKiSA_iPKfiiiSC_SC_iiiii.num_named_barrier, 0
	.set _ZN4vllm25paged_attention_v1_kernelIffLi128ELi16ELi128ELNS_18Fp8KVCacheDataTypeE0ELb1EEEvPT_PKS2_PKT0_S8_ifPKiSA_iPKfiiiSC_SC_iiiii.private_seg_size, 0
	.set _ZN4vllm25paged_attention_v1_kernelIffLi128ELi16ELi128ELNS_18Fp8KVCacheDataTypeE0ELb1EEEvPT_PKS2_PKT0_S8_ifPKiSA_iPKfiiiSC_SC_iiiii.uses_vcc, 1
	.set _ZN4vllm25paged_attention_v1_kernelIffLi128ELi16ELi128ELNS_18Fp8KVCacheDataTypeE0ELb1EEEvPT_PKS2_PKT0_S8_ifPKiSA_iPKfiiiSC_SC_iiiii.uses_flat_scratch, 0
	.set _ZN4vllm25paged_attention_v1_kernelIffLi128ELi16ELi128ELNS_18Fp8KVCacheDataTypeE0ELb1EEEvPT_PKS2_PKT0_S8_ifPKiSA_iPKfiiiSC_SC_iiiii.has_dyn_sized_stack, 0
	.set _ZN4vllm25paged_attention_v1_kernelIffLi128ELi16ELi128ELNS_18Fp8KVCacheDataTypeE0ELb1EEEvPT_PKS2_PKT0_S8_ifPKiSA_iPKfiiiSC_SC_iiiii.has_recursion, 0
	.set _ZN4vllm25paged_attention_v1_kernelIffLi128ELi16ELi128ELNS_18Fp8KVCacheDataTypeE0ELb1EEEvPT_PKS2_PKT0_S8_ifPKiSA_iPKfiiiSC_SC_iiiii.has_indirect_call, 0
	.section	.AMDGPU.csdata,"",@progbits
; Kernel info:
; codeLenInByte = 5020
; TotalNumSgprs: 49
; NumVgprs: 64
; ScratchSize: 0
; MemoryBound: 0
; FloatMode: 240
; IeeeMode: 1
; LDSByteSize: 528 bytes/workgroup (compile time only)
; SGPRBlocks: 6
; VGPRBlocks: 15
; NumSGPRsForWavesPerEU: 49
; NumVGPRsForWavesPerEU: 64
; Occupancy: 4
; WaveLimiterHint : 1
; COMPUTE_PGM_RSRC2:SCRATCH_EN: 0
; COMPUTE_PGM_RSRC2:USER_SGPR: 6
; COMPUTE_PGM_RSRC2:TRAP_HANDLER: 0
; COMPUTE_PGM_RSRC2:TGID_X_EN: 1
; COMPUTE_PGM_RSRC2:TGID_Y_EN: 1
; COMPUTE_PGM_RSRC2:TGID_Z_EN: 1
; COMPUTE_PGM_RSRC2:TIDIG_COMP_CNT: 0
	.section	.text._ZN4vllm25paged_attention_v1_kernelIffLi192ELi16ELi128ELNS_18Fp8KVCacheDataTypeE0ELb1EEEvPT_PKS2_PKT0_S8_ifPKiSA_iPKfiiiSC_SC_iiiii,"axG",@progbits,_ZN4vllm25paged_attention_v1_kernelIffLi192ELi16ELi128ELNS_18Fp8KVCacheDataTypeE0ELb1EEEvPT_PKS2_PKT0_S8_ifPKiSA_iPKfiiiSC_SC_iiiii,comdat
	.protected	_ZN4vllm25paged_attention_v1_kernelIffLi192ELi16ELi128ELNS_18Fp8KVCacheDataTypeE0ELb1EEEvPT_PKS2_PKT0_S8_ifPKiSA_iPKfiiiSC_SC_iiiii ; -- Begin function _ZN4vllm25paged_attention_v1_kernelIffLi192ELi16ELi128ELNS_18Fp8KVCacheDataTypeE0ELb1EEEvPT_PKS2_PKT0_S8_ifPKiSA_iPKfiiiSC_SC_iiiii
	.globl	_ZN4vllm25paged_attention_v1_kernelIffLi192ELi16ELi128ELNS_18Fp8KVCacheDataTypeE0ELb1EEEvPT_PKS2_PKT0_S8_ifPKiSA_iPKfiiiSC_SC_iiiii
	.p2align	8
	.type	_ZN4vllm25paged_attention_v1_kernelIffLi192ELi16ELi128ELNS_18Fp8KVCacheDataTypeE0ELb1EEEvPT_PKS2_PKT0_S8_ifPKiSA_iPKfiiiSC_SC_iiiii,@function
_ZN4vllm25paged_attention_v1_kernelIffLi192ELi16ELi128ELNS_18Fp8KVCacheDataTypeE0ELb1EEEvPT_PKS2_PKT0_S8_ifPKiSA_iPKfiiiSC_SC_iiiii: ; @_ZN4vllm25paged_attention_v1_kernelIffLi192ELi16ELi128ELNS_18Fp8KVCacheDataTypeE0ELb1EEEvPT_PKS2_PKT0_S8_ifPKiSA_iPKfiiiSC_SC_iiiii
; %bb.0:
	s_mov_b64 s[50:51], s[2:3]
	s_mov_b64 s[48:49], s[0:1]
	s_add_u32 s48, s48, s9
	s_load_dword s9, s[4:5], 0x80
	s_load_dwordx2 s[0:1], s[4:5], 0x30
	s_load_dwordx2 s[30:31], s[4:5], 0x20
	s_addc_u32 s49, s49, 0
	s_mov_b32 s10, s7
	s_ashr_i32 s11, s7, 31
	s_lshl_b64 s[2:3], s[10:11], 2
	s_waitcnt lgkmcnt(0)
	s_add_u32 s0, s0, s2
	s_addc_u32 s1, s1, s3
	s_abs_i32 s2, s30
	v_mov_b32_e32 v43, v0
	v_cvt_f32_u32_e32 v0, s2
	s_sub_i32 s11, 0, s2
	s_abs_i32 s7, s9
	s_xor_b32 s3, s9, s30
	v_rcp_iflag_f32_e32 v0, v0
	s_ashr_i32 s3, s3, 31
	s_mov_b32 s42, 0
	v_mul_f32_e32 v0, 0x4f7ffffe, v0
	v_cvt_u32_f32_e32 v0, v0
	v_readfirstlane_b32 s12, v0
	s_mul_i32 s11, s11, s12
	s_mul_hi_u32 s11, s12, s11
	s_add_i32 s12, s12, s11
	s_mul_hi_u32 s11, s7, s12
	s_mul_i32 s12, s11, s2
	s_sub_i32 s7, s7, s12
	s_add_i32 s12, s11, 1
	s_sub_i32 s13, s7, s2
	s_cmp_ge_u32 s7, s2
	s_cselect_b32 s11, s12, s11
	s_cselect_b32 s7, s13, s7
	s_add_i32 s12, s11, 1
	s_cmp_ge_u32 s7, s2
	s_cselect_b32 s2, s12, s11
	s_xor_b32 s2, s2, s3
	s_sub_i32 s11, s2, s3
	s_abs_i32 s22, s11
	v_cvt_f32_u32_e32 v0, s22
	s_load_dwordx2 s[2:3], s[4:5], 0x40
	s_sub_i32 s7, 0, s22
	s_abs_i32 s23, s6
	v_rcp_iflag_f32_e32 v0, v0
	v_mul_f32_e32 v0, 0x4f7ffffe, v0
	v_cvt_u32_f32_e32 v0, v0
	v_readfirstlane_b32 s12, v0
	s_mul_i32 s7, s7, s12
	s_mul_hi_u32 s7, s12, s7
	s_add_i32 s12, s12, s7
	s_waitcnt lgkmcnt(0)
	s_cmp_eq_u64 s[2:3], 0
	s_mul_hi_u32 s24, s23, s12
	s_cbranch_scc1 .LBB25_2
; %bb.1:
	s_ashr_i32 s7, s6, 31
	s_lshl_b64 s[12:13], s[6:7], 2
	s_add_u32 s2, s2, s12
	s_addc_u32 s3, s3, s13
	s_load_dword s42, s[2:3], 0x0
.LBB25_2:
	s_load_dword s33, s[0:1], 0x0
	s_ashr_i32 s25, s11, 31
	s_load_dword s11, s[4:5], 0x88
	s_load_dwordx4 s[12:15], s[4:5], 0x48
	v_lshrrev_b32_e32 v44, 2, v43
	s_waitcnt lgkmcnt(0)
	s_movk_i32 s15, 0xc0
	s_ashr_i32 s7, s6, 31
	v_and_b32_e32 v45, 3, v43
	s_mul_i32 s20, s6, 0xc0
	v_cmp_gt_u32_e32 vcc, s15, v43
	v_lshlrev_b32_e32 v5, 2, v43
	v_lshlrev_b32_e32 v42, 2, v44
	s_and_saveexec_b64 s[0:1], vcc
	s_cbranch_execz .LBB25_5
; %bb.3:
	s_load_dwordx2 s[2:3], s[4:5], 0x8
	s_mul_i32 s16, s12, s10
	s_ashr_i32 s17, s16, 31
	s_lshl_b64 s[16:17], s[16:17], 2
	v_mad_u32_u24 v0, v45, s15, v42
	s_waitcnt lgkmcnt(0)
	s_add_u32 s12, s2, s16
	s_addc_u32 s16, s3, s17
	s_ashr_i32 s21, s20, 31
	s_lshl_b64 s[2:3], s[20:21], 2
	s_add_u32 s2, s12, s2
	s_addc_u32 s3, s16, s3
	global_load_dword v1, v5, s[2:3]
	v_cmp_gt_u32_e32 vcc, 64, v43
	s_waitcnt vmcnt(0)
	ds_write_b32 v0, v1
	s_and_b64 exec, exec, vcc
	s_cbranch_execz .LBB25_5
; %bb.4:
	v_lshlrev_b32_e32 v1, 4, v44
	v_lshlrev_b32_e32 v2, 2, v45
	s_movk_i32 s12, 0x200
	v_or3_b32 v1, v1, v2, s12
	global_load_dword v1, v1, s[2:3]
	s_waitcnt vmcnt(0)
	ds_write_b32 v0, v1 offset:128
.LBB25_5:
	s_or_b64 exec, exec, s[0:1]
	s_mul_i32 s1, s24, s22
	s_sub_i32 s1, s23, s1
	s_xor_b32 s0, s7, s25
	s_add_i32 s2, s24, 1
	s_sub_i32 s7, s1, s22
	s_load_dwordx4 s[16:19], s[4:5], 0x68
	s_load_dword s3, s[4:5], 0x78
	s_cmp_ge_u32 s1, s22
	s_cselect_b32 s2, s2, s24
	s_cselect_b32 s1, s7, s1
	s_add_i32 s7, s2, 1
	s_cmp_ge_u32 s1, s22
	s_cselect_b32 s1, s7, s2
	s_waitcnt lgkmcnt(0)
	s_abs_i32 s21, s19
	v_cvt_f32_u32_e32 v0, s21
	s_xor_b32 s1, s1, s0
	s_sub_i32 s2, s1, s0
	s_sub_i32 s0, 0, s21
	v_rcp_iflag_f32_e32 v0, v0
	s_add_i32 s15, s33, -1
	s_abs_i32 s7, s15
	v_mul_f32_e32 v0, 0x4f7ffffe, v0
	v_cvt_u32_f32_e32 v0, v0
	s_barrier
	v_readfirstlane_b32 s40, v0
	s_mul_i32 s0, s0, s40
	s_mul_hi_u32 s0, s40, s0
	s_add_i32 s40, s40, s0
	s_cmp_lt_i32 s3, 0
	s_mul_hi_u32 s12, s7, s40
	s_cbranch_scc0 .LBB25_7
; %bb.6:
	s_mul_i32 s0, s16, s30
	s_add_i32 s0, s2, s0
	s_mul_i32 s0, s0, s3
	s_sub_i32 s41, 1, s0
	s_mov_b64 s[0:1], 0
	s_branch .LBB25_8
.LBB25_7:
	s_mov_b64 s[0:1], -1
                                        ; implicit-def: $sgpr41
.LBB25_8:
	s_load_dwordx2 s[24:25], s[4:5], 0x28
	s_ashr_i32 s15, s15, 31
	s_andn2_b64 vcc, exec, s[0:1]
	s_ashr_i32 s19, s19, 31
	s_cbranch_vccnz .LBB25_10
; %bb.9:
	s_mul_i32 s0, s9, s16
	s_add_i32 s0, s0, s6
	s_mul_i32 s0, s0, s3
	s_add_i32 s41, s0, 1
.LBB25_10:
	s_load_dword s0, s[4:5], 0x38
	s_load_dwordx2 s[22:23], s[4:5], 0x0
	s_load_dwordx2 s[28:29], s[4:5], 0x18
	s_mul_i32 s3, s12, s21
	s_xor_b32 s1, s15, s19
	s_waitcnt lgkmcnt(0)
	s_mul_i32 s26, s0, s10
	s_sub_i32 s0, s7, s3
	s_ashr_i32 s27, s26, 31
	s_add_i32 s3, s12, 1
	s_sub_i32 s6, s0, s21
	s_cmp_ge_u32 s0, s21
	s_cselect_b32 s3, s3, s12
	s_cselect_b32 s0, s6, s0
	s_add_i32 s6, s3, 1
	s_cmp_ge_u32 s0, s21
	s_cselect_b32 s0, s6, s3
	s_xor_b32 s0, s0, s1
	s_sub_i32 s12, s0, s1
	s_add_i32 s0, s33, 15
	s_ashr_i32 s1, s0, 31
	s_lshr_b32 s1, s1, 28
	s_add_i32 s0, s0, s1
	s_ashr_i32 s16, s0, 4
	v_lshrrev_b32_e32 v58, 6, v43
	v_cmp_gt_i32_e64 s[0:1], s16, v58
	v_mov_b32_e32 v11, 0xff7fffff
	s_mul_i32 s14, s2, s14
	v_lshrrev_b32_e32 v6, 4, v43
	v_lshlrev_b32_e32 v59, 4, v58
	v_mbcnt_lo_u32_b32 v0, -1, 0
	s_and_saveexec_b64 s[34:35], s[0:1]
	s_cbranch_execz .LBB25_22
; %bb.11:
	s_load_dwordx2 s[2:3], s[4:5], 0x10
	s_ashr_i32 s15, s14, 31
	s_sub_i32 s30, s12, s17
	s_lshl_b64 s[4:5], s[14:15], 2
	v_bfe_u32 v7, v43, 2, 4
	s_waitcnt lgkmcnt(0)
	s_add_u32 s2, s2, s4
	s_addc_u32 s3, s3, s5
	s_abs_i32 s15, s18
	v_cvt_f32_u32_e32 v1, s15
	v_mov_b32_e32 v8, s3
	s_sub_i32 s3, 0, s15
	v_lshlrev_b32_e32 v4, 4, v7
	v_rcp_iflag_f32_e32 v1, v1
	s_lshl_b64 s[4:5], s[26:27], 2
	v_lshlrev_b32_e32 v2, 2, v45
	v_lshlrev_b32_e32 v3, 2, v7
	v_mul_f32_e32 v1, 0x4f7ffffe, v1
	v_cvt_u32_f32_e32 v1, v1
	s_add_u32 s4, s24, s4
	s_addc_u32 s5, s25, s5
	v_lshl_or_b32 v3, v58, 6, v3
	v_mul_lo_u32 v9, s3, v1
	v_add_co_u32_e64 v4, s[2:3], s2, v4
	v_addc_co_u32_e64 v10, s[2:3], 0, v8, s[2:3]
	v_mul_hi_u32 v11, v1, v9
	v_add_co_u32_e64 v8, s[2:3], v4, v2
	v_mbcnt_hi_u32_b32 v17, -1, v0
	v_add_u32_e32 v12, v1, v11
	v_and_b32_e32 v1, 60, v6
	v_addc_co_u32_e64 v9, s[2:3], 0, v10, s[2:3]
	v_mov_b32_e32 v2, s5
	v_add_co_u32_e64 v1, s[4:5], s4, v1
	v_subrev_u32_e32 v4, s33, v7
	v_add_u32_e32 v15, 0x310, v3
	v_and_b32_e32 v3, 64, v17
	v_cmp_eq_u32_e32 vcc, 0, v45
	s_mov_b32 s43, s13
	v_mul_u32_u24_e32 v10, 0xc0, v45
	v_cmp_neq_f32_e64 s[2:3], s42, 0
	v_addc_co_u32_e64 v2, s[4:5], 0, v2, s[4:5]
	v_lshlrev_b32_e32 v13, 4, v58
	v_add_u32_e32 v14, 1, v4
	v_mov_b32_e32 v16, 0xff7fffff
	s_mov_b64 s[36:37], 0
	s_movk_i32 s44, 0x1000
	s_movk_i32 s45, 0x2000
	v_add_u32_e32 v18, 64, v3
	v_xor_b32_e32 v19, 2, v17
	v_xor_b32_e32 v20, 1, v17
	v_mov_b32_e32 v11, 0xff7fffff
	v_mov_b32_e32 v21, v58
	s_branch .LBB25_14
.LBB25_12:                              ;   in Loop: Header=BB25_14 Depth=1
	s_or_b64 exec, exec, s[38:39]
.LBB25_13:                              ;   in Loop: Header=BB25_14 Depth=1
	s_or_b64 exec, exec, s[6:7]
	v_add_co_u32_e64 v1, s[4:5], 8, v1
	v_add_u32_e32 v21, 2, v21
	v_addc_co_u32_e64 v2, s[4:5], 0, v2, s[4:5]
	v_cmp_le_i32_e64 s[4:5], s16, v21
	v_add_u32_e32 v13, 32, v13
	s_or_b64 s[36:37], s[4:5], s[36:37]
	v_add_u32_e32 v15, 0x80, v15
	s_andn2_b64 exec, exec, s[36:37]
	s_cbranch_execz .LBB25_21
.LBB25_14:                              ; =>This Inner Loop Header: Depth=1
	v_mul_hi_u32 v3, v13, s40
	s_waitcnt lgkmcnt(0)
	v_mul_lo_u32 v4, v3, s21
	v_add_u32_e32 v22, 1, v3
	v_sub_u32_e32 v4, v13, v4
	v_cmp_le_u32_e64 s[4:5], s21, v4
	v_cndmask_b32_e64 v3, v3, v22, s[4:5]
	v_subrev_u32_e32 v22, s21, v4
	v_cndmask_b32_e64 v4, v4, v22, s[4:5]
	v_add_u32_e32 v22, 1, v3
	v_cmp_le_u32_e64 s[4:5], s21, v4
	v_cndmask_b32_e64 v3, v3, v22, s[4:5]
	v_xor_b32_e32 v3, s19, v3
	v_subrev_u32_e32 v3, s19, v3
	v_add_u32_e32 v4, s41, v3
	v_sub_u32_e32 v22, 0, v4
	v_max_i32_e32 v22, v4, v22
	v_mul_hi_u32 v23, v22, v12
	v_ashrrev_i32_e32 v4, 31, v4
	v_cmp_ge_i32_e64 s[6:7], s30, v3
	v_mul_lo_u32 v23, v23, s15
	v_sub_u32_e32 v22, v22, v23
	v_subrev_u32_e32 v23, s15, v22
	v_cmp_le_u32_e64 s[4:5], s15, v22
	v_cndmask_b32_e64 v22, v22, v23, s[4:5]
	v_subrev_u32_e32 v23, s15, v22
	v_cmp_le_u32_e64 s[4:5], s15, v22
	v_cndmask_b32_e64 v22, v22, v23, s[4:5]
	v_xor_b32_e32 v22, v22, v4
	v_sub_u32_e32 v4, v22, v4
	v_cmp_ne_u32_e64 s[4:5], 0, v4
	s_and_b64 s[4:5], s[4:5], s[6:7]
	s_and_saveexec_b64 s[6:7], s[4:5]
	s_xor_b64 s[4:5], exec, s[6:7]
	s_cbranch_execz .LBB25_18
; %bb.15:                               ;   in Loop: Header=BB25_14 Depth=1
	s_and_saveexec_b64 s[6:7], vcc
; %bb.16:                               ;   in Loop: Header=BB25_14 Depth=1
	ds_write_b32 v15, v16
; %bb.17:                               ;   in Loop: Header=BB25_14 Depth=1
	s_or_b64 exec, exec, s[6:7]
.LBB25_18:                              ;   in Loop: Header=BB25_14 Depth=1
	s_andn2_saveexec_b64 s[6:7], s[4:5]
	s_cbranch_execz .LBB25_13
; %bb.19:                               ;   in Loop: Header=BB25_14 Depth=1
	global_load_dword v3, v[1:2], off
	s_waitcnt vmcnt(0)
	v_mad_i64_i32 v[3:4], s[4:5], v3, s43, 0
	v_lshlrev_b64 v[3:4], 2, v[3:4]
	v_add_co_u32_e64 v3, s[4:5], v8, v3
	v_addc_co_u32_e64 v4, s[4:5], v9, v4, s[4:5]
	global_load_dword v22, v[3:4], off offset:256
	global_load_dword v31, v[3:4], off
	global_load_dword v32, v[3:4], off offset:512
	global_load_dword v33, v[3:4], off offset:768
	;; [unrolled: 1-line block ×6, first 2 shown]
	ds_read_b128 v[23:26], v10
	ds_read_b128 v[27:30], v10 offset:16
	global_load_dword v38, v[3:4], off offset:2048
	global_load_dword v39, v[3:4], off offset:2304
	;; [unrolled: 1-line block ×3, first 2 shown]
	s_waitcnt vmcnt(10) lgkmcnt(1)
	v_mul_f32_e32 v22, v24, v22
	s_waitcnt vmcnt(9)
	v_fmac_f32_e32 v22, v23, v31
	s_waitcnt vmcnt(8)
	v_fmac_f32_e32 v22, v25, v32
	;; [unrolled: 2-line block ×3, first 2 shown]
	global_load_dword v33, v[3:4], off offset:2816
	ds_read_b128 v[23:26], v10 offset:32
	s_waitcnt vmcnt(7) lgkmcnt(1)
	v_fmac_f32_e32 v22, v27, v34
	s_waitcnt vmcnt(6)
	v_fmac_f32_e32 v22, v28, v35
	v_add_co_u32_e64 v31, s[4:5], s44, v3
	s_waitcnt vmcnt(5)
	v_fmac_f32_e32 v22, v29, v36
	v_addc_co_u32_e64 v32, s[4:5], 0, v4, s[4:5]
	s_waitcnt vmcnt(4)
	v_fmac_f32_e32 v22, v30, v37
	global_load_dword v34, v[3:4], off offset:3072
	global_load_dword v35, v[3:4], off offset:3328
	;; [unrolled: 1-line block ×4, first 2 shown]
	v_add_co_u32_e64 v3, s[4:5], s45, v3
	v_addc_co_u32_e64 v4, s[4:5], 0, v4, s[4:5]
	s_waitcnt vmcnt(7) lgkmcnt(0)
	v_fmac_f32_e32 v22, v23, v38
	global_load_dword v38, v[3:4], off offset:-4096
	s_waitcnt vmcnt(7)
	v_fmac_f32_e32 v22, v24, v39
	s_waitcnt vmcnt(6)
	v_fmac_f32_e32 v22, v25, v40
	ds_read_b128 v[27:30], v10 offset:48
	v_cmp_lt_i32_e64 s[4:5], v19, v18
	s_waitcnt vmcnt(5)
	v_fmac_f32_e32 v22, v26, v33
	global_load_dword v33, v[31:32], off offset:256
	global_load_dword v39, v[31:32], off offset:512
	;; [unrolled: 1-line block ×3, first 2 shown]
	ds_read_b128 v[23:26], v10 offset:64
	s_waitcnt vmcnt(7) lgkmcnt(1)
	v_fmac_f32_e32 v22, v27, v34
	s_waitcnt vmcnt(6)
	v_fmac_f32_e32 v22, v28, v35
	s_waitcnt vmcnt(5)
	;; [unrolled: 2-line block ×3, first 2 shown]
	v_fmac_f32_e32 v22, v30, v37
	ds_read_b128 v[27:30], v10 offset:80
	global_load_dword v34, v[31:32], off offset:3840
	s_waitcnt vmcnt(4) lgkmcnt(1)
	v_fmac_f32_e32 v22, v23, v38
	global_load_dword v23, v[31:32], off offset:1024
	global_load_dword v35, v[31:32], off offset:1280
	;; [unrolled: 1-line block ×5, first 2 shown]
	s_waitcnt vmcnt(8)
	v_fmac_f32_e32 v22, v24, v33
	s_waitcnt vmcnt(7)
	v_fmac_f32_e32 v22, v25, v39
	;; [unrolled: 2-line block ×3, first 2 shown]
	global_load_dword v33, v[31:32], off offset:2304
	global_load_dword v39, v[31:32], off offset:2560
	global_load_dword v40, v[31:32], off offset:2816
	s_waitcnt vmcnt(7) lgkmcnt(0)
	v_fmac_f32_e32 v22, v27, v23
	s_waitcnt vmcnt(6)
	v_fmac_f32_e32 v22, v28, v35
	s_waitcnt vmcnt(5)
	v_fmac_f32_e32 v22, v29, v36
	ds_read_b128 v[23:26], v10 offset:96
	global_load_dword v35, v[31:32], off offset:3072
	global_load_dword v36, v[31:32], off offset:3328
	s_nop 0
	global_load_dword v31, v[31:32], off offset:3584
	s_waitcnt vmcnt(7)
	v_fmac_f32_e32 v22, v30, v37
	ds_read_b128 v[27:30], v10 offset:112
	s_waitcnt vmcnt(6) lgkmcnt(1)
	v_fmac_f32_e32 v22, v23, v38
	s_waitcnt vmcnt(5)
	v_fmac_f32_e32 v22, v24, v33
	global_load_dword v32, v[3:4], off
	global_load_dword v33, v[3:4], off offset:256
	global_load_dword v37, v[3:4], off offset:512
	;; [unrolled: 1-line block ×3, first 2 shown]
	s_waitcnt vmcnt(8)
	v_fmac_f32_e32 v22, v25, v39
	s_waitcnt vmcnt(7)
	v_fmac_f32_e32 v22, v26, v40
	ds_read_b128 v[23:26], v10 offset:128
	s_waitcnt vmcnt(6) lgkmcnt(1)
	v_fmac_f32_e32 v22, v27, v35
	s_waitcnt vmcnt(5)
	v_fmac_f32_e32 v22, v28, v36
	s_waitcnt vmcnt(4)
	v_fmac_f32_e32 v22, v29, v31
	v_fmac_f32_e32 v22, v30, v34
	global_load_dword v31, v[3:4], off offset:1024
	global_load_dword v34, v[3:4], off offset:1280
	;; [unrolled: 1-line block ×4, first 2 shown]
	ds_read_b128 v[27:30], v10 offset:144
	s_waitcnt vmcnt(7) lgkmcnt(1)
	v_fmac_f32_e32 v22, v23, v32
	s_waitcnt vmcnt(6)
	v_fmac_f32_e32 v22, v24, v33
	s_waitcnt vmcnt(5)
	;; [unrolled: 2-line block ×3, first 2 shown]
	v_fmac_f32_e32 v22, v26, v38
	global_load_dword v32, v[3:4], off offset:2048
	global_load_dword v33, v[3:4], off offset:2304
	;; [unrolled: 1-line block ×7, first 2 shown]
	s_nop 0
	global_load_dword v3, v[3:4], off offset:3840
	v_cndmask_b32_e64 v4, v17, v19, s[4:5]
	v_lshlrev_b32_e32 v4, 2, v4
	v_cmp_lt_i32_e64 s[4:5], v20, v18
	s_waitcnt vmcnt(11) lgkmcnt(0)
	v_fmac_f32_e32 v22, v27, v31
	s_waitcnt vmcnt(10)
	v_fmac_f32_e32 v22, v28, v34
	s_waitcnt vmcnt(9)
	;; [unrolled: 2-line block ×3, first 2 shown]
	v_fmac_f32_e32 v22, v30, v36
	ds_read_b128 v[23:26], v10 offset:160
	ds_read_b128 v[27:30], v10 offset:176
	s_waitcnt vmcnt(7) lgkmcnt(1)
	v_fmac_f32_e32 v22, v23, v32
	s_waitcnt vmcnt(6)
	v_fmac_f32_e32 v22, v24, v33
	s_waitcnt vmcnt(5)
	;; [unrolled: 2-line block ×3, first 2 shown]
	v_fmac_f32_e32 v22, v26, v38
	s_waitcnt vmcnt(3) lgkmcnt(0)
	v_fmac_f32_e32 v22, v27, v39
	s_waitcnt vmcnt(2)
	v_fmac_f32_e32 v22, v28, v40
	s_waitcnt vmcnt(1)
	;; [unrolled: 2-line block ×3, first 2 shown]
	v_fmac_f32_e32 v22, v30, v3
	ds_bpermute_b32 v3, v4, v22
	v_cndmask_b32_e64 v4, v17, v20, s[4:5]
	v_lshlrev_b32_e32 v4, 2, v4
	s_waitcnt lgkmcnt(0)
	v_add_f32_e32 v3, v22, v3
	ds_bpermute_b32 v4, v4, v3
	s_and_saveexec_b64 s[38:39], vcc
	s_cbranch_execz .LBB25_12
; %bb.20:                               ;   in Loop: Header=BB25_14 Depth=1
	v_add_u32_e32 v22, v14, v13
	v_cvt_f32_i32_e32 v22, v22
	s_waitcnt lgkmcnt(0)
	v_add_f32_e32 v3, v3, v4
	v_add_u32_e32 v23, v7, v13
	v_cmp_gt_i32_e64 s[4:5], s33, v23
	v_mul_f32_e32 v4, s42, v22
	v_cndmask_b32_e64 v4, 0, v4, s[2:3]
	v_fmac_f32_e32 v4, s31, v3
	v_cndmask_b32_e64 v3, 0, v4, s[4:5]
	ds_write_b32 v15, v3
	v_max_f32_e32 v3, v11, v11
	v_max_f32_e32 v3, v3, v4
	v_cndmask_b32_e64 v11, v11, v3, s[4:5]
	s_branch .LBB25_12
.LBB25_21:
	s_or_b64 exec, exec, s[36:37]
.LBB25_22:
	s_or_b64 exec, exec, s[34:35]
	v_mbcnt_hi_u32_b32 v0, -1, v0
	v_and_b32_e32 v10, 64, v0
	v_add_u32_e32 v1, 64, v10
	v_xor_b32_e32 v2, 32, v0
	v_cmp_lt_i32_e32 vcc, v2, v1
	v_cndmask_b32_e32 v2, v0, v2, vcc
	v_lshlrev_b32_e32 v2, 2, v2
	ds_bpermute_b32 v3, v2, v11
	v_xor_b32_e32 v7, 16, v0
	s_waitcnt lgkmcnt(1)
	v_max_f32_e32 v4, v11, v11
	v_cmp_lt_i32_e32 vcc, v7, v1
	v_xor_b32_e32 v8, 8, v0
	s_waitcnt lgkmcnt(0)
	v_max_f32_e32 v3, v3, v3
	v_max_f32_e32 v4, v4, v3
	v_cndmask_b32_e32 v3, v0, v7, vcc
	v_lshlrev_b32_e32 v3, 2, v3
	ds_bpermute_b32 v7, v3, v4
	v_cmp_lt_i32_e32 vcc, v8, v1
	v_xor_b32_e32 v9, 4, v0
	v_and_b32_e32 v18, 63, v43
	s_waitcnt lgkmcnt(0)
	v_max_f32_e32 v7, v7, v7
	v_max_f32_e32 v4, v4, v7
	v_cndmask_b32_e32 v7, v0, v8, vcc
	v_lshlrev_b32_e32 v8, 2, v7
	ds_bpermute_b32 v7, v8, v4
	v_cmp_lt_i32_e32 vcc, v9, v1
	s_waitcnt lgkmcnt(0)
	v_max_f32_e32 v7, v7, v7
	v_max_f32_e32 v7, v4, v7
	v_cndmask_b32_e32 v4, v0, v9, vcc
	v_lshlrev_b32_e32 v9, 2, v4
	ds_bpermute_b32 v11, v9, v7
	v_cmp_eq_u32_e32 vcc, 0, v18
	v_lshlrev_b32_e32 v4, 2, v58
	s_and_saveexec_b64 s[2:3], vcc
	s_cbranch_execz .LBB25_24
; %bb.23:
	s_waitcnt lgkmcnt(0)
	v_max_f32_e32 v11, v11, v11
	v_max_f32_e32 v7, v7, v7
	;; [unrolled: 1-line block ×3, first 2 shown]
	ds_write_b32 v4, v7 offset:768
.LBB25_24:
	s_or_b64 exec, exec, s[2:3]
	v_cmp_gt_u32_e64 s[2:3], 2, v18
	s_waitcnt lgkmcnt(0)
	v_mov_b32_e32 v11, 0xff7fffff
	v_lshlrev_b32_e32 v7, 2, v18
	s_barrier
	s_and_saveexec_b64 s[4:5], s[2:3]
; %bb.25:
	ds_read_b32 v11, v7 offset:768
; %bb.26:
	s_or_b64 exec, exec, s[4:5]
	v_xor_b32_e32 v12, 1, v0
	v_cmp_lt_i32_e64 s[4:5], v12, v1
	v_cndmask_b32_e64 v12, v0, v12, s[4:5]
	v_lshlrev_b32_e32 v17, 2, v12
	s_waitcnt lgkmcnt(0)
	ds_bpermute_b32 v12, v17, v11
	v_max_f32_e32 v11, v11, v11
	v_lshlrev_b32_e32 v10, 2, v10
	s_lshl_b32 s4, s16, 4
	s_min_i32 s15, s4, s33
	s_waitcnt lgkmcnt(0)
	v_max_f32_e32 v12, v12, v12
	v_max_f32_e32 v11, v11, v12
	ds_bpermute_b32 v11, v10, v11
	v_cmp_gt_i32_e64 s[4:5], s15, v43
	v_mov_b32_e32 v10, 0
	s_and_saveexec_b64 s[30:31], s[4:5]
	s_cbranch_execz .LBB25_30
; %bb.27:
	v_mov_b32_e32 v10, 0x310
	v_lshl_add_u32 v12, v43, 2, v10
	v_mov_b32_e32 v10, 0
	s_mov_b64 s[34:35], 0
	v_mov_b32_e32 v13, v43
.LBB25_28:                              ; =>This Inner Loop Header: Depth=1
	ds_read_b32 v14, v12
	v_add_u32_e32 v13, 0x80, v13
	v_cmp_le_i32_e64 s[6:7], s15, v13
	s_or_b64 s[34:35], s[6:7], s[34:35]
	s_waitcnt lgkmcnt(0)
	v_sub_f32_e32 v14, v14, v11
	v_mul_f32_e32 v14, 0x3fb8aa3b, v14
	v_exp_f32_e32 v14, v14
	ds_write_b32 v12, v14
	v_add_f32_e32 v10, v10, v14
	v_add_u32_e32 v12, 0x200, v12
	s_andn2_b64 exec, exec, s[34:35]
	s_cbranch_execnz .LBB25_28
; %bb.29:
	s_or_b64 exec, exec, s[34:35]
.LBB25_30:
	s_or_b64 exec, exec, s[30:31]
	ds_bpermute_b32 v2, v2, v10
	s_waitcnt lgkmcnt(0)
	v_add_f32_e32 v2, v10, v2
	ds_bpermute_b32 v3, v3, v2
	s_waitcnt lgkmcnt(0)
	v_add_f32_e32 v2, v2, v3
	ds_bpermute_b32 v3, v8, v2
	v_xor_b32_e32 v8, 2, v0
	v_cmp_lt_i32_e64 s[6:7], v8, v1
	v_cndmask_b32_e64 v1, v0, v8, s[6:7]
	v_lshlrev_b32_e32 v13, 2, v1
	s_waitcnt lgkmcnt(0)
	v_add_f32_e32 v2, v2, v3
	ds_bpermute_b32 v3, v9, v2
	s_waitcnt lgkmcnt(0)
	v_add_f32_e32 v2, v2, v3
	ds_bpermute_b32 v1, v13, v2
	;; [unrolled: 3-line block ×3, first 2 shown]
	s_waitcnt lgkmcnt(0)
	v_add_f32_e32 v1, v1, v2
	s_and_saveexec_b64 s[6:7], vcc
; %bb.31:
	ds_write_b32 v4, v1 offset:776
; %bb.32:
	s_or_b64 exec, exec, s[6:7]
	s_waitcnt lgkmcnt(0)
	s_barrier
	s_and_saveexec_b64 s[6:7], s[2:3]
; %bb.33:
	ds_read_b32 v1, v7 offset:776
; %bb.34:
	s_or_b64 exec, exec, s[6:7]
	s_waitcnt lgkmcnt(0)
	ds_bpermute_b32 v2, v17, v1
	v_lshlrev_b32_e32 v0, 2, v0
	v_and_b32_e32 v0, 0x100, v0
	s_waitcnt lgkmcnt(0)
	v_add_f32_e32 v1, v1, v2
	ds_bpermute_b32 v0, v0, v1
	s_and_saveexec_b64 s[2:3], s[4:5]
	s_cbranch_execz .LBB25_37
; %bb.35:
	s_waitcnt lgkmcnt(0)
	v_add_f32_e32 v1, 0x358637bd, v0
	v_div_scale_f32 v0, s[4:5], v1, v1, 1.0
	v_div_scale_f32 v2, vcc, 1.0, v1, 1.0
	s_mov_b64 s[4:5], 0
	v_rcp_f32_e32 v3, v0
	v_fma_f32 v4, -v0, v3, 1.0
	v_fmac_f32_e32 v3, v4, v3
	v_mul_f32_e32 v4, v2, v3
	v_fma_f32 v7, -v0, v4, v2
	v_fmac_f32_e32 v4, v7, v3
	v_fma_f32 v0, -v0, v4, v2
	v_div_fmas_f32 v2, v0, v3, v4
	v_mov_b32_e32 v0, 0x310
	v_lshl_add_u32 v0, v43, 2, v0
	v_div_fixup_f32 v1, v2, v1, 1.0
	v_mov_b32_e32 v2, v43
.LBB25_36:                              ; =>This Inner Loop Header: Depth=1
	ds_read_b32 v3, v0
	v_add_u32_e32 v2, 0x80, v2
	v_cmp_le_i32_e32 vcc, s15, v2
	s_or_b64 s[4:5], vcc, s[4:5]
	s_waitcnt lgkmcnt(0)
	v_mul_f32_e32 v3, v1, v3
	ds_write_b32 v0, v3
	v_add_u32_e32 v0, 0x200, v0
	s_andn2_b64 exec, exec, s[4:5]
	s_cbranch_execnz .LBB25_36
.LBB25_37:
	s_or_b64 exec, exec, s[2:3]
	v_mov_b32_e32 v57, 0
	v_mov_b32_e32 v60, 0
	v_mov_b32_e32 v11, 0
	v_mov_b32_e32 v10, 0
	v_mov_b32_e32 v7, 0
	v_mov_b32_e32 v8, 0
	v_mov_b32_e32 v9, 0
	v_mov_b32_e32 v16, 0
	v_mov_b32_e32 v12, 0
	v_mov_b32_e32 v14, 0
	v_mov_b32_e32 v15, 0
	v_mov_b32_e32 v56, 0
	s_waitcnt lgkmcnt(0)
	s_barrier
	s_and_saveexec_b64 s[2:3], s[0:1]
	s_cbranch_execz .LBB25_67
; %bb.38:
	s_ashr_i32 s15, s14, 31
	s_sub_i32 s17, s12, s17
	s_lshl_b64 s[0:1], s[14:15], 2
	s_add_u32 s0, s28, s0
	s_addc_u32 s1, s29, s1
	s_abs_i32 s14, s18
	v_cvt_f32_u32_e32 v0, s14
	s_sub_i32 s4, 0, s14
	v_and_b32_e32 v1, 12, v5
	buffer_store_dword v13, off, s[48:51], 0 offset:72 ; 4-byte Folded Spill
	buffer_store_dword v17, off, s[48:51], 0 offset:68 ; 4-byte Folded Spill
	;; [unrolled: 1-line block ×4, first 2 shown]
	v_rcp_iflag_f32_e32 v0, v0
	buffer_store_dword v1, off, s[48:51], 0 offset:40 ; 4-byte Folded Spill
	v_lshlrev_b32_e32 v1, 4, v43
	v_and_b32_e32 v1, 0x3f0, v1
	v_mul_f32_e32 v0, 0x4f7ffffe, v0
	v_cvt_u32_f32_e32 v0, v0
	s_add_i32 s18, s16, -1
	v_mov_b32_e32 v4, s1
	v_add_co_u32_e32 v1, vcc, s0, v1
	v_mul_lo_u32 v3, s4, v0
	s_lshl_b64 s[0:1], s[26:27], 2
	s_add_u32 s0, s24, s0
	v_and_b32_e32 v2, 60, v6
	v_mul_hi_u32 v3, v0, v3
	buffer_store_dword v1, off, s[48:51], 0 offset:44 ; 4-byte Folded Spill
	v_addc_co_u32_e32 v1, vcc, 0, v4, vcc
	v_add_u32_e32 v0, v0, v3
	s_addc_u32 s1, s25, s1
	buffer_store_dword v0, off, s[48:51], 0 offset:36 ; 4-byte Folded Spill
	v_mov_b32_e32 v0, s1
	v_add_co_u32_e32 v53, vcc, s0, v2
	v_addc_co_u32_e32 v54, vcc, 0, v0, vcc
	v_lshlrev_b32_e32 v0, 4, v45
	v_lshl_or_b32 v0, v58, 6, v0
	v_add_u32_e32 v55, 0x310, v0
	v_mov_b32_e32 v0, 0
	buffer_store_dword v0, off, s[48:51], 0 ; 4-byte Folded Spill
	v_mov_b32_e32 v0, 0
	buffer_store_dword v0, off, s[48:51], 0 offset:4 ; 4-byte Folded Spill
	v_mov_b32_e32 v0, 0
	buffer_store_dword v0, off, s[48:51], 0 offset:8 ; 4-byte Folded Spill
	;; [unrolled: 2-line block ×6, first 2 shown]
	v_mov_b32_e32 v0, 0
	s_mov_b32 s15, s13
	v_mov_b32_e32 v56, 0
	s_mov_b64 s[4:5], 0
	buffer_store_dword v0, off, s[48:51], 0 offset:28 ; 4-byte Folded Spill
	v_mov_b32_e32 v0, 0
	v_mov_b32_e32 v60, 0
	v_mov_b32_e32 v57, 0
	buffer_store_dword v43, off, s[48:51], 0 offset:52 ; 4-byte Folded Spill
	buffer_store_dword v1, off, s[48:51], 0 offset:48 ; 4-byte Folded Spill
	buffer_store_dword v45, off, s[48:51], 0 offset:60 ; 4-byte Folded Spill
	buffer_store_dword v0, off, s[48:51], 0 offset:32 ; 4-byte Folded Spill
	s_branch .LBB25_41
.LBB25_39:                              ;   in Loop: Header=BB25_41 Depth=1
	s_or_b64 exec, exec, s[12:13]
	s_waitcnt vmcnt(2) lgkmcnt(0)
	v_mul_f32_e32 v45, v1, v45
	v_fmac_f32_e32 v45, v2, v46
	buffer_load_dword v46, off, s[48:51], 0 ; 4-byte Folded Reload
	s_waitcnt vmcnt(2)
	v_mul_f32_e32 v0, v1, v49
	v_fmac_f32_e32 v0, v2, v50
	v_fmac_f32_e32 v0, v3, v51
	;; [unrolled: 1-line block ×5, first 2 shown]
	s_waitcnt vmcnt(0)
	v_add_f32_e32 v46, v46, v0
	buffer_load_dword v0, off, s[48:51], 0 offset:4 ; 4-byte Folded Reload
	s_waitcnt vmcnt(0)
	v_add_f32_e32 v0, v0, v45
	buffer_store_dword v0, off, s[48:51], 0 offset:4 ; 4-byte Folded Spill
	v_mul_f32_e32 v0, v1, v37
	buffer_load_dword v37, off, s[48:51], 0 offset:8 ; 4-byte Folded Reload
	v_fmac_f32_e32 v0, v2, v38
	v_fmac_f32_e32 v0, v3, v39
	;; [unrolled: 1-line block ×3, first 2 shown]
	buffer_store_dword v46, off, s[48:51], 0 ; 4-byte Folded Spill
	s_waitcnt vmcnt(1)
	v_add_f32_e32 v37, v37, v0
	v_mul_f32_e32 v0, v1, v33
	buffer_load_dword v33, off, s[48:51], 0 offset:12 ; 4-byte Folded Reload
	v_fmac_f32_e32 v0, v2, v34
	v_fmac_f32_e32 v0, v3, v35
	v_fmac_f32_e32 v0, v4, v36
	buffer_store_dword v37, off, s[48:51], 0 offset:8 ; 4-byte Folded Spill
	s_waitcnt vmcnt(1)
	v_add_f32_e32 v33, v33, v0
	v_mul_f32_e32 v0, v1, v29
	buffer_load_dword v29, off, s[48:51], 0 offset:16 ; 4-byte Folded Reload
	v_fmac_f32_e32 v0, v2, v30
	v_fmac_f32_e32 v0, v3, v31
	v_fmac_f32_e32 v0, v4, v32
	buffer_store_dword v33, off, s[48:51], 0 offset:12 ; 4-byte Folded Spill
	;; [unrolled: 8-line block ×6, first 2 shown]
	s_waitcnt vmcnt(1)
	v_add_f32_e32 v13, v13, v0
	v_mul_f32_e32 v0, v1, v9
	v_fmac_f32_e32 v0, v2, v10
	v_fmac_f32_e32 v0, v3, v11
	v_fmac_f32_e32 v0, v4, v12
	v_add_f32_e32 v60, v60, v0
	v_mul_f32_e32 v0, v1, v5
	v_fmac_f32_e32 v0, v2, v6
	v_fmac_f32_e32 v0, v3, v7
	v_fmac_f32_e32 v0, v4, v8
	;; [unrolled: 5-line block ×3, first 2 shown]
	v_add_f32_e32 v56, v56, v0
	buffer_store_dword v13, off, s[48:51], 0 offset:32 ; 4-byte Folded Spill
.LBB25_40:                              ;   in Loop: Header=BB25_41 Depth=1
	s_or_b64 exec, exec, s[6:7]
	v_add_co_u32_e32 v53, vcc, 8, v53
	v_add_u32_e32 v58, 2, v58
	v_addc_co_u32_e32 v54, vcc, 0, v54, vcc
	v_cmp_le_i32_e32 vcc, s16, v58
	v_add_u32_e32 v59, 32, v59
	s_or_b64 s[4:5], vcc, s[4:5]
	v_add_u32_e32 v55, 0x80, v55
	s_andn2_b64 exec, exec, s[4:5]
	s_cbranch_execz .LBB25_66
.LBB25_41:                              ; =>This Inner Loop Header: Depth=1
	buffer_load_dword v3, off, s[48:51], 0 offset:36 ; 4-byte Folded Reload
	v_mul_hi_u32 v0, v59, s40
	v_mul_lo_u32 v1, v0, s21
	v_add_u32_e32 v2, 1, v0
	v_sub_u32_e32 v1, v59, v1
	v_cmp_le_u32_e32 vcc, s21, v1
	v_cndmask_b32_e32 v0, v0, v2, vcc
	v_subrev_u32_e32 v2, s21, v1
	v_cndmask_b32_e32 v1, v1, v2, vcc
	v_add_u32_e32 v2, 1, v0
	v_cmp_le_u32_e32 vcc, s21, v1
	v_cndmask_b32_e32 v0, v0, v2, vcc
	v_xor_b32_e32 v0, s19, v0
	v_subrev_u32_e32 v0, s19, v0
	v_add_u32_e32 v1, s41, v0
	v_sub_u32_e32 v2, 0, v1
	v_max_i32_e32 v2, v1, v2
	v_ashrrev_i32_e32 v1, 31, v1
	v_cmp_lt_i32_e64 s[0:1], s17, v0
	s_waitcnt vmcnt(0)
	v_mul_hi_u32 v3, v2, v3
	v_mul_lo_u32 v3, v3, s14
	v_sub_u32_e32 v2, v2, v3
	v_subrev_u32_e32 v3, s14, v2
	v_cmp_le_u32_e32 vcc, s14, v2
	v_cndmask_b32_e32 v2, v2, v3, vcc
	v_subrev_u32_e32 v3, s14, v2
	v_cmp_le_u32_e32 vcc, s14, v2
	v_cndmask_b32_e32 v2, v2, v3, vcc
	v_xor_b32_e32 v2, v2, v1
	v_sub_u32_e32 v1, v2, v1
	v_cmp_eq_u32_e32 vcc, 0, v1
	s_or_b64 s[0:1], vcc, s[0:1]
	s_and_saveexec_b64 s[6:7], s[0:1]
	s_cbranch_execz .LBB25_40
; %bb.42:                               ;   in Loop: Header=BB25_41 Depth=1
	global_load_dword v0, v[53:54], off
	buffer_load_dword v2, off, s[48:51], 0 offset:44 ; 4-byte Folded Reload
	s_waitcnt vmcnt(1)
	v_mad_i64_i32 v[0:1], s[0:1], v0, s15, 0
	v_cmp_eq_u32_e64 s[0:1], s18, v58
	v_lshlrev_b64 v[0:1], 2, v[0:1]
	s_waitcnt vmcnt(0)
	v_add_co_u32_e32 v41, vcc, v2, v0
	buffer_load_dword v0, off, s[48:51], 0 offset:48 ; 4-byte Folded Reload
	s_waitcnt vmcnt(0)
	v_addc_co_u32_e32 v42, vcc, v0, v1, vcc
	buffer_load_dword v0, off, s[48:51], 0 offset:40 ; 4-byte Folded Reload
	global_load_dwordx4 v[5:8], v[41:42], off
	ds_read_b128 v[1:4], v55
	s_waitcnt vmcnt(1)
	v_add_u32_e32 v62, v0, v59
	v_add_u32_e32 v63, 1, v62
	;; [unrolled: 1-line block ×4, first 2 shown]
	s_and_saveexec_b64 s[12:13], s[0:1]
	s_cbranch_execnz .LBB25_63
; %bb.43:                               ;   in Loop: Header=BB25_41 Depth=1
	s_or_b64 exec, exec, s[12:13]
	global_load_dwordx4 v[9:12], v[41:42], off offset:1024
	s_and_saveexec_b64 s[12:13], s[0:1]
	s_cbranch_execnz .LBB25_64
.LBB25_44:                              ;   in Loop: Header=BB25_41 Depth=1
	s_or_b64 exec, exec, s[12:13]
	global_load_dwordx4 v[13:16], v[41:42], off offset:2048
	s_and_saveexec_b64 s[12:13], s[0:1]
	s_cbranch_execnz .LBB25_65
.LBB25_45:                              ;   in Loop: Header=BB25_41 Depth=1
	s_or_b64 exec, exec, s[12:13]
	global_load_dwordx4 v[17:20], v[41:42], off offset:3072
	s_and_saveexec_b64 s[12:13], s[0:1]
	s_cbranch_execz .LBB25_47
.LBB25_46:                              ;   in Loop: Header=BB25_41 Depth=1
	v_cmp_gt_i32_e32 vcc, s33, v62
	s_waitcnt vmcnt(0)
	v_cndmask_b32_e32 v17, 0, v17, vcc
	v_cmp_gt_i32_e32 vcc, s33, v63
	v_cndmask_b32_e32 v18, 0, v18, vcc
	v_cmp_gt_i32_e32 vcc, s33, v61
	;; [unrolled: 2-line block ×3, first 2 shown]
	v_cndmask_b32_e32 v20, 0, v20, vcc
.LBB25_47:                              ;   in Loop: Header=BB25_41 Depth=1
	s_or_b64 exec, exec, s[12:13]
	v_add_co_u32_e32 v21, vcc, 0x1000, v41
	v_addc_co_u32_e32 v22, vcc, 0, v42, vcc
	global_load_dwordx4 v[21:24], v[21:22], off
	s_and_saveexec_b64 s[12:13], s[0:1]
	s_cbranch_execz .LBB25_49
; %bb.48:                               ;   in Loop: Header=BB25_41 Depth=1
	v_cmp_gt_i32_e32 vcc, s33, v62
	s_waitcnt vmcnt(0)
	v_cndmask_b32_e32 v21, 0, v21, vcc
	v_cmp_gt_i32_e32 vcc, s33, v63
	v_cndmask_b32_e32 v22, 0, v22, vcc
	v_cmp_gt_i32_e32 vcc, s33, v61
	v_cndmask_b32_e32 v23, 0, v23, vcc
	v_cmp_gt_i32_e32 vcc, s33, v0
	v_cndmask_b32_e32 v24, 0, v24, vcc
.LBB25_49:                              ;   in Loop: Header=BB25_41 Depth=1
	s_or_b64 exec, exec, s[12:13]
	v_add_co_u32_e32 v25, vcc, 0x1000, v41
	v_addc_co_u32_e32 v26, vcc, 0, v42, vcc
	global_load_dwordx4 v[25:28], v[25:26], off offset:1024
	s_and_saveexec_b64 s[12:13], s[0:1]
	s_cbranch_execz .LBB25_51
; %bb.50:                               ;   in Loop: Header=BB25_41 Depth=1
	v_cmp_gt_i32_e32 vcc, s33, v62
	s_waitcnt vmcnt(0)
	v_cndmask_b32_e32 v25, 0, v25, vcc
	v_cmp_gt_i32_e32 vcc, s33, v63
	v_cndmask_b32_e32 v26, 0, v26, vcc
	v_cmp_gt_i32_e32 vcc, s33, v61
	v_cndmask_b32_e32 v27, 0, v27, vcc
	v_cmp_gt_i32_e32 vcc, s33, v0
	v_cndmask_b32_e32 v28, 0, v28, vcc
.LBB25_51:                              ;   in Loop: Header=BB25_41 Depth=1
	s_or_b64 exec, exec, s[12:13]
	v_add_co_u32_e32 v29, vcc, 0x1000, v41
	v_addc_co_u32_e32 v30, vcc, 0, v42, vcc
	global_load_dwordx4 v[29:32], v[29:30], off offset:2048
	;; [unrolled: 17-line block ×3, first 2 shown]
	s_and_saveexec_b64 s[12:13], s[0:1]
	s_cbranch_execz .LBB25_55
; %bb.54:                               ;   in Loop: Header=BB25_41 Depth=1
	v_cmp_gt_i32_e32 vcc, s33, v62
	s_waitcnt vmcnt(0)
	v_cndmask_b32_e32 v33, 0, v33, vcc
	v_cmp_gt_i32_e32 vcc, s33, v63
	v_cndmask_b32_e32 v34, 0, v34, vcc
	v_cmp_gt_i32_e32 vcc, s33, v61
	;; [unrolled: 2-line block ×3, first 2 shown]
	v_cndmask_b32_e32 v36, 0, v36, vcc
.LBB25_55:                              ;   in Loop: Header=BB25_41 Depth=1
	s_or_b64 exec, exec, s[12:13]
	v_add_co_u32_e32 v37, vcc, 0x2000, v41
	v_addc_co_u32_e32 v38, vcc, 0, v42, vcc
	global_load_dwordx4 v[37:40], v[37:38], off
	s_and_saveexec_b64 s[12:13], s[0:1]
	s_cbranch_execz .LBB25_57
; %bb.56:                               ;   in Loop: Header=BB25_41 Depth=1
	v_cmp_gt_i32_e32 vcc, s33, v62
	s_waitcnt vmcnt(0)
	v_cndmask_b32_e32 v37, 0, v37, vcc
	v_cmp_gt_i32_e32 vcc, s33, v63
	v_cndmask_b32_e32 v38, 0, v38, vcc
	v_cmp_gt_i32_e32 vcc, s33, v61
	v_cndmask_b32_e32 v39, 0, v39, vcc
	v_cmp_gt_i32_e32 vcc, s33, v0
	v_cndmask_b32_e32 v40, 0, v40, vcc
.LBB25_57:                              ;   in Loop: Header=BB25_41 Depth=1
	s_or_b64 exec, exec, s[12:13]
	v_add_co_u32_e32 v43, vcc, 0x2000, v41
	v_addc_co_u32_e32 v44, vcc, 0, v42, vcc
	global_load_dwordx4 v[45:48], v[43:44], off offset:1024
	s_and_saveexec_b64 s[12:13], s[0:1]
	s_cbranch_execz .LBB25_59
; %bb.58:                               ;   in Loop: Header=BB25_41 Depth=1
	v_cmp_gt_i32_e32 vcc, s33, v62
	s_waitcnt vmcnt(0)
	v_cndmask_b32_e32 v45, 0, v45, vcc
	v_cmp_gt_i32_e32 vcc, s33, v63
	v_cndmask_b32_e32 v46, 0, v46, vcc
	v_cmp_gt_i32_e32 vcc, s33, v61
	v_cndmask_b32_e32 v47, 0, v47, vcc
	v_cmp_gt_i32_e32 vcc, s33, v0
	v_cndmask_b32_e32 v48, 0, v48, vcc
.LBB25_59:                              ;   in Loop: Header=BB25_41 Depth=1
	s_or_b64 exec, exec, s[12:13]
	v_add_co_u32_e32 v43, vcc, 0x2000, v41
	v_addc_co_u32_e32 v44, vcc, 0, v42, vcc
	global_load_dwordx4 v[49:52], v[43:44], off offset:2048
	;; [unrolled: 17-line block ×3, first 2 shown]
	s_and_saveexec_b64 s[12:13], s[0:1]
	s_cbranch_execz .LBB25_39
; %bb.62:                               ;   in Loop: Header=BB25_41 Depth=1
	v_cmp_gt_i32_e32 vcc, s33, v62
	s_waitcnt vmcnt(0)
	v_cndmask_b32_e32 v41, 0, v41, vcc
	v_cmp_gt_i32_e32 vcc, s33, v63
	v_cndmask_b32_e32 v42, 0, v42, vcc
	v_cmp_gt_i32_e32 vcc, s33, v61
	;; [unrolled: 2-line block ×3, first 2 shown]
	v_cndmask_b32_e32 v44, 0, v44, vcc
	s_branch .LBB25_39
.LBB25_63:                              ;   in Loop: Header=BB25_41 Depth=1
	v_cmp_gt_i32_e32 vcc, s33, v62
	s_waitcnt vmcnt(0)
	v_cndmask_b32_e32 v5, 0, v5, vcc
	v_cmp_gt_i32_e32 vcc, s33, v63
	v_cndmask_b32_e32 v6, 0, v6, vcc
	v_cmp_gt_i32_e32 vcc, s33, v61
	;; [unrolled: 2-line block ×3, first 2 shown]
	v_cndmask_b32_e32 v8, 0, v8, vcc
	s_or_b64 exec, exec, s[12:13]
	global_load_dwordx4 v[9:12], v[41:42], off offset:1024
	s_and_saveexec_b64 s[12:13], s[0:1]
	s_cbranch_execz .LBB25_44
.LBB25_64:                              ;   in Loop: Header=BB25_41 Depth=1
	v_cmp_gt_i32_e32 vcc, s33, v62
	s_waitcnt vmcnt(0)
	v_cndmask_b32_e32 v9, 0, v9, vcc
	v_cmp_gt_i32_e32 vcc, s33, v63
	v_cndmask_b32_e32 v10, 0, v10, vcc
	v_cmp_gt_i32_e32 vcc, s33, v61
	;; [unrolled: 2-line block ×3, first 2 shown]
	v_cndmask_b32_e32 v12, 0, v12, vcc
	s_or_b64 exec, exec, s[12:13]
	global_load_dwordx4 v[13:16], v[41:42], off offset:2048
	s_and_saveexec_b64 s[12:13], s[0:1]
	s_cbranch_execz .LBB25_45
.LBB25_65:                              ;   in Loop: Header=BB25_41 Depth=1
	v_cmp_gt_i32_e32 vcc, s33, v62
	s_waitcnt vmcnt(0)
	v_cndmask_b32_e32 v13, 0, v13, vcc
	v_cmp_gt_i32_e32 vcc, s33, v63
	v_cndmask_b32_e32 v14, 0, v14, vcc
	v_cmp_gt_i32_e32 vcc, s33, v61
	;; [unrolled: 2-line block ×3, first 2 shown]
	v_cndmask_b32_e32 v16, 0, v16, vcc
	s_or_b64 exec, exec, s[12:13]
	global_load_dwordx4 v[17:20], v[41:42], off offset:3072
	s_and_saveexec_b64 s[12:13], s[0:1]
	s_cbranch_execnz .LBB25_46
	s_branch .LBB25_47
.LBB25_66:
	s_or_b64 exec, exec, s[4:5]
	buffer_load_dword v44, off, s[48:51], 0 offset:56 ; 4-byte Folded Reload
	buffer_load_dword v43, off, s[48:51], 0 offset:52 ; 4-byte Folded Reload
	;; [unrolled: 1-line block ×6, first 2 shown]
	buffer_load_dword v15, off, s[48:51], 0 ; 4-byte Folded Reload
	buffer_load_dword v14, off, s[48:51], 0 offset:4 ; 4-byte Folded Reload
	buffer_load_dword v12, off, s[48:51], 0 offset:8 ; 4-byte Folded Reload
	buffer_load_dword v16, off, s[48:51], 0 offset:12 ; 4-byte Folded Reload
	buffer_load_dword v9, off, s[48:51], 0 offset:16 ; 4-byte Folded Reload
	buffer_load_dword v8, off, s[48:51], 0 offset:20 ; 4-byte Folded Reload
	buffer_load_dword v7, off, s[48:51], 0 offset:24 ; 4-byte Folded Reload
	buffer_load_dword v10, off, s[48:51], 0 offset:28 ; 4-byte Folded Reload
	buffer_load_dword v11, off, s[48:51], 0 offset:32 ; 4-byte Folded Reload
	s_waitcnt vmcnt(14)
	v_lshlrev_b32_e32 v42, 2, v44
.LBB25_67:
	s_or_b64 exec, exec, s[2:3]
	s_waitcnt vmcnt(9)
	ds_bpermute_b32 v0, v13, v57
	ds_bpermute_b32 v1, v13, v60
	s_waitcnt vmcnt(0)
	ds_bpermute_b32 v2, v13, v11
	ds_bpermute_b32 v3, v13, v10
	s_waitcnt lgkmcnt(0)
	v_add_f32_e32 v0, v57, v0
	v_add_f32_e32 v1, v60, v1
	ds_bpermute_b32 v4, v17, v0
	ds_bpermute_b32 v5, v17, v1
	v_add_f32_e32 v2, v11, v2
	v_add_f32_e32 v3, v10, v3
	ds_bpermute_b32 v6, v17, v2
	s_waitcnt lgkmcnt(2)
	v_add_f32_e32 v0, v0, v4
	ds_bpermute_b32 v4, v17, v3
	s_waitcnt lgkmcnt(2)
	;; [unrolled: 3-line block ×7, first 2 shown]
	v_add_f32_e32 v9, v9, v4
	ds_bpermute_b32 v10, v17, v9
	ds_bpermute_b32 v11, v13, v16
	s_waitcnt lgkmcnt(3)
	v_add_f32_e32 v4, v5, v7
	ds_bpermute_b32 v7, v13, v12
	s_waitcnt lgkmcnt(3)
	v_add_f32_e32 v5, v6, v8
	s_waitcnt lgkmcnt(2)
	v_add_f32_e32 v6, v9, v10
	;; [unrolled: 2-line block ×3, first 2 shown]
	ds_bpermute_b32 v10, v13, v14
	s_waitcnt lgkmcnt(1)
	v_add_f32_e32 v11, v12, v7
	ds_bpermute_b32 v7, v13, v15
	ds_bpermute_b32 v13, v13, v56
	;; [unrolled: 1-line block ×4, first 2 shown]
	s_waitcnt lgkmcnt(4)
	v_add_f32_e32 v10, v14, v10
	s_waitcnt lgkmcnt(3)
	v_add_f32_e32 v15, v15, v7
	;; [unrolled: 2-line block ×3, first 2 shown]
	ds_bpermute_b32 v14, v17, v10
	ds_bpermute_b32 v16, v17, v15
	ds_bpermute_b32 v17, v17, v13
	s_waitcnt lgkmcnt(4)
	v_add_f32_e32 v7, v8, v9
	s_waitcnt lgkmcnt(3)
	v_add_f32_e32 v8, v11, v12
	v_and_b32_e32 v12, 0x3c3, v43
	s_waitcnt lgkmcnt(2)
	v_add_f32_e32 v9, v10, v14
	s_waitcnt lgkmcnt(1)
	v_add_f32_e32 v10, v15, v16
	;; [unrolled: 2-line block ×3, first 2 shown]
	v_cmp_eq_u32_e32 vcc, 64, v12
	s_barrier
	s_and_saveexec_b64 s[0:1], vcc
	s_cbranch_execz .LBB25_69
; %bb.68:
	v_add_u32_e32 v13, 0x310, v18
	ds_write2_b32 v13, v0, v1 offset1:16
	ds_write2_b32 v13, v2, v3 offset0:32 offset1:48
	ds_write2_b32 v13, v4, v5 offset0:64 offset1:80
	;; [unrolled: 1-line block ×5, first 2 shown]
.LBB25_69:
	s_or_b64 exec, exec, s[0:1]
	v_cmp_gt_u32_e32 vcc, 64, v43
	s_waitcnt lgkmcnt(0)
	s_barrier
	s_and_saveexec_b64 s[0:1], vcc
	s_cbranch_execz .LBB25_84
; %bb.70:
	v_mov_b32_e32 v13, 0x310
	v_cmp_eq_u32_e32 vcc, 0, v45
	v_lshl_add_u32 v13, v44, 2, v13
	s_and_saveexec_b64 s[2:3], vcc
	s_cbranch_execnz .LBB25_87
; %bb.71:
	s_or_b64 exec, exec, s[2:3]
	s_and_saveexec_b64 s[2:3], vcc
	s_cbranch_execnz .LBB25_88
.LBB25_72:
	s_or_b64 exec, exec, s[2:3]
	s_and_saveexec_b64 s[2:3], vcc
	s_cbranch_execnz .LBB25_89
.LBB25_73:
	s_or_b64 exec, exec, s[2:3]
	s_and_saveexec_b64 s[2:3], vcc
	s_cbranch_execnz .LBB25_90
.LBB25_74:
	s_or_b64 exec, exec, s[2:3]
	s_and_saveexec_b64 s[2:3], vcc
	s_cbranch_execnz .LBB25_91
.LBB25_75:
	s_or_b64 exec, exec, s[2:3]
	s_and_saveexec_b64 s[2:3], vcc
	s_cbranch_execnz .LBB25_92
.LBB25_76:
	s_or_b64 exec, exec, s[2:3]
	s_and_saveexec_b64 s[2:3], vcc
	s_cbranch_execnz .LBB25_93
.LBB25_77:
	s_or_b64 exec, exec, s[2:3]
	s_and_saveexec_b64 s[2:3], vcc
	s_cbranch_execnz .LBB25_94
.LBB25_78:
	s_or_b64 exec, exec, s[2:3]
	s_and_saveexec_b64 s[2:3], vcc
	s_cbranch_execnz .LBB25_95
.LBB25_79:
	s_or_b64 exec, exec, s[2:3]
	s_and_saveexec_b64 s[2:3], vcc
	s_cbranch_execnz .LBB25_96
.LBB25_80:
	s_or_b64 exec, exec, s[2:3]
	s_and_saveexec_b64 s[2:3], vcc
	s_cbranch_execnz .LBB25_97
.LBB25_81:
	s_or_b64 exec, exec, s[2:3]
	s_and_saveexec_b64 s[2:3], vcc
	s_cbranch_execz .LBB25_83
.LBB25_82:
	ds_read_b32 v13, v13 offset:704
	s_waitcnt lgkmcnt(0)
	v_add_f32_e32 v11, v11, v13
.LBB25_83:
	s_or_b64 exec, exec, s[2:3]
.LBB25_84:
	s_or_b64 exec, exec, s[0:1]
	v_cmp_eq_u32_e32 vcc, 0, v12
	s_barrier
	s_and_saveexec_b64 s[0:1], vcc
	s_cbranch_execz .LBB25_86
; %bb.85:
	s_mul_i32 s0, s10, s11
	s_mul_i32 s0, s0, s9
	s_mulk_i32 s0, 0xc0
	s_ashr_i32 s1, s0, 31
	s_lshl_b64 s[0:1], s[0:1], 2
	s_add_u32 s2, s22, s0
	s_mul_i32 s0, s11, s20
	s_addc_u32 s3, s23, s1
	s_ashr_i32 s1, s0, 31
	s_lshl_b64 s[0:1], s[0:1], 2
	s_add_u32 s2, s2, s0
	s_mul_i32 s0, s8, 0xc0
	s_addc_u32 s3, s3, s1
	s_ashr_i32 s1, s0, 31
	s_lshl_b64 s[0:1], s[0:1], 2
	s_add_u32 s0, s2, s0
	s_addc_u32 s1, s3, s1
	global_store_dword v42, v0, s[0:1]
	global_store_dword v42, v1, s[0:1] offset:64
	global_store_dword v42, v2, s[0:1] offset:128
	;; [unrolled: 1-line block ×11, first 2 shown]
.LBB25_86:
	s_endpgm
.LBB25_87:
	ds_read_b32 v14, v13
	s_waitcnt lgkmcnt(0)
	v_add_f32_e32 v0, v0, v14
	s_or_b64 exec, exec, s[2:3]
	s_and_saveexec_b64 s[2:3], vcc
	s_cbranch_execz .LBB25_72
.LBB25_88:
	ds_read_b32 v14, v13 offset:64
	s_waitcnt lgkmcnt(0)
	v_add_f32_e32 v1, v1, v14
	s_or_b64 exec, exec, s[2:3]
	s_and_saveexec_b64 s[2:3], vcc
	s_cbranch_execz .LBB25_73
.LBB25_89:
	ds_read_b32 v14, v13 offset:128
	s_waitcnt lgkmcnt(0)
	v_add_f32_e32 v2, v2, v14
	s_or_b64 exec, exec, s[2:3]
	s_and_saveexec_b64 s[2:3], vcc
	s_cbranch_execz .LBB25_74
.LBB25_90:
	ds_read_b32 v14, v13 offset:192
	s_waitcnt lgkmcnt(0)
	v_add_f32_e32 v3, v3, v14
	s_or_b64 exec, exec, s[2:3]
	s_and_saveexec_b64 s[2:3], vcc
	s_cbranch_execz .LBB25_75
.LBB25_91:
	ds_read_b32 v14, v13 offset:256
	s_waitcnt lgkmcnt(0)
	v_add_f32_e32 v4, v4, v14
	s_or_b64 exec, exec, s[2:3]
	s_and_saveexec_b64 s[2:3], vcc
	s_cbranch_execz .LBB25_76
.LBB25_92:
	ds_read_b32 v14, v13 offset:320
	s_waitcnt lgkmcnt(0)
	v_add_f32_e32 v5, v5, v14
	s_or_b64 exec, exec, s[2:3]
	s_and_saveexec_b64 s[2:3], vcc
	s_cbranch_execz .LBB25_77
.LBB25_93:
	ds_read_b32 v14, v13 offset:384
	s_waitcnt lgkmcnt(0)
	v_add_f32_e32 v6, v6, v14
	s_or_b64 exec, exec, s[2:3]
	s_and_saveexec_b64 s[2:3], vcc
	s_cbranch_execz .LBB25_78
.LBB25_94:
	ds_read_b32 v14, v13 offset:448
	s_waitcnt lgkmcnt(0)
	v_add_f32_e32 v7, v7, v14
	s_or_b64 exec, exec, s[2:3]
	s_and_saveexec_b64 s[2:3], vcc
	s_cbranch_execz .LBB25_79
.LBB25_95:
	ds_read_b32 v14, v13 offset:512
	s_waitcnt lgkmcnt(0)
	v_add_f32_e32 v8, v8, v14
	s_or_b64 exec, exec, s[2:3]
	s_and_saveexec_b64 s[2:3], vcc
	s_cbranch_execz .LBB25_80
.LBB25_96:
	ds_read_b32 v14, v13 offset:576
	s_waitcnt lgkmcnt(0)
	v_add_f32_e32 v9, v9, v14
	s_or_b64 exec, exec, s[2:3]
	s_and_saveexec_b64 s[2:3], vcc
	s_cbranch_execz .LBB25_81
.LBB25_97:
	ds_read_b32 v14, v13 offset:640
	s_waitcnt lgkmcnt(0)
	v_add_f32_e32 v10, v10, v14
	s_or_b64 exec, exec, s[2:3]
	s_and_saveexec_b64 s[2:3], vcc
	s_cbranch_execnz .LBB25_82
	s_branch .LBB25_83
	.section	.rodata,"a",@progbits
	.p2align	6, 0x0
	.amdhsa_kernel _ZN4vllm25paged_attention_v1_kernelIffLi192ELi16ELi128ELNS_18Fp8KVCacheDataTypeE0ELb1EEEvPT_PKS2_PKT0_S8_ifPKiSA_iPKfiiiSC_SC_iiiii
		.amdhsa_group_segment_fixed_size 784
		.amdhsa_private_segment_fixed_size 80
		.amdhsa_kernarg_size 384
		.amdhsa_user_sgpr_count 6
		.amdhsa_user_sgpr_private_segment_buffer 1
		.amdhsa_user_sgpr_dispatch_ptr 0
		.amdhsa_user_sgpr_queue_ptr 0
		.amdhsa_user_sgpr_kernarg_segment_ptr 1
		.amdhsa_user_sgpr_dispatch_id 0
		.amdhsa_user_sgpr_flat_scratch_init 0
		.amdhsa_user_sgpr_private_segment_size 0
		.amdhsa_uses_dynamic_stack 0
		.amdhsa_system_sgpr_private_segment_wavefront_offset 1
		.amdhsa_system_sgpr_workgroup_id_x 1
		.amdhsa_system_sgpr_workgroup_id_y 1
		.amdhsa_system_sgpr_workgroup_id_z 1
		.amdhsa_system_sgpr_workgroup_info 0
		.amdhsa_system_vgpr_workitem_id 0
		.amdhsa_next_free_vgpr 64
		.amdhsa_next_free_sgpr 52
		.amdhsa_reserve_vcc 1
		.amdhsa_reserve_flat_scratch 0
		.amdhsa_float_round_mode_32 0
		.amdhsa_float_round_mode_16_64 0
		.amdhsa_float_denorm_mode_32 3
		.amdhsa_float_denorm_mode_16_64 3
		.amdhsa_dx10_clamp 1
		.amdhsa_ieee_mode 1
		.amdhsa_fp16_overflow 0
		.amdhsa_exception_fp_ieee_invalid_op 0
		.amdhsa_exception_fp_denorm_src 0
		.amdhsa_exception_fp_ieee_div_zero 0
		.amdhsa_exception_fp_ieee_overflow 0
		.amdhsa_exception_fp_ieee_underflow 0
		.amdhsa_exception_fp_ieee_inexact 0
		.amdhsa_exception_int_div_zero 0
	.end_amdhsa_kernel
	.section	.text._ZN4vllm25paged_attention_v1_kernelIffLi192ELi16ELi128ELNS_18Fp8KVCacheDataTypeE0ELb1EEEvPT_PKS2_PKT0_S8_ifPKiSA_iPKfiiiSC_SC_iiiii,"axG",@progbits,_ZN4vllm25paged_attention_v1_kernelIffLi192ELi16ELi128ELNS_18Fp8KVCacheDataTypeE0ELb1EEEvPT_PKS2_PKT0_S8_ifPKiSA_iPKfiiiSC_SC_iiiii,comdat
.Lfunc_end25:
	.size	_ZN4vllm25paged_attention_v1_kernelIffLi192ELi16ELi128ELNS_18Fp8KVCacheDataTypeE0ELb1EEEvPT_PKS2_PKT0_S8_ifPKiSA_iPKfiiiSC_SC_iiiii, .Lfunc_end25-_ZN4vllm25paged_attention_v1_kernelIffLi192ELi16ELi128ELNS_18Fp8KVCacheDataTypeE0ELb1EEEvPT_PKS2_PKT0_S8_ifPKiSA_iPKfiiiSC_SC_iiiii
                                        ; -- End function
	.set _ZN4vllm25paged_attention_v1_kernelIffLi192ELi16ELi128ELNS_18Fp8KVCacheDataTypeE0ELb1EEEvPT_PKS2_PKT0_S8_ifPKiSA_iPKfiiiSC_SC_iiiii.num_vgpr, 64
	.set _ZN4vllm25paged_attention_v1_kernelIffLi192ELi16ELi128ELNS_18Fp8KVCacheDataTypeE0ELb1EEEvPT_PKS2_PKT0_S8_ifPKiSA_iPKfiiiSC_SC_iiiii.num_agpr, 0
	.set _ZN4vllm25paged_attention_v1_kernelIffLi192ELi16ELi128ELNS_18Fp8KVCacheDataTypeE0ELb1EEEvPT_PKS2_PKT0_S8_ifPKiSA_iPKfiiiSC_SC_iiiii.numbered_sgpr, 52
	.set _ZN4vllm25paged_attention_v1_kernelIffLi192ELi16ELi128ELNS_18Fp8KVCacheDataTypeE0ELb1EEEvPT_PKS2_PKT0_S8_ifPKiSA_iPKfiiiSC_SC_iiiii.num_named_barrier, 0
	.set _ZN4vllm25paged_attention_v1_kernelIffLi192ELi16ELi128ELNS_18Fp8KVCacheDataTypeE0ELb1EEEvPT_PKS2_PKT0_S8_ifPKiSA_iPKfiiiSC_SC_iiiii.private_seg_size, 80
	.set _ZN4vllm25paged_attention_v1_kernelIffLi192ELi16ELi128ELNS_18Fp8KVCacheDataTypeE0ELb1EEEvPT_PKS2_PKT0_S8_ifPKiSA_iPKfiiiSC_SC_iiiii.uses_vcc, 1
	.set _ZN4vllm25paged_attention_v1_kernelIffLi192ELi16ELi128ELNS_18Fp8KVCacheDataTypeE0ELb1EEEvPT_PKS2_PKT0_S8_ifPKiSA_iPKfiiiSC_SC_iiiii.uses_flat_scratch, 0
	.set _ZN4vllm25paged_attention_v1_kernelIffLi192ELi16ELi128ELNS_18Fp8KVCacheDataTypeE0ELb1EEEvPT_PKS2_PKT0_S8_ifPKiSA_iPKfiiiSC_SC_iiiii.has_dyn_sized_stack, 0
	.set _ZN4vllm25paged_attention_v1_kernelIffLi192ELi16ELi128ELNS_18Fp8KVCacheDataTypeE0ELb1EEEvPT_PKS2_PKT0_S8_ifPKiSA_iPKfiiiSC_SC_iiiii.has_recursion, 0
	.set _ZN4vllm25paged_attention_v1_kernelIffLi192ELi16ELi128ELNS_18Fp8KVCacheDataTypeE0ELb1EEEvPT_PKS2_PKT0_S8_ifPKiSA_iPKfiiiSC_SC_iiiii.has_indirect_call, 0
	.section	.AMDGPU.csdata,"",@progbits
; Kernel info:
; codeLenInByte = 6652
; TotalNumSgprs: 56
; NumVgprs: 64
; ScratchSize: 80
; MemoryBound: 0
; FloatMode: 240
; IeeeMode: 1
; LDSByteSize: 784 bytes/workgroup (compile time only)
; SGPRBlocks: 6
; VGPRBlocks: 15
; NumSGPRsForWavesPerEU: 56
; NumVGPRsForWavesPerEU: 64
; Occupancy: 4
; WaveLimiterHint : 1
; COMPUTE_PGM_RSRC2:SCRATCH_EN: 1
; COMPUTE_PGM_RSRC2:USER_SGPR: 6
; COMPUTE_PGM_RSRC2:TRAP_HANDLER: 0
; COMPUTE_PGM_RSRC2:TGID_X_EN: 1
; COMPUTE_PGM_RSRC2:TGID_Y_EN: 1
; COMPUTE_PGM_RSRC2:TGID_Z_EN: 1
; COMPUTE_PGM_RSRC2:TIDIG_COMP_CNT: 0
	.section	.text._ZN4vllm25paged_attention_v1_kernelIffLi256ELi16ELi128ELNS_18Fp8KVCacheDataTypeE0ELb1EEEvPT_PKS2_PKT0_S8_ifPKiSA_iPKfiiiSC_SC_iiiii,"axG",@progbits,_ZN4vllm25paged_attention_v1_kernelIffLi256ELi16ELi128ELNS_18Fp8KVCacheDataTypeE0ELb1EEEvPT_PKS2_PKT0_S8_ifPKiSA_iPKfiiiSC_SC_iiiii,comdat
	.protected	_ZN4vllm25paged_attention_v1_kernelIffLi256ELi16ELi128ELNS_18Fp8KVCacheDataTypeE0ELb1EEEvPT_PKS2_PKT0_S8_ifPKiSA_iPKfiiiSC_SC_iiiii ; -- Begin function _ZN4vllm25paged_attention_v1_kernelIffLi256ELi16ELi128ELNS_18Fp8KVCacheDataTypeE0ELb1EEEvPT_PKS2_PKT0_S8_ifPKiSA_iPKfiiiSC_SC_iiiii
	.globl	_ZN4vllm25paged_attention_v1_kernelIffLi256ELi16ELi128ELNS_18Fp8KVCacheDataTypeE0ELb1EEEvPT_PKS2_PKT0_S8_ifPKiSA_iPKfiiiSC_SC_iiiii
	.p2align	8
	.type	_ZN4vllm25paged_attention_v1_kernelIffLi256ELi16ELi128ELNS_18Fp8KVCacheDataTypeE0ELb1EEEvPT_PKS2_PKT0_S8_ifPKiSA_iPKfiiiSC_SC_iiiii,@function
_ZN4vllm25paged_attention_v1_kernelIffLi256ELi16ELi128ELNS_18Fp8KVCacheDataTypeE0ELb1EEEvPT_PKS2_PKT0_S8_ifPKiSA_iPKfiiiSC_SC_iiiii: ; @_ZN4vllm25paged_attention_v1_kernelIffLi256ELi16ELi128ELNS_18Fp8KVCacheDataTypeE0ELb1EEEvPT_PKS2_PKT0_S8_ifPKiSA_iPKfiiiSC_SC_iiiii
; %bb.0:
	s_mov_b64 s[50:51], s[2:3]
	s_mov_b64 s[48:49], s[0:1]
	s_add_u32 s48, s48, s9
	s_load_dword s9, s[4:5], 0x80
	s_load_dwordx2 s[0:1], s[4:5], 0x30
	s_load_dwordx2 s[30:31], s[4:5], 0x20
	s_addc_u32 s49, s49, 0
	s_mov_b32 s10, s7
	s_ashr_i32 s11, s7, 31
	s_lshl_b64 s[2:3], s[10:11], 2
	s_waitcnt lgkmcnt(0)
	s_add_u32 s0, s0, s2
	s_addc_u32 s1, s1, s3
	s_abs_i32 s2, s30
	v_mov_b32_e32 v45, v0
	v_cvt_f32_u32_e32 v0, s2
	s_sub_i32 s11, 0, s2
	s_abs_i32 s7, s9
	s_xor_b32 s3, s9, s30
	v_rcp_iflag_f32_e32 v0, v0
	s_ashr_i32 s3, s3, 31
	s_mov_b32 s42, 0
	v_mul_f32_e32 v0, 0x4f7ffffe, v0
	v_cvt_u32_f32_e32 v0, v0
	v_readfirstlane_b32 s12, v0
	s_mul_i32 s11, s11, s12
	s_mul_hi_u32 s11, s12, s11
	s_add_i32 s12, s12, s11
	s_mul_hi_u32 s11, s7, s12
	s_mul_i32 s12, s11, s2
	s_sub_i32 s7, s7, s12
	s_add_i32 s12, s11, 1
	s_sub_i32 s13, s7, s2
	s_cmp_ge_u32 s7, s2
	s_cselect_b32 s11, s12, s11
	s_cselect_b32 s7, s13, s7
	s_add_i32 s12, s11, 1
	s_cmp_ge_u32 s7, s2
	s_cselect_b32 s2, s12, s11
	s_xor_b32 s2, s2, s3
	s_sub_i32 s11, s2, s3
	s_abs_i32 s22, s11
	v_cvt_f32_u32_e32 v0, s22
	s_load_dwordx2 s[2:3], s[4:5], 0x40
	s_sub_i32 s7, 0, s22
	s_abs_i32 s23, s6
	v_rcp_iflag_f32_e32 v0, v0
	v_mul_f32_e32 v0, 0x4f7ffffe, v0
	v_cvt_u32_f32_e32 v0, v0
	v_readfirstlane_b32 s12, v0
	s_mul_i32 s7, s7, s12
	s_mul_hi_u32 s7, s12, s7
	s_add_i32 s12, s12, s7
	s_waitcnt lgkmcnt(0)
	s_cmp_eq_u64 s[2:3], 0
	s_mul_hi_u32 s24, s23, s12
	s_cbranch_scc1 .LBB26_2
; %bb.1:
	s_ashr_i32 s7, s6, 31
	s_lshl_b64 s[12:13], s[6:7], 2
	s_add_u32 s2, s2, s12
	s_addc_u32 s3, s3, s13
	s_load_dword s42, s[2:3], 0x0
.LBB26_2:
	s_load_dword s33, s[0:1], 0x0
	s_ashr_i32 s25, s11, 31
	s_load_dword s11, s[4:5], 0x88
	s_load_dwordx4 s[12:15], s[4:5], 0x48
	v_lshrrev_b32_e32 v46, 2, v45
	s_movk_i32 s0, 0x100
	s_ashr_i32 s7, s6, 31
	v_and_b32_e32 v47, 3, v45
	s_lshl_b32 s20, s6, 8
	v_cmp_gt_u32_e32 vcc, s0, v45
	v_lshlrev_b32_e32 v7, 2, v45
	v_lshlrev_b32_e32 v44, 2, v46
	s_and_saveexec_b64 s[0:1], vcc
	s_cbranch_execz .LBB26_5
; %bb.3:
	s_load_dwordx2 s[2:3], s[4:5], 0x8
	s_waitcnt lgkmcnt(0)
	s_mul_i32 s16, s12, s10
	s_ashr_i32 s17, s16, 31
	s_lshl_b64 s[16:17], s[16:17], 2
	v_lshl_add_u32 v0, v47, 8, v44
	s_add_u32 s12, s2, s16
	s_addc_u32 s15, s3, s17
	s_ashr_i32 s21, s20, 31
	s_lshl_b64 s[2:3], s[20:21], 2
	s_add_u32 s2, s12, s2
	s_addc_u32 s3, s15, s3
	global_load_dword v1, v7, s[2:3]
	s_movk_i32 s12, 0x80
	v_cmp_gt_u32_e32 vcc, s12, v45
	s_waitcnt vmcnt(0)
	ds_write_b32 v0, v1
	s_and_b64 exec, exec, vcc
	s_cbranch_execz .LBB26_5
; %bb.4:
	v_lshlrev_b32_e32 v1, 4, v46
	v_lshlrev_b32_e32 v2, 2, v47
	s_movk_i32 s12, 0x200
	v_or3_b32 v1, v1, v2, s12
	global_load_dword v1, v1, s[2:3]
	s_waitcnt vmcnt(0)
	ds_write_b32 v0, v1 offset:128
.LBB26_5:
	s_or_b64 exec, exec, s[0:1]
	s_mul_i32 s1, s24, s22
	s_sub_i32 s1, s23, s1
	s_xor_b32 s0, s7, s25
	s_add_i32 s2, s24, 1
	s_sub_i32 s7, s1, s22
	s_load_dwordx4 s[16:19], s[4:5], 0x68
	s_load_dword s3, s[4:5], 0x78
	s_cmp_ge_u32 s1, s22
	s_cselect_b32 s2, s2, s24
	s_cselect_b32 s1, s7, s1
	s_add_i32 s7, s2, 1
	s_cmp_ge_u32 s1, s22
	s_cselect_b32 s1, s7, s2
	s_waitcnt lgkmcnt(0)
	s_abs_i32 s21, s19
	v_cvt_f32_u32_e32 v0, s21
	s_xor_b32 s1, s1, s0
	s_sub_i32 s2, s1, s0
	s_sub_i32 s0, 0, s21
	v_rcp_iflag_f32_e32 v0, v0
	s_add_i32 s15, s33, -1
	s_abs_i32 s7, s15
	v_mul_f32_e32 v0, 0x4f7ffffe, v0
	v_cvt_u32_f32_e32 v0, v0
	s_barrier
	v_readfirstlane_b32 s40, v0
	s_mul_i32 s0, s0, s40
	s_mul_hi_u32 s0, s40, s0
	s_add_i32 s40, s40, s0
	s_cmp_lt_i32 s3, 0
	s_mul_hi_u32 s12, s7, s40
	s_cbranch_scc0 .LBB26_7
; %bb.6:
	s_mul_i32 s0, s16, s30
	s_add_i32 s0, s2, s0
	s_mul_i32 s0, s0, s3
	s_sub_i32 s41, 1, s0
	s_mov_b64 s[0:1], 0
	s_branch .LBB26_8
.LBB26_7:
	s_mov_b64 s[0:1], -1
                                        ; implicit-def: $sgpr41
.LBB26_8:
	s_load_dwordx2 s[24:25], s[4:5], 0x28
	s_ashr_i32 s15, s15, 31
	s_andn2_b64 vcc, exec, s[0:1]
	s_ashr_i32 s19, s19, 31
	s_cbranch_vccnz .LBB26_10
; %bb.9:
	s_mul_i32 s0, s9, s16
	s_add_i32 s0, s0, s6
	s_mul_i32 s0, s0, s3
	s_add_i32 s41, s0, 1
.LBB26_10:
	s_load_dword s0, s[4:5], 0x38
	s_load_dwordx2 s[22:23], s[4:5], 0x0
	s_load_dwordx2 s[28:29], s[4:5], 0x18
	s_mul_i32 s3, s12, s21
	s_xor_b32 s1, s15, s19
	s_waitcnt lgkmcnt(0)
	s_mul_i32 s26, s0, s10
	s_sub_i32 s0, s7, s3
	s_ashr_i32 s27, s26, 31
	s_add_i32 s3, s12, 1
	s_sub_i32 s6, s0, s21
	s_cmp_ge_u32 s0, s21
	s_cselect_b32 s3, s3, s12
	s_cselect_b32 s0, s6, s0
	s_add_i32 s6, s3, 1
	s_cmp_ge_u32 s0, s21
	s_cselect_b32 s0, s6, s3
	s_xor_b32 s0, s0, s1
	s_sub_i32 s12, s0, s1
	s_add_i32 s0, s33, 15
	s_ashr_i32 s1, s0, 31
	s_lshr_b32 s1, s1, 28
	s_add_i32 s0, s0, s1
	s_ashr_i32 s16, s0, 4
	v_lshrrev_b32_e32 v0, 6, v45
	v_cmp_gt_i32_e64 s[0:1], s16, v0
	v_mov_b32_e32 v13, 0xff7fffff
	s_mul_i32 s14, s2, s14
	v_lshrrev_b32_e32 v8, 4, v45
	buffer_store_dword v0, off, s[48:51], 0 ; 4-byte Folded Spill
	v_lshlrev_b32_e32 v48, 4, v0
	v_mbcnt_lo_u32_b32 v0, -1, 0
	s_and_saveexec_b64 s[34:35], s[0:1]
	s_cbranch_execz .LBB26_22
; %bb.11:
	s_load_dwordx2 s[2:3], s[4:5], 0x10
	s_ashr_i32 s15, s14, 31
	s_sub_i32 s30, s12, s17
	s_lshl_b64 s[4:5], s[14:15], 2
	v_bfe_u32 v9, v45, 2, 4
	s_waitcnt lgkmcnt(0)
	s_add_u32 s2, s2, s4
	s_addc_u32 s3, s3, s5
	s_abs_i32 s15, s18
	v_cvt_f32_u32_e32 v1, s15
	v_mov_b32_e32 v5, s3
	s_sub_i32 s3, 0, s15
	v_lshlrev_b32_e32 v4, 4, v9
	v_rcp_iflag_f32_e32 v1, v1
	s_lshl_b64 s[4:5], s[26:27], 2
	v_lshlrev_b32_e32 v2, 2, v47
	v_lshlrev_b32_e32 v3, 2, v9
	v_mul_f32_e32 v1, 0x4f7ffffe, v1
	v_cvt_u32_f32_e32 v1, v1
	s_add_u32 s4, s24, s4
	v_lshrrev_b32_e32 v23, 6, v45
	s_addc_u32 s5, s25, s5
	v_mul_lo_u32 v6, s3, v1
	v_add_co_u32_e64 v4, s[2:3], s2, v4
	v_addc_co_u32_e64 v5, s[2:3], 0, v5, s[2:3]
	v_mul_hi_u32 v6, v1, v6
	v_add_co_u32_e64 v10, s[2:3], v4, v2
	v_lshl_or_b32 v3, v23, 6, v3
	v_add_u32_e32 v14, v1, v6
	v_and_b32_e32 v1, 60, v8
	v_mbcnt_hi_u32_b32 v19, -1, v0
	v_addc_co_u32_e64 v11, s[2:3], 0, v5, s[2:3]
	v_mov_b32_e32 v2, s5
	v_add_co_u32_e64 v1, s[4:5], s4, v1
	v_subrev_u32_e32 v4, s33, v9
	v_add_u32_e32 v17, 0x410, v3
	v_and_b32_e32 v3, 64, v19
	v_cmp_eq_u32_e32 vcc, 0, v47
	s_mov_b32 s43, s13
	v_lshlrev_b32_e32 v12, 8, v47
	v_cmp_neq_f32_e64 s[2:3], s42, 0
	v_addc_co_u32_e64 v2, s[4:5], 0, v2, s[4:5]
	v_lshlrev_b32_e32 v15, 4, v23
	v_add_u32_e32 v16, 1, v4
	v_mov_b32_e32 v18, 0xff7fffff
	s_mov_b64 s[36:37], 0
	s_movk_i32 s44, 0x1000
	s_movk_i32 s45, 0x2000
	;; [unrolled: 1-line block ×3, first 2 shown]
	v_add_u32_e32 v20, 64, v3
	v_xor_b32_e32 v21, 2, v19
	v_xor_b32_e32 v22, 1, v19
	v_mov_b32_e32 v13, 0xff7fffff
	s_branch .LBB26_14
.LBB26_12:                              ;   in Loop: Header=BB26_14 Depth=1
	s_or_b64 exec, exec, s[38:39]
.LBB26_13:                              ;   in Loop: Header=BB26_14 Depth=1
	s_or_b64 exec, exec, s[6:7]
	v_add_co_u32_e64 v1, s[4:5], 8, v1
	v_add_u32_e32 v23, 2, v23
	v_addc_co_u32_e64 v2, s[4:5], 0, v2, s[4:5]
	v_cmp_le_i32_e64 s[4:5], s16, v23
	v_add_u32_e32 v15, 32, v15
	s_or_b64 s[36:37], s[4:5], s[36:37]
	v_add_u32_e32 v17, 0x80, v17
	s_andn2_b64 exec, exec, s[36:37]
	s_cbranch_execz .LBB26_21
.LBB26_14:                              ; =>This Inner Loop Header: Depth=1
	v_mul_hi_u32 v3, v15, s40
	s_waitcnt lgkmcnt(0)
	v_mul_lo_u32 v4, v3, s21
	v_add_u32_e32 v5, 1, v3
	v_sub_u32_e32 v4, v15, v4
	v_cmp_le_u32_e64 s[4:5], s21, v4
	v_cndmask_b32_e64 v3, v3, v5, s[4:5]
	v_subrev_u32_e32 v5, s21, v4
	v_cndmask_b32_e64 v4, v4, v5, s[4:5]
	v_add_u32_e32 v5, 1, v3
	v_cmp_le_u32_e64 s[4:5], s21, v4
	v_cndmask_b32_e64 v3, v3, v5, s[4:5]
	v_xor_b32_e32 v3, s19, v3
	v_subrev_u32_e32 v3, s19, v3
	v_add_u32_e32 v4, s41, v3
	v_sub_u32_e32 v5, 0, v4
	v_max_i32_e32 v5, v4, v5
	v_mul_hi_u32 v6, v5, v14
	v_ashrrev_i32_e32 v4, 31, v4
	v_cmp_ge_i32_e64 s[6:7], s30, v3
	v_mul_lo_u32 v6, v6, s15
	v_sub_u32_e32 v5, v5, v6
	v_subrev_u32_e32 v6, s15, v5
	v_cmp_le_u32_e64 s[4:5], s15, v5
	v_cndmask_b32_e64 v5, v5, v6, s[4:5]
	v_subrev_u32_e32 v6, s15, v5
	v_cmp_le_u32_e64 s[4:5], s15, v5
	v_cndmask_b32_e64 v5, v5, v6, s[4:5]
	v_xor_b32_e32 v5, v5, v4
	v_sub_u32_e32 v4, v5, v4
	v_cmp_ne_u32_e64 s[4:5], 0, v4
	s_and_b64 s[4:5], s[4:5], s[6:7]
	s_and_saveexec_b64 s[6:7], s[4:5]
	s_xor_b64 s[4:5], exec, s[6:7]
	s_cbranch_execz .LBB26_18
; %bb.15:                               ;   in Loop: Header=BB26_14 Depth=1
	s_and_saveexec_b64 s[6:7], vcc
; %bb.16:                               ;   in Loop: Header=BB26_14 Depth=1
	ds_write_b32 v17, v18
; %bb.17:                               ;   in Loop: Header=BB26_14 Depth=1
	s_or_b64 exec, exec, s[6:7]
.LBB26_18:                              ;   in Loop: Header=BB26_14 Depth=1
	s_andn2_saveexec_b64 s[6:7], s[4:5]
	s_cbranch_execz .LBB26_13
; %bb.19:                               ;   in Loop: Header=BB26_14 Depth=1
	global_load_dword v3, v[1:2], off
	s_waitcnt vmcnt(0)
	v_mad_i64_i32 v[3:4], s[4:5], v3, s43, 0
	v_lshlrev_b64 v[3:4], 2, v[3:4]
	v_add_co_u32_e64 v3, s[4:5], v10, v3
	v_addc_co_u32_e64 v4, s[4:5], v11, v4, s[4:5]
	global_load_dword v5, v[3:4], off offset:256
	global_load_dword v6, v[3:4], off
	global_load_dword v33, v[3:4], off offset:512
	global_load_dword v34, v[3:4], off offset:768
	ds_read_b128 v[25:28], v12
	global_load_dword v35, v[3:4], off offset:1024
	global_load_dword v36, v[3:4], off offset:1280
	;; [unrolled: 1-line block ×4, first 2 shown]
	ds_read_b128 v[29:32], v12 offset:16
	s_waitcnt vmcnt(7) lgkmcnt(1)
	v_mul_f32_e32 v24, v26, v5
	s_waitcnt vmcnt(6)
	v_fmac_f32_e32 v24, v25, v6
	global_load_dword v5, v[3:4], off offset:2048
	global_load_dword v6, v[3:4], off offset:2304
	s_waitcnt vmcnt(7)
	v_fmac_f32_e32 v24, v27, v33
	global_load_dword v33, v[3:4], off offset:2560
	s_waitcnt vmcnt(7)
	v_fmac_f32_e32 v24, v28, v34
	global_load_dword v34, v[3:4], off offset:2816
	global_load_dword v39, v[3:4], off offset:3072
	global_load_dword v40, v[3:4], off offset:3328
	global_load_dword v41, v[3:4], off offset:3584
	ds_read_b128 v[25:28], v12 offset:32
	s_waitcnt vmcnt(10) lgkmcnt(1)
	v_fmac_f32_e32 v24, v29, v35
	s_waitcnt vmcnt(9)
	v_fmac_f32_e32 v24, v30, v36
	s_waitcnt vmcnt(8)
	;; [unrolled: 2-line block ×3, first 2 shown]
	v_fmac_f32_e32 v24, v32, v38
	ds_read_b128 v[29:32], v12 offset:48
	global_load_dword v37, v[3:4], off offset:3840
	s_waitcnt vmcnt(7) lgkmcnt(1)
	v_fmac_f32_e32 v24, v25, v5
	v_add_co_u32_e64 v5, s[4:5], s45, v3
	s_waitcnt vmcnt(6)
	v_fmac_f32_e32 v24, v26, v6
	v_addc_co_u32_e64 v6, s[4:5], 0, v4, s[4:5]
	global_load_dword v38, v[5:6], off offset:-4096
	s_waitcnt vmcnt(6)
	v_fmac_f32_e32 v24, v27, v33
	s_waitcnt vmcnt(5)
	v_fmac_f32_e32 v24, v28, v34
	s_waitcnt vmcnt(4) lgkmcnt(0)
	v_fmac_f32_e32 v24, v29, v39
	s_waitcnt vmcnt(3)
	v_fmac_f32_e32 v24, v30, v40
	ds_read_b128 v[26:29], v12 offset:64
	ds_read_b128 v[33:36], v12 offset:80
	v_add_co_u32_e64 v30, s[4:5], s44, v3
	s_waitcnt vmcnt(2)
	v_fmac_f32_e32 v24, v31, v41
	v_addc_co_u32_e64 v31, s[4:5], 0, v4, s[4:5]
	v_add_co_u32_e64 v3, s[4:5], s46, v3
	s_waitcnt vmcnt(1)
	v_fmac_f32_e32 v24, v32, v37
	v_addc_co_u32_e64 v4, s[4:5], 0, v4, s[4:5]
	global_load_dword v25, v[3:4], off offset:3840
	v_cmp_lt_i32_e64 s[4:5], v21, v20
	s_waitcnt vmcnt(1) lgkmcnt(1)
	v_fmac_f32_e32 v24, v26, v38
	global_load_dword v26, v[30:31], off offset:256
	global_load_dword v32, v[30:31], off offset:512
	;; [unrolled: 1-line block ×8, first 2 shown]
	s_waitcnt vmcnt(7)
	v_fmac_f32_e32 v24, v27, v26
	s_waitcnt vmcnt(6)
	v_fmac_f32_e32 v24, v28, v32
	;; [unrolled: 2-line block ×3, first 2 shown]
	s_waitcnt vmcnt(4) lgkmcnt(0)
	v_fmac_f32_e32 v24, v33, v38
	global_load_dword v37, v[30:31], off offset:2304
	global_load_dword v38, v[30:31], off offset:2560
	;; [unrolled: 1-line block ×3, first 2 shown]
	s_waitcnt vmcnt(6)
	v_fmac_f32_e32 v24, v34, v39
	global_load_dword v34, v[30:31], off offset:3072
	s_waitcnt vmcnt(6)
	v_fmac_f32_e32 v24, v35, v40
	s_waitcnt vmcnt(5)
	v_fmac_f32_e32 v24, v36, v41
	ds_read_b128 v[26:29], v12 offset:96
	global_load_dword v35, v[30:31], off offset:3328
	global_load_dword v36, v[30:31], off offset:3584
	;; [unrolled: 1-line block ×3, first 2 shown]
	ds_read_b128 v[30:33], v12 offset:112
	s_waitcnt vmcnt(7) lgkmcnt(1)
	v_fmac_f32_e32 v24, v26, v42
	global_load_dword v26, v[3:4], off
	s_waitcnt vmcnt(7)
	v_fmac_f32_e32 v24, v27, v37
	s_waitcnt vmcnt(6)
	v_fmac_f32_e32 v24, v28, v38
	global_load_dword v37, v[5:6], off
	global_load_dword v38, v[5:6], off offset:256
	global_load_dword v40, v[5:6], off offset:512
	;; [unrolled: 1-line block ×3, first 2 shown]
	s_waitcnt vmcnt(9)
	v_fmac_f32_e32 v24, v29, v43
	global_load_dword v42, v[5:6], off offset:1024
	s_waitcnt vmcnt(9) lgkmcnt(0)
	v_fmac_f32_e32 v24, v30, v34
	s_waitcnt vmcnt(8)
	v_fmac_f32_e32 v24, v31, v35
	s_waitcnt vmcnt(7)
	;; [unrolled: 2-line block ×3, first 2 shown]
	v_fmac_f32_e32 v24, v33, v39
	ds_read_b128 v[27:30], v12 offset:128
	global_load_dword v35, v[5:6], off offset:1280
	global_load_dword v36, v[5:6], off offset:1536
	;; [unrolled: 1-line block ×3, first 2 shown]
	ds_read_b128 v[31:34], v12 offset:144
	s_waitcnt vmcnt(7) lgkmcnt(1)
	v_fmac_f32_e32 v24, v27, v37
	s_waitcnt vmcnt(6)
	v_fmac_f32_e32 v24, v28, v38
	s_waitcnt vmcnt(5)
	;; [unrolled: 2-line block ×3, first 2 shown]
	v_fmac_f32_e32 v24, v30, v41
	global_load_dword v37, v[5:6], off offset:2048
	global_load_dword v38, v[5:6], off offset:2304
	;; [unrolled: 1-line block ×4, first 2 shown]
	s_waitcnt vmcnt(7) lgkmcnt(0)
	v_fmac_f32_e32 v24, v31, v42
	global_load_dword v42, v[5:6], off offset:3072
	ds_read_b128 v[27:30], v12 offset:160
	s_waitcnt vmcnt(7)
	v_fmac_f32_e32 v24, v32, v35
	s_waitcnt vmcnt(6)
	v_fmac_f32_e32 v24, v33, v36
	global_load_dword v35, v[5:6], off offset:3328
	global_load_dword v36, v[5:6], off offset:3584
	s_nop 0
	global_load_dword v5, v[5:6], off offset:3840
	s_waitcnt vmcnt(8)
	v_fmac_f32_e32 v24, v34, v39
	ds_read_b128 v[31:34], v12 offset:176
	s_waitcnt vmcnt(7) lgkmcnt(1)
	v_fmac_f32_e32 v24, v27, v37
	s_waitcnt vmcnt(6)
	v_fmac_f32_e32 v24, v28, v38
	global_load_dword v6, v[3:4], off offset:256
	global_load_dword v37, v[3:4], off offset:512
	;; [unrolled: 1-line block ×3, first 2 shown]
	s_waitcnt vmcnt(8)
	v_fmac_f32_e32 v24, v29, v40
	s_waitcnt vmcnt(7)
	v_fmac_f32_e32 v24, v30, v41
	s_waitcnt vmcnt(6) lgkmcnt(0)
	v_fmac_f32_e32 v24, v31, v42
	ds_read_b128 v[27:30], v12 offset:192
	s_waitcnt vmcnt(5)
	v_fmac_f32_e32 v24, v32, v35
	s_waitcnt vmcnt(4)
	v_fmac_f32_e32 v24, v33, v36
	global_load_dword v35, v[3:4], off offset:1024
	global_load_dword v36, v[3:4], off offset:1280
	;; [unrolled: 1-line block ×3, first 2 shown]
	s_waitcnt vmcnt(6)
	v_fmac_f32_e32 v24, v34, v5
	ds_read_b128 v[31:34], v12 offset:208
	s_waitcnt lgkmcnt(1)
	v_fmac_f32_e32 v24, v27, v26
	global_load_dword v26, v[3:4], off offset:1792
	global_load_dword v40, v[3:4], off offset:2048
	v_cndmask_b32_e64 v27, v19, v21, s[4:5]
	v_cmp_lt_i32_e64 s[4:5], v22, v20
	s_waitcnt vmcnt(7)
	v_fmac_f32_e32 v24, v28, v6
	s_waitcnt vmcnt(6)
	v_fmac_f32_e32 v24, v37, v29
	;; [unrolled: 2-line block ×3, first 2 shown]
	global_load_dword v30, v[3:4], off offset:2304
	global_load_dword v37, v[3:4], off offset:2560
	;; [unrolled: 1-line block ×6, first 2 shown]
	ds_read_b128 v[3:6], v12 offset:224
	s_waitcnt vmcnt(10) lgkmcnt(1)
	v_fmac_f32_e32 v24, v35, v31
	s_waitcnt vmcnt(9)
	v_fmac_f32_e32 v24, v36, v32
	s_waitcnt vmcnt(8)
	v_fmac_f32_e32 v24, v39, v33
	v_lshlrev_b32_e32 v31, 2, v27
	s_waitcnt vmcnt(7)
	v_fmac_f32_e32 v24, v26, v34
	ds_read_b128 v[26:29], v12 offset:240
	s_waitcnt vmcnt(6) lgkmcnt(1)
	v_fmac_f32_e32 v24, v40, v3
	s_waitcnt vmcnt(5)
	v_fmac_f32_e32 v24, v30, v4
	s_waitcnt vmcnt(4)
	;; [unrolled: 2-line block ×3, first 2 shown]
	v_fmac_f32_e32 v24, v38, v6
	s_waitcnt vmcnt(2) lgkmcnt(0)
	v_fmac_f32_e32 v24, v41, v26
	s_waitcnt vmcnt(1)
	v_fmac_f32_e32 v24, v42, v27
	s_waitcnt vmcnt(0)
	v_fmac_f32_e32 v24, v43, v28
	v_fmac_f32_e32 v24, v25, v29
	ds_bpermute_b32 v3, v31, v24
	v_cndmask_b32_e64 v4, v19, v22, s[4:5]
	v_lshlrev_b32_e32 v4, 2, v4
	s_waitcnt lgkmcnt(0)
	v_add_f32_e32 v3, v24, v3
	ds_bpermute_b32 v4, v4, v3
	s_and_saveexec_b64 s[38:39], vcc
	s_cbranch_execz .LBB26_12
; %bb.20:                               ;   in Loop: Header=BB26_14 Depth=1
	v_add_u32_e32 v5, v16, v15
	v_cvt_f32_i32_e32 v5, v5
	s_waitcnt lgkmcnt(0)
	v_add_f32_e32 v3, v3, v4
	v_add_u32_e32 v6, v9, v15
	v_cmp_gt_i32_e64 s[4:5], s33, v6
	v_mul_f32_e32 v4, s42, v5
	v_cndmask_b32_e64 v4, 0, v4, s[2:3]
	v_fmac_f32_e32 v4, s31, v3
	v_cndmask_b32_e64 v3, 0, v4, s[4:5]
	ds_write_b32 v17, v3
	v_max_f32_e32 v3, v13, v13
	v_max_f32_e32 v3, v3, v4
	v_cndmask_b32_e64 v13, v13, v3, s[4:5]
	s_branch .LBB26_12
.LBB26_21:
	s_or_b64 exec, exec, s[36:37]
.LBB26_22:
	s_or_b64 exec, exec, s[34:35]
	v_mbcnt_hi_u32_b32 v0, -1, v0
	v_and_b32_e32 v10, 64, v0
	v_add_u32_e32 v1, 64, v10
	v_xor_b32_e32 v2, 32, v0
	v_cmp_lt_i32_e32 vcc, v2, v1
	v_cndmask_b32_e32 v2, v0, v2, vcc
	v_lshlrev_b32_e32 v2, 2, v2
	ds_bpermute_b32 v3, v2, v13
	v_xor_b32_e32 v5, 16, v0
	s_waitcnt lgkmcnt(1)
	v_max_f32_e32 v4, v13, v13
	v_cmp_lt_i32_e32 vcc, v5, v1
	v_xor_b32_e32 v6, 8, v0
	s_waitcnt lgkmcnt(0)
	v_max_f32_e32 v3, v3, v3
	v_max_f32_e32 v4, v4, v3
	v_cndmask_b32_e32 v3, v0, v5, vcc
	v_lshlrev_b32_e32 v3, 2, v3
	ds_bpermute_b32 v5, v3, v4
	v_cmp_lt_i32_e32 vcc, v6, v1
	v_xor_b32_e32 v9, 4, v0
	v_and_b32_e32 v22, 63, v45
	s_waitcnt lgkmcnt(0)
	v_max_f32_e32 v5, v5, v5
	v_max_f32_e32 v4, v4, v5
	v_cndmask_b32_e32 v5, v0, v6, vcc
	v_lshlrev_b32_e32 v6, 2, v5
	ds_bpermute_b32 v5, v6, v4
	v_cmp_lt_i32_e32 vcc, v9, v1
	s_waitcnt lgkmcnt(0)
	v_max_f32_e32 v5, v5, v5
	v_max_f32_e32 v5, v4, v5
	v_cndmask_b32_e32 v4, v0, v9, vcc
	v_lshlrev_b32_e32 v9, 2, v4
	ds_bpermute_b32 v11, v9, v5
	v_lshrrev_b32_e32 v4, 6, v45
	v_cmp_eq_u32_e32 vcc, 0, v22
	v_lshlrev_b32_e32 v4, 2, v4
	s_and_saveexec_b64 s[2:3], vcc
	s_cbranch_execz .LBB26_24
; %bb.23:
	s_waitcnt lgkmcnt(0)
	v_max_f32_e32 v11, v11, v11
	v_max_f32_e32 v5, v5, v5
	;; [unrolled: 1-line block ×3, first 2 shown]
	ds_write_b32 v4, v5 offset:1024
.LBB26_24:
	s_or_b64 exec, exec, s[2:3]
	v_cmp_gt_u32_e64 s[2:3], 2, v22
	s_waitcnt lgkmcnt(0)
	v_mov_b32_e32 v11, 0xff7fffff
	v_lshlrev_b32_e32 v5, 2, v22
	s_waitcnt vmcnt(0)
	s_barrier
	s_and_saveexec_b64 s[4:5], s[2:3]
; %bb.25:
	ds_read_b32 v11, v5 offset:1024
; %bb.26:
	s_or_b64 exec, exec, s[4:5]
	v_xor_b32_e32 v12, 1, v0
	v_cmp_lt_i32_e64 s[4:5], v12, v1
	v_cndmask_b32_e64 v12, v0, v12, s[4:5]
	v_lshlrev_b32_e32 v21, 2, v12
	s_waitcnt lgkmcnt(0)
	ds_bpermute_b32 v12, v21, v11
	v_max_f32_e32 v11, v11, v11
	v_lshlrev_b32_e32 v10, 2, v10
	s_lshl_b32 s4, s16, 4
	s_min_i32 s15, s4, s33
	s_waitcnt lgkmcnt(0)
	v_max_f32_e32 v12, v12, v12
	v_max_f32_e32 v11, v11, v12
	ds_bpermute_b32 v11, v10, v11
	v_cmp_gt_i32_e64 s[4:5], s15, v45
	v_mov_b32_e32 v10, 0
	s_and_saveexec_b64 s[30:31], s[4:5]
	s_cbranch_execz .LBB26_30
; %bb.27:
	v_mov_b32_e32 v10, 0x410
	v_lshl_add_u32 v12, v45, 2, v10
	v_mov_b32_e32 v10, 0
	s_mov_b64 s[34:35], 0
	v_mov_b32_e32 v13, v45
.LBB26_28:                              ; =>This Inner Loop Header: Depth=1
	ds_read_b32 v14, v12
	v_add_u32_e32 v13, 0x80, v13
	v_cmp_le_i32_e64 s[6:7], s15, v13
	s_or_b64 s[34:35], s[6:7], s[34:35]
	s_waitcnt lgkmcnt(0)
	v_sub_f32_e32 v14, v14, v11
	v_mul_f32_e32 v14, 0x3fb8aa3b, v14
	v_exp_f32_e32 v14, v14
	ds_write_b32 v12, v14
	v_add_f32_e32 v10, v10, v14
	v_add_u32_e32 v12, 0x200, v12
	s_andn2_b64 exec, exec, s[34:35]
	s_cbranch_execnz .LBB26_28
; %bb.29:
	s_or_b64 exec, exec, s[34:35]
.LBB26_30:
	s_or_b64 exec, exec, s[30:31]
	ds_bpermute_b32 v2, v2, v10
	s_waitcnt lgkmcnt(0)
	v_add_f32_e32 v2, v10, v2
	ds_bpermute_b32 v3, v3, v2
	s_waitcnt lgkmcnt(0)
	v_add_f32_e32 v2, v2, v3
	ds_bpermute_b32 v3, v6, v2
	v_xor_b32_e32 v6, 2, v0
	v_cmp_lt_i32_e64 s[6:7], v6, v1
	v_cndmask_b32_e64 v1, v0, v6, s[6:7]
	v_lshlrev_b32_e32 v17, 2, v1
	s_waitcnt lgkmcnt(0)
	v_add_f32_e32 v2, v2, v3
	ds_bpermute_b32 v3, v9, v2
	s_waitcnt lgkmcnt(0)
	v_add_f32_e32 v2, v2, v3
	ds_bpermute_b32 v1, v17, v2
	;; [unrolled: 3-line block ×3, first 2 shown]
	s_waitcnt lgkmcnt(0)
	v_add_f32_e32 v1, v1, v2
	s_and_saveexec_b64 s[6:7], vcc
; %bb.31:
	ds_write_b32 v4, v1 offset:1032
; %bb.32:
	s_or_b64 exec, exec, s[6:7]
	s_waitcnt lgkmcnt(0)
	s_barrier
	s_and_saveexec_b64 s[6:7], s[2:3]
; %bb.33:
	ds_read_b32 v1, v5 offset:1032
; %bb.34:
	s_or_b64 exec, exec, s[6:7]
	s_waitcnt lgkmcnt(0)
	ds_bpermute_b32 v2, v21, v1
	v_lshlrev_b32_e32 v0, 2, v0
	v_and_b32_e32 v0, 0x100, v0
	s_waitcnt lgkmcnt(0)
	v_add_f32_e32 v1, v1, v2
	ds_bpermute_b32 v0, v0, v1
	s_and_saveexec_b64 s[2:3], s[4:5]
	s_cbranch_execz .LBB26_37
; %bb.35:
	s_waitcnt lgkmcnt(0)
	v_add_f32_e32 v1, 0x358637bd, v0
	v_div_scale_f32 v0, s[4:5], v1, v1, 1.0
	v_div_scale_f32 v2, vcc, 1.0, v1, 1.0
	s_mov_b64 s[4:5], 0
	v_rcp_f32_e32 v3, v0
	v_fma_f32 v4, -v0, v3, 1.0
	v_fmac_f32_e32 v3, v4, v3
	v_mul_f32_e32 v4, v2, v3
	v_fma_f32 v5, -v0, v4, v2
	v_fmac_f32_e32 v4, v5, v3
	v_fma_f32 v0, -v0, v4, v2
	v_div_fmas_f32 v2, v0, v3, v4
	v_mov_b32_e32 v0, 0x410
	v_lshl_add_u32 v0, v45, 2, v0
	v_div_fixup_f32 v1, v2, v1, 1.0
	v_mov_b32_e32 v2, v45
.LBB26_36:                              ; =>This Inner Loop Header: Depth=1
	ds_read_b32 v3, v0
	v_add_u32_e32 v2, 0x80, v2
	v_cmp_le_i32_e32 vcc, s15, v2
	s_or_b64 s[4:5], vcc, s[4:5]
	s_waitcnt lgkmcnt(0)
	v_mul_f32_e32 v3, v1, v3
	ds_write_b32 v0, v3
	v_add_u32_e32 v0, 0x200, v0
	s_andn2_b64 exec, exec, s[4:5]
	s_cbranch_execnz .LBB26_36
.LBB26_37:
	s_or_b64 exec, exec, s[2:3]
	v_mov_b32_e32 v5, 0
	v_mov_b32_e32 v3, 0
	;; [unrolled: 1-line block ×16, first 2 shown]
	s_waitcnt lgkmcnt(0)
	s_barrier
	s_and_saveexec_b64 s[2:3], s[0:1]
	s_cbranch_execz .LBB26_75
; %bb.38:
	s_ashr_i32 s15, s14, 31
	s_sub_i32 s17, s12, s17
	s_lshl_b64 s[0:1], s[14:15], 2
	s_add_u32 s14, s28, s0
	s_addc_u32 s15, s29, s1
	s_abs_i32 s18, s18
	v_cvt_f32_u32_e32 v0, s18
	s_sub_i32 s0, 0, s18
	buffer_store_dword v17, off, s[48:51], 0 offset:160 ; 4-byte Folded Spill
	buffer_store_dword v21, off, s[48:51], 0 offset:156 ; 4-byte Folded Spill
	;; [unrolled: 1-line block ×5, first 2 shown]
	v_and_b32_e32 v1, 12, v7
	v_rcp_iflag_f32_e32 v0, v0
	buffer_store_dword v1, off, s[48:51], 0 offset:128 ; 4-byte Folded Spill
	v_and_b32_e32 v1, 0xfc, v7
	v_mov_b32_e32 v2, 0
	v_mul_f32_e32 v0, 0x4f7ffffe, v0
	v_cvt_u32_f32_e32 v0, v0
	buffer_store_dword v2, off, s[48:51], 0 offset:60 ; 4-byte Folded Spill
	v_or_b32_e32 v2, 0xf00, v7
	v_lshlrev_b32_e32 v1, 2, v1
	v_mul_lo_u32 v3, s0, v0
	buffer_store_dword v1, off, s[48:51], 0 offset:132 ; 4-byte Folded Spill
	v_lshlrev_b32_e32 v1, 2, v2
	buffer_store_dword v1, off, s[48:51], 0 offset:136 ; 4-byte Folded Spill
	v_mul_hi_u32 v3, v0, v3
	v_mov_b32_e32 v1, 0
	buffer_store_dword v1, off, s[48:51], 0 offset:64 ; 4-byte Folded Spill
	v_mov_b32_e32 v1, 0
	v_add_u32_e32 v0, v0, v3
	buffer_load_dword v3, off, s[48:51], 0  ; 4-byte Folded Reload
	s_add_i32 s29, s16, -1
	buffer_store_dword v1, off, s[48:51], 0 offset:68 ; 4-byte Folded Spill
	v_mov_b32_e32 v1, 0
	buffer_store_dword v1, off, s[48:51], 0 offset:72 ; 4-byte Folded Spill
	v_mov_b32_e32 v1, 0
	;; [unrolled: 2-line block ×5, first 2 shown]
	s_lshl_b64 s[0:1], s[26:27], 2
	buffer_store_dword v1, off, s[48:51], 0 offset:88 ; 4-byte Folded Spill
	v_mov_b32_e32 v1, 0
	s_add_u32 s0, s24, s0
	buffer_store_dword v1, off, s[48:51], 0 offset:92 ; 4-byte Folded Spill
	v_mov_b32_e32 v1, 0
	v_and_b32_e32 v4, 60, v8
	s_addc_u32 s1, s25, s1
	buffer_store_dword v0, off, s[48:51], 0 offset:112 ; 4-byte Folded Spill
	v_lshlrev_b32_e32 v0, 4, v47
	buffer_store_dword v1, off, s[48:51], 0 offset:96 ; 4-byte Folded Spill
	v_mov_b32_e32 v1, 0
	v_mov_b32_e32 v5, s1
	v_add_co_u32_e32 v61, vcc, s0, v4
	buffer_store_dword v1, off, s[48:51], 0 offset:100 ; 4-byte Folded Spill
	v_mov_b32_e32 v1, 0
	s_mov_b32 s28, s13
	v_addc_co_u32_e32 v62, vcc, 0, v5, vcc
	s_mov_b64 s[4:5], 0
	v_mov_b32_e32 v9, 0
	v_mov_b32_e32 v10, 0
	buffer_store_dword v1, off, s[48:51], 0 offset:104 ; 4-byte Folded Spill
	v_mov_b32_e32 v1, 0
	v_mov_b32_e32 v5, 0
	buffer_store_dword v47, off, s[48:51], 0 offset:148 ; 4-byte Folded Spill
	buffer_store_dword v1, off, s[48:51], 0 offset:108 ; 4-byte Folded Spill
	s_waitcnt vmcnt(13)
	v_lshl_or_b32 v0, v3, 6, v0
	v_add_u32_e32 v0, 0x410, v0
	buffer_store_dword v0, off, s[48:51], 0 offset:4 ; 4-byte Folded Spill
	s_branch .LBB26_41
.LBB26_39:                              ;   in Loop: Header=BB26_41 Depth=1
	s_or_b64 exec, exec, s[12:13]
	s_waitcnt lgkmcnt(0)
	v_mul_f32_e32 v9, v1, v9
	v_fmac_f32_e32 v9, v2, v10
	v_fmac_f32_e32 v9, v3, v11
	;; [unrolled: 1-line block ×3, first 2 shown]
	buffer_load_dword v12, off, s[48:51], 0 offset:64 ; 4-byte Folded Reload
	v_mul_f32_e32 v5, v1, v5
	v_fmac_f32_e32 v5, v2, v6
	v_fmac_f32_e32 v5, v3, v7
	v_fmac_f32_e32 v5, v4, v8
	v_mul_f32_e32 v6, v1, v57
	v_fmac_f32_e32 v6, v2, v58
	v_fmac_f32_e32 v6, v3, v59
	v_fmac_f32_e32 v6, v4, v60
	;; [unrolled: 4-line block ×6, first 2 shown]
	s_waitcnt vmcnt(0)
	v_add_f32_e32 v12, v12, v9
	buffer_load_dword v9, off, s[48:51], 0 offset:68 ; 4-byte Folded Reload
	s_waitcnt vmcnt(0)
	v_add_f32_e32 v9, v9, v5
	buffer_load_dword v5, off, s[48:51], 0 offset:72 ; 4-byte Folded Reload
	s_nop 0
	buffer_store_dword v9, off, s[48:51], 0 offset:68 ; 4-byte Folded Spill
	buffer_load_dword v9, off, s[48:51], 0 offset:116 ; 4-byte Folded Reload
	s_waitcnt vmcnt(2)
	v_add_f32_e32 v5, v5, v6
	buffer_store_dword v5, off, s[48:51], 0 offset:72 ; 4-byte Folded Spill
	buffer_load_dword v5, off, s[48:51], 0 offset:76 ; 4-byte Folded Reload
	s_nop 0
	buffer_load_dword v6, off, s[48:51], 0 offset:92 ; 4-byte Folded Reload
	s_waitcnt vmcnt(1)
	v_add_f32_e32 v5, v5, v7
	buffer_store_dword v5, off, s[48:51], 0 offset:76 ; 4-byte Folded Spill
	buffer_load_dword v5, off, s[48:51], 0 offset:80 ; 4-byte Folded Reload
	s_waitcnt vmcnt(0)
	v_add_f32_e32 v5, v5, v8
	buffer_store_dword v5, off, s[48:51], 0 offset:80 ; 4-byte Folded Spill
	;; [unrolled: 4-line block ×3, first 2 shown]
	buffer_load_dword v5, off, s[48:51], 0 offset:88 ; 4-byte Folded Reload
	s_nop 0
	buffer_load_dword v10, off, s[48:51], 0 offset:120 ; 4-byte Folded Reload
	s_waitcnt vmcnt(1)
	v_add_f32_e32 v5, v5, v11
	buffer_store_dword v5, off, s[48:51], 0 offset:88 ; 4-byte Folded Spill
	v_mul_f32_e32 v5, v1, v33
	v_fmac_f32_e32 v5, v2, v34
	v_fmac_f32_e32 v5, v3, v35
	;; [unrolled: 1-line block ×3, first 2 shown]
	v_add_f32_e32 v9, v9, v5
	v_mul_f32_e32 v5, v1, v29
	v_fmac_f32_e32 v5, v2, v30
	v_fmac_f32_e32 v5, v3, v31
	;; [unrolled: 1-line block ×3, first 2 shown]
	s_waitcnt vmcnt(1)
	v_add_f32_e32 v10, v10, v5
	v_mul_f32_e32 v5, v1, v25
	v_fmac_f32_e32 v5, v2, v26
	v_fmac_f32_e32 v5, v3, v27
	;; [unrolled: 1-line block ×3, first 2 shown]
	v_add_f32_e32 v6, v6, v5
	buffer_store_dword v6, off, s[48:51], 0 offset:92 ; 4-byte Folded Spill
	buffer_load_dword v6, off, s[48:51], 0 offset:96 ; 4-byte Folded Reload
	v_mul_f32_e32 v5, v1, v21
	v_fmac_f32_e32 v5, v2, v22
	v_fmac_f32_e32 v5, v3, v23
	v_fmac_f32_e32 v5, v4, v24
	buffer_store_dword v12, off, s[48:51], 0 offset:64 ; 4-byte Folded Spill
	s_waitcnt vmcnt(1)
	v_add_f32_e32 v6, v6, v5
	buffer_store_dword v6, off, s[48:51], 0 offset:96 ; 4-byte Folded Spill
	buffer_load_dword v6, off, s[48:51], 0 offset:100 ; 4-byte Folded Reload
	v_mul_f32_e32 v5, v1, v17
	v_fmac_f32_e32 v5, v2, v18
	v_fmac_f32_e32 v5, v3, v19
	;; [unrolled: 1-line block ×3, first 2 shown]
	s_waitcnt vmcnt(0)
	v_add_f32_e32 v6, v6, v5
	buffer_store_dword v6, off, s[48:51], 0 offset:100 ; 4-byte Folded Spill
	buffer_load_dword v5, off, s[48:51], 0 offset:44 ; 4-byte Folded Reload
	s_nop 0
	buffer_load_dword v6, off, s[48:51], 0 offset:48 ; 4-byte Folded Reload
	buffer_load_dword v7, off, s[48:51], 0 offset:52 ; 4-byte Folded Reload
	;; [unrolled: 1-line block ×3, first 2 shown]
	s_waitcnt vmcnt(3)
	v_mul_f32_e32 v5, v1, v5
	s_waitcnt vmcnt(2)
	v_fmac_f32_e32 v5, v2, v6
	buffer_load_dword v6, off, s[48:51], 0 offset:104 ; 4-byte Folded Reload
	s_waitcnt vmcnt(2)
	v_fmac_f32_e32 v5, v3, v7
	s_waitcnt vmcnt(1)
	v_fmac_f32_e32 v5, v4, v8
	s_waitcnt vmcnt(0)
	v_add_f32_e32 v6, v6, v5
	buffer_store_dword v6, off, s[48:51], 0 offset:104 ; 4-byte Folded Spill
	buffer_load_dword v5, off, s[48:51], 0 offset:28 ; 4-byte Folded Reload
	s_nop 0
	buffer_load_dword v6, off, s[48:51], 0 offset:32 ; 4-byte Folded Reload
	buffer_load_dword v7, off, s[48:51], 0 offset:36 ; 4-byte Folded Reload
	;; [unrolled: 1-line block ×3, first 2 shown]
	s_waitcnt vmcnt(3)
	v_mul_f32_e32 v5, v1, v5
	s_waitcnt vmcnt(2)
	v_fmac_f32_e32 v5, v2, v6
	buffer_load_dword v6, off, s[48:51], 0 offset:108 ; 4-byte Folded Reload
	s_waitcnt vmcnt(2)
	v_fmac_f32_e32 v5, v3, v7
	s_waitcnt vmcnt(1)
	v_fmac_f32_e32 v5, v4, v8
	s_waitcnt vmcnt(0)
	v_add_f32_e32 v6, v6, v5
	buffer_store_dword v6, off, s[48:51], 0 offset:108 ; 4-byte Folded Spill
	buffer_load_dword v5, off, s[48:51], 0 offset:12 ; 4-byte Folded Reload
	s_nop 0
	buffer_load_dword v6, off, s[48:51], 0 offset:16 ; 4-byte Folded Reload
	buffer_load_dword v7, off, s[48:51], 0 offset:20 ; 4-byte Folded Reload
	;; [unrolled: 1-line block ×3, first 2 shown]
	s_waitcnt vmcnt(3)
	v_mul_f32_e32 v5, v1, v5
	v_mul_f32_e32 v1, v1, v53
	s_waitcnt vmcnt(2)
	v_fmac_f32_e32 v5, v2, v6
	buffer_load_dword v6, off, s[48:51], 0 offset:124 ; 4-byte Folded Reload
	v_fmac_f32_e32 v1, v2, v54
	buffer_load_dword v2, off, s[48:51], 0 offset:60 ; 4-byte Folded Reload
	s_waitcnt vmcnt(3)
	v_fmac_f32_e32 v5, v3, v7
	v_fmac_f32_e32 v1, v3, v55
	s_waitcnt vmcnt(2)
	v_fmac_f32_e32 v5, v4, v8
	v_fmac_f32_e32 v1, v4, v56
	s_waitcnt vmcnt(1)
	v_add_f32_e32 v5, v6, v5
	s_waitcnt vmcnt(0)
	v_add_f32_e32 v2, v2, v1
	buffer_store_dword v2, off, s[48:51], 0 offset:60 ; 4-byte Folded Spill
.LBB26_40:                              ;   in Loop: Header=BB26_41 Depth=1
	s_or_b64 exec, exec, s[6:7]
	buffer_load_dword v1, off, s[48:51], 0  ; 4-byte Folded Reload
	buffer_load_dword v48, off, s[48:51], 0 offset:8 ; 4-byte Folded Reload
	buffer_load_dword v0, off, s[48:51], 0 offset:4 ; 4-byte Folded Reload
	v_add_co_u32_e32 v61, vcc, 8, v61
	v_addc_co_u32_e32 v62, vcc, 0, v62, vcc
	s_waitcnt vmcnt(2)
	v_add_u32_e32 v1, 2, v1
	v_cmp_le_i32_e32 vcc, s16, v1
	s_waitcnt vmcnt(1)
	v_add_u32_e32 v48, 32, v48
	s_or_b64 s[4:5], vcc, s[4:5]
	s_waitcnt vmcnt(0)
	v_add_u32_e32 v0, 0x80, v0
	buffer_store_dword v1, off, s[48:51], 0 ; 4-byte Folded Spill
	buffer_store_dword v0, off, s[48:51], 0 offset:4 ; 4-byte Folded Spill
	s_andn2_b64 exec, exec, s[4:5]
	s_cbranch_execz .LBB26_74
.LBB26_41:                              ; =>This Inner Loop Header: Depth=1
	buffer_load_dword v4, off, s[48:51], 0 offset:112 ; 4-byte Folded Reload
	v_mul_hi_u32 v1, v48, s40
	buffer_store_dword v48, off, s[48:51], 0 offset:8 ; 4-byte Folded Spill
	v_mul_lo_u32 v2, v1, s21
	v_add_u32_e32 v3, 1, v1
	v_sub_u32_e32 v2, v48, v2
	v_cmp_le_u32_e32 vcc, s21, v2
	v_cndmask_b32_e32 v1, v1, v3, vcc
	v_subrev_u32_e32 v3, s21, v2
	v_cndmask_b32_e32 v2, v2, v3, vcc
	v_add_u32_e32 v3, 1, v1
	v_cmp_le_u32_e32 vcc, s21, v2
	v_cndmask_b32_e32 v1, v1, v3, vcc
	v_xor_b32_e32 v1, s19, v1
	v_subrev_u32_e32 v1, s19, v1
	v_add_u32_e32 v2, s41, v1
	v_sub_u32_e32 v3, 0, v2
	v_max_i32_e32 v3, v2, v3
	v_ashrrev_i32_e32 v2, 31, v2
	v_cmp_lt_i32_e64 s[0:1], s17, v1
	s_waitcnt vmcnt(1)
	v_mul_hi_u32 v4, v3, v4
	v_mul_lo_u32 v4, v4, s18
	v_sub_u32_e32 v3, v3, v4
	v_subrev_u32_e32 v4, s18, v3
	v_cmp_le_u32_e32 vcc, s18, v3
	v_cndmask_b32_e32 v3, v3, v4, vcc
	v_subrev_u32_e32 v4, s18, v3
	v_cmp_le_u32_e32 vcc, s18, v3
	v_cndmask_b32_e32 v3, v3, v4, vcc
	v_xor_b32_e32 v3, v3, v2
	v_sub_u32_e32 v2, v3, v2
	v_cmp_eq_u32_e32 vcc, 0, v2
	s_or_b64 s[0:1], vcc, s[0:1]
	s_and_saveexec_b64 s[6:7], s[0:1]
	s_cbranch_execz .LBB26_40
; %bb.42:                               ;   in Loop: Header=BB26_41 Depth=1
	buffer_store_dword v5, off, s[48:51], 0 offset:124 ; 4-byte Folded Spill
	buffer_store_dword v10, off, s[48:51], 0 offset:120 ; 4-byte Folded Spill
	;; [unrolled: 1-line block ×3, first 2 shown]
	global_load_dword v1, v[61:62], off
	v_mov_b32_e32 v3, s15
	s_waitcnt vmcnt(0)
	v_mad_i64_i32 v[1:2], s[0:1], v1, s28, 0
	v_lshlrev_b64 v[1:2], 2, v[1:2]
	v_add_co_u32_e32 v15, vcc, s14, v1
	buffer_load_dword v1, off, s[48:51], 0 offset:132 ; 4-byte Folded Reload
	v_addc_co_u32_e32 v16, vcc, v3, v2, vcc
	s_waitcnt vmcnt(0)
	v_add_co_u32_e32 v9, vcc, v15, v1
	v_addc_co_u32_e32 v10, vcc, 0, v16, vcc
	global_load_dwordx4 v[1:4], v[9:10], off
	s_waitcnt vmcnt(0)
	buffer_store_dword v1, off, s[48:51], 0 offset:12 ; 4-byte Folded Spill
	s_nop 0
	buffer_store_dword v2, off, s[48:51], 0 offset:16 ; 4-byte Folded Spill
	buffer_store_dword v3, off, s[48:51], 0 offset:20 ; 4-byte Folded Spill
	;; [unrolled: 1-line block ×3, first 2 shown]
	buffer_load_dword v1, off, s[48:51], 0 offset:8 ; 4-byte Folded Reload
	s_nop 0
	buffer_load_dword v2, off, s[48:51], 0 offset:128 ; 4-byte Folded Reload
	buffer_load_dword v0, off, s[48:51], 0 offset:4 ; 4-byte Folded Reload
	buffer_load_dword v5, off, s[48:51], 0  ; 4-byte Folded Reload
	s_waitcnt vmcnt(2)
	v_add_u32_e32 v6, v2, v1
	s_waitcnt vmcnt(1)
	ds_read_b128 v[1:4], v0
	s_waitcnt vmcnt(0)
	v_cmp_eq_u32_e64 s[0:1], s29, v5
	v_add_u32_e32 v14, 1, v6
	v_add_u32_e32 v13, 2, v6
	v_mov_b32_e32 v0, v6
	v_add_u32_e32 v63, 3, v6
	s_and_saveexec_b64 s[12:13], s[0:1]
	s_cbranch_execz .LBB26_44
; %bb.43:                               ;   in Loop: Header=BB26_41 Depth=1
	buffer_load_dword v5, off, s[48:51], 0 offset:12 ; 4-byte Folded Reload
	buffer_load_dword v6, off, s[48:51], 0 offset:16 ; 4-byte Folded Reload
	buffer_load_dword v7, off, s[48:51], 0 offset:20 ; 4-byte Folded Reload
	buffer_load_dword v8, off, s[48:51], 0 offset:24 ; 4-byte Folded Reload
	v_cmp_gt_i32_e32 vcc, s33, v0
	s_waitcnt vmcnt(3)
	v_cndmask_b32_e32 v5, 0, v5, vcc
	v_cmp_gt_i32_e32 vcc, s33, v14
	s_waitcnt vmcnt(2)
	v_cndmask_b32_e32 v6, 0, v6, vcc
	;; [unrolled: 3-line block ×4, first 2 shown]
	buffer_store_dword v5, off, s[48:51], 0 offset:12 ; 4-byte Folded Spill
	s_nop 0
	buffer_store_dword v6, off, s[48:51], 0 offset:16 ; 4-byte Folded Spill
	buffer_store_dword v7, off, s[48:51], 0 offset:20 ; 4-byte Folded Spill
	;; [unrolled: 1-line block ×3, first 2 shown]
.LBB26_44:                              ;   in Loop: Header=BB26_41 Depth=1
	s_or_b64 exec, exec, s[12:13]
	global_load_dwordx4 v[5:8], v[9:10], off offset:1024
	s_waitcnt vmcnt(0)
	buffer_store_dword v5, off, s[48:51], 0 offset:28 ; 4-byte Folded Spill
	s_nop 0
	buffer_store_dword v6, off, s[48:51], 0 offset:32 ; 4-byte Folded Spill
	buffer_store_dword v7, off, s[48:51], 0 offset:36 ; 4-byte Folded Spill
	;; [unrolled: 1-line block ×3, first 2 shown]
	s_and_saveexec_b64 s[12:13], s[0:1]
	s_cbranch_execz .LBB26_46
; %bb.45:                               ;   in Loop: Header=BB26_41 Depth=1
	buffer_load_dword v5, off, s[48:51], 0 offset:28 ; 4-byte Folded Reload
	buffer_load_dword v6, off, s[48:51], 0 offset:32 ; 4-byte Folded Reload
	;; [unrolled: 1-line block ×4, first 2 shown]
	v_cmp_gt_i32_e32 vcc, s33, v0
	s_waitcnt vmcnt(3)
	v_cndmask_b32_e32 v5, 0, v5, vcc
	v_cmp_gt_i32_e32 vcc, s33, v14
	s_waitcnt vmcnt(2)
	v_cndmask_b32_e32 v6, 0, v6, vcc
	;; [unrolled: 3-line block ×4, first 2 shown]
	buffer_store_dword v5, off, s[48:51], 0 offset:28 ; 4-byte Folded Spill
	s_nop 0
	buffer_store_dword v6, off, s[48:51], 0 offset:32 ; 4-byte Folded Spill
	buffer_store_dword v7, off, s[48:51], 0 offset:36 ; 4-byte Folded Spill
	;; [unrolled: 1-line block ×3, first 2 shown]
.LBB26_46:                              ;   in Loop: Header=BB26_41 Depth=1
	s_or_b64 exec, exec, s[12:13]
	global_load_dwordx4 v[5:8], v[9:10], off offset:2048
	s_waitcnt vmcnt(0)
	buffer_store_dword v5, off, s[48:51], 0 offset:44 ; 4-byte Folded Spill
	s_nop 0
	buffer_store_dword v6, off, s[48:51], 0 offset:48 ; 4-byte Folded Spill
	buffer_store_dword v7, off, s[48:51], 0 offset:52 ; 4-byte Folded Spill
	;; [unrolled: 1-line block ×3, first 2 shown]
	s_and_saveexec_b64 s[12:13], s[0:1]
	s_cbranch_execz .LBB26_48
; %bb.47:                               ;   in Loop: Header=BB26_41 Depth=1
	buffer_load_dword v5, off, s[48:51], 0 offset:44 ; 4-byte Folded Reload
	buffer_load_dword v6, off, s[48:51], 0 offset:48 ; 4-byte Folded Reload
	;; [unrolled: 1-line block ×4, first 2 shown]
	v_cmp_gt_i32_e32 vcc, s33, v0
	s_waitcnt vmcnt(3)
	v_cndmask_b32_e32 v5, 0, v5, vcc
	v_cmp_gt_i32_e32 vcc, s33, v14
	s_waitcnt vmcnt(2)
	v_cndmask_b32_e32 v6, 0, v6, vcc
	;; [unrolled: 3-line block ×4, first 2 shown]
	buffer_store_dword v5, off, s[48:51], 0 offset:44 ; 4-byte Folded Spill
	s_nop 0
	buffer_store_dword v6, off, s[48:51], 0 offset:48 ; 4-byte Folded Spill
	buffer_store_dword v7, off, s[48:51], 0 offset:52 ; 4-byte Folded Spill
	buffer_store_dword v8, off, s[48:51], 0 offset:56 ; 4-byte Folded Spill
.LBB26_48:                              ;   in Loop: Header=BB26_41 Depth=1
	s_or_b64 exec, exec, s[12:13]
	global_load_dwordx4 v[17:20], v[9:10], off offset:3072
	s_and_saveexec_b64 s[12:13], s[0:1]
	s_cbranch_execz .LBB26_50
; %bb.49:                               ;   in Loop: Header=BB26_41 Depth=1
	v_cmp_gt_i32_e32 vcc, s33, v0
	s_waitcnt vmcnt(0)
	v_cndmask_b32_e32 v17, 0, v17, vcc
	v_cmp_gt_i32_e32 vcc, s33, v14
	v_cndmask_b32_e32 v18, 0, v18, vcc
	v_cmp_gt_i32_e32 vcc, s33, v13
	;; [unrolled: 2-line block ×3, first 2 shown]
	v_cndmask_b32_e32 v20, 0, v20, vcc
.LBB26_50:                              ;   in Loop: Header=BB26_41 Depth=1
	s_or_b64 exec, exec, s[12:13]
	v_add_co_u32_e32 v5, vcc, 0x1000, v9
	v_addc_co_u32_e32 v6, vcc, 0, v10, vcc
	global_load_dwordx4 v[21:24], v[5:6], off
	s_and_saveexec_b64 s[12:13], s[0:1]
	s_cbranch_execz .LBB26_52
; %bb.51:                               ;   in Loop: Header=BB26_41 Depth=1
	v_cmp_gt_i32_e32 vcc, s33, v0
	s_waitcnt vmcnt(0)
	v_cndmask_b32_e32 v21, 0, v21, vcc
	v_cmp_gt_i32_e32 vcc, s33, v14
	v_cndmask_b32_e32 v22, 0, v22, vcc
	v_cmp_gt_i32_e32 vcc, s33, v13
	v_cndmask_b32_e32 v23, 0, v23, vcc
	v_cmp_gt_i32_e32 vcc, s33, v63
	v_cndmask_b32_e32 v24, 0, v24, vcc
.LBB26_52:                              ;   in Loop: Header=BB26_41 Depth=1
	s_or_b64 exec, exec, s[12:13]
	v_add_co_u32_e32 v5, vcc, 0x1000, v9
	v_addc_co_u32_e32 v6, vcc, 0, v10, vcc
	global_load_dwordx4 v[25:28], v[5:6], off offset:1024
	s_and_saveexec_b64 s[12:13], s[0:1]
	s_cbranch_execz .LBB26_54
; %bb.53:                               ;   in Loop: Header=BB26_41 Depth=1
	v_cmp_gt_i32_e32 vcc, s33, v0
	s_waitcnt vmcnt(0)
	v_cndmask_b32_e32 v25, 0, v25, vcc
	v_cmp_gt_i32_e32 vcc, s33, v14
	v_cndmask_b32_e32 v26, 0, v26, vcc
	v_cmp_gt_i32_e32 vcc, s33, v13
	v_cndmask_b32_e32 v27, 0, v27, vcc
	v_cmp_gt_i32_e32 vcc, s33, v63
	v_cndmask_b32_e32 v28, 0, v28, vcc
.LBB26_54:                              ;   in Loop: Header=BB26_41 Depth=1
	s_or_b64 exec, exec, s[12:13]
	v_add_co_u32_e32 v5, vcc, 0x1000, v9
	v_addc_co_u32_e32 v6, vcc, 0, v10, vcc
	global_load_dwordx4 v[29:32], v[5:6], off offset:2048
	;; [unrolled: 17-line block ×3, first 2 shown]
	s_and_saveexec_b64 s[12:13], s[0:1]
	s_cbranch_execz .LBB26_58
; %bb.57:                               ;   in Loop: Header=BB26_41 Depth=1
	v_cmp_gt_i32_e32 vcc, s33, v0
	s_waitcnt vmcnt(0)
	v_cndmask_b32_e32 v33, 0, v33, vcc
	v_cmp_gt_i32_e32 vcc, s33, v14
	v_cndmask_b32_e32 v34, 0, v34, vcc
	v_cmp_gt_i32_e32 vcc, s33, v13
	;; [unrolled: 2-line block ×3, first 2 shown]
	v_cndmask_b32_e32 v36, 0, v36, vcc
.LBB26_58:                              ;   in Loop: Header=BB26_41 Depth=1
	s_or_b64 exec, exec, s[12:13]
	v_add_co_u32_e32 v5, vcc, 0x2000, v9
	v_addc_co_u32_e32 v6, vcc, 0, v10, vcc
	global_load_dwordx4 v[37:40], v[5:6], off
	s_and_saveexec_b64 s[12:13], s[0:1]
	s_cbranch_execz .LBB26_60
; %bb.59:                               ;   in Loop: Header=BB26_41 Depth=1
	v_cmp_gt_i32_e32 vcc, s33, v0
	s_waitcnt vmcnt(0)
	v_cndmask_b32_e32 v37, 0, v37, vcc
	v_cmp_gt_i32_e32 vcc, s33, v14
	v_cndmask_b32_e32 v38, 0, v38, vcc
	v_cmp_gt_i32_e32 vcc, s33, v13
	v_cndmask_b32_e32 v39, 0, v39, vcc
	v_cmp_gt_i32_e32 vcc, s33, v63
	v_cndmask_b32_e32 v40, 0, v40, vcc
.LBB26_60:                              ;   in Loop: Header=BB26_41 Depth=1
	s_or_b64 exec, exec, s[12:13]
	v_add_co_u32_e32 v5, vcc, 0x2000, v9
	v_addc_co_u32_e32 v6, vcc, 0, v10, vcc
	global_load_dwordx4 v[41:44], v[5:6], off offset:1024
	s_and_saveexec_b64 s[12:13], s[0:1]
	s_cbranch_execz .LBB26_62
; %bb.61:                               ;   in Loop: Header=BB26_41 Depth=1
	v_cmp_gt_i32_e32 vcc, s33, v0
	s_waitcnt vmcnt(0)
	v_cndmask_b32_e32 v41, 0, v41, vcc
	v_cmp_gt_i32_e32 vcc, s33, v14
	v_cndmask_b32_e32 v42, 0, v42, vcc
	v_cmp_gt_i32_e32 vcc, s33, v13
	v_cndmask_b32_e32 v43, 0, v43, vcc
	v_cmp_gt_i32_e32 vcc, s33, v63
	v_cndmask_b32_e32 v44, 0, v44, vcc
.LBB26_62:                              ;   in Loop: Header=BB26_41 Depth=1
	s_or_b64 exec, exec, s[12:13]
	v_add_co_u32_e32 v5, vcc, 0x2000, v9
	v_addc_co_u32_e32 v6, vcc, 0, v10, vcc
	global_load_dwordx4 v[45:48], v[5:6], off offset:2048
	;; [unrolled: 17-line block ×3, first 2 shown]
	s_and_saveexec_b64 s[12:13], s[0:1]
	s_cbranch_execz .LBB26_66
; %bb.65:                               ;   in Loop: Header=BB26_41 Depth=1
	v_cmp_gt_i32_e32 vcc, s33, v0
	s_waitcnt vmcnt(0)
	v_cndmask_b32_e32 v49, 0, v49, vcc
	v_cmp_gt_i32_e32 vcc, s33, v14
	v_cndmask_b32_e32 v50, 0, v50, vcc
	v_cmp_gt_i32_e32 vcc, s33, v13
	;; [unrolled: 2-line block ×3, first 2 shown]
	v_cndmask_b32_e32 v52, 0, v52, vcc
.LBB26_66:                              ;   in Loop: Header=BB26_41 Depth=1
	s_or_b64 exec, exec, s[12:13]
	v_add_co_u32_e32 v5, vcc, 0x3000, v9
	v_addc_co_u32_e32 v6, vcc, 0, v10, vcc
	global_load_dwordx4 v[57:60], v[5:6], off
	s_and_saveexec_b64 s[12:13], s[0:1]
	s_cbranch_execz .LBB26_68
; %bb.67:                               ;   in Loop: Header=BB26_41 Depth=1
	v_cmp_gt_i32_e32 vcc, s33, v0
	s_waitcnt vmcnt(0)
	v_cndmask_b32_e32 v57, 0, v57, vcc
	v_cmp_gt_i32_e32 vcc, s33, v14
	v_cndmask_b32_e32 v58, 0, v58, vcc
	v_cmp_gt_i32_e32 vcc, s33, v13
	;; [unrolled: 2-line block ×3, first 2 shown]
	v_cndmask_b32_e32 v60, 0, v60, vcc
.LBB26_68:                              ;   in Loop: Header=BB26_41 Depth=1
	s_or_b64 exec, exec, s[12:13]
	v_add_co_u32_e32 v5, vcc, 0x3000, v9
	v_addc_co_u32_e32 v6, vcc, 0, v10, vcc
	global_load_dwordx4 v[5:8], v[5:6], off offset:1024
	s_and_saveexec_b64 s[12:13], s[0:1]
	s_cbranch_execz .LBB26_70
; %bb.69:                               ;   in Loop: Header=BB26_41 Depth=1
	v_cmp_gt_i32_e32 vcc, s33, v0
	s_waitcnt vmcnt(0)
	v_cndmask_b32_e32 v5, 0, v5, vcc
	v_cmp_gt_i32_e32 vcc, s33, v14
	v_cndmask_b32_e32 v6, 0, v6, vcc
	v_cmp_gt_i32_e32 vcc, s33, v13
	;; [unrolled: 2-line block ×3, first 2 shown]
	v_cndmask_b32_e32 v8, 0, v8, vcc
.LBB26_70:                              ;   in Loop: Header=BB26_41 Depth=1
	s_or_b64 exec, exec, s[12:13]
	v_add_co_u32_e32 v9, vcc, 0x3000, v9
	v_addc_co_u32_e32 v10, vcc, 0, v10, vcc
	global_load_dwordx4 v[9:12], v[9:10], off offset:2048
	s_and_saveexec_b64 s[12:13], s[0:1]
	s_cbranch_execz .LBB26_72
; %bb.71:                               ;   in Loop: Header=BB26_41 Depth=1
	v_cmp_gt_i32_e32 vcc, s33, v0
	s_waitcnt vmcnt(0)
	v_cndmask_b32_e32 v9, 0, v9, vcc
	v_cmp_gt_i32_e32 vcc, s33, v14
	v_cndmask_b32_e32 v10, 0, v10, vcc
	v_cmp_gt_i32_e32 vcc, s33, v13
	;; [unrolled: 2-line block ×3, first 2 shown]
	v_cndmask_b32_e32 v12, 0, v12, vcc
.LBB26_72:                              ;   in Loop: Header=BB26_41 Depth=1
	s_or_b64 exec, exec, s[12:13]
	buffer_load_dword v53, off, s[48:51], 0 offset:136 ; 4-byte Folded Reload
	s_waitcnt vmcnt(0)
	v_add_co_u32_e32 v15, vcc, v15, v53
	v_addc_co_u32_e32 v16, vcc, 0, v16, vcc
	global_load_dwordx4 v[53:56], v[15:16], off
	s_and_saveexec_b64 s[12:13], s[0:1]
	s_cbranch_execz .LBB26_39
; %bb.73:                               ;   in Loop: Header=BB26_41 Depth=1
	v_cmp_gt_i32_e32 vcc, s33, v0
	s_waitcnt vmcnt(0)
	v_cndmask_b32_e32 v53, 0, v53, vcc
	v_cmp_gt_i32_e32 vcc, s33, v14
	v_cndmask_b32_e32 v54, 0, v54, vcc
	v_cmp_gt_i32_e32 vcc, s33, v13
	;; [unrolled: 2-line block ×3, first 2 shown]
	v_cndmask_b32_e32 v56, 0, v56, vcc
	s_branch .LBB26_39
.LBB26_74:
	s_or_b64 exec, exec, s[4:5]
	buffer_load_dword v46, off, s[48:51], 0 offset:144 ; 4-byte Folded Reload
	buffer_load_dword v45, off, s[48:51], 0 offset:140 ; 4-byte Folded Reload
	;; [unrolled: 1-line block ×19, first 2 shown]
	s_waitcnt vmcnt(18)
	v_lshlrev_b32_e32 v44, 2, v46
.LBB26_75:
	s_or_b64 exec, exec, s[2:3]
	s_waitcnt vmcnt(0)
	ds_bpermute_b32 v1, v17, v3
	ds_bpermute_b32 v0, v17, v5
	;; [unrolled: 1-line block ×5, first 2 shown]
	s_waitcnt lgkmcnt(4)
	v_add_f32_e32 v1, v3, v1
	s_waitcnt lgkmcnt(3)
	v_add_f32_e32 v0, v5, v0
	ds_bpermute_b32 v4, v21, v1
	ds_bpermute_b32 v5, v17, v24
	;; [unrolled: 1-line block ×3, first 2 shown]
	s_waitcnt lgkmcnt(5)
	v_add_f32_e32 v2, v25, v2
	s_waitcnt lgkmcnt(4)
	v_add_f32_e32 v6, v12, v6
	;; [unrolled: 2-line block ×5, first 2 shown]
	ds_bpermute_b32 v3, v21, v2
	ds_bpermute_b32 v5, v21, v4
	;; [unrolled: 1-line block ×3, first 2 shown]
	s_waitcnt lgkmcnt(0)
	s_barrier
	v_add_f32_e32 v2, v2, v3
	v_add_f32_e32 v3, v4, v5
	ds_bpermute_b32 v5, v17, v10
	v_add_f32_e32 v4, v6, v7
	v_add_f32_e32 v7, v11, v8
	ds_bpermute_b32 v6, v17, v9
	ds_bpermute_b32 v8, v21, v7
	v_mov_b32_e32 v11, v9
	s_waitcnt lgkmcnt(2)
	v_add_f32_e32 v9, v10, v5
	ds_bpermute_b32 v10, v21, v9
	s_waitcnt lgkmcnt(2)
	v_add_f32_e32 v11, v11, v6
	s_waitcnt lgkmcnt(1)
	v_add_f32_e32 v5, v7, v8
	ds_bpermute_b32 v8, v17, v20
	ds_bpermute_b32 v12, v21, v11
	s_waitcnt lgkmcnt(2)
	v_add_f32_e32 v6, v9, v10
	ds_bpermute_b32 v9, v17, v14
	ds_bpermute_b32 v10, v17, v13
	s_waitcnt lgkmcnt(3)
	v_add_f32_e32 v8, v20, v8
	s_waitcnt lgkmcnt(2)
	v_add_f32_e32 v7, v11, v12
	ds_bpermute_b32 v11, v21, v8
	s_waitcnt lgkmcnt(2)
	v_add_f32_e32 v9, v14, v9
	ds_bpermute_b32 v12, v21, v9
	ds_bpermute_b32 v14, v17, v16
	s_waitcnt lgkmcnt(3)
	v_add_f32_e32 v10, v13, v10
	s_waitcnt lgkmcnt(2)
	v_add_f32_e32 v8, v8, v11
	ds_bpermute_b32 v11, v17, v15
	ds_bpermute_b32 v13, v21, v10
	s_waitcnt lgkmcnt(3)
	v_add_f32_e32 v9, v9, v12
	s_waitcnt lgkmcnt(2)
	v_add_f32_e32 v12, v16, v14
	ds_bpermute_b32 v14, v17, v18
	s_waitcnt lgkmcnt(2)
	v_add_f32_e32 v15, v15, v11
	ds_bpermute_b32 v11, v17, v19
	ds_bpermute_b32 v17, v17, v23
	s_waitcnt lgkmcnt(3)
	v_add_f32_e32 v10, v10, v13
	ds_bpermute_b32 v13, v21, v12
	ds_bpermute_b32 v16, v21, v15
	s_waitcnt lgkmcnt(4)
	v_add_f32_e32 v14, v18, v14
	s_waitcnt lgkmcnt(3)
	v_add_f32_e32 v19, v19, v11
	;; [unrolled: 2-line block ×3, first 2 shown]
	ds_bpermute_b32 v18, v21, v14
	ds_bpermute_b32 v20, v21, v19
	;; [unrolled: 1-line block ×3, first 2 shown]
	s_waitcnt lgkmcnt(4)
	v_add_f32_e32 v11, v12, v13
	s_waitcnt lgkmcnt(3)
	v_add_f32_e32 v12, v15, v16
	v_and_b32_e32 v16, 0x3c3, v45
	s_waitcnt lgkmcnt(2)
	v_add_f32_e32 v13, v14, v18
	s_waitcnt lgkmcnt(1)
	v_add_f32_e32 v14, v19, v20
	;; [unrolled: 2-line block ×3, first 2 shown]
	v_cmp_eq_u32_e32 vcc, 64, v16
	s_and_saveexec_b64 s[0:1], vcc
	s_cbranch_execz .LBB26_77
; %bb.76:
	v_add_u32_e32 v17, 0x410, v22
	ds_write2_b32 v17, v0, v1 offset1:16
	ds_write2_b32 v17, v2, v3 offset0:32 offset1:48
	ds_write2_b32 v17, v4, v5 offset0:64 offset1:80
	;; [unrolled: 1-line block ×7, first 2 shown]
.LBB26_77:
	s_or_b64 exec, exec, s[0:1]
	v_cmp_gt_u32_e32 vcc, 64, v45
	s_waitcnt lgkmcnt(0)
	s_barrier
	s_and_saveexec_b64 s[0:1], vcc
	s_cbranch_execz .LBB26_96
; %bb.78:
	v_mov_b32_e32 v17, 0x410
	v_cmp_eq_u32_e32 vcc, 0, v47
	v_lshl_add_u32 v17, v46, 2, v17
	s_and_saveexec_b64 s[2:3], vcc
	s_cbranch_execnz .LBB26_99
; %bb.79:
	s_or_b64 exec, exec, s[2:3]
	s_and_saveexec_b64 s[2:3], vcc
	s_cbranch_execnz .LBB26_100
.LBB26_80:
	s_or_b64 exec, exec, s[2:3]
	s_and_saveexec_b64 s[2:3], vcc
	s_cbranch_execnz .LBB26_101
.LBB26_81:
	s_or_b64 exec, exec, s[2:3]
	s_and_saveexec_b64 s[2:3], vcc
	s_cbranch_execnz .LBB26_102
.LBB26_82:
	s_or_b64 exec, exec, s[2:3]
	s_and_saveexec_b64 s[2:3], vcc
	s_cbranch_execnz .LBB26_103
.LBB26_83:
	s_or_b64 exec, exec, s[2:3]
	s_and_saveexec_b64 s[2:3], vcc
	s_cbranch_execnz .LBB26_104
.LBB26_84:
	s_or_b64 exec, exec, s[2:3]
	s_and_saveexec_b64 s[2:3], vcc
	s_cbranch_execnz .LBB26_105
.LBB26_85:
	s_or_b64 exec, exec, s[2:3]
	s_and_saveexec_b64 s[2:3], vcc
	s_cbranch_execnz .LBB26_106
.LBB26_86:
	s_or_b64 exec, exec, s[2:3]
	s_and_saveexec_b64 s[2:3], vcc
	s_cbranch_execnz .LBB26_107
.LBB26_87:
	s_or_b64 exec, exec, s[2:3]
	s_and_saveexec_b64 s[2:3], vcc
	s_cbranch_execnz .LBB26_108
.LBB26_88:
	s_or_b64 exec, exec, s[2:3]
	s_and_saveexec_b64 s[2:3], vcc
	s_cbranch_execnz .LBB26_109
.LBB26_89:
	s_or_b64 exec, exec, s[2:3]
	s_and_saveexec_b64 s[2:3], vcc
	s_cbranch_execnz .LBB26_110
.LBB26_90:
	s_or_b64 exec, exec, s[2:3]
	s_and_saveexec_b64 s[2:3], vcc
	s_cbranch_execnz .LBB26_111
.LBB26_91:
	s_or_b64 exec, exec, s[2:3]
	s_and_saveexec_b64 s[2:3], vcc
	s_cbranch_execnz .LBB26_112
.LBB26_92:
	s_or_b64 exec, exec, s[2:3]
	s_and_saveexec_b64 s[2:3], vcc
	s_cbranch_execnz .LBB26_113
.LBB26_93:
	s_or_b64 exec, exec, s[2:3]
	s_and_saveexec_b64 s[2:3], vcc
	s_cbranch_execz .LBB26_95
.LBB26_94:
	ds_read_b32 v17, v17 offset:960
	s_waitcnt lgkmcnt(0)
	v_add_f32_e32 v15, v15, v17
.LBB26_95:
	s_or_b64 exec, exec, s[2:3]
.LBB26_96:
	s_or_b64 exec, exec, s[0:1]
	v_cmp_eq_u32_e32 vcc, 0, v16
	s_barrier
	s_and_saveexec_b64 s[0:1], vcc
	s_cbranch_execz .LBB26_98
; %bb.97:
	s_mul_i32 s0, s10, s11
	s_mul_i32 s0, s0, s9
	s_lshl_b32 s0, s0, 8
	s_ashr_i32 s1, s0, 31
	s_lshl_b64 s[0:1], s[0:1], 2
	s_add_u32 s2, s22, s0
	s_mul_i32 s0, s11, s20
	s_addc_u32 s3, s23, s1
	s_ashr_i32 s1, s0, 31
	s_lshl_b64 s[0:1], s[0:1], 2
	s_add_u32 s2, s2, s0
	s_addc_u32 s3, s3, s1
	s_lshl_b32 s0, s8, 8
	s_ashr_i32 s1, s0, 31
	s_lshl_b64 s[0:1], s[0:1], 2
	s_add_u32 s0, s2, s0
	s_addc_u32 s1, s3, s1
	global_store_dword v44, v0, s[0:1]
	global_store_dword v44, v1, s[0:1] offset:64
	global_store_dword v44, v2, s[0:1] offset:128
	;; [unrolled: 1-line block ×15, first 2 shown]
.LBB26_98:
	s_endpgm
.LBB26_99:
	ds_read_b32 v18, v17
	s_waitcnt lgkmcnt(0)
	v_add_f32_e32 v0, v0, v18
	s_or_b64 exec, exec, s[2:3]
	s_and_saveexec_b64 s[2:3], vcc
	s_cbranch_execz .LBB26_80
.LBB26_100:
	ds_read_b32 v18, v17 offset:64
	s_waitcnt lgkmcnt(0)
	v_add_f32_e32 v1, v1, v18
	s_or_b64 exec, exec, s[2:3]
	s_and_saveexec_b64 s[2:3], vcc
	s_cbranch_execz .LBB26_81
.LBB26_101:
	ds_read_b32 v18, v17 offset:128
	s_waitcnt lgkmcnt(0)
	v_add_f32_e32 v2, v2, v18
	s_or_b64 exec, exec, s[2:3]
	s_and_saveexec_b64 s[2:3], vcc
	s_cbranch_execz .LBB26_82
.LBB26_102:
	ds_read_b32 v18, v17 offset:192
	s_waitcnt lgkmcnt(0)
	v_add_f32_e32 v3, v3, v18
	s_or_b64 exec, exec, s[2:3]
	s_and_saveexec_b64 s[2:3], vcc
	s_cbranch_execz .LBB26_83
.LBB26_103:
	ds_read_b32 v18, v17 offset:256
	s_waitcnt lgkmcnt(0)
	v_add_f32_e32 v4, v4, v18
	s_or_b64 exec, exec, s[2:3]
	s_and_saveexec_b64 s[2:3], vcc
	s_cbranch_execz .LBB26_84
.LBB26_104:
	ds_read_b32 v18, v17 offset:320
	s_waitcnt lgkmcnt(0)
	v_add_f32_e32 v5, v5, v18
	s_or_b64 exec, exec, s[2:3]
	s_and_saveexec_b64 s[2:3], vcc
	s_cbranch_execz .LBB26_85
.LBB26_105:
	ds_read_b32 v18, v17 offset:384
	s_waitcnt lgkmcnt(0)
	v_add_f32_e32 v6, v6, v18
	s_or_b64 exec, exec, s[2:3]
	s_and_saveexec_b64 s[2:3], vcc
	s_cbranch_execz .LBB26_86
.LBB26_106:
	ds_read_b32 v18, v17 offset:448
	s_waitcnt lgkmcnt(0)
	v_add_f32_e32 v7, v7, v18
	s_or_b64 exec, exec, s[2:3]
	s_and_saveexec_b64 s[2:3], vcc
	s_cbranch_execz .LBB26_87
.LBB26_107:
	ds_read_b32 v18, v17 offset:512
	s_waitcnt lgkmcnt(0)
	v_add_f32_e32 v8, v8, v18
	s_or_b64 exec, exec, s[2:3]
	s_and_saveexec_b64 s[2:3], vcc
	s_cbranch_execz .LBB26_88
.LBB26_108:
	ds_read_b32 v18, v17 offset:576
	s_waitcnt lgkmcnt(0)
	v_add_f32_e32 v9, v9, v18
	s_or_b64 exec, exec, s[2:3]
	s_and_saveexec_b64 s[2:3], vcc
	s_cbranch_execz .LBB26_89
.LBB26_109:
	ds_read_b32 v18, v17 offset:640
	s_waitcnt lgkmcnt(0)
	v_add_f32_e32 v10, v10, v18
	s_or_b64 exec, exec, s[2:3]
	s_and_saveexec_b64 s[2:3], vcc
	s_cbranch_execz .LBB26_90
.LBB26_110:
	ds_read_b32 v18, v17 offset:704
	s_waitcnt lgkmcnt(0)
	v_add_f32_e32 v11, v11, v18
	s_or_b64 exec, exec, s[2:3]
	s_and_saveexec_b64 s[2:3], vcc
	s_cbranch_execz .LBB26_91
.LBB26_111:
	ds_read_b32 v18, v17 offset:768
	s_waitcnt lgkmcnt(0)
	v_add_f32_e32 v12, v12, v18
	s_or_b64 exec, exec, s[2:3]
	s_and_saveexec_b64 s[2:3], vcc
	s_cbranch_execz .LBB26_92
.LBB26_112:
	ds_read_b32 v18, v17 offset:832
	s_waitcnt lgkmcnt(0)
	v_add_f32_e32 v13, v13, v18
	s_or_b64 exec, exec, s[2:3]
	s_and_saveexec_b64 s[2:3], vcc
	s_cbranch_execz .LBB26_93
.LBB26_113:
	ds_read_b32 v18, v17 offset:896
	s_waitcnt lgkmcnt(0)
	v_add_f32_e32 v14, v14, v18
	s_or_b64 exec, exec, s[2:3]
	s_and_saveexec_b64 s[2:3], vcc
	s_cbranch_execnz .LBB26_94
	s_branch .LBB26_95
	.section	.rodata,"a",@progbits
	.p2align	6, 0x0
	.amdhsa_kernel _ZN4vllm25paged_attention_v1_kernelIffLi256ELi16ELi128ELNS_18Fp8KVCacheDataTypeE0ELb1EEEvPT_PKS2_PKT0_S8_ifPKiSA_iPKfiiiSC_SC_iiiii
		.amdhsa_group_segment_fixed_size 1040
		.amdhsa_private_segment_fixed_size 168
		.amdhsa_kernarg_size 384
		.amdhsa_user_sgpr_count 6
		.amdhsa_user_sgpr_private_segment_buffer 1
		.amdhsa_user_sgpr_dispatch_ptr 0
		.amdhsa_user_sgpr_queue_ptr 0
		.amdhsa_user_sgpr_kernarg_segment_ptr 1
		.amdhsa_user_sgpr_dispatch_id 0
		.amdhsa_user_sgpr_flat_scratch_init 0
		.amdhsa_user_sgpr_private_segment_size 0
		.amdhsa_uses_dynamic_stack 0
		.amdhsa_system_sgpr_private_segment_wavefront_offset 1
		.amdhsa_system_sgpr_workgroup_id_x 1
		.amdhsa_system_sgpr_workgroup_id_y 1
		.amdhsa_system_sgpr_workgroup_id_z 1
		.amdhsa_system_sgpr_workgroup_info 0
		.amdhsa_system_vgpr_workitem_id 0
		.amdhsa_next_free_vgpr 64
		.amdhsa_next_free_sgpr 52
		.amdhsa_reserve_vcc 1
		.amdhsa_reserve_flat_scratch 0
		.amdhsa_float_round_mode_32 0
		.amdhsa_float_round_mode_16_64 0
		.amdhsa_float_denorm_mode_32 3
		.amdhsa_float_denorm_mode_16_64 3
		.amdhsa_dx10_clamp 1
		.amdhsa_ieee_mode 1
		.amdhsa_fp16_overflow 0
		.amdhsa_exception_fp_ieee_invalid_op 0
		.amdhsa_exception_fp_denorm_src 0
		.amdhsa_exception_fp_ieee_div_zero 0
		.amdhsa_exception_fp_ieee_overflow 0
		.amdhsa_exception_fp_ieee_underflow 0
		.amdhsa_exception_fp_ieee_inexact 0
		.amdhsa_exception_int_div_zero 0
	.end_amdhsa_kernel
	.section	.text._ZN4vllm25paged_attention_v1_kernelIffLi256ELi16ELi128ELNS_18Fp8KVCacheDataTypeE0ELb1EEEvPT_PKS2_PKT0_S8_ifPKiSA_iPKfiiiSC_SC_iiiii,"axG",@progbits,_ZN4vllm25paged_attention_v1_kernelIffLi256ELi16ELi128ELNS_18Fp8KVCacheDataTypeE0ELb1EEEvPT_PKS2_PKT0_S8_ifPKiSA_iPKfiiiSC_SC_iiiii,comdat
.Lfunc_end26:
	.size	_ZN4vllm25paged_attention_v1_kernelIffLi256ELi16ELi128ELNS_18Fp8KVCacheDataTypeE0ELb1EEEvPT_PKS2_PKT0_S8_ifPKiSA_iPKfiiiSC_SC_iiiii, .Lfunc_end26-_ZN4vllm25paged_attention_v1_kernelIffLi256ELi16ELi128ELNS_18Fp8KVCacheDataTypeE0ELb1EEEvPT_PKS2_PKT0_S8_ifPKiSA_iPKfiiiSC_SC_iiiii
                                        ; -- End function
	.set _ZN4vllm25paged_attention_v1_kernelIffLi256ELi16ELi128ELNS_18Fp8KVCacheDataTypeE0ELb1EEEvPT_PKS2_PKT0_S8_ifPKiSA_iPKfiiiSC_SC_iiiii.num_vgpr, 64
	.set _ZN4vllm25paged_attention_v1_kernelIffLi256ELi16ELi128ELNS_18Fp8KVCacheDataTypeE0ELb1EEEvPT_PKS2_PKT0_S8_ifPKiSA_iPKfiiiSC_SC_iiiii.num_agpr, 0
	.set _ZN4vllm25paged_attention_v1_kernelIffLi256ELi16ELi128ELNS_18Fp8KVCacheDataTypeE0ELb1EEEvPT_PKS2_PKT0_S8_ifPKiSA_iPKfiiiSC_SC_iiiii.numbered_sgpr, 52
	.set _ZN4vllm25paged_attention_v1_kernelIffLi256ELi16ELi128ELNS_18Fp8KVCacheDataTypeE0ELb1EEEvPT_PKS2_PKT0_S8_ifPKiSA_iPKfiiiSC_SC_iiiii.num_named_barrier, 0
	.set _ZN4vllm25paged_attention_v1_kernelIffLi256ELi16ELi128ELNS_18Fp8KVCacheDataTypeE0ELb1EEEvPT_PKS2_PKT0_S8_ifPKiSA_iPKfiiiSC_SC_iiiii.private_seg_size, 168
	.set _ZN4vllm25paged_attention_v1_kernelIffLi256ELi16ELi128ELNS_18Fp8KVCacheDataTypeE0ELb1EEEvPT_PKS2_PKT0_S8_ifPKiSA_iPKfiiiSC_SC_iiiii.uses_vcc, 1
	.set _ZN4vllm25paged_attention_v1_kernelIffLi256ELi16ELi128ELNS_18Fp8KVCacheDataTypeE0ELb1EEEvPT_PKS2_PKT0_S8_ifPKiSA_iPKfiiiSC_SC_iiiii.uses_flat_scratch, 0
	.set _ZN4vllm25paged_attention_v1_kernelIffLi256ELi16ELi128ELNS_18Fp8KVCacheDataTypeE0ELb1EEEvPT_PKS2_PKT0_S8_ifPKiSA_iPKfiiiSC_SC_iiiii.has_dyn_sized_stack, 0
	.set _ZN4vllm25paged_attention_v1_kernelIffLi256ELi16ELi128ELNS_18Fp8KVCacheDataTypeE0ELb1EEEvPT_PKS2_PKT0_S8_ifPKiSA_iPKfiiiSC_SC_iiiii.has_recursion, 0
	.set _ZN4vllm25paged_attention_v1_kernelIffLi256ELi16ELi128ELNS_18Fp8KVCacheDataTypeE0ELb1EEEvPT_PKS2_PKT0_S8_ifPKiSA_iPKfiiiSC_SC_iiiii.has_indirect_call, 0
	.section	.AMDGPU.csdata,"",@progbits
; Kernel info:
; codeLenInByte = 8464
; TotalNumSgprs: 56
; NumVgprs: 64
; ScratchSize: 168
; MemoryBound: 0
; FloatMode: 240
; IeeeMode: 1
; LDSByteSize: 1040 bytes/workgroup (compile time only)
; SGPRBlocks: 6
; VGPRBlocks: 15
; NumSGPRsForWavesPerEU: 56
; NumVGPRsForWavesPerEU: 64
; Occupancy: 4
; WaveLimiterHint : 1
; COMPUTE_PGM_RSRC2:SCRATCH_EN: 1
; COMPUTE_PGM_RSRC2:USER_SGPR: 6
; COMPUTE_PGM_RSRC2:TRAP_HANDLER: 0
; COMPUTE_PGM_RSRC2:TGID_X_EN: 1
; COMPUTE_PGM_RSRC2:TGID_Y_EN: 1
; COMPUTE_PGM_RSRC2:TGID_Z_EN: 1
; COMPUTE_PGM_RSRC2:TIDIG_COMP_CNT: 0
	.section	.text._ZN4vllm25paged_attention_v1_kernelIffLi32ELi16ELi128ELNS_18Fp8KVCacheDataTypeE0ELb0EEEvPT_PKS2_PKT0_S8_ifPKiSA_iPKfiiiSC_SC_iiiii,"axG",@progbits,_ZN4vllm25paged_attention_v1_kernelIffLi32ELi16ELi128ELNS_18Fp8KVCacheDataTypeE0ELb0EEEvPT_PKS2_PKT0_S8_ifPKiSA_iPKfiiiSC_SC_iiiii,comdat
	.protected	_ZN4vllm25paged_attention_v1_kernelIffLi32ELi16ELi128ELNS_18Fp8KVCacheDataTypeE0ELb0EEEvPT_PKS2_PKT0_S8_ifPKiSA_iPKfiiiSC_SC_iiiii ; -- Begin function _ZN4vllm25paged_attention_v1_kernelIffLi32ELi16ELi128ELNS_18Fp8KVCacheDataTypeE0ELb0EEEvPT_PKS2_PKT0_S8_ifPKiSA_iPKfiiiSC_SC_iiiii
	.globl	_ZN4vllm25paged_attention_v1_kernelIffLi32ELi16ELi128ELNS_18Fp8KVCacheDataTypeE0ELb0EEEvPT_PKS2_PKT0_S8_ifPKiSA_iPKfiiiSC_SC_iiiii
	.p2align	8
	.type	_ZN4vllm25paged_attention_v1_kernelIffLi32ELi16ELi128ELNS_18Fp8KVCacheDataTypeE0ELb0EEEvPT_PKS2_PKT0_S8_ifPKiSA_iPKfiiiSC_SC_iiiii,@function
_ZN4vllm25paged_attention_v1_kernelIffLi32ELi16ELi128ELNS_18Fp8KVCacheDataTypeE0ELb0EEEvPT_PKS2_PKT0_S8_ifPKiSA_iPKfiiiSC_SC_iiiii: ; @_ZN4vllm25paged_attention_v1_kernelIffLi32ELi16ELi128ELNS_18Fp8KVCacheDataTypeE0ELb0EEEvPT_PKS2_PKT0_S8_ifPKiSA_iPKfiiiSC_SC_iiiii
; %bb.0:
	s_load_dword s9, s[4:5], 0x80
	s_load_dwordx2 s[0:1], s[4:5], 0x30
	s_load_dwordx2 s[26:27], s[4:5], 0x20
	s_mov_b32 s10, s7
	s_ashr_i32 s11, s7, 31
	s_lshl_b64 s[2:3], s[10:11], 2
	s_waitcnt lgkmcnt(0)
	s_add_u32 s0, s0, s2
	s_addc_u32 s1, s1, s3
	s_abs_i32 s2, s26
	v_cvt_f32_u32_e32 v1, s2
	s_sub_i32 s11, 0, s2
	s_abs_i32 s7, s9
	s_xor_b32 s3, s9, s26
	v_rcp_iflag_f32_e32 v1, v1
	s_ashr_i32 s3, s3, 31
	s_mov_b32 s26, 0
	v_mul_f32_e32 v1, 0x4f7ffffe, v1
	v_cvt_u32_f32_e32 v1, v1
	v_readfirstlane_b32 s12, v1
	s_mul_i32 s11, s11, s12
	s_mul_hi_u32 s11, s12, s11
	s_add_i32 s12, s12, s11
	s_mul_hi_u32 s11, s7, s12
	s_mul_i32 s12, s11, s2
	s_sub_i32 s7, s7, s12
	s_add_i32 s12, s11, 1
	s_sub_i32 s13, s7, s2
	s_cmp_ge_u32 s7, s2
	s_cselect_b32 s11, s12, s11
	s_cselect_b32 s7, s13, s7
	s_add_i32 s12, s11, 1
	s_cmp_ge_u32 s7, s2
	s_cselect_b32 s2, s12, s11
	s_xor_b32 s2, s2, s3
	s_sub_i32 s12, s2, s3
	s_abs_i32 s11, s12
	v_cvt_f32_u32_e32 v1, s11
	s_load_dwordx2 s[2:3], s[4:5], 0x40
	s_sub_i32 s7, 0, s11
	s_abs_i32 s18, s6
	v_rcp_iflag_f32_e32 v1, v1
	v_mul_f32_e32 v1, 0x4f7ffffe, v1
	v_cvt_u32_f32_e32 v1, v1
	v_readfirstlane_b32 s13, v1
	s_mul_i32 s7, s7, s13
	s_mul_hi_u32 s7, s13, s7
	s_add_i32 s13, s13, s7
	s_waitcnt lgkmcnt(0)
	s_cmp_eq_u64 s[2:3], 0
	s_mul_hi_u32 s19, s18, s13
	s_cbranch_scc1 .LBB27_2
; %bb.1:
	s_ashr_i32 s7, s6, 31
	s_lshl_b64 s[14:15], s[6:7], 2
	s_add_u32 s2, s2, s14
	s_addc_u32 s3, s3, s15
	s_load_dword s26, s[2:3], 0x0
.LBB27_2:
	s_load_dword s33, s[0:1], 0x0
	s_ashr_i32 s3, s12, 31
	s_load_dwordx4 s[12:15], s[4:5], 0x48
	v_lshrrev_b32_e32 v16, 2, v0
	s_ashr_i32 s2, s6, 31
	v_and_b32_e32 v17, 3, v0
	s_lshl_b32 s16, s6, 5
	v_cmp_gt_u32_e32 vcc, 32, v0
	v_lshlrev_b32_e32 v11, 2, v0
	v_lshlrev_b32_e32 v15, 2, v16
	s_and_saveexec_b64 s[0:1], vcc
	s_cbranch_execz .LBB27_4
; %bb.3:
	s_load_dwordx2 s[6:7], s[4:5], 0x8
	s_waitcnt lgkmcnt(0)
	s_mul_i32 s20, s12, s10
	s_ashr_i32 s21, s20, 31
	s_lshl_b64 s[20:21], s[20:21], 2
	v_lshl_add_u32 v2, v17, 5, v15
	s_add_u32 s12, s6, s20
	s_addc_u32 s15, s7, s21
	s_ashr_i32 s17, s16, 31
	s_lshl_b64 s[6:7], s[16:17], 2
	s_add_u32 s6, s12, s6
	s_addc_u32 s7, s15, s7
	global_load_dword v1, v11, s[6:7]
	s_waitcnt vmcnt(0)
	ds_write_b32 v2, v1
.LBB27_4:
	s_or_b64 exec, exec, s[0:1]
	s_waitcnt lgkmcnt(0)
	s_add_i32 s1, s33, 15
	s_ashr_i32 s6, s1, 31
	s_lshr_b32 s6, s6, 28
	s_add_i32 s1, s1, s6
	s_ashr_i32 s12, s1, 4
	s_xor_b32 s1, s2, s3
	s_mul_i32 s2, s19, s11
	s_sub_i32 s2, s18, s2
	s_add_i32 s3, s19, 1
	s_sub_i32 s6, s2, s11
	s_load_dwordx2 s[20:21], s[4:5], 0x28
	s_load_dword s0, s[4:5], 0x38
	s_cmp_ge_u32 s2, s11
	s_cselect_b32 s3, s3, s19
	s_cselect_b32 s2, s6, s2
	s_add_i32 s6, s3, 1
	s_cmp_ge_u32 s2, s11
	s_cselect_b32 s2, s6, s3
	v_lshrrev_b32_e32 v18, 6, v0
	s_xor_b32 s2, s2, s1
	s_waitcnt lgkmcnt(0)
	s_mul_i32 s22, s0, s10
	s_sub_i32 s15, s2, s1
	s_ashr_i32 s23, s22, 31
	v_cmp_gt_i32_e64 s[0:1], s12, v18
	v_cmp_le_i32_e32 vcc, s12, v18
	v_mbcnt_lo_u32_b32 v1, -1, 0
	s_barrier
                                        ; implicit-def: $vgpr13
                                        ; implicit-def: $vgpr21
                                        ; implicit-def: $vgpr14
	s_and_saveexec_b64 s[2:3], vcc
	s_xor_b64 s[2:3], exec, s[2:3]
; %bb.5:
	v_mbcnt_hi_u32_b32 v13, -1, v1
	v_and_b32_e32 v21, 64, v13
	v_add_u32_e32 v14, 64, v21
                                        ; implicit-def: $vgpr1
; %bb.6:
	s_or_saveexec_b64 s[6:7], s[2:3]
	s_load_dwordx2 s[18:19], s[4:5], 0x0
	s_load_dwordx2 s[24:25], s[4:5], 0x18
	s_load_dword s11, s[4:5], 0x88
	v_mov_b32_e32 v22, 0xff7fffff
	s_mul_i32 s14, s15, s14
	v_lshrrev_b32_e32 v12, 4, v0
	s_xor_b64 exec, exec, s[6:7]
	s_cbranch_execz .LBB27_12
; %bb.7:
	s_load_dwordx2 s[2:3], s[4:5], 0x10
	s_ashr_i32 s15, s14, 31
	s_lshl_b64 s[4:5], s[14:15], 2
	v_bfe_u32 v2, v0, 2, 4
	v_lshlrev_b32_e32 v4, 4, v2
	s_waitcnt lgkmcnt(0)
	s_add_u32 s2, s2, s4
	s_addc_u32 s3, s3, s5
	v_mov_b32_e32 v5, s3
	v_add_co_u32_e32 v4, vcc, s2, v4
	v_addc_co_u32_e32 v5, vcc, 0, v5, vcc
	v_lshlrev_b32_e32 v6, 2, v17
	v_mbcnt_hi_u32_b32 v13, -1, v1
	v_add_co_u32_e32 v19, vcc, v4, v6
	v_and_b32_e32 v21, 64, v13
	v_addc_co_u32_e32 v20, vcc, 0, v5, vcc
	v_add_u32_e32 v14, 64, v21
	v_xor_b32_e32 v1, 2, v13
	v_cmp_lt_i32_e32 vcc, v1, v14
	v_cndmask_b32_e32 v1, v13, v1, vcc
	v_lshlrev_b32_e32 v23, 2, v1
	v_xor_b32_e32 v1, 1, v13
	v_cmp_lt_i32_e32 vcc, v1, v14
	v_lshlrev_b32_e32 v3, 2, v2
	v_cndmask_b32_e32 v1, v13, v1, vcc
	v_lshlrev_b32_e32 v5, 5, v17
	v_lshlrev_b32_e32 v24, 2, v1
	v_lshl_or_b32 v1, v18, 6, v3
	s_sub_i32 s15, 1, s33
	v_lshl_or_b32 v25, v18, 4, v2
	v_add_u32_e32 v26, 0x90, v1
	s_lshl_b64 s[4:5], s[22:23], 2
	ds_read_b128 v[1:4], v5
	ds_read_b128 v[5:8], v5 offset:16
	s_add_u32 s4, s20, s4
	v_and_b32_e32 v9, 60, v12
	s_addc_u32 s5, s21, s5
	v_mov_b32_e32 v10, s5
	v_add_co_u32_e64 v9, s[4:5], s4, v9
	s_mov_b32 s17, s13
	v_cmp_eq_u32_e32 vcc, 0, v17
	v_cmp_neq_f32_e64 s[2:3], s26, 0
	v_addc_co_u32_e64 v10, s[4:5], 0, v10, s[4:5]
	v_mov_b32_e32 v22, 0xff7fffff
	s_mov_b64 s[28:29], 0
	v_mov_b32_e32 v27, v18
	s_branch .LBB27_9
.LBB27_8:                               ;   in Loop: Header=BB27_9 Depth=1
	s_or_b64 exec, exec, s[30:31]
	v_add_u32_e32 v27, 2, v27
	v_cmp_le_i32_e64 s[4:5], s12, v27
	s_or_b64 s[28:29], s[4:5], s[28:29]
	v_add_co_u32_e64 v9, s[4:5], 8, v9
	v_add_u32_e32 v25, 32, v25
	v_add_u32_e32 v26, 0x80, v26
	v_addc_co_u32_e64 v10, s[4:5], 0, v10, s[4:5]
	s_andn2_b64 exec, exec, s[28:29]
	s_cbranch_execz .LBB27_11
.LBB27_9:                               ; =>This Inner Loop Header: Depth=1
	global_load_dword v28, v[9:10], off
	s_waitcnt vmcnt(0) lgkmcnt(0)
	v_mad_i64_i32 v[28:29], s[4:5], v28, s17, 0
	v_lshlrev_b64 v[28:29], 2, v[28:29]
	v_add_co_u32_e64 v28, s[4:5], v19, v28
	v_addc_co_u32_e64 v29, s[4:5], v20, v29, s[4:5]
	global_load_dword v30, v[28:29], off offset:256
	global_load_dword v31, v[28:29], off
	global_load_dword v32, v[28:29], off offset:512
	global_load_dword v33, v[28:29], off offset:768
	;; [unrolled: 1-line block ×5, first 2 shown]
	s_nop 0
	global_load_dword v28, v[28:29], off offset:1792
	s_waitcnt vmcnt(7) lgkmcnt(1)
	v_mul_f32_e32 v29, v2, v30
	s_waitcnt vmcnt(6)
	v_fmac_f32_e32 v29, v1, v31
	s_waitcnt vmcnt(5)
	v_fmac_f32_e32 v29, v3, v32
	;; [unrolled: 2-line block ×3, first 2 shown]
	s_waitcnt vmcnt(3) lgkmcnt(0)
	v_fmac_f32_e32 v29, v5, v34
	s_waitcnt vmcnt(2)
	v_fmac_f32_e32 v29, v6, v35
	s_waitcnt vmcnt(1)
	;; [unrolled: 2-line block ×3, first 2 shown]
	v_fmac_f32_e32 v29, v8, v28
	ds_bpermute_b32 v28, v23, v29
	s_waitcnt lgkmcnt(0)
	v_add_f32_e32 v28, v29, v28
	ds_bpermute_b32 v29, v24, v28
	s_and_saveexec_b64 s[30:31], vcc
	s_cbranch_execz .LBB27_8
; %bb.10:                               ;   in Loop: Header=BB27_9 Depth=1
	v_add_u32_e32 v30, s15, v25
	v_cvt_f32_i32_e32 v30, v30
	s_waitcnt lgkmcnt(0)
	v_add_f32_e32 v28, v28, v29
	v_cmp_gt_i32_e64 s[4:5], s33, v25
	v_max_f32_e32 v29, v22, v22
	v_mul_f32_e32 v30, s26, v30
	v_cndmask_b32_e64 v30, 0, v30, s[2:3]
	v_fmac_f32_e32 v30, s27, v28
	v_cndmask_b32_e64 v28, 0, v30, s[4:5]
	ds_write_b32 v26, v28
	v_max_f32_e32 v28, v29, v30
	v_cndmask_b32_e64 v22, v22, v28, s[4:5]
	s_branch .LBB27_8
.LBB27_11:
	s_or_b64 exec, exec, s[28:29]
.LBB27_12:
	s_or_b64 exec, exec, s[6:7]
	v_xor_b32_e32 v1, 32, v13
	v_cmp_lt_i32_e32 vcc, v1, v14
	v_cndmask_b32_e32 v1, v13, v1, vcc
	v_lshlrev_b32_e32 v1, 2, v1
	ds_bpermute_b32 v2, v1, v22
	v_xor_b32_e32 v4, 16, v13
	v_max_f32_e32 v3, v22, v22
	v_cmp_lt_i32_e32 vcc, v4, v14
	v_xor_b32_e32 v5, 8, v13
	s_waitcnt lgkmcnt(0)
	v_max_f32_e32 v2, v2, v2
	v_max_f32_e32 v3, v3, v2
	v_cndmask_b32_e32 v2, v13, v4, vcc
	v_lshlrev_b32_e32 v2, 2, v2
	ds_bpermute_b32 v4, v2, v3
	v_cmp_lt_i32_e32 vcc, v5, v14
	v_xor_b32_e32 v6, 4, v13
	v_and_b32_e32 v19, 63, v0
	s_waitcnt lgkmcnt(0)
	v_max_f32_e32 v4, v4, v4
	v_max_f32_e32 v3, v3, v4
	v_cndmask_b32_e32 v4, v13, v5, vcc
	v_lshlrev_b32_e32 v5, 2, v4
	ds_bpermute_b32 v4, v5, v3
	v_cmp_lt_i32_e32 vcc, v6, v14
	s_waitcnt lgkmcnt(0)
	v_max_f32_e32 v4, v4, v4
	v_max_f32_e32 v4, v3, v4
	v_cndmask_b32_e32 v3, v13, v6, vcc
	v_lshlrev_b32_e32 v6, 2, v3
	ds_bpermute_b32 v7, v6, v4
	v_cmp_eq_u32_e32 vcc, 0, v19
	v_lshlrev_b32_e32 v3, 2, v18
	s_and_saveexec_b64 s[2:3], vcc
	s_cbranch_execz .LBB27_14
; %bb.13:
	s_waitcnt lgkmcnt(0)
	v_max_f32_e32 v7, v7, v7
	v_max_f32_e32 v4, v4, v4
	;; [unrolled: 1-line block ×3, first 2 shown]
	ds_write_b32 v3, v4 offset:128
.LBB27_14:
	s_or_b64 exec, exec, s[2:3]
	v_cmp_gt_u32_e64 s[2:3], 2, v19
	s_waitcnt lgkmcnt(0)
	v_mov_b32_e32 v7, 0xff7fffff
	v_lshlrev_b32_e32 v4, 2, v19
	s_barrier
	s_and_saveexec_b64 s[4:5], s[2:3]
; %bb.15:
	ds_read_b32 v7, v4 offset:128
; %bb.16:
	s_or_b64 exec, exec, s[4:5]
	v_xor_b32_e32 v8, 1, v13
	v_cmp_lt_i32_e64 s[4:5], v8, v14
	v_cndmask_b32_e64 v8, v13, v8, s[4:5]
	v_lshlrev_b32_e32 v20, 2, v8
	s_waitcnt lgkmcnt(0)
	ds_bpermute_b32 v8, v20, v7
	v_max_f32_e32 v7, v7, v7
	s_lshl_b32 s4, s12, 4
	s_min_i32 s15, s4, s33
	v_cmp_gt_i32_e64 s[4:5], s15, v0
	s_waitcnt lgkmcnt(0)
	v_max_f32_e32 v8, v8, v8
	v_max_f32_e32 v7, v7, v8
	v_lshlrev_b32_e32 v8, 2, v21
	ds_bpermute_b32 v8, v8, v7
	v_mov_b32_e32 v7, 0
	s_and_saveexec_b64 s[26:27], s[4:5]
	s_cbranch_execz .LBB27_20
; %bb.17:
	v_mov_b32_e32 v7, 0x90
	v_lshl_add_u32 v9, v0, 2, v7
	v_mov_b32_e32 v7, 0
	s_mov_b64 s[28:29], 0
	v_mov_b32_e32 v10, v0
.LBB27_18:                              ; =>This Inner Loop Header: Depth=1
	ds_read_b32 v21, v9
	v_add_u32_e32 v10, 0x80, v10
	v_cmp_le_i32_e64 s[6:7], s15, v10
	s_or_b64 s[28:29], s[6:7], s[28:29]
	s_waitcnt lgkmcnt(0)
	v_sub_f32_e32 v21, v21, v8
	v_mul_f32_e32 v21, 0x3fb8aa3b, v21
	v_exp_f32_e32 v21, v21
	ds_write_b32 v9, v21
	v_add_f32_e32 v7, v7, v21
	v_add_u32_e32 v9, 0x200, v9
	s_andn2_b64 exec, exec, s[28:29]
	s_cbranch_execnz .LBB27_18
; %bb.19:
	s_or_b64 exec, exec, s[28:29]
.LBB27_20:
	s_or_b64 exec, exec, s[26:27]
	ds_bpermute_b32 v1, v1, v7
	s_waitcnt lgkmcnt(0)
	v_add_f32_e32 v1, v7, v1
	ds_bpermute_b32 v2, v2, v1
	s_waitcnt lgkmcnt(0)
	v_add_f32_e32 v1, v1, v2
	ds_bpermute_b32 v2, v5, v1
	v_xor_b32_e32 v5, 2, v13
	v_cmp_lt_i32_e64 s[6:7], v5, v14
	v_cndmask_b32_e64 v5, v13, v5, s[6:7]
	v_lshlrev_b32_e32 v21, 2, v5
	s_waitcnt lgkmcnt(0)
	v_add_f32_e32 v1, v1, v2
	ds_bpermute_b32 v2, v6, v1
	s_waitcnt lgkmcnt(0)
	v_add_f32_e32 v1, v1, v2
	ds_bpermute_b32 v2, v21, v1
	s_waitcnt lgkmcnt(0)
	v_add_f32_e32 v1, v1, v2
	ds_bpermute_b32 v2, v20, v1
	s_waitcnt lgkmcnt(0)
	v_add_f32_e32 v1, v1, v2
	s_and_saveexec_b64 s[6:7], vcc
; %bb.21:
	ds_write_b32 v3, v1 offset:136
; %bb.22:
	s_or_b64 exec, exec, s[6:7]
	s_waitcnt lgkmcnt(0)
	s_barrier
	s_and_saveexec_b64 s[6:7], s[2:3]
; %bb.23:
	ds_read_b32 v1, v4 offset:136
; %bb.24:
	s_or_b64 exec, exec, s[6:7]
	s_waitcnt lgkmcnt(0)
	ds_bpermute_b32 v2, v20, v1
	v_lshlrev_b32_e32 v3, 2, v13
	s_waitcnt lgkmcnt(0)
	v_add_f32_e32 v1, v1, v2
	v_and_b32_e32 v2, 0xffffff00, v3
	ds_bpermute_b32 v1, v2, v1
	s_and_saveexec_b64 s[2:3], s[4:5]
	s_cbranch_execz .LBB27_27
; %bb.25:
	s_waitcnt lgkmcnt(0)
	v_add_f32_e32 v2, 0x358637bd, v1
	v_div_scale_f32 v1, s[4:5], v2, v2, 1.0
	v_div_scale_f32 v3, vcc, 1.0, v2, 1.0
	s_mov_b64 s[4:5], 0
	v_rcp_f32_e32 v4, v1
	v_fma_f32 v5, -v1, v4, 1.0
	v_fmac_f32_e32 v4, v5, v4
	v_mul_f32_e32 v5, v3, v4
	v_fma_f32 v6, -v1, v5, v3
	v_fmac_f32_e32 v5, v6, v4
	v_fma_f32 v1, -v1, v5, v3
	v_div_fmas_f32 v3, v1, v4, v5
	v_mov_b32_e32 v1, 0x90
	v_lshl_add_u32 v1, v0, 2, v1
	v_div_fixup_f32 v2, v3, v2, 1.0
	v_mov_b32_e32 v3, v0
.LBB27_26:                              ; =>This Inner Loop Header: Depth=1
	ds_read_b32 v4, v1
	v_add_u32_e32 v3, 0x80, v3
	v_cmp_le_i32_e32 vcc, s15, v3
	s_or_b64 s[4:5], vcc, s[4:5]
	s_waitcnt lgkmcnt(0)
	v_mul_f32_e32 v4, v2, v4
	ds_write_b32 v1, v4
	v_add_u32_e32 v1, 0x200, v1
	s_andn2_b64 exec, exec, s[4:5]
	s_cbranch_execnz .LBB27_26
.LBB27_27:
	s_or_b64 exec, exec, s[2:3]
	v_mov_b32_e32 v23, 0
	v_mov_b32_e32 v22, 0
	s_waitcnt lgkmcnt(0)
	s_barrier
	s_and_saveexec_b64 s[2:3], s[0:1]
	s_cbranch_execz .LBB27_35
; %bb.28:
	s_ashr_i32 s15, s14, 31
	s_lshl_b64 s[0:1], s[14:15], 2
	v_lshlrev_b32_e32 v2, 4, v0
	s_add_u32 s0, s24, s0
	v_and_b32_e32 v2, 0x3f0, v2
	v_and_b32_e32 v1, 12, v11
	s_addc_u32 s1, s25, s1
	v_add_co_u32_e32 v24, vcc, s0, v2
	v_lshlrev_b32_e32 v2, 4, v18
	s_add_i32 s14, s12, -1
	v_mov_b32_e32 v3, s1
	v_or3_b32 v26, v2, v1, 3
	v_lshlrev_b32_e32 v1, 4, v17
	s_lshl_b64 s[0:1], s[22:23], 2
	v_lshl_or_b32 v1, v18, 6, v1
	s_add_u32 s0, s20, s0
	v_addc_co_u32_e32 v25, vcc, 0, v3, vcc
	v_add_u32_e32 v27, 0x90, v1
	v_and_b32_e32 v1, 60, v12
	s_addc_u32 s1, s21, s1
	v_mov_b32_e32 v2, s1
	v_add_co_u32_e32 v13, vcc, s0, v1
	v_mov_b32_e32 v22, 0
	v_addc_co_u32_e32 v14, vcc, 0, v2, vcc
	s_mov_b64 s[4:5], 0
	v_mov_b32_e32 v23, 0
	s_branch .LBB27_30
.LBB27_29:                              ;   in Loop: Header=BB27_30 Depth=1
	s_or_b64 exec, exec, s[0:1]
	s_waitcnt vmcnt(1) lgkmcnt(0)
	v_mul_f32_e32 v5, v1, v5
	s_waitcnt vmcnt(0)
	v_mul_f32_e32 v1, v1, v9
	v_fmac_f32_e32 v5, v2, v6
	v_fmac_f32_e32 v1, v2, v10
	v_add_u32_e32 v18, 2, v18
	v_fmac_f32_e32 v5, v3, v7
	v_fmac_f32_e32 v1, v3, v11
	v_cmp_le_i32_e32 vcc, s12, v18
	v_fmac_f32_e32 v5, v4, v8
	v_fmac_f32_e32 v1, v4, v12
	s_or_b64 s[4:5], vcc, s[4:5]
	v_add_co_u32_e32 v13, vcc, 8, v13
	v_add_f32_e32 v23, v23, v5
	v_add_f32_e32 v22, v22, v1
	v_add_u32_e32 v26, 32, v26
	v_add_u32_e32 v27, 0x80, v27
	v_addc_co_u32_e32 v14, vcc, 0, v14, vcc
	s_andn2_b64 exec, exec, s[4:5]
	s_cbranch_execz .LBB27_34
.LBB27_30:                              ; =>This Inner Loop Header: Depth=1
	global_load_dword v1, v[13:14], off
	v_add_u32_e32 v28, -3, v26
	v_add_u32_e32 v30, -2, v26
	;; [unrolled: 1-line block ×3, first 2 shown]
	s_waitcnt vmcnt(0)
	v_mad_i64_i32 v[1:2], s[0:1], v1, s13, 0
	v_lshlrev_b64 v[1:2], 2, v[1:2]
	v_add_co_u32_e32 v9, vcc, v24, v1
	v_addc_co_u32_e32 v10, vcc, v25, v2, vcc
	global_load_dwordx4 v[5:8], v[9:10], off
	ds_read_b128 v[1:4], v27
	v_cmp_eq_u32_e32 vcc, s14, v18
	s_and_saveexec_b64 s[6:7], vcc
	s_cbranch_execz .LBB27_32
; %bb.31:                               ;   in Loop: Header=BB27_30 Depth=1
	v_cmp_gt_i32_e64 s[0:1], s33, v28
	s_waitcnt vmcnt(0)
	v_cndmask_b32_e64 v5, 0, v5, s[0:1]
	v_cmp_gt_i32_e64 s[0:1], s33, v30
	v_cndmask_b32_e64 v6, 0, v6, s[0:1]
	v_cmp_gt_i32_e64 s[0:1], s33, v29
	;; [unrolled: 2-line block ×3, first 2 shown]
	v_cndmask_b32_e64 v8, 0, v8, s[0:1]
.LBB27_32:                              ;   in Loop: Header=BB27_30 Depth=1
	s_or_b64 exec, exec, s[6:7]
	global_load_dwordx4 v[9:12], v[9:10], off offset:1024
	s_and_saveexec_b64 s[0:1], vcc
	s_cbranch_execz .LBB27_29
; %bb.33:                               ;   in Loop: Header=BB27_30 Depth=1
	v_cmp_gt_i32_e32 vcc, s33, v28
	s_waitcnt vmcnt(0)
	v_cndmask_b32_e32 v9, 0, v9, vcc
	v_cmp_gt_i32_e32 vcc, s33, v30
	v_cndmask_b32_e32 v10, 0, v10, vcc
	v_cmp_gt_i32_e32 vcc, s33, v29
	;; [unrolled: 2-line block ×3, first 2 shown]
	v_cndmask_b32_e32 v12, 0, v12, vcc
	s_branch .LBB27_29
.LBB27_34:
	s_or_b64 exec, exec, s[4:5]
.LBB27_35:
	s_or_b64 exec, exec, s[2:3]
	ds_bpermute_b32 v1, v21, v23
	ds_bpermute_b32 v2, v21, v22
	v_and_b32_e32 v3, 0x3c3, v0
	v_cmp_eq_u32_e32 vcc, 64, v3
	s_waitcnt lgkmcnt(0)
	v_add_f32_e32 v1, v23, v1
	v_add_f32_e32 v2, v22, v2
	ds_bpermute_b32 v4, v20, v1
	ds_bpermute_b32 v5, v20, v2
	s_waitcnt lgkmcnt(0)
	s_barrier
	v_add_f32_e32 v1, v1, v4
	v_add_f32_e32 v2, v2, v5
	s_and_saveexec_b64 s[0:1], vcc
; %bb.36:
	v_add_u32_e32 v4, 0x90, v19
	ds_write2_b32 v4, v1, v2 offset1:16
; %bb.37:
	s_or_b64 exec, exec, s[0:1]
	v_cmp_gt_u32_e32 vcc, 64, v0
	s_waitcnt lgkmcnt(0)
	s_barrier
	s_and_saveexec_b64 s[0:1], vcc
	s_cbranch_execz .LBB27_43
; %bb.38:
	v_mov_b32_e32 v0, 0x90
	v_cmp_eq_u32_e32 vcc, 0, v17
	v_lshl_add_u32 v0, v16, 2, v0
	s_and_saveexec_b64 s[2:3], vcc
	s_cbranch_execz .LBB27_40
; %bb.39:
	ds_read_b32 v4, v0
	s_waitcnt lgkmcnt(0)
	v_add_f32_e32 v1, v1, v4
.LBB27_40:
	s_or_b64 exec, exec, s[2:3]
	s_and_saveexec_b64 s[2:3], vcc
	s_cbranch_execz .LBB27_42
; %bb.41:
	ds_read_b32 v0, v0 offset:64
	s_waitcnt lgkmcnt(0)
	v_add_f32_e32 v2, v2, v0
.LBB27_42:
	s_or_b64 exec, exec, s[2:3]
.LBB27_43:
	s_or_b64 exec, exec, s[0:1]
	v_cmp_eq_u32_e32 vcc, 0, v3
	s_barrier
	s_and_saveexec_b64 s[0:1], vcc
	s_cbranch_execz .LBB27_45
; %bb.44:
	s_mul_i32 s0, s10, s11
	s_mul_i32 s0, s0, s9
	s_lshl_b32 s0, s0, 5
	s_ashr_i32 s1, s0, 31
	s_lshl_b64 s[0:1], s[0:1], 2
	s_add_u32 s2, s18, s0
	s_mul_i32 s0, s11, s16
	s_addc_u32 s3, s19, s1
	s_ashr_i32 s1, s0, 31
	s_lshl_b64 s[0:1], s[0:1], 2
	s_add_u32 s2, s2, s0
	s_addc_u32 s3, s3, s1
	s_lshl_b32 s0, s8, 5
	s_ashr_i32 s1, s0, 31
	s_lshl_b64 s[0:1], s[0:1], 2
	s_add_u32 s0, s2, s0
	s_addc_u32 s1, s3, s1
	global_store_dword v15, v1, s[0:1]
	global_store_dword v15, v2, s[0:1] offset:64
.LBB27_45:
	s_endpgm
	.section	.rodata,"a",@progbits
	.p2align	6, 0x0
	.amdhsa_kernel _ZN4vllm25paged_attention_v1_kernelIffLi32ELi16ELi128ELNS_18Fp8KVCacheDataTypeE0ELb0EEEvPT_PKS2_PKT0_S8_ifPKiSA_iPKfiiiSC_SC_iiiii
		.amdhsa_group_segment_fixed_size 144
		.amdhsa_private_segment_fixed_size 0
		.amdhsa_kernarg_size 384
		.amdhsa_user_sgpr_count 6
		.amdhsa_user_sgpr_private_segment_buffer 1
		.amdhsa_user_sgpr_dispatch_ptr 0
		.amdhsa_user_sgpr_queue_ptr 0
		.amdhsa_user_sgpr_kernarg_segment_ptr 1
		.amdhsa_user_sgpr_dispatch_id 0
		.amdhsa_user_sgpr_flat_scratch_init 0
		.amdhsa_user_sgpr_private_segment_size 0
		.amdhsa_uses_dynamic_stack 0
		.amdhsa_system_sgpr_private_segment_wavefront_offset 0
		.amdhsa_system_sgpr_workgroup_id_x 1
		.amdhsa_system_sgpr_workgroup_id_y 1
		.amdhsa_system_sgpr_workgroup_id_z 1
		.amdhsa_system_sgpr_workgroup_info 0
		.amdhsa_system_vgpr_workitem_id 0
		.amdhsa_next_free_vgpr 37
		.amdhsa_next_free_sgpr 34
		.amdhsa_reserve_vcc 1
		.amdhsa_reserve_flat_scratch 0
		.amdhsa_float_round_mode_32 0
		.amdhsa_float_round_mode_16_64 0
		.amdhsa_float_denorm_mode_32 3
		.amdhsa_float_denorm_mode_16_64 3
		.amdhsa_dx10_clamp 1
		.amdhsa_ieee_mode 1
		.amdhsa_fp16_overflow 0
		.amdhsa_exception_fp_ieee_invalid_op 0
		.amdhsa_exception_fp_denorm_src 0
		.amdhsa_exception_fp_ieee_div_zero 0
		.amdhsa_exception_fp_ieee_overflow 0
		.amdhsa_exception_fp_ieee_underflow 0
		.amdhsa_exception_fp_ieee_inexact 0
		.amdhsa_exception_int_div_zero 0
	.end_amdhsa_kernel
	.section	.text._ZN4vllm25paged_attention_v1_kernelIffLi32ELi16ELi128ELNS_18Fp8KVCacheDataTypeE0ELb0EEEvPT_PKS2_PKT0_S8_ifPKiSA_iPKfiiiSC_SC_iiiii,"axG",@progbits,_ZN4vllm25paged_attention_v1_kernelIffLi32ELi16ELi128ELNS_18Fp8KVCacheDataTypeE0ELb0EEEvPT_PKS2_PKT0_S8_ifPKiSA_iPKfiiiSC_SC_iiiii,comdat
.Lfunc_end27:
	.size	_ZN4vllm25paged_attention_v1_kernelIffLi32ELi16ELi128ELNS_18Fp8KVCacheDataTypeE0ELb0EEEvPT_PKS2_PKT0_S8_ifPKiSA_iPKfiiiSC_SC_iiiii, .Lfunc_end27-_ZN4vllm25paged_attention_v1_kernelIffLi32ELi16ELi128ELNS_18Fp8KVCacheDataTypeE0ELb0EEEvPT_PKS2_PKT0_S8_ifPKiSA_iPKfiiiSC_SC_iiiii
                                        ; -- End function
	.set _ZN4vllm25paged_attention_v1_kernelIffLi32ELi16ELi128ELNS_18Fp8KVCacheDataTypeE0ELb0EEEvPT_PKS2_PKT0_S8_ifPKiSA_iPKfiiiSC_SC_iiiii.num_vgpr, 37
	.set _ZN4vllm25paged_attention_v1_kernelIffLi32ELi16ELi128ELNS_18Fp8KVCacheDataTypeE0ELb0EEEvPT_PKS2_PKT0_S8_ifPKiSA_iPKfiiiSC_SC_iiiii.num_agpr, 0
	.set _ZN4vllm25paged_attention_v1_kernelIffLi32ELi16ELi128ELNS_18Fp8KVCacheDataTypeE0ELb0EEEvPT_PKS2_PKT0_S8_ifPKiSA_iPKfiiiSC_SC_iiiii.numbered_sgpr, 34
	.set _ZN4vllm25paged_attention_v1_kernelIffLi32ELi16ELi128ELNS_18Fp8KVCacheDataTypeE0ELb0EEEvPT_PKS2_PKT0_S8_ifPKiSA_iPKfiiiSC_SC_iiiii.num_named_barrier, 0
	.set _ZN4vllm25paged_attention_v1_kernelIffLi32ELi16ELi128ELNS_18Fp8KVCacheDataTypeE0ELb0EEEvPT_PKS2_PKT0_S8_ifPKiSA_iPKfiiiSC_SC_iiiii.private_seg_size, 0
	.set _ZN4vllm25paged_attention_v1_kernelIffLi32ELi16ELi128ELNS_18Fp8KVCacheDataTypeE0ELb0EEEvPT_PKS2_PKT0_S8_ifPKiSA_iPKfiiiSC_SC_iiiii.uses_vcc, 1
	.set _ZN4vllm25paged_attention_v1_kernelIffLi32ELi16ELi128ELNS_18Fp8KVCacheDataTypeE0ELb0EEEvPT_PKS2_PKT0_S8_ifPKiSA_iPKfiiiSC_SC_iiiii.uses_flat_scratch, 0
	.set _ZN4vllm25paged_attention_v1_kernelIffLi32ELi16ELi128ELNS_18Fp8KVCacheDataTypeE0ELb0EEEvPT_PKS2_PKT0_S8_ifPKiSA_iPKfiiiSC_SC_iiiii.has_dyn_sized_stack, 0
	.set _ZN4vllm25paged_attention_v1_kernelIffLi32ELi16ELi128ELNS_18Fp8KVCacheDataTypeE0ELb0EEEvPT_PKS2_PKT0_S8_ifPKiSA_iPKfiiiSC_SC_iiiii.has_recursion, 0
	.set _ZN4vllm25paged_attention_v1_kernelIffLi32ELi16ELi128ELNS_18Fp8KVCacheDataTypeE0ELb0EEEvPT_PKS2_PKT0_S8_ifPKiSA_iPKfiiiSC_SC_iiiii.has_indirect_call, 0
	.section	.AMDGPU.csdata,"",@progbits
; Kernel info:
; codeLenInByte = 2744
; TotalNumSgprs: 38
; NumVgprs: 37
; ScratchSize: 0
; MemoryBound: 0
; FloatMode: 240
; IeeeMode: 1
; LDSByteSize: 144 bytes/workgroup (compile time only)
; SGPRBlocks: 4
; VGPRBlocks: 9
; NumSGPRsForWavesPerEU: 38
; NumVGPRsForWavesPerEU: 37
; Occupancy: 6
; WaveLimiterHint : 1
; COMPUTE_PGM_RSRC2:SCRATCH_EN: 0
; COMPUTE_PGM_RSRC2:USER_SGPR: 6
; COMPUTE_PGM_RSRC2:TRAP_HANDLER: 0
; COMPUTE_PGM_RSRC2:TGID_X_EN: 1
; COMPUTE_PGM_RSRC2:TGID_Y_EN: 1
; COMPUTE_PGM_RSRC2:TGID_Z_EN: 1
; COMPUTE_PGM_RSRC2:TIDIG_COMP_CNT: 0
	.section	.text._ZN4vllm25paged_attention_v1_kernelIffLi64ELi16ELi128ELNS_18Fp8KVCacheDataTypeE0ELb0EEEvPT_PKS2_PKT0_S8_ifPKiSA_iPKfiiiSC_SC_iiiii,"axG",@progbits,_ZN4vllm25paged_attention_v1_kernelIffLi64ELi16ELi128ELNS_18Fp8KVCacheDataTypeE0ELb0EEEvPT_PKS2_PKT0_S8_ifPKiSA_iPKfiiiSC_SC_iiiii,comdat
	.protected	_ZN4vllm25paged_attention_v1_kernelIffLi64ELi16ELi128ELNS_18Fp8KVCacheDataTypeE0ELb0EEEvPT_PKS2_PKT0_S8_ifPKiSA_iPKfiiiSC_SC_iiiii ; -- Begin function _ZN4vllm25paged_attention_v1_kernelIffLi64ELi16ELi128ELNS_18Fp8KVCacheDataTypeE0ELb0EEEvPT_PKS2_PKT0_S8_ifPKiSA_iPKfiiiSC_SC_iiiii
	.globl	_ZN4vllm25paged_attention_v1_kernelIffLi64ELi16ELi128ELNS_18Fp8KVCacheDataTypeE0ELb0EEEvPT_PKS2_PKT0_S8_ifPKiSA_iPKfiiiSC_SC_iiiii
	.p2align	8
	.type	_ZN4vllm25paged_attention_v1_kernelIffLi64ELi16ELi128ELNS_18Fp8KVCacheDataTypeE0ELb0EEEvPT_PKS2_PKT0_S8_ifPKiSA_iPKfiiiSC_SC_iiiii,@function
_ZN4vllm25paged_attention_v1_kernelIffLi64ELi16ELi128ELNS_18Fp8KVCacheDataTypeE0ELb0EEEvPT_PKS2_PKT0_S8_ifPKiSA_iPKfiiiSC_SC_iiiii: ; @_ZN4vllm25paged_attention_v1_kernelIffLi64ELi16ELi128ELNS_18Fp8KVCacheDataTypeE0ELb0EEEvPT_PKS2_PKT0_S8_ifPKiSA_iPKfiiiSC_SC_iiiii
; %bb.0:
	s_load_dword s9, s[4:5], 0x80
	s_load_dwordx2 s[0:1], s[4:5], 0x30
	s_load_dwordx2 s[10:11], s[4:5], 0x20
	s_mov_b32 s16, s7
	s_ashr_i32 s17, s7, 31
	s_lshl_b64 s[2:3], s[16:17], 2
	s_waitcnt lgkmcnt(0)
	s_add_u32 s0, s0, s2
	s_addc_u32 s1, s1, s3
	s_abs_i32 s2, s10
	v_cvt_f32_u32_e32 v1, s2
	s_xor_b32 s3, s9, s10
	s_sub_i32 s10, 0, s2
	s_abs_i32 s7, s9
	v_rcp_iflag_f32_e32 v1, v1
	s_ashr_i32 s3, s3, 31
	v_mul_f32_e32 v1, 0x4f7ffffe, v1
	v_cvt_u32_f32_e32 v1, v1
	v_readfirstlane_b32 s12, v1
	s_mul_i32 s10, s10, s12
	s_mul_hi_u32 s10, s12, s10
	s_add_i32 s12, s12, s10
	s_mul_hi_u32 s10, s7, s12
	s_mul_i32 s12, s10, s2
	s_sub_i32 s7, s7, s12
	s_add_i32 s12, s10, 1
	s_sub_i32 s13, s7, s2
	s_cmp_ge_u32 s7, s2
	s_cselect_b32 s10, s12, s10
	s_cselect_b32 s7, s13, s7
	s_add_i32 s12, s10, 1
	s_cmp_ge_u32 s7, s2
	s_cselect_b32 s2, s12, s10
	s_xor_b32 s2, s2, s3
	s_sub_i32 s12, s2, s3
	s_abs_i32 s20, s12
	v_cvt_f32_u32_e32 v1, s20
	s_load_dwordx2 s[2:3], s[4:5], 0x40
	s_sub_i32 s7, 0, s20
	s_abs_i32 s21, s6
	v_rcp_iflag_f32_e32 v1, v1
	s_mov_b32 s10, 0
	v_mul_f32_e32 v1, 0x4f7ffffe, v1
	v_cvt_u32_f32_e32 v1, v1
	v_readfirstlane_b32 s13, v1
	s_mul_i32 s7, s7, s13
	s_mul_hi_u32 s7, s13, s7
	s_add_i32 s13, s13, s7
	s_waitcnt lgkmcnt(0)
	s_cmp_eq_u64 s[2:3], 0
	s_mul_hi_u32 s24, s21, s13
	s_cbranch_scc1 .LBB28_2
; %bb.1:
	s_ashr_i32 s7, s6, 31
	s_lshl_b64 s[14:15], s[6:7], 2
	s_add_u32 s2, s2, s14
	s_addc_u32 s3, s3, s15
	s_load_dword s10, s[2:3], 0x0
.LBB28_2:
	s_load_dword s17, s[0:1], 0x0
	s_ashr_i32 s25, s12, 31
	s_load_dwordx4 s[12:15], s[4:5], 0x48
	v_lshrrev_b32_e32 v24, 2, v0
	s_ashr_i32 s7, s6, 31
	v_and_b32_e32 v25, 3, v0
	s_lshl_b32 s18, s6, 6
	v_cmp_gt_u32_e64 s[0:1], 64, v0
	v_lshlrev_b32_e32 v19, 2, v0
	v_lshlrev_b32_e32 v23, 2, v24
	s_and_saveexec_b64 s[2:3], s[0:1]
	s_cbranch_execz .LBB28_4
; %bb.3:
	s_load_dwordx2 s[22:23], s[4:5], 0x8
	s_waitcnt lgkmcnt(0)
	s_mul_i32 s26, s12, s16
	s_ashr_i32 s27, s26, 31
	s_lshl_b64 s[26:27], s[26:27], 2
	v_lshl_add_u32 v2, v25, 6, v23
	s_add_u32 s6, s22, s26
	s_addc_u32 s12, s23, s27
	s_ashr_i32 s19, s18, 31
	s_lshl_b64 s[22:23], s[18:19], 2
	s_add_u32 s22, s6, s22
	s_addc_u32 s23, s12, s23
	global_load_dword v1, v19, s[22:23]
	s_waitcnt vmcnt(0)
	ds_write_b32 v2, v1
.LBB28_4:
	s_or_b64 exec, exec, s[2:3]
	s_waitcnt lgkmcnt(0)
	s_add_i32 s3, s17, 15
	s_ashr_i32 s6, s3, 31
	s_lshr_b32 s6, s6, 28
	s_add_i32 s3, s3, s6
	s_mul_i32 s6, s24, s20
	s_sub_i32 s6, s21, s6
	s_ashr_i32 s19, s3, 4
	s_xor_b32 s3, s7, s25
	s_add_i32 s7, s24, 1
	s_sub_i32 s12, s6, s20
	s_load_dwordx2 s[22:23], s[4:5], 0x28
	s_load_dword s2, s[4:5], 0x38
	s_cmp_ge_u32 s6, s20
	s_cselect_b32 s7, s7, s24
	s_cselect_b32 s6, s12, s6
	s_add_i32 s12, s7, 1
	s_cmp_ge_u32 s6, s20
	s_cselect_b32 s6, s12, s7
	v_lshrrev_b32_e32 v26, 6, v0
	s_xor_b32 s6, s6, s3
	s_waitcnt lgkmcnt(0)
	s_mul_i32 s24, s2, s16
	s_sub_i32 s15, s6, s3
	s_ashr_i32 s25, s24, 31
	v_cmp_gt_i32_e64 s[2:3], s19, v26
	v_cmp_le_i32_e32 vcc, s19, v26
	v_mbcnt_lo_u32_b32 v1, -1, 0
	s_barrier
                                        ; implicit-def: $vgpr21
                                        ; implicit-def: $vgpr29
                                        ; implicit-def: $vgpr22
	s_and_saveexec_b64 s[6:7], vcc
	s_xor_b64 s[6:7], exec, s[6:7]
; %bb.5:
	v_mbcnt_hi_u32_b32 v21, -1, v1
	v_and_b32_e32 v29, 64, v21
	v_add_u32_e32 v22, 64, v29
                                        ; implicit-def: $vgpr1
; %bb.6:
	s_or_saveexec_b64 s[28:29], s[6:7]
	s_load_dwordx2 s[20:21], s[4:5], 0x0
	s_load_dwordx2 s[26:27], s[4:5], 0x18
	s_load_dword s12, s[4:5], 0x88
	v_mov_b32_e32 v31, 0xff7fffff
	s_mul_i32 s14, s15, s14
	v_lshrrev_b32_e32 v20, 4, v0
	s_xor_b64 exec, exec, s[28:29]
	s_cbranch_execz .LBB28_12
; %bb.7:
	s_load_dwordx2 s[4:5], s[4:5], 0x10
	s_ashr_i32 s15, s14, 31
	s_lshl_b64 s[6:7], s[14:15], 2
	v_bfe_u32 v2, v0, 2, 4
	v_lshlrev_b32_e32 v4, 4, v2
	s_waitcnt lgkmcnt(0)
	s_add_u32 s4, s4, s6
	s_addc_u32 s5, s5, s7
	v_mov_b32_e32 v5, s5
	v_add_co_u32_e32 v4, vcc, s4, v4
	v_addc_co_u32_e32 v5, vcc, 0, v5, vcc
	v_lshlrev_b32_e32 v6, 2, v25
	v_mbcnt_hi_u32_b32 v21, -1, v1
	v_add_co_u32_e32 v27, vcc, v4, v6
	v_and_b32_e32 v29, 64, v21
	v_addc_co_u32_e32 v28, vcc, 0, v5, vcc
	v_add_u32_e32 v22, 64, v29
	v_xor_b32_e32 v1, 2, v21
	v_cmp_lt_i32_e32 vcc, v1, v22
	v_cndmask_b32_e32 v1, v21, v1, vcc
	v_lshlrev_b32_e32 v30, 2, v1
	v_xor_b32_e32 v1, 1, v21
	v_cmp_lt_i32_e32 vcc, v1, v22
	v_lshlrev_b32_e32 v3, 2, v2
	v_cndmask_b32_e32 v1, v21, v1, vcc
	v_lshlrev_b32_e32 v13, 6, v25
	v_lshlrev_b32_e32 v32, 2, v1
	v_lshl_or_b32 v1, v26, 6, v3
	v_lshl_or_b32 v33, v26, 4, v2
	v_add_u32_e32 v34, 0x110, v1
	ds_read_b128 v[1:4], v13
	ds_read_b128 v[5:8], v13 offset:16
	ds_read_b128 v[9:12], v13 offset:32
	;; [unrolled: 1-line block ×3, first 2 shown]
	s_sub_i32 s15, 1, s17
	s_lshl_b64 s[6:7], s[24:25], 2
	s_add_u32 s6, s22, s6
	v_and_b32_e32 v17, 60, v20
	s_addc_u32 s7, s23, s7
	v_mov_b32_e32 v18, s7
	v_add_co_u32_e64 v17, s[6:7], s6, v17
	s_mov_b32 s33, s13
	v_cmp_eq_u32_e32 vcc, 0, v25
	v_cmp_neq_f32_e64 s[4:5], s10, 0
	v_addc_co_u32_e64 v18, s[6:7], 0, v18, s[6:7]
	v_mov_b32_e32 v31, 0xff7fffff
	s_mov_b64 s[30:31], 0
	v_mov_b32_e32 v35, v26
	s_branch .LBB28_9
.LBB28_8:                               ;   in Loop: Header=BB28_9 Depth=1
	s_or_b64 exec, exec, s[34:35]
	v_add_u32_e32 v35, 2, v35
	v_cmp_le_i32_e64 s[6:7], s19, v35
	s_or_b64 s[30:31], s[6:7], s[30:31]
	v_add_co_u32_e64 v17, s[6:7], 8, v17
	v_add_u32_e32 v33, 32, v33
	v_add_u32_e32 v34, 0x80, v34
	v_addc_co_u32_e64 v18, s[6:7], 0, v18, s[6:7]
	s_andn2_b64 exec, exec, s[30:31]
	s_cbranch_execz .LBB28_11
.LBB28_9:                               ; =>This Inner Loop Header: Depth=1
	global_load_dword v36, v[17:18], off
	s_waitcnt vmcnt(0) lgkmcnt(0)
	v_mad_i64_i32 v[36:37], s[6:7], v36, s33, 0
	v_lshlrev_b64 v[36:37], 2, v[36:37]
	v_add_co_u32_e64 v36, s[6:7], v27, v36
	v_addc_co_u32_e64 v37, s[6:7], v28, v37, s[6:7]
	global_load_dword v38, v[36:37], off offset:256
	global_load_dword v39, v[36:37], off offset:512
	;; [unrolled: 1-line block ×7, first 2 shown]
	global_load_dword v45, v[36:37], off
	global_load_dword v46, v[36:37], off offset:2048
	global_load_dword v47, v[36:37], off offset:2304
	;; [unrolled: 1-line block ×7, first 2 shown]
	s_nop 0
	global_load_dword v36, v[36:37], off offset:3840
	s_waitcnt vmcnt(15) lgkmcnt(3)
	v_mul_f32_e32 v37, v2, v38
	s_waitcnt vmcnt(8)
	v_fmac_f32_e32 v37, v1, v45
	v_fmac_f32_e32 v37, v3, v39
	;; [unrolled: 1-line block ×3, first 2 shown]
	s_waitcnt lgkmcnt(2)
	v_fmac_f32_e32 v37, v5, v41
	v_fmac_f32_e32 v37, v6, v42
	;; [unrolled: 1-line block ×4, first 2 shown]
	s_waitcnt vmcnt(7) lgkmcnt(1)
	v_fmac_f32_e32 v37, v9, v46
	s_waitcnt vmcnt(6)
	v_fmac_f32_e32 v37, v10, v47
	s_waitcnt vmcnt(5)
	;; [unrolled: 2-line block ×3, first 2 shown]
	v_fmac_f32_e32 v37, v12, v49
	s_waitcnt vmcnt(3) lgkmcnt(0)
	v_fmac_f32_e32 v37, v13, v50
	s_waitcnt vmcnt(2)
	v_fmac_f32_e32 v37, v14, v51
	s_waitcnt vmcnt(1)
	;; [unrolled: 2-line block ×3, first 2 shown]
	v_fmac_f32_e32 v37, v16, v36
	ds_bpermute_b32 v36, v30, v37
	s_waitcnt lgkmcnt(0)
	v_add_f32_e32 v36, v37, v36
	ds_bpermute_b32 v37, v32, v36
	s_and_saveexec_b64 s[34:35], vcc
	s_cbranch_execz .LBB28_8
; %bb.10:                               ;   in Loop: Header=BB28_9 Depth=1
	v_add_u32_e32 v38, s15, v33
	v_cvt_f32_i32_e32 v38, v38
	s_waitcnt lgkmcnt(0)
	v_add_f32_e32 v36, v36, v37
	v_cmp_gt_i32_e64 s[6:7], s17, v33
	v_max_f32_e32 v37, v31, v31
	v_mul_f32_e32 v38, s10, v38
	v_cndmask_b32_e64 v38, 0, v38, s[4:5]
	v_fmac_f32_e32 v38, s11, v36
	v_cndmask_b32_e64 v36, 0, v38, s[6:7]
	ds_write_b32 v34, v36
	v_max_f32_e32 v36, v37, v38
	v_cndmask_b32_e64 v31, v31, v36, s[6:7]
	s_branch .LBB28_8
.LBB28_11:
	s_or_b64 exec, exec, s[30:31]
.LBB28_12:
	s_or_b64 exec, exec, s[28:29]
	v_xor_b32_e32 v1, 32, v21
	v_cmp_lt_i32_e32 vcc, v1, v22
	v_cndmask_b32_e32 v1, v21, v1, vcc
	v_lshlrev_b32_e32 v1, 2, v1
	ds_bpermute_b32 v2, v1, v31
	v_xor_b32_e32 v4, 16, v21
	v_max_f32_e32 v3, v31, v31
	v_cmp_lt_i32_e32 vcc, v4, v22
	v_xor_b32_e32 v5, 8, v21
	s_waitcnt lgkmcnt(0)
	v_max_f32_e32 v2, v2, v2
	v_max_f32_e32 v3, v3, v2
	v_cndmask_b32_e32 v2, v21, v4, vcc
	v_lshlrev_b32_e32 v2, 2, v2
	ds_bpermute_b32 v4, v2, v3
	v_cmp_lt_i32_e32 vcc, v5, v22
	v_xor_b32_e32 v6, 4, v21
	v_and_b32_e32 v27, 63, v0
	s_waitcnt lgkmcnt(0)
	v_max_f32_e32 v4, v4, v4
	v_max_f32_e32 v3, v3, v4
	v_cndmask_b32_e32 v4, v21, v5, vcc
	v_lshlrev_b32_e32 v5, 2, v4
	ds_bpermute_b32 v4, v5, v3
	v_cmp_lt_i32_e32 vcc, v6, v22
	s_waitcnt lgkmcnt(0)
	v_max_f32_e32 v4, v4, v4
	v_max_f32_e32 v4, v3, v4
	v_cndmask_b32_e32 v3, v21, v6, vcc
	v_lshlrev_b32_e32 v6, 2, v3
	ds_bpermute_b32 v7, v6, v4
	v_cmp_eq_u32_e32 vcc, 0, v27
	v_lshlrev_b32_e32 v3, 2, v26
	s_and_saveexec_b64 s[4:5], vcc
	s_cbranch_execz .LBB28_14
; %bb.13:
	s_waitcnt lgkmcnt(0)
	v_max_f32_e32 v7, v7, v7
	v_max_f32_e32 v4, v4, v4
	;; [unrolled: 1-line block ×3, first 2 shown]
	ds_write_b32 v3, v4 offset:256
.LBB28_14:
	s_or_b64 exec, exec, s[4:5]
	v_cmp_gt_u32_e64 s[4:5], 2, v27
	s_waitcnt lgkmcnt(0)
	v_mov_b32_e32 v7, 0xff7fffff
	v_lshlrev_b32_e32 v4, 2, v27
	s_barrier
	s_and_saveexec_b64 s[6:7], s[4:5]
; %bb.15:
	ds_read_b32 v7, v4 offset:256
; %bb.16:
	s_or_b64 exec, exec, s[6:7]
	v_xor_b32_e32 v8, 1, v21
	v_cmp_lt_i32_e64 s[6:7], v8, v22
	v_cndmask_b32_e64 v8, v21, v8, s[6:7]
	v_lshlrev_b32_e32 v28, 2, v8
	s_waitcnt lgkmcnt(0)
	ds_bpermute_b32 v8, v28, v7
	v_max_f32_e32 v7, v7, v7
	s_lshl_b32 s6, s19, 4
	s_min_i32 s15, s6, s17
	v_cmp_gt_i32_e64 s[6:7], s15, v0
	s_waitcnt lgkmcnt(0)
	v_max_f32_e32 v8, v8, v8
	v_max_f32_e32 v7, v7, v8
	v_lshlrev_b32_e32 v8, 2, v29
	ds_bpermute_b32 v8, v8, v7
	v_mov_b32_e32 v7, 0
	s_and_saveexec_b64 s[28:29], s[6:7]
	s_cbranch_execz .LBB28_20
; %bb.17:
	v_mov_b32_e32 v7, 0x110
	v_lshl_add_u32 v9, v0, 2, v7
	v_mov_b32_e32 v7, 0
	s_mov_b64 s[30:31], 0
	v_mov_b32_e32 v10, v0
.LBB28_18:                              ; =>This Inner Loop Header: Depth=1
	ds_read_b32 v11, v9
	v_add_u32_e32 v10, 0x80, v10
	v_cmp_le_i32_e64 s[10:11], s15, v10
	s_or_b64 s[30:31], s[10:11], s[30:31]
	s_waitcnt lgkmcnt(0)
	v_sub_f32_e32 v11, v11, v8
	v_mul_f32_e32 v11, 0x3fb8aa3b, v11
	v_exp_f32_e32 v11, v11
	ds_write_b32 v9, v11
	v_add_f32_e32 v7, v7, v11
	v_add_u32_e32 v9, 0x200, v9
	s_andn2_b64 exec, exec, s[30:31]
	s_cbranch_execnz .LBB28_18
; %bb.19:
	s_or_b64 exec, exec, s[30:31]
.LBB28_20:
	s_or_b64 exec, exec, s[28:29]
	ds_bpermute_b32 v1, v1, v7
	s_waitcnt lgkmcnt(0)
	v_add_f32_e32 v1, v7, v1
	ds_bpermute_b32 v2, v2, v1
	s_waitcnt lgkmcnt(0)
	v_add_f32_e32 v1, v1, v2
	ds_bpermute_b32 v2, v5, v1
	v_xor_b32_e32 v5, 2, v21
	v_cmp_lt_i32_e64 s[10:11], v5, v22
	v_cndmask_b32_e64 v5, v21, v5, s[10:11]
	v_lshlrev_b32_e32 v29, 2, v5
	s_waitcnt lgkmcnt(0)
	v_add_f32_e32 v1, v1, v2
	ds_bpermute_b32 v2, v6, v1
	s_waitcnt lgkmcnt(0)
	v_add_f32_e32 v1, v1, v2
	ds_bpermute_b32 v2, v29, v1
	;; [unrolled: 3-line block ×3, first 2 shown]
	s_waitcnt lgkmcnt(0)
	v_add_f32_e32 v1, v1, v2
	s_and_saveexec_b64 s[10:11], vcc
; %bb.21:
	ds_write_b32 v3, v1 offset:264
; %bb.22:
	s_or_b64 exec, exec, s[10:11]
	s_waitcnt lgkmcnt(0)
	s_barrier
	s_and_saveexec_b64 s[10:11], s[4:5]
; %bb.23:
	ds_read_b32 v1, v4 offset:264
; %bb.24:
	s_or_b64 exec, exec, s[10:11]
	s_waitcnt lgkmcnt(0)
	ds_bpermute_b32 v2, v28, v1
	v_lshlrev_b32_e32 v3, 2, v21
	s_waitcnt lgkmcnt(0)
	v_add_f32_e32 v1, v1, v2
	v_and_b32_e32 v2, 0xffffff00, v3
	ds_bpermute_b32 v1, v2, v1
	s_and_saveexec_b64 s[4:5], s[6:7]
	s_cbranch_execz .LBB28_27
; %bb.25:
	s_waitcnt lgkmcnt(0)
	v_add_f32_e32 v2, 0x358637bd, v1
	v_div_scale_f32 v1, s[6:7], v2, v2, 1.0
	v_div_scale_f32 v3, vcc, 1.0, v2, 1.0
	s_mov_b64 s[6:7], 0
	v_rcp_f32_e32 v4, v1
	v_fma_f32 v5, -v1, v4, 1.0
	v_fmac_f32_e32 v4, v5, v4
	v_mul_f32_e32 v5, v3, v4
	v_fma_f32 v6, -v1, v5, v3
	v_fmac_f32_e32 v5, v6, v4
	v_fma_f32 v1, -v1, v5, v3
	v_div_fmas_f32 v3, v1, v4, v5
	v_mov_b32_e32 v1, 0x110
	v_lshl_add_u32 v1, v0, 2, v1
	v_div_fixup_f32 v2, v3, v2, 1.0
	v_mov_b32_e32 v3, v0
.LBB28_26:                              ; =>This Inner Loop Header: Depth=1
	ds_read_b32 v4, v1
	v_add_u32_e32 v3, 0x80, v3
	v_cmp_le_i32_e32 vcc, s15, v3
	s_or_b64 s[6:7], vcc, s[6:7]
	s_waitcnt lgkmcnt(0)
	v_mul_f32_e32 v4, v2, v4
	ds_write_b32 v1, v4
	v_add_u32_e32 v1, 0x200, v1
	s_andn2_b64 exec, exec, s[6:7]
	s_cbranch_execnz .LBB28_26
.LBB28_27:
	s_or_b64 exec, exec, s[4:5]
	v_mov_b32_e32 v32, 0
	v_mov_b32_e32 v33, 0
	;; [unrolled: 1-line block ×4, first 2 shown]
	s_waitcnt lgkmcnt(0)
	s_barrier
	s_and_saveexec_b64 s[4:5], s[2:3]
	s_cbranch_execz .LBB28_39
; %bb.28:
	s_ashr_i32 s15, s14, 31
	s_lshl_b64 s[2:3], s[14:15], 2
	v_lshlrev_b32_e32 v2, 4, v0
	s_add_u32 s2, s26, s2
	v_and_b32_e32 v2, 0x3f0, v2
	v_and_b32_e32 v1, 12, v19
	s_addc_u32 s3, s27, s3
	v_add_co_u32_e32 v34, vcc, s2, v2
	v_lshlrev_b32_e32 v2, 4, v26
	s_add_i32 s14, s19, -1
	v_mov_b32_e32 v3, s3
	v_or3_b32 v36, v2, v1, 3
	v_lshlrev_b32_e32 v1, 4, v25
	s_lshl_b64 s[2:3], s[24:25], 2
	v_lshl_or_b32 v1, v26, 6, v1
	s_add_u32 s2, s22, s2
	v_addc_co_u32_e32 v35, vcc, 0, v3, vcc
	v_add_u32_e32 v37, 0x110, v1
	v_and_b32_e32 v1, 60, v20
	s_addc_u32 s3, s23, s3
	v_mov_b32_e32 v2, s3
	v_add_co_u32_e32 v21, vcc, s2, v1
	v_mov_b32_e32 v30, 0
	v_addc_co_u32_e32 v22, vcc, 0, v2, vcc
	s_mov_b64 s[6:7], 0
	v_mov_b32_e32 v31, 0
	v_mov_b32_e32 v33, 0
	;; [unrolled: 1-line block ×3, first 2 shown]
	s_branch .LBB28_30
.LBB28_29:                              ;   in Loop: Header=BB28_30 Depth=1
	s_or_b64 exec, exec, s[2:3]
	s_waitcnt vmcnt(1) lgkmcnt(0)
	v_mul_f32_e32 v13, v1, v13
	v_mul_f32_e32 v9, v1, v9
	;; [unrolled: 1-line block ×3, first 2 shown]
	s_waitcnt vmcnt(0)
	v_mul_f32_e32 v1, v1, v17
	v_fmac_f32_e32 v13, v2, v14
	v_fmac_f32_e32 v9, v2, v10
	v_fmac_f32_e32 v5, v2, v6
	v_fmac_f32_e32 v1, v2, v18
	v_add_u32_e32 v26, 2, v26
	v_fmac_f32_e32 v13, v3, v15
	v_fmac_f32_e32 v9, v3, v11
	;; [unrolled: 1-line block ×4, first 2 shown]
	v_cmp_le_i32_e32 vcc, s19, v26
	v_fmac_f32_e32 v13, v4, v16
	v_fmac_f32_e32 v9, v4, v12
	;; [unrolled: 1-line block ×4, first 2 shown]
	s_or_b64 s[6:7], vcc, s[6:7]
	v_add_co_u32_e32 v21, vcc, 8, v21
	v_add_f32_e32 v31, v31, v13
	v_add_f32_e32 v33, v33, v9
	;; [unrolled: 1-line block ×4, first 2 shown]
	v_add_u32_e32 v36, 32, v36
	v_add_u32_e32 v37, 0x80, v37
	v_addc_co_u32_e32 v22, vcc, 0, v22, vcc
	s_andn2_b64 exec, exec, s[6:7]
	s_cbranch_execz .LBB28_38
.LBB28_30:                              ; =>This Inner Loop Header: Depth=1
	global_load_dword v1, v[21:22], off
	v_add_u32_e32 v38, -3, v36
	v_add_u32_e32 v40, -2, v36
	;; [unrolled: 1-line block ×3, first 2 shown]
	s_waitcnt vmcnt(0)
	v_mad_i64_i32 v[1:2], s[2:3], v1, s13, 0
	v_lshlrev_b64 v[1:2], 2, v[1:2]
	v_add_co_u32_e32 v17, vcc, v34, v1
	v_addc_co_u32_e32 v18, vcc, v35, v2, vcc
	global_load_dwordx4 v[5:8], v[17:18], off
	ds_read_b128 v[1:4], v37
	v_cmp_eq_u32_e32 vcc, s14, v26
	s_and_saveexec_b64 s[10:11], vcc
	s_cbranch_execnz .LBB28_34
; %bb.31:                               ;   in Loop: Header=BB28_30 Depth=1
	s_or_b64 exec, exec, s[10:11]
	global_load_dwordx4 v[9:12], v[17:18], off offset:1024
	s_and_saveexec_b64 s[10:11], vcc
	s_cbranch_execnz .LBB28_35
.LBB28_32:                              ;   in Loop: Header=BB28_30 Depth=1
	s_or_b64 exec, exec, s[10:11]
	global_load_dwordx4 v[13:16], v[17:18], off offset:2048
	s_and_saveexec_b64 s[10:11], vcc
	s_cbranch_execnz .LBB28_36
.LBB28_33:                              ;   in Loop: Header=BB28_30 Depth=1
	s_or_b64 exec, exec, s[10:11]
	global_load_dwordx4 v[17:20], v[17:18], off offset:3072
	s_and_saveexec_b64 s[2:3], vcc
	s_cbranch_execz .LBB28_29
	s_branch .LBB28_37
.LBB28_34:                              ;   in Loop: Header=BB28_30 Depth=1
	v_cmp_gt_i32_e64 s[2:3], s17, v38
	s_waitcnt vmcnt(0)
	v_cndmask_b32_e64 v5, 0, v5, s[2:3]
	v_cmp_gt_i32_e64 s[2:3], s17, v40
	v_cndmask_b32_e64 v6, 0, v6, s[2:3]
	v_cmp_gt_i32_e64 s[2:3], s17, v39
	;; [unrolled: 2-line block ×3, first 2 shown]
	v_cndmask_b32_e64 v8, 0, v8, s[2:3]
	s_or_b64 exec, exec, s[10:11]
	global_load_dwordx4 v[9:12], v[17:18], off offset:1024
	s_and_saveexec_b64 s[10:11], vcc
	s_cbranch_execz .LBB28_32
.LBB28_35:                              ;   in Loop: Header=BB28_30 Depth=1
	v_cmp_gt_i32_e64 s[2:3], s17, v38
	s_waitcnt vmcnt(0)
	v_cndmask_b32_e64 v9, 0, v9, s[2:3]
	v_cmp_gt_i32_e64 s[2:3], s17, v40
	v_cndmask_b32_e64 v10, 0, v10, s[2:3]
	v_cmp_gt_i32_e64 s[2:3], s17, v39
	;; [unrolled: 2-line block ×3, first 2 shown]
	v_cndmask_b32_e64 v12, 0, v12, s[2:3]
	s_or_b64 exec, exec, s[10:11]
	global_load_dwordx4 v[13:16], v[17:18], off offset:2048
	s_and_saveexec_b64 s[10:11], vcc
	s_cbranch_execz .LBB28_33
.LBB28_36:                              ;   in Loop: Header=BB28_30 Depth=1
	v_cmp_gt_i32_e64 s[2:3], s17, v38
	s_waitcnt vmcnt(0)
	v_cndmask_b32_e64 v13, 0, v13, s[2:3]
	v_cmp_gt_i32_e64 s[2:3], s17, v40
	v_cndmask_b32_e64 v14, 0, v14, s[2:3]
	v_cmp_gt_i32_e64 s[2:3], s17, v39
	;; [unrolled: 2-line block ×3, first 2 shown]
	v_cndmask_b32_e64 v16, 0, v16, s[2:3]
	s_or_b64 exec, exec, s[10:11]
	global_load_dwordx4 v[17:20], v[17:18], off offset:3072
	s_and_saveexec_b64 s[2:3], vcc
	s_cbranch_execz .LBB28_29
.LBB28_37:                              ;   in Loop: Header=BB28_30 Depth=1
	v_cmp_gt_i32_e32 vcc, s17, v38
	s_waitcnt vmcnt(0)
	v_cndmask_b32_e32 v17, 0, v17, vcc
	v_cmp_gt_i32_e32 vcc, s17, v40
	v_cndmask_b32_e32 v18, 0, v18, vcc
	v_cmp_gt_i32_e32 vcc, s17, v39
	;; [unrolled: 2-line block ×3, first 2 shown]
	v_cndmask_b32_e32 v20, 0, v20, vcc
	s_branch .LBB28_29
.LBB28_38:
	s_or_b64 exec, exec, s[6:7]
.LBB28_39:
	s_or_b64 exec, exec, s[4:5]
	ds_bpermute_b32 v1, v29, v32
	ds_bpermute_b32 v2, v29, v33
	;; [unrolled: 1-line block ×4, first 2 shown]
	v_and_b32_e32 v0, 0x3c3, v0
	s_waitcnt lgkmcnt(3)
	v_add_f32_e32 v1, v32, v1
	s_waitcnt lgkmcnt(2)
	v_add_f32_e32 v2, v33, v2
	;; [unrolled: 2-line block ×4, first 2 shown]
	ds_bpermute_b32 v5, v28, v1
	ds_bpermute_b32 v6, v28, v2
	;; [unrolled: 1-line block ×4, first 2 shown]
	v_cmp_eq_u32_e32 vcc, 64, v0
	s_waitcnt lgkmcnt(3)
	v_add_f32_e32 v1, v1, v5
	s_waitcnt lgkmcnt(2)
	v_add_f32_e32 v2, v2, v6
	;; [unrolled: 2-line block ×4, first 2 shown]
	s_barrier
	s_and_saveexec_b64 s[2:3], vcc
	s_cbranch_execz .LBB28_41
; %bb.40:
	v_add_u32_e32 v5, 0x110, v27
	ds_write2_b32 v5, v1, v2 offset1:16
	ds_write2_b32 v5, v3, v4 offset0:32 offset1:48
.LBB28_41:
	s_or_b64 exec, exec, s[2:3]
	s_waitcnt lgkmcnt(0)
	s_barrier
	s_and_saveexec_b64 s[2:3], s[0:1]
	s_cbranch_execz .LBB28_48
; %bb.42:
	v_mov_b32_e32 v5, 0x110
	v_cmp_eq_u32_e32 vcc, 0, v25
	v_lshl_add_u32 v5, v24, 2, v5
	s_and_saveexec_b64 s[0:1], vcc
	s_cbranch_execnz .LBB28_51
; %bb.43:
	s_or_b64 exec, exec, s[0:1]
	s_and_saveexec_b64 s[0:1], vcc
	s_cbranch_execnz .LBB28_52
.LBB28_44:
	s_or_b64 exec, exec, s[0:1]
	s_and_saveexec_b64 s[0:1], vcc
	s_cbranch_execnz .LBB28_53
.LBB28_45:
	s_or_b64 exec, exec, s[0:1]
	s_and_saveexec_b64 s[0:1], vcc
	s_cbranch_execz .LBB28_47
.LBB28_46:
	ds_read_b32 v5, v5 offset:192
	s_waitcnt lgkmcnt(0)
	v_add_f32_e32 v4, v4, v5
.LBB28_47:
	s_or_b64 exec, exec, s[0:1]
.LBB28_48:
	s_or_b64 exec, exec, s[2:3]
	v_cmp_eq_u32_e32 vcc, 0, v0
	s_barrier
	s_and_saveexec_b64 s[0:1], vcc
	s_cbranch_execz .LBB28_50
; %bb.49:
	s_mul_i32 s0, s16, s12
	s_mul_i32 s0, s0, s9
	s_lshl_b32 s0, s0, 6
	s_ashr_i32 s1, s0, 31
	s_lshl_b64 s[0:1], s[0:1], 2
	s_add_u32 s2, s20, s0
	s_mul_i32 s0, s12, s18
	s_addc_u32 s3, s21, s1
	s_ashr_i32 s1, s0, 31
	s_lshl_b64 s[0:1], s[0:1], 2
	s_add_u32 s2, s2, s0
	s_addc_u32 s3, s3, s1
	s_lshl_b32 s0, s8, 6
	s_ashr_i32 s1, s0, 31
	s_lshl_b64 s[0:1], s[0:1], 2
	s_add_u32 s0, s2, s0
	s_addc_u32 s1, s3, s1
	global_store_dword v23, v1, s[0:1]
	global_store_dword v23, v2, s[0:1] offset:64
	global_store_dword v23, v3, s[0:1] offset:128
	global_store_dword v23, v4, s[0:1] offset:192
.LBB28_50:
	s_endpgm
.LBB28_51:
	ds_read_b32 v6, v5
	s_waitcnt lgkmcnt(0)
	v_add_f32_e32 v1, v1, v6
	s_or_b64 exec, exec, s[0:1]
	s_and_saveexec_b64 s[0:1], vcc
	s_cbranch_execz .LBB28_44
.LBB28_52:
	ds_read_b32 v6, v5 offset:64
	s_waitcnt lgkmcnt(0)
	v_add_f32_e32 v2, v2, v6
	s_or_b64 exec, exec, s[0:1]
	s_and_saveexec_b64 s[0:1], vcc
	s_cbranch_execz .LBB28_45
.LBB28_53:
	ds_read_b32 v6, v5 offset:128
	s_waitcnt lgkmcnt(0)
	v_add_f32_e32 v3, v3, v6
	s_or_b64 exec, exec, s[0:1]
	s_and_saveexec_b64 s[0:1], vcc
	s_cbranch_execnz .LBB28_46
	s_branch .LBB28_47
	.section	.rodata,"a",@progbits
	.p2align	6, 0x0
	.amdhsa_kernel _ZN4vllm25paged_attention_v1_kernelIffLi64ELi16ELi128ELNS_18Fp8KVCacheDataTypeE0ELb0EEEvPT_PKS2_PKT0_S8_ifPKiSA_iPKfiiiSC_SC_iiiii
		.amdhsa_group_segment_fixed_size 272
		.amdhsa_private_segment_fixed_size 0
		.amdhsa_kernarg_size 384
		.amdhsa_user_sgpr_count 6
		.amdhsa_user_sgpr_private_segment_buffer 1
		.amdhsa_user_sgpr_dispatch_ptr 0
		.amdhsa_user_sgpr_queue_ptr 0
		.amdhsa_user_sgpr_kernarg_segment_ptr 1
		.amdhsa_user_sgpr_dispatch_id 0
		.amdhsa_user_sgpr_flat_scratch_init 0
		.amdhsa_user_sgpr_private_segment_size 0
		.amdhsa_uses_dynamic_stack 0
		.amdhsa_system_sgpr_private_segment_wavefront_offset 0
		.amdhsa_system_sgpr_workgroup_id_x 1
		.amdhsa_system_sgpr_workgroup_id_y 1
		.amdhsa_system_sgpr_workgroup_id_z 1
		.amdhsa_system_sgpr_workgroup_info 0
		.amdhsa_system_vgpr_workitem_id 0
		.amdhsa_next_free_vgpr 53
		.amdhsa_next_free_sgpr 36
		.amdhsa_reserve_vcc 1
		.amdhsa_reserve_flat_scratch 0
		.amdhsa_float_round_mode_32 0
		.amdhsa_float_round_mode_16_64 0
		.amdhsa_float_denorm_mode_32 3
		.amdhsa_float_denorm_mode_16_64 3
		.amdhsa_dx10_clamp 1
		.amdhsa_ieee_mode 1
		.amdhsa_fp16_overflow 0
		.amdhsa_exception_fp_ieee_invalid_op 0
		.amdhsa_exception_fp_denorm_src 0
		.amdhsa_exception_fp_ieee_div_zero 0
		.amdhsa_exception_fp_ieee_overflow 0
		.amdhsa_exception_fp_ieee_underflow 0
		.amdhsa_exception_fp_ieee_inexact 0
		.amdhsa_exception_int_div_zero 0
	.end_amdhsa_kernel
	.section	.text._ZN4vllm25paged_attention_v1_kernelIffLi64ELi16ELi128ELNS_18Fp8KVCacheDataTypeE0ELb0EEEvPT_PKS2_PKT0_S8_ifPKiSA_iPKfiiiSC_SC_iiiii,"axG",@progbits,_ZN4vllm25paged_attention_v1_kernelIffLi64ELi16ELi128ELNS_18Fp8KVCacheDataTypeE0ELb0EEEvPT_PKS2_PKT0_S8_ifPKiSA_iPKfiiiSC_SC_iiiii,comdat
.Lfunc_end28:
	.size	_ZN4vllm25paged_attention_v1_kernelIffLi64ELi16ELi128ELNS_18Fp8KVCacheDataTypeE0ELb0EEEvPT_PKS2_PKT0_S8_ifPKiSA_iPKfiiiSC_SC_iiiii, .Lfunc_end28-_ZN4vllm25paged_attention_v1_kernelIffLi64ELi16ELi128ELNS_18Fp8KVCacheDataTypeE0ELb0EEEvPT_PKS2_PKT0_S8_ifPKiSA_iPKfiiiSC_SC_iiiii
                                        ; -- End function
	.set _ZN4vllm25paged_attention_v1_kernelIffLi64ELi16ELi128ELNS_18Fp8KVCacheDataTypeE0ELb0EEEvPT_PKS2_PKT0_S8_ifPKiSA_iPKfiiiSC_SC_iiiii.num_vgpr, 53
	.set _ZN4vllm25paged_attention_v1_kernelIffLi64ELi16ELi128ELNS_18Fp8KVCacheDataTypeE0ELb0EEEvPT_PKS2_PKT0_S8_ifPKiSA_iPKfiiiSC_SC_iiiii.num_agpr, 0
	.set _ZN4vllm25paged_attention_v1_kernelIffLi64ELi16ELi128ELNS_18Fp8KVCacheDataTypeE0ELb0EEEvPT_PKS2_PKT0_S8_ifPKiSA_iPKfiiiSC_SC_iiiii.numbered_sgpr, 36
	.set _ZN4vllm25paged_attention_v1_kernelIffLi64ELi16ELi128ELNS_18Fp8KVCacheDataTypeE0ELb0EEEvPT_PKS2_PKT0_S8_ifPKiSA_iPKfiiiSC_SC_iiiii.num_named_barrier, 0
	.set _ZN4vllm25paged_attention_v1_kernelIffLi64ELi16ELi128ELNS_18Fp8KVCacheDataTypeE0ELb0EEEvPT_PKS2_PKT0_S8_ifPKiSA_iPKfiiiSC_SC_iiiii.private_seg_size, 0
	.set _ZN4vllm25paged_attention_v1_kernelIffLi64ELi16ELi128ELNS_18Fp8KVCacheDataTypeE0ELb0EEEvPT_PKS2_PKT0_S8_ifPKiSA_iPKfiiiSC_SC_iiiii.uses_vcc, 1
	.set _ZN4vllm25paged_attention_v1_kernelIffLi64ELi16ELi128ELNS_18Fp8KVCacheDataTypeE0ELb0EEEvPT_PKS2_PKT0_S8_ifPKiSA_iPKfiiiSC_SC_iiiii.uses_flat_scratch, 0
	.set _ZN4vllm25paged_attention_v1_kernelIffLi64ELi16ELi128ELNS_18Fp8KVCacheDataTypeE0ELb0EEEvPT_PKS2_PKT0_S8_ifPKiSA_iPKfiiiSC_SC_iiiii.has_dyn_sized_stack, 0
	.set _ZN4vllm25paged_attention_v1_kernelIffLi64ELi16ELi128ELNS_18Fp8KVCacheDataTypeE0ELb0EEEvPT_PKS2_PKT0_S8_ifPKiSA_iPKfiiiSC_SC_iiiii.has_recursion, 0
	.set _ZN4vllm25paged_attention_v1_kernelIffLi64ELi16ELi128ELNS_18Fp8KVCacheDataTypeE0ELb0EEEvPT_PKS2_PKT0_S8_ifPKiSA_iPKfiiiSC_SC_iiiii.has_indirect_call, 0
	.section	.AMDGPU.csdata,"",@progbits
; Kernel info:
; codeLenInByte = 3360
; TotalNumSgprs: 40
; NumVgprs: 53
; ScratchSize: 0
; MemoryBound: 0
; FloatMode: 240
; IeeeMode: 1
; LDSByteSize: 272 bytes/workgroup (compile time only)
; SGPRBlocks: 4
; VGPRBlocks: 13
; NumSGPRsForWavesPerEU: 40
; NumVGPRsForWavesPerEU: 53
; Occupancy: 4
; WaveLimiterHint : 1
; COMPUTE_PGM_RSRC2:SCRATCH_EN: 0
; COMPUTE_PGM_RSRC2:USER_SGPR: 6
; COMPUTE_PGM_RSRC2:TRAP_HANDLER: 0
; COMPUTE_PGM_RSRC2:TGID_X_EN: 1
; COMPUTE_PGM_RSRC2:TGID_Y_EN: 1
; COMPUTE_PGM_RSRC2:TGID_Z_EN: 1
; COMPUTE_PGM_RSRC2:TIDIG_COMP_CNT: 0
	.section	.text._ZN4vllm25paged_attention_v1_kernelIffLi80ELi16ELi128ELNS_18Fp8KVCacheDataTypeE0ELb0EEEvPT_PKS2_PKT0_S8_ifPKiSA_iPKfiiiSC_SC_iiiii,"axG",@progbits,_ZN4vllm25paged_attention_v1_kernelIffLi80ELi16ELi128ELNS_18Fp8KVCacheDataTypeE0ELb0EEEvPT_PKS2_PKT0_S8_ifPKiSA_iPKfiiiSC_SC_iiiii,comdat
	.protected	_ZN4vllm25paged_attention_v1_kernelIffLi80ELi16ELi128ELNS_18Fp8KVCacheDataTypeE0ELb0EEEvPT_PKS2_PKT0_S8_ifPKiSA_iPKfiiiSC_SC_iiiii ; -- Begin function _ZN4vllm25paged_attention_v1_kernelIffLi80ELi16ELi128ELNS_18Fp8KVCacheDataTypeE0ELb0EEEvPT_PKS2_PKT0_S8_ifPKiSA_iPKfiiiSC_SC_iiiii
	.globl	_ZN4vllm25paged_attention_v1_kernelIffLi80ELi16ELi128ELNS_18Fp8KVCacheDataTypeE0ELb0EEEvPT_PKS2_PKT0_S8_ifPKiSA_iPKfiiiSC_SC_iiiii
	.p2align	8
	.type	_ZN4vllm25paged_attention_v1_kernelIffLi80ELi16ELi128ELNS_18Fp8KVCacheDataTypeE0ELb0EEEvPT_PKS2_PKT0_S8_ifPKiSA_iPKfiiiSC_SC_iiiii,@function
_ZN4vllm25paged_attention_v1_kernelIffLi80ELi16ELi128ELNS_18Fp8KVCacheDataTypeE0ELb0EEEvPT_PKS2_PKT0_S8_ifPKiSA_iPKfiiiSC_SC_iiiii: ; @_ZN4vllm25paged_attention_v1_kernelIffLi80ELi16ELi128ELNS_18Fp8KVCacheDataTypeE0ELb0EEEvPT_PKS2_PKT0_S8_ifPKiSA_iPKfiiiSC_SC_iiiii
; %bb.0:
	s_load_dword s9, s[4:5], 0x80
	s_load_dwordx2 s[0:1], s[4:5], 0x30
	s_load_dwordx2 s[26:27], s[4:5], 0x20
	s_mov_b32 s10, s7
	s_ashr_i32 s11, s7, 31
	s_lshl_b64 s[2:3], s[10:11], 2
	s_waitcnt lgkmcnt(0)
	s_add_u32 s0, s0, s2
	s_addc_u32 s1, s1, s3
	s_abs_i32 s2, s26
	v_cvt_f32_u32_e32 v1, s2
	s_sub_i32 s11, 0, s2
	s_abs_i32 s7, s9
	s_xor_b32 s3, s9, s26
	v_rcp_iflag_f32_e32 v1, v1
	s_ashr_i32 s3, s3, 31
	s_mov_b32 s26, 0
	v_mul_f32_e32 v1, 0x4f7ffffe, v1
	v_cvt_u32_f32_e32 v1, v1
	v_readfirstlane_b32 s12, v1
	s_mul_i32 s11, s11, s12
	s_mul_hi_u32 s11, s12, s11
	s_add_i32 s12, s12, s11
	s_mul_hi_u32 s11, s7, s12
	s_mul_i32 s12, s11, s2
	s_sub_i32 s7, s7, s12
	s_add_i32 s12, s11, 1
	s_sub_i32 s13, s7, s2
	s_cmp_ge_u32 s7, s2
	s_cselect_b32 s11, s12, s11
	s_cselect_b32 s7, s13, s7
	s_add_i32 s12, s11, 1
	s_cmp_ge_u32 s7, s2
	s_cselect_b32 s2, s12, s11
	s_xor_b32 s2, s2, s3
	s_sub_i32 s12, s2, s3
	s_abs_i32 s11, s12
	v_cvt_f32_u32_e32 v1, s11
	s_load_dwordx2 s[2:3], s[4:5], 0x40
	s_sub_i32 s7, 0, s11
	s_abs_i32 s18, s6
	v_rcp_iflag_f32_e32 v1, v1
	v_mul_f32_e32 v1, 0x4f7ffffe, v1
	v_cvt_u32_f32_e32 v1, v1
	v_readfirstlane_b32 s13, v1
	s_mul_i32 s7, s7, s13
	s_mul_hi_u32 s7, s13, s7
	s_add_i32 s13, s13, s7
	s_waitcnt lgkmcnt(0)
	s_cmp_eq_u64 s[2:3], 0
	s_mul_hi_u32 s19, s18, s13
	s_cbranch_scc1 .LBB29_2
; %bb.1:
	s_ashr_i32 s7, s6, 31
	s_lshl_b64 s[14:15], s[6:7], 2
	s_add_u32 s2, s2, s14
	s_addc_u32 s3, s3, s15
	s_load_dword s26, s[2:3], 0x0
.LBB29_2:
	s_load_dword s33, s[0:1], 0x0
	s_ashr_i32 s3, s12, 31
	s_load_dwordx4 s[12:15], s[4:5], 0x48
	v_lshrrev_b32_e32 v28, 2, v0
	s_movk_i32 s7, 0x50
	s_ashr_i32 s2, s6, 31
	v_and_b32_e32 v29, 3, v0
	s_mul_i32 s16, s6, 0x50
	v_cmp_gt_u32_e32 vcc, s7, v0
	v_lshlrev_b32_e32 v23, 2, v0
	v_lshlrev_b32_e32 v27, 2, v28
	s_and_saveexec_b64 s[0:1], vcc
	s_cbranch_execz .LBB29_4
; %bb.3:
	s_load_dwordx2 s[20:21], s[4:5], 0x8
	s_waitcnt lgkmcnt(0)
	s_mul_i32 s22, s12, s10
	s_ashr_i32 s23, s22, 31
	s_lshl_b64 s[22:23], s[22:23], 2
	v_mad_u32_u24 v2, v29, s7, v27
	s_add_u32 s6, s20, s22
	s_addc_u32 s12, s21, s23
	s_ashr_i32 s17, s16, 31
	s_lshl_b64 s[20:21], s[16:17], 2
	s_add_u32 s20, s6, s20
	s_addc_u32 s21, s12, s21
	global_load_dword v1, v23, s[20:21]
	s_waitcnt vmcnt(0)
	ds_write_b32 v2, v1
.LBB29_4:
	s_or_b64 exec, exec, s[0:1]
	s_waitcnt lgkmcnt(0)
	s_add_i32 s1, s33, 15
	s_ashr_i32 s6, s1, 31
	s_lshr_b32 s6, s6, 28
	s_add_i32 s1, s1, s6
	s_ashr_i32 s12, s1, 4
	s_xor_b32 s1, s2, s3
	s_mul_i32 s2, s19, s11
	s_sub_i32 s2, s18, s2
	s_add_i32 s3, s19, 1
	s_sub_i32 s6, s2, s11
	s_load_dwordx2 s[20:21], s[4:5], 0x28
	s_load_dword s0, s[4:5], 0x38
	s_cmp_ge_u32 s2, s11
	s_cselect_b32 s3, s3, s19
	s_cselect_b32 s2, s6, s2
	s_add_i32 s6, s3, 1
	s_cmp_ge_u32 s2, s11
	s_cselect_b32 s2, s6, s3
	v_lshrrev_b32_e32 v30, 6, v0
	s_xor_b32 s2, s2, s1
	s_waitcnt lgkmcnt(0)
	s_mul_i32 s22, s0, s10
	s_sub_i32 s15, s2, s1
	s_ashr_i32 s23, s22, 31
	v_cmp_gt_i32_e64 s[0:1], s12, v30
	v_cmp_le_i32_e32 vcc, s12, v30
	v_mbcnt_lo_u32_b32 v1, -1, 0
	s_barrier
                                        ; implicit-def: $vgpr25
                                        ; implicit-def: $vgpr33
                                        ; implicit-def: $vgpr26
	s_and_saveexec_b64 s[2:3], vcc
	s_xor_b64 s[2:3], exec, s[2:3]
; %bb.5:
	v_mbcnt_hi_u32_b32 v25, -1, v1
	v_and_b32_e32 v33, 64, v25
	v_add_u32_e32 v26, 64, v33
                                        ; implicit-def: $vgpr1
; %bb.6:
	s_or_saveexec_b64 s[6:7], s[2:3]
	s_load_dwordx2 s[18:19], s[4:5], 0x0
	s_load_dwordx2 s[24:25], s[4:5], 0x18
	s_load_dword s11, s[4:5], 0x88
	v_mov_b32_e32 v35, 0xff7fffff
	s_mul_i32 s14, s15, s14
	v_lshrrev_b32_e32 v24, 4, v0
	s_xor_b64 exec, exec, s[6:7]
	s_cbranch_execz .LBB29_12
; %bb.7:
	s_load_dwordx2 s[2:3], s[4:5], 0x10
	s_ashr_i32 s15, s14, 31
	s_lshl_b64 s[4:5], s[14:15], 2
	v_bfe_u32 v2, v0, 2, 4
	v_lshlrev_b32_e32 v4, 4, v2
	s_waitcnt lgkmcnt(0)
	s_add_u32 s2, s2, s4
	s_addc_u32 s3, s3, s5
	v_mov_b32_e32 v5, s3
	v_add_co_u32_e32 v4, vcc, s2, v4
	v_addc_co_u32_e32 v5, vcc, 0, v5, vcc
	v_lshlrev_b32_e32 v6, 2, v29
	v_mbcnt_hi_u32_b32 v25, -1, v1
	v_add_co_u32_e32 v31, vcc, v4, v6
	v_and_b32_e32 v33, 64, v25
	v_addc_co_u32_e32 v32, vcc, 0, v5, vcc
	v_add_u32_e32 v26, 64, v33
	v_xor_b32_e32 v1, 2, v25
	v_cmp_lt_i32_e32 vcc, v1, v26
	v_cndmask_b32_e32 v1, v25, v1, vcc
	v_lshlrev_b32_e32 v34, 2, v1
	v_xor_b32_e32 v1, 1, v25
	v_cmp_lt_i32_e32 vcc, v1, v26
	v_lshlrev_b32_e32 v3, 2, v2
	v_cndmask_b32_e32 v1, v25, v1, vcc
	s_sub_i32 s15, 1, s33
	s_lshl_b64 s[4:5], s[22:23], 2
	v_lshlrev_b32_e32 v36, 2, v1
	v_lshl_or_b32 v1, v30, 6, v3
	s_add_u32 s4, s20, s4
	v_add_u32_e32 v38, 0x150, v1
	v_and_b32_e32 v1, 60, v24
	s_addc_u32 s5, s21, s5
	v_mul_u32_u24_e32 v17, 0x50, v29
	v_lshl_or_b32 v37, v30, 4, v2
	v_mov_b32_e32 v2, s5
	v_add_co_u32_e64 v21, s[4:5], s4, v1
	v_addc_co_u32_e64 v22, s[4:5], 0, v2, s[4:5]
	ds_read_b128 v[1:4], v17
	ds_read_b128 v[5:8], v17 offset:16
	ds_read_b128 v[9:12], v17 offset:32
	;; [unrolled: 1-line block ×4, first 2 shown]
	s_mov_b32 s17, s13
	v_cmp_eq_u32_e32 vcc, 0, v29
	v_cmp_neq_f32_e64 s[2:3], s26, 0
	v_mov_b32_e32 v35, 0xff7fffff
	s_mov_b64 s[28:29], 0
	s_movk_i32 s34, 0x1000
	v_mov_b32_e32 v39, v30
	s_branch .LBB29_9
.LBB29_8:                               ;   in Loop: Header=BB29_9 Depth=1
	s_or_b64 exec, exec, s[30:31]
	v_add_u32_e32 v39, 2, v39
	v_cmp_le_i32_e64 s[4:5], s12, v39
	s_or_b64 s[28:29], s[4:5], s[28:29]
	v_add_co_u32_e64 v21, s[4:5], 8, v21
	v_add_u32_e32 v37, 32, v37
	v_add_u32_e32 v38, 0x80, v38
	v_addc_co_u32_e64 v22, s[4:5], 0, v22, s[4:5]
	s_andn2_b64 exec, exec, s[28:29]
	s_cbranch_execz .LBB29_11
.LBB29_9:                               ; =>This Inner Loop Header: Depth=1
	global_load_dword v40, v[21:22], off
	s_waitcnt vmcnt(0) lgkmcnt(0)
	v_mad_i64_i32 v[40:41], s[4:5], v40, s17, 0
	v_lshlrev_b64 v[40:41], 2, v[40:41]
	v_add_co_u32_e64 v40, s[4:5], v31, v40
	v_addc_co_u32_e64 v41, s[4:5], v32, v41, s[4:5]
	v_add_co_u32_e64 v42, s[4:5], s34, v40
	v_addc_co_u32_e64 v43, s[4:5], 0, v41, s[4:5]
	global_load_dword v44, v[40:41], off offset:256
	global_load_dword v45, v[40:41], off
	global_load_dword v46, v[40:41], off offset:512
	global_load_dword v47, v[40:41], off offset:768
	;; [unrolled: 1-line block ×13, first 2 shown]
	s_nop 0
	global_load_dword v40, v[40:41], off offset:3840
	s_nop 0
	global_load_dword v41, v[42:43], off
	global_load_dword v59, v[42:43], off offset:256
	global_load_dword v60, v[42:43], off offset:512
	s_nop 0
	global_load_dword v42, v[42:43], off offset:768
	s_waitcnt vmcnt(19) lgkmcnt(4)
	v_mul_f32_e32 v43, v2, v44
	s_waitcnt vmcnt(18)
	v_fmac_f32_e32 v43, v1, v45
	s_waitcnt vmcnt(17)
	v_fmac_f32_e32 v43, v3, v46
	s_waitcnt vmcnt(16)
	v_fmac_f32_e32 v43, v4, v47
	s_waitcnt vmcnt(15) lgkmcnt(3)
	v_fmac_f32_e32 v43, v5, v48
	s_waitcnt vmcnt(14)
	v_fmac_f32_e32 v43, v6, v49
	s_waitcnt vmcnt(13)
	v_fmac_f32_e32 v43, v7, v50
	s_waitcnt vmcnt(12)
	v_fmac_f32_e32 v43, v8, v51
	s_waitcnt vmcnt(11) lgkmcnt(2)
	v_fmac_f32_e32 v43, v9, v52
	;; [unrolled: 8-line block ×4, first 2 shown]
	s_waitcnt vmcnt(2)
	v_fmac_f32_e32 v43, v18, v59
	s_waitcnt vmcnt(1)
	v_fmac_f32_e32 v43, v19, v60
	;; [unrolled: 2-line block ×3, first 2 shown]
	ds_bpermute_b32 v40, v34, v43
	s_waitcnt lgkmcnt(0)
	v_add_f32_e32 v40, v43, v40
	ds_bpermute_b32 v41, v36, v40
	s_and_saveexec_b64 s[30:31], vcc
	s_cbranch_execz .LBB29_8
; %bb.10:                               ;   in Loop: Header=BB29_9 Depth=1
	v_add_u32_e32 v42, s15, v37
	v_cvt_f32_i32_e32 v42, v42
	s_waitcnt lgkmcnt(0)
	v_add_f32_e32 v40, v40, v41
	v_cmp_gt_i32_e64 s[4:5], s33, v37
	v_max_f32_e32 v41, v35, v35
	v_mul_f32_e32 v42, s26, v42
	v_cndmask_b32_e64 v42, 0, v42, s[2:3]
	v_fmac_f32_e32 v42, s27, v40
	v_cndmask_b32_e64 v40, 0, v42, s[4:5]
	ds_write_b32 v38, v40
	v_max_f32_e32 v40, v41, v42
	v_cndmask_b32_e64 v35, v35, v40, s[4:5]
	s_branch .LBB29_8
.LBB29_11:
	s_or_b64 exec, exec, s[28:29]
.LBB29_12:
	s_or_b64 exec, exec, s[6:7]
	v_xor_b32_e32 v1, 32, v25
	v_cmp_lt_i32_e32 vcc, v1, v26
	v_cndmask_b32_e32 v1, v25, v1, vcc
	v_lshlrev_b32_e32 v1, 2, v1
	ds_bpermute_b32 v2, v1, v35
	v_xor_b32_e32 v4, 16, v25
	v_max_f32_e32 v3, v35, v35
	v_cmp_lt_i32_e32 vcc, v4, v26
	v_xor_b32_e32 v5, 8, v25
	s_waitcnt lgkmcnt(0)
	v_max_f32_e32 v2, v2, v2
	v_max_f32_e32 v3, v3, v2
	v_cndmask_b32_e32 v2, v25, v4, vcc
	v_lshlrev_b32_e32 v2, 2, v2
	ds_bpermute_b32 v4, v2, v3
	v_cmp_lt_i32_e32 vcc, v5, v26
	v_xor_b32_e32 v6, 4, v25
	v_and_b32_e32 v31, 63, v0
	s_waitcnt lgkmcnt(0)
	v_max_f32_e32 v4, v4, v4
	v_max_f32_e32 v3, v3, v4
	v_cndmask_b32_e32 v4, v25, v5, vcc
	v_lshlrev_b32_e32 v5, 2, v4
	ds_bpermute_b32 v4, v5, v3
	v_cmp_lt_i32_e32 vcc, v6, v26
	s_waitcnt lgkmcnt(0)
	v_max_f32_e32 v4, v4, v4
	v_max_f32_e32 v4, v3, v4
	v_cndmask_b32_e32 v3, v25, v6, vcc
	v_lshlrev_b32_e32 v6, 2, v3
	ds_bpermute_b32 v7, v6, v4
	v_cmp_eq_u32_e32 vcc, 0, v31
	v_lshlrev_b32_e32 v3, 2, v30
	s_and_saveexec_b64 s[2:3], vcc
	s_cbranch_execz .LBB29_14
; %bb.13:
	s_waitcnt lgkmcnt(0)
	v_max_f32_e32 v7, v7, v7
	v_max_f32_e32 v4, v4, v4
	;; [unrolled: 1-line block ×3, first 2 shown]
	ds_write_b32 v3, v4 offset:320
.LBB29_14:
	s_or_b64 exec, exec, s[2:3]
	v_cmp_gt_u32_e64 s[2:3], 2, v31
	s_waitcnt lgkmcnt(0)
	v_mov_b32_e32 v7, 0xff7fffff
	v_lshlrev_b32_e32 v4, 2, v31
	s_barrier
	s_and_saveexec_b64 s[4:5], s[2:3]
; %bb.15:
	ds_read_b32 v7, v4 offset:320
; %bb.16:
	s_or_b64 exec, exec, s[4:5]
	v_xor_b32_e32 v8, 1, v25
	v_cmp_lt_i32_e64 s[4:5], v8, v26
	v_cndmask_b32_e64 v8, v25, v8, s[4:5]
	v_lshlrev_b32_e32 v32, 2, v8
	s_waitcnt lgkmcnt(0)
	ds_bpermute_b32 v8, v32, v7
	v_max_f32_e32 v7, v7, v7
	s_lshl_b32 s4, s12, 4
	s_min_i32 s15, s4, s33
	v_cmp_gt_i32_e64 s[4:5], s15, v0
	s_waitcnt lgkmcnt(0)
	v_max_f32_e32 v8, v8, v8
	v_max_f32_e32 v7, v7, v8
	v_lshlrev_b32_e32 v8, 2, v33
	ds_bpermute_b32 v8, v8, v7
	v_mov_b32_e32 v7, 0
	s_and_saveexec_b64 s[26:27], s[4:5]
	s_cbranch_execz .LBB29_20
; %bb.17:
	v_mov_b32_e32 v7, 0x150
	v_lshl_add_u32 v9, v0, 2, v7
	v_mov_b32_e32 v7, 0
	s_mov_b64 s[28:29], 0
	v_mov_b32_e32 v10, v0
.LBB29_18:                              ; =>This Inner Loop Header: Depth=1
	ds_read_b32 v11, v9
	v_add_u32_e32 v10, 0x80, v10
	v_cmp_le_i32_e64 s[6:7], s15, v10
	s_or_b64 s[28:29], s[6:7], s[28:29]
	s_waitcnt lgkmcnt(0)
	v_sub_f32_e32 v11, v11, v8
	v_mul_f32_e32 v11, 0x3fb8aa3b, v11
	v_exp_f32_e32 v11, v11
	ds_write_b32 v9, v11
	v_add_f32_e32 v7, v7, v11
	v_add_u32_e32 v9, 0x200, v9
	s_andn2_b64 exec, exec, s[28:29]
	s_cbranch_execnz .LBB29_18
; %bb.19:
	s_or_b64 exec, exec, s[28:29]
.LBB29_20:
	s_or_b64 exec, exec, s[26:27]
	ds_bpermute_b32 v1, v1, v7
	s_waitcnt lgkmcnt(0)
	v_add_f32_e32 v1, v7, v1
	ds_bpermute_b32 v2, v2, v1
	s_waitcnt lgkmcnt(0)
	v_add_f32_e32 v1, v1, v2
	ds_bpermute_b32 v2, v5, v1
	v_xor_b32_e32 v5, 2, v25
	v_cmp_lt_i32_e64 s[6:7], v5, v26
	v_cndmask_b32_e64 v5, v25, v5, s[6:7]
	v_lshlrev_b32_e32 v33, 2, v5
	s_waitcnt lgkmcnt(0)
	v_add_f32_e32 v1, v1, v2
	ds_bpermute_b32 v2, v6, v1
	s_waitcnt lgkmcnt(0)
	v_add_f32_e32 v1, v1, v2
	ds_bpermute_b32 v2, v33, v1
	;; [unrolled: 3-line block ×3, first 2 shown]
	s_waitcnt lgkmcnt(0)
	v_add_f32_e32 v1, v1, v2
	s_and_saveexec_b64 s[6:7], vcc
; %bb.21:
	ds_write_b32 v3, v1 offset:328
; %bb.22:
	s_or_b64 exec, exec, s[6:7]
	s_waitcnt lgkmcnt(0)
	s_barrier
	s_and_saveexec_b64 s[6:7], s[2:3]
; %bb.23:
	ds_read_b32 v1, v4 offset:328
; %bb.24:
	s_or_b64 exec, exec, s[6:7]
	s_waitcnt lgkmcnt(0)
	ds_bpermute_b32 v2, v32, v1
	v_lshlrev_b32_e32 v3, 2, v25
	s_waitcnt lgkmcnt(0)
	v_add_f32_e32 v1, v1, v2
	v_and_b32_e32 v2, 0xffffff00, v3
	ds_bpermute_b32 v1, v2, v1
	s_and_saveexec_b64 s[2:3], s[4:5]
	s_cbranch_execz .LBB29_27
; %bb.25:
	s_waitcnt lgkmcnt(0)
	v_add_f32_e32 v2, 0x358637bd, v1
	v_div_scale_f32 v1, s[4:5], v2, v2, 1.0
	v_div_scale_f32 v3, vcc, 1.0, v2, 1.0
	s_mov_b64 s[4:5], 0
	v_rcp_f32_e32 v4, v1
	v_fma_f32 v5, -v1, v4, 1.0
	v_fmac_f32_e32 v4, v5, v4
	v_mul_f32_e32 v5, v3, v4
	v_fma_f32 v6, -v1, v5, v3
	v_fmac_f32_e32 v5, v6, v4
	v_fma_f32 v1, -v1, v5, v3
	v_div_fmas_f32 v3, v1, v4, v5
	v_mov_b32_e32 v1, 0x150
	v_lshl_add_u32 v1, v0, 2, v1
	v_div_fixup_f32 v2, v3, v2, 1.0
	v_mov_b32_e32 v3, v0
.LBB29_26:                              ; =>This Inner Loop Header: Depth=1
	ds_read_b32 v4, v1
	v_add_u32_e32 v3, 0x80, v3
	v_cmp_le_i32_e32 vcc, s15, v3
	s_or_b64 s[4:5], vcc, s[4:5]
	s_waitcnt lgkmcnt(0)
	v_mul_f32_e32 v4, v2, v4
	ds_write_b32 v1, v4
	v_add_u32_e32 v1, 0x200, v1
	s_andn2_b64 exec, exec, s[4:5]
	s_cbranch_execnz .LBB29_26
.LBB29_27:
	s_or_b64 exec, exec, s[2:3]
	v_mov_b32_e32 v37, 0
	v_mov_b32_e32 v38, 0
	;; [unrolled: 1-line block ×5, first 2 shown]
	s_waitcnt lgkmcnt(0)
	s_barrier
	s_and_saveexec_b64 s[2:3], s[0:1]
	s_cbranch_execz .LBB29_41
; %bb.28:
	s_ashr_i32 s15, s14, 31
	s_lshl_b64 s[0:1], s[14:15], 2
	v_lshlrev_b32_e32 v2, 4, v0
	s_add_u32 s0, s24, s0
	v_and_b32_e32 v2, 0x3f0, v2
	v_and_b32_e32 v1, 12, v23
	s_addc_u32 s1, s25, s1
	v_add_co_u32_e32 v39, vcc, s0, v2
	v_lshlrev_b32_e32 v2, 4, v30
	s_add_i32 s14, s12, -1
	v_mov_b32_e32 v3, s1
	v_or3_b32 v41, v2, v1, 3
	v_lshlrev_b32_e32 v1, 4, v29
	s_lshl_b64 s[0:1], s[22:23], 2
	v_lshl_or_b32 v1, v30, 6, v1
	s_add_u32 s0, s20, s0
	v_addc_co_u32_e32 v40, vcc, 0, v3, vcc
	v_add_u32_e32 v42, 0x150, v1
	v_and_b32_e32 v1, 60, v24
	s_addc_u32 s1, s21, s1
	v_mov_b32_e32 v2, s1
	v_add_co_u32_e32 v25, vcc, s0, v1
	v_mov_b32_e32 v34, 0
	v_addc_co_u32_e32 v26, vcc, 0, v2, vcc
	s_mov_b64 s[4:5], 0
	v_mov_b32_e32 v35, 0
	v_mov_b32_e32 v36, 0
	;; [unrolled: 1-line block ×4, first 2 shown]
	s_branch .LBB29_30
.LBB29_29:                              ;   in Loop: Header=BB29_30 Depth=1
	s_or_b64 exec, exec, s[6:7]
	s_waitcnt vmcnt(1) lgkmcnt(0)
	v_mul_f32_e32 v17, v1, v17
	v_mul_f32_e32 v13, v1, v13
	;; [unrolled: 1-line block ×4, first 2 shown]
	s_waitcnt vmcnt(0)
	v_mul_f32_e32 v1, v1, v21
	v_fmac_f32_e32 v17, v2, v18
	v_fmac_f32_e32 v13, v2, v14
	;; [unrolled: 1-line block ×5, first 2 shown]
	v_add_u32_e32 v30, 2, v30
	v_fmac_f32_e32 v17, v3, v19
	v_fmac_f32_e32 v13, v3, v15
	;; [unrolled: 1-line block ×5, first 2 shown]
	v_cmp_le_i32_e32 vcc, s12, v30
	v_fmac_f32_e32 v17, v4, v20
	v_fmac_f32_e32 v13, v4, v16
	v_fmac_f32_e32 v9, v4, v12
	v_fmac_f32_e32 v5, v4, v8
	v_fmac_f32_e32 v1, v4, v24
	s_or_b64 s[4:5], vcc, s[4:5]
	v_add_co_u32_e32 v25, vcc, 8, v25
	v_add_f32_e32 v35, v35, v17
	v_add_f32_e32 v36, v36, v13
	;; [unrolled: 1-line block ×5, first 2 shown]
	v_add_u32_e32 v41, 32, v41
	v_add_u32_e32 v42, 0x80, v42
	v_addc_co_u32_e32 v26, vcc, 0, v26, vcc
	s_andn2_b64 exec, exec, s[4:5]
	s_cbranch_execz .LBB29_40
.LBB29_30:                              ; =>This Inner Loop Header: Depth=1
	global_load_dword v1, v[25:26], off
	v_add_u32_e32 v43, -3, v41
	v_add_u32_e32 v45, -2, v41
	v_add_u32_e32 v44, -1, v41
	s_waitcnt vmcnt(0)
	v_mad_i64_i32 v[1:2], s[0:1], v1, s13, 0
	v_cmp_eq_u32_e64 s[0:1], s14, v30
	v_lshlrev_b64 v[1:2], 2, v[1:2]
	v_add_co_u32_e32 v21, vcc, v39, v1
	v_addc_co_u32_e32 v22, vcc, v40, v2, vcc
	global_load_dwordx4 v[5:8], v[21:22], off
	ds_read_b128 v[1:4], v42
	s_and_saveexec_b64 s[6:7], s[0:1]
	s_cbranch_execnz .LBB29_37
; %bb.31:                               ;   in Loop: Header=BB29_30 Depth=1
	s_or_b64 exec, exec, s[6:7]
	global_load_dwordx4 v[9:12], v[21:22], off offset:1024
	s_and_saveexec_b64 s[6:7], s[0:1]
	s_cbranch_execnz .LBB29_38
.LBB29_32:                              ;   in Loop: Header=BB29_30 Depth=1
	s_or_b64 exec, exec, s[6:7]
	global_load_dwordx4 v[13:16], v[21:22], off offset:2048
	s_and_saveexec_b64 s[6:7], s[0:1]
	s_cbranch_execnz .LBB29_39
.LBB29_33:                              ;   in Loop: Header=BB29_30 Depth=1
	s_or_b64 exec, exec, s[6:7]
	global_load_dwordx4 v[17:20], v[21:22], off offset:3072
	s_and_saveexec_b64 s[6:7], s[0:1]
	s_cbranch_execz .LBB29_35
.LBB29_34:                              ;   in Loop: Header=BB29_30 Depth=1
	v_cmp_gt_i32_e32 vcc, s33, v43
	s_waitcnt vmcnt(0)
	v_cndmask_b32_e32 v17, 0, v17, vcc
	v_cmp_gt_i32_e32 vcc, s33, v45
	v_cndmask_b32_e32 v18, 0, v18, vcc
	v_cmp_gt_i32_e32 vcc, s33, v44
	;; [unrolled: 2-line block ×3, first 2 shown]
	v_cndmask_b32_e32 v20, 0, v20, vcc
.LBB29_35:                              ;   in Loop: Header=BB29_30 Depth=1
	s_or_b64 exec, exec, s[6:7]
	v_add_co_u32_e32 v21, vcc, 0x1000, v21
	v_addc_co_u32_e32 v22, vcc, 0, v22, vcc
	global_load_dwordx4 v[21:24], v[21:22], off
	s_and_saveexec_b64 s[6:7], s[0:1]
	s_cbranch_execz .LBB29_29
; %bb.36:                               ;   in Loop: Header=BB29_30 Depth=1
	v_cmp_gt_i32_e32 vcc, s33, v43
	s_waitcnt vmcnt(0)
	v_cndmask_b32_e32 v21, 0, v21, vcc
	v_cmp_gt_i32_e32 vcc, s33, v45
	v_cndmask_b32_e32 v22, 0, v22, vcc
	v_cmp_gt_i32_e32 vcc, s33, v44
	;; [unrolled: 2-line block ×3, first 2 shown]
	v_cndmask_b32_e32 v24, 0, v24, vcc
	s_branch .LBB29_29
.LBB29_37:                              ;   in Loop: Header=BB29_30 Depth=1
	v_cmp_gt_i32_e32 vcc, s33, v43
	s_waitcnt vmcnt(0)
	v_cndmask_b32_e32 v5, 0, v5, vcc
	v_cmp_gt_i32_e32 vcc, s33, v45
	v_cndmask_b32_e32 v6, 0, v6, vcc
	v_cmp_gt_i32_e32 vcc, s33, v44
	;; [unrolled: 2-line block ×3, first 2 shown]
	v_cndmask_b32_e32 v8, 0, v8, vcc
	s_or_b64 exec, exec, s[6:7]
	global_load_dwordx4 v[9:12], v[21:22], off offset:1024
	s_and_saveexec_b64 s[6:7], s[0:1]
	s_cbranch_execz .LBB29_32
.LBB29_38:                              ;   in Loop: Header=BB29_30 Depth=1
	v_cmp_gt_i32_e32 vcc, s33, v43
	s_waitcnt vmcnt(0)
	v_cndmask_b32_e32 v9, 0, v9, vcc
	v_cmp_gt_i32_e32 vcc, s33, v45
	v_cndmask_b32_e32 v10, 0, v10, vcc
	v_cmp_gt_i32_e32 vcc, s33, v44
	;; [unrolled: 2-line block ×3, first 2 shown]
	v_cndmask_b32_e32 v12, 0, v12, vcc
	s_or_b64 exec, exec, s[6:7]
	global_load_dwordx4 v[13:16], v[21:22], off offset:2048
	s_and_saveexec_b64 s[6:7], s[0:1]
	s_cbranch_execz .LBB29_33
.LBB29_39:                              ;   in Loop: Header=BB29_30 Depth=1
	v_cmp_gt_i32_e32 vcc, s33, v43
	s_waitcnt vmcnt(0)
	v_cndmask_b32_e32 v13, 0, v13, vcc
	v_cmp_gt_i32_e32 vcc, s33, v45
	v_cndmask_b32_e32 v14, 0, v14, vcc
	v_cmp_gt_i32_e32 vcc, s33, v44
	;; [unrolled: 2-line block ×3, first 2 shown]
	v_cndmask_b32_e32 v16, 0, v16, vcc
	s_or_b64 exec, exec, s[6:7]
	global_load_dwordx4 v[17:20], v[21:22], off offset:3072
	s_and_saveexec_b64 s[6:7], s[0:1]
	s_cbranch_execnz .LBB29_34
	s_branch .LBB29_35
.LBB29_40:
	s_or_b64 exec, exec, s[4:5]
.LBB29_41:
	s_or_b64 exec, exec, s[2:3]
	ds_bpermute_b32 v2, v33, v38
	ds_bpermute_b32 v1, v33, v37
	ds_bpermute_b32 v3, v33, v36
	ds_bpermute_b32 v4, v33, v35
	ds_bpermute_b32 v7, v33, v34
	s_waitcnt lgkmcnt(4)
	v_add_f32_e32 v2, v38, v2
	s_waitcnt lgkmcnt(3)
	v_add_f32_e32 v1, v37, v1
	ds_bpermute_b32 v6, v32, v2
	s_waitcnt lgkmcnt(3)
	v_add_f32_e32 v3, v36, v3
	s_waitcnt lgkmcnt(2)
	v_add_f32_e32 v4, v35, v4
	;; [unrolled: 2-line block ×3, first 2 shown]
	ds_bpermute_b32 v5, v32, v1
	ds_bpermute_b32 v8, v32, v3
	;; [unrolled: 1-line block ×4, first 2 shown]
	s_waitcnt lgkmcnt(4)
	v_add_f32_e32 v2, v2, v6
	v_and_b32_e32 v6, 0x3c3, v0
	s_waitcnt lgkmcnt(3)
	v_add_f32_e32 v1, v1, v5
	s_waitcnt lgkmcnt(2)
	v_add_f32_e32 v3, v3, v8
	s_waitcnt lgkmcnt(1)
	v_add_f32_e32 v4, v4, v9
	s_waitcnt lgkmcnt(0)
	v_add_f32_e32 v5, v7, v10
	v_cmp_eq_u32_e32 vcc, 64, v6
	s_barrier
	s_and_saveexec_b64 s[0:1], vcc
	s_cbranch_execz .LBB29_43
; %bb.42:
	v_add_u32_e32 v7, 0x150, v31
	ds_write2_b32 v7, v1, v2 offset1:16
	ds_write2_b32 v7, v3, v4 offset0:32 offset1:48
	ds_write_b32 v7, v5 offset:256
.LBB29_43:
	s_or_b64 exec, exec, s[0:1]
	v_cmp_gt_u32_e32 vcc, 64, v0
	s_waitcnt lgkmcnt(0)
	s_barrier
	s_and_saveexec_b64 s[0:1], vcc
	s_cbranch_execz .LBB29_51
; %bb.44:
	v_mov_b32_e32 v0, 0x150
	v_cmp_eq_u32_e32 vcc, 0, v29
	v_lshl_add_u32 v0, v28, 2, v0
	s_and_saveexec_b64 s[2:3], vcc
	s_cbranch_execnz .LBB29_54
; %bb.45:
	s_or_b64 exec, exec, s[2:3]
	s_and_saveexec_b64 s[2:3], vcc
	s_cbranch_execnz .LBB29_55
.LBB29_46:
	s_or_b64 exec, exec, s[2:3]
	s_and_saveexec_b64 s[2:3], vcc
	s_cbranch_execnz .LBB29_56
.LBB29_47:
	s_or_b64 exec, exec, s[2:3]
	s_and_saveexec_b64 s[2:3], vcc
	s_cbranch_execnz .LBB29_57
.LBB29_48:
	s_or_b64 exec, exec, s[2:3]
	s_and_saveexec_b64 s[2:3], vcc
	s_cbranch_execz .LBB29_50
.LBB29_49:
	ds_read_b32 v0, v0 offset:256
	s_waitcnt lgkmcnt(0)
	v_add_f32_e32 v5, v5, v0
.LBB29_50:
	s_or_b64 exec, exec, s[2:3]
.LBB29_51:
	s_or_b64 exec, exec, s[0:1]
	v_cmp_eq_u32_e32 vcc, 0, v6
	s_barrier
	s_and_saveexec_b64 s[0:1], vcc
	s_cbranch_execz .LBB29_53
; %bb.52:
	s_mul_i32 s0, s10, s11
	s_mul_i32 s0, s0, s9
	s_mulk_i32 s0, 0x50
	s_ashr_i32 s1, s0, 31
	s_lshl_b64 s[0:1], s[0:1], 2
	s_add_u32 s2, s18, s0
	s_mul_i32 s0, s11, s16
	s_addc_u32 s3, s19, s1
	s_ashr_i32 s1, s0, 31
	s_lshl_b64 s[0:1], s[0:1], 2
	s_add_u32 s2, s2, s0
	s_mul_i32 s0, s8, 0x50
	s_addc_u32 s3, s3, s1
	s_ashr_i32 s1, s0, 31
	s_lshl_b64 s[0:1], s[0:1], 2
	s_add_u32 s0, s2, s0
	s_addc_u32 s1, s3, s1
	global_store_dword v27, v1, s[0:1]
	global_store_dword v27, v2, s[0:1] offset:64
	global_store_dword v27, v3, s[0:1] offset:128
	global_store_dword v27, v4, s[0:1] offset:192
	global_store_dword v27, v5, s[0:1] offset:256
.LBB29_53:
	s_endpgm
.LBB29_54:
	ds_read_b32 v7, v0
	s_waitcnt lgkmcnt(0)
	v_add_f32_e32 v1, v1, v7
	s_or_b64 exec, exec, s[2:3]
	s_and_saveexec_b64 s[2:3], vcc
	s_cbranch_execz .LBB29_46
.LBB29_55:
	ds_read_b32 v7, v0 offset:64
	s_waitcnt lgkmcnt(0)
	v_add_f32_e32 v2, v2, v7
	s_or_b64 exec, exec, s[2:3]
	s_and_saveexec_b64 s[2:3], vcc
	s_cbranch_execz .LBB29_47
.LBB29_56:
	ds_read_b32 v7, v0 offset:128
	s_waitcnt lgkmcnt(0)
	v_add_f32_e32 v3, v3, v7
	s_or_b64 exec, exec, s[2:3]
	s_and_saveexec_b64 s[2:3], vcc
	s_cbranch_execz .LBB29_48
.LBB29_57:
	ds_read_b32 v7, v0 offset:192
	s_waitcnt lgkmcnt(0)
	v_add_f32_e32 v4, v4, v7
	s_or_b64 exec, exec, s[2:3]
	s_and_saveexec_b64 s[2:3], vcc
	s_cbranch_execnz .LBB29_49
	s_branch .LBB29_50
	.section	.rodata,"a",@progbits
	.p2align	6, 0x0
	.amdhsa_kernel _ZN4vllm25paged_attention_v1_kernelIffLi80ELi16ELi128ELNS_18Fp8KVCacheDataTypeE0ELb0EEEvPT_PKS2_PKT0_S8_ifPKiSA_iPKfiiiSC_SC_iiiii
		.amdhsa_group_segment_fixed_size 336
		.amdhsa_private_segment_fixed_size 0
		.amdhsa_kernarg_size 384
		.amdhsa_user_sgpr_count 6
		.amdhsa_user_sgpr_private_segment_buffer 1
		.amdhsa_user_sgpr_dispatch_ptr 0
		.amdhsa_user_sgpr_queue_ptr 0
		.amdhsa_user_sgpr_kernarg_segment_ptr 1
		.amdhsa_user_sgpr_dispatch_id 0
		.amdhsa_user_sgpr_flat_scratch_init 0
		.amdhsa_user_sgpr_private_segment_size 0
		.amdhsa_uses_dynamic_stack 0
		.amdhsa_system_sgpr_private_segment_wavefront_offset 0
		.amdhsa_system_sgpr_workgroup_id_x 1
		.amdhsa_system_sgpr_workgroup_id_y 1
		.amdhsa_system_sgpr_workgroup_id_z 1
		.amdhsa_system_sgpr_workgroup_info 0
		.amdhsa_system_vgpr_workitem_id 0
		.amdhsa_next_free_vgpr 61
		.amdhsa_next_free_sgpr 35
		.amdhsa_reserve_vcc 1
		.amdhsa_reserve_flat_scratch 0
		.amdhsa_float_round_mode_32 0
		.amdhsa_float_round_mode_16_64 0
		.amdhsa_float_denorm_mode_32 3
		.amdhsa_float_denorm_mode_16_64 3
		.amdhsa_dx10_clamp 1
		.amdhsa_ieee_mode 1
		.amdhsa_fp16_overflow 0
		.amdhsa_exception_fp_ieee_invalid_op 0
		.amdhsa_exception_fp_denorm_src 0
		.amdhsa_exception_fp_ieee_div_zero 0
		.amdhsa_exception_fp_ieee_overflow 0
		.amdhsa_exception_fp_ieee_underflow 0
		.amdhsa_exception_fp_ieee_inexact 0
		.amdhsa_exception_int_div_zero 0
	.end_amdhsa_kernel
	.section	.text._ZN4vllm25paged_attention_v1_kernelIffLi80ELi16ELi128ELNS_18Fp8KVCacheDataTypeE0ELb0EEEvPT_PKS2_PKT0_S8_ifPKiSA_iPKfiiiSC_SC_iiiii,"axG",@progbits,_ZN4vllm25paged_attention_v1_kernelIffLi80ELi16ELi128ELNS_18Fp8KVCacheDataTypeE0ELb0EEEvPT_PKS2_PKT0_S8_ifPKiSA_iPKfiiiSC_SC_iiiii,comdat
.Lfunc_end29:
	.size	_ZN4vllm25paged_attention_v1_kernelIffLi80ELi16ELi128ELNS_18Fp8KVCacheDataTypeE0ELb0EEEvPT_PKS2_PKT0_S8_ifPKiSA_iPKfiiiSC_SC_iiiii, .Lfunc_end29-_ZN4vllm25paged_attention_v1_kernelIffLi80ELi16ELi128ELNS_18Fp8KVCacheDataTypeE0ELb0EEEvPT_PKS2_PKT0_S8_ifPKiSA_iPKfiiiSC_SC_iiiii
                                        ; -- End function
	.set _ZN4vllm25paged_attention_v1_kernelIffLi80ELi16ELi128ELNS_18Fp8KVCacheDataTypeE0ELb0EEEvPT_PKS2_PKT0_S8_ifPKiSA_iPKfiiiSC_SC_iiiii.num_vgpr, 61
	.set _ZN4vllm25paged_attention_v1_kernelIffLi80ELi16ELi128ELNS_18Fp8KVCacheDataTypeE0ELb0EEEvPT_PKS2_PKT0_S8_ifPKiSA_iPKfiiiSC_SC_iiiii.num_agpr, 0
	.set _ZN4vllm25paged_attention_v1_kernelIffLi80ELi16ELi128ELNS_18Fp8KVCacheDataTypeE0ELb0EEEvPT_PKS2_PKT0_S8_ifPKiSA_iPKfiiiSC_SC_iiiii.numbered_sgpr, 35
	.set _ZN4vllm25paged_attention_v1_kernelIffLi80ELi16ELi128ELNS_18Fp8KVCacheDataTypeE0ELb0EEEvPT_PKS2_PKT0_S8_ifPKiSA_iPKfiiiSC_SC_iiiii.num_named_barrier, 0
	.set _ZN4vllm25paged_attention_v1_kernelIffLi80ELi16ELi128ELNS_18Fp8KVCacheDataTypeE0ELb0EEEvPT_PKS2_PKT0_S8_ifPKiSA_iPKfiiiSC_SC_iiiii.private_seg_size, 0
	.set _ZN4vllm25paged_attention_v1_kernelIffLi80ELi16ELi128ELNS_18Fp8KVCacheDataTypeE0ELb0EEEvPT_PKS2_PKT0_S8_ifPKiSA_iPKfiiiSC_SC_iiiii.uses_vcc, 1
	.set _ZN4vllm25paged_attention_v1_kernelIffLi80ELi16ELi128ELNS_18Fp8KVCacheDataTypeE0ELb0EEEvPT_PKS2_PKT0_S8_ifPKiSA_iPKfiiiSC_SC_iiiii.uses_flat_scratch, 0
	.set _ZN4vllm25paged_attention_v1_kernelIffLi80ELi16ELi128ELNS_18Fp8KVCacheDataTypeE0ELb0EEEvPT_PKS2_PKT0_S8_ifPKiSA_iPKfiiiSC_SC_iiiii.has_dyn_sized_stack, 0
	.set _ZN4vllm25paged_attention_v1_kernelIffLi80ELi16ELi128ELNS_18Fp8KVCacheDataTypeE0ELb0EEEvPT_PKS2_PKT0_S8_ifPKiSA_iPKfiiiSC_SC_iiiii.has_recursion, 0
	.set _ZN4vllm25paged_attention_v1_kernelIffLi80ELi16ELi128ELNS_18Fp8KVCacheDataTypeE0ELb0EEEvPT_PKS2_PKT0_S8_ifPKiSA_iPKfiiiSC_SC_iiiii.has_indirect_call, 0
	.section	.AMDGPU.csdata,"",@progbits
; Kernel info:
; codeLenInByte = 3588
; TotalNumSgprs: 39
; NumVgprs: 61
; ScratchSize: 0
; MemoryBound: 0
; FloatMode: 240
; IeeeMode: 1
; LDSByteSize: 336 bytes/workgroup (compile time only)
; SGPRBlocks: 4
; VGPRBlocks: 15
; NumSGPRsForWavesPerEU: 39
; NumVGPRsForWavesPerEU: 61
; Occupancy: 4
; WaveLimiterHint : 1
; COMPUTE_PGM_RSRC2:SCRATCH_EN: 0
; COMPUTE_PGM_RSRC2:USER_SGPR: 6
; COMPUTE_PGM_RSRC2:TRAP_HANDLER: 0
; COMPUTE_PGM_RSRC2:TGID_X_EN: 1
; COMPUTE_PGM_RSRC2:TGID_Y_EN: 1
; COMPUTE_PGM_RSRC2:TGID_Z_EN: 1
; COMPUTE_PGM_RSRC2:TIDIG_COMP_CNT: 0
	.section	.text._ZN4vllm25paged_attention_v1_kernelIffLi96ELi16ELi128ELNS_18Fp8KVCacheDataTypeE0ELb0EEEvPT_PKS2_PKT0_S8_ifPKiSA_iPKfiiiSC_SC_iiiii,"axG",@progbits,_ZN4vllm25paged_attention_v1_kernelIffLi96ELi16ELi128ELNS_18Fp8KVCacheDataTypeE0ELb0EEEvPT_PKS2_PKT0_S8_ifPKiSA_iPKfiiiSC_SC_iiiii,comdat
	.protected	_ZN4vllm25paged_attention_v1_kernelIffLi96ELi16ELi128ELNS_18Fp8KVCacheDataTypeE0ELb0EEEvPT_PKS2_PKT0_S8_ifPKiSA_iPKfiiiSC_SC_iiiii ; -- Begin function _ZN4vllm25paged_attention_v1_kernelIffLi96ELi16ELi128ELNS_18Fp8KVCacheDataTypeE0ELb0EEEvPT_PKS2_PKT0_S8_ifPKiSA_iPKfiiiSC_SC_iiiii
	.globl	_ZN4vllm25paged_attention_v1_kernelIffLi96ELi16ELi128ELNS_18Fp8KVCacheDataTypeE0ELb0EEEvPT_PKS2_PKT0_S8_ifPKiSA_iPKfiiiSC_SC_iiiii
	.p2align	8
	.type	_ZN4vllm25paged_attention_v1_kernelIffLi96ELi16ELi128ELNS_18Fp8KVCacheDataTypeE0ELb0EEEvPT_PKS2_PKT0_S8_ifPKiSA_iPKfiiiSC_SC_iiiii,@function
_ZN4vllm25paged_attention_v1_kernelIffLi96ELi16ELi128ELNS_18Fp8KVCacheDataTypeE0ELb0EEEvPT_PKS2_PKT0_S8_ifPKiSA_iPKfiiiSC_SC_iiiii: ; @_ZN4vllm25paged_attention_v1_kernelIffLi96ELi16ELi128ELNS_18Fp8KVCacheDataTypeE0ELb0EEEvPT_PKS2_PKT0_S8_ifPKiSA_iPKfiiiSC_SC_iiiii
; %bb.0:
	s_load_dword s9, s[4:5], 0x80
	s_load_dwordx2 s[0:1], s[4:5], 0x30
	s_load_dwordx2 s[26:27], s[4:5], 0x20
	s_mov_b32 s10, s7
	s_ashr_i32 s11, s7, 31
	s_lshl_b64 s[2:3], s[10:11], 2
	s_waitcnt lgkmcnt(0)
	s_add_u32 s0, s0, s2
	s_addc_u32 s1, s1, s3
	s_abs_i32 s2, s26
	v_cvt_f32_u32_e32 v1, s2
	s_sub_i32 s11, 0, s2
	s_abs_i32 s7, s9
	s_xor_b32 s3, s9, s26
	v_rcp_iflag_f32_e32 v1, v1
	s_ashr_i32 s3, s3, 31
	s_mov_b32 s26, 0
	v_mul_f32_e32 v1, 0x4f7ffffe, v1
	v_cvt_u32_f32_e32 v1, v1
	v_readfirstlane_b32 s12, v1
	s_mul_i32 s11, s11, s12
	s_mul_hi_u32 s11, s12, s11
	s_add_i32 s12, s12, s11
	s_mul_hi_u32 s11, s7, s12
	s_mul_i32 s12, s11, s2
	s_sub_i32 s7, s7, s12
	s_add_i32 s12, s11, 1
	s_sub_i32 s13, s7, s2
	s_cmp_ge_u32 s7, s2
	s_cselect_b32 s11, s12, s11
	s_cselect_b32 s7, s13, s7
	s_add_i32 s12, s11, 1
	s_cmp_ge_u32 s7, s2
	s_cselect_b32 s2, s12, s11
	s_xor_b32 s2, s2, s3
	s_sub_i32 s12, s2, s3
	s_abs_i32 s11, s12
	v_cvt_f32_u32_e32 v1, s11
	s_load_dwordx2 s[2:3], s[4:5], 0x40
	s_sub_i32 s7, 0, s11
	s_abs_i32 s18, s6
	v_rcp_iflag_f32_e32 v1, v1
	v_mul_f32_e32 v1, 0x4f7ffffe, v1
	v_cvt_u32_f32_e32 v1, v1
	v_readfirstlane_b32 s13, v1
	s_mul_i32 s7, s7, s13
	s_mul_hi_u32 s7, s13, s7
	s_add_i32 s13, s13, s7
	s_waitcnt lgkmcnt(0)
	s_cmp_eq_u64 s[2:3], 0
	s_mul_hi_u32 s19, s18, s13
	s_cbranch_scc1 .LBB30_2
; %bb.1:
	s_ashr_i32 s7, s6, 31
	s_lshl_b64 s[14:15], s[6:7], 2
	s_add_u32 s2, s2, s14
	s_addc_u32 s3, s3, s15
	s_load_dword s26, s[2:3], 0x0
.LBB30_2:
	s_load_dword s33, s[0:1], 0x0
	s_ashr_i32 s3, s12, 31
	s_load_dwordx4 s[12:15], s[4:5], 0x48
	v_lshrrev_b32_e32 v32, 2, v0
	s_movk_i32 s7, 0x60
	s_ashr_i32 s2, s6, 31
	v_and_b32_e32 v33, 3, v0
	s_mul_i32 s16, s6, 0x60
	v_cmp_gt_u32_e32 vcc, s7, v0
	v_lshlrev_b32_e32 v12, 2, v0
	v_lshlrev_b32_e32 v31, 2, v32
	s_and_saveexec_b64 s[0:1], vcc
	s_cbranch_execz .LBB30_4
; %bb.3:
	s_load_dwordx2 s[20:21], s[4:5], 0x8
	s_waitcnt lgkmcnt(0)
	s_mul_i32 s22, s12, s10
	s_ashr_i32 s23, s22, 31
	s_lshl_b64 s[22:23], s[22:23], 2
	v_mad_u32_u24 v2, v33, s7, v31
	s_add_u32 s6, s20, s22
	s_addc_u32 s12, s21, s23
	s_ashr_i32 s17, s16, 31
	s_lshl_b64 s[20:21], s[16:17], 2
	s_add_u32 s20, s6, s20
	s_addc_u32 s21, s12, s21
	global_load_dword v1, v12, s[20:21]
	s_waitcnt vmcnt(0)
	ds_write_b32 v2, v1
.LBB30_4:
	s_or_b64 exec, exec, s[0:1]
	s_waitcnt lgkmcnt(0)
	s_add_i32 s1, s33, 15
	s_ashr_i32 s6, s1, 31
	s_lshr_b32 s6, s6, 28
	s_add_i32 s1, s1, s6
	s_ashr_i32 s12, s1, 4
	s_xor_b32 s1, s2, s3
	s_mul_i32 s2, s19, s11
	s_sub_i32 s2, s18, s2
	s_add_i32 s3, s19, 1
	s_sub_i32 s6, s2, s11
	s_load_dwordx2 s[20:21], s[4:5], 0x28
	s_load_dword s0, s[4:5], 0x38
	s_cmp_ge_u32 s2, s11
	s_cselect_b32 s3, s3, s19
	s_cselect_b32 s2, s6, s2
	s_add_i32 s6, s3, 1
	s_cmp_ge_u32 s2, s11
	s_cselect_b32 s2, s6, s3
	v_lshrrev_b32_e32 v34, 6, v0
	s_xor_b32 s2, s2, s1
	s_waitcnt lgkmcnt(0)
	s_mul_i32 s22, s0, s10
	s_sub_i32 s15, s2, s1
	s_ashr_i32 s23, s22, 31
	v_cmp_gt_i32_e64 s[0:1], s12, v34
	v_cmp_le_i32_e32 vcc, s12, v34
	v_mbcnt_lo_u32_b32 v1, -1, 0
	s_barrier
                                        ; implicit-def: $vgpr29
                                        ; implicit-def: $vgpr37
                                        ; implicit-def: $vgpr30
	s_and_saveexec_b64 s[2:3], vcc
	s_xor_b64 s[2:3], exec, s[2:3]
; %bb.5:
	v_mbcnt_hi_u32_b32 v29, -1, v1
	v_and_b32_e32 v37, 64, v29
	v_add_u32_e32 v30, 64, v37
                                        ; implicit-def: $vgpr1
; %bb.6:
	s_or_saveexec_b64 s[6:7], s[2:3]
	s_load_dwordx2 s[18:19], s[4:5], 0x0
	s_load_dwordx2 s[24:25], s[4:5], 0x18
	s_load_dword s11, s[4:5], 0x88
	v_mov_b32_e32 v39, 0xff7fffff
	s_mul_i32 s14, s15, s14
	v_lshrrev_b32_e32 v13, 4, v0
	s_xor_b64 exec, exec, s[6:7]
	s_cbranch_execz .LBB30_12
; %bb.7:
	s_load_dwordx2 s[2:3], s[4:5], 0x10
	s_ashr_i32 s15, s14, 31
	s_lshl_b64 s[4:5], s[14:15], 2
	v_bfe_u32 v2, v0, 2, 4
	v_lshlrev_b32_e32 v4, 4, v2
	s_waitcnt lgkmcnt(0)
	s_add_u32 s2, s2, s4
	s_addc_u32 s3, s3, s5
	v_mov_b32_e32 v5, s3
	v_add_co_u32_e32 v4, vcc, s2, v4
	v_addc_co_u32_e32 v5, vcc, 0, v5, vcc
	v_lshlrev_b32_e32 v6, 2, v33
	v_mbcnt_hi_u32_b32 v29, -1, v1
	v_add_co_u32_e32 v35, vcc, v4, v6
	v_and_b32_e32 v37, 64, v29
	v_addc_co_u32_e32 v36, vcc, 0, v5, vcc
	v_add_u32_e32 v30, 64, v37
	v_xor_b32_e32 v1, 2, v29
	v_cmp_lt_i32_e32 vcc, v1, v30
	v_cndmask_b32_e32 v1, v29, v1, vcc
	v_lshlrev_b32_e32 v38, 2, v1
	v_xor_b32_e32 v1, 1, v29
	v_cmp_lt_i32_e32 vcc, v1, v30
	v_lshlrev_b32_e32 v3, 2, v2
	v_cndmask_b32_e32 v1, v29, v1, vcc
	s_sub_i32 s15, 1, s33
	s_lshl_b64 s[4:5], s[22:23], 2
	v_lshlrev_b32_e32 v40, 2, v1
	v_lshl_or_b32 v1, v34, 6, v3
	s_add_u32 s4, s20, s4
	v_add_u32_e32 v42, 0x190, v1
	v_and_b32_e32 v1, 60, v13
	s_addc_u32 s5, s21, s5
	v_mul_u32_u24_e32 v21, 0x60, v33
	v_lshl_or_b32 v41, v34, 4, v2
	v_mov_b32_e32 v2, s5
	v_add_co_u32_e64 v25, s[4:5], s4, v1
	v_addc_co_u32_e64 v26, s[4:5], 0, v2, s[4:5]
	ds_read_b128 v[1:4], v21
	ds_read_b128 v[5:8], v21 offset:16
	ds_read_b128 v[9:12], v21 offset:32
	;; [unrolled: 1-line block ×5, first 2 shown]
	s_mov_b32 s17, s13
	v_cmp_eq_u32_e32 vcc, 0, v33
	v_cmp_neq_f32_e64 s[2:3], s26, 0
	v_mov_b32_e32 v39, 0xff7fffff
	s_mov_b64 s[28:29], 0
	s_movk_i32 s34, 0x1000
	v_mov_b32_e32 v43, v34
	s_branch .LBB30_9
.LBB30_8:                               ;   in Loop: Header=BB30_9 Depth=1
	s_or_b64 exec, exec, s[30:31]
	v_add_u32_e32 v43, 2, v43
	v_cmp_le_i32_e64 s[4:5], s12, v43
	s_or_b64 s[28:29], s[4:5], s[28:29]
	v_add_co_u32_e64 v25, s[4:5], 8, v25
	v_add_u32_e32 v41, 32, v41
	v_add_u32_e32 v42, 0x80, v42
	v_addc_co_u32_e64 v26, s[4:5], 0, v26, s[4:5]
	s_andn2_b64 exec, exec, s[28:29]
	s_cbranch_execz .LBB30_11
.LBB30_9:                               ; =>This Inner Loop Header: Depth=1
	global_load_dword v44, v[25:26], off
	s_waitcnt vmcnt(0) lgkmcnt(0)
	v_mad_i64_i32 v[44:45], s[4:5], v44, s17, 0
	v_lshlrev_b64 v[44:45], 2, v[44:45]
	v_add_co_u32_e64 v44, s[4:5], v35, v44
	v_addc_co_u32_e64 v45, s[4:5], v36, v45, s[4:5]
	global_load_dword v48, v[44:45], off
	global_load_dword v49, v[44:45], off offset:256
	global_load_dword v50, v[44:45], off offset:512
	;; [unrolled: 1-line block ×7, first 2 shown]
	v_add_co_u32_e64 v46, s[4:5], s34, v44
	v_addc_co_u32_e64 v47, s[4:5], 0, v45, s[4:5]
	global_load_dword v56, v[44:45], off offset:2048
	global_load_dword v57, v[44:45], off offset:2304
	;; [unrolled: 1-line block ×7, first 2 shown]
	s_nop 0
	global_load_dword v44, v[44:45], off offset:3840
	s_nop 0
	global_load_dword v45, v[46:47], off
	global_load_dword v63, v[46:47], off offset:256
	global_load_dword v27, v[46:47], off offset:512
	;; [unrolled: 1-line block ×6, first 2 shown]
	s_nop 0
	global_load_dword v46, v[46:47], off offset:1792
	s_waitcnt vmcnt(22) lgkmcnt(5)
	v_mul_f32_e32 v47, v2, v49
	v_fmac_f32_e32 v47, v1, v48
	s_waitcnt vmcnt(21)
	v_fmac_f32_e32 v47, v3, v50
	s_waitcnt vmcnt(20)
	v_fmac_f32_e32 v47, v4, v51
	s_waitcnt vmcnt(19) lgkmcnt(4)
	v_fmac_f32_e32 v47, v5, v52
	s_waitcnt vmcnt(18)
	v_fmac_f32_e32 v47, v6, v53
	s_waitcnt vmcnt(17)
	v_fmac_f32_e32 v47, v7, v54
	s_waitcnt vmcnt(16)
	v_fmac_f32_e32 v47, v8, v55
	s_waitcnt vmcnt(15) lgkmcnt(3)
	v_fmac_f32_e32 v47, v9, v56
	s_waitcnt vmcnt(14)
	;; [unrolled: 8-line block ×5, first 2 shown]
	v_fmac_f32_e32 v47, v22, v31
	s_waitcnt vmcnt(1)
	v_fmac_f32_e32 v47, v23, v33
	s_waitcnt vmcnt(0)
	v_fmac_f32_e32 v47, v24, v46
	ds_bpermute_b32 v27, v38, v47
	s_waitcnt lgkmcnt(0)
	v_add_f32_e32 v44, v47, v27
	ds_bpermute_b32 v45, v40, v44
	s_and_saveexec_b64 s[30:31], vcc
	s_cbranch_execz .LBB30_8
; %bb.10:                               ;   in Loop: Header=BB30_9 Depth=1
	v_add_u32_e32 v27, s15, v41
	v_cvt_f32_i32_e32 v27, v27
	s_waitcnt lgkmcnt(0)
	v_add_f32_e32 v28, v44, v45
	v_max_f32_e32 v31, v39, v39
	v_cmp_gt_i32_e64 s[4:5], s33, v41
	v_mul_f32_e32 v27, s26, v27
	v_cndmask_b32_e64 v27, 0, v27, s[2:3]
	v_fmac_f32_e32 v27, s27, v28
	v_cndmask_b32_e64 v28, 0, v27, s[4:5]
	v_max_f32_e32 v27, v31, v27
	v_cndmask_b32_e64 v39, v39, v27, s[4:5]
	ds_write_b32 v42, v28
	s_branch .LBB30_8
.LBB30_11:
	s_or_b64 exec, exec, s[28:29]
	v_lshrrev_b32_e32 v32, 2, v0
	v_lshlrev_b32_e32 v31, 2, v32
	v_and_b32_e32 v33, 3, v0
	v_lshlrev_b32_e32 v12, 2, v0
	v_lshrrev_b32_e32 v13, 4, v0
.LBB30_12:
	s_or_b64 exec, exec, s[6:7]
	v_xor_b32_e32 v1, 32, v29
	v_cmp_lt_i32_e32 vcc, v1, v30
	v_cndmask_b32_e32 v1, v29, v1, vcc
	v_lshlrev_b32_e32 v1, 2, v1
	ds_bpermute_b32 v2, v1, v39
	v_xor_b32_e32 v4, 16, v29
	v_max_f32_e32 v3, v39, v39
	v_cmp_lt_i32_e32 vcc, v4, v30
	v_xor_b32_e32 v5, 8, v29
	s_waitcnt lgkmcnt(0)
	v_max_f32_e32 v2, v2, v2
	v_max_f32_e32 v3, v3, v2
	v_cndmask_b32_e32 v2, v29, v4, vcc
	v_lshlrev_b32_e32 v2, 2, v2
	ds_bpermute_b32 v4, v2, v3
	v_cmp_lt_i32_e32 vcc, v5, v30
	v_xor_b32_e32 v6, 4, v29
	v_and_b32_e32 v35, 63, v0
	s_waitcnt lgkmcnt(0)
	v_max_f32_e32 v4, v4, v4
	v_max_f32_e32 v3, v3, v4
	v_cndmask_b32_e32 v4, v29, v5, vcc
	v_lshlrev_b32_e32 v5, 2, v4
	ds_bpermute_b32 v4, v5, v3
	v_cmp_lt_i32_e32 vcc, v6, v30
	s_waitcnt lgkmcnt(0)
	v_max_f32_e32 v4, v4, v4
	v_max_f32_e32 v4, v3, v4
	v_cndmask_b32_e32 v3, v29, v6, vcc
	v_lshlrev_b32_e32 v6, 2, v3
	ds_bpermute_b32 v7, v6, v4
	v_cmp_eq_u32_e32 vcc, 0, v35
	v_lshlrev_b32_e32 v3, 2, v34
	s_and_saveexec_b64 s[2:3], vcc
	s_cbranch_execz .LBB30_14
; %bb.13:
	s_waitcnt lgkmcnt(0)
	v_max_f32_e32 v7, v7, v7
	v_max_f32_e32 v4, v4, v4
	;; [unrolled: 1-line block ×3, first 2 shown]
	ds_write_b32 v3, v4 offset:384
.LBB30_14:
	s_or_b64 exec, exec, s[2:3]
	v_cmp_gt_u32_e64 s[2:3], 2, v35
	s_waitcnt lgkmcnt(0)
	v_mov_b32_e32 v7, 0xff7fffff
	v_lshlrev_b32_e32 v4, 2, v35
	s_barrier
	s_and_saveexec_b64 s[4:5], s[2:3]
; %bb.15:
	ds_read_b32 v7, v4 offset:384
; %bb.16:
	s_or_b64 exec, exec, s[4:5]
	v_xor_b32_e32 v8, 1, v29
	v_cmp_lt_i32_e64 s[4:5], v8, v30
	v_cndmask_b32_e64 v8, v29, v8, s[4:5]
	v_lshlrev_b32_e32 v36, 2, v8
	s_waitcnt lgkmcnt(0)
	ds_bpermute_b32 v8, v36, v7
	v_max_f32_e32 v7, v7, v7
	s_lshl_b32 s4, s12, 4
	s_min_i32 s15, s4, s33
	v_cmp_gt_i32_e64 s[4:5], s15, v0
	s_waitcnt lgkmcnt(0)
	v_max_f32_e32 v8, v8, v8
	v_max_f32_e32 v7, v7, v8
	v_lshlrev_b32_e32 v8, 2, v37
	ds_bpermute_b32 v8, v8, v7
	v_mov_b32_e32 v7, 0
	s_and_saveexec_b64 s[26:27], s[4:5]
	s_cbranch_execz .LBB30_20
; %bb.17:
	v_mov_b32_e32 v7, 0x190
	v_lshl_add_u32 v9, v0, 2, v7
	v_mov_b32_e32 v7, 0
	s_mov_b64 s[28:29], 0
	v_mov_b32_e32 v10, v0
.LBB30_18:                              ; =>This Inner Loop Header: Depth=1
	ds_read_b32 v11, v9
	v_add_u32_e32 v10, 0x80, v10
	v_cmp_le_i32_e64 s[6:7], s15, v10
	s_or_b64 s[28:29], s[6:7], s[28:29]
	s_waitcnt lgkmcnt(0)
	v_sub_f32_e32 v11, v11, v8
	v_mul_f32_e32 v11, 0x3fb8aa3b, v11
	v_exp_f32_e32 v11, v11
	ds_write_b32 v9, v11
	v_add_f32_e32 v7, v7, v11
	v_add_u32_e32 v9, 0x200, v9
	s_andn2_b64 exec, exec, s[28:29]
	s_cbranch_execnz .LBB30_18
; %bb.19:
	s_or_b64 exec, exec, s[28:29]
.LBB30_20:
	s_or_b64 exec, exec, s[26:27]
	ds_bpermute_b32 v1, v1, v7
	s_waitcnt lgkmcnt(0)
	v_add_f32_e32 v1, v7, v1
	ds_bpermute_b32 v2, v2, v1
	s_waitcnt lgkmcnt(0)
	v_add_f32_e32 v1, v1, v2
	ds_bpermute_b32 v2, v5, v1
	v_xor_b32_e32 v5, 2, v29
	v_cmp_lt_i32_e64 s[6:7], v5, v30
	v_cndmask_b32_e64 v5, v29, v5, s[6:7]
	v_lshlrev_b32_e32 v37, 2, v5
	s_waitcnt lgkmcnt(0)
	v_add_f32_e32 v1, v1, v2
	ds_bpermute_b32 v2, v6, v1
	s_waitcnt lgkmcnt(0)
	v_add_f32_e32 v1, v1, v2
	ds_bpermute_b32 v2, v37, v1
	;; [unrolled: 3-line block ×3, first 2 shown]
	s_waitcnt lgkmcnt(0)
	v_add_f32_e32 v1, v1, v2
	s_and_saveexec_b64 s[6:7], vcc
; %bb.21:
	ds_write_b32 v3, v1 offset:392
; %bb.22:
	s_or_b64 exec, exec, s[6:7]
	s_waitcnt lgkmcnt(0)
	s_barrier
	s_and_saveexec_b64 s[6:7], s[2:3]
; %bb.23:
	ds_read_b32 v1, v4 offset:392
; %bb.24:
	s_or_b64 exec, exec, s[6:7]
	s_waitcnt lgkmcnt(0)
	ds_bpermute_b32 v2, v36, v1
	v_lshlrev_b32_e32 v3, 2, v29
	s_waitcnt lgkmcnt(0)
	v_add_f32_e32 v1, v1, v2
	v_and_b32_e32 v2, 0xffffff00, v3
	ds_bpermute_b32 v1, v2, v1
	s_and_saveexec_b64 s[2:3], s[4:5]
	s_cbranch_execz .LBB30_27
; %bb.25:
	s_waitcnt lgkmcnt(0)
	v_add_f32_e32 v2, 0x358637bd, v1
	v_div_scale_f32 v1, s[4:5], v2, v2, 1.0
	v_div_scale_f32 v3, vcc, 1.0, v2, 1.0
	s_mov_b64 s[4:5], 0
	v_rcp_f32_e32 v4, v1
	v_fma_f32 v5, -v1, v4, 1.0
	v_fmac_f32_e32 v4, v5, v4
	v_mul_f32_e32 v5, v3, v4
	v_fma_f32 v6, -v1, v5, v3
	v_fmac_f32_e32 v5, v6, v4
	v_fma_f32 v1, -v1, v5, v3
	v_div_fmas_f32 v3, v1, v4, v5
	v_mov_b32_e32 v1, 0x190
	v_lshl_add_u32 v1, v0, 2, v1
	v_div_fixup_f32 v2, v3, v2, 1.0
	v_mov_b32_e32 v3, v0
.LBB30_26:                              ; =>This Inner Loop Header: Depth=1
	ds_read_b32 v4, v1
	v_add_u32_e32 v3, 0x80, v3
	v_cmp_le_i32_e32 vcc, s15, v3
	s_or_b64 s[4:5], vcc, s[4:5]
	s_waitcnt lgkmcnt(0)
	v_mul_f32_e32 v4, v2, v4
	ds_write_b32 v1, v4
	v_add_u32_e32 v1, 0x200, v1
	s_andn2_b64 exec, exec, s[4:5]
	s_cbranch_execnz .LBB30_26
.LBB30_27:
	s_or_b64 exec, exec, s[2:3]
	v_mov_b32_e32 v43, 0
	v_mov_b32_e32 v42, 0
	;; [unrolled: 1-line block ×6, first 2 shown]
	s_waitcnt lgkmcnt(0)
	s_barrier
	s_and_saveexec_b64 s[2:3], s[0:1]
	s_cbranch_execz .LBB30_43
; %bb.28:
	s_ashr_i32 s15, s14, 31
	s_lshl_b64 s[0:1], s[14:15], 2
	v_lshlrev_b32_e32 v2, 4, v0
	s_add_u32 s0, s24, s0
	v_and_b32_e32 v2, 0x3f0, v2
	v_and_b32_e32 v1, 12, v12
	s_addc_u32 s1, s25, s1
	v_add_co_u32_e32 v44, vcc, s0, v2
	v_lshlrev_b32_e32 v2, 4, v34
	s_add_i32 s14, s12, -1
	v_mov_b32_e32 v3, s1
	v_or3_b32 v46, v2, v1, 3
	v_lshlrev_b32_e32 v1, 4, v33
	s_lshl_b64 s[0:1], s[22:23], 2
	v_lshl_or_b32 v1, v34, 6, v1
	s_add_u32 s0, s20, s0
	v_addc_co_u32_e32 v45, vcc, 0, v3, vcc
	v_add_u32_e32 v47, 0x190, v1
	v_and_b32_e32 v1, 60, v13
	s_addc_u32 s1, s21, s1
	v_mov_b32_e32 v2, s1
	v_add_co_u32_e32 v29, vcc, s0, v1
	v_mov_b32_e32 v38, 0
	v_addc_co_u32_e32 v30, vcc, 0, v2, vcc
	s_mov_b64 s[4:5], 0
	v_mov_b32_e32 v39, 0
	v_mov_b32_e32 v40, 0
	;; [unrolled: 1-line block ×5, first 2 shown]
	s_branch .LBB30_30
.LBB30_29:                              ;   in Loop: Header=BB30_30 Depth=1
	s_or_b64 exec, exec, s[6:7]
	s_waitcnt vmcnt(1) lgkmcnt(0)
	v_mul_f32_e32 v25, v1, v25
	v_mul_f32_e32 v17, v1, v17
	;; [unrolled: 1-line block ×5, first 2 shown]
	s_waitcnt vmcnt(0)
	v_mul_f32_e32 v1, v1, v21
	v_fmac_f32_e32 v25, v2, v26
	v_fmac_f32_e32 v17, v2, v18
	;; [unrolled: 1-line block ×6, first 2 shown]
	v_add_u32_e32 v34, 2, v34
	v_fmac_f32_e32 v25, v3, v27
	v_fmac_f32_e32 v17, v3, v19
	v_fmac_f32_e32 v13, v3, v15
	v_fmac_f32_e32 v9, v3, v11
	v_fmac_f32_e32 v5, v3, v7
	v_fmac_f32_e32 v1, v3, v23
	v_cmp_le_i32_e32 vcc, s12, v34
	v_fmac_f32_e32 v25, v4, v28
	v_fmac_f32_e32 v17, v4, v20
	;; [unrolled: 1-line block ×6, first 2 shown]
	s_or_b64 s[4:5], vcc, s[4:5]
	v_add_co_u32_e32 v29, vcc, 8, v29
	v_add_f32_e32 v39, v39, v25
	v_add_f32_e32 v40, v40, v17
	;; [unrolled: 1-line block ×6, first 2 shown]
	v_add_u32_e32 v46, 32, v46
	v_add_u32_e32 v47, 0x80, v47
	v_addc_co_u32_e32 v30, vcc, 0, v30, vcc
	s_andn2_b64 exec, exec, s[4:5]
	s_cbranch_execz .LBB30_42
.LBB30_30:                              ; =>This Inner Loop Header: Depth=1
	global_load_dword v1, v[29:30], off
	v_add_u32_e32 v48, -3, v46
	v_add_u32_e32 v50, -2, v46
	;; [unrolled: 1-line block ×3, first 2 shown]
	s_waitcnt vmcnt(0)
	v_mad_i64_i32 v[1:2], s[0:1], v1, s13, 0
	v_cmp_eq_u32_e64 s[0:1], s14, v34
	v_lshlrev_b64 v[1:2], 2, v[1:2]
	v_add_co_u32_e32 v21, vcc, v44, v1
	v_addc_co_u32_e32 v22, vcc, v45, v2, vcc
	global_load_dwordx4 v[5:8], v[21:22], off
	ds_read_b128 v[1:4], v47
	s_and_saveexec_b64 s[6:7], s[0:1]
	s_cbranch_execnz .LBB30_39
; %bb.31:                               ;   in Loop: Header=BB30_30 Depth=1
	s_or_b64 exec, exec, s[6:7]
	global_load_dwordx4 v[9:12], v[21:22], off offset:1024
	s_and_saveexec_b64 s[6:7], s[0:1]
	s_cbranch_execnz .LBB30_40
.LBB30_32:                              ;   in Loop: Header=BB30_30 Depth=1
	s_or_b64 exec, exec, s[6:7]
	global_load_dwordx4 v[13:16], v[21:22], off offset:2048
	s_and_saveexec_b64 s[6:7], s[0:1]
	s_cbranch_execnz .LBB30_41
.LBB30_33:                              ;   in Loop: Header=BB30_30 Depth=1
	s_or_b64 exec, exec, s[6:7]
	global_load_dwordx4 v[17:20], v[21:22], off offset:3072
	s_and_saveexec_b64 s[6:7], s[0:1]
	s_cbranch_execz .LBB30_35
.LBB30_34:                              ;   in Loop: Header=BB30_30 Depth=1
	v_cmp_gt_i32_e32 vcc, s33, v48
	s_waitcnt vmcnt(0)
	v_cndmask_b32_e32 v17, 0, v17, vcc
	v_cmp_gt_i32_e32 vcc, s33, v50
	v_cndmask_b32_e32 v18, 0, v18, vcc
	v_cmp_gt_i32_e32 vcc, s33, v49
	;; [unrolled: 2-line block ×3, first 2 shown]
	v_cndmask_b32_e32 v20, 0, v20, vcc
.LBB30_35:                              ;   in Loop: Header=BB30_30 Depth=1
	s_or_b64 exec, exec, s[6:7]
	v_add_co_u32_e32 v23, vcc, 0x1000, v21
	v_addc_co_u32_e32 v24, vcc, 0, v22, vcc
	global_load_dwordx4 v[25:28], v[23:24], off
	s_and_saveexec_b64 s[6:7], s[0:1]
	s_cbranch_execz .LBB30_37
; %bb.36:                               ;   in Loop: Header=BB30_30 Depth=1
	v_cmp_gt_i32_e32 vcc, s33, v48
	s_waitcnt vmcnt(0)
	v_cndmask_b32_e32 v25, 0, v25, vcc
	v_cmp_gt_i32_e32 vcc, s33, v50
	v_cndmask_b32_e32 v26, 0, v26, vcc
	v_cmp_gt_i32_e32 vcc, s33, v49
	;; [unrolled: 2-line block ×3, first 2 shown]
	v_cndmask_b32_e32 v28, 0, v28, vcc
.LBB30_37:                              ;   in Loop: Header=BB30_30 Depth=1
	s_or_b64 exec, exec, s[6:7]
	v_add_co_u32_e32 v21, vcc, 0x1000, v21
	v_addc_co_u32_e32 v22, vcc, 0, v22, vcc
	global_load_dwordx4 v[21:24], v[21:22], off offset:1024
	s_and_saveexec_b64 s[6:7], s[0:1]
	s_cbranch_execz .LBB30_29
; %bb.38:                               ;   in Loop: Header=BB30_30 Depth=1
	v_cmp_gt_i32_e32 vcc, s33, v48
	s_waitcnt vmcnt(0)
	v_cndmask_b32_e32 v21, 0, v21, vcc
	v_cmp_gt_i32_e32 vcc, s33, v50
	v_cndmask_b32_e32 v22, 0, v22, vcc
	v_cmp_gt_i32_e32 vcc, s33, v49
	v_cndmask_b32_e32 v23, 0, v23, vcc
	v_cmp_gt_i32_e32 vcc, s33, v46
	v_cndmask_b32_e32 v24, 0, v24, vcc
	s_branch .LBB30_29
.LBB30_39:                              ;   in Loop: Header=BB30_30 Depth=1
	v_cmp_gt_i32_e32 vcc, s33, v48
	s_waitcnt vmcnt(0)
	v_cndmask_b32_e32 v5, 0, v5, vcc
	v_cmp_gt_i32_e32 vcc, s33, v50
	v_cndmask_b32_e32 v6, 0, v6, vcc
	v_cmp_gt_i32_e32 vcc, s33, v49
	;; [unrolled: 2-line block ×3, first 2 shown]
	v_cndmask_b32_e32 v8, 0, v8, vcc
	s_or_b64 exec, exec, s[6:7]
	global_load_dwordx4 v[9:12], v[21:22], off offset:1024
	s_and_saveexec_b64 s[6:7], s[0:1]
	s_cbranch_execz .LBB30_32
.LBB30_40:                              ;   in Loop: Header=BB30_30 Depth=1
	v_cmp_gt_i32_e32 vcc, s33, v48
	s_waitcnt vmcnt(0)
	v_cndmask_b32_e32 v9, 0, v9, vcc
	v_cmp_gt_i32_e32 vcc, s33, v50
	v_cndmask_b32_e32 v10, 0, v10, vcc
	v_cmp_gt_i32_e32 vcc, s33, v49
	;; [unrolled: 2-line block ×3, first 2 shown]
	v_cndmask_b32_e32 v12, 0, v12, vcc
	s_or_b64 exec, exec, s[6:7]
	global_load_dwordx4 v[13:16], v[21:22], off offset:2048
	s_and_saveexec_b64 s[6:7], s[0:1]
	s_cbranch_execz .LBB30_33
.LBB30_41:                              ;   in Loop: Header=BB30_30 Depth=1
	v_cmp_gt_i32_e32 vcc, s33, v48
	s_waitcnt vmcnt(0)
	v_cndmask_b32_e32 v13, 0, v13, vcc
	v_cmp_gt_i32_e32 vcc, s33, v50
	v_cndmask_b32_e32 v14, 0, v14, vcc
	v_cmp_gt_i32_e32 vcc, s33, v49
	;; [unrolled: 2-line block ×3, first 2 shown]
	v_cndmask_b32_e32 v16, 0, v16, vcc
	s_or_b64 exec, exec, s[6:7]
	global_load_dwordx4 v[17:20], v[21:22], off offset:3072
	s_and_saveexec_b64 s[6:7], s[0:1]
	s_cbranch_execnz .LBB30_34
	s_branch .LBB30_35
.LBB30_42:
	s_or_b64 exec, exec, s[4:5]
.LBB30_43:
	s_or_b64 exec, exec, s[2:3]
	ds_bpermute_b32 v1, v37, v43
	ds_bpermute_b32 v2, v37, v42
	ds_bpermute_b32 v3, v37, v41
	ds_bpermute_b32 v4, v37, v40
	ds_bpermute_b32 v5, v37, v39
	s_waitcnt lgkmcnt(4)
	v_add_f32_e32 v1, v43, v1
	ds_bpermute_b32 v6, v36, v1
	s_waitcnt lgkmcnt(4)
	v_add_f32_e32 v2, v42, v2
	s_waitcnt lgkmcnt(3)
	v_add_f32_e32 v3, v41, v3
	ds_bpermute_b32 v7, v36, v2
	s_waitcnt lgkmcnt(3)
	v_add_f32_e32 v4, v40, v4
	s_waitcnt lgkmcnt(1)
	v_add_f32_e32 v1, v1, v6
	ds_bpermute_b32 v6, v37, v38
	v_add_f32_e32 v5, v39, v5
	ds_bpermute_b32 v8, v36, v3
	ds_bpermute_b32 v9, v36, v4
	;; [unrolled: 1-line block ×3, first 2 shown]
	s_waitcnt lgkmcnt(3)
	v_add_f32_e32 v6, v38, v6
	ds_bpermute_b32 v11, v36, v6
	v_add_f32_e32 v2, v2, v7
	v_and_b32_e32 v7, 0x3c3, v0
	s_waitcnt lgkmcnt(3)
	v_add_f32_e32 v3, v3, v8
	s_waitcnt lgkmcnt(2)
	v_add_f32_e32 v4, v4, v9
	;; [unrolled: 2-line block ×4, first 2 shown]
	v_cmp_eq_u32_e32 vcc, 64, v7
	s_barrier
	s_and_saveexec_b64 s[0:1], vcc
	s_cbranch_execz .LBB30_45
; %bb.44:
	v_add_u32_e32 v8, 0x190, v35
	ds_write2_b32 v8, v1, v2 offset1:16
	ds_write2_b32 v8, v3, v4 offset0:32 offset1:48
	ds_write2_b32 v8, v5, v6 offset0:64 offset1:80
.LBB30_45:
	s_or_b64 exec, exec, s[0:1]
	v_cmp_gt_u32_e32 vcc, 64, v0
	s_waitcnt lgkmcnt(0)
	s_barrier
	s_and_saveexec_b64 s[0:1], vcc
	s_cbranch_execz .LBB30_54
; %bb.46:
	v_mov_b32_e32 v0, 0x190
	v_cmp_eq_u32_e32 vcc, 0, v33
	v_lshl_add_u32 v0, v32, 2, v0
	s_and_saveexec_b64 s[2:3], vcc
	s_cbranch_execnz .LBB30_57
; %bb.47:
	s_or_b64 exec, exec, s[2:3]
	s_and_saveexec_b64 s[2:3], vcc
	s_cbranch_execnz .LBB30_58
.LBB30_48:
	s_or_b64 exec, exec, s[2:3]
	s_and_saveexec_b64 s[2:3], vcc
	s_cbranch_execnz .LBB30_59
.LBB30_49:
	s_or_b64 exec, exec, s[2:3]
	s_and_saveexec_b64 s[2:3], vcc
	s_cbranch_execnz .LBB30_60
.LBB30_50:
	s_or_b64 exec, exec, s[2:3]
	s_and_saveexec_b64 s[2:3], vcc
	s_cbranch_execnz .LBB30_61
.LBB30_51:
	s_or_b64 exec, exec, s[2:3]
	s_and_saveexec_b64 s[2:3], vcc
	s_cbranch_execz .LBB30_53
.LBB30_52:
	ds_read_b32 v0, v0 offset:320
	s_waitcnt lgkmcnt(0)
	v_add_f32_e32 v6, v6, v0
.LBB30_53:
	s_or_b64 exec, exec, s[2:3]
.LBB30_54:
	s_or_b64 exec, exec, s[0:1]
	v_cmp_eq_u32_e32 vcc, 0, v7
	s_barrier
	s_and_saveexec_b64 s[0:1], vcc
	s_cbranch_execz .LBB30_56
; %bb.55:
	s_mul_i32 s0, s10, s11
	s_mul_i32 s0, s0, s9
	s_mulk_i32 s0, 0x60
	s_ashr_i32 s1, s0, 31
	s_lshl_b64 s[0:1], s[0:1], 2
	s_add_u32 s2, s18, s0
	s_mul_i32 s0, s11, s16
	s_addc_u32 s3, s19, s1
	s_ashr_i32 s1, s0, 31
	s_lshl_b64 s[0:1], s[0:1], 2
	s_add_u32 s2, s2, s0
	s_mul_i32 s0, s8, 0x60
	s_addc_u32 s3, s3, s1
	s_ashr_i32 s1, s0, 31
	s_lshl_b64 s[0:1], s[0:1], 2
	s_add_u32 s0, s2, s0
	s_addc_u32 s1, s3, s1
	global_store_dword v31, v1, s[0:1]
	global_store_dword v31, v2, s[0:1] offset:64
	global_store_dword v31, v3, s[0:1] offset:128
	;; [unrolled: 1-line block ×5, first 2 shown]
.LBB30_56:
	s_endpgm
.LBB30_57:
	ds_read_b32 v8, v0
	s_waitcnt lgkmcnt(0)
	v_add_f32_e32 v1, v1, v8
	s_or_b64 exec, exec, s[2:3]
	s_and_saveexec_b64 s[2:3], vcc
	s_cbranch_execz .LBB30_48
.LBB30_58:
	ds_read_b32 v8, v0 offset:64
	s_waitcnt lgkmcnt(0)
	v_add_f32_e32 v2, v2, v8
	s_or_b64 exec, exec, s[2:3]
	s_and_saveexec_b64 s[2:3], vcc
	s_cbranch_execz .LBB30_49
.LBB30_59:
	ds_read_b32 v8, v0 offset:128
	s_waitcnt lgkmcnt(0)
	v_add_f32_e32 v3, v3, v8
	s_or_b64 exec, exec, s[2:3]
	s_and_saveexec_b64 s[2:3], vcc
	s_cbranch_execz .LBB30_50
.LBB30_60:
	ds_read_b32 v8, v0 offset:192
	s_waitcnt lgkmcnt(0)
	v_add_f32_e32 v4, v4, v8
	s_or_b64 exec, exec, s[2:3]
	s_and_saveexec_b64 s[2:3], vcc
	s_cbranch_execz .LBB30_51
.LBB30_61:
	ds_read_b32 v8, v0 offset:256
	s_waitcnt lgkmcnt(0)
	v_add_f32_e32 v5, v5, v8
	s_or_b64 exec, exec, s[2:3]
	s_and_saveexec_b64 s[2:3], vcc
	s_cbranch_execnz .LBB30_52
	s_branch .LBB30_53
	.section	.rodata,"a",@progbits
	.p2align	6, 0x0
	.amdhsa_kernel _ZN4vllm25paged_attention_v1_kernelIffLi96ELi16ELi128ELNS_18Fp8KVCacheDataTypeE0ELb0EEEvPT_PKS2_PKT0_S8_ifPKiSA_iPKfiiiSC_SC_iiiii
		.amdhsa_group_segment_fixed_size 400
		.amdhsa_private_segment_fixed_size 0
		.amdhsa_kernarg_size 384
		.amdhsa_user_sgpr_count 6
		.amdhsa_user_sgpr_private_segment_buffer 1
		.amdhsa_user_sgpr_dispatch_ptr 0
		.amdhsa_user_sgpr_queue_ptr 0
		.amdhsa_user_sgpr_kernarg_segment_ptr 1
		.amdhsa_user_sgpr_dispatch_id 0
		.amdhsa_user_sgpr_flat_scratch_init 0
		.amdhsa_user_sgpr_private_segment_size 0
		.amdhsa_uses_dynamic_stack 0
		.amdhsa_system_sgpr_private_segment_wavefront_offset 0
		.amdhsa_system_sgpr_workgroup_id_x 1
		.amdhsa_system_sgpr_workgroup_id_y 1
		.amdhsa_system_sgpr_workgroup_id_z 1
		.amdhsa_system_sgpr_workgroup_info 0
		.amdhsa_system_vgpr_workitem_id 0
		.amdhsa_next_free_vgpr 64
		.amdhsa_next_free_sgpr 35
		.amdhsa_reserve_vcc 1
		.amdhsa_reserve_flat_scratch 0
		.amdhsa_float_round_mode_32 0
		.amdhsa_float_round_mode_16_64 0
		.amdhsa_float_denorm_mode_32 3
		.amdhsa_float_denorm_mode_16_64 3
		.amdhsa_dx10_clamp 1
		.amdhsa_ieee_mode 1
		.amdhsa_fp16_overflow 0
		.amdhsa_exception_fp_ieee_invalid_op 0
		.amdhsa_exception_fp_denorm_src 0
		.amdhsa_exception_fp_ieee_div_zero 0
		.amdhsa_exception_fp_ieee_overflow 0
		.amdhsa_exception_fp_ieee_underflow 0
		.amdhsa_exception_fp_ieee_inexact 0
		.amdhsa_exception_int_div_zero 0
	.end_amdhsa_kernel
	.section	.text._ZN4vllm25paged_attention_v1_kernelIffLi96ELi16ELi128ELNS_18Fp8KVCacheDataTypeE0ELb0EEEvPT_PKS2_PKT0_S8_ifPKiSA_iPKfiiiSC_SC_iiiii,"axG",@progbits,_ZN4vllm25paged_attention_v1_kernelIffLi96ELi16ELi128ELNS_18Fp8KVCacheDataTypeE0ELb0EEEvPT_PKS2_PKT0_S8_ifPKiSA_iPKfiiiSC_SC_iiiii,comdat
.Lfunc_end30:
	.size	_ZN4vllm25paged_attention_v1_kernelIffLi96ELi16ELi128ELNS_18Fp8KVCacheDataTypeE0ELb0EEEvPT_PKS2_PKT0_S8_ifPKiSA_iPKfiiiSC_SC_iiiii, .Lfunc_end30-_ZN4vllm25paged_attention_v1_kernelIffLi96ELi16ELi128ELNS_18Fp8KVCacheDataTypeE0ELb0EEEvPT_PKS2_PKT0_S8_ifPKiSA_iPKfiiiSC_SC_iiiii
                                        ; -- End function
	.set _ZN4vllm25paged_attention_v1_kernelIffLi96ELi16ELi128ELNS_18Fp8KVCacheDataTypeE0ELb0EEEvPT_PKS2_PKT0_S8_ifPKiSA_iPKfiiiSC_SC_iiiii.num_vgpr, 64
	.set _ZN4vllm25paged_attention_v1_kernelIffLi96ELi16ELi128ELNS_18Fp8KVCacheDataTypeE0ELb0EEEvPT_PKS2_PKT0_S8_ifPKiSA_iPKfiiiSC_SC_iiiii.num_agpr, 0
	.set _ZN4vllm25paged_attention_v1_kernelIffLi96ELi16ELi128ELNS_18Fp8KVCacheDataTypeE0ELb0EEEvPT_PKS2_PKT0_S8_ifPKiSA_iPKfiiiSC_SC_iiiii.numbered_sgpr, 35
	.set _ZN4vllm25paged_attention_v1_kernelIffLi96ELi16ELi128ELNS_18Fp8KVCacheDataTypeE0ELb0EEEvPT_PKS2_PKT0_S8_ifPKiSA_iPKfiiiSC_SC_iiiii.num_named_barrier, 0
	.set _ZN4vllm25paged_attention_v1_kernelIffLi96ELi16ELi128ELNS_18Fp8KVCacheDataTypeE0ELb0EEEvPT_PKS2_PKT0_S8_ifPKiSA_iPKfiiiSC_SC_iiiii.private_seg_size, 0
	.set _ZN4vllm25paged_attention_v1_kernelIffLi96ELi16ELi128ELNS_18Fp8KVCacheDataTypeE0ELb0EEEvPT_PKS2_PKT0_S8_ifPKiSA_iPKfiiiSC_SC_iiiii.uses_vcc, 1
	.set _ZN4vllm25paged_attention_v1_kernelIffLi96ELi16ELi128ELNS_18Fp8KVCacheDataTypeE0ELb0EEEvPT_PKS2_PKT0_S8_ifPKiSA_iPKfiiiSC_SC_iiiii.uses_flat_scratch, 0
	.set _ZN4vllm25paged_attention_v1_kernelIffLi96ELi16ELi128ELNS_18Fp8KVCacheDataTypeE0ELb0EEEvPT_PKS2_PKT0_S8_ifPKiSA_iPKfiiiSC_SC_iiiii.has_dyn_sized_stack, 0
	.set _ZN4vllm25paged_attention_v1_kernelIffLi96ELi16ELi128ELNS_18Fp8KVCacheDataTypeE0ELb0EEEvPT_PKS2_PKT0_S8_ifPKiSA_iPKfiiiSC_SC_iiiii.has_recursion, 0
	.set _ZN4vllm25paged_attention_v1_kernelIffLi96ELi16ELi128ELNS_18Fp8KVCacheDataTypeE0ELb0EEEvPT_PKS2_PKT0_S8_ifPKiSA_iPKfiiiSC_SC_iiiii.has_indirect_call, 0
	.section	.AMDGPU.csdata,"",@progbits
; Kernel info:
; codeLenInByte = 3844
; TotalNumSgprs: 39
; NumVgprs: 64
; ScratchSize: 0
; MemoryBound: 0
; FloatMode: 240
; IeeeMode: 1
; LDSByteSize: 400 bytes/workgroup (compile time only)
; SGPRBlocks: 4
; VGPRBlocks: 15
; NumSGPRsForWavesPerEU: 39
; NumVGPRsForWavesPerEU: 64
; Occupancy: 4
; WaveLimiterHint : 1
; COMPUTE_PGM_RSRC2:SCRATCH_EN: 0
; COMPUTE_PGM_RSRC2:USER_SGPR: 6
; COMPUTE_PGM_RSRC2:TRAP_HANDLER: 0
; COMPUTE_PGM_RSRC2:TGID_X_EN: 1
; COMPUTE_PGM_RSRC2:TGID_Y_EN: 1
; COMPUTE_PGM_RSRC2:TGID_Z_EN: 1
; COMPUTE_PGM_RSRC2:TIDIG_COMP_CNT: 0
	.section	.text._ZN4vllm25paged_attention_v1_kernelIffLi112ELi16ELi128ELNS_18Fp8KVCacheDataTypeE0ELb0EEEvPT_PKS2_PKT0_S8_ifPKiSA_iPKfiiiSC_SC_iiiii,"axG",@progbits,_ZN4vllm25paged_attention_v1_kernelIffLi112ELi16ELi128ELNS_18Fp8KVCacheDataTypeE0ELb0EEEvPT_PKS2_PKT0_S8_ifPKiSA_iPKfiiiSC_SC_iiiii,comdat
	.protected	_ZN4vllm25paged_attention_v1_kernelIffLi112ELi16ELi128ELNS_18Fp8KVCacheDataTypeE0ELb0EEEvPT_PKS2_PKT0_S8_ifPKiSA_iPKfiiiSC_SC_iiiii ; -- Begin function _ZN4vllm25paged_attention_v1_kernelIffLi112ELi16ELi128ELNS_18Fp8KVCacheDataTypeE0ELb0EEEvPT_PKS2_PKT0_S8_ifPKiSA_iPKfiiiSC_SC_iiiii
	.globl	_ZN4vllm25paged_attention_v1_kernelIffLi112ELi16ELi128ELNS_18Fp8KVCacheDataTypeE0ELb0EEEvPT_PKS2_PKT0_S8_ifPKiSA_iPKfiiiSC_SC_iiiii
	.p2align	8
	.type	_ZN4vllm25paged_attention_v1_kernelIffLi112ELi16ELi128ELNS_18Fp8KVCacheDataTypeE0ELb0EEEvPT_PKS2_PKT0_S8_ifPKiSA_iPKfiiiSC_SC_iiiii,@function
_ZN4vllm25paged_attention_v1_kernelIffLi112ELi16ELi128ELNS_18Fp8KVCacheDataTypeE0ELb0EEEvPT_PKS2_PKT0_S8_ifPKiSA_iPKfiiiSC_SC_iiiii: ; @_ZN4vllm25paged_attention_v1_kernelIffLi112ELi16ELi128ELNS_18Fp8KVCacheDataTypeE0ELb0EEEvPT_PKS2_PKT0_S8_ifPKiSA_iPKfiiiSC_SC_iiiii
; %bb.0:
	s_mov_b64 s[38:39], s[2:3]
	s_mov_b64 s[36:37], s[0:1]
	s_add_u32 s36, s36, s9
	s_load_dword s9, s[4:5], 0x80
	s_load_dwordx2 s[0:1], s[4:5], 0x30
	s_load_dwordx2 s[26:27], s[4:5], 0x20
	s_addc_u32 s37, s37, 0
	s_mov_b32 s10, s7
	s_ashr_i32 s11, s7, 31
	s_lshl_b64 s[2:3], s[10:11], 2
	s_waitcnt lgkmcnt(0)
	s_add_u32 s0, s0, s2
	s_addc_u32 s1, s1, s3
	s_abs_i32 s2, s26
	v_cvt_f32_u32_e32 v1, s2
	s_sub_i32 s11, 0, s2
	s_abs_i32 s7, s9
	s_xor_b32 s3, s9, s26
	v_rcp_iflag_f32_e32 v1, v1
	s_ashr_i32 s3, s3, 31
	v_mov_b32_e32 v36, v0
	s_mov_b32 s26, 0
	v_mul_f32_e32 v1, 0x4f7ffffe, v1
	v_cvt_u32_f32_e32 v1, v1
	v_readfirstlane_b32 s12, v1
	s_mul_i32 s11, s11, s12
	s_mul_hi_u32 s11, s12, s11
	s_add_i32 s12, s12, s11
	s_mul_hi_u32 s11, s7, s12
	s_mul_i32 s12, s11, s2
	s_sub_i32 s7, s7, s12
	s_add_i32 s12, s11, 1
	s_sub_i32 s13, s7, s2
	s_cmp_ge_u32 s7, s2
	s_cselect_b32 s11, s12, s11
	s_cselect_b32 s7, s13, s7
	s_add_i32 s12, s11, 1
	s_cmp_ge_u32 s7, s2
	s_cselect_b32 s2, s12, s11
	s_xor_b32 s2, s2, s3
	s_sub_i32 s12, s2, s3
	s_abs_i32 s11, s12
	v_cvt_f32_u32_e32 v1, s11
	s_load_dwordx2 s[2:3], s[4:5], 0x40
	s_sub_i32 s7, 0, s11
	s_abs_i32 s18, s6
	v_rcp_iflag_f32_e32 v1, v1
	v_mul_f32_e32 v1, 0x4f7ffffe, v1
	v_cvt_u32_f32_e32 v1, v1
	v_readfirstlane_b32 s13, v1
	s_mul_i32 s7, s7, s13
	s_mul_hi_u32 s7, s13, s7
	s_add_i32 s13, s13, s7
	s_waitcnt lgkmcnt(0)
	s_cmp_eq_u64 s[2:3], 0
	s_mul_hi_u32 s19, s18, s13
	s_cbranch_scc1 .LBB31_2
; %bb.1:
	s_ashr_i32 s7, s6, 31
	s_lshl_b64 s[14:15], s[6:7], 2
	s_add_u32 s2, s2, s14
	s_addc_u32 s3, s3, s15
	s_load_dword s26, s[2:3], 0x0
.LBB31_2:
	s_load_dword s33, s[0:1], 0x0
	s_ashr_i32 s3, s12, 31
	s_load_dwordx4 s[12:15], s[4:5], 0x48
	v_lshrrev_b32_e32 v37, 2, v36
	s_movk_i32 s7, 0x70
	s_ashr_i32 s2, s6, 31
	v_and_b32_e32 v56, 3, v36
	s_mul_i32 s16, s6, 0x70
	v_cmp_gt_u32_e32 vcc, s7, v36
	v_lshlrev_b32_e32 v11, 2, v36
	v_lshlrev_b32_e32 v35, 2, v37
	s_and_saveexec_b64 s[0:1], vcc
	s_cbranch_execz .LBB31_4
; %bb.3:
	s_load_dwordx2 s[20:21], s[4:5], 0x8
	s_waitcnt lgkmcnt(0)
	s_mul_i32 s22, s12, s10
	s_ashr_i32 s23, s22, 31
	s_lshl_b64 s[22:23], s[22:23], 2
	v_mad_u32_u24 v2, v56, s7, v35
	s_add_u32 s6, s20, s22
	s_addc_u32 s12, s21, s23
	s_ashr_i32 s17, s16, 31
	s_lshl_b64 s[20:21], s[16:17], 2
	s_add_u32 s20, s6, s20
	s_addc_u32 s21, s12, s21
	global_load_dword v1, v11, s[20:21]
	s_waitcnt vmcnt(0)
	ds_write_b32 v2, v1
.LBB31_4:
	s_or_b64 exec, exec, s[0:1]
	s_waitcnt lgkmcnt(0)
	s_add_i32 s1, s33, 15
	s_ashr_i32 s6, s1, 31
	s_lshr_b32 s6, s6, 28
	s_add_i32 s1, s1, s6
	s_ashr_i32 s12, s1, 4
	s_xor_b32 s1, s2, s3
	s_mul_i32 s2, s19, s11
	s_sub_i32 s2, s18, s2
	s_add_i32 s3, s19, 1
	s_sub_i32 s6, s2, s11
	s_load_dwordx2 s[20:21], s[4:5], 0x28
	s_load_dword s0, s[4:5], 0x38
	s_cmp_ge_u32 s2, s11
	s_cselect_b32 s3, s3, s19
	s_cselect_b32 s2, s6, s2
	s_add_i32 s6, s3, 1
	s_cmp_ge_u32 s2, s11
	s_cselect_b32 s2, s6, s3
	v_lshrrev_b32_e32 v38, 6, v36
	s_xor_b32 s2, s2, s1
	s_waitcnt lgkmcnt(0)
	s_mul_i32 s22, s0, s10
	s_sub_i32 s15, s2, s1
	s_ashr_i32 s23, s22, 31
	v_cmp_gt_i32_e64 s[0:1], s12, v38
	v_cmp_le_i32_e32 vcc, s12, v38
	v_mbcnt_lo_u32_b32 v1, -1, 0
	s_barrier
                                        ; implicit-def: $vgpr13
                                        ; implicit-def: $vgpr8
                                        ; implicit-def: $vgpr14
	s_and_saveexec_b64 s[2:3], vcc
	s_xor_b64 s[2:3], exec, s[2:3]
; %bb.5:
	v_mbcnt_hi_u32_b32 v13, -1, v1
	v_and_b32_e32 v8, 64, v13
	v_add_u32_e32 v14, 64, v8
                                        ; implicit-def: $vgpr1
; %bb.6:
	s_or_saveexec_b64 s[6:7], s[2:3]
	s_load_dwordx2 s[18:19], s[4:5], 0x0
	s_load_dwordx2 s[24:25], s[4:5], 0x18
	s_load_dword s11, s[4:5], 0x88
	v_mov_b32_e32 v43, 0xff7fffff
	s_mul_i32 s14, s15, s14
	v_lshrrev_b32_e32 v12, 4, v36
	s_xor_b64 exec, exec, s[6:7]
	s_cbranch_execz .LBB31_12
; %bb.7:
	s_load_dwordx2 s[2:3], s[4:5], 0x10
	s_ashr_i32 s15, s14, 31
	s_lshl_b64 s[4:5], s[14:15], 2
	v_bfe_u32 v2, v36, 2, 4
	v_lshlrev_b32_e32 v4, 4, v2
	s_waitcnt lgkmcnt(0)
	s_add_u32 s2, s2, s4
	s_addc_u32 s3, s3, s5
	v_mov_b32_e32 v5, s3
	v_add_co_u32_e32 v4, vcc, s2, v4
	v_addc_co_u32_e32 v5, vcc, 0, v5, vcc
	v_lshlrev_b32_e32 v6, 2, v56
	v_add_co_u32_e32 v0, vcc, v4, v6
	buffer_store_dword v11, off, s[36:39], 0 offset:28 ; 4-byte Folded Spill
	buffer_store_dword v37, off, s[36:39], 0 offset:20 ; 4-byte Folded Spill
	buffer_store_dword v0, off, s[36:39], 0 ; 4-byte Folded Spill
	v_addc_co_u32_e32 v0, vcc, 0, v5, vcc
	buffer_store_dword v0, off, s[36:39], 0 offset:4 ; 4-byte Folded Spill
	v_mbcnt_hi_u32_b32 v0, -1, v1
	v_and_b32_e32 v1, 64, v0
	buffer_store_dword v1, off, s[36:39], 0 offset:40 ; 4-byte Folded Spill
	v_add_u32_e32 v4, 64, v1
	v_xor_b32_e32 v1, 2, v0
	v_cmp_lt_i32_e32 vcc, v1, v4
	v_cndmask_b32_e32 v1, v0, v1, vcc
	v_lshlrev_b32_e32 v1, 2, v1
	buffer_store_dword v1, off, s[36:39], 0 offset:8 ; 4-byte Folded Spill
	v_xor_b32_e32 v1, 1, v0
	v_cmp_lt_i32_e32 vcc, v1, v4
	v_lshlrev_b32_e32 v3, 2, v2
	v_cndmask_b32_e32 v1, v0, v1, vcc
	s_sub_i32 s15, 1, s33
	s_lshl_b64 s[4:5], s[22:23], 2
	buffer_store_dword v0, off, s[36:39], 0 offset:36 ; 4-byte Folded Spill
	v_lshlrev_b32_e32 v0, 2, v1
	v_lshl_or_b32 v1, v38, 6, v3
	s_add_u32 s4, s20, s4
	v_add_u32_e32 v46, 0x1d0, v1
	v_and_b32_e32 v1, 60, v12
	s_addc_u32 s5, s21, s5
	buffer_store_dword v36, off, s[36:39], 0 offset:16 ; 4-byte Folded Spill
	v_mul_u32_u24_e32 v25, 0x70, v56
	buffer_store_dword v0, off, s[36:39], 0 offset:12 ; 4-byte Folded Spill
	buffer_store_dword v56, off, s[36:39], 0 offset:24 ; 4-byte Folded Spill
	v_lshl_or_b32 v45, v38, 4, v2
	buffer_store_dword v12, off, s[36:39], 0 offset:32 ; 4-byte Folded Spill
	v_mov_b32_e32 v2, s5
	v_add_co_u32_e64 v29, s[4:5], s4, v1
	v_addc_co_u32_e64 v30, s[4:5], 0, v2, s[4:5]
	ds_read_b128 v[1:4], v25
	ds_read_b128 v[5:8], v25 offset:16
	ds_read_b128 v[9:12], v25 offset:32
	;; [unrolled: 1-line block ×6, first 2 shown]
	s_mov_b32 s17, s13
	v_cmp_eq_u32_e32 vcc, 0, v56
	v_cmp_neq_f32_e64 s[2:3], s26, 0
	v_mov_b32_e32 v43, 0xff7fffff
	s_mov_b64 s[28:29], 0
	s_movk_i32 s34, 0x1000
	v_mov_b32_e32 v47, v38
	s_branch .LBB31_9
.LBB31_8:                               ;   in Loop: Header=BB31_9 Depth=1
	s_or_b64 exec, exec, s[30:31]
	v_add_u32_e32 v47, 2, v47
	v_cmp_le_i32_e64 s[4:5], s12, v47
	s_or_b64 s[28:29], s[4:5], s[28:29]
	v_add_co_u32_e64 v29, s[4:5], 8, v29
	v_add_u32_e32 v45, 32, v45
	v_add_u32_e32 v46, 0x80, v46
	v_addc_co_u32_e64 v30, s[4:5], 0, v30, s[4:5]
	s_andn2_b64 exec, exec, s[28:29]
	s_cbranch_execz .LBB31_11
.LBB31_9:                               ; =>This Inner Loop Header: Depth=1
	global_load_dword v48, v[29:30], off
	buffer_load_dword v0, off, s[36:39], 0  ; 4-byte Folded Reload
	s_waitcnt vmcnt(1) lgkmcnt(0)
	v_mad_i64_i32 v[48:49], s[4:5], v48, s17, 0
	v_lshlrev_b64 v[48:49], 2, v[48:49]
	s_waitcnt vmcnt(0)
	v_add_co_u32_e64 v48, s[4:5], v0, v48
	buffer_load_dword v0, off, s[36:39], 0 offset:4 ; 4-byte Folded Reload
	s_waitcnt vmcnt(0)
	v_addc_co_u32_e64 v49, s[4:5], v0, v49, s[4:5]
	global_load_dword v50, v[48:49], off
	global_load_dword v51, v[48:49], off offset:256
	global_load_dword v52, v[48:49], off offset:512
	;; [unrolled: 1-line block ×15, first 2 shown]
	v_add_co_u32_e64 v48, s[4:5], s34, v48
	v_addc_co_u32_e64 v49, s[4:5], 0, v49, s[4:5]
	global_load_dword v36, v[48:49], off
	global_load_dword v37, v[48:49], off offset:256
	global_load_dword v35, v[48:49], off offset:512
	;; [unrolled: 1-line block ×10, first 2 shown]
	s_nop 0
	global_load_dword v48, v[48:49], off offset:2816
	s_waitcnt vmcnt(26) lgkmcnt(6)
	v_mul_f32_e32 v49, v2, v51
	v_fmac_f32_e32 v49, v1, v50
	s_waitcnt vmcnt(25)
	v_fmac_f32_e32 v49, v3, v52
	s_waitcnt vmcnt(24)
	v_fmac_f32_e32 v49, v4, v53
	s_waitcnt vmcnt(23) lgkmcnt(5)
	v_fmac_f32_e32 v49, v5, v54
	s_waitcnt vmcnt(22)
	v_fmac_f32_e32 v49, v6, v55
	s_waitcnt vmcnt(21)
	v_fmac_f32_e32 v49, v7, v56
	s_waitcnt vmcnt(20)
	v_fmac_f32_e32 v49, v8, v57
	s_waitcnt vmcnt(19) lgkmcnt(4)
	v_fmac_f32_e32 v49, v9, v58
	s_waitcnt vmcnt(18)
	;; [unrolled: 8-line block ×5, first 2 shown]
	v_fmac_f32_e32 v49, v22, v0
	buffer_load_dword v0, off, s[36:39], 0 offset:8 ; 4-byte Folded Reload
	s_waitcnt vmcnt(6)
	v_fmac_f32_e32 v49, v23, v33
	s_waitcnt vmcnt(5)
	v_fmac_f32_e32 v49, v24, v39
	s_waitcnt vmcnt(4) lgkmcnt(0)
	v_fmac_f32_e32 v49, v25, v40
	s_waitcnt vmcnt(3)
	v_fmac_f32_e32 v49, v26, v42
	s_waitcnt vmcnt(2)
	;; [unrolled: 2-line block ×4, first 2 shown]
	ds_bpermute_b32 v0, v0, v49
	s_waitcnt lgkmcnt(0)
	v_add_f32_e32 v48, v49, v0
	buffer_load_dword v0, off, s[36:39], 0 offset:12 ; 4-byte Folded Reload
	s_waitcnt vmcnt(0)
	ds_bpermute_b32 v49, v0, v48
	s_and_saveexec_b64 s[30:31], vcc
	s_cbranch_execz .LBB31_8
; %bb.10:                               ;   in Loop: Header=BB31_9 Depth=1
	v_add_u32_e32 v0, s15, v45
	v_cvt_f32_i32_e32 v0, v0
	s_waitcnt lgkmcnt(0)
	v_add_f32_e32 v31, v48, v49
	v_max_f32_e32 v32, v43, v43
	v_cmp_gt_i32_e64 s[4:5], s33, v45
	v_mul_f32_e32 v0, s26, v0
	v_cndmask_b32_e64 v0, 0, v0, s[2:3]
	v_fmac_f32_e32 v0, s27, v31
	v_cndmask_b32_e64 v31, 0, v0, s[4:5]
	v_max_f32_e32 v0, v32, v0
	v_cndmask_b32_e64 v43, v43, v0, s[4:5]
	ds_write_b32 v46, v31
	s_branch .LBB31_8
.LBB31_11:
	s_or_b64 exec, exec, s[28:29]
	buffer_load_dword v37, off, s[36:39], 0 offset:20 ; 4-byte Folded Reload
	buffer_load_dword v36, off, s[36:39], 0 offset:16 ; 4-byte Folded Reload
	;; [unrolled: 1-line block ×7, first 2 shown]
	s_waitcnt vmcnt(6)
	v_lshlrev_b32_e32 v35, 2, v37
	s_waitcnt vmcnt(0)
	v_add_u32_e32 v14, 64, v8
.LBB31_12:
	s_or_b64 exec, exec, s[6:7]
	v_xor_b32_e32 v1, 32, v13
	v_cmp_lt_i32_e32 vcc, v1, v14
	v_cndmask_b32_e32 v1, v13, v1, vcc
	v_lshlrev_b32_e32 v1, 2, v1
	ds_bpermute_b32 v2, v1, v43
	v_xor_b32_e32 v4, 16, v13
	v_max_f32_e32 v3, v43, v43
	v_cmp_lt_i32_e32 vcc, v4, v14
	v_xor_b32_e32 v5, 8, v13
	s_waitcnt lgkmcnt(0)
	v_max_f32_e32 v2, v2, v2
	v_max_f32_e32 v3, v3, v2
	v_cndmask_b32_e32 v2, v13, v4, vcc
	v_lshlrev_b32_e32 v2, 2, v2
	ds_bpermute_b32 v4, v2, v3
	v_cmp_lt_i32_e32 vcc, v5, v14
	v_xor_b32_e32 v6, 4, v13
	v_and_b32_e32 v39, 63, v36
	s_waitcnt lgkmcnt(0)
	v_max_f32_e32 v4, v4, v4
	v_max_f32_e32 v3, v3, v4
	v_cndmask_b32_e32 v4, v13, v5, vcc
	v_lshlrev_b32_e32 v5, 2, v4
	ds_bpermute_b32 v4, v5, v3
	v_cmp_lt_i32_e32 vcc, v6, v14
	s_waitcnt lgkmcnt(0)
	v_max_f32_e32 v4, v4, v4
	v_max_f32_e32 v4, v3, v4
	v_cndmask_b32_e32 v3, v13, v6, vcc
	v_lshlrev_b32_e32 v6, 2, v3
	ds_bpermute_b32 v7, v6, v4
	v_cmp_eq_u32_e32 vcc, 0, v39
	v_lshlrev_b32_e32 v3, 2, v38
	s_and_saveexec_b64 s[2:3], vcc
	s_cbranch_execz .LBB31_14
; %bb.13:
	s_waitcnt lgkmcnt(0)
	v_max_f32_e32 v0, v7, v7
	v_max_f32_e32 v4, v4, v4
	;; [unrolled: 1-line block ×3, first 2 shown]
	ds_write_b32 v3, v0 offset:448
.LBB31_14:
	s_or_b64 exec, exec, s[2:3]
	v_cmp_gt_u32_e64 s[2:3], 2, v39
	s_waitcnt lgkmcnt(0)
	v_mov_b32_e32 v7, 0xff7fffff
	v_lshlrev_b32_e32 v4, 2, v39
	s_barrier
	s_and_saveexec_b64 s[4:5], s[2:3]
; %bb.15:
	ds_read_b32 v7, v4 offset:448
; %bb.16:
	s_or_b64 exec, exec, s[4:5]
	v_xor_b32_e32 v0, 1, v13
	v_cmp_lt_i32_e64 s[4:5], v0, v14
	v_cndmask_b32_e64 v0, v13, v0, s[4:5]
	v_lshlrev_b32_e32 v40, 2, v0
	s_waitcnt lgkmcnt(0)
	ds_bpermute_b32 v0, v40, v7
	v_max_f32_e32 v7, v7, v7
	s_lshl_b32 s4, s12, 4
	s_min_i32 s15, s4, s33
	v_cmp_gt_i32_e64 s[4:5], s15, v36
	s_waitcnt lgkmcnt(0)
	v_max_f32_e32 v0, v0, v0
	v_max_f32_e32 v0, v7, v0
	v_lshlrev_b32_e32 v7, 2, v8
	ds_bpermute_b32 v8, v7, v0
	v_mov_b32_e32 v7, 0
	s_and_saveexec_b64 s[26:27], s[4:5]
	s_cbranch_execz .LBB31_20
; %bb.17:
	v_mov_b32_e32 v0, 0x1d0
	v_lshl_add_u32 v9, v36, 2, v0
	v_mov_b32_e32 v7, 0
	s_mov_b64 s[28:29], 0
	v_mov_b32_e32 v10, v36
.LBB31_18:                              ; =>This Inner Loop Header: Depth=1
	ds_read_b32 v0, v9
	v_add_u32_e32 v10, 0x80, v10
	v_cmp_le_i32_e64 s[6:7], s15, v10
	s_or_b64 s[28:29], s[6:7], s[28:29]
	s_waitcnt lgkmcnt(0)
	v_sub_f32_e32 v0, v0, v8
	v_mul_f32_e32 v0, 0x3fb8aa3b, v0
	v_exp_f32_e32 v0, v0
	ds_write_b32 v9, v0
	v_add_f32_e32 v7, v7, v0
	v_add_u32_e32 v9, 0x200, v9
	s_andn2_b64 exec, exec, s[28:29]
	s_cbranch_execnz .LBB31_18
; %bb.19:
	s_or_b64 exec, exec, s[28:29]
.LBB31_20:
	s_or_b64 exec, exec, s[26:27]
	ds_bpermute_b32 v0, v1, v7
	s_waitcnt lgkmcnt(0)
	v_add_f32_e32 v0, v7, v0
	ds_bpermute_b32 v1, v2, v0
	v_xor_b32_e32 v2, 2, v13
	v_cmp_lt_i32_e64 s[6:7], v2, v14
	v_cndmask_b32_e64 v2, v13, v2, s[6:7]
	v_lshlrev_b32_e32 v41, 2, v2
	s_waitcnt lgkmcnt(0)
	v_add_f32_e32 v0, v0, v1
	ds_bpermute_b32 v1, v5, v0
	s_waitcnt lgkmcnt(0)
	v_add_f32_e32 v0, v0, v1
	ds_bpermute_b32 v1, v6, v0
	;; [unrolled: 3-line block ×4, first 2 shown]
	s_waitcnt lgkmcnt(0)
	v_add_f32_e32 v1, v0, v1
	s_and_saveexec_b64 s[6:7], vcc
; %bb.21:
	ds_write_b32 v3, v1 offset:456
; %bb.22:
	s_or_b64 exec, exec, s[6:7]
	s_waitcnt lgkmcnt(0)
	s_barrier
	s_and_saveexec_b64 s[6:7], s[2:3]
; %bb.23:
	ds_read_b32 v1, v4 offset:456
; %bb.24:
	s_or_b64 exec, exec, s[6:7]
	s_waitcnt lgkmcnt(0)
	ds_bpermute_b32 v0, v40, v1
	v_lshlrev_b32_e32 v2, 2, v13
	s_waitcnt lgkmcnt(0)
	v_add_f32_e32 v0, v1, v0
	v_and_b32_e32 v1, 0xffffff00, v2
	ds_bpermute_b32 v1, v1, v0
	s_and_saveexec_b64 s[2:3], s[4:5]
	s_cbranch_execz .LBB31_27
; %bb.25:
	s_waitcnt lgkmcnt(0)
	v_add_f32_e32 v0, 0x358637bd, v1
	v_div_scale_f32 v1, s[4:5], v0, v0, 1.0
	v_div_scale_f32 v2, vcc, 1.0, v0, 1.0
	s_mov_b64 s[4:5], 0
	v_rcp_f32_e32 v3, v1
	v_fma_f32 v4, -v1, v3, 1.0
	v_fmac_f32_e32 v3, v4, v3
	v_mul_f32_e32 v4, v2, v3
	v_fma_f32 v5, -v1, v4, v2
	v_fmac_f32_e32 v4, v5, v3
	v_fma_f32 v1, -v1, v4, v2
	v_div_fmas_f32 v2, v1, v3, v4
	v_mov_b32_e32 v1, 0x1d0
	v_lshl_add_u32 v1, v36, 2, v1
	v_mov_b32_e32 v3, v36
	v_div_fixup_f32 v2, v2, v0, 1.0
.LBB31_26:                              ; =>This Inner Loop Header: Depth=1
	ds_read_b32 v0, v1
	v_add_u32_e32 v3, 0x80, v3
	v_cmp_le_i32_e32 vcc, s15, v3
	s_or_b64 s[4:5], vcc, s[4:5]
	s_waitcnt lgkmcnt(0)
	v_mul_f32_e32 v0, v2, v0
	ds_write_b32 v1, v0
	v_add_u32_e32 v1, 0x200, v1
	s_andn2_b64 exec, exec, s[4:5]
	s_cbranch_execnz .LBB31_26
.LBB31_27:
	s_or_b64 exec, exec, s[2:3]
	v_mov_b32_e32 v47, 0
	v_mov_b32_e32 v48, 0
	;; [unrolled: 1-line block ×7, first 2 shown]
	s_waitcnt lgkmcnt(0)
	s_barrier
	s_and_saveexec_b64 s[2:3], s[0:1]
	s_cbranch_execz .LBB31_45
; %bb.28:
	s_ashr_i32 s15, s14, 31
	s_lshl_b64 s[0:1], s[14:15], 2
	v_lshlrev_b32_e32 v1, 4, v36
	s_add_u32 s0, s24, s0
	v_and_b32_e32 v1, 0x3f0, v1
	v_and_b32_e32 v0, 12, v11
	s_addc_u32 s1, s25, s1
	v_add_co_u32_e32 v49, vcc, s0, v1
	v_lshlrev_b32_e32 v1, 4, v38
	s_add_i32 s14, s12, -1
	v_mov_b32_e32 v2, s1
	v_or3_b32 v51, v1, v0, 3
	v_lshlrev_b32_e32 v0, 4, v56
	s_lshl_b64 s[0:1], s[22:23], 2
	v_lshl_or_b32 v0, v38, 6, v0
	s_add_u32 s0, s20, s0
	v_addc_co_u32_e32 v50, vcc, 0, v2, vcc
	v_add_u32_e32 v52, 0x1d0, v0
	v_and_b32_e32 v0, 60, v12
	s_addc_u32 s1, s21, s1
	v_mov_b32_e32 v1, s1
	v_add_co_u32_e32 v33, vcc, s0, v0
	v_mov_b32_e32 v42, 0
	v_addc_co_u32_e32 v34, vcc, 0, v1, vcc
	s_mov_b64 s[4:5], 0
	v_mov_b32_e32 v43, 0
	v_mov_b32_e32 v44, 0
	;; [unrolled: 1-line block ×6, first 2 shown]
	s_branch .LBB31_30
.LBB31_29:                              ;   in Loop: Header=BB31_30 Depth=1
	s_or_b64 exec, exec, s[6:7]
	s_waitcnt vmcnt(1) lgkmcnt(0)
	v_mul_f32_e32 v0, v1, v29
	v_fmac_f32_e32 v0, v2, v30
	v_fmac_f32_e32 v0, v3, v31
	v_fmac_f32_e32 v0, v4, v32
	v_add_f32_e32 v43, v43, v0
	v_mul_f32_e32 v0, v1, v21
	v_fmac_f32_e32 v0, v2, v22
	v_fmac_f32_e32 v0, v3, v23
	v_fmac_f32_e32 v0, v4, v24
	v_add_f32_e32 v44, v44, v0
	;; [unrolled: 5-line block ×6, first 2 shown]
	s_waitcnt vmcnt(0)
	v_mul_f32_e32 v0, v1, v25
	v_fmac_f32_e32 v0, v2, v26
	v_add_u32_e32 v38, 2, v38
	v_fmac_f32_e32 v0, v3, v27
	v_cmp_le_i32_e32 vcc, s12, v38
	v_fmac_f32_e32 v0, v4, v28
	s_or_b64 s[4:5], vcc, s[4:5]
	v_add_co_u32_e32 v33, vcc, 8, v33
	v_add_f32_e32 v42, v42, v0
	v_add_u32_e32 v51, 32, v51
	v_add_u32_e32 v52, 0x80, v52
	v_addc_co_u32_e32 v34, vcc, 0, v34, vcc
	s_andn2_b64 exec, exec, s[4:5]
	s_cbranch_execz .LBB31_44
.LBB31_30:                              ; =>This Inner Loop Header: Depth=1
	global_load_dword v0, v[33:34], off
	v_add_u32_e32 v53, -3, v51
	v_add_u32_e32 v55, -2, v51
	;; [unrolled: 1-line block ×3, first 2 shown]
	s_waitcnt vmcnt(0)
	v_mad_i64_i32 v[1:2], s[0:1], v0, s13, 0
	v_cmp_eq_u32_e64 s[0:1], s14, v38
	v_lshlrev_b64 v[1:2], 2, v[1:2]
	v_add_co_u32_e32 v25, vcc, v49, v1
	v_addc_co_u32_e32 v26, vcc, v50, v2, vcc
	global_load_dwordx4 v[5:8], v[25:26], off
	ds_read_b128 v[1:4], v52
	s_and_saveexec_b64 s[6:7], s[0:1]
	s_cbranch_execnz .LBB31_41
; %bb.31:                               ;   in Loop: Header=BB31_30 Depth=1
	s_or_b64 exec, exec, s[6:7]
	global_load_dwordx4 v[9:12], v[25:26], off offset:1024
	s_and_saveexec_b64 s[6:7], s[0:1]
	s_cbranch_execnz .LBB31_42
.LBB31_32:                              ;   in Loop: Header=BB31_30 Depth=1
	s_or_b64 exec, exec, s[6:7]
	global_load_dwordx4 v[13:16], v[25:26], off offset:2048
	s_and_saveexec_b64 s[6:7], s[0:1]
	s_cbranch_execnz .LBB31_43
.LBB31_33:                              ;   in Loop: Header=BB31_30 Depth=1
	s_or_b64 exec, exec, s[6:7]
	global_load_dwordx4 v[17:20], v[25:26], off offset:3072
	s_and_saveexec_b64 s[6:7], s[0:1]
	s_cbranch_execz .LBB31_35
.LBB31_34:                              ;   in Loop: Header=BB31_30 Depth=1
	v_cmp_gt_i32_e32 vcc, s33, v53
	s_waitcnt vmcnt(0)
	v_cndmask_b32_e32 v17, 0, v17, vcc
	v_cmp_gt_i32_e32 vcc, s33, v55
	v_cndmask_b32_e32 v18, 0, v18, vcc
	v_cmp_gt_i32_e32 vcc, s33, v54
	;; [unrolled: 2-line block ×3, first 2 shown]
	v_cndmask_b32_e32 v20, 0, v20, vcc
.LBB31_35:                              ;   in Loop: Header=BB31_30 Depth=1
	s_or_b64 exec, exec, s[6:7]
	v_add_co_u32_e32 v21, vcc, 0x1000, v25
	v_addc_co_u32_e32 v22, vcc, 0, v26, vcc
	global_load_dwordx4 v[21:24], v[21:22], off
	s_and_saveexec_b64 s[6:7], s[0:1]
	s_cbranch_execz .LBB31_37
; %bb.36:                               ;   in Loop: Header=BB31_30 Depth=1
	v_cmp_gt_i32_e32 vcc, s33, v53
	s_waitcnt vmcnt(0)
	v_cndmask_b32_e32 v21, 0, v21, vcc
	v_cmp_gt_i32_e32 vcc, s33, v55
	v_cndmask_b32_e32 v22, 0, v22, vcc
	v_cmp_gt_i32_e32 vcc, s33, v54
	;; [unrolled: 2-line block ×3, first 2 shown]
	v_cndmask_b32_e32 v24, 0, v24, vcc
.LBB31_37:                              ;   in Loop: Header=BB31_30 Depth=1
	s_or_b64 exec, exec, s[6:7]
	v_add_co_u32_e32 v27, vcc, 0x1000, v25
	v_addc_co_u32_e32 v28, vcc, 0, v26, vcc
	global_load_dwordx4 v[29:32], v[27:28], off offset:1024
	s_and_saveexec_b64 s[6:7], s[0:1]
	s_cbranch_execz .LBB31_39
; %bb.38:                               ;   in Loop: Header=BB31_30 Depth=1
	v_cmp_gt_i32_e32 vcc, s33, v53
	s_waitcnt vmcnt(0)
	v_cndmask_b32_e32 v29, 0, v29, vcc
	v_cmp_gt_i32_e32 vcc, s33, v55
	v_cndmask_b32_e32 v30, 0, v30, vcc
	v_cmp_gt_i32_e32 vcc, s33, v54
	v_cndmask_b32_e32 v31, 0, v31, vcc
	v_cmp_gt_i32_e32 vcc, s33, v51
	v_cndmask_b32_e32 v32, 0, v32, vcc
.LBB31_39:                              ;   in Loop: Header=BB31_30 Depth=1
	s_or_b64 exec, exec, s[6:7]
	v_add_co_u32_e32 v25, vcc, 0x1000, v25
	v_addc_co_u32_e32 v26, vcc, 0, v26, vcc
	global_load_dwordx4 v[25:28], v[25:26], off offset:2048
	s_and_saveexec_b64 s[6:7], s[0:1]
	s_cbranch_execz .LBB31_29
; %bb.40:                               ;   in Loop: Header=BB31_30 Depth=1
	v_cmp_gt_i32_e32 vcc, s33, v53
	s_waitcnt vmcnt(0)
	v_cndmask_b32_e32 v25, 0, v25, vcc
	v_cmp_gt_i32_e32 vcc, s33, v55
	v_cndmask_b32_e32 v26, 0, v26, vcc
	v_cmp_gt_i32_e32 vcc, s33, v54
	;; [unrolled: 2-line block ×3, first 2 shown]
	v_cndmask_b32_e32 v28, 0, v28, vcc
	s_branch .LBB31_29
.LBB31_41:                              ;   in Loop: Header=BB31_30 Depth=1
	v_cmp_gt_i32_e32 vcc, s33, v53
	s_waitcnt vmcnt(0)
	v_cndmask_b32_e32 v5, 0, v5, vcc
	v_cmp_gt_i32_e32 vcc, s33, v55
	v_cndmask_b32_e32 v6, 0, v6, vcc
	v_cmp_gt_i32_e32 vcc, s33, v54
	;; [unrolled: 2-line block ×3, first 2 shown]
	v_cndmask_b32_e32 v8, 0, v8, vcc
	s_or_b64 exec, exec, s[6:7]
	global_load_dwordx4 v[9:12], v[25:26], off offset:1024
	s_and_saveexec_b64 s[6:7], s[0:1]
	s_cbranch_execz .LBB31_32
.LBB31_42:                              ;   in Loop: Header=BB31_30 Depth=1
	v_cmp_gt_i32_e32 vcc, s33, v53
	s_waitcnt vmcnt(0)
	v_cndmask_b32_e32 v9, 0, v9, vcc
	v_cmp_gt_i32_e32 vcc, s33, v55
	v_cndmask_b32_e32 v10, 0, v10, vcc
	v_cmp_gt_i32_e32 vcc, s33, v54
	v_cndmask_b32_e32 v11, 0, v11, vcc
	v_cmp_gt_i32_e32 vcc, s33, v51
	v_cndmask_b32_e32 v12, 0, v12, vcc
	s_or_b64 exec, exec, s[6:7]
	global_load_dwordx4 v[13:16], v[25:26], off offset:2048
	s_and_saveexec_b64 s[6:7], s[0:1]
	s_cbranch_execz .LBB31_33
.LBB31_43:                              ;   in Loop: Header=BB31_30 Depth=1
	v_cmp_gt_i32_e32 vcc, s33, v53
	s_waitcnt vmcnt(0)
	v_cndmask_b32_e32 v13, 0, v13, vcc
	v_cmp_gt_i32_e32 vcc, s33, v55
	v_cndmask_b32_e32 v14, 0, v14, vcc
	v_cmp_gt_i32_e32 vcc, s33, v54
	;; [unrolled: 2-line block ×3, first 2 shown]
	v_cndmask_b32_e32 v16, 0, v16, vcc
	s_or_b64 exec, exec, s[6:7]
	global_load_dwordx4 v[17:20], v[25:26], off offset:3072
	s_and_saveexec_b64 s[6:7], s[0:1]
	s_cbranch_execnz .LBB31_34
	s_branch .LBB31_35
.LBB31_44:
	s_or_b64 exec, exec, s[4:5]
.LBB31_45:
	s_or_b64 exec, exec, s[2:3]
	ds_bpermute_b32 v0, v41, v47
	ds_bpermute_b32 v1, v41, v48
	;; [unrolled: 1-line block ×5, first 2 shown]
	s_waitcnt lgkmcnt(4)
	v_add_f32_e32 v0, v47, v0
	s_waitcnt lgkmcnt(3)
	v_add_f32_e32 v3, v48, v1
	ds_bpermute_b32 v1, v40, v0
	ds_bpermute_b32 v4, v40, v3
	s_waitcnt lgkmcnt(4)
	v_add_f32_e32 v6, v46, v2
	s_waitcnt lgkmcnt(3)
	v_add_f32_e32 v8, v42, v8
	ds_bpermute_b32 v7, v40, v6
	s_waitcnt lgkmcnt(2)
	v_add_f32_e32 v1, v0, v1
	s_waitcnt lgkmcnt(1)
	v_add_f32_e32 v2, v3, v4
	ds_bpermute_b32 v0, v41, v44
	ds_bpermute_b32 v3, v41, v43
	v_add_f32_e32 v4, v45, v5
	ds_bpermute_b32 v12, v40, v8
	ds_bpermute_b32 v5, v40, v4
	s_waitcnt lgkmcnt(3)
	v_add_f32_e32 v0, v44, v0
	s_waitcnt lgkmcnt(2)
	v_add_f32_e32 v10, v43, v3
	ds_bpermute_b32 v9, v40, v0
	ds_bpermute_b32 v11, v40, v10
	v_add_f32_e32 v3, v6, v7
	s_waitcnt lgkmcnt(3)
	v_add_f32_e32 v7, v8, v12
	v_and_b32_e32 v8, 0x3c3, v36
	s_waitcnt lgkmcnt(2)
	v_add_f32_e32 v4, v4, v5
	s_waitcnt lgkmcnt(1)
	v_add_f32_e32 v5, v0, v9
	;; [unrolled: 2-line block ×3, first 2 shown]
	v_cmp_eq_u32_e32 vcc, 64, v8
	s_barrier
	s_and_saveexec_b64 s[0:1], vcc
	s_cbranch_execz .LBB31_47
; %bb.46:
	v_add_u32_e32 v0, 0x1d0, v39
	ds_write2_b32 v0, v1, v2 offset1:16
	ds_write2_b32 v0, v3, v4 offset0:32 offset1:48
	ds_write2_b32 v0, v5, v6 offset0:64 offset1:80
	ds_write_b32 v0, v7 offset:384
.LBB31_47:
	s_or_b64 exec, exec, s[0:1]
	v_cmp_gt_u32_e32 vcc, 64, v36
	s_waitcnt lgkmcnt(0)
	s_barrier
	s_and_saveexec_b64 s[0:1], vcc
	s_cbranch_execz .LBB31_57
; %bb.48:
	v_mov_b32_e32 v0, 0x1d0
	v_cmp_eq_u32_e32 vcc, 0, v56
	v_lshl_add_u32 v0, v37, 2, v0
	s_and_saveexec_b64 s[2:3], vcc
	s_cbranch_execnz .LBB31_60
; %bb.49:
	s_or_b64 exec, exec, s[2:3]
	s_and_saveexec_b64 s[2:3], vcc
	s_cbranch_execnz .LBB31_61
.LBB31_50:
	s_or_b64 exec, exec, s[2:3]
	s_and_saveexec_b64 s[2:3], vcc
	s_cbranch_execnz .LBB31_62
.LBB31_51:
	s_or_b64 exec, exec, s[2:3]
	s_and_saveexec_b64 s[2:3], vcc
	s_cbranch_execnz .LBB31_63
.LBB31_52:
	s_or_b64 exec, exec, s[2:3]
	s_and_saveexec_b64 s[2:3], vcc
	s_cbranch_execnz .LBB31_64
.LBB31_53:
	s_or_b64 exec, exec, s[2:3]
	s_and_saveexec_b64 s[2:3], vcc
	s_cbranch_execnz .LBB31_65
.LBB31_54:
	s_or_b64 exec, exec, s[2:3]
	s_and_saveexec_b64 s[2:3], vcc
	s_cbranch_execz .LBB31_56
.LBB31_55:
	ds_read_b32 v0, v0 offset:384
	s_waitcnt lgkmcnt(0)
	v_add_f32_e32 v7, v7, v0
.LBB31_56:
	s_or_b64 exec, exec, s[2:3]
.LBB31_57:
	s_or_b64 exec, exec, s[0:1]
	v_cmp_eq_u32_e32 vcc, 0, v8
	s_barrier
	s_and_saveexec_b64 s[0:1], vcc
	s_cbranch_execz .LBB31_59
; %bb.58:
	s_mul_i32 s0, s10, s11
	s_mul_i32 s0, s0, s9
	s_mulk_i32 s0, 0x70
	s_ashr_i32 s1, s0, 31
	s_lshl_b64 s[0:1], s[0:1], 2
	s_add_u32 s2, s18, s0
	s_mul_i32 s0, s11, s16
	s_addc_u32 s3, s19, s1
	s_ashr_i32 s1, s0, 31
	s_lshl_b64 s[0:1], s[0:1], 2
	s_add_u32 s2, s2, s0
	s_mul_i32 s0, s8, 0x70
	s_addc_u32 s3, s3, s1
	s_ashr_i32 s1, s0, 31
	s_lshl_b64 s[0:1], s[0:1], 2
	s_add_u32 s0, s2, s0
	s_addc_u32 s1, s3, s1
	global_store_dword v35, v1, s[0:1]
	global_store_dword v35, v2, s[0:1] offset:64
	global_store_dword v35, v3, s[0:1] offset:128
	;; [unrolled: 1-line block ×6, first 2 shown]
.LBB31_59:
	s_endpgm
.LBB31_60:
	ds_read_b32 v9, v0
	s_waitcnt lgkmcnt(0)
	v_add_f32_e32 v1, v1, v9
	s_or_b64 exec, exec, s[2:3]
	s_and_saveexec_b64 s[2:3], vcc
	s_cbranch_execz .LBB31_50
.LBB31_61:
	ds_read_b32 v9, v0 offset:64
	s_waitcnt lgkmcnt(0)
	v_add_f32_e32 v2, v2, v9
	s_or_b64 exec, exec, s[2:3]
	s_and_saveexec_b64 s[2:3], vcc
	s_cbranch_execz .LBB31_51
.LBB31_62:
	ds_read_b32 v9, v0 offset:128
	s_waitcnt lgkmcnt(0)
	v_add_f32_e32 v3, v3, v9
	s_or_b64 exec, exec, s[2:3]
	s_and_saveexec_b64 s[2:3], vcc
	s_cbranch_execz .LBB31_52
.LBB31_63:
	ds_read_b32 v9, v0 offset:192
	s_waitcnt lgkmcnt(0)
	v_add_f32_e32 v4, v4, v9
	s_or_b64 exec, exec, s[2:3]
	s_and_saveexec_b64 s[2:3], vcc
	s_cbranch_execz .LBB31_53
.LBB31_64:
	ds_read_b32 v9, v0 offset:256
	s_waitcnt lgkmcnt(0)
	v_add_f32_e32 v5, v5, v9
	s_or_b64 exec, exec, s[2:3]
	s_and_saveexec_b64 s[2:3], vcc
	s_cbranch_execz .LBB31_54
.LBB31_65:
	ds_read_b32 v9, v0 offset:320
	s_waitcnt lgkmcnt(0)
	v_add_f32_e32 v6, v6, v9
	s_or_b64 exec, exec, s[2:3]
	s_and_saveexec_b64 s[2:3], vcc
	s_cbranch_execnz .LBB31_55
	s_branch .LBB31_56
	.section	.rodata,"a",@progbits
	.p2align	6, 0x0
	.amdhsa_kernel _ZN4vllm25paged_attention_v1_kernelIffLi112ELi16ELi128ELNS_18Fp8KVCacheDataTypeE0ELb0EEEvPT_PKS2_PKT0_S8_ifPKiSA_iPKfiiiSC_SC_iiiii
		.amdhsa_group_segment_fixed_size 464
		.amdhsa_private_segment_fixed_size 48
		.amdhsa_kernarg_size 384
		.amdhsa_user_sgpr_count 6
		.amdhsa_user_sgpr_private_segment_buffer 1
		.amdhsa_user_sgpr_dispatch_ptr 0
		.amdhsa_user_sgpr_queue_ptr 0
		.amdhsa_user_sgpr_kernarg_segment_ptr 1
		.amdhsa_user_sgpr_dispatch_id 0
		.amdhsa_user_sgpr_flat_scratch_init 0
		.amdhsa_user_sgpr_private_segment_size 0
		.amdhsa_uses_dynamic_stack 0
		.amdhsa_system_sgpr_private_segment_wavefront_offset 1
		.amdhsa_system_sgpr_workgroup_id_x 1
		.amdhsa_system_sgpr_workgroup_id_y 1
		.amdhsa_system_sgpr_workgroup_id_z 1
		.amdhsa_system_sgpr_workgroup_info 0
		.amdhsa_system_vgpr_workitem_id 0
		.amdhsa_next_free_vgpr 64
		.amdhsa_next_free_sgpr 40
		.amdhsa_reserve_vcc 1
		.amdhsa_reserve_flat_scratch 0
		.amdhsa_float_round_mode_32 0
		.amdhsa_float_round_mode_16_64 0
		.amdhsa_float_denorm_mode_32 3
		.amdhsa_float_denorm_mode_16_64 3
		.amdhsa_dx10_clamp 1
		.amdhsa_ieee_mode 1
		.amdhsa_fp16_overflow 0
		.amdhsa_exception_fp_ieee_invalid_op 0
		.amdhsa_exception_fp_denorm_src 0
		.amdhsa_exception_fp_ieee_div_zero 0
		.amdhsa_exception_fp_ieee_overflow 0
		.amdhsa_exception_fp_ieee_underflow 0
		.amdhsa_exception_fp_ieee_inexact 0
		.amdhsa_exception_int_div_zero 0
	.end_amdhsa_kernel
	.section	.text._ZN4vllm25paged_attention_v1_kernelIffLi112ELi16ELi128ELNS_18Fp8KVCacheDataTypeE0ELb0EEEvPT_PKS2_PKT0_S8_ifPKiSA_iPKfiiiSC_SC_iiiii,"axG",@progbits,_ZN4vllm25paged_attention_v1_kernelIffLi112ELi16ELi128ELNS_18Fp8KVCacheDataTypeE0ELb0EEEvPT_PKS2_PKT0_S8_ifPKiSA_iPKfiiiSC_SC_iiiii,comdat
.Lfunc_end31:
	.size	_ZN4vllm25paged_attention_v1_kernelIffLi112ELi16ELi128ELNS_18Fp8KVCacheDataTypeE0ELb0EEEvPT_PKS2_PKT0_S8_ifPKiSA_iPKfiiiSC_SC_iiiii, .Lfunc_end31-_ZN4vllm25paged_attention_v1_kernelIffLi112ELi16ELi128ELNS_18Fp8KVCacheDataTypeE0ELb0EEEvPT_PKS2_PKT0_S8_ifPKiSA_iPKfiiiSC_SC_iiiii
                                        ; -- End function
	.set _ZN4vllm25paged_attention_v1_kernelIffLi112ELi16ELi128ELNS_18Fp8KVCacheDataTypeE0ELb0EEEvPT_PKS2_PKT0_S8_ifPKiSA_iPKfiiiSC_SC_iiiii.num_vgpr, 64
	.set _ZN4vllm25paged_attention_v1_kernelIffLi112ELi16ELi128ELNS_18Fp8KVCacheDataTypeE0ELb0EEEvPT_PKS2_PKT0_S8_ifPKiSA_iPKfiiiSC_SC_iiiii.num_agpr, 0
	.set _ZN4vllm25paged_attention_v1_kernelIffLi112ELi16ELi128ELNS_18Fp8KVCacheDataTypeE0ELb0EEEvPT_PKS2_PKT0_S8_ifPKiSA_iPKfiiiSC_SC_iiiii.numbered_sgpr, 40
	.set _ZN4vllm25paged_attention_v1_kernelIffLi112ELi16ELi128ELNS_18Fp8KVCacheDataTypeE0ELb0EEEvPT_PKS2_PKT0_S8_ifPKiSA_iPKfiiiSC_SC_iiiii.num_named_barrier, 0
	.set _ZN4vllm25paged_attention_v1_kernelIffLi112ELi16ELi128ELNS_18Fp8KVCacheDataTypeE0ELb0EEEvPT_PKS2_PKT0_S8_ifPKiSA_iPKfiiiSC_SC_iiiii.private_seg_size, 48
	.set _ZN4vllm25paged_attention_v1_kernelIffLi112ELi16ELi128ELNS_18Fp8KVCacheDataTypeE0ELb0EEEvPT_PKS2_PKT0_S8_ifPKiSA_iPKfiiiSC_SC_iiiii.uses_vcc, 1
	.set _ZN4vllm25paged_attention_v1_kernelIffLi112ELi16ELi128ELNS_18Fp8KVCacheDataTypeE0ELb0EEEvPT_PKS2_PKT0_S8_ifPKiSA_iPKfiiiSC_SC_iiiii.uses_flat_scratch, 0
	.set _ZN4vllm25paged_attention_v1_kernelIffLi112ELi16ELi128ELNS_18Fp8KVCacheDataTypeE0ELb0EEEvPT_PKS2_PKT0_S8_ifPKiSA_iPKfiiiSC_SC_iiiii.has_dyn_sized_stack, 0
	.set _ZN4vllm25paged_attention_v1_kernelIffLi112ELi16ELi128ELNS_18Fp8KVCacheDataTypeE0ELb0EEEvPT_PKS2_PKT0_S8_ifPKiSA_iPKfiiiSC_SC_iiiii.has_recursion, 0
	.set _ZN4vllm25paged_attention_v1_kernelIffLi112ELi16ELi128ELNS_18Fp8KVCacheDataTypeE0ELb0EEEvPT_PKS2_PKT0_S8_ifPKiSA_iPKfiiiSC_SC_iiiii.has_indirect_call, 0
	.section	.AMDGPU.csdata,"",@progbits
; Kernel info:
; codeLenInByte = 4300
; TotalNumSgprs: 44
; NumVgprs: 64
; ScratchSize: 48
; MemoryBound: 0
; FloatMode: 240
; IeeeMode: 1
; LDSByteSize: 464 bytes/workgroup (compile time only)
; SGPRBlocks: 5
; VGPRBlocks: 15
; NumSGPRsForWavesPerEU: 44
; NumVGPRsForWavesPerEU: 64
; Occupancy: 4
; WaveLimiterHint : 1
; COMPUTE_PGM_RSRC2:SCRATCH_EN: 1
; COMPUTE_PGM_RSRC2:USER_SGPR: 6
; COMPUTE_PGM_RSRC2:TRAP_HANDLER: 0
; COMPUTE_PGM_RSRC2:TGID_X_EN: 1
; COMPUTE_PGM_RSRC2:TGID_Y_EN: 1
; COMPUTE_PGM_RSRC2:TGID_Z_EN: 1
; COMPUTE_PGM_RSRC2:TIDIG_COMP_CNT: 0
	.section	.text._ZN4vllm25paged_attention_v1_kernelIffLi120ELi16ELi128ELNS_18Fp8KVCacheDataTypeE0ELb0EEEvPT_PKS2_PKT0_S8_ifPKiSA_iPKfiiiSC_SC_iiiii,"axG",@progbits,_ZN4vllm25paged_attention_v1_kernelIffLi120ELi16ELi128ELNS_18Fp8KVCacheDataTypeE0ELb0EEEvPT_PKS2_PKT0_S8_ifPKiSA_iPKfiiiSC_SC_iiiii,comdat
	.protected	_ZN4vllm25paged_attention_v1_kernelIffLi120ELi16ELi128ELNS_18Fp8KVCacheDataTypeE0ELb0EEEvPT_PKS2_PKT0_S8_ifPKiSA_iPKfiiiSC_SC_iiiii ; -- Begin function _ZN4vllm25paged_attention_v1_kernelIffLi120ELi16ELi128ELNS_18Fp8KVCacheDataTypeE0ELb0EEEvPT_PKS2_PKT0_S8_ifPKiSA_iPKfiiiSC_SC_iiiii
	.globl	_ZN4vllm25paged_attention_v1_kernelIffLi120ELi16ELi128ELNS_18Fp8KVCacheDataTypeE0ELb0EEEvPT_PKS2_PKT0_S8_ifPKiSA_iPKfiiiSC_SC_iiiii
	.p2align	8
	.type	_ZN4vllm25paged_attention_v1_kernelIffLi120ELi16ELi128ELNS_18Fp8KVCacheDataTypeE0ELb0EEEvPT_PKS2_PKT0_S8_ifPKiSA_iPKfiiiSC_SC_iiiii,@function
_ZN4vllm25paged_attention_v1_kernelIffLi120ELi16ELi128ELNS_18Fp8KVCacheDataTypeE0ELb0EEEvPT_PKS2_PKT0_S8_ifPKiSA_iPKfiiiSC_SC_iiiii: ; @_ZN4vllm25paged_attention_v1_kernelIffLi120ELi16ELi128ELNS_18Fp8KVCacheDataTypeE0ELb0EEEvPT_PKS2_PKT0_S8_ifPKiSA_iPKfiiiSC_SC_iiiii
; %bb.0:
	s_mov_b64 s[38:39], s[2:3]
	s_mov_b64 s[36:37], s[0:1]
	s_add_u32 s36, s36, s9
	s_load_dword s9, s[4:5], 0x80
	s_load_dwordx2 s[0:1], s[4:5], 0x30
	s_load_dwordx2 s[26:27], s[4:5], 0x20
	s_addc_u32 s37, s37, 0
	s_mov_b32 s10, s7
	s_ashr_i32 s11, s7, 31
	s_lshl_b64 s[2:3], s[10:11], 2
	s_waitcnt lgkmcnt(0)
	s_add_u32 s0, s0, s2
	s_addc_u32 s1, s1, s3
	s_abs_i32 s2, s26
	v_cvt_f32_u32_e32 v1, s2
	s_sub_i32 s11, 0, s2
	s_abs_i32 s7, s9
	s_xor_b32 s3, s9, s26
	v_rcp_iflag_f32_e32 v1, v1
	s_ashr_i32 s3, s3, 31
	v_mov_b32_e32 v41, v0
	s_mov_b32 s26, 0
	v_mul_f32_e32 v1, 0x4f7ffffe, v1
	v_cvt_u32_f32_e32 v1, v1
	v_readfirstlane_b32 s12, v1
	s_mul_i32 s11, s11, s12
	s_mul_hi_u32 s11, s12, s11
	s_add_i32 s12, s12, s11
	s_mul_hi_u32 s11, s7, s12
	s_mul_i32 s12, s11, s2
	s_sub_i32 s7, s7, s12
	s_add_i32 s12, s11, 1
	s_sub_i32 s13, s7, s2
	s_cmp_ge_u32 s7, s2
	s_cselect_b32 s11, s12, s11
	s_cselect_b32 s7, s13, s7
	s_add_i32 s12, s11, 1
	s_cmp_ge_u32 s7, s2
	s_cselect_b32 s2, s12, s11
	s_xor_b32 s2, s2, s3
	s_sub_i32 s12, s2, s3
	s_abs_i32 s11, s12
	v_cvt_f32_u32_e32 v1, s11
	s_load_dwordx2 s[2:3], s[4:5], 0x40
	s_sub_i32 s7, 0, s11
	s_abs_i32 s18, s6
	v_rcp_iflag_f32_e32 v1, v1
	v_mul_f32_e32 v1, 0x4f7ffffe, v1
	v_cvt_u32_f32_e32 v1, v1
	v_readfirstlane_b32 s13, v1
	s_mul_i32 s7, s7, s13
	s_mul_hi_u32 s7, s13, s7
	s_add_i32 s13, s13, s7
	s_waitcnt lgkmcnt(0)
	s_cmp_eq_u64 s[2:3], 0
	s_mul_hi_u32 s19, s18, s13
	s_cbranch_scc1 .LBB32_2
; %bb.1:
	s_ashr_i32 s7, s6, 31
	s_lshl_b64 s[14:15], s[6:7], 2
	s_add_u32 s2, s2, s14
	s_addc_u32 s3, s3, s15
	s_load_dword s26, s[2:3], 0x0
.LBB32_2:
	s_load_dword s33, s[0:1], 0x0
	s_ashr_i32 s3, s12, 31
	s_load_dwordx4 s[12:15], s[4:5], 0x48
	v_lshrrev_b32_e32 v40, 2, v41
	s_movk_i32 s7, 0x78
	s_ashr_i32 s2, s6, 31
	v_and_b32_e32 v42, 3, v41
	s_mul_i32 s16, s6, 0x78
	v_cmp_gt_u32_e32 vcc, s7, v41
	v_lshlrev_b32_e32 v12, 2, v41
	v_lshlrev_b32_e32 v39, 2, v40
	s_and_saveexec_b64 s[0:1], vcc
	s_cbranch_execz .LBB32_4
; %bb.3:
	s_load_dwordx2 s[20:21], s[4:5], 0x8
	s_waitcnt lgkmcnt(0)
	s_mul_i32 s22, s12, s10
	s_ashr_i32 s23, s22, 31
	s_lshl_b64 s[22:23], s[22:23], 2
	v_mad_u32_u24 v2, v42, s7, v39
	s_add_u32 s6, s20, s22
	s_addc_u32 s12, s21, s23
	s_ashr_i32 s17, s16, 31
	s_lshl_b64 s[20:21], s[16:17], 2
	s_add_u32 s20, s6, s20
	s_addc_u32 s21, s12, s21
	global_load_dword v1, v12, s[20:21]
	s_waitcnt vmcnt(0)
	ds_write_b32 v2, v1
.LBB32_4:
	s_or_b64 exec, exec, s[0:1]
	s_waitcnt lgkmcnt(0)
	s_add_i32 s1, s33, 15
	s_ashr_i32 s6, s1, 31
	s_lshr_b32 s6, s6, 28
	s_add_i32 s1, s1, s6
	s_ashr_i32 s17, s1, 4
	s_xor_b32 s1, s2, s3
	s_mul_i32 s2, s19, s11
	s_sub_i32 s2, s18, s2
	s_add_i32 s3, s19, 1
	s_sub_i32 s6, s2, s11
	s_load_dwordx2 s[20:21], s[4:5], 0x28
	s_load_dword s0, s[4:5], 0x38
	s_cmp_ge_u32 s2, s11
	s_cselect_b32 s3, s3, s19
	s_cselect_b32 s2, s6, s2
	s_add_i32 s6, s3, 1
	s_cmp_ge_u32 s2, s11
	s_cselect_b32 s2, s6, s3
	v_lshrrev_b32_e32 v60, 6, v41
	s_xor_b32 s2, s2, s1
	s_waitcnt lgkmcnt(0)
	s_mul_i32 s22, s0, s10
	s_sub_i32 s12, s2, s1
	s_ashr_i32 s23, s22, 31
	v_cmp_le_i32_e64 s[0:1], s17, v60
	v_mbcnt_lo_u32_b32 v1, -1, 0
	s_barrier
                                        ; implicit-def: $vgpr14
                                        ; implicit-def: $vgpr9
                                        ; implicit-def: $vgpr15
	s_and_saveexec_b64 s[2:3], s[0:1]
	s_xor_b64 s[2:3], exec, s[2:3]
; %bb.5:
	v_mbcnt_hi_u32_b32 v14, -1, v1
	v_and_b32_e32 v9, 64, v14
	v_add_u32_e32 v15, 64, v9
                                        ; implicit-def: $vgpr1
; %bb.6:
	s_or_saveexec_b64 s[6:7], s[2:3]
	s_load_dwordx2 s[18:19], s[4:5], 0x0
	s_load_dwordx2 s[24:25], s[4:5], 0x18
	s_load_dword s11, s[4:5], 0x88
	v_mov_b32_e32 v0, 0xff7fffff
	s_mul_i32 s14, s12, s14
	v_lshrrev_b32_e32 v13, 4, v41
	s_xor_b64 exec, exec, s[6:7]
	s_cbranch_execz .LBB32_12
; %bb.7:
	s_load_dwordx2 s[2:3], s[4:5], 0x10
	s_ashr_i32 s15, s14, 31
	s_lshl_b64 s[4:5], s[14:15], 2
	v_bfe_u32 v2, v41, 2, 4
	v_lshlrev_b32_e32 v4, 4, v2
	s_waitcnt lgkmcnt(0)
	s_add_u32 s2, s2, s4
	s_addc_u32 s3, s3, s5
	v_mov_b32_e32 v5, s3
	v_add_co_u32_e32 v4, vcc, s2, v4
	v_addc_co_u32_e32 v5, vcc, 0, v5, vcc
	v_lshlrev_b32_e32 v6, 2, v42
	v_add_co_u32_e32 v0, vcc, v4, v6
	buffer_store_dword v0, off, s[36:39], 0 offset:4 ; 4-byte Folded Spill
	v_addc_co_u32_e32 v0, vcc, 0, v5, vcc
	buffer_store_dword v0, off, s[36:39], 0 offset:8 ; 4-byte Folded Spill
	v_mbcnt_hi_u32_b32 v0, -1, v1
	v_and_b32_e32 v1, 64, v0
	buffer_store_dword v1, off, s[36:39], 0 offset:52 ; 4-byte Folded Spill
	v_add_u32_e32 v4, 64, v1
	v_xor_b32_e32 v1, 2, v0
	v_cmp_lt_i32_e32 vcc, v1, v4
	v_cndmask_b32_e32 v1, v0, v1, vcc
	v_lshlrev_b32_e32 v1, 2, v1
	buffer_store_dword v1, off, s[36:39], 0 offset:12 ; 4-byte Folded Spill
	v_xor_b32_e32 v1, 1, v0
	v_cmp_lt_i32_e32 vcc, v1, v4
	v_lshlrev_b32_e32 v3, 2, v2
	v_cndmask_b32_e32 v1, v0, v1, vcc
	s_sub_i32 s15, 1, s33
	s_lshl_b64 s[4:5], s[22:23], 2
	buffer_store_dword v0, off, s[36:39], 0 offset:48 ; 4-byte Folded Spill
	v_lshlrev_b32_e32 v0, 2, v1
	v_lshl_or_b32 v1, v60, 6, v3
	s_add_u32 s4, s20, s4
	buffer_store_dword v12, off, s[36:39], 0 offset:40 ; 4-byte Folded Spill
	buffer_store_dword v41, off, s[36:39], 0 offset:28 ; 4-byte Folded Spill
	v_mul_u32_u24_e32 v25, 0x78, v42
	buffer_store_dword v0, off, s[36:39], 0 offset:16 ; 4-byte Folded Spill
	buffer_store_dword v42, off, s[36:39], 0 offset:32 ; 4-byte Folded Spill
	v_add_u32_e32 v48, 0x1f0, v1
	v_and_b32_e32 v1, 60, v13
	s_addc_u32 s5, s21, s5
	v_lshl_or_b32 v47, v60, 4, v2
	v_mov_b32_e32 v2, s5
	v_add_co_u32_e64 v29, s[4:5], s4, v1
	ds_read_b64 v[0:1], v25 offset:112
	buffer_store_dword v13, off, s[36:39], 0 offset:44 ; 4-byte Folded Spill
	s_waitcnt lgkmcnt(0)
	buffer_store_dword v0, off, s[36:39], 0 offset:20 ; 4-byte Folded Spill
	s_nop 0
	buffer_store_dword v1, off, s[36:39], 0 offset:24 ; 4-byte Folded Spill
	v_addc_co_u32_e64 v30, s[4:5], 0, v2, s[4:5]
	ds_read2_b64 v[1:4], v25 offset0:12 offset1:13
	ds_read2_b64 v[5:8], v25 offset1:1
	ds_read2_b64 v[9:12], v25 offset0:2 offset1:3
	ds_read2_b64 v[13:16], v25 offset0:4 offset1:5
	;; [unrolled: 1-line block ×5, first 2 shown]
	s_mov_b32 s12, s13
	v_cmp_eq_u32_e32 vcc, 0, v42
	v_cmp_neq_f32_e64 s[2:3], s26, 0
	v_mov_b32_e32 v0, 0xff7fffff
	s_mov_b64 s[28:29], 0
	s_movk_i32 s34, 0x1000
	v_mov_b32_e32 v49, v60
	buffer_store_dword v0, off, s[36:39], 0 ; 4-byte Folded Spill
	buffer_store_dword v60, off, s[36:39], 0 offset:36 ; 4-byte Folded Spill
	s_branch .LBB32_9
.LBB32_8:                               ;   in Loop: Header=BB32_9 Depth=1
	s_or_b64 exec, exec, s[30:31]
	v_add_u32_e32 v49, 2, v49
	v_cmp_le_i32_e64 s[4:5], s17, v49
	s_or_b64 s[28:29], s[4:5], s[28:29]
	v_add_co_u32_e64 v29, s[4:5], 8, v29
	v_add_u32_e32 v47, 32, v47
	v_add_u32_e32 v48, 0x80, v48
	v_addc_co_u32_e64 v30, s[4:5], 0, v30, s[4:5]
	s_andn2_b64 exec, exec, s[28:29]
	s_cbranch_execz .LBB32_11
.LBB32_9:                               ; =>This Inner Loop Header: Depth=1
	global_load_dword v50, v[29:30], off
	buffer_load_dword v0, off, s[36:39], 0 offset:4 ; 4-byte Folded Reload
	s_waitcnt vmcnt(1) lgkmcnt(0)
	v_mad_i64_i32 v[50:51], s[4:5], v50, s12, 0
	v_lshlrev_b64 v[50:51], 2, v[50:51]
	s_waitcnt vmcnt(0)
	v_add_co_u32_e64 v50, s[4:5], v0, v50
	buffer_load_dword v0, off, s[36:39], 0 offset:8 ; 4-byte Folded Reload
	s_waitcnt vmcnt(0)
	v_addc_co_u32_e64 v51, s[4:5], v0, v51, s[4:5]
	global_load_dword v52, v[50:51], off
	global_load_dword v53, v[50:51], off offset:256
	global_load_dword v54, v[50:51], off offset:512
	;; [unrolled: 1-line block ×15, first 2 shown]
	v_add_co_u32_e64 v50, s[4:5], s34, v50
	v_addc_co_u32_e64 v51, s[4:5], 0, v51, s[4:5]
	global_load_dword v40, v[50:51], off
	global_load_dword v37, v[50:51], off offset:256
	global_load_dword v36, v[50:51], off offset:512
	;; [unrolled: 1-line block ×12, first 2 shown]
	s_nop 0
	global_load_dword v50, v[50:51], off offset:3328
	s_waitcnt vmcnt(28) lgkmcnt(5)
	v_mul_f32_e32 v51, v6, v53
	v_fmac_f32_e32 v51, v5, v52
	s_waitcnt vmcnt(27)
	v_fmac_f32_e32 v51, v7, v54
	s_waitcnt vmcnt(26)
	v_fmac_f32_e32 v51, v8, v55
	s_waitcnt vmcnt(25) lgkmcnt(4)
	v_fmac_f32_e32 v51, v9, v56
	s_waitcnt vmcnt(24)
	v_fmac_f32_e32 v51, v10, v57
	s_waitcnt vmcnt(23)
	v_fmac_f32_e32 v51, v11, v58
	s_waitcnt vmcnt(22)
	v_fmac_f32_e32 v51, v12, v59
	s_waitcnt vmcnt(21) lgkmcnt(3)
	v_fmac_f32_e32 v51, v13, v60
	s_waitcnt vmcnt(20)
	;; [unrolled: 8-line block ×4, first 2 shown]
	v_fmac_f32_e32 v51, v22, v37
	s_waitcnt vmcnt(11)
	v_fmac_f32_e32 v51, v23, v36
	buffer_load_dword v33, off, s[36:39], 0 offset:20 ; 4-byte Folded Reload
	buffer_load_dword v34, off, s[36:39], 0 offset:24 ; 4-byte Folded Reload
	s_waitcnt vmcnt(12)
	v_fmac_f32_e32 v51, v24, v0
	buffer_load_dword v0, off, s[36:39], 0 offset:12 ; 4-byte Folded Reload
	s_waitcnt vmcnt(12) lgkmcnt(0)
	v_fmac_f32_e32 v51, v25, v35
	s_waitcnt vmcnt(11)
	v_fmac_f32_e32 v51, v26, v38
	s_waitcnt vmcnt(10)
	v_fmac_f32_e32 v51, v27, v43
	s_waitcnt vmcnt(9)
	v_fmac_f32_e32 v51, v28, v44
	s_waitcnt vmcnt(8)
	v_fmac_f32_e32 v51, v1, v46
	s_waitcnt vmcnt(7)
	v_fmac_f32_e32 v51, v2, v45
	s_waitcnt vmcnt(6)
	v_fmac_f32_e32 v51, v3, v42
	s_waitcnt vmcnt(5)
	v_fmac_f32_e32 v51, v4, v31
	s_waitcnt vmcnt(2)
	v_fmac_f32_e32 v51, v33, v32
	s_waitcnt vmcnt(1)
	v_fmac_f32_e32 v51, v34, v50
	s_waitcnt vmcnt(0)
	ds_bpermute_b32 v0, v0, v51
	s_waitcnt lgkmcnt(0)
	v_add_f32_e32 v50, v51, v0
	buffer_load_dword v0, off, s[36:39], 0 offset:16 ; 4-byte Folded Reload
	s_waitcnt vmcnt(0)
	ds_bpermute_b32 v51, v0, v50
	s_and_saveexec_b64 s[30:31], vcc
	s_cbranch_execz .LBB32_8
; %bb.10:                               ;   in Loop: Header=BB32_9 Depth=1
	buffer_load_dword v33, off, s[36:39], 0 ; 4-byte Folded Reload
	v_add_u32_e32 v0, s15, v47
	v_cvt_f32_i32_e32 v0, v0
	s_waitcnt lgkmcnt(0)
	v_add_f32_e32 v31, v50, v51
	v_cmp_gt_i32_e64 s[4:5], s33, v47
	v_mul_f32_e32 v0, s26, v0
	v_cndmask_b32_e64 v0, 0, v0, s[2:3]
	v_fmac_f32_e32 v0, s27, v31
	v_cndmask_b32_e64 v31, 0, v0, s[4:5]
	ds_write_b32 v48, v31
	s_waitcnt vmcnt(0)
	v_max_f32_e32 v32, v33, v33
	v_max_f32_e32 v0, v32, v0
	v_cndmask_b32_e64 v33, v33, v0, s[4:5]
	buffer_store_dword v33, off, s[36:39], 0 ; 4-byte Folded Spill
	s_branch .LBB32_8
.LBB32_11:
	s_or_b64 exec, exec, s[28:29]
	buffer_load_dword v41, off, s[36:39], 0 offset:28 ; 4-byte Folded Reload
	buffer_load_dword v42, off, s[36:39], 0 offset:32 ; 4-byte Folded Reload
	;; [unrolled: 1-line block ×7, first 2 shown]
	buffer_load_dword v0, off, s[36:39], 0  ; 4-byte Folded Reload
	s_waitcnt vmcnt(7)
	v_lshrrev_b32_e32 v40, 2, v41
	v_lshlrev_b32_e32 v39, 2, v40
	s_waitcnt vmcnt(1)
	v_add_u32_e32 v15, 64, v9
.LBB32_12:
	s_or_b64 exec, exec, s[6:7]
	v_xor_b32_e32 v1, 32, v14
	v_cmp_lt_i32_e32 vcc, v1, v15
	v_cndmask_b32_e32 v1, v14, v1, vcc
	v_lshlrev_b32_e32 v2, 2, v1
	s_waitcnt vmcnt(0)
	ds_bpermute_b32 v1, v2, v0
	v_xor_b32_e32 v4, 16, v14
	v_max_f32_e32 v3, v0, v0
	v_cmp_lt_i32_e32 vcc, v4, v15
	v_xor_b32_e32 v5, 8, v14
	s_waitcnt lgkmcnt(0)
	v_max_f32_e32 v1, v1, v1
	v_max_f32_e32 v1, v3, v1
	v_cndmask_b32_e32 v3, v14, v4, vcc
	v_lshlrev_b32_e32 v3, 2, v3
	ds_bpermute_b32 v4, v3, v1
	v_cmp_lt_i32_e32 vcc, v5, v15
	v_xor_b32_e32 v7, 4, v14
	s_waitcnt lgkmcnt(0)
	v_max_f32_e32 v4, v4, v4
	v_max_f32_e32 v1, v1, v4
	v_cndmask_b32_e32 v4, v14, v5, vcc
	v_lshlrev_b32_e32 v6, 2, v4
	ds_bpermute_b32 v4, v6, v1
	v_cmp_lt_i32_e32 vcc, v7, v15
	s_waitcnt lgkmcnt(0)
	v_max_f32_e32 v4, v4, v4
	v_max_f32_e32 v5, v1, v4
	v_cndmask_b32_e32 v1, v14, v7, vcc
	v_lshlrev_b32_e32 v7, 2, v1
	ds_bpermute_b32 v8, v7, v5
	v_and_b32_e32 v1, 63, v41
	v_cmp_eq_u32_e32 vcc, 0, v1
	v_lshlrev_b32_e32 v4, 2, v60
	s_and_saveexec_b64 s[2:3], vcc
	s_cbranch_execz .LBB32_14
; %bb.13:
	s_waitcnt lgkmcnt(0)
	v_max_f32_e32 v0, v8, v8
	v_max_f32_e32 v5, v5, v5
	;; [unrolled: 1-line block ×3, first 2 shown]
	ds_write_b32 v4, v0 offset:480
.LBB32_14:
	s_or_b64 exec, exec, s[2:3]
	v_cmp_gt_u32_e64 s[2:3], 2, v1
	s_waitcnt lgkmcnt(0)
	v_mov_b32_e32 v8, 0xff7fffff
	v_lshlrev_b32_e32 v5, 2, v1
	s_barrier
	s_and_saveexec_b64 s[4:5], s[2:3]
; %bb.15:
	ds_read_b32 v8, v5 offset:480
; %bb.16:
	s_or_b64 exec, exec, s[4:5]
	v_xor_b32_e32 v0, 1, v14
	v_cmp_lt_i32_e64 s[4:5], v0, v15
	v_cndmask_b32_e64 v0, v14, v0, s[4:5]
	v_lshlrev_b32_e32 v43, 2, v0
	s_waitcnt lgkmcnt(0)
	ds_bpermute_b32 v0, v43, v8
	v_max_f32_e32 v8, v8, v8
	s_lshl_b32 s4, s17, 4
	s_min_i32 s12, s4, s33
	v_cmp_gt_i32_e64 s[4:5], s12, v41
	s_waitcnt lgkmcnt(0)
	v_max_f32_e32 v0, v0, v0
	v_max_f32_e32 v0, v8, v0
	v_lshlrev_b32_e32 v8, 2, v9
	ds_bpermute_b32 v9, v8, v0
	v_mov_b32_e32 v8, 0
	s_and_saveexec_b64 s[26:27], s[4:5]
	s_cbranch_execz .LBB32_20
; %bb.17:
	v_mov_b32_e32 v0, 0x1f0
	v_lshl_add_u32 v10, v41, 2, v0
	v_mov_b32_e32 v8, 0
	s_mov_b64 s[28:29], 0
	v_mov_b32_e32 v11, v41
.LBB32_18:                              ; =>This Inner Loop Header: Depth=1
	ds_read_b32 v0, v10
	v_add_u32_e32 v11, 0x80, v11
	v_cmp_le_i32_e64 s[6:7], s12, v11
	s_or_b64 s[28:29], s[6:7], s[28:29]
	s_waitcnt lgkmcnt(0)
	v_sub_f32_e32 v0, v0, v9
	v_mul_f32_e32 v0, 0x3fb8aa3b, v0
	v_exp_f32_e32 v0, v0
	ds_write_b32 v10, v0
	v_add_f32_e32 v8, v8, v0
	v_add_u32_e32 v10, 0x200, v10
	s_andn2_b64 exec, exec, s[28:29]
	s_cbranch_execnz .LBB32_18
; %bb.19:
	s_or_b64 exec, exec, s[28:29]
.LBB32_20:
	s_or_b64 exec, exec, s[26:27]
	ds_bpermute_b32 v0, v2, v8
	s_waitcnt lgkmcnt(0)
	v_add_f32_e32 v0, v8, v0
	ds_bpermute_b32 v2, v3, v0
	v_xor_b32_e32 v3, 2, v14
	v_cmp_lt_i32_e64 s[6:7], v3, v15
	v_cndmask_b32_e64 v3, v14, v3, s[6:7]
	v_lshlrev_b32_e32 v44, 2, v3
	s_waitcnt lgkmcnt(0)
	v_add_f32_e32 v0, v0, v2
	ds_bpermute_b32 v2, v6, v0
	s_waitcnt lgkmcnt(0)
	v_add_f32_e32 v0, v0, v2
	ds_bpermute_b32 v2, v7, v0
	;; [unrolled: 3-line block ×4, first 2 shown]
	s_waitcnt lgkmcnt(0)
	v_add_f32_e32 v2, v0, v2
	s_and_saveexec_b64 s[6:7], vcc
; %bb.21:
	ds_write_b32 v4, v2 offset:488
; %bb.22:
	s_or_b64 exec, exec, s[6:7]
	s_waitcnt lgkmcnt(0)
	s_barrier
	s_and_saveexec_b64 s[6:7], s[2:3]
; %bb.23:
	ds_read_b32 v2, v5 offset:488
; %bb.24:
	s_or_b64 exec, exec, s[6:7]
	s_waitcnt lgkmcnt(0)
	ds_bpermute_b32 v0, v43, v2
	v_lshlrev_b32_e32 v3, 2, v14
	s_waitcnt lgkmcnt(0)
	v_add_f32_e32 v0, v2, v0
	v_and_b32_e32 v2, 0xffffff00, v3
	ds_bpermute_b32 v2, v2, v0
	s_and_saveexec_b64 s[2:3], s[4:5]
	s_cbranch_execz .LBB32_27
; %bb.25:
	s_waitcnt lgkmcnt(0)
	v_add_f32_e32 v0, 0x358637bd, v2
	v_div_scale_f32 v2, s[4:5], v0, v0, 1.0
	v_div_scale_f32 v3, vcc, 1.0, v0, 1.0
	s_mov_b64 s[4:5], 0
	v_rcp_f32_e32 v4, v2
	v_fma_f32 v5, -v2, v4, 1.0
	v_fmac_f32_e32 v4, v5, v4
	v_mul_f32_e32 v5, v3, v4
	v_fma_f32 v6, -v2, v5, v3
	v_fmac_f32_e32 v5, v6, v4
	v_fma_f32 v2, -v2, v5, v3
	v_div_fmas_f32 v3, v2, v4, v5
	v_mov_b32_e32 v2, 0x1f0
	v_lshl_add_u32 v2, v41, 2, v2
	v_mov_b32_e32 v4, v41
	v_div_fixup_f32 v3, v3, v0, 1.0
.LBB32_26:                              ; =>This Inner Loop Header: Depth=1
	ds_read_b32 v0, v2
	v_add_u32_e32 v4, 0x80, v4
	v_cmp_le_i32_e32 vcc, s12, v4
	s_or_b64 s[4:5], vcc, s[4:5]
	s_waitcnt lgkmcnt(0)
	v_mul_f32_e32 v0, v3, v0
	ds_write_b32 v2, v0
	v_add_u32_e32 v2, 0x200, v2
	s_andn2_b64 exec, exec, s[4:5]
	s_cbranch_execnz .LBB32_26
.LBB32_27:
	s_or_b64 exec, exec, s[2:3]
	v_lshrrev_b32_e32 v45, 2, v1
	s_waitcnt lgkmcnt(0)
	s_barrier
	s_and_saveexec_b64 s[2:3], s[0:1]
	s_xor_b64 s[0:1], exec, s[2:3]
; %bb.28:
	v_lshrrev_b32_e32 v45, 2, v1
                                        ; implicit-def: $vgpr60
                                        ; implicit-def: $vgpr12
                                        ; implicit-def: $vgpr13
; %bb.29:
	s_or_saveexec_b64 s[4:5], s[0:1]
	v_mov_b32_e32 v52, 0
	v_mov_b32_e32 v53, 0
	v_mov_b32_e32 v51, 0
	v_mov_b32_e32 v50, 0
	v_mov_b32_e32 v49, 0
	v_mov_b32_e32 v48, 0
	v_mov_b32_e32 v47, 0
	v_mov_b32_e32 v46, 0
	s_xor_b64 exec, exec, s[4:5]
	s_cbranch_execz .LBB32_51
; %bb.30:
	s_ashr_i32 s15, s14, 31
	s_lshl_b64 s[0:1], s[14:15], 2
	v_and_b32_e32 v0, 12, v12
	s_add_u32 s24, s24, s0
	v_or_b32_e32 v2, 0x70, v45
	s_movk_i32 s0, 0x78
	v_lshlrev_b32_e32 v3, 4, v60
	s_addc_u32 s12, s25, s1
	s_add_i32 s25, s17, -1
	v_lshl_or_b32 v1, v45, 4, v0
	v_cmp_gt_u32_e64 s[0:1], s0, v2
	v_lshl_or_b32 v2, v2, 4, v0
	v_or3_b32 v54, v3, v0, 3
	v_lshlrev_b32_e32 v0, 4, v42
	s_lshl_b64 s[2:3], s[22:23], 2
	v_lshl_or_b32 v0, v60, 6, v0
	s_add_u32 s2, s20, s2
	v_add_u32_e32 v55, 0x1f0, v0
	v_and_b32_e32 v0, 60, v13
	s_addc_u32 s3, s21, s3
	v_mov_b32_e32 v3, s3
	v_add_co_u32_e32 v37, vcc, s2, v0
	s_mov_b32 s26, s13
	v_mov_b32_e32 v46, 0
	v_addc_co_u32_e32 v38, vcc, 0, v3, vcc
	s_mov_b64 s[6:7], 0
	v_mov_b32_e32 v56, s12
	v_lshlrev_b32_e32 v57, 2, v1
	v_lshlrev_b32_e32 v58, 2, v2
	v_mov_b32_e32 v47, 0
	v_mov_b32_e32 v48, 0
	;; [unrolled: 1-line block ×7, first 2 shown]
	s_branch .LBB32_33
.LBB32_31:                              ;   in Loop: Header=BB32_33 Depth=1
	s_or_b64 exec, exec, s[14:15]
	s_waitcnt vmcnt(0) lgkmcnt(0)
	v_mul_f32_e32 v0, v5, v33
	v_fmac_f32_e32 v0, v6, v34
	v_fmac_f32_e32 v0, v7, v35
	;; [unrolled: 1-line block ×3, first 2 shown]
	v_add_f32_e32 v46, v46, v0
.LBB32_32:                              ;   in Loop: Header=BB32_33 Depth=1
	s_or_b64 exec, exec, s[12:13]
	s_waitcnt vmcnt(0) lgkmcnt(0)
	v_mul_f32_e32 v0, v5, v29
	v_fmac_f32_e32 v0, v6, v30
	v_fmac_f32_e32 v0, v7, v31
	v_fmac_f32_e32 v0, v8, v32
	v_add_f32_e32 v47, v47, v0
	v_mul_f32_e32 v0, v5, v25
	v_fmac_f32_e32 v0, v6, v26
	v_fmac_f32_e32 v0, v7, v27
	v_fmac_f32_e32 v0, v8, v28
	v_add_f32_e32 v48, v48, v0
	;; [unrolled: 5-line block ×6, first 2 shown]
	v_mul_f32_e32 v0, v5, v1
	v_fmac_f32_e32 v0, v6, v2
	v_add_u32_e32 v60, 2, v60
	v_fmac_f32_e32 v0, v7, v3
	v_cmp_le_i32_e32 vcc, s17, v60
	v_fmac_f32_e32 v0, v8, v4
	s_or_b64 s[6:7], vcc, s[6:7]
	v_add_co_u32_e32 v37, vcc, 8, v37
	v_add_f32_e32 v52, v52, v0
	v_add_u32_e32 v54, 32, v54
	v_add_u32_e32 v55, 0x80, v55
	v_addc_co_u32_e32 v38, vcc, 0, v38, vcc
	s_andn2_b64 exec, exec, s[6:7]
	s_cbranch_execz .LBB32_50
.LBB32_33:                              ; =>This Inner Loop Header: Depth=1
	global_load_dword v0, v[37:38], off
	ds_read_b128 v[5:8], v55
	v_add_u32_e32 v59, -3, v54
	s_waitcnt vmcnt(0)
	v_mad_i64_i32 v[1:2], s[2:3], v0, s26, 0
	v_cmp_eq_u32_e64 s[2:3], s25, v60
	v_lshlrev_b64 v[1:2], 2, v[1:2]
	v_add_co_u32_e32 v33, vcc, s24, v1
	v_addc_co_u32_e32 v34, vcc, v56, v2, vcc
	v_add_co_u32_e32 v29, vcc, v33, v57
	v_addc_co_u32_e32 v30, vcc, 0, v34, vcc
	global_load_dwordx4 v[1:4], v[29:30], off
	s_and_saveexec_b64 s[12:13], s[2:3]
	s_cbranch_execnz .LBB32_47
; %bb.34:                               ;   in Loop: Header=BB32_33 Depth=1
	s_or_b64 exec, exec, s[12:13]
	global_load_dwordx4 v[9:12], v[29:30], off offset:1024
	s_and_saveexec_b64 s[12:13], s[2:3]
	s_cbranch_execnz .LBB32_48
.LBB32_35:                              ;   in Loop: Header=BB32_33 Depth=1
	s_or_b64 exec, exec, s[12:13]
	global_load_dwordx4 v[13:16], v[29:30], off offset:2048
	s_and_saveexec_b64 s[12:13], s[2:3]
	s_cbranch_execnz .LBB32_49
.LBB32_36:                              ;   in Loop: Header=BB32_33 Depth=1
	s_or_b64 exec, exec, s[12:13]
	global_load_dwordx4 v[17:20], v[29:30], off offset:3072
	s_and_saveexec_b64 s[12:13], s[2:3]
	s_cbranch_execz .LBB32_38
.LBB32_37:                              ;   in Loop: Header=BB32_33 Depth=1
	v_cmp_gt_i32_e32 vcc, s33, v59
	v_add_u32_e32 v0, -2, v54
	s_waitcnt vmcnt(0)
	v_cndmask_b32_e32 v17, 0, v17, vcc
	v_cmp_gt_i32_e32 vcc, s33, v0
	v_add_u32_e32 v0, -1, v54
	v_cndmask_b32_e32 v18, 0, v18, vcc
	v_cmp_gt_i32_e32 vcc, s33, v0
	v_cndmask_b32_e32 v19, 0, v19, vcc
	v_cmp_gt_i32_e32 vcc, s33, v54
	v_cndmask_b32_e32 v20, 0, v20, vcc
.LBB32_38:                              ;   in Loop: Header=BB32_33 Depth=1
	s_or_b64 exec, exec, s[12:13]
	v_add_co_u32_e32 v21, vcc, 0x1000, v29
	v_addc_co_u32_e32 v22, vcc, 0, v30, vcc
	global_load_dwordx4 v[21:24], v[21:22], off
	s_and_saveexec_b64 s[12:13], s[2:3]
	s_cbranch_execz .LBB32_40
; %bb.39:                               ;   in Loop: Header=BB32_33 Depth=1
	v_cmp_gt_i32_e32 vcc, s33, v59
	v_add_u32_e32 v0, -2, v54
	s_waitcnt vmcnt(0)
	v_cndmask_b32_e32 v21, 0, v21, vcc
	v_cmp_gt_i32_e32 vcc, s33, v0
	v_add_u32_e32 v0, -1, v54
	v_cndmask_b32_e32 v22, 0, v22, vcc
	v_cmp_gt_i32_e32 vcc, s33, v0
	v_cndmask_b32_e32 v23, 0, v23, vcc
	v_cmp_gt_i32_e32 vcc, s33, v54
	v_cndmask_b32_e32 v24, 0, v24, vcc
.LBB32_40:                              ;   in Loop: Header=BB32_33 Depth=1
	s_or_b64 exec, exec, s[12:13]
	v_add_co_u32_e32 v25, vcc, 0x1000, v29
	v_addc_co_u32_e32 v26, vcc, 0, v30, vcc
	global_load_dwordx4 v[25:28], v[25:26], off offset:1024
	s_and_saveexec_b64 s[12:13], s[2:3]
	s_cbranch_execz .LBB32_42
; %bb.41:                               ;   in Loop: Header=BB32_33 Depth=1
	v_cmp_gt_i32_e32 vcc, s33, v59
	v_add_u32_e32 v0, -2, v54
	s_waitcnt vmcnt(0)
	v_cndmask_b32_e32 v25, 0, v25, vcc
	v_cmp_gt_i32_e32 vcc, s33, v0
	v_add_u32_e32 v0, -1, v54
	v_cndmask_b32_e32 v26, 0, v26, vcc
	v_cmp_gt_i32_e32 vcc, s33, v0
	v_cndmask_b32_e32 v27, 0, v27, vcc
	v_cmp_gt_i32_e32 vcc, s33, v54
	v_cndmask_b32_e32 v28, 0, v28, vcc
.LBB32_42:                              ;   in Loop: Header=BB32_33 Depth=1
	s_or_b64 exec, exec, s[12:13]
	v_add_co_u32_e32 v29, vcc, 0x1000, v29
	v_addc_co_u32_e32 v30, vcc, 0, v30, vcc
	global_load_dwordx4 v[29:32], v[29:30], off offset:2048
	s_and_saveexec_b64 s[12:13], s[2:3]
	s_cbranch_execz .LBB32_44
; %bb.43:                               ;   in Loop: Header=BB32_33 Depth=1
	v_cmp_gt_i32_e32 vcc, s33, v59
	v_add_u32_e32 v0, -2, v54
	s_waitcnt vmcnt(0)
	v_cndmask_b32_e32 v29, 0, v29, vcc
	v_cmp_gt_i32_e32 vcc, s33, v0
	v_add_u32_e32 v0, -1, v54
	v_cndmask_b32_e32 v30, 0, v30, vcc
	v_cmp_gt_i32_e32 vcc, s33, v0
	v_cndmask_b32_e32 v31, 0, v31, vcc
	v_cmp_gt_i32_e32 vcc, s33, v54
	v_cndmask_b32_e32 v32, 0, v32, vcc
.LBB32_44:                              ;   in Loop: Header=BB32_33 Depth=1
	s_or_b64 exec, exec, s[12:13]
	s_and_saveexec_b64 s[12:13], s[0:1]
	s_cbranch_execz .LBB32_32
; %bb.45:                               ;   in Loop: Header=BB32_33 Depth=1
	v_add_co_u32_e32 v33, vcc, v33, v58
	v_addc_co_u32_e32 v34, vcc, 0, v34, vcc
	global_load_dwordx4 v[33:36], v[33:34], off
	s_and_saveexec_b64 s[14:15], s[2:3]
	s_cbranch_execz .LBB32_31
; %bb.46:                               ;   in Loop: Header=BB32_33 Depth=1
	v_cmp_gt_i32_e32 vcc, s33, v59
	v_add_u32_e32 v0, -2, v54
	s_waitcnt vmcnt(0)
	v_cndmask_b32_e32 v33, 0, v33, vcc
	v_cmp_gt_i32_e32 vcc, s33, v0
	v_add_u32_e32 v0, -1, v54
	v_cndmask_b32_e32 v34, 0, v34, vcc
	v_cmp_gt_i32_e32 vcc, s33, v0
	v_cndmask_b32_e32 v35, 0, v35, vcc
	v_cmp_gt_i32_e32 vcc, s33, v54
	v_cndmask_b32_e32 v36, 0, v36, vcc
	s_branch .LBB32_31
.LBB32_47:                              ;   in Loop: Header=BB32_33 Depth=1
	v_cmp_gt_i32_e32 vcc, s33, v59
	v_add_u32_e32 v0, -2, v54
	s_waitcnt vmcnt(0)
	v_cndmask_b32_e32 v1, 0, v1, vcc
	v_cmp_gt_i32_e32 vcc, s33, v0
	v_add_u32_e32 v0, -1, v54
	v_cndmask_b32_e32 v2, 0, v2, vcc
	v_cmp_gt_i32_e32 vcc, s33, v0
	v_cndmask_b32_e32 v3, 0, v3, vcc
	v_cmp_gt_i32_e32 vcc, s33, v54
	v_cndmask_b32_e32 v4, 0, v4, vcc
	s_or_b64 exec, exec, s[12:13]
	global_load_dwordx4 v[9:12], v[29:30], off offset:1024
	s_and_saveexec_b64 s[12:13], s[2:3]
	s_cbranch_execz .LBB32_35
.LBB32_48:                              ;   in Loop: Header=BB32_33 Depth=1
	v_cmp_gt_i32_e32 vcc, s33, v59
	v_add_u32_e32 v0, -2, v54
	s_waitcnt vmcnt(0)
	v_cndmask_b32_e32 v9, 0, v9, vcc
	v_cmp_gt_i32_e32 vcc, s33, v0
	v_add_u32_e32 v0, -1, v54
	v_cndmask_b32_e32 v10, 0, v10, vcc
	v_cmp_gt_i32_e32 vcc, s33, v0
	v_cndmask_b32_e32 v11, 0, v11, vcc
	v_cmp_gt_i32_e32 vcc, s33, v54
	v_cndmask_b32_e32 v12, 0, v12, vcc
	s_or_b64 exec, exec, s[12:13]
	global_load_dwordx4 v[13:16], v[29:30], off offset:2048
	s_and_saveexec_b64 s[12:13], s[2:3]
	s_cbranch_execz .LBB32_36
.LBB32_49:                              ;   in Loop: Header=BB32_33 Depth=1
	v_cmp_gt_i32_e32 vcc, s33, v59
	v_add_u32_e32 v0, -2, v54
	s_waitcnt vmcnt(0)
	v_cndmask_b32_e32 v13, 0, v13, vcc
	v_cmp_gt_i32_e32 vcc, s33, v0
	v_add_u32_e32 v0, -1, v54
	v_cndmask_b32_e32 v14, 0, v14, vcc
	v_cmp_gt_i32_e32 vcc, s33, v0
	v_cndmask_b32_e32 v15, 0, v15, vcc
	v_cmp_gt_i32_e32 vcc, s33, v54
	v_cndmask_b32_e32 v16, 0, v16, vcc
	s_or_b64 exec, exec, s[12:13]
	global_load_dwordx4 v[17:20], v[29:30], off offset:3072
	s_and_saveexec_b64 s[12:13], s[2:3]
	s_cbranch_execnz .LBB32_37
	s_branch .LBB32_38
.LBB32_50:
	s_or_b64 exec, exec, s[6:7]
.LBB32_51:
	s_or_b64 exec, exec, s[4:5]
	ds_bpermute_b32 v0, v44, v52
	ds_bpermute_b32 v1, v44, v53
	;; [unrolled: 1-line block ×4, first 2 shown]
	v_cmp_eq_u32_e32 vcc, 0, v42
	s_waitcnt lgkmcnt(3)
	v_add_f32_e32 v0, v52, v0
	s_waitcnt lgkmcnt(2)
	v_add_f32_e32 v1, v53, v1
	ds_bpermute_b32 v3, v43, v0
	ds_bpermute_b32 v4, v43, v1
	s_waitcnt lgkmcnt(3)
	v_add_f32_e32 v2, v51, v2
	ds_bpermute_b32 v5, v43, v2
	s_waitcnt lgkmcnt(0)
	v_add_f32_e32 v8, v0, v3
	ds_bpermute_b32 v0, v44, v49
	v_add_f32_e32 v6, v1, v4
	v_add_f32_e32 v1, v50, v7
	ds_bpermute_b32 v3, v44, v48
	ds_bpermute_b32 v4, v44, v47
	;; [unrolled: 1-line block ×3, first 2 shown]
	s_waitcnt lgkmcnt(3)
	v_add_f32_e32 v0, v49, v0
	ds_bpermute_b32 v9, v43, v0
	s_waitcnt lgkmcnt(3)
	v_add_f32_e32 v3, v48, v3
	s_waitcnt lgkmcnt(2)
	v_add_f32_e32 v11, v47, v4
	;; [unrolled: 2-line block ×3, first 2 shown]
	v_add_f32_e32 v5, v2, v5
	ds_bpermute_b32 v2, v43, v1
	ds_bpermute_b32 v10, v43, v3
	ds_bpermute_b32 v12, v43, v11
	ds_bpermute_b32 v14, v43, v13
	s_waitcnt lgkmcnt(4)
	v_add_f32_e32 v4, v0, v9
	v_and_b32_e32 v0, 0x3c0, v41
	s_waitcnt lgkmcnt(3)
	v_add_f32_e32 v7, v1, v2
	s_waitcnt lgkmcnt(2)
	v_add_f32_e32 v3, v3, v10
	;; [unrolled: 2-line block ×4, first 2 shown]
	v_cmp_eq_u32_e64 s[0:1], 64, v0
	s_barrier
	s_and_saveexec_b64 s[2:3], s[0:1]
	s_cbranch_execz .LBB32_56
; %bb.52:
	s_and_saveexec_b64 s[0:1], vcc
	s_cbranch_execz .LBB32_54
; %bb.53:
	v_mov_b32_e32 v0, 0x1f0
	v_lshl_add_u32 v0, v45, 2, v0
	ds_write2_b32 v0, v8, v6 offset1:16
	ds_write2_b32 v0, v5, v7 offset0:32 offset1:48
	ds_write2_b32 v0, v4, v3 offset0:64 offset1:80
	ds_write_b32 v0, v2 offset:384
.LBB32_54:
	s_or_b64 exec, exec, s[0:1]
	v_or_b32_e32 v0, 0x70, v45
	s_movk_i32 s0, 0x78
	v_cmp_gt_u32_e64 s[0:1], s0, v0
	s_and_b64 s[0:1], vcc, s[0:1]
	s_and_b64 exec, exec, s[0:1]
; %bb.55:
	v_mov_b32_e32 v0, 0x1f0
	v_lshl_add_u32 v0, v45, 2, v0
	ds_write_b32 v0, v1 offset:448
.LBB32_56:
	s_or_b64 exec, exec, s[2:3]
	v_cmp_gt_u32_e64 s[0:1], 64, v41
	s_waitcnt lgkmcnt(0)
	s_barrier
	s_and_saveexec_b64 s[4:5], s[0:1]
	s_cbranch_execz .LBB32_74
; %bb.57:
	s_and_saveexec_b64 s[2:3], vcc
	s_cbranch_execz .LBB32_59
; %bb.58:
	v_mov_b32_e32 v0, 0x1f0
	v_lshl_add_u32 v0, v40, 2, v0
	ds_read_b32 v0, v0
	s_waitcnt lgkmcnt(0)
	v_add_f32_e32 v8, v8, v0
.LBB32_59:
	s_or_b64 exec, exec, s[2:3]
	v_or_b32_e32 v0, 16, v40
	s_movk_i32 s6, 0x78
	v_cmp_gt_u32_e64 s[2:3], s6, v0
	s_and_b64 s[12:13], vcc, s[2:3]
	s_and_saveexec_b64 s[2:3], s[12:13]
	s_cbranch_execz .LBB32_61
; %bb.60:
	v_mov_b32_e32 v0, 0x1f0
	v_lshl_add_u32 v0, v40, 2, v0
	ds_read_b32 v0, v0 offset:64
	s_waitcnt lgkmcnt(0)
	v_add_f32_e32 v6, v6, v0
.LBB32_61:
	s_or_b64 exec, exec, s[2:3]
	v_or_b32_e32 v0, 32, v40
	v_cmp_gt_u32_e64 s[2:3], s6, v0
	s_and_b64 s[6:7], vcc, s[2:3]
	s_and_saveexec_b64 s[2:3], s[6:7]
	s_cbranch_execz .LBB32_63
; %bb.62:
	v_mov_b32_e32 v0, 0x1f0
	v_lshl_add_u32 v0, v40, 2, v0
	ds_read_b32 v0, v0 offset:128
	s_waitcnt lgkmcnt(0)
	v_add_f32_e32 v5, v5, v0
.LBB32_63:
	s_or_b64 exec, exec, s[2:3]
	v_or_b32_e32 v0, 48, v40
	s_movk_i32 s6, 0x78
	v_cmp_gt_u32_e64 s[2:3], s6, v0
	s_and_b64 s[12:13], vcc, s[2:3]
	s_and_saveexec_b64 s[2:3], s[12:13]
	s_cbranch_execz .LBB32_65
; %bb.64:
	v_mov_b32_e32 v0, 0x1f0
	v_lshl_add_u32 v0, v40, 2, v0
	ds_read_b32 v0, v0 offset:192
	s_waitcnt lgkmcnt(0)
	v_add_f32_e32 v7, v7, v0
.LBB32_65:
	s_or_b64 exec, exec, s[2:3]
	v_or_b32_e32 v0, 64, v40
	v_cmp_gt_u32_e64 s[2:3], s6, v0
	s_and_b64 s[6:7], vcc, s[2:3]
	s_and_saveexec_b64 s[2:3], s[6:7]
	s_cbranch_execz .LBB32_67
; %bb.66:
	v_mov_b32_e32 v0, 0x1f0
	v_lshl_add_u32 v0, v40, 2, v0
	ds_read_b32 v0, v0 offset:256
	s_waitcnt lgkmcnt(0)
	v_add_f32_e32 v4, v4, v0
.LBB32_67:
	;; [unrolled: 27-line block ×3, first 2 shown]
	s_or_b64 exec, exec, s[2:3]
	v_or_b32_e32 v0, 0x70, v40
	s_movk_i32 s2, 0x78
	v_cmp_gt_u32_e64 s[2:3], s2, v0
	s_and_b64 s[6:7], vcc, s[2:3]
	s_and_saveexec_b64 s[2:3], s[6:7]
	s_cbranch_execz .LBB32_73
; %bb.72:
	v_mov_b32_e32 v0, 0x1f0
	v_lshl_add_u32 v0, v40, 2, v0
	ds_read_b32 v0, v0 offset:448
	s_waitcnt lgkmcnt(0)
	v_add_f32_e32 v1, v1, v0
.LBB32_73:
	s_or_b64 exec, exec, s[2:3]
.LBB32_74:
	s_or_b64 exec, exec, s[4:5]
	s_barrier
	s_and_saveexec_b64 s[2:3], s[0:1]
	s_cbranch_execz .LBB32_91
; %bb.75:
	s_mul_i32 s0, s10, s11
	s_mul_i32 s0, s0, s9
	s_mulk_i32 s0, 0x78
	s_ashr_i32 s1, s0, 31
	s_lshl_b64 s[0:1], s[0:1], 2
	s_add_u32 s2, s18, s0
	s_mul_i32 s0, s11, s16
	s_addc_u32 s3, s19, s1
	s_ashr_i32 s1, s0, 31
	s_lshl_b64 s[0:1], s[0:1], 2
	s_add_u32 s2, s2, s0
	s_mul_i32 s0, s8, 0x78
	s_addc_u32 s3, s3, s1
	s_ashr_i32 s1, s0, 31
	s_lshl_b64 s[0:1], s[0:1], 2
	s_add_u32 s2, s2, s0
	s_movk_i32 s4, 0x78
	s_addc_u32 s3, s3, s1
	s_and_saveexec_b64 s[0:1], vcc
	s_cbranch_execz .LBB32_77
; %bb.76:
	global_store_dword v39, v8, s[2:3]
.LBB32_77:
	s_or_b64 exec, exec, s[0:1]
	v_or_b32_e32 v0, 16, v40
	v_cmp_gt_u32_e64 s[0:1], s4, v0
	s_and_b64 s[4:5], vcc, s[0:1]
	s_and_saveexec_b64 s[0:1], s[4:5]
	s_cbranch_execz .LBB32_79
; %bb.78:
	global_store_dword v39, v6, s[2:3] offset:64
.LBB32_79:
	s_or_b64 exec, exec, s[0:1]
	v_or_b32_e32 v0, 32, v40
	s_movk_i32 s4, 0x78
	v_cmp_gt_u32_e64 s[0:1], s4, v0
	s_and_b64 s[6:7], vcc, s[0:1]
	s_and_saveexec_b64 s[0:1], s[6:7]
	s_cbranch_execz .LBB32_81
; %bb.80:
	global_store_dword v39, v5, s[2:3] offset:128
.LBB32_81:
	s_or_b64 exec, exec, s[0:1]
	v_or_b32_e32 v0, 48, v40
	v_cmp_gt_u32_e64 s[0:1], s4, v0
	s_and_b64 s[4:5], vcc, s[0:1]
	s_and_saveexec_b64 s[0:1], s[4:5]
	s_cbranch_execz .LBB32_83
; %bb.82:
	global_store_dword v39, v7, s[2:3] offset:192
.LBB32_83:
	s_or_b64 exec, exec, s[0:1]
	v_or_b32_e32 v0, 64, v40
	s_movk_i32 s4, 0x78
	v_cmp_gt_u32_e64 s[0:1], s4, v0
	s_and_b64 s[6:7], vcc, s[0:1]
	s_and_saveexec_b64 s[0:1], s[6:7]
	s_cbranch_execz .LBB32_85
; %bb.84:
	global_store_dword v39, v4, s[2:3] offset:256
.LBB32_85:
	s_or_b64 exec, exec, s[0:1]
	v_or_b32_e32 v0, 0x50, v40
	v_cmp_gt_u32_e64 s[0:1], s4, v0
	s_and_b64 s[4:5], vcc, s[0:1]
	s_and_saveexec_b64 s[0:1], s[4:5]
	s_cbranch_execz .LBB32_87
; %bb.86:
	global_store_dword v39, v3, s[2:3] offset:320
.LBB32_87:
	s_or_b64 exec, exec, s[0:1]
	v_or_b32_e32 v0, 0x60, v40
	s_movk_i32 s4, 0x78
	v_cmp_gt_u32_e64 s[0:1], s4, v0
	s_and_b64 s[6:7], vcc, s[0:1]
	s_and_saveexec_b64 s[0:1], s[6:7]
	s_cbranch_execz .LBB32_89
; %bb.88:
	global_store_dword v39, v2, s[2:3] offset:384
.LBB32_89:
	s_or_b64 exec, exec, s[0:1]
	v_or_b32_e32 v0, 0x70, v40
	v_cmp_gt_u32_e64 s[0:1], s4, v0
	s_and_b64 s[0:1], vcc, s[0:1]
	s_and_b64 exec, exec, s[0:1]
	s_cbranch_execz .LBB32_91
; %bb.90:
	global_store_dword v39, v1, s[2:3] offset:448
.LBB32_91:
	s_endpgm
	.section	.rodata,"a",@progbits
	.p2align	6, 0x0
	.amdhsa_kernel _ZN4vllm25paged_attention_v1_kernelIffLi120ELi16ELi128ELNS_18Fp8KVCacheDataTypeE0ELb0EEEvPT_PKS2_PKT0_S8_ifPKiSA_iPKfiiiSC_SC_iiiii
		.amdhsa_group_segment_fixed_size 496
		.amdhsa_private_segment_fixed_size 60
		.amdhsa_kernarg_size 384
		.amdhsa_user_sgpr_count 6
		.amdhsa_user_sgpr_private_segment_buffer 1
		.amdhsa_user_sgpr_dispatch_ptr 0
		.amdhsa_user_sgpr_queue_ptr 0
		.amdhsa_user_sgpr_kernarg_segment_ptr 1
		.amdhsa_user_sgpr_dispatch_id 0
		.amdhsa_user_sgpr_flat_scratch_init 0
		.amdhsa_user_sgpr_private_segment_size 0
		.amdhsa_uses_dynamic_stack 0
		.amdhsa_system_sgpr_private_segment_wavefront_offset 1
		.amdhsa_system_sgpr_workgroup_id_x 1
		.amdhsa_system_sgpr_workgroup_id_y 1
		.amdhsa_system_sgpr_workgroup_id_z 1
		.amdhsa_system_sgpr_workgroup_info 0
		.amdhsa_system_vgpr_workitem_id 0
		.amdhsa_next_free_vgpr 64
		.amdhsa_next_free_sgpr 40
		.amdhsa_reserve_vcc 1
		.amdhsa_reserve_flat_scratch 0
		.amdhsa_float_round_mode_32 0
		.amdhsa_float_round_mode_16_64 0
		.amdhsa_float_denorm_mode_32 3
		.amdhsa_float_denorm_mode_16_64 3
		.amdhsa_dx10_clamp 1
		.amdhsa_ieee_mode 1
		.amdhsa_fp16_overflow 0
		.amdhsa_exception_fp_ieee_invalid_op 0
		.amdhsa_exception_fp_denorm_src 0
		.amdhsa_exception_fp_ieee_div_zero 0
		.amdhsa_exception_fp_ieee_overflow 0
		.amdhsa_exception_fp_ieee_underflow 0
		.amdhsa_exception_fp_ieee_inexact 0
		.amdhsa_exception_int_div_zero 0
	.end_amdhsa_kernel
	.section	.text._ZN4vllm25paged_attention_v1_kernelIffLi120ELi16ELi128ELNS_18Fp8KVCacheDataTypeE0ELb0EEEvPT_PKS2_PKT0_S8_ifPKiSA_iPKfiiiSC_SC_iiiii,"axG",@progbits,_ZN4vllm25paged_attention_v1_kernelIffLi120ELi16ELi128ELNS_18Fp8KVCacheDataTypeE0ELb0EEEvPT_PKS2_PKT0_S8_ifPKiSA_iPKfiiiSC_SC_iiiii,comdat
.Lfunc_end32:
	.size	_ZN4vllm25paged_attention_v1_kernelIffLi120ELi16ELi128ELNS_18Fp8KVCacheDataTypeE0ELb0EEEvPT_PKS2_PKT0_S8_ifPKiSA_iPKfiiiSC_SC_iiiii, .Lfunc_end32-_ZN4vllm25paged_attention_v1_kernelIffLi120ELi16ELi128ELNS_18Fp8KVCacheDataTypeE0ELb0EEEvPT_PKS2_PKT0_S8_ifPKiSA_iPKfiiiSC_SC_iiiii
                                        ; -- End function
	.set _ZN4vllm25paged_attention_v1_kernelIffLi120ELi16ELi128ELNS_18Fp8KVCacheDataTypeE0ELb0EEEvPT_PKS2_PKT0_S8_ifPKiSA_iPKfiiiSC_SC_iiiii.num_vgpr, 64
	.set _ZN4vllm25paged_attention_v1_kernelIffLi120ELi16ELi128ELNS_18Fp8KVCacheDataTypeE0ELb0EEEvPT_PKS2_PKT0_S8_ifPKiSA_iPKfiiiSC_SC_iiiii.num_agpr, 0
	.set _ZN4vllm25paged_attention_v1_kernelIffLi120ELi16ELi128ELNS_18Fp8KVCacheDataTypeE0ELb0EEEvPT_PKS2_PKT0_S8_ifPKiSA_iPKfiiiSC_SC_iiiii.numbered_sgpr, 40
	.set _ZN4vllm25paged_attention_v1_kernelIffLi120ELi16ELi128ELNS_18Fp8KVCacheDataTypeE0ELb0EEEvPT_PKS2_PKT0_S8_ifPKiSA_iPKfiiiSC_SC_iiiii.num_named_barrier, 0
	.set _ZN4vllm25paged_attention_v1_kernelIffLi120ELi16ELi128ELNS_18Fp8KVCacheDataTypeE0ELb0EEEvPT_PKS2_PKT0_S8_ifPKiSA_iPKfiiiSC_SC_iiiii.private_seg_size, 60
	.set _ZN4vllm25paged_attention_v1_kernelIffLi120ELi16ELi128ELNS_18Fp8KVCacheDataTypeE0ELb0EEEvPT_PKS2_PKT0_S8_ifPKiSA_iPKfiiiSC_SC_iiiii.uses_vcc, 1
	.set _ZN4vllm25paged_attention_v1_kernelIffLi120ELi16ELi128ELNS_18Fp8KVCacheDataTypeE0ELb0EEEvPT_PKS2_PKT0_S8_ifPKiSA_iPKfiiiSC_SC_iiiii.uses_flat_scratch, 0
	.set _ZN4vllm25paged_attention_v1_kernelIffLi120ELi16ELi128ELNS_18Fp8KVCacheDataTypeE0ELb0EEEvPT_PKS2_PKT0_S8_ifPKiSA_iPKfiiiSC_SC_iiiii.has_dyn_sized_stack, 0
	.set _ZN4vllm25paged_attention_v1_kernelIffLi120ELi16ELi128ELNS_18Fp8KVCacheDataTypeE0ELb0EEEvPT_PKS2_PKT0_S8_ifPKiSA_iPKfiiiSC_SC_iiiii.has_recursion, 0
	.set _ZN4vllm25paged_attention_v1_kernelIffLi120ELi16ELi128ELNS_18Fp8KVCacheDataTypeE0ELb0EEEvPT_PKS2_PKT0_S8_ifPKiSA_iPKfiiiSC_SC_iiiii.has_indirect_call, 0
	.section	.AMDGPU.csdata,"",@progbits
; Kernel info:
; codeLenInByte = 5184
; TotalNumSgprs: 44
; NumVgprs: 64
; ScratchSize: 60
; MemoryBound: 0
; FloatMode: 240
; IeeeMode: 1
; LDSByteSize: 496 bytes/workgroup (compile time only)
; SGPRBlocks: 5
; VGPRBlocks: 15
; NumSGPRsForWavesPerEU: 44
; NumVGPRsForWavesPerEU: 64
; Occupancy: 4
; WaveLimiterHint : 1
; COMPUTE_PGM_RSRC2:SCRATCH_EN: 1
; COMPUTE_PGM_RSRC2:USER_SGPR: 6
; COMPUTE_PGM_RSRC2:TRAP_HANDLER: 0
; COMPUTE_PGM_RSRC2:TGID_X_EN: 1
; COMPUTE_PGM_RSRC2:TGID_Y_EN: 1
; COMPUTE_PGM_RSRC2:TGID_Z_EN: 1
; COMPUTE_PGM_RSRC2:TIDIG_COMP_CNT: 0
	.section	.text._ZN4vllm25paged_attention_v1_kernelIffLi128ELi16ELi128ELNS_18Fp8KVCacheDataTypeE0ELb0EEEvPT_PKS2_PKT0_S8_ifPKiSA_iPKfiiiSC_SC_iiiii,"axG",@progbits,_ZN4vllm25paged_attention_v1_kernelIffLi128ELi16ELi128ELNS_18Fp8KVCacheDataTypeE0ELb0EEEvPT_PKS2_PKT0_S8_ifPKiSA_iPKfiiiSC_SC_iiiii,comdat
	.protected	_ZN4vllm25paged_attention_v1_kernelIffLi128ELi16ELi128ELNS_18Fp8KVCacheDataTypeE0ELb0EEEvPT_PKS2_PKT0_S8_ifPKiSA_iPKfiiiSC_SC_iiiii ; -- Begin function _ZN4vllm25paged_attention_v1_kernelIffLi128ELi16ELi128ELNS_18Fp8KVCacheDataTypeE0ELb0EEEvPT_PKS2_PKT0_S8_ifPKiSA_iPKfiiiSC_SC_iiiii
	.globl	_ZN4vllm25paged_attention_v1_kernelIffLi128ELi16ELi128ELNS_18Fp8KVCacheDataTypeE0ELb0EEEvPT_PKS2_PKT0_S8_ifPKiSA_iPKfiiiSC_SC_iiiii
	.p2align	8
	.type	_ZN4vllm25paged_attention_v1_kernelIffLi128ELi16ELi128ELNS_18Fp8KVCacheDataTypeE0ELb0EEEvPT_PKS2_PKT0_S8_ifPKiSA_iPKfiiiSC_SC_iiiii,@function
_ZN4vllm25paged_attention_v1_kernelIffLi128ELi16ELi128ELNS_18Fp8KVCacheDataTypeE0ELb0EEEvPT_PKS2_PKT0_S8_ifPKiSA_iPKfiiiSC_SC_iiiii: ; @_ZN4vllm25paged_attention_v1_kernelIffLi128ELi16ELi128ELNS_18Fp8KVCacheDataTypeE0ELb0EEEvPT_PKS2_PKT0_S8_ifPKiSA_iPKfiiiSC_SC_iiiii
; %bb.0:
	s_mov_b64 s[38:39], s[2:3]
	s_mov_b64 s[36:37], s[0:1]
	s_add_u32 s36, s36, s9
	s_load_dword s9, s[4:5], 0x80
	s_load_dwordx2 s[0:1], s[4:5], 0x30
	s_load_dwordx2 s[26:27], s[4:5], 0x20
	s_addc_u32 s37, s37, 0
	s_mov_b32 s10, s7
	s_ashr_i32 s11, s7, 31
	s_lshl_b64 s[2:3], s[10:11], 2
	s_waitcnt lgkmcnt(0)
	s_add_u32 s0, s0, s2
	s_addc_u32 s1, s1, s3
	s_abs_i32 s2, s26
	v_cvt_f32_u32_e32 v1, s2
	s_sub_i32 s11, 0, s2
	s_abs_i32 s7, s9
	s_xor_b32 s3, s9, s26
	v_rcp_iflag_f32_e32 v1, v1
	s_ashr_i32 s3, s3, 31
	v_mov_b32_e32 v40, v0
	s_mov_b32 s26, 0
	v_mul_f32_e32 v1, 0x4f7ffffe, v1
	v_cvt_u32_f32_e32 v1, v1
	v_readfirstlane_b32 s12, v1
	s_mul_i32 s11, s11, s12
	s_mul_hi_u32 s11, s12, s11
	s_add_i32 s12, s12, s11
	s_mul_hi_u32 s11, s7, s12
	s_mul_i32 s12, s11, s2
	s_sub_i32 s7, s7, s12
	s_add_i32 s12, s11, 1
	s_sub_i32 s13, s7, s2
	s_cmp_ge_u32 s7, s2
	s_cselect_b32 s11, s12, s11
	s_cselect_b32 s7, s13, s7
	s_add_i32 s12, s11, 1
	s_cmp_ge_u32 s7, s2
	s_cselect_b32 s2, s12, s11
	s_xor_b32 s2, s2, s3
	s_sub_i32 s12, s2, s3
	s_abs_i32 s11, s12
	v_cvt_f32_u32_e32 v1, s11
	s_load_dwordx2 s[2:3], s[4:5], 0x40
	s_sub_i32 s7, 0, s11
	s_abs_i32 s18, s6
	v_rcp_iflag_f32_e32 v1, v1
	v_mul_f32_e32 v1, 0x4f7ffffe, v1
	v_cvt_u32_f32_e32 v1, v1
	v_readfirstlane_b32 s13, v1
	s_mul_i32 s7, s7, s13
	s_mul_hi_u32 s7, s13, s7
	s_add_i32 s13, s13, s7
	s_waitcnt lgkmcnt(0)
	s_cmp_eq_u64 s[2:3], 0
	s_mul_hi_u32 s19, s18, s13
	s_cbranch_scc1 .LBB33_2
; %bb.1:
	s_ashr_i32 s7, s6, 31
	s_lshl_b64 s[14:15], s[6:7], 2
	s_add_u32 s2, s2, s14
	s_addc_u32 s3, s3, s15
	s_load_dword s26, s[2:3], 0x0
.LBB33_2:
	s_load_dword s33, s[0:1], 0x0
	s_ashr_i32 s3, s12, 31
	s_load_dwordx4 s[12:15], s[4:5], 0x48
	v_lshrrev_b32_e32 v41, 2, v40
	s_movk_i32 s0, 0x80
	s_ashr_i32 s2, s6, 31
	v_and_b32_e32 v42, 3, v40
	s_lshl_b32 s16, s6, 7
	v_cmp_gt_u32_e32 vcc, s0, v40
	v_lshlrev_b32_e32 v11, 2, v40
	v_lshlrev_b32_e32 v39, 2, v41
	s_and_saveexec_b64 s[0:1], vcc
	s_cbranch_execz .LBB33_4
; %bb.3:
	s_load_dwordx2 s[6:7], s[4:5], 0x8
	s_waitcnt lgkmcnt(0)
	s_mul_i32 s20, s12, s10
	s_ashr_i32 s21, s20, 31
	s_lshl_b64 s[20:21], s[20:21], 2
	v_lshl_add_u32 v2, v42, 7, v39
	s_add_u32 s12, s6, s20
	s_addc_u32 s15, s7, s21
	s_ashr_i32 s17, s16, 31
	s_lshl_b64 s[6:7], s[16:17], 2
	s_add_u32 s6, s12, s6
	s_addc_u32 s7, s15, s7
	global_load_dword v1, v11, s[6:7]
	s_waitcnt vmcnt(0)
	ds_write_b32 v2, v1
.LBB33_4:
	s_or_b64 exec, exec, s[0:1]
	s_waitcnt lgkmcnt(0)
	s_add_i32 s1, s33, 15
	s_ashr_i32 s6, s1, 31
	s_lshr_b32 s6, s6, 28
	s_add_i32 s1, s1, s6
	s_ashr_i32 s12, s1, 4
	s_xor_b32 s1, s2, s3
	s_mul_i32 s2, s19, s11
	s_sub_i32 s2, s18, s2
	s_add_i32 s3, s19, 1
	s_sub_i32 s6, s2, s11
	s_load_dwordx2 s[20:21], s[4:5], 0x28
	s_load_dword s0, s[4:5], 0x38
	s_cmp_ge_u32 s2, s11
	s_cselect_b32 s3, s3, s19
	s_cselect_b32 s2, s6, s2
	s_add_i32 s6, s3, 1
	s_cmp_ge_u32 s2, s11
	s_cselect_b32 s2, s6, s3
	v_lshrrev_b32_e32 v61, 6, v40
	s_xor_b32 s2, s2, s1
	s_waitcnt lgkmcnt(0)
	s_mul_i32 s22, s0, s10
	s_sub_i32 s15, s2, s1
	s_ashr_i32 s23, s22, 31
	v_cmp_gt_i32_e64 s[0:1], s12, v61
	v_cmp_le_i32_e32 vcc, s12, v61
	v_mbcnt_lo_u32_b32 v1, -1, 0
	s_barrier
                                        ; implicit-def: $vgpr13
                                        ; implicit-def: $vgpr8
                                        ; implicit-def: $vgpr14
	s_and_saveexec_b64 s[2:3], vcc
	s_xor_b64 s[2:3], exec, s[2:3]
; %bb.5:
	v_mbcnt_hi_u32_b32 v13, -1, v1
	v_and_b32_e32 v8, 64, v13
	v_add_u32_e32 v14, 64, v8
                                        ; implicit-def: $vgpr1
; %bb.6:
	s_or_saveexec_b64 s[6:7], s[2:3]
	s_load_dwordx2 s[18:19], s[4:5], 0x0
	s_load_dwordx2 s[24:25], s[4:5], 0x18
	s_load_dword s11, s[4:5], 0x88
	v_mov_b32_e32 v0, 0xff7fffff
	s_mul_i32 s14, s15, s14
	v_lshrrev_b32_e32 v12, 4, v40
	s_xor_b64 exec, exec, s[6:7]
	s_cbranch_execz .LBB33_12
; %bb.7:
	s_load_dwordx2 s[2:3], s[4:5], 0x10
	s_ashr_i32 s15, s14, 31
	s_lshl_b64 s[4:5], s[14:15], 2
	v_bfe_u32 v2, v40, 2, 4
	v_lshlrev_b32_e32 v4, 4, v2
	s_waitcnt lgkmcnt(0)
	s_add_u32 s2, s2, s4
	s_addc_u32 s3, s3, s5
	v_mov_b32_e32 v5, s3
	v_add_co_u32_e32 v4, vcc, s2, v4
	v_addc_co_u32_e32 v5, vcc, 0, v5, vcc
	v_lshlrev_b32_e32 v6, 2, v42
	v_add_co_u32_e32 v0, vcc, v4, v6
	buffer_store_dword v11, off, s[36:39], 0 offset:84 ; 4-byte Folded Spill
	buffer_store_dword v41, off, s[36:39], 0 offset:72 ; 4-byte Folded Spill
	buffer_store_dword v0, off, s[36:39], 0 offset:4 ; 4-byte Folded Spill
	v_addc_co_u32_e32 v0, vcc, 0, v5, vcc
	buffer_store_dword v0, off, s[36:39], 0 offset:8 ; 4-byte Folded Spill
	v_mbcnt_hi_u32_b32 v0, -1, v1
	v_and_b32_e32 v1, 64, v0
	buffer_store_dword v1, off, s[36:39], 0 offset:96 ; 4-byte Folded Spill
	v_add_u32_e32 v4, 64, v1
	v_xor_b32_e32 v1, 2, v0
	v_cmp_lt_i32_e32 vcc, v1, v4
	v_cndmask_b32_e32 v1, v0, v1, vcc
	v_lshlrev_b32_e32 v1, 2, v1
	buffer_store_dword v1, off, s[36:39], 0 offset:12 ; 4-byte Folded Spill
	v_xor_b32_e32 v1, 1, v0
	v_cmp_lt_i32_e32 vcc, v1, v4
	v_lshlrev_b32_e32 v3, 2, v2
	v_cndmask_b32_e32 v1, v0, v1, vcc
	s_sub_i32 s15, 1, s33
	s_lshl_b64 s[4:5], s[22:23], 2
	buffer_store_dword v0, off, s[36:39], 0 offset:92 ; 4-byte Folded Spill
	v_lshlrev_b32_e32 v0, 2, v1
	v_lshl_or_b32 v1, v61, 6, v3
	s_add_u32 s4, s20, s4
	v_add_u32_e32 v50, 0x210, v1
	v_and_b32_e32 v1, 60, v12
	s_addc_u32 s5, s21, s5
	buffer_store_dword v40, off, s[36:39], 0 offset:68 ; 4-byte Folded Spill
	v_lshlrev_b32_e32 v29, 7, v42
	buffer_store_dword v0, off, s[36:39], 0 offset:16 ; 4-byte Folded Spill
	buffer_store_dword v42, off, s[36:39], 0 offset:76 ; 4-byte Folded Spill
	v_lshl_or_b32 v49, v61, 4, v2
	v_mov_b32_e32 v2, s5
	v_add_co_u32_e64 v33, s[4:5], s4, v1
	v_addc_co_u32_e64 v34, s[4:5], 0, v2, s[4:5]
	ds_read_b128 v[0:3], v29
	buffer_store_dword v12, off, s[36:39], 0 offset:88 ; 4-byte Folded Spill
	s_waitcnt lgkmcnt(0)
	buffer_store_dword v0, off, s[36:39], 0 offset:20 ; 4-byte Folded Spill
	s_nop 0
	buffer_store_dword v1, off, s[36:39], 0 offset:24 ; 4-byte Folded Spill
	buffer_store_dword v2, off, s[36:39], 0 offset:28 ; 4-byte Folded Spill
	buffer_store_dword v3, off, s[36:39], 0 offset:32 ; 4-byte Folded Spill
	ds_read_b128 v[0:3], v29 offset:16
	s_waitcnt lgkmcnt(0)
	buffer_store_dword v0, off, s[36:39], 0 offset:36 ; 4-byte Folded Spill
	s_nop 0
	buffer_store_dword v1, off, s[36:39], 0 offset:40 ; 4-byte Folded Spill
	buffer_store_dword v2, off, s[36:39], 0 offset:44 ; 4-byte Folded Spill
	buffer_store_dword v3, off, s[36:39], 0 offset:48 ; 4-byte Folded Spill
	ds_read_b128 v[0:3], v29 offset:32
	;; [unrolled: 7-line block ×3, first 2 shown]
	ds_read_b128 v[17:20], v29 offset:64
	ds_read_b128 v[21:24], v29 offset:80
	;; [unrolled: 1-line block ×4, first 2 shown]
	s_mov_b32 s17, s13
	v_cmp_eq_u32_e32 vcc, 0, v42
	v_cmp_neq_f32_e64 s[2:3], s26, 0
	v_mov_b32_e32 v0, 0xff7fffff
	s_mov_b64 s[28:29], 0
	s_movk_i32 s34, 0x1000
	v_mov_b32_e32 v51, v61
	buffer_store_dword v0, off, s[36:39], 0 ; 4-byte Folded Spill
	buffer_store_dword v61, off, s[36:39], 0 offset:80 ; 4-byte Folded Spill
	s_branch .LBB33_9
.LBB33_8:                               ;   in Loop: Header=BB33_9 Depth=1
	s_or_b64 exec, exec, s[30:31]
	v_add_u32_e32 v51, 2, v51
	v_cmp_le_i32_e64 s[4:5], s12, v51
	s_or_b64 s[28:29], s[4:5], s[28:29]
	v_add_co_u32_e64 v33, s[4:5], 8, v33
	v_add_u32_e32 v49, 32, v49
	v_add_u32_e32 v50, 0x80, v50
	v_addc_co_u32_e64 v34, s[4:5], 0, v34, s[4:5]
	s_andn2_b64 exec, exec, s[28:29]
	s_cbranch_execz .LBB33_11
.LBB33_9:                               ; =>This Inner Loop Header: Depth=1
	global_load_dword v52, v[33:34], off
	buffer_load_dword v0, off, s[36:39], 0 offset:4 ; 4-byte Folded Reload
	s_waitcnt vmcnt(1) lgkmcnt(0)
	v_mad_i64_i32 v[52:53], s[4:5], v52, s17, 0
	v_lshlrev_b64 v[52:53], 2, v[52:53]
	s_waitcnt vmcnt(0)
	v_add_co_u32_e64 v52, s[4:5], v0, v52
	buffer_load_dword v0, off, s[36:39], 0 offset:8 ; 4-byte Folded Reload
	s_waitcnt vmcnt(0)
	v_addc_co_u32_e64 v53, s[4:5], v0, v53, s[4:5]
	global_load_dword v54, v[52:53], off
	global_load_dword v55, v[52:53], off offset:256
	global_load_dword v56, v[52:53], off offset:512
	;; [unrolled: 1-line block ×15, first 2 shown]
	v_add_co_u32_e64 v52, s[4:5], s34, v52
	v_addc_co_u32_e64 v53, s[4:5], 0, v53, s[4:5]
	global_load_dword v38, v[52:53], off
	global_load_dword v0, v[52:53], off offset:256
	global_load_dword v37, v[52:53], off offset:512
	;; [unrolled: 1-line block ×15, first 2 shown]
	buffer_load_dword v9, off, s[36:39], 0 offset:20 ; 4-byte Folded Reload
	buffer_load_dword v10, off, s[36:39], 0 offset:24 ; 4-byte Folded Reload
	buffer_load_dword v11, off, s[36:39], 0 offset:28 ; 4-byte Folded Reload
	buffer_load_dword v12, off, s[36:39], 0 offset:32 ; 4-byte Folded Reload
	s_waitcnt vmcnt(2)
	v_mul_f32_e32 v8, v10, v55
	v_fmac_f32_e32 v8, v9, v54
	s_waitcnt vmcnt(1)
	v_fmac_f32_e32 v8, v11, v56
	s_waitcnt vmcnt(0)
	v_fmac_f32_e32 v8, v12, v57
	buffer_load_dword v9, off, s[36:39], 0 offset:36 ; 4-byte Folded Reload
	buffer_load_dword v10, off, s[36:39], 0 offset:40 ; 4-byte Folded Reload
	;; [unrolled: 1-line block ×4, first 2 shown]
	s_waitcnt vmcnt(3)
	v_fmac_f32_e32 v8, v9, v58
	s_waitcnt vmcnt(2)
	v_fmac_f32_e32 v8, v10, v59
	;; [unrolled: 2-line block ×4, first 2 shown]
	buffer_load_dword v9, off, s[36:39], 0 offset:52 ; 4-byte Folded Reload
	buffer_load_dword v10, off, s[36:39], 0 offset:56 ; 4-byte Folded Reload
	;; [unrolled: 1-line block ×4, first 2 shown]
	s_waitcnt vmcnt(3)
	v_fmac_f32_e32 v8, v9, v62
	s_waitcnt vmcnt(2)
	v_fmac_f32_e32 v8, v10, v63
	;; [unrolled: 2-line block ×4, first 2 shown]
	s_waitcnt lgkmcnt(4)
	v_fmac_f32_e32 v8, v13, v40
	v_fmac_f32_e32 v8, v14, v41
	;; [unrolled: 1-line block ×4, first 2 shown]
	s_waitcnt lgkmcnt(3)
	v_fmac_f32_e32 v8, v17, v38
	v_fmac_f32_e32 v8, v18, v0
	buffer_load_dword v0, off, s[36:39], 0 offset:12 ; 4-byte Folded Reload
	v_fmac_f32_e32 v8, v19, v37
	v_fmac_f32_e32 v8, v20, v43
	s_waitcnt lgkmcnt(2)
	v_fmac_f32_e32 v8, v21, v44
	v_fmac_f32_e32 v8, v22, v46
	v_fmac_f32_e32 v8, v23, v48
	v_fmac_f32_e32 v8, v24, v47
	s_waitcnt lgkmcnt(1)
	v_fmac_f32_e32 v8, v25, v42
	v_fmac_f32_e32 v8, v26, v1
	;; [unrolled: 5-line block ×3, first 2 shown]
	v_fmac_f32_e32 v8, v31, v6
	v_fmac_f32_e32 v8, v32, v7
	s_waitcnt vmcnt(0)
	ds_bpermute_b32 v0, v0, v8
	s_waitcnt lgkmcnt(0)
	v_add_f32_e32 v52, v8, v0
	buffer_load_dword v0, off, s[36:39], 0 offset:16 ; 4-byte Folded Reload
	s_waitcnt vmcnt(0)
	ds_bpermute_b32 v53, v0, v52
	s_and_saveexec_b64 s[30:31], vcc
	s_cbranch_execz .LBB33_8
; %bb.10:                               ;   in Loop: Header=BB33_9 Depth=1
	buffer_load_dword v3, off, s[36:39], 0  ; 4-byte Folded Reload
	v_add_u32_e32 v0, s15, v49
	v_cvt_f32_i32_e32 v0, v0
	s_waitcnt lgkmcnt(0)
	v_add_f32_e32 v1, v52, v53
	v_cmp_gt_i32_e64 s[4:5], s33, v49
	v_mul_f32_e32 v0, s26, v0
	v_cndmask_b32_e64 v0, 0, v0, s[2:3]
	v_fmac_f32_e32 v0, s27, v1
	v_cndmask_b32_e64 v1, 0, v0, s[4:5]
	ds_write_b32 v50, v1
	s_waitcnt vmcnt(0)
	v_max_f32_e32 v2, v3, v3
	v_max_f32_e32 v0, v2, v0
	v_cndmask_b32_e64 v3, v3, v0, s[4:5]
	buffer_store_dword v3, off, s[36:39], 0 ; 4-byte Folded Spill
	s_branch .LBB33_8
.LBB33_11:
	s_or_b64 exec, exec, s[28:29]
	buffer_load_dword v41, off, s[36:39], 0 offset:72 ; 4-byte Folded Reload
	buffer_load_dword v40, off, s[36:39], 0 offset:68 ; 4-byte Folded Reload
	;; [unrolled: 1-line block ×8, first 2 shown]
	buffer_load_dword v0, off, s[36:39], 0  ; 4-byte Folded Reload
	s_waitcnt vmcnt(8)
	v_lshlrev_b32_e32 v39, 2, v41
	s_waitcnt vmcnt(1)
	v_add_u32_e32 v14, 64, v8
.LBB33_12:
	s_or_b64 exec, exec, s[6:7]
	v_xor_b32_e32 v1, 32, v13
	v_cmp_lt_i32_e32 vcc, v1, v14
	v_cndmask_b32_e32 v1, v13, v1, vcc
	v_lshlrev_b32_e32 v1, 2, v1
	s_waitcnt vmcnt(0)
	ds_bpermute_b32 v2, v1, v0
	v_xor_b32_e32 v4, 16, v13
	v_max_f32_e32 v3, v0, v0
	v_cmp_lt_i32_e32 vcc, v4, v14
	v_xor_b32_e32 v5, 8, v13
	s_waitcnt lgkmcnt(0)
	v_max_f32_e32 v2, v2, v2
	v_max_f32_e32 v3, v3, v2
	v_cndmask_b32_e32 v2, v13, v4, vcc
	v_lshlrev_b32_e32 v2, 2, v2
	ds_bpermute_b32 v4, v2, v3
	v_cmp_lt_i32_e32 vcc, v5, v14
	v_xor_b32_e32 v6, 4, v13
	v_and_b32_e32 v43, 63, v40
	s_waitcnt lgkmcnt(0)
	v_max_f32_e32 v4, v4, v4
	v_max_f32_e32 v3, v3, v4
	v_cndmask_b32_e32 v4, v13, v5, vcc
	v_lshlrev_b32_e32 v5, 2, v4
	ds_bpermute_b32 v4, v5, v3
	v_cmp_lt_i32_e32 vcc, v6, v14
	s_waitcnt lgkmcnt(0)
	v_max_f32_e32 v4, v4, v4
	v_max_f32_e32 v4, v3, v4
	v_cndmask_b32_e32 v3, v13, v6, vcc
	v_lshlrev_b32_e32 v6, 2, v3
	ds_bpermute_b32 v7, v6, v4
	v_cmp_eq_u32_e32 vcc, 0, v43
	v_lshlrev_b32_e32 v3, 2, v61
	s_and_saveexec_b64 s[2:3], vcc
	s_cbranch_execz .LBB33_14
; %bb.13:
	s_waitcnt lgkmcnt(0)
	v_max_f32_e32 v0, v7, v7
	v_max_f32_e32 v4, v4, v4
	;; [unrolled: 1-line block ×3, first 2 shown]
	ds_write_b32 v3, v0 offset:512
.LBB33_14:
	s_or_b64 exec, exec, s[2:3]
	v_cmp_gt_u32_e64 s[2:3], 2, v43
	s_waitcnt lgkmcnt(0)
	v_mov_b32_e32 v7, 0xff7fffff
	v_lshlrev_b32_e32 v4, 2, v43
	s_barrier
	s_and_saveexec_b64 s[4:5], s[2:3]
; %bb.15:
	ds_read_b32 v7, v4 offset:512
; %bb.16:
	s_or_b64 exec, exec, s[4:5]
	v_xor_b32_e32 v0, 1, v13
	v_cmp_lt_i32_e64 s[4:5], v0, v14
	v_cndmask_b32_e64 v0, v13, v0, s[4:5]
	v_lshlrev_b32_e32 v44, 2, v0
	s_waitcnt lgkmcnt(0)
	ds_bpermute_b32 v0, v44, v7
	v_max_f32_e32 v7, v7, v7
	s_lshl_b32 s4, s12, 4
	s_min_i32 s15, s4, s33
	v_cmp_gt_i32_e64 s[4:5], s15, v40
	s_waitcnt lgkmcnt(0)
	v_max_f32_e32 v0, v0, v0
	v_max_f32_e32 v0, v7, v0
	v_lshlrev_b32_e32 v7, 2, v8
	ds_bpermute_b32 v8, v7, v0
	v_mov_b32_e32 v7, 0
	s_and_saveexec_b64 s[26:27], s[4:5]
	s_cbranch_execz .LBB33_20
; %bb.17:
	v_mov_b32_e32 v0, 0x210
	v_lshl_add_u32 v9, v40, 2, v0
	v_mov_b32_e32 v7, 0
	s_mov_b64 s[28:29], 0
	v_mov_b32_e32 v10, v40
.LBB33_18:                              ; =>This Inner Loop Header: Depth=1
	ds_read_b32 v0, v9
	v_add_u32_e32 v10, 0x80, v10
	v_cmp_le_i32_e64 s[6:7], s15, v10
	s_or_b64 s[28:29], s[6:7], s[28:29]
	s_waitcnt lgkmcnt(0)
	v_sub_f32_e32 v0, v0, v8
	v_mul_f32_e32 v0, 0x3fb8aa3b, v0
	v_exp_f32_e32 v0, v0
	ds_write_b32 v9, v0
	v_add_f32_e32 v7, v7, v0
	v_add_u32_e32 v9, 0x200, v9
	s_andn2_b64 exec, exec, s[28:29]
	s_cbranch_execnz .LBB33_18
; %bb.19:
	s_or_b64 exec, exec, s[28:29]
.LBB33_20:
	s_or_b64 exec, exec, s[26:27]
	ds_bpermute_b32 v0, v1, v7
	s_waitcnt lgkmcnt(0)
	v_add_f32_e32 v0, v7, v0
	ds_bpermute_b32 v1, v2, v0
	v_xor_b32_e32 v2, 2, v13
	v_cmp_lt_i32_e64 s[6:7], v2, v14
	v_cndmask_b32_e64 v2, v13, v2, s[6:7]
	v_lshlrev_b32_e32 v45, 2, v2
	s_waitcnt lgkmcnt(0)
	v_add_f32_e32 v0, v0, v1
	ds_bpermute_b32 v1, v5, v0
	s_waitcnt lgkmcnt(0)
	v_add_f32_e32 v0, v0, v1
	ds_bpermute_b32 v1, v6, v0
	;; [unrolled: 3-line block ×4, first 2 shown]
	s_waitcnt lgkmcnt(0)
	v_add_f32_e32 v1, v0, v1
	s_and_saveexec_b64 s[6:7], vcc
; %bb.21:
	ds_write_b32 v3, v1 offset:520
; %bb.22:
	s_or_b64 exec, exec, s[6:7]
	s_waitcnt lgkmcnt(0)
	s_barrier
	s_and_saveexec_b64 s[6:7], s[2:3]
; %bb.23:
	ds_read_b32 v1, v4 offset:520
; %bb.24:
	s_or_b64 exec, exec, s[6:7]
	s_waitcnt lgkmcnt(0)
	ds_bpermute_b32 v0, v44, v1
	v_lshlrev_b32_e32 v2, 2, v13
	s_waitcnt lgkmcnt(0)
	v_add_f32_e32 v0, v1, v0
	v_and_b32_e32 v1, 0xffffff00, v2
	ds_bpermute_b32 v1, v1, v0
	s_and_saveexec_b64 s[2:3], s[4:5]
	s_cbranch_execz .LBB33_27
; %bb.25:
	s_waitcnt lgkmcnt(0)
	v_add_f32_e32 v0, 0x358637bd, v1
	v_div_scale_f32 v1, s[4:5], v0, v0, 1.0
	v_div_scale_f32 v2, vcc, 1.0, v0, 1.0
	s_mov_b64 s[4:5], 0
	v_rcp_f32_e32 v3, v1
	v_fma_f32 v4, -v1, v3, 1.0
	v_fmac_f32_e32 v3, v4, v3
	v_mul_f32_e32 v4, v2, v3
	v_fma_f32 v5, -v1, v4, v2
	v_fmac_f32_e32 v4, v5, v3
	v_fma_f32 v1, -v1, v4, v2
	v_div_fmas_f32 v2, v1, v3, v4
	v_mov_b32_e32 v1, 0x210
	v_lshl_add_u32 v1, v40, 2, v1
	v_mov_b32_e32 v3, v40
	v_div_fixup_f32 v2, v2, v0, 1.0
.LBB33_26:                              ; =>This Inner Loop Header: Depth=1
	ds_read_b32 v0, v1
	v_add_u32_e32 v3, 0x80, v3
	v_cmp_le_i32_e32 vcc, s15, v3
	s_or_b64 s[4:5], vcc, s[4:5]
	s_waitcnt lgkmcnt(0)
	v_mul_f32_e32 v0, v2, v0
	ds_write_b32 v1, v0
	v_add_u32_e32 v1, 0x200, v1
	s_andn2_b64 exec, exec, s[4:5]
	s_cbranch_execnz .LBB33_26
.LBB33_27:
	s_or_b64 exec, exec, s[2:3]
	v_mov_b32_e32 v52, 0
	v_mov_b32_e32 v53, 0
	;; [unrolled: 1-line block ×8, first 2 shown]
	s_waitcnt lgkmcnt(0)
	s_barrier
	s_and_saveexec_b64 s[2:3], s[0:1]
	s_cbranch_execz .LBB33_47
; %bb.28:
	s_ashr_i32 s15, s14, 31
	s_lshl_b64 s[0:1], s[14:15], 2
	v_lshlrev_b32_e32 v1, 4, v40
	s_add_u32 s0, s24, s0
	v_and_b32_e32 v1, 0x3f0, v1
	v_and_b32_e32 v0, 12, v11
	s_addc_u32 s1, s25, s1
	v_add_co_u32_e32 v54, vcc, s0, v1
	v_lshlrev_b32_e32 v1, 4, v61
	s_add_i32 s14, s12, -1
	v_mov_b32_e32 v2, s1
	v_or3_b32 v56, v1, v0, 3
	v_lshlrev_b32_e32 v0, 4, v42
	s_lshl_b64 s[0:1], s[22:23], 2
	v_lshl_or_b32 v0, v61, 6, v0
	s_add_u32 s0, s20, s0
	v_addc_co_u32_e32 v55, vcc, 0, v2, vcc
	v_add_u32_e32 v57, 0x210, v0
	v_and_b32_e32 v0, 60, v12
	s_addc_u32 s1, s21, s1
	v_mov_b32_e32 v1, s1
	v_add_co_u32_e32 v37, vcc, s0, v0
	v_mov_b32_e32 v46, 0
	v_addc_co_u32_e32 v38, vcc, 0, v1, vcc
	s_mov_b64 s[4:5], 0
	v_mov_b32_e32 v47, 0
	v_mov_b32_e32 v48, 0
	v_mov_b32_e32 v49, 0
	v_mov_b32_e32 v50, 0
	v_mov_b32_e32 v51, 0
	v_mov_b32_e32 v53, 0
	v_mov_b32_e32 v52, 0
	s_branch .LBB33_30
.LBB33_29:                              ;   in Loop: Header=BB33_30 Depth=1
	s_or_b64 exec, exec, s[6:7]
	s_waitcnt vmcnt(1) lgkmcnt(0)
	v_mul_f32_e32 v0, v1, v33
	v_fmac_f32_e32 v0, v2, v34
	v_fmac_f32_e32 v0, v3, v35
	v_fmac_f32_e32 v0, v4, v36
	v_add_f32_e32 v47, v47, v0
	v_mul_f32_e32 v0, v1, v25
	v_fmac_f32_e32 v0, v2, v26
	v_fmac_f32_e32 v0, v3, v27
	v_fmac_f32_e32 v0, v4, v28
	v_add_f32_e32 v48, v48, v0
	;; [unrolled: 5-line block ×7, first 2 shown]
	s_waitcnt vmcnt(0)
	v_mul_f32_e32 v0, v1, v29
	v_fmac_f32_e32 v0, v2, v30
	v_add_u32_e32 v61, 2, v61
	v_fmac_f32_e32 v0, v3, v31
	v_cmp_le_i32_e32 vcc, s12, v61
	v_fmac_f32_e32 v0, v4, v32
	s_or_b64 s[4:5], vcc, s[4:5]
	v_add_co_u32_e32 v37, vcc, 8, v37
	v_add_f32_e32 v46, v46, v0
	v_add_u32_e32 v56, 32, v56
	v_add_u32_e32 v57, 0x80, v57
	v_addc_co_u32_e32 v38, vcc, 0, v38, vcc
	s_andn2_b64 exec, exec, s[4:5]
	s_cbranch_execz .LBB33_46
.LBB33_30:                              ; =>This Inner Loop Header: Depth=1
	global_load_dword v0, v[37:38], off
	v_add_u32_e32 v58, -3, v56
	v_add_u32_e32 v60, -2, v56
	;; [unrolled: 1-line block ×3, first 2 shown]
	s_waitcnt vmcnt(0)
	v_mad_i64_i32 v[1:2], s[0:1], v0, s13, 0
	v_cmp_eq_u32_e64 s[0:1], s14, v61
	v_lshlrev_b64 v[1:2], 2, v[1:2]
	v_add_co_u32_e32 v29, vcc, v54, v1
	v_addc_co_u32_e32 v30, vcc, v55, v2, vcc
	global_load_dwordx4 v[5:8], v[29:30], off
	ds_read_b128 v[1:4], v57
	s_and_saveexec_b64 s[6:7], s[0:1]
	s_cbranch_execnz .LBB33_43
; %bb.31:                               ;   in Loop: Header=BB33_30 Depth=1
	s_or_b64 exec, exec, s[6:7]
	global_load_dwordx4 v[9:12], v[29:30], off offset:1024
	s_and_saveexec_b64 s[6:7], s[0:1]
	s_cbranch_execnz .LBB33_44
.LBB33_32:                              ;   in Loop: Header=BB33_30 Depth=1
	s_or_b64 exec, exec, s[6:7]
	global_load_dwordx4 v[13:16], v[29:30], off offset:2048
	s_and_saveexec_b64 s[6:7], s[0:1]
	s_cbranch_execnz .LBB33_45
.LBB33_33:                              ;   in Loop: Header=BB33_30 Depth=1
	s_or_b64 exec, exec, s[6:7]
	global_load_dwordx4 v[17:20], v[29:30], off offset:3072
	s_and_saveexec_b64 s[6:7], s[0:1]
	s_cbranch_execz .LBB33_35
.LBB33_34:                              ;   in Loop: Header=BB33_30 Depth=1
	v_cmp_gt_i32_e32 vcc, s33, v58
	s_waitcnt vmcnt(0)
	v_cndmask_b32_e32 v17, 0, v17, vcc
	v_cmp_gt_i32_e32 vcc, s33, v60
	v_cndmask_b32_e32 v18, 0, v18, vcc
	v_cmp_gt_i32_e32 vcc, s33, v59
	;; [unrolled: 2-line block ×3, first 2 shown]
	v_cndmask_b32_e32 v20, 0, v20, vcc
.LBB33_35:                              ;   in Loop: Header=BB33_30 Depth=1
	s_or_b64 exec, exec, s[6:7]
	v_add_co_u32_e32 v21, vcc, 0x1000, v29
	v_addc_co_u32_e32 v22, vcc, 0, v30, vcc
	global_load_dwordx4 v[21:24], v[21:22], off
	s_and_saveexec_b64 s[6:7], s[0:1]
	s_cbranch_execz .LBB33_37
; %bb.36:                               ;   in Loop: Header=BB33_30 Depth=1
	v_cmp_gt_i32_e32 vcc, s33, v58
	s_waitcnt vmcnt(0)
	v_cndmask_b32_e32 v21, 0, v21, vcc
	v_cmp_gt_i32_e32 vcc, s33, v60
	v_cndmask_b32_e32 v22, 0, v22, vcc
	v_cmp_gt_i32_e32 vcc, s33, v59
	v_cndmask_b32_e32 v23, 0, v23, vcc
	v_cmp_gt_i32_e32 vcc, s33, v56
	v_cndmask_b32_e32 v24, 0, v24, vcc
.LBB33_37:                              ;   in Loop: Header=BB33_30 Depth=1
	s_or_b64 exec, exec, s[6:7]
	v_add_co_u32_e32 v25, vcc, 0x1000, v29
	v_addc_co_u32_e32 v26, vcc, 0, v30, vcc
	global_load_dwordx4 v[25:28], v[25:26], off offset:1024
	s_and_saveexec_b64 s[6:7], s[0:1]
	s_cbranch_execz .LBB33_39
; %bb.38:                               ;   in Loop: Header=BB33_30 Depth=1
	v_cmp_gt_i32_e32 vcc, s33, v58
	s_waitcnt vmcnt(0)
	v_cndmask_b32_e32 v25, 0, v25, vcc
	v_cmp_gt_i32_e32 vcc, s33, v60
	v_cndmask_b32_e32 v26, 0, v26, vcc
	v_cmp_gt_i32_e32 vcc, s33, v59
	v_cndmask_b32_e32 v27, 0, v27, vcc
	v_cmp_gt_i32_e32 vcc, s33, v56
	v_cndmask_b32_e32 v28, 0, v28, vcc
.LBB33_39:                              ;   in Loop: Header=BB33_30 Depth=1
	s_or_b64 exec, exec, s[6:7]
	v_add_co_u32_e32 v31, vcc, 0x1000, v29
	v_addc_co_u32_e32 v32, vcc, 0, v30, vcc
	global_load_dwordx4 v[33:36], v[31:32], off offset:2048
	;; [unrolled: 17-line block ×3, first 2 shown]
	s_and_saveexec_b64 s[6:7], s[0:1]
	s_cbranch_execz .LBB33_29
; %bb.42:                               ;   in Loop: Header=BB33_30 Depth=1
	v_cmp_gt_i32_e32 vcc, s33, v58
	s_waitcnt vmcnt(0)
	v_cndmask_b32_e32 v29, 0, v29, vcc
	v_cmp_gt_i32_e32 vcc, s33, v60
	v_cndmask_b32_e32 v30, 0, v30, vcc
	v_cmp_gt_i32_e32 vcc, s33, v59
	;; [unrolled: 2-line block ×3, first 2 shown]
	v_cndmask_b32_e32 v32, 0, v32, vcc
	s_branch .LBB33_29
.LBB33_43:                              ;   in Loop: Header=BB33_30 Depth=1
	v_cmp_gt_i32_e32 vcc, s33, v58
	s_waitcnt vmcnt(0)
	v_cndmask_b32_e32 v5, 0, v5, vcc
	v_cmp_gt_i32_e32 vcc, s33, v60
	v_cndmask_b32_e32 v6, 0, v6, vcc
	v_cmp_gt_i32_e32 vcc, s33, v59
	;; [unrolled: 2-line block ×3, first 2 shown]
	v_cndmask_b32_e32 v8, 0, v8, vcc
	s_or_b64 exec, exec, s[6:7]
	global_load_dwordx4 v[9:12], v[29:30], off offset:1024
	s_and_saveexec_b64 s[6:7], s[0:1]
	s_cbranch_execz .LBB33_32
.LBB33_44:                              ;   in Loop: Header=BB33_30 Depth=1
	v_cmp_gt_i32_e32 vcc, s33, v58
	s_waitcnt vmcnt(0)
	v_cndmask_b32_e32 v9, 0, v9, vcc
	v_cmp_gt_i32_e32 vcc, s33, v60
	v_cndmask_b32_e32 v10, 0, v10, vcc
	v_cmp_gt_i32_e32 vcc, s33, v59
	;; [unrolled: 2-line block ×3, first 2 shown]
	v_cndmask_b32_e32 v12, 0, v12, vcc
	s_or_b64 exec, exec, s[6:7]
	global_load_dwordx4 v[13:16], v[29:30], off offset:2048
	s_and_saveexec_b64 s[6:7], s[0:1]
	s_cbranch_execz .LBB33_33
.LBB33_45:                              ;   in Loop: Header=BB33_30 Depth=1
	v_cmp_gt_i32_e32 vcc, s33, v58
	s_waitcnt vmcnt(0)
	v_cndmask_b32_e32 v13, 0, v13, vcc
	v_cmp_gt_i32_e32 vcc, s33, v60
	v_cndmask_b32_e32 v14, 0, v14, vcc
	v_cmp_gt_i32_e32 vcc, s33, v59
	;; [unrolled: 2-line block ×3, first 2 shown]
	v_cndmask_b32_e32 v16, 0, v16, vcc
	s_or_b64 exec, exec, s[6:7]
	global_load_dwordx4 v[17:20], v[29:30], off offset:3072
	s_and_saveexec_b64 s[6:7], s[0:1]
	s_cbranch_execnz .LBB33_34
	s_branch .LBB33_35
.LBB33_46:
	s_or_b64 exec, exec, s[4:5]
.LBB33_47:
	s_or_b64 exec, exec, s[2:3]
	ds_bpermute_b32 v0, v45, v52
	ds_bpermute_b32 v1, v45, v53
	ds_bpermute_b32 v2, v45, v51
	ds_bpermute_b32 v7, v45, v50
	ds_bpermute_b32 v9, v45, v46
	s_waitcnt lgkmcnt(4)
	v_add_f32_e32 v0, v52, v0
	s_waitcnt lgkmcnt(3)
	v_add_f32_e32 v3, v53, v1
	ds_bpermute_b32 v1, v44, v0
	s_waitcnt lgkmcnt(3)
	v_add_f32_e32 v5, v51, v2
	ds_bpermute_b32 v4, v44, v3
	ds_bpermute_b32 v6, v44, v5
	s_waitcnt lgkmcnt(3)
	v_add_f32_e32 v9, v46, v9
	s_waitcnt lgkmcnt(2)
	v_add_f32_e32 v1, v0, v1
	ds_bpermute_b32 v0, v45, v49
	s_waitcnt lgkmcnt(2)
	v_add_f32_e32 v2, v3, v4
	s_waitcnt lgkmcnt(1)
	v_add_f32_e32 v3, v5, v6
	v_add_f32_e32 v4, v50, v7
	ds_bpermute_b32 v6, v45, v48
	ds_bpermute_b32 v7, v45, v47
	s_waitcnt lgkmcnt(2)
	v_add_f32_e32 v0, v49, v0
	ds_bpermute_b32 v5, v44, v4
	ds_bpermute_b32 v8, v44, v0
	s_waitcnt lgkmcnt(3)
	v_add_f32_e32 v6, v48, v6
	s_waitcnt lgkmcnt(2)
	v_add_f32_e32 v7, v47, v7
	ds_bpermute_b32 v12, v44, v9
	ds_bpermute_b32 v10, v44, v6
	;; [unrolled: 1-line block ×3, first 2 shown]
	s_waitcnt lgkmcnt(4)
	v_add_f32_e32 v4, v4, v5
	s_waitcnt lgkmcnt(3)
	v_add_f32_e32 v5, v0, v8
	;; [unrolled: 2-line block ×3, first 2 shown]
	v_and_b32_e32 v9, 0x3c3, v40
	s_waitcnt lgkmcnt(1)
	v_add_f32_e32 v6, v6, v10
	s_waitcnt lgkmcnt(0)
	v_add_f32_e32 v7, v7, v11
	v_cmp_eq_u32_e32 vcc, 64, v9
	s_barrier
	s_and_saveexec_b64 s[0:1], vcc
	s_cbranch_execz .LBB33_49
; %bb.48:
	v_add_u32_e32 v0, 0x210, v43
	ds_write2_b32 v0, v1, v2 offset1:16
	ds_write2_b32 v0, v3, v4 offset0:32 offset1:48
	ds_write2_b32 v0, v5, v6 offset0:64 offset1:80
	ds_write2_b32 v0, v7, v8 offset0:96 offset1:112
.LBB33_49:
	s_or_b64 exec, exec, s[0:1]
	v_cmp_gt_u32_e32 vcc, 64, v40
	s_waitcnt lgkmcnt(0)
	s_barrier
	s_and_saveexec_b64 s[0:1], vcc
	s_cbranch_execz .LBB33_60
; %bb.50:
	v_mov_b32_e32 v0, 0x210
	v_cmp_eq_u32_e32 vcc, 0, v42
	v_lshl_add_u32 v0, v41, 2, v0
	s_and_saveexec_b64 s[2:3], vcc
	s_cbranch_execnz .LBB33_63
; %bb.51:
	s_or_b64 exec, exec, s[2:3]
	s_and_saveexec_b64 s[2:3], vcc
	s_cbranch_execnz .LBB33_64
.LBB33_52:
	s_or_b64 exec, exec, s[2:3]
	s_and_saveexec_b64 s[2:3], vcc
	s_cbranch_execnz .LBB33_65
.LBB33_53:
	s_or_b64 exec, exec, s[2:3]
	s_and_saveexec_b64 s[2:3], vcc
	s_cbranch_execnz .LBB33_66
.LBB33_54:
	s_or_b64 exec, exec, s[2:3]
	s_and_saveexec_b64 s[2:3], vcc
	s_cbranch_execnz .LBB33_67
.LBB33_55:
	s_or_b64 exec, exec, s[2:3]
	s_and_saveexec_b64 s[2:3], vcc
	s_cbranch_execnz .LBB33_68
.LBB33_56:
	s_or_b64 exec, exec, s[2:3]
	s_and_saveexec_b64 s[2:3], vcc
	s_cbranch_execnz .LBB33_69
.LBB33_57:
	s_or_b64 exec, exec, s[2:3]
	s_and_saveexec_b64 s[2:3], vcc
	s_cbranch_execz .LBB33_59
.LBB33_58:
	ds_read_b32 v0, v0 offset:448
	s_waitcnt lgkmcnt(0)
	v_add_f32_e32 v8, v8, v0
.LBB33_59:
	s_or_b64 exec, exec, s[2:3]
.LBB33_60:
	s_or_b64 exec, exec, s[0:1]
	v_cmp_eq_u32_e32 vcc, 0, v9
	s_barrier
	s_and_saveexec_b64 s[0:1], vcc
	s_cbranch_execz .LBB33_62
; %bb.61:
	s_mul_i32 s0, s10, s11
	s_mul_i32 s0, s0, s9
	s_lshl_b32 s0, s0, 7
	s_ashr_i32 s1, s0, 31
	s_lshl_b64 s[0:1], s[0:1], 2
	s_add_u32 s2, s18, s0
	s_mul_i32 s0, s11, s16
	s_addc_u32 s3, s19, s1
	s_ashr_i32 s1, s0, 31
	s_lshl_b64 s[0:1], s[0:1], 2
	s_add_u32 s2, s2, s0
	s_addc_u32 s3, s3, s1
	s_lshl_b32 s0, s8, 7
	s_ashr_i32 s1, s0, 31
	s_lshl_b64 s[0:1], s[0:1], 2
	s_add_u32 s0, s2, s0
	s_addc_u32 s1, s3, s1
	global_store_dword v39, v1, s[0:1]
	global_store_dword v39, v2, s[0:1] offset:64
	global_store_dword v39, v3, s[0:1] offset:128
	;; [unrolled: 1-line block ×7, first 2 shown]
.LBB33_62:
	s_endpgm
.LBB33_63:
	ds_read_b32 v10, v0
	s_waitcnt lgkmcnt(0)
	v_add_f32_e32 v1, v1, v10
	s_or_b64 exec, exec, s[2:3]
	s_and_saveexec_b64 s[2:3], vcc
	s_cbranch_execz .LBB33_52
.LBB33_64:
	ds_read_b32 v10, v0 offset:64
	s_waitcnt lgkmcnt(0)
	v_add_f32_e32 v2, v2, v10
	s_or_b64 exec, exec, s[2:3]
	s_and_saveexec_b64 s[2:3], vcc
	s_cbranch_execz .LBB33_53
.LBB33_65:
	ds_read_b32 v10, v0 offset:128
	s_waitcnt lgkmcnt(0)
	v_add_f32_e32 v3, v3, v10
	s_or_b64 exec, exec, s[2:3]
	s_and_saveexec_b64 s[2:3], vcc
	s_cbranch_execz .LBB33_54
.LBB33_66:
	ds_read_b32 v10, v0 offset:192
	s_waitcnt lgkmcnt(0)
	v_add_f32_e32 v4, v4, v10
	s_or_b64 exec, exec, s[2:3]
	s_and_saveexec_b64 s[2:3], vcc
	s_cbranch_execz .LBB33_55
.LBB33_67:
	ds_read_b32 v10, v0 offset:256
	s_waitcnt lgkmcnt(0)
	v_add_f32_e32 v5, v5, v10
	s_or_b64 exec, exec, s[2:3]
	s_and_saveexec_b64 s[2:3], vcc
	s_cbranch_execz .LBB33_56
.LBB33_68:
	ds_read_b32 v10, v0 offset:320
	s_waitcnt lgkmcnt(0)
	v_add_f32_e32 v6, v6, v10
	s_or_b64 exec, exec, s[2:3]
	s_and_saveexec_b64 s[2:3], vcc
	s_cbranch_execz .LBB33_57
.LBB33_69:
	ds_read_b32 v10, v0 offset:384
	s_waitcnt lgkmcnt(0)
	v_add_f32_e32 v7, v7, v10
	s_or_b64 exec, exec, s[2:3]
	s_and_saveexec_b64 s[2:3], vcc
	s_cbranch_execnz .LBB33_58
	s_branch .LBB33_59
	.section	.rodata,"a",@progbits
	.p2align	6, 0x0
	.amdhsa_kernel _ZN4vllm25paged_attention_v1_kernelIffLi128ELi16ELi128ELNS_18Fp8KVCacheDataTypeE0ELb0EEEvPT_PKS2_PKT0_S8_ifPKiSA_iPKfiiiSC_SC_iiiii
		.amdhsa_group_segment_fixed_size 528
		.amdhsa_private_segment_fixed_size 104
		.amdhsa_kernarg_size 384
		.amdhsa_user_sgpr_count 6
		.amdhsa_user_sgpr_private_segment_buffer 1
		.amdhsa_user_sgpr_dispatch_ptr 0
		.amdhsa_user_sgpr_queue_ptr 0
		.amdhsa_user_sgpr_kernarg_segment_ptr 1
		.amdhsa_user_sgpr_dispatch_id 0
		.amdhsa_user_sgpr_flat_scratch_init 0
		.amdhsa_user_sgpr_private_segment_size 0
		.amdhsa_uses_dynamic_stack 0
		.amdhsa_system_sgpr_private_segment_wavefront_offset 1
		.amdhsa_system_sgpr_workgroup_id_x 1
		.amdhsa_system_sgpr_workgroup_id_y 1
		.amdhsa_system_sgpr_workgroup_id_z 1
		.amdhsa_system_sgpr_workgroup_info 0
		.amdhsa_system_vgpr_workitem_id 0
		.amdhsa_next_free_vgpr 64
		.amdhsa_next_free_sgpr 40
		.amdhsa_reserve_vcc 1
		.amdhsa_reserve_flat_scratch 0
		.amdhsa_float_round_mode_32 0
		.amdhsa_float_round_mode_16_64 0
		.amdhsa_float_denorm_mode_32 3
		.amdhsa_float_denorm_mode_16_64 3
		.amdhsa_dx10_clamp 1
		.amdhsa_ieee_mode 1
		.amdhsa_fp16_overflow 0
		.amdhsa_exception_fp_ieee_invalid_op 0
		.amdhsa_exception_fp_denorm_src 0
		.amdhsa_exception_fp_ieee_div_zero 0
		.amdhsa_exception_fp_ieee_overflow 0
		.amdhsa_exception_fp_ieee_underflow 0
		.amdhsa_exception_fp_ieee_inexact 0
		.amdhsa_exception_int_div_zero 0
	.end_amdhsa_kernel
	.section	.text._ZN4vllm25paged_attention_v1_kernelIffLi128ELi16ELi128ELNS_18Fp8KVCacheDataTypeE0ELb0EEEvPT_PKS2_PKT0_S8_ifPKiSA_iPKfiiiSC_SC_iiiii,"axG",@progbits,_ZN4vllm25paged_attention_v1_kernelIffLi128ELi16ELi128ELNS_18Fp8KVCacheDataTypeE0ELb0EEEvPT_PKS2_PKT0_S8_ifPKiSA_iPKfiiiSC_SC_iiiii,comdat
.Lfunc_end33:
	.size	_ZN4vllm25paged_attention_v1_kernelIffLi128ELi16ELi128ELNS_18Fp8KVCacheDataTypeE0ELb0EEEvPT_PKS2_PKT0_S8_ifPKiSA_iPKfiiiSC_SC_iiiii, .Lfunc_end33-_ZN4vllm25paged_attention_v1_kernelIffLi128ELi16ELi128ELNS_18Fp8KVCacheDataTypeE0ELb0EEEvPT_PKS2_PKT0_S8_ifPKiSA_iPKfiiiSC_SC_iiiii
                                        ; -- End function
	.set _ZN4vllm25paged_attention_v1_kernelIffLi128ELi16ELi128ELNS_18Fp8KVCacheDataTypeE0ELb0EEEvPT_PKS2_PKT0_S8_ifPKiSA_iPKfiiiSC_SC_iiiii.num_vgpr, 64
	.set _ZN4vllm25paged_attention_v1_kernelIffLi128ELi16ELi128ELNS_18Fp8KVCacheDataTypeE0ELb0EEEvPT_PKS2_PKT0_S8_ifPKiSA_iPKfiiiSC_SC_iiiii.num_agpr, 0
	.set _ZN4vllm25paged_attention_v1_kernelIffLi128ELi16ELi128ELNS_18Fp8KVCacheDataTypeE0ELb0EEEvPT_PKS2_PKT0_S8_ifPKiSA_iPKfiiiSC_SC_iiiii.numbered_sgpr, 40
	.set _ZN4vllm25paged_attention_v1_kernelIffLi128ELi16ELi128ELNS_18Fp8KVCacheDataTypeE0ELb0EEEvPT_PKS2_PKT0_S8_ifPKiSA_iPKfiiiSC_SC_iiiii.num_named_barrier, 0
	.set _ZN4vllm25paged_attention_v1_kernelIffLi128ELi16ELi128ELNS_18Fp8KVCacheDataTypeE0ELb0EEEvPT_PKS2_PKT0_S8_ifPKiSA_iPKfiiiSC_SC_iiiii.private_seg_size, 104
	.set _ZN4vllm25paged_attention_v1_kernelIffLi128ELi16ELi128ELNS_18Fp8KVCacheDataTypeE0ELb0EEEvPT_PKS2_PKT0_S8_ifPKiSA_iPKfiiiSC_SC_iiiii.uses_vcc, 1
	.set _ZN4vllm25paged_attention_v1_kernelIffLi128ELi16ELi128ELNS_18Fp8KVCacheDataTypeE0ELb0EEEvPT_PKS2_PKT0_S8_ifPKiSA_iPKfiiiSC_SC_iiiii.uses_flat_scratch, 0
	.set _ZN4vllm25paged_attention_v1_kernelIffLi128ELi16ELi128ELNS_18Fp8KVCacheDataTypeE0ELb0EEEvPT_PKS2_PKT0_S8_ifPKiSA_iPKfiiiSC_SC_iiiii.has_dyn_sized_stack, 0
	.set _ZN4vllm25paged_attention_v1_kernelIffLi128ELi16ELi128ELNS_18Fp8KVCacheDataTypeE0ELb0EEEvPT_PKS2_PKT0_S8_ifPKiSA_iPKfiiiSC_SC_iiiii.has_recursion, 0
	.set _ZN4vllm25paged_attention_v1_kernelIffLi128ELi16ELi128ELNS_18Fp8KVCacheDataTypeE0ELb0EEEvPT_PKS2_PKT0_S8_ifPKiSA_iPKfiiiSC_SC_iiiii.has_indirect_call, 0
	.section	.AMDGPU.csdata,"",@progbits
; Kernel info:
; codeLenInByte = 4748
; TotalNumSgprs: 44
; NumVgprs: 64
; ScratchSize: 104
; MemoryBound: 0
; FloatMode: 240
; IeeeMode: 1
; LDSByteSize: 528 bytes/workgroup (compile time only)
; SGPRBlocks: 5
; VGPRBlocks: 15
; NumSGPRsForWavesPerEU: 44
; NumVGPRsForWavesPerEU: 64
; Occupancy: 4
; WaveLimiterHint : 1
; COMPUTE_PGM_RSRC2:SCRATCH_EN: 1
; COMPUTE_PGM_RSRC2:USER_SGPR: 6
; COMPUTE_PGM_RSRC2:TRAP_HANDLER: 0
; COMPUTE_PGM_RSRC2:TGID_X_EN: 1
; COMPUTE_PGM_RSRC2:TGID_Y_EN: 1
; COMPUTE_PGM_RSRC2:TGID_Z_EN: 1
; COMPUTE_PGM_RSRC2:TIDIG_COMP_CNT: 0
	.section	.text._ZN4vllm25paged_attention_v1_kernelIffLi192ELi16ELi128ELNS_18Fp8KVCacheDataTypeE0ELb0EEEvPT_PKS2_PKT0_S8_ifPKiSA_iPKfiiiSC_SC_iiiii,"axG",@progbits,_ZN4vllm25paged_attention_v1_kernelIffLi192ELi16ELi128ELNS_18Fp8KVCacheDataTypeE0ELb0EEEvPT_PKS2_PKT0_S8_ifPKiSA_iPKfiiiSC_SC_iiiii,comdat
	.protected	_ZN4vllm25paged_attention_v1_kernelIffLi192ELi16ELi128ELNS_18Fp8KVCacheDataTypeE0ELb0EEEvPT_PKS2_PKT0_S8_ifPKiSA_iPKfiiiSC_SC_iiiii ; -- Begin function _ZN4vllm25paged_attention_v1_kernelIffLi192ELi16ELi128ELNS_18Fp8KVCacheDataTypeE0ELb0EEEvPT_PKS2_PKT0_S8_ifPKiSA_iPKfiiiSC_SC_iiiii
	.globl	_ZN4vllm25paged_attention_v1_kernelIffLi192ELi16ELi128ELNS_18Fp8KVCacheDataTypeE0ELb0EEEvPT_PKS2_PKT0_S8_ifPKiSA_iPKfiiiSC_SC_iiiii
	.p2align	8
	.type	_ZN4vllm25paged_attention_v1_kernelIffLi192ELi16ELi128ELNS_18Fp8KVCacheDataTypeE0ELb0EEEvPT_PKS2_PKT0_S8_ifPKiSA_iPKfiiiSC_SC_iiiii,@function
_ZN4vllm25paged_attention_v1_kernelIffLi192ELi16ELi128ELNS_18Fp8KVCacheDataTypeE0ELb0EEEvPT_PKS2_PKT0_S8_ifPKiSA_iPKfiiiSC_SC_iiiii: ; @_ZN4vllm25paged_attention_v1_kernelIffLi192ELi16ELi128ELNS_18Fp8KVCacheDataTypeE0ELb0EEEvPT_PKS2_PKT0_S8_ifPKiSA_iPKfiiiSC_SC_iiiii
; %bb.0:
	s_mov_b64 s[38:39], s[2:3]
	s_mov_b64 s[36:37], s[0:1]
	s_add_u32 s36, s36, s9
	s_load_dword s9, s[4:5], 0x80
	s_load_dwordx2 s[0:1], s[4:5], 0x30
	s_load_dwordx2 s[26:27], s[4:5], 0x20
	s_addc_u32 s37, s37, 0
	s_mov_b32 s10, s7
	s_ashr_i32 s11, s7, 31
	s_lshl_b64 s[2:3], s[10:11], 2
	s_waitcnt lgkmcnt(0)
	s_add_u32 s0, s0, s2
	s_addc_u32 s1, s1, s3
	s_abs_i32 s2, s26
	v_mov_b32_e32 v18, v0
	v_cvt_f32_u32_e32 v0, s2
	s_sub_i32 s11, 0, s2
	s_abs_i32 s7, s9
	s_xor_b32 s3, s9, s26
	v_rcp_iflag_f32_e32 v0, v0
	s_ashr_i32 s3, s3, 31
	s_mov_b32 s26, 0
	v_mul_f32_e32 v0, 0x4f7ffffe, v0
	v_cvt_u32_f32_e32 v0, v0
	v_readfirstlane_b32 s12, v0
	s_mul_i32 s11, s11, s12
	s_mul_hi_u32 s11, s12, s11
	s_add_i32 s12, s12, s11
	s_mul_hi_u32 s11, s7, s12
	s_mul_i32 s12, s11, s2
	s_sub_i32 s7, s7, s12
	s_add_i32 s12, s11, 1
	s_sub_i32 s13, s7, s2
	s_cmp_ge_u32 s7, s2
	s_cselect_b32 s11, s12, s11
	s_cselect_b32 s7, s13, s7
	s_add_i32 s12, s11, 1
	s_cmp_ge_u32 s7, s2
	s_cselect_b32 s2, s12, s11
	s_xor_b32 s2, s2, s3
	s_sub_i32 s11, s2, s3
	s_abs_i32 s18, s11
	v_cvt_f32_u32_e32 v0, s18
	s_load_dwordx2 s[2:3], s[4:5], 0x40
	s_sub_i32 s7, 0, s18
	s_abs_i32 s19, s6
	v_rcp_iflag_f32_e32 v0, v0
	v_mul_f32_e32 v0, 0x4f7ffffe, v0
	v_cvt_u32_f32_e32 v0, v0
	v_readfirstlane_b32 s12, v0
	s_mul_i32 s7, s7, s12
	s_mul_hi_u32 s7, s12, s7
	s_add_i32 s12, s12, s7
	s_waitcnt lgkmcnt(0)
	s_cmp_eq_u64 s[2:3], 0
	s_mul_hi_u32 s22, s19, s12
	s_cbranch_scc1 .LBB34_2
; %bb.1:
	s_ashr_i32 s7, s6, 31
	s_lshl_b64 s[12:13], s[6:7], 2
	s_add_u32 s2, s2, s12
	s_addc_u32 s3, s3, s13
	s_load_dword s26, s[2:3], 0x0
.LBB34_2:
	s_load_dword s33, s[0:1], 0x0
	s_ashr_i32 s23, s11, 31
	s_load_dword s11, s[4:5], 0x88
	s_load_dwordx4 s[12:15], s[4:5], 0x48
	v_lshrrev_b32_e32 v4, 2, v18
	s_waitcnt lgkmcnt(0)
	s_movk_i32 s15, 0xc0
	s_ashr_i32 s7, s6, 31
	v_and_b32_e32 v19, 3, v18
	s_mul_i32 s16, s6, 0xc0
	v_cmp_gt_u32_e32 vcc, s15, v18
	v_lshlrev_b32_e32 v12, 2, v18
	v_lshlrev_b32_e32 v3, 2, v4
	s_and_saveexec_b64 s[0:1], vcc
	s_cbranch_execz .LBB34_5
; %bb.3:
	s_load_dwordx2 s[2:3], s[4:5], 0x8
	s_mul_i32 s20, s12, s10
	s_ashr_i32 s21, s20, 31
	s_lshl_b64 s[20:21], s[20:21], 2
	v_mad_u32_u24 v0, v19, s15, v3
	s_waitcnt lgkmcnt(0)
	s_add_u32 s6, s2, s20
	s_addc_u32 s12, s3, s21
	s_ashr_i32 s17, s16, 31
	s_lshl_b64 s[2:3], s[16:17], 2
	s_add_u32 s2, s6, s2
	s_addc_u32 s3, s12, s3
	global_load_dword v1, v12, s[2:3]
	v_cmp_gt_u32_e32 vcc, 64, v18
	s_waitcnt vmcnt(0)
	ds_write_b32 v0, v1
	s_and_b64 exec, exec, vcc
	s_cbranch_execz .LBB34_5
; %bb.4:
	v_lshlrev_b32_e32 v1, 4, v4
	v_lshlrev_b32_e32 v2, 2, v19
	s_movk_i32 s6, 0x200
	v_or3_b32 v1, v1, v2, s6
	global_load_dword v1, v1, s[2:3]
	s_waitcnt vmcnt(0)
	ds_write_b32 v0, v1 offset:128
.LBB34_5:
	s_or_b64 exec, exec, s[0:1]
	s_add_i32 s1, s33, 15
	s_ashr_i32 s2, s1, 31
	s_lshr_b32 s2, s2, 28
	s_add_i32 s1, s1, s2
	s_mul_i32 s2, s22, s18
	s_sub_i32 s2, s19, s2
	s_ashr_i32 s12, s1, 4
	s_xor_b32 s1, s7, s23
	s_add_i32 s3, s22, 1
	s_sub_i32 s6, s2, s18
	s_load_dwordx2 s[20:21], s[4:5], 0x28
	s_load_dword s0, s[4:5], 0x38
	s_cmp_ge_u32 s2, s18
	s_cselect_b32 s3, s3, s22
	s_cselect_b32 s2, s6, s2
	s_add_i32 s6, s3, 1
	s_cmp_ge_u32 s2, s18
	s_cselect_b32 s2, s6, s3
	v_lshrrev_b32_e32 v11, 6, v18
	s_xor_b32 s2, s2, s1
	s_waitcnt lgkmcnt(0)
	s_mul_i32 s22, s0, s10
	s_sub_i32 s15, s2, s1
	s_ashr_i32 s23, s22, 31
	v_cmp_gt_i32_e64 s[0:1], s12, v11
	v_cmp_le_i32_e32 vcc, s12, v11
	v_mbcnt_lo_u32_b32 v49, -1, 0
	s_barrier
                                        ; implicit-def: $vgpr14
                                        ; implicit-def: $vgpr8
                                        ; implicit-def: $vgpr13
	s_and_saveexec_b64 s[2:3], vcc
	s_xor_b64 s[2:3], exec, s[2:3]
; %bb.6:
	v_mbcnt_hi_u32_b32 v14, -1, v49
	v_and_b32_e32 v8, 64, v14
	v_add_u32_e32 v13, 64, v8
                                        ; implicit-def: $vgpr49
; %bb.7:
	s_or_saveexec_b64 s[6:7], s[2:3]
	buffer_store_dword v4, off, s[36:39], 0 offset:208 ; 4-byte Folded Spill
	buffer_store_dword v3, off, s[36:39], 0 offset:204 ; 4-byte Folded Spill
	s_load_dwordx2 s[18:19], s[4:5], 0x0
	s_load_dwordx2 s[24:25], s[4:5], 0x18
	v_mov_b32_e32 v44, 0xff7fffff
	s_mul_i32 s14, s15, s14
	v_lshrrev_b32_e32 v22, 4, v18
	buffer_store_dword v18, off, s[36:39], 0 offset:196 ; 4-byte Folded Spill
	buffer_store_dword v19, off, s[36:39], 0 offset:200 ; 4-byte Folded Spill
	s_xor_b64 exec, exec, s[6:7]
	s_cbranch_execz .LBB34_13
; %bb.8:
	s_load_dwordx2 s[2:3], s[4:5], 0x10
	s_ashr_i32 s15, s14, 31
	s_lshl_b64 s[4:5], s[14:15], 2
	v_bfe_u32 v50, v18, 2, 4
	v_lshlrev_b32_e32 v0, 4, v50
	s_waitcnt lgkmcnt(0)
	s_add_u32 s2, s2, s4
	s_addc_u32 s3, s3, s5
	v_add_co_u32_e32 v0, vcc, s2, v0
	v_mov_b32_e32 v1, s3
	v_addc_co_u32_e32 v1, vcc, 0, v1, vcc
	v_lshlrev_b32_e32 v2, 2, v19
	v_add_co_u32_e32 v0, vcc, v0, v2
	buffer_store_dword v0, off, s[36:39], 0 offset:4 ; 4-byte Folded Spill
	v_addc_co_u32_e32 v0, vcc, 0, v1, vcc
	v_mul_u32_u24_e32 v45, 0xc0, v19
	buffer_store_dword v0, off, s[36:39], 0 offset:8 ; 4-byte Folded Spill
	ds_read_b128 v[0:3], v45
	buffer_store_dword v12, off, s[36:39], 0 offset:212 ; 4-byte Folded Spill
	s_waitcnt lgkmcnt(0)
	buffer_store_dword v0, off, s[36:39], 0 offset:12 ; 4-byte Folded Spill
	s_nop 0
	buffer_store_dword v1, off, s[36:39], 0 offset:16 ; 4-byte Folded Spill
	buffer_store_dword v2, off, s[36:39], 0 offset:20 ; 4-byte Folded Spill
	buffer_store_dword v3, off, s[36:39], 0 offset:24 ; 4-byte Folded Spill
	ds_read_b128 v[0:3], v45 offset:16
	s_waitcnt lgkmcnt(0)
	buffer_store_dword v0, off, s[36:39], 0 offset:28 ; 4-byte Folded Spill
	s_nop 0
	buffer_store_dword v1, off, s[36:39], 0 offset:32 ; 4-byte Folded Spill
	buffer_store_dword v2, off, s[36:39], 0 offset:36 ; 4-byte Folded Spill
	buffer_store_dword v3, off, s[36:39], 0 offset:40 ; 4-byte Folded Spill
	ds_read_b128 v[0:3], v45 offset:32
	s_waitcnt lgkmcnt(0)
	buffer_store_dword v0, off, s[36:39], 0 offset:44 ; 4-byte Folded Spill
	s_nop 0
	buffer_store_dword v1, off, s[36:39], 0 offset:48 ; 4-byte Folded Spill
	buffer_store_dword v2, off, s[36:39], 0 offset:52 ; 4-byte Folded Spill
	buffer_store_dword v3, off, s[36:39], 0 offset:56 ; 4-byte Folded Spill
	ds_read_b128 v[0:3], v45 offset:48
	s_waitcnt lgkmcnt(0)
	buffer_store_dword v0, off, s[36:39], 0 offset:60 ; 4-byte Folded Spill
	s_nop 0
	buffer_store_dword v1, off, s[36:39], 0 offset:64 ; 4-byte Folded Spill
	buffer_store_dword v2, off, s[36:39], 0 offset:68 ; 4-byte Folded Spill
	buffer_store_dword v3, off, s[36:39], 0 offset:72 ; 4-byte Folded Spill
	ds_read_b128 v[0:3], v45 offset:64
	s_waitcnt lgkmcnt(0)
	buffer_store_dword v0, off, s[36:39], 0 offset:76 ; 4-byte Folded Spill
	s_nop 0
	buffer_store_dword v1, off, s[36:39], 0 offset:80 ; 4-byte Folded Spill
	buffer_store_dword v2, off, s[36:39], 0 offset:84 ; 4-byte Folded Spill
	buffer_store_dword v3, off, s[36:39], 0 offset:88 ; 4-byte Folded Spill
	ds_read_b128 v[0:3], v45 offset:80
	s_waitcnt lgkmcnt(0)
	buffer_store_dword v0, off, s[36:39], 0 offset:92 ; 4-byte Folded Spill
	s_nop 0
	buffer_store_dword v1, off, s[36:39], 0 offset:96 ; 4-byte Folded Spill
	buffer_store_dword v2, off, s[36:39], 0 offset:100 ; 4-byte Folded Spill
	buffer_store_dword v3, off, s[36:39], 0 offset:104 ; 4-byte Folded Spill
	ds_read_b128 v[0:3], v45 offset:96
	s_waitcnt lgkmcnt(0)
	buffer_store_dword v0, off, s[36:39], 0 offset:108 ; 4-byte Folded Spill
	s_nop 0
	buffer_store_dword v1, off, s[36:39], 0 offset:112 ; 4-byte Folded Spill
	buffer_store_dword v2, off, s[36:39], 0 offset:116 ; 4-byte Folded Spill
	buffer_store_dword v3, off, s[36:39], 0 offset:120 ; 4-byte Folded Spill
	ds_read_b128 v[0:3], v45 offset:112
	s_waitcnt lgkmcnt(0)
	buffer_store_dword v0, off, s[36:39], 0 offset:124 ; 4-byte Folded Spill
	s_nop 0
	buffer_store_dword v1, off, s[36:39], 0 offset:128 ; 4-byte Folded Spill
	buffer_store_dword v2, off, s[36:39], 0 offset:132 ; 4-byte Folded Spill
	buffer_store_dword v3, off, s[36:39], 0 offset:136 ; 4-byte Folded Spill
	ds_read_b128 v[0:3], v45 offset:128
	s_waitcnt lgkmcnt(0)
	buffer_store_dword v0, off, s[36:39], 0 offset:140 ; 4-byte Folded Spill
	s_nop 0
	buffer_store_dword v1, off, s[36:39], 0 offset:144 ; 4-byte Folded Spill
	buffer_store_dword v2, off, s[36:39], 0 offset:148 ; 4-byte Folded Spill
	buffer_store_dword v3, off, s[36:39], 0 offset:152 ; 4-byte Folded Spill
	ds_read_b128 v[0:3], v45 offset:144
	s_waitcnt lgkmcnt(0)
	buffer_store_dword v0, off, s[36:39], 0 offset:156 ; 4-byte Folded Spill
	s_nop 0
	buffer_store_dword v1, off, s[36:39], 0 offset:160 ; 4-byte Folded Spill
	buffer_store_dword v2, off, s[36:39], 0 offset:164 ; 4-byte Folded Spill
	buffer_store_dword v3, off, s[36:39], 0 offset:168 ; 4-byte Folded Spill
	ds_read_b128 v[0:3], v45 offset:160
	s_waitcnt lgkmcnt(0)
	buffer_store_dword v0, off, s[36:39], 0 offset:172 ; 4-byte Folded Spill
	s_nop 0
	buffer_store_dword v1, off, s[36:39], 0 offset:176 ; 4-byte Folded Spill
	buffer_store_dword v2, off, s[36:39], 0 offset:180 ; 4-byte Folded Spill
	;; [unrolled: 1-line block ×3, first 2 shown]
	v_mbcnt_hi_u32_b32 v0, -1, v49
	v_and_b32_e32 v1, 64, v0
	buffer_store_dword v1, off, s[36:39], 0 offset:224 ; 4-byte Folded Spill
	v_add_u32_e32 v1, 64, v1
	v_xor_b32_e32 v49, 2, v0
	v_cmp_lt_i32_e32 vcc, v49, v1
	v_cndmask_b32_e32 v49, v0, v49, vcc
	v_lshlrev_b32_e32 v2, 2, v49
	v_xor_b32_e32 v49, 1, v0
	v_cmp_lt_i32_e32 vcc, v49, v1
	v_lshlrev_b32_e32 v51, 2, v50
	ds_read_b128 v[45:48], v45 offset:176
	v_cndmask_b32_e32 v49, v0, v49, vcc
	s_sub_i32 s15, 1, s33
	s_lshl_b64 s[4:5], s[22:23], 2
	buffer_store_dword v0, off, s[36:39], 0 offset:220 ; 4-byte Folded Spill
	v_lshlrev_b32_e32 v0, 2, v49
	v_lshl_or_b32 v49, v11, 6, v51
	s_add_u32 s4, s20, s4
	v_add_u32_e32 v61, 0x310, v49
	v_and_b32_e32 v49, 60, v22
	s_addc_u32 s28, s21, s5
	v_lshl_or_b32 v60, v11, 4, v50
	v_add_co_u32_e64 v49, s[4:5], s4, v49
	v_mov_b32_e32 v50, s28
	s_mov_b32 s17, s13
	v_cmp_eq_u32_e32 vcc, 0, v19
	v_cmp_neq_f32_e64 s[2:3], s26, 0
	v_addc_co_u32_e64 v50, s[4:5], 0, v50, s[4:5]
	v_mov_b32_e32 v44, 0xff7fffff
	s_mov_b64 s[28:29], 0
	s_movk_i32 s34, 0x1000
	s_movk_i32 s35, 0x2000
	v_mov_b32_e32 v62, v11
	buffer_store_dword v2, off, s[36:39], 0 offset:188 ; 4-byte Folded Spill
	buffer_store_dword v0, off, s[36:39], 0 offset:192 ; 4-byte Folded Spill
	;; [unrolled: 1-line block ×3, first 2 shown]
	buffer_store_dword v11, off, s[36:39], 0 ; 4-byte Folded Spill
	s_branch .LBB34_10
.LBB34_9:                               ;   in Loop: Header=BB34_10 Depth=1
	s_or_b64 exec, exec, s[30:31]
	v_add_u32_e32 v62, 2, v62
	v_cmp_le_i32_e64 s[4:5], s12, v62
	s_or_b64 s[28:29], s[4:5], s[28:29]
	v_add_co_u32_e64 v49, s[4:5], 8, v49
	v_add_u32_e32 v60, 32, v60
	v_add_u32_e32 v61, 0x80, v61
	v_addc_co_u32_e64 v50, s[4:5], 0, v50, s[4:5]
	s_andn2_b64 exec, exec, s[28:29]
	s_cbranch_execz .LBB34_12
.LBB34_10:                              ; =>This Inner Loop Header: Depth=1
	s_waitcnt lgkmcnt(0)
	global_load_dword v51, v[49:50], off
	buffer_load_dword v0, off, s[36:39], 0 offset:4 ; 4-byte Folded Reload
	s_waitcnt vmcnt(1)
	v_mad_i64_i32 v[51:52], s[4:5], v51, s17, 0
	v_lshlrev_b64 v[51:52], 2, v[51:52]
	s_waitcnt vmcnt(0)
	v_add_co_u32_e64 v51, s[4:5], v0, v51
	buffer_load_dword v0, off, s[36:39], 0 offset:8 ; 4-byte Folded Reload
	s_waitcnt vmcnt(0)
	v_addc_co_u32_e64 v52, s[4:5], v0, v52, s[4:5]
	v_add_co_u32_e64 v53, s[4:5], s34, v51
	v_addc_co_u32_e64 v54, s[4:5], 0, v52, s[4:5]
	v_add_co_u32_e64 v55, s[4:5], s35, v51
	v_addc_co_u32_e64 v56, s[4:5], 0, v52, s[4:5]
	global_load_dword v63, v[51:52], off
	global_load_dword v0, v[51:52], off offset:256
	global_load_dword v58, v[51:52], off offset:512
	;; [unrolled: 1-line block ×16, first 2 shown]
	s_nop 0
	global_load_dword v51, v[53:54], off offset:512
	global_load_dword v52, v[53:54], off offset:768
	;; [unrolled: 1-line block ×14, first 2 shown]
	s_nop 0
	global_load_dword v53, v[55:56], off offset:-4096
	global_load_dword v54, v[55:56], off
	global_load_dword v25, v[55:56], off offset:256
	global_load_dword v26, v[55:56], off offset:512
	;; [unrolled: 1-line block ×15, first 2 shown]
	buffer_load_dword v40, off, s[36:39], 0 offset:12 ; 4-byte Folded Reload
	buffer_load_dword v41, off, s[36:39], 0 offset:16 ; 4-byte Folded Reload
	;; [unrolled: 1-line block ×4, first 2 shown]
	s_waitcnt vmcnt(2)
	v_mul_f32_e32 v0, v41, v0
	v_fmac_f32_e32 v0, v40, v63
	s_waitcnt vmcnt(1)
	v_fmac_f32_e32 v0, v42, v58
	s_waitcnt vmcnt(0)
	v_fmac_f32_e32 v0, v43, v59
	buffer_load_dword v40, off, s[36:39], 0 offset:28 ; 4-byte Folded Reload
	buffer_load_dword v41, off, s[36:39], 0 offset:32 ; 4-byte Folded Reload
	;; [unrolled: 1-line block ×4, first 2 shown]
	s_waitcnt vmcnt(3)
	v_fmac_f32_e32 v0, v40, v57
	s_waitcnt vmcnt(2)
	v_fmac_f32_e32 v0, v41, v1
	;; [unrolled: 2-line block ×4, first 2 shown]
	buffer_load_dword v40, off, s[36:39], 0 offset:44 ; 4-byte Folded Reload
	buffer_load_dword v41, off, s[36:39], 0 offset:48 ; 4-byte Folded Reload
	;; [unrolled: 1-line block ×4, first 2 shown]
	s_waitcnt vmcnt(3)
	v_fmac_f32_e32 v0, v40, v4
	buffer_load_dword v1, off, s[36:39], 0 offset:60 ; 4-byte Folded Reload
	buffer_load_dword v2, off, s[36:39], 0 offset:64 ; 4-byte Folded Reload
	;; [unrolled: 1-line block ×4, first 2 shown]
	s_waitcnt vmcnt(6)
	v_fmac_f32_e32 v0, v41, v5
	s_waitcnt vmcnt(5)
	v_fmac_f32_e32 v0, v42, v6
	;; [unrolled: 2-line block ×7, first 2 shown]
	buffer_load_dword v1, off, s[36:39], 0 offset:76 ; 4-byte Folded Reload
	buffer_load_dword v2, off, s[36:39], 0 offset:80 ; 4-byte Folded Reload
	buffer_load_dword v3, off, s[36:39], 0 offset:84 ; 4-byte Folded Reload
	buffer_load_dword v4, off, s[36:39], 0 offset:88 ; 4-byte Folded Reload
	s_waitcnt vmcnt(3)
	v_fmac_f32_e32 v0, v1, v53
	s_waitcnt vmcnt(2)
	v_fmac_f32_e32 v0, v2, v12
	s_waitcnt vmcnt(1)
	v_fmac_f32_e32 v0, v3, v51
	s_waitcnt vmcnt(0)
	v_fmac_f32_e32 v0, v4, v52
	buffer_load_dword v1, off, s[36:39], 0 offset:92 ; 4-byte Folded Reload
	buffer_load_dword v2, off, s[36:39], 0 offset:96 ; 4-byte Folded Reload
	buffer_load_dword v3, off, s[36:39], 0 offset:100 ; 4-byte Folded Reload
	buffer_load_dword v4, off, s[36:39], 0 offset:104 ; 4-byte Folded Reload
	s_waitcnt vmcnt(3)
	v_fmac_f32_e32 v0, v1, v13
	s_waitcnt vmcnt(2)
	v_fmac_f32_e32 v0, v2, v14
	s_waitcnt vmcnt(1)
	v_fmac_f32_e32 v0, v3, v15
	s_waitcnt vmcnt(0)
	v_fmac_f32_e32 v0, v4, v16
	;; [unrolled: 12-line block ×6, first 2 shown]
	buffer_load_dword v1, off, s[36:39], 0 offset:172 ; 4-byte Folded Reload
	buffer_load_dword v2, off, s[36:39], 0 offset:176 ; 4-byte Folded Reload
	;; [unrolled: 1-line block ×4, first 2 shown]
	s_waitcnt vmcnt(3)
	v_fmac_f32_e32 v0, v1, v32
	buffer_load_dword v1, off, s[36:39], 0 offset:188 ; 4-byte Folded Reload
	s_waitcnt vmcnt(3)
	v_fmac_f32_e32 v0, v2, v33
	s_waitcnt vmcnt(2)
	v_fmac_f32_e32 v0, v3, v34
	;; [unrolled: 2-line block ×3, first 2 shown]
	s_waitcnt lgkmcnt(0)
	v_fmac_f32_e32 v0, v45, v36
	v_fmac_f32_e32 v0, v46, v37
	;; [unrolled: 1-line block ×4, first 2 shown]
	s_waitcnt vmcnt(0)
	ds_bpermute_b32 v1, v1, v0
	s_waitcnt lgkmcnt(0)
	v_add_f32_e32 v63, v0, v1
	buffer_load_dword v0, off, s[36:39], 0 offset:192 ; 4-byte Folded Reload
	s_waitcnt vmcnt(0)
	ds_bpermute_b32 v51, v0, v63
	s_and_saveexec_b64 s[30:31], vcc
	s_cbranch_execz .LBB34_9
; %bb.11:                               ;   in Loop: Header=BB34_10 Depth=1
	v_add_u32_e32 v0, s15, v60
	v_cvt_f32_i32_e32 v0, v0
	s_waitcnt lgkmcnt(0)
	v_add_f32_e32 v1, v63, v51
	v_max_f32_e32 v2, v44, v44
	v_cmp_gt_i32_e64 s[4:5], s33, v60
	v_mul_f32_e32 v0, s26, v0
	v_cndmask_b32_e64 v0, 0, v0, s[2:3]
	v_fmac_f32_e32 v0, s27, v1
	v_cndmask_b32_e64 v1, 0, v0, s[4:5]
	v_max_f32_e32 v0, v2, v0
	v_cndmask_b32_e64 v44, v44, v0, s[4:5]
	ds_write_b32 v61, v1
	s_branch .LBB34_9
.LBB34_12:
	s_or_b64 exec, exec, s[28:29]
	buffer_load_dword v18, off, s[36:39], 0 offset:196 ; 4-byte Folded Reload
	buffer_load_dword v19, off, s[36:39], 0 offset:200 ; 4-byte Folded Reload
	buffer_load_dword v11, off, s[36:39], 0 ; 4-byte Folded Reload
	buffer_load_dword v12, off, s[36:39], 0 offset:212 ; 4-byte Folded Reload
	buffer_load_dword v22, off, s[36:39], 0 offset:216 ; 4-byte Folded Reload
	;; [unrolled: 1-line block ×4, first 2 shown]
	s_waitcnt vmcnt(0)
	v_add_u32_e32 v13, 64, v8
.LBB34_13:
	s_or_b64 exec, exec, s[6:7]
	v_xor_b32_e32 v0, 32, v14
	v_cmp_lt_i32_e32 vcc, v0, v13
	v_cndmask_b32_e32 v0, v14, v0, vcc
	v_lshlrev_b32_e32 v1, 2, v0
	ds_bpermute_b32 v0, v1, v44
	v_xor_b32_e32 v3, 16, v14
	v_max_f32_e32 v2, v44, v44
	v_cmp_lt_i32_e32 vcc, v3, v13
	v_xor_b32_e32 v4, 8, v14
	s_waitcnt lgkmcnt(0)
	v_max_f32_e32 v0, v0, v0
	v_max_f32_e32 v0, v2, v0
	v_cndmask_b32_e32 v2, v14, v3, vcc
	v_lshlrev_b32_e32 v2, 2, v2
	ds_bpermute_b32 v3, v2, v0
	v_cmp_lt_i32_e32 vcc, v4, v13
	v_xor_b32_e32 v6, 4, v14
	v_and_b32_e32 v20, 63, v18
	s_waitcnt lgkmcnt(0)
	v_max_f32_e32 v3, v3, v3
	v_max_f32_e32 v0, v0, v3
	v_cndmask_b32_e32 v3, v14, v4, vcc
	v_lshlrev_b32_e32 v5, 2, v3
	ds_bpermute_b32 v3, v5, v0
	v_cmp_lt_i32_e32 vcc, v6, v13
	s_waitcnt lgkmcnt(0)
	v_max_f32_e32 v3, v3, v3
	v_max_f32_e32 v4, v0, v3
	v_cndmask_b32_e32 v0, v14, v6, vcc
	v_lshlrev_b32_e32 v6, 2, v0
	ds_bpermute_b32 v7, v6, v4
	v_cmp_eq_u32_e32 vcc, 0, v20
	v_lshlrev_b32_e32 v3, 2, v11
	s_and_saveexec_b64 s[2:3], vcc
	s_cbranch_execz .LBB34_15
; %bb.14:
	s_waitcnt lgkmcnt(0)
	v_max_f32_e32 v0, v7, v7
	v_max_f32_e32 v4, v4, v4
	;; [unrolled: 1-line block ×3, first 2 shown]
	ds_write_b32 v3, v0 offset:768
.LBB34_15:
	s_or_b64 exec, exec, s[2:3]
	v_cmp_gt_u32_e64 s[2:3], 2, v20
	s_waitcnt lgkmcnt(0)
	v_mov_b32_e32 v7, 0xff7fffff
	v_lshlrev_b32_e32 v4, 2, v20
	s_waitcnt vmcnt(0)
	s_barrier
	s_and_saveexec_b64 s[4:5], s[2:3]
; %bb.16:
	ds_read_b32 v7, v4 offset:768
; %bb.17:
	s_or_b64 exec, exec, s[4:5]
	v_xor_b32_e32 v0, 1, v14
	v_cmp_lt_i32_e64 s[4:5], v0, v13
	v_cndmask_b32_e64 v0, v14, v0, s[4:5]
	v_lshlrev_b32_e32 v17, 2, v0
	s_waitcnt lgkmcnt(0)
	ds_bpermute_b32 v0, v17, v7
	v_max_f32_e32 v7, v7, v7
	s_lshl_b32 s4, s12, 4
	s_min_i32 s15, s4, s33
	v_cmp_gt_i32_e64 s[4:5], s15, v18
	s_waitcnt lgkmcnt(0)
	v_max_f32_e32 v0, v0, v0
	v_max_f32_e32 v0, v7, v0
	v_lshlrev_b32_e32 v7, 2, v8
	ds_bpermute_b32 v8, v7, v0
	v_mov_b32_e32 v7, 0
	s_and_saveexec_b64 s[26:27], s[4:5]
	s_cbranch_execz .LBB34_21
; %bb.18:
	v_mov_b32_e32 v0, 0x310
	v_lshl_add_u32 v9, v18, 2, v0
	v_mov_b32_e32 v7, 0
	s_mov_b64 s[28:29], 0
	v_mov_b32_e32 v10, v18
.LBB34_19:                              ; =>This Inner Loop Header: Depth=1
	ds_read_b32 v0, v9
	v_add_u32_e32 v10, 0x80, v10
	v_cmp_le_i32_e64 s[6:7], s15, v10
	s_or_b64 s[28:29], s[6:7], s[28:29]
	s_waitcnt lgkmcnt(0)
	v_sub_f32_e32 v0, v0, v8
	v_mul_f32_e32 v0, 0x3fb8aa3b, v0
	v_exp_f32_e32 v0, v0
	ds_write_b32 v9, v0
	v_add_f32_e32 v7, v7, v0
	v_add_u32_e32 v9, 0x200, v9
	s_andn2_b64 exec, exec, s[28:29]
	s_cbranch_execnz .LBB34_19
; %bb.20:
	s_or_b64 exec, exec, s[28:29]
.LBB34_21:
	s_or_b64 exec, exec, s[26:27]
	ds_bpermute_b32 v0, v1, v7
	s_waitcnt lgkmcnt(0)
	v_add_f32_e32 v0, v7, v0
	ds_bpermute_b32 v1, v2, v0
	v_xor_b32_e32 v2, 2, v14
	v_cmp_lt_i32_e64 s[6:7], v2, v13
	v_cndmask_b32_e64 v2, v14, v2, s[6:7]
	v_lshlrev_b32_e32 v13, 2, v2
	s_waitcnt lgkmcnt(0)
	v_add_f32_e32 v0, v0, v1
	ds_bpermute_b32 v1, v5, v0
	s_waitcnt lgkmcnt(0)
	v_add_f32_e32 v0, v0, v1
	ds_bpermute_b32 v1, v6, v0
	;; [unrolled: 3-line block ×4, first 2 shown]
	s_waitcnt lgkmcnt(0)
	v_add_f32_e32 v1, v0, v1
	s_and_saveexec_b64 s[6:7], vcc
; %bb.22:
	ds_write_b32 v3, v1 offset:776
; %bb.23:
	s_or_b64 exec, exec, s[6:7]
	s_waitcnt lgkmcnt(0)
	s_barrier
	s_and_saveexec_b64 s[6:7], s[2:3]
; %bb.24:
	ds_read_b32 v1, v4 offset:776
; %bb.25:
	s_or_b64 exec, exec, s[6:7]
	s_waitcnt lgkmcnt(0)
	ds_bpermute_b32 v0, v17, v1
	v_lshlrev_b32_e32 v2, 2, v14
	s_waitcnt lgkmcnt(0)
	v_add_f32_e32 v0, v1, v0
	v_and_b32_e32 v1, 0xffffff00, v2
	ds_bpermute_b32 v0, v1, v0
	s_and_saveexec_b64 s[2:3], s[4:5]
	s_cbranch_execz .LBB34_28
; %bb.26:
	s_waitcnt lgkmcnt(0)
	v_add_f32_e32 v1, 0x358637bd, v0
	v_div_scale_f32 v0, s[4:5], v1, v1, 1.0
	v_div_scale_f32 v2, vcc, 1.0, v1, 1.0
	s_mov_b64 s[4:5], 0
	v_rcp_f32_e32 v3, v0
	v_fma_f32 v4, -v0, v3, 1.0
	v_fmac_f32_e32 v3, v4, v3
	v_mul_f32_e32 v4, v2, v3
	v_fma_f32 v5, -v0, v4, v2
	v_fmac_f32_e32 v4, v5, v3
	v_fma_f32 v0, -v0, v4, v2
	v_div_fmas_f32 v2, v0, v3, v4
	v_mov_b32_e32 v0, 0x310
	v_lshl_add_u32 v0, v18, 2, v0
	v_div_fixup_f32 v1, v2, v1, 1.0
	v_mov_b32_e32 v2, v18
.LBB34_27:                              ; =>This Inner Loop Header: Depth=1
	ds_read_b32 v3, v0
	v_add_u32_e32 v2, 0x80, v2
	v_cmp_le_i32_e32 vcc, s15, v2
	s_or_b64 s[4:5], vcc, s[4:5]
	s_waitcnt lgkmcnt(0)
	v_mul_f32_e32 v3, v1, v3
	ds_write_b32 v0, v3
	v_add_u32_e32 v0, 0x200, v0
	s_andn2_b64 exec, exec, s[4:5]
	s_cbranch_execnz .LBB34_27
.LBB34_28:
	s_or_b64 exec, exec, s[2:3]
	v_mov_b32_e32 v5, 0
	v_mov_b32_e32 v57, 0
	s_waitcnt lgkmcnt(0)
	v_mov_b32_e32 v0, 0
	v_mov_b32_e32 v63, 0
	;; [unrolled: 1-line block ×10, first 2 shown]
	s_barrier
	s_and_saveexec_b64 s[2:3], s[0:1]
	s_cbranch_execz .LBB34_56
; %bb.29:
	s_ashr_i32 s15, s14, 31
	s_lshl_b64 s[0:1], s[14:15], 2
	s_add_u32 s0, s24, s0
	v_lshlrev_b32_e32 v1, 4, v18
	s_addc_u32 s1, s25, s1
	v_and_b32_e32 v1, 0x3f0, v1
	v_mov_b32_e32 v2, s1
	v_add_co_u32_e32 v1, vcc, s0, v1
	buffer_store_dword v13, off, s[36:39], 0 offset:156 ; 4-byte Folded Spill
	buffer_store_dword v17, off, s[36:39], 0 offset:140 ; 4-byte Folded Spill
	;; [unrolled: 1-line block ×4, first 2 shown]
	v_addc_co_u32_e32 v1, vcc, 0, v2, vcc
	v_and_b32_e32 v0, 12, v12
	buffer_store_dword v1, off, s[36:39], 0 offset:108 ; 4-byte Folded Spill
	v_lshlrev_b32_e32 v1, 4, v11
	v_or3_b32 v56, v1, v0, 3
	v_lshlrev_b32_e32 v0, 4, v19
	s_add_i32 s14, s12, -1
	v_lshl_or_b32 v0, v11, 6, v0
	s_lshl_b64 s[0:1], s[22:23], 2
	v_add_u32_e32 v60, 0x310, v0
	v_and_b32_e32 v0, 60, v22
	s_add_u32 s0, s20, s0
	v_add_co_u32_e32 v53, vcc, s0, v0
	v_mov_b32_e32 v0, 0
	buffer_store_dword v0, off, s[36:39], 0 offset:4 ; 4-byte Folded Spill
	v_mov_b32_e32 v0, 0
	buffer_store_dword v0, off, s[36:39], 0 offset:8 ; 4-byte Folded Spill
	v_mov_b32_e32 v0, 0
	s_addc_u32 s1, s21, s1
	buffer_store_dword v0, off, s[36:39], 0 offset:12 ; 4-byte Folded Spill
	v_mov_b32_e32 v0, 0
	v_mov_b32_e32 v1, s1
	buffer_store_dword v0, off, s[36:39], 0 offset:28 ; 4-byte Folded Spill
	v_mov_b32_e32 v0, 0
	v_mov_b32_e32 v21, 0
	v_addc_co_u32_e32 v54, vcc, 0, v1, vcc
	s_mov_b64 s[4:5], 0
	buffer_store_dword v0, off, s[36:39], 0 offset:44 ; 4-byte Folded Spill
	v_mov_b32_e32 v58, 0
	v_mov_b32_e32 v62, 0
	;; [unrolled: 1-line block ×6, first 2 shown]
	s_branch .LBB34_31
.LBB34_30:                              ;   in Loop: Header=BB34_31 Depth=1
	s_or_b64 exec, exec, s[6:7]
	s_waitcnt vmcnt(3) lgkmcnt(0)
	v_mul_f32_e32 v37, v1, v37
	v_fmac_f32_e32 v37, v2, v38
	buffer_load_dword v38, off, s[36:39], 0 offset:4 ; 4-byte Folded Reload
	s_waitcnt vmcnt(2)
	v_mul_f32_e32 v49, v1, v49
	v_fmac_f32_e32 v49, v2, v50
	v_fmac_f32_e32 v49, v3, v51
	v_mul_f32_e32 v9, v1, v9
	v_fmac_f32_e32 v49, v4, v52
	v_mul_f32_e32 v33, v1, v33
	;; [unrolled: 2-line block ×3, first 2 shown]
	v_fmac_f32_e32 v33, v2, v34
	buffer_load_dword v34, off, s[36:39], 0 offset:28 ; 4-byte Folded Reload
	v_fmac_f32_e32 v9, v3, v11
	v_fmac_f32_e32 v5, v2, v6
	buffer_load_dword v6, off, s[36:39], 0 offset:76 ; 4-byte Folded Reload
	buffer_load_dword v11, off, s[36:39], 0 ; 4-byte Folded Reload
	v_mul_f32_e32 v45, v1, v45
	v_fmac_f32_e32 v45, v2, v46
	v_mul_f32_e32 v21, v1, v21
	v_fmac_f32_e32 v45, v3, v47
	v_fmac_f32_e32 v21, v2, v22
	;; [unrolled: 1-line block ×3, first 2 shown]
	v_mul_f32_e32 v29, v1, v29
	v_fmac_f32_e32 v21, v3, v23
	v_fmac_f32_e32 v29, v2, v30
	;; [unrolled: 1-line block ×3, first 2 shown]
	v_add_f32_e32 v62, v62, v21
	v_mul_f32_e32 v25, v1, v25
	v_mul_f32_e32 v17, v1, v17
	;; [unrolled: 1-line block ×3, first 2 shown]
	s_waitcnt vmcnt(4)
	v_mul_f32_e32 v1, v1, v41
	v_fmac_f32_e32 v25, v2, v26
	v_fmac_f32_e32 v17, v2, v18
	;; [unrolled: 1-line block ×21, first 2 shown]
	v_add_f32_e32 v58, v58, v25
	v_add_f32_e32 v63, v63, v17
	;; [unrolled: 1-line block ×4, first 2 shown]
	v_add_u32_e32 v56, 32, v56
	v_add_u32_e32 v60, 0x80, v60
	buffer_load_dword v30, off, s[36:39], 0 offset:44 ; 4-byte Folded Reload
	buffer_load_dword v21, off, s[36:39], 0 offset:60 ; 4-byte Folded Reload
	s_waitcnt vmcnt(5)
	v_add_f32_e32 v38, v38, v49
	buffer_store_dword v38, off, s[36:39], 0 offset:4 ; 4-byte Folded Spill
	buffer_load_dword v38, off, s[36:39], 0 offset:8 ; 4-byte Folded Reload
	s_waitcnt vmcnt(6)
	v_add_f32_e32 v34, v34, v33
	buffer_store_dword v34, off, s[36:39], 0 offset:28 ; 4-byte Folded Spill
	s_waitcnt vmcnt(6)
	v_add_f32_e32 v5, v6, v5
	s_waitcnt vmcnt(5)
	v_add_u32_e32 v11, 2, v11
	v_cmp_le_i32_e32 vcc, s12, v11
	s_or_b64 s[4:5], vcc, s[4:5]
	v_add_co_u32_e32 v53, vcc, 8, v53
	v_addc_co_u32_e32 v54, vcc, 0, v54, vcc
	s_waitcnt vmcnt(4)
	v_add_f32_e32 v30, v30, v29
	buffer_store_dword v30, off, s[36:39], 0 offset:44 ; 4-byte Folded Spill
	s_waitcnt vmcnt(4)
	v_add_f32_e32 v21, v21, v1
	s_waitcnt vmcnt(2)
	v_add_f32_e32 v38, v38, v45
	buffer_store_dword v38, off, s[36:39], 0 offset:8 ; 4-byte Folded Spill
	buffer_load_dword v38, off, s[36:39], 0 offset:12 ; 4-byte Folded Reload
	s_waitcnt vmcnt(0)
	v_add_f32_e32 v38, v38, v37
	buffer_store_dword v38, off, s[36:39], 0 offset:12 ; 4-byte Folded Spill
	s_andn2_b64 exec, exec, s[4:5]
	s_cbranch_execz .LBB34_55
.LBB34_31:                              ; =>This Inner Loop Header: Depth=1
	buffer_store_dword v5, off, s[36:39], 0 offset:76 ; 4-byte Folded Spill
	buffer_store_dword v21, off, s[36:39], 0 offset:60 ; 4-byte Folded Spill
	global_load_dword v1, v[53:54], off
	buffer_load_dword v3, off, s[36:39], 0 offset:92 ; 4-byte Folded Reload
	v_add_u32_e32 v61, -2, v56
	v_add_u32_e32 v59, -1, v56
	buffer_store_dword v11, off, s[36:39], 0 ; 4-byte Folded Spill
	s_waitcnt vmcnt(2)
	v_mad_i64_i32 v[1:2], s[0:1], v1, s13, 0
	v_cmp_eq_u32_e64 s[0:1], s14, v11
	v_lshlrev_b64 v[1:2], 2, v[1:2]
	s_waitcnt vmcnt(1)
	v_add_co_u32_e32 v41, vcc, v3, v1
	buffer_load_dword v1, off, s[36:39], 0 offset:108 ; 4-byte Folded Reload
	s_waitcnt vmcnt(0)
	v_addc_co_u32_e32 v42, vcc, v1, v2, vcc
	global_load_dwordx4 v[5:8], v[41:42], off
	ds_read_b128 v[1:4], v60
	s_and_saveexec_b64 s[6:7], s[0:1]
	s_cbranch_execnz .LBB34_52
; %bb.32:                               ;   in Loop: Header=BB34_31 Depth=1
	s_or_b64 exec, exec, s[6:7]
	global_load_dwordx4 v[9:12], v[41:42], off offset:1024
	s_and_saveexec_b64 s[6:7], s[0:1]
	s_cbranch_execnz .LBB34_53
.LBB34_33:                              ;   in Loop: Header=BB34_31 Depth=1
	s_or_b64 exec, exec, s[6:7]
	global_load_dwordx4 v[13:16], v[41:42], off offset:2048
	s_and_saveexec_b64 s[6:7], s[0:1]
	s_cbranch_execnz .LBB34_54
.LBB34_34:                              ;   in Loop: Header=BB34_31 Depth=1
	s_or_b64 exec, exec, s[6:7]
	global_load_dwordx4 v[17:20], v[41:42], off offset:3072
	s_and_saveexec_b64 s[6:7], s[0:1]
	s_cbranch_execz .LBB34_36
.LBB34_35:                              ;   in Loop: Header=BB34_31 Depth=1
	v_add_u32_e32 v21, -3, v56
	v_cmp_gt_i32_e32 vcc, s33, v21
	s_waitcnt vmcnt(0)
	v_cndmask_b32_e32 v17, 0, v17, vcc
	v_cmp_gt_i32_e32 vcc, s33, v61
	v_cndmask_b32_e32 v18, 0, v18, vcc
	v_cmp_gt_i32_e32 vcc, s33, v59
	;; [unrolled: 2-line block ×3, first 2 shown]
	v_cndmask_b32_e32 v20, 0, v20, vcc
.LBB34_36:                              ;   in Loop: Header=BB34_31 Depth=1
	s_or_b64 exec, exec, s[6:7]
	v_add_co_u32_e32 v21, vcc, 0x1000, v41
	v_addc_co_u32_e32 v22, vcc, 0, v42, vcc
	global_load_dwordx4 v[21:24], v[21:22], off
	s_and_saveexec_b64 s[6:7], s[0:1]
	s_cbranch_execz .LBB34_38
; %bb.37:                               ;   in Loop: Header=BB34_31 Depth=1
	v_add_u32_e32 v25, -3, v56
	v_cmp_gt_i32_e32 vcc, s33, v25
	s_waitcnt vmcnt(0)
	v_cndmask_b32_e32 v21, 0, v21, vcc
	v_cmp_gt_i32_e32 vcc, s33, v61
	v_cndmask_b32_e32 v22, 0, v22, vcc
	v_cmp_gt_i32_e32 vcc, s33, v59
	v_cndmask_b32_e32 v23, 0, v23, vcc
	v_cmp_gt_i32_e32 vcc, s33, v56
	v_cndmask_b32_e32 v24, 0, v24, vcc
.LBB34_38:                              ;   in Loop: Header=BB34_31 Depth=1
	s_or_b64 exec, exec, s[6:7]
	v_add_co_u32_e32 v25, vcc, 0x1000, v41
	v_addc_co_u32_e32 v26, vcc, 0, v42, vcc
	global_load_dwordx4 v[25:28], v[25:26], off offset:1024
	s_and_saveexec_b64 s[6:7], s[0:1]
	s_cbranch_execz .LBB34_40
; %bb.39:                               ;   in Loop: Header=BB34_31 Depth=1
	v_add_u32_e32 v29, -3, v56
	v_cmp_gt_i32_e32 vcc, s33, v29
	s_waitcnt vmcnt(0)
	v_cndmask_b32_e32 v25, 0, v25, vcc
	v_cmp_gt_i32_e32 vcc, s33, v61
	v_cndmask_b32_e32 v26, 0, v26, vcc
	v_cmp_gt_i32_e32 vcc, s33, v59
	v_cndmask_b32_e32 v27, 0, v27, vcc
	v_cmp_gt_i32_e32 vcc, s33, v56
	v_cndmask_b32_e32 v28, 0, v28, vcc
.LBB34_40:                              ;   in Loop: Header=BB34_31 Depth=1
	s_or_b64 exec, exec, s[6:7]
	v_add_co_u32_e32 v29, vcc, 0x1000, v41
	v_addc_co_u32_e32 v30, vcc, 0, v42, vcc
	global_load_dwordx4 v[29:32], v[29:30], off offset:2048
	;; [unrolled: 18-line block ×3, first 2 shown]
	s_and_saveexec_b64 s[6:7], s[0:1]
	s_cbranch_execz .LBB34_44
; %bb.43:                               ;   in Loop: Header=BB34_31 Depth=1
	v_add_u32_e32 v37, -3, v56
	v_cmp_gt_i32_e32 vcc, s33, v37
	s_waitcnt vmcnt(0)
	v_cndmask_b32_e32 v33, 0, v33, vcc
	v_cmp_gt_i32_e32 vcc, s33, v61
	v_cndmask_b32_e32 v34, 0, v34, vcc
	v_cmp_gt_i32_e32 vcc, s33, v59
	;; [unrolled: 2-line block ×3, first 2 shown]
	v_cndmask_b32_e32 v36, 0, v36, vcc
.LBB34_44:                              ;   in Loop: Header=BB34_31 Depth=1
	s_or_b64 exec, exec, s[6:7]
	v_add_co_u32_e32 v37, vcc, 0x2000, v41
	v_addc_co_u32_e32 v38, vcc, 0, v42, vcc
	global_load_dwordx4 v[37:40], v[37:38], off
	s_and_saveexec_b64 s[6:7], s[0:1]
	s_cbranch_execz .LBB34_46
; %bb.45:                               ;   in Loop: Header=BB34_31 Depth=1
	v_add_u32_e32 v43, -3, v56
	v_cmp_gt_i32_e32 vcc, s33, v43
	s_waitcnt vmcnt(0)
	v_cndmask_b32_e32 v37, 0, v37, vcc
	v_cmp_gt_i32_e32 vcc, s33, v61
	v_cndmask_b32_e32 v38, 0, v38, vcc
	v_cmp_gt_i32_e32 vcc, s33, v59
	v_cndmask_b32_e32 v39, 0, v39, vcc
	v_cmp_gt_i32_e32 vcc, s33, v56
	v_cndmask_b32_e32 v40, 0, v40, vcc
.LBB34_46:                              ;   in Loop: Header=BB34_31 Depth=1
	s_or_b64 exec, exec, s[6:7]
	v_add_co_u32_e32 v43, vcc, 0x2000, v41
	v_addc_co_u32_e32 v44, vcc, 0, v42, vcc
	global_load_dwordx4 v[45:48], v[43:44], off offset:1024
	s_and_saveexec_b64 s[6:7], s[0:1]
	s_cbranch_execz .LBB34_48
; %bb.47:                               ;   in Loop: Header=BB34_31 Depth=1
	v_add_u32_e32 v43, -3, v56
	v_cmp_gt_i32_e32 vcc, s33, v43
	s_waitcnt vmcnt(0)
	v_cndmask_b32_e32 v45, 0, v45, vcc
	v_cmp_gt_i32_e32 vcc, s33, v61
	v_cndmask_b32_e32 v46, 0, v46, vcc
	v_cmp_gt_i32_e32 vcc, s33, v59
	v_cndmask_b32_e32 v47, 0, v47, vcc
	v_cmp_gt_i32_e32 vcc, s33, v56
	v_cndmask_b32_e32 v48, 0, v48, vcc
.LBB34_48:                              ;   in Loop: Header=BB34_31 Depth=1
	s_or_b64 exec, exec, s[6:7]
	v_add_co_u32_e32 v43, vcc, 0x2000, v41
	v_addc_co_u32_e32 v44, vcc, 0, v42, vcc
	global_load_dwordx4 v[49:52], v[43:44], off offset:2048
	;; [unrolled: 18-line block ×3, first 2 shown]
	s_and_saveexec_b64 s[6:7], s[0:1]
	s_cbranch_execz .LBB34_30
; %bb.51:                               ;   in Loop: Header=BB34_31 Depth=1
	v_add_u32_e32 v55, -3, v56
	v_cmp_gt_i32_e32 vcc, s33, v55
	s_waitcnt vmcnt(0)
	v_cndmask_b32_e32 v41, 0, v41, vcc
	v_cmp_gt_i32_e32 vcc, s33, v61
	v_cndmask_b32_e32 v42, 0, v42, vcc
	v_cmp_gt_i32_e32 vcc, s33, v59
	;; [unrolled: 2-line block ×3, first 2 shown]
	v_cndmask_b32_e32 v44, 0, v44, vcc
	s_branch .LBB34_30
.LBB34_52:                              ;   in Loop: Header=BB34_31 Depth=1
	v_add_u32_e32 v9, -3, v56
	v_cmp_gt_i32_e32 vcc, s33, v9
	s_waitcnt vmcnt(0)
	v_cndmask_b32_e32 v5, 0, v5, vcc
	v_cmp_gt_i32_e32 vcc, s33, v61
	v_cndmask_b32_e32 v6, 0, v6, vcc
	v_cmp_gt_i32_e32 vcc, s33, v59
	;; [unrolled: 2-line block ×3, first 2 shown]
	v_cndmask_b32_e32 v8, 0, v8, vcc
	s_or_b64 exec, exec, s[6:7]
	global_load_dwordx4 v[9:12], v[41:42], off offset:1024
	s_and_saveexec_b64 s[6:7], s[0:1]
	s_cbranch_execz .LBB34_33
.LBB34_53:                              ;   in Loop: Header=BB34_31 Depth=1
	v_add_u32_e32 v13, -3, v56
	v_cmp_gt_i32_e32 vcc, s33, v13
	s_waitcnt vmcnt(0)
	v_cndmask_b32_e32 v9, 0, v9, vcc
	v_cmp_gt_i32_e32 vcc, s33, v61
	v_cndmask_b32_e32 v10, 0, v10, vcc
	v_cmp_gt_i32_e32 vcc, s33, v59
	;; [unrolled: 2-line block ×3, first 2 shown]
	v_cndmask_b32_e32 v12, 0, v12, vcc
	s_or_b64 exec, exec, s[6:7]
	global_load_dwordx4 v[13:16], v[41:42], off offset:2048
	s_and_saveexec_b64 s[6:7], s[0:1]
	s_cbranch_execz .LBB34_34
.LBB34_54:                              ;   in Loop: Header=BB34_31 Depth=1
	v_add_u32_e32 v17, -3, v56
	v_cmp_gt_i32_e32 vcc, s33, v17
	s_waitcnt vmcnt(0)
	v_cndmask_b32_e32 v13, 0, v13, vcc
	v_cmp_gt_i32_e32 vcc, s33, v61
	v_cndmask_b32_e32 v14, 0, v14, vcc
	v_cmp_gt_i32_e32 vcc, s33, v59
	;; [unrolled: 2-line block ×3, first 2 shown]
	v_cndmask_b32_e32 v16, 0, v16, vcc
	s_or_b64 exec, exec, s[6:7]
	global_load_dwordx4 v[17:20], v[41:42], off offset:3072
	s_and_saveexec_b64 s[6:7], s[0:1]
	s_cbranch_execnz .LBB34_35
	s_branch .LBB34_36
.LBB34_55:
	s_or_b64 exec, exec, s[4:5]
	buffer_load_dword v18, off, s[36:39], 0 offset:196 ; 4-byte Folded Reload
	buffer_load_dword v19, off, s[36:39], 0 offset:200 ; 4-byte Folded Reload
	;; [unrolled: 1-line block ×10, first 2 shown]
.LBB34_56:
	s_or_b64 exec, exec, s[2:3]
	s_waitcnt vmcnt(5)
	ds_bpermute_b32 v1, v13, v5
	ds_bpermute_b32 v3, v13, v0
	;; [unrolled: 1-line block ×4, first 2 shown]
	s_waitcnt vmcnt(1)
	ds_bpermute_b32 v11, v13, v14
	s_waitcnt lgkmcnt(4)
	v_add_f32_e32 v1, v5, v1
	s_waitcnt lgkmcnt(3)
	v_add_f32_e32 v3, v0, v3
	ds_bpermute_b32 v5, v17, v1
	ds_bpermute_b32 v7, v17, v3
	s_waitcnt lgkmcnt(4)
	v_add_f32_e32 v2, v57, v2
	s_waitcnt lgkmcnt(3)
	v_add_f32_e32 v4, v63, v4
	ds_bpermute_b32 v6, v17, v2
	s_waitcnt lgkmcnt(2)
	v_add_f32_e32 v1, v1, v5
	ds_bpermute_b32 v5, v17, v4
	;; [unrolled: 3-line block ×4, first 2 shown]
	s_waitcnt lgkmcnt(2)
	v_add_f32_e32 v4, v4, v5
	s_waitcnt vmcnt(0)
	ds_bpermute_b32 v5, v13, v60
	s_waitcnt lgkmcnt(2)
	v_add_f32_e32 v7, v58, v7
	ds_bpermute_b32 v8, v17, v7
	s_waitcnt lgkmcnt(2)
	v_add_f32_e32 v0, v62, v6
	;; [unrolled: 3-line block ×5, first 2 shown]
	v_add_f32_e32 v8, v14, v11
	s_waitcnt lgkmcnt(1)
	v_add_f32_e32 v6, v9, v10
	ds_bpermute_b32 v10, v13, v16
	s_waitcnt lgkmcnt(1)
	v_add_f32_e32 v11, v23, v7
	ds_bpermute_b32 v7, v13, v15
	ds_bpermute_b32 v13, v13, v21
	;; [unrolled: 1-line block ×4, first 2 shown]
	s_waitcnt lgkmcnt(4)
	v_add_f32_e32 v10, v16, v10
	s_waitcnt lgkmcnt(3)
	v_add_f32_e32 v15, v15, v7
	;; [unrolled: 2-line block ×3, first 2 shown]
	ds_bpermute_b32 v14, v17, v10
	ds_bpermute_b32 v16, v17, v15
	;; [unrolled: 1-line block ×3, first 2 shown]
	s_waitcnt lgkmcnt(4)
	v_add_f32_e32 v7, v8, v9
	s_waitcnt lgkmcnt(3)
	v_add_f32_e32 v8, v11, v12
	v_and_b32_e32 v12, 0x3c3, v18
	s_waitcnt lgkmcnt(2)
	v_add_f32_e32 v9, v10, v14
	s_waitcnt lgkmcnt(1)
	v_add_f32_e32 v10, v15, v16
	;; [unrolled: 2-line block ×3, first 2 shown]
	v_cmp_eq_u32_e32 vcc, 64, v12
	s_barrier
	s_and_saveexec_b64 s[0:1], vcc
	s_cbranch_execz .LBB34_58
; %bb.57:
	v_add_u32_e32 v13, 0x310, v20
	ds_write2_b32 v13, v1, v2 offset1:16
	ds_write2_b32 v13, v3, v4 offset0:32 offset1:48
	ds_write2_b32 v13, v0, v5 offset0:64 offset1:80
	;; [unrolled: 1-line block ×5, first 2 shown]
.LBB34_58:
	s_or_b64 exec, exec, s[0:1]
	v_cmp_gt_u32_e32 vcc, 64, v18
	s_waitcnt lgkmcnt(0)
	s_barrier
	s_and_saveexec_b64 s[0:1], vcc
	s_cbranch_execz .LBB34_73
; %bb.59:
	buffer_load_dword v14, off, s[36:39], 0 offset:208 ; 4-byte Folded Reload
	v_mov_b32_e32 v13, 0x310
	v_cmp_eq_u32_e32 vcc, 0, v19
	s_waitcnt vmcnt(0)
	v_lshl_add_u32 v13, v14, 2, v13
	s_and_saveexec_b64 s[2:3], vcc
	s_cbranch_execnz .LBB34_76
; %bb.60:
	s_or_b64 exec, exec, s[2:3]
	s_and_saveexec_b64 s[2:3], vcc
	s_cbranch_execnz .LBB34_77
.LBB34_61:
	s_or_b64 exec, exec, s[2:3]
	s_and_saveexec_b64 s[2:3], vcc
	s_cbranch_execnz .LBB34_78
.LBB34_62:
	s_or_b64 exec, exec, s[2:3]
	s_and_saveexec_b64 s[2:3], vcc
	s_cbranch_execnz .LBB34_79
.LBB34_63:
	s_or_b64 exec, exec, s[2:3]
	s_and_saveexec_b64 s[2:3], vcc
	s_cbranch_execnz .LBB34_80
.LBB34_64:
	s_or_b64 exec, exec, s[2:3]
	s_and_saveexec_b64 s[2:3], vcc
	s_cbranch_execnz .LBB34_81
.LBB34_65:
	s_or_b64 exec, exec, s[2:3]
	s_and_saveexec_b64 s[2:3], vcc
	s_cbranch_execnz .LBB34_82
.LBB34_66:
	s_or_b64 exec, exec, s[2:3]
	s_and_saveexec_b64 s[2:3], vcc
	s_cbranch_execnz .LBB34_83
.LBB34_67:
	s_or_b64 exec, exec, s[2:3]
	s_and_saveexec_b64 s[2:3], vcc
	s_cbranch_execnz .LBB34_84
.LBB34_68:
	s_or_b64 exec, exec, s[2:3]
	s_and_saveexec_b64 s[2:3], vcc
	s_cbranch_execnz .LBB34_85
.LBB34_69:
	s_or_b64 exec, exec, s[2:3]
	s_and_saveexec_b64 s[2:3], vcc
	s_cbranch_execnz .LBB34_86
.LBB34_70:
	s_or_b64 exec, exec, s[2:3]
	s_and_saveexec_b64 s[2:3], vcc
	s_cbranch_execz .LBB34_72
.LBB34_71:
	ds_read_b32 v13, v13 offset:704
	s_waitcnt lgkmcnt(0)
	v_add_f32_e32 v11, v11, v13
.LBB34_72:
	s_or_b64 exec, exec, s[2:3]
.LBB34_73:
	s_or_b64 exec, exec, s[0:1]
	v_cmp_eq_u32_e32 vcc, 0, v12
	s_barrier
	s_and_saveexec_b64 s[0:1], vcc
	s_cbranch_execz .LBB34_75
; %bb.74:
	buffer_load_dword v12, off, s[36:39], 0 offset:204 ; 4-byte Folded Reload
	s_mul_i32 s0, s10, s11
	s_mul_i32 s0, s0, s9
	s_mulk_i32 s0, 0xc0
	s_ashr_i32 s1, s0, 31
	s_lshl_b64 s[0:1], s[0:1], 2
	s_add_u32 s2, s18, s0
	s_mul_i32 s0, s11, s16
	s_addc_u32 s3, s19, s1
	s_ashr_i32 s1, s0, 31
	s_lshl_b64 s[0:1], s[0:1], 2
	s_add_u32 s2, s2, s0
	s_mul_i32 s0, s8, 0xc0
	s_addc_u32 s3, s3, s1
	s_ashr_i32 s1, s0, 31
	s_lshl_b64 s[0:1], s[0:1], 2
	s_add_u32 s0, s2, s0
	s_addc_u32 s1, s3, s1
	s_waitcnt vmcnt(0)
	global_store_dword v12, v1, s[0:1]
	global_store_dword v12, v2, s[0:1] offset:64
	global_store_dword v12, v3, s[0:1] offset:128
	;; [unrolled: 1-line block ×11, first 2 shown]
.LBB34_75:
	s_endpgm
.LBB34_76:
	ds_read_b32 v14, v13
	s_waitcnt lgkmcnt(0)
	v_add_f32_e32 v1, v1, v14
	s_or_b64 exec, exec, s[2:3]
	s_and_saveexec_b64 s[2:3], vcc
	s_cbranch_execz .LBB34_61
.LBB34_77:
	ds_read_b32 v14, v13 offset:64
	s_waitcnt lgkmcnt(0)
	v_add_f32_e32 v2, v2, v14
	s_or_b64 exec, exec, s[2:3]
	s_and_saveexec_b64 s[2:3], vcc
	s_cbranch_execz .LBB34_62
.LBB34_78:
	ds_read_b32 v14, v13 offset:128
	s_waitcnt lgkmcnt(0)
	v_add_f32_e32 v3, v3, v14
	s_or_b64 exec, exec, s[2:3]
	s_and_saveexec_b64 s[2:3], vcc
	s_cbranch_execz .LBB34_63
.LBB34_79:
	ds_read_b32 v14, v13 offset:192
	s_waitcnt lgkmcnt(0)
	v_add_f32_e32 v4, v4, v14
	s_or_b64 exec, exec, s[2:3]
	s_and_saveexec_b64 s[2:3], vcc
	s_cbranch_execz .LBB34_64
.LBB34_80:
	ds_read_b32 v14, v13 offset:256
	s_waitcnt lgkmcnt(0)
	v_add_f32_e32 v0, v0, v14
	s_or_b64 exec, exec, s[2:3]
	s_and_saveexec_b64 s[2:3], vcc
	s_cbranch_execz .LBB34_65
.LBB34_81:
	ds_read_b32 v14, v13 offset:320
	s_waitcnt lgkmcnt(0)
	v_add_f32_e32 v5, v5, v14
	s_or_b64 exec, exec, s[2:3]
	s_and_saveexec_b64 s[2:3], vcc
	s_cbranch_execz .LBB34_66
.LBB34_82:
	ds_read_b32 v14, v13 offset:384
	s_waitcnt lgkmcnt(0)
	v_add_f32_e32 v6, v6, v14
	s_or_b64 exec, exec, s[2:3]
	s_and_saveexec_b64 s[2:3], vcc
	s_cbranch_execz .LBB34_67
.LBB34_83:
	ds_read_b32 v14, v13 offset:448
	s_waitcnt lgkmcnt(0)
	v_add_f32_e32 v7, v7, v14
	s_or_b64 exec, exec, s[2:3]
	s_and_saveexec_b64 s[2:3], vcc
	s_cbranch_execz .LBB34_68
.LBB34_84:
	ds_read_b32 v14, v13 offset:512
	s_waitcnt lgkmcnt(0)
	v_add_f32_e32 v8, v8, v14
	s_or_b64 exec, exec, s[2:3]
	s_and_saveexec_b64 s[2:3], vcc
	s_cbranch_execz .LBB34_69
.LBB34_85:
	ds_read_b32 v14, v13 offset:576
	s_waitcnt lgkmcnt(0)
	v_add_f32_e32 v9, v9, v14
	s_or_b64 exec, exec, s[2:3]
	s_and_saveexec_b64 s[2:3], vcc
	s_cbranch_execz .LBB34_70
.LBB34_86:
	ds_read_b32 v14, v13 offset:640
	s_waitcnt lgkmcnt(0)
	v_add_f32_e32 v10, v10, v14
	s_or_b64 exec, exec, s[2:3]
	s_and_saveexec_b64 s[2:3], vcc
	s_cbranch_execnz .LBB34_71
	s_branch .LBB34_72
	.section	.rodata,"a",@progbits
	.p2align	6, 0x0
	.amdhsa_kernel _ZN4vllm25paged_attention_v1_kernelIffLi192ELi16ELi128ELNS_18Fp8KVCacheDataTypeE0ELb0EEEvPT_PKS2_PKT0_S8_ifPKiSA_iPKfiiiSC_SC_iiiii
		.amdhsa_group_segment_fixed_size 784
		.amdhsa_private_segment_fixed_size 232
		.amdhsa_kernarg_size 384
		.amdhsa_user_sgpr_count 6
		.amdhsa_user_sgpr_private_segment_buffer 1
		.amdhsa_user_sgpr_dispatch_ptr 0
		.amdhsa_user_sgpr_queue_ptr 0
		.amdhsa_user_sgpr_kernarg_segment_ptr 1
		.amdhsa_user_sgpr_dispatch_id 0
		.amdhsa_user_sgpr_flat_scratch_init 0
		.amdhsa_user_sgpr_private_segment_size 0
		.amdhsa_uses_dynamic_stack 0
		.amdhsa_system_sgpr_private_segment_wavefront_offset 1
		.amdhsa_system_sgpr_workgroup_id_x 1
		.amdhsa_system_sgpr_workgroup_id_y 1
		.amdhsa_system_sgpr_workgroup_id_z 1
		.amdhsa_system_sgpr_workgroup_info 0
		.amdhsa_system_vgpr_workitem_id 0
		.amdhsa_next_free_vgpr 64
		.amdhsa_next_free_sgpr 40
		.amdhsa_reserve_vcc 1
		.amdhsa_reserve_flat_scratch 0
		.amdhsa_float_round_mode_32 0
		.amdhsa_float_round_mode_16_64 0
		.amdhsa_float_denorm_mode_32 3
		.amdhsa_float_denorm_mode_16_64 3
		.amdhsa_dx10_clamp 1
		.amdhsa_ieee_mode 1
		.amdhsa_fp16_overflow 0
		.amdhsa_exception_fp_ieee_invalid_op 0
		.amdhsa_exception_fp_denorm_src 0
		.amdhsa_exception_fp_ieee_div_zero 0
		.amdhsa_exception_fp_ieee_overflow 0
		.amdhsa_exception_fp_ieee_underflow 0
		.amdhsa_exception_fp_ieee_inexact 0
		.amdhsa_exception_int_div_zero 0
	.end_amdhsa_kernel
	.section	.text._ZN4vllm25paged_attention_v1_kernelIffLi192ELi16ELi128ELNS_18Fp8KVCacheDataTypeE0ELb0EEEvPT_PKS2_PKT0_S8_ifPKiSA_iPKfiiiSC_SC_iiiii,"axG",@progbits,_ZN4vllm25paged_attention_v1_kernelIffLi192ELi16ELi128ELNS_18Fp8KVCacheDataTypeE0ELb0EEEvPT_PKS2_PKT0_S8_ifPKiSA_iPKfiiiSC_SC_iiiii,comdat
.Lfunc_end34:
	.size	_ZN4vllm25paged_attention_v1_kernelIffLi192ELi16ELi128ELNS_18Fp8KVCacheDataTypeE0ELb0EEEvPT_PKS2_PKT0_S8_ifPKiSA_iPKfiiiSC_SC_iiiii, .Lfunc_end34-_ZN4vllm25paged_attention_v1_kernelIffLi192ELi16ELi128ELNS_18Fp8KVCacheDataTypeE0ELb0EEEvPT_PKS2_PKT0_S8_ifPKiSA_iPKfiiiSC_SC_iiiii
                                        ; -- End function
	.set _ZN4vllm25paged_attention_v1_kernelIffLi192ELi16ELi128ELNS_18Fp8KVCacheDataTypeE0ELb0EEEvPT_PKS2_PKT0_S8_ifPKiSA_iPKfiiiSC_SC_iiiii.num_vgpr, 64
	.set _ZN4vllm25paged_attention_v1_kernelIffLi192ELi16ELi128ELNS_18Fp8KVCacheDataTypeE0ELb0EEEvPT_PKS2_PKT0_S8_ifPKiSA_iPKfiiiSC_SC_iiiii.num_agpr, 0
	.set _ZN4vllm25paged_attention_v1_kernelIffLi192ELi16ELi128ELNS_18Fp8KVCacheDataTypeE0ELb0EEEvPT_PKS2_PKT0_S8_ifPKiSA_iPKfiiiSC_SC_iiiii.numbered_sgpr, 40
	.set _ZN4vllm25paged_attention_v1_kernelIffLi192ELi16ELi128ELNS_18Fp8KVCacheDataTypeE0ELb0EEEvPT_PKS2_PKT0_S8_ifPKiSA_iPKfiiiSC_SC_iiiii.num_named_barrier, 0
	.set _ZN4vllm25paged_attention_v1_kernelIffLi192ELi16ELi128ELNS_18Fp8KVCacheDataTypeE0ELb0EEEvPT_PKS2_PKT0_S8_ifPKiSA_iPKfiiiSC_SC_iiiii.private_seg_size, 232
	.set _ZN4vllm25paged_attention_v1_kernelIffLi192ELi16ELi128ELNS_18Fp8KVCacheDataTypeE0ELb0EEEvPT_PKS2_PKT0_S8_ifPKiSA_iPKfiiiSC_SC_iiiii.uses_vcc, 1
	.set _ZN4vllm25paged_attention_v1_kernelIffLi192ELi16ELi128ELNS_18Fp8KVCacheDataTypeE0ELb0EEEvPT_PKS2_PKT0_S8_ifPKiSA_iPKfiiiSC_SC_iiiii.uses_flat_scratch, 0
	.set _ZN4vllm25paged_attention_v1_kernelIffLi192ELi16ELi128ELNS_18Fp8KVCacheDataTypeE0ELb0EEEvPT_PKS2_PKT0_S8_ifPKiSA_iPKfiiiSC_SC_iiiii.has_dyn_sized_stack, 0
	.set _ZN4vllm25paged_attention_v1_kernelIffLi192ELi16ELi128ELNS_18Fp8KVCacheDataTypeE0ELb0EEEvPT_PKS2_PKT0_S8_ifPKiSA_iPKfiiiSC_SC_iiiii.has_recursion, 0
	.set _ZN4vllm25paged_attention_v1_kernelIffLi192ELi16ELi128ELNS_18Fp8KVCacheDataTypeE0ELb0EEEvPT_PKS2_PKT0_S8_ifPKiSA_iPKfiiiSC_SC_iiiii.has_indirect_call, 0
	.section	.AMDGPU.csdata,"",@progbits
; Kernel info:
; codeLenInByte = 6860
; TotalNumSgprs: 44
; NumVgprs: 64
; ScratchSize: 232
; MemoryBound: 0
; FloatMode: 240
; IeeeMode: 1
; LDSByteSize: 784 bytes/workgroup (compile time only)
; SGPRBlocks: 5
; VGPRBlocks: 15
; NumSGPRsForWavesPerEU: 44
; NumVGPRsForWavesPerEU: 64
; Occupancy: 4
; WaveLimiterHint : 1
; COMPUTE_PGM_RSRC2:SCRATCH_EN: 1
; COMPUTE_PGM_RSRC2:USER_SGPR: 6
; COMPUTE_PGM_RSRC2:TRAP_HANDLER: 0
; COMPUTE_PGM_RSRC2:TGID_X_EN: 1
; COMPUTE_PGM_RSRC2:TGID_Y_EN: 1
; COMPUTE_PGM_RSRC2:TGID_Z_EN: 1
; COMPUTE_PGM_RSRC2:TIDIG_COMP_CNT: 0
	.section	.text._ZN4vllm25paged_attention_v1_kernelIffLi256ELi16ELi128ELNS_18Fp8KVCacheDataTypeE0ELb0EEEvPT_PKS2_PKT0_S8_ifPKiSA_iPKfiiiSC_SC_iiiii,"axG",@progbits,_ZN4vllm25paged_attention_v1_kernelIffLi256ELi16ELi128ELNS_18Fp8KVCacheDataTypeE0ELb0EEEvPT_PKS2_PKT0_S8_ifPKiSA_iPKfiiiSC_SC_iiiii,comdat
	.protected	_ZN4vllm25paged_attention_v1_kernelIffLi256ELi16ELi128ELNS_18Fp8KVCacheDataTypeE0ELb0EEEvPT_PKS2_PKT0_S8_ifPKiSA_iPKfiiiSC_SC_iiiii ; -- Begin function _ZN4vllm25paged_attention_v1_kernelIffLi256ELi16ELi128ELNS_18Fp8KVCacheDataTypeE0ELb0EEEvPT_PKS2_PKT0_S8_ifPKiSA_iPKfiiiSC_SC_iiiii
	.globl	_ZN4vllm25paged_attention_v1_kernelIffLi256ELi16ELi128ELNS_18Fp8KVCacheDataTypeE0ELb0EEEvPT_PKS2_PKT0_S8_ifPKiSA_iPKfiiiSC_SC_iiiii
	.p2align	8
	.type	_ZN4vllm25paged_attention_v1_kernelIffLi256ELi16ELi128ELNS_18Fp8KVCacheDataTypeE0ELb0EEEvPT_PKS2_PKT0_S8_ifPKiSA_iPKfiiiSC_SC_iiiii,@function
_ZN4vllm25paged_attention_v1_kernelIffLi256ELi16ELi128ELNS_18Fp8KVCacheDataTypeE0ELb0EEEvPT_PKS2_PKT0_S8_ifPKiSA_iPKfiiiSC_SC_iiiii: ; @_ZN4vllm25paged_attention_v1_kernelIffLi256ELi16ELi128ELNS_18Fp8KVCacheDataTypeE0ELb0EEEvPT_PKS2_PKT0_S8_ifPKiSA_iPKfiiiSC_SC_iiiii
; %bb.0:
	s_mov_b64 s[42:43], s[2:3]
	s_mov_b64 s[40:41], s[0:1]
	s_add_u32 s40, s40, s9
	s_load_dword s9, s[4:5], 0x80
	s_load_dwordx2 s[0:1], s[4:5], 0x30
	s_load_dwordx2 s[26:27], s[4:5], 0x20
	s_addc_u32 s41, s41, 0
	s_mov_b32 s10, s7
	s_ashr_i32 s11, s7, 31
	s_lshl_b64 s[2:3], s[10:11], 2
	s_waitcnt lgkmcnt(0)
	s_add_u32 s0, s0, s2
	s_addc_u32 s1, s1, s3
	s_abs_i32 s2, s26
	v_mov_b32_e32 v22, v0
	v_cvt_f32_u32_e32 v0, s2
	s_sub_i32 s11, 0, s2
	s_abs_i32 s7, s9
	s_xor_b32 s3, s9, s26
	v_rcp_iflag_f32_e32 v0, v0
	s_ashr_i32 s3, s3, 31
	s_mov_b32 s26, 0
	v_mul_f32_e32 v0, 0x4f7ffffe, v0
	v_cvt_u32_f32_e32 v0, v0
	v_readfirstlane_b32 s12, v0
	s_mul_i32 s11, s11, s12
	s_mul_hi_u32 s11, s12, s11
	s_add_i32 s12, s12, s11
	s_mul_hi_u32 s11, s7, s12
	s_mul_i32 s12, s11, s2
	s_sub_i32 s7, s7, s12
	s_add_i32 s12, s11, 1
	s_sub_i32 s13, s7, s2
	s_cmp_ge_u32 s7, s2
	s_cselect_b32 s11, s12, s11
	s_cselect_b32 s7, s13, s7
	s_add_i32 s12, s11, 1
	s_cmp_ge_u32 s7, s2
	s_cselect_b32 s2, s12, s11
	s_xor_b32 s2, s2, s3
	s_sub_i32 s11, s2, s3
	s_abs_i32 s18, s11
	v_cvt_f32_u32_e32 v0, s18
	s_load_dwordx2 s[2:3], s[4:5], 0x40
	s_sub_i32 s7, 0, s18
	s_abs_i32 s19, s6
	v_rcp_iflag_f32_e32 v0, v0
	v_mul_f32_e32 v0, 0x4f7ffffe, v0
	v_cvt_u32_f32_e32 v0, v0
	v_readfirstlane_b32 s12, v0
	s_mul_i32 s7, s7, s12
	s_mul_hi_u32 s7, s12, s7
	s_add_i32 s12, s12, s7
	s_waitcnt lgkmcnt(0)
	s_cmp_eq_u64 s[2:3], 0
	s_mul_hi_u32 s22, s19, s12
	s_cbranch_scc1 .LBB35_2
; %bb.1:
	s_ashr_i32 s7, s6, 31
	s_lshl_b64 s[12:13], s[6:7], 2
	s_add_u32 s2, s2, s12
	s_addc_u32 s3, s3, s13
	s_load_dword s26, s[2:3], 0x0
.LBB35_2:
	s_load_dword s33, s[0:1], 0x0
	s_ashr_i32 s23, s11, 31
	s_load_dword s11, s[4:5], 0x88
	s_load_dwordx4 s[12:15], s[4:5], 0x48
	v_lshrrev_b32_e32 v4, 2, v22
	s_movk_i32 s0, 0x100
	s_ashr_i32 s7, s6, 31
	v_and_b32_e32 v24, 3, v22
	s_lshl_b32 s16, s6, 8
	v_cmp_gt_u32_e32 vcc, s0, v22
	v_lshlrev_b32_e32 v12, 2, v22
	v_lshlrev_b32_e32 v3, 2, v4
	s_and_saveexec_b64 s[0:1], vcc
	s_cbranch_execz .LBB35_5
; %bb.3:
	s_load_dwordx2 s[2:3], s[4:5], 0x8
	s_waitcnt lgkmcnt(0)
	s_mul_i32 s20, s12, s10
	s_ashr_i32 s21, s20, 31
	s_lshl_b64 s[20:21], s[20:21], 2
	v_lshl_add_u32 v0, v24, 8, v3
	s_add_u32 s6, s2, s20
	s_addc_u32 s12, s3, s21
	s_ashr_i32 s17, s16, 31
	s_lshl_b64 s[2:3], s[16:17], 2
	s_add_u32 s2, s6, s2
	s_addc_u32 s3, s12, s3
	global_load_dword v1, v12, s[2:3]
	s_movk_i32 s6, 0x80
	v_cmp_gt_u32_e32 vcc, s6, v22
	s_waitcnt vmcnt(0)
	ds_write_b32 v0, v1
	s_and_b64 exec, exec, vcc
	s_cbranch_execz .LBB35_5
; %bb.4:
	v_lshlrev_b32_e32 v1, 4, v4
	v_lshlrev_b32_e32 v2, 2, v24
	s_movk_i32 s6, 0x200
	v_or3_b32 v1, v1, v2, s6
	global_load_dword v1, v1, s[2:3]
	s_waitcnt vmcnt(0)
	ds_write_b32 v0, v1 offset:128
.LBB35_5:
	s_or_b64 exec, exec, s[0:1]
	s_waitcnt lgkmcnt(0)
	s_add_i32 s1, s33, 15
	s_ashr_i32 s2, s1, 31
	s_lshr_b32 s2, s2, 28
	s_add_i32 s1, s1, s2
	s_mul_i32 s2, s22, s18
	s_sub_i32 s2, s19, s2
	s_ashr_i32 s12, s1, 4
	s_xor_b32 s1, s7, s23
	s_add_i32 s3, s22, 1
	s_sub_i32 s6, s2, s18
	s_load_dwordx2 s[20:21], s[4:5], 0x28
	s_load_dword s0, s[4:5], 0x38
	s_cmp_ge_u32 s2, s18
	s_cselect_b32 s3, s3, s22
	s_cselect_b32 s2, s6, s2
	s_add_i32 s6, s3, 1
	s_cmp_ge_u32 s2, s18
	s_cselect_b32 s2, s6, s3
	v_lshrrev_b32_e32 v9, 6, v22
	s_xor_b32 s2, s2, s1
	s_waitcnt lgkmcnt(0)
	s_mul_i32 s22, s0, s10
	s_sub_i32 s15, s2, s1
	s_ashr_i32 s23, s22, 31
	v_cmp_gt_i32_e64 s[0:1], s12, v9
	v_cmp_le_i32_e32 vcc, s12, v9
	v_mbcnt_lo_u32_b32 v0, -1, 0
	s_barrier
                                        ; implicit-def: $vgpr14
                                        ; implicit-def: $vgpr8
                                        ; implicit-def: $vgpr15
	s_and_saveexec_b64 s[2:3], vcc
	s_xor_b64 s[2:3], exec, s[2:3]
; %bb.6:
	v_mbcnt_hi_u32_b32 v14, -1, v0
	v_and_b32_e32 v8, 64, v14
	v_add_u32_e32 v15, 64, v8
                                        ; implicit-def: $vgpr0
; %bb.7:
	s_or_saveexec_b64 s[6:7], s[2:3]
	buffer_store_dword v4, off, s[40:43], 0 offset:368 ; 4-byte Folded Spill
	buffer_store_dword v3, off, s[40:43], 0 offset:364 ; 4-byte Folded Spill
	s_load_dwordx2 s[18:19], s[4:5], 0x0
	s_load_dwordx2 s[24:25], s[4:5], 0x18
	v_mov_b32_e32 v28, 0xff7fffff
	s_mul_i32 s14, s15, s14
	v_lshrrev_b32_e32 v13, 4, v22
	buffer_store_dword v22, off, s[40:43], 0 offset:356 ; 4-byte Folded Spill
	buffer_store_dword v24, off, s[40:43], 0 offset:360 ; 4-byte Folded Spill
	s_xor_b64 exec, exec, s[6:7]
	s_cbranch_execz .LBB35_13
; %bb.8:
	s_load_dwordx2 s[2:3], s[4:5], 0x10
	s_ashr_i32 s15, s14, 31
	s_lshl_b64 s[4:5], s[14:15], 2
	v_bfe_u32 v5, v22, 2, 4
	v_lshlrev_b32_e32 v1, 4, v5
	s_waitcnt lgkmcnt(0)
	s_add_u32 s2, s2, s4
	s_addc_u32 s3, s3, s5
	v_add_co_u32_e32 v1, vcc, s2, v1
	v_mov_b32_e32 v2, s3
	v_addc_co_u32_e32 v2, vcc, 0, v2, vcc
	v_lshlrev_b32_e32 v3, 2, v24
	v_add_co_u32_e32 v1, vcc, v1, v3
	buffer_store_dword v1, off, s[40:43], 0 offset:352 ; 4-byte Folded Spill
	v_addc_co_u32_e32 v1, vcc, 0, v2, vcc
	buffer_store_dword v1, off, s[40:43], 0 offset:228 ; 4-byte Folded Spill
	v_lshlrev_b32_e32 v1, 8, v24
	ds_read_b128 v[14:17], v1
	buffer_store_dword v12, off, s[40:43], 0 offset:372 ; 4-byte Folded Spill
	s_waitcnt lgkmcnt(0)
	buffer_store_dword v14, off, s[40:43], 0 offset:232 ; 4-byte Folded Spill
	s_nop 0
	buffer_store_dword v15, off, s[40:43], 0 offset:236 ; 4-byte Folded Spill
	buffer_store_dword v16, off, s[40:43], 0 offset:240 ; 4-byte Folded Spill
	buffer_store_dword v17, off, s[40:43], 0 offset:244 ; 4-byte Folded Spill
	ds_read_b128 v[14:17], v1 offset:16
	s_waitcnt lgkmcnt(0)
	buffer_store_dword v14, off, s[40:43], 0 offset:248 ; 4-byte Folded Spill
	s_nop 0
	buffer_store_dword v15, off, s[40:43], 0 offset:252 ; 4-byte Folded Spill
	buffer_store_dword v16, off, s[40:43], 0 offset:256 ; 4-byte Folded Spill
	buffer_store_dword v17, off, s[40:43], 0 offset:260 ; 4-byte Folded Spill
	ds_read_b128 v[14:17], v1 offset:32
	;; [unrolled: 7-line block ×6, first 2 shown]
	v_mbcnt_hi_u32_b32 v2, -1, v0
	s_waitcnt lgkmcnt(0)
	buffer_store_dword v14, off, s[40:43], 0 offset:328 ; 4-byte Folded Spill
	s_nop 0
	buffer_store_dword v15, off, s[40:43], 0 offset:332 ; 4-byte Folded Spill
	buffer_store_dword v16, off, s[40:43], 0 offset:336 ; 4-byte Folded Spill
	;; [unrolled: 1-line block ×3, first 2 shown]
	v_and_b32_e32 v0, 64, v2
	ds_read_b128 v[29:32], v1 offset:112
	ds_read_b128 v[33:36], v1 offset:128
	;; [unrolled: 1-line block ×6, first 2 shown]
	buffer_store_dword v0, off, s[40:43], 0 offset:384 ; 4-byte Folded Spill
	v_add_u32_e32 v3, 64, v0
	v_xor_b32_e32 v0, 2, v2
	v_cmp_lt_i32_e32 vcc, v0, v3
	v_cndmask_b32_e32 v0, v2, v0, vcc
	v_lshlrev_b32_e32 v0, 2, v0
	buffer_store_dword v0, off, s[40:43], 0 offset:344 ; 4-byte Folded Spill
	v_xor_b32_e32 v0, 1, v2
	v_cmp_lt_i32_e32 vcc, v0, v3
	v_cndmask_b32_e32 v0, v2, v0, vcc
	v_lshlrev_b32_e32 v0, 2, v0
	buffer_store_dword v2, off, s[40:43], 0 offset:380 ; 4-byte Folded Spill
	buffer_store_dword v0, off, s[40:43], 0 offset:348 ; 4-byte Folded Spill
	ds_read_b128 v[53:56], v1 offset:208
	ds_read_b128 v[57:60], v1 offset:224
	;; [unrolled: 1-line block ×3, first 2 shown]
	v_lshlrev_b32_e32 v6, 2, v5
	s_sub_i32 s15, 1, s33
	s_lshl_b64 s[4:5], s[22:23], 2
	v_lshl_or_b32 v0, v9, 6, v6
	s_add_u32 s4, s20, s4
	v_add_u32_e32 v63, 0x410, v0
	v_and_b32_e32 v0, 60, v13
	s_addc_u32 s28, s21, s5
	v_add_co_u32_e64 v61, s[4:5], s4, v0
	v_mov_b32_e32 v0, s28
	s_mov_b32 s17, s13
	v_cmp_eq_u32_e32 vcc, 0, v24
	v_cmp_neq_f32_e64 s[2:3], s26, 0
	v_lshl_or_b32 v8, v9, 4, v5
	v_addc_co_u32_e64 v62, s[4:5], 0, v0, s[4:5]
	v_mov_b32_e32 v28, 0xff7fffff
	s_mov_b64 s[28:29], 0
	s_movk_i32 s34, 0x1000
	s_movk_i32 s35, 0x2000
	;; [unrolled: 1-line block ×3, first 2 shown]
	v_mov_b32_e32 v7, v9
	buffer_store_dword v13, off, s[40:43], 0 offset:376 ; 4-byte Folded Spill
	buffer_store_dword v9, off, s[40:43], 0 offset:48 ; 4-byte Folded Spill
	s_branch .LBB35_10
.LBB35_9:                               ;   in Loop: Header=BB35_10 Depth=1
	s_or_b64 exec, exec, s[30:31]
	v_add_u32_e32 v7, 2, v7
	v_cmp_le_i32_e64 s[4:5], s12, v7
	s_or_b64 s[28:29], s[4:5], s[28:29]
	v_add_co_u32_e64 v61, s[4:5], 8, v61
	v_add_u32_e32 v8, 32, v8
	v_add_u32_e32 v63, 0x80, v63
	v_addc_co_u32_e64 v62, s[4:5], 0, v62, s[4:5]
	s_andn2_b64 exec, exec, s[28:29]
	s_cbranch_execz .LBB35_12
.LBB35_10:                              ; =>This Inner Loop Header: Depth=1
	global_load_dword v0, v[61:62], off
	s_waitcnt vmcnt(0) lgkmcnt(0)
	v_mad_i64_i32 v[5:6], s[4:5], v0, s17, 0
	buffer_load_dword v0, off, s[40:43], 0 offset:352 ; 4-byte Folded Reload
	v_lshlrev_b64 v[5:6], 2, v[5:6]
	s_waitcnt vmcnt(0)
	v_add_co_u32_e64 v5, s[4:5], v0, v5
	buffer_load_dword v0, off, s[40:43], 0 offset:228 ; 4-byte Folded Reload
	s_waitcnt vmcnt(0)
	v_addc_co_u32_e64 v6, s[4:5], v0, v6, s[4:5]
	global_load_dword v0, v[5:6], off
	v_add_co_u32_e64 v9, s[4:5], s34, v5
	v_addc_co_u32_e64 v10, s[4:5], 0, v6, s[4:5]
	v_add_co_u32_e64 v11, s[4:5], s35, v5
	v_addc_co_u32_e64 v12, s[4:5], 0, v6, s[4:5]
	s_waitcnt vmcnt(0)
	buffer_store_dword v0, off, s[40:43], 0 offset:88 ; 4-byte Folded Spill
	global_load_dword v0, v[5:6], off offset:256
	s_waitcnt vmcnt(0)
	buffer_store_dword v0, off, s[40:43], 0 offset:96 ; 4-byte Folded Spill
	global_load_dword v0, v[5:6], off offset:512
	;; [unrolled: 3-line block ×3, first 2 shown]
	s_nop 0
	global_load_dword v0, v[5:6], off offset:1024
	s_waitcnt vmcnt(0)
	buffer_store_dword v0, off, s[40:43], 0 offset:80 ; 4-byte Folded Spill
	global_load_dword v0, v[5:6], off offset:1280
	s_waitcnt vmcnt(0)
	buffer_store_dword v0, off, s[40:43], 0 offset:76 ; 4-byte Folded Spill
	;; [unrolled: 3-line block ×11, first 2 shown]
	global_load_dword v0, v[5:6], off offset:3840
	v_add_co_u32_e64 v5, s[4:5], s36, v5
	v_addc_co_u32_e64 v6, s[4:5], 0, v6, s[4:5]
	s_waitcnt vmcnt(0)
	buffer_store_dword v0, off, s[40:43], 0 ; 4-byte Folded Spill
	global_load_dword v0, v[11:12], off offset:-4096
	s_waitcnt vmcnt(0)
	buffer_store_dword v0, off, s[40:43], 0 offset:224 ; 4-byte Folded Spill
	global_load_dword v0, v[9:10], off offset:256
	s_waitcnt vmcnt(0)
	buffer_store_dword v0, off, s[40:43], 0 offset:220 ; 4-byte Folded Spill
	global_load_dword v0, v[9:10], off offset:512
	;; [unrolled: 3-line block ×15, first 2 shown]
	s_waitcnt vmcnt(0)
	buffer_store_dword v0, off, s[40:43], 0 offset:164 ; 4-byte Folded Spill
	global_load_dword v0, v[11:12], off
	s_waitcnt vmcnt(0)
	buffer_store_dword v0, off, s[40:43], 0 offset:160 ; 4-byte Folded Spill
	global_load_dword v0, v[11:12], off offset:256
	s_waitcnt vmcnt(0)
	buffer_store_dword v0, off, s[40:43], 0 offset:156 ; 4-byte Folded Spill
	global_load_dword v0, v[11:12], off offset:512
	;; [unrolled: 3-line block ×15, first 2 shown]
	s_waitcnt vmcnt(0)
	buffer_store_dword v0, off, s[40:43], 0 offset:100 ; 4-byte Folded Spill
	global_load_dword v9, v[5:6], off
	global_load_dword v10, v[5:6], off offset:256
	global_load_dword v11, v[5:6], off offset:512
	;; [unrolled: 1-line block ×3, first 2 shown]
	s_nop 0
	global_load_dword v0, v[5:6], off offset:1024
	global_load_dword v13, v[5:6], off offset:1280
	;; [unrolled: 1-line block ×11, first 2 shown]
	s_nop 0
	global_load_dword v5, v[5:6], off offset:3840
	s_nop 0
	buffer_load_dword v23, off, s[40:43], 0 offset:232 ; 4-byte Folded Reload
	buffer_load_dword v24, off, s[40:43], 0 offset:236 ; 4-byte Folded Reload
	buffer_load_dword v25, off, s[40:43], 0 offset:240 ; 4-byte Folded Reload
	buffer_load_dword v26, off, s[40:43], 0 offset:244 ; 4-byte Folded Reload
	buffer_load_dword v6, off, s[40:43], 0 offset:96 ; 4-byte Folded Reload
	s_waitcnt vmcnt(0)
	v_mul_f32_e32 v6, v24, v6
	buffer_load_dword v24, off, s[40:43], 0 offset:88 ; 4-byte Folded Reload
	s_waitcnt vmcnt(0)
	v_fmac_f32_e32 v6, v23, v24
	buffer_load_dword v23, off, s[40:43], 0 offset:92 ; 4-byte Folded Reload
	s_waitcnt vmcnt(0)
	v_fmac_f32_e32 v6, v25, v23
	v_fmac_f32_e32 v6, v26, v27
	buffer_load_dword v23, off, s[40:43], 0 offset:248 ; 4-byte Folded Reload
	buffer_load_dword v24, off, s[40:43], 0 offset:252 ; 4-byte Folded Reload
	;; [unrolled: 1-line block ×5, first 2 shown]
	s_waitcnt vmcnt(0)
	v_fmac_f32_e32 v6, v23, v27
	buffer_load_dword v23, off, s[40:43], 0 offset:76 ; 4-byte Folded Reload
	s_waitcnt vmcnt(0)
	v_fmac_f32_e32 v6, v24, v23
	buffer_load_dword v23, off, s[40:43], 0 offset:72 ; 4-byte Folded Reload
	;; [unrolled: 3-line block ×4, first 2 shown]
	buffer_load_dword v24, off, s[40:43], 0 offset:268 ; 4-byte Folded Reload
	buffer_load_dword v25, off, s[40:43], 0 offset:272 ; 4-byte Folded Reload
	;; [unrolled: 1-line block ×4, first 2 shown]
	s_waitcnt vmcnt(0)
	v_fmac_f32_e32 v6, v23, v27
	buffer_load_dword v23, off, s[40:43], 0 offset:60 ; 4-byte Folded Reload
	s_waitcnt vmcnt(0)
	v_fmac_f32_e32 v6, v24, v23
	buffer_load_dword v23, off, s[40:43], 0 offset:56 ; 4-byte Folded Reload
	;; [unrolled: 3-line block ×4, first 2 shown]
	buffer_load_dword v24, off, s[40:43], 0 offset:284 ; 4-byte Folded Reload
	buffer_load_dword v25, off, s[40:43], 0 offset:288 ; 4-byte Folded Reload
	;; [unrolled: 1-line block ×4, first 2 shown]
	s_waitcnt vmcnt(0)
	v_fmac_f32_e32 v6, v23, v27
	buffer_load_dword v23, off, s[40:43], 0 offset:32 ; 4-byte Folded Reload
	s_waitcnt vmcnt(0)
	v_fmac_f32_e32 v6, v24, v23
	buffer_load_dword v23, off, s[40:43], 0 offset:16 ; 4-byte Folded Reload
	s_waitcnt vmcnt(0)
	v_fmac_f32_e32 v6, v25, v23
	buffer_load_dword v23, off, s[40:43], 0 ; 4-byte Folded Reload
	s_waitcnt vmcnt(0)
	v_fmac_f32_e32 v6, v26, v23
	buffer_load_dword v23, off, s[40:43], 0 offset:296 ; 4-byte Folded Reload
	buffer_load_dword v24, off, s[40:43], 0 offset:300 ; 4-byte Folded Reload
	buffer_load_dword v25, off, s[40:43], 0 offset:304 ; 4-byte Folded Reload
	buffer_load_dword v26, off, s[40:43], 0 offset:308 ; 4-byte Folded Reload
	buffer_load_dword v27, off, s[40:43], 0 offset:224 ; 4-byte Folded Reload
	s_waitcnt vmcnt(0)
	v_fmac_f32_e32 v6, v23, v27
	buffer_load_dword v23, off, s[40:43], 0 offset:220 ; 4-byte Folded Reload
	s_waitcnt vmcnt(0)
	v_fmac_f32_e32 v6, v24, v23
	buffer_load_dword v23, off, s[40:43], 0 offset:216 ; 4-byte Folded Reload
	s_waitcnt vmcnt(0)
	v_fmac_f32_e32 v6, v25, v23
	buffer_load_dword v23, off, s[40:43], 0 offset:212 ; 4-byte Folded Reload
	s_waitcnt vmcnt(0)
	v_fmac_f32_e32 v6, v26, v23
	buffer_load_dword v23, off, s[40:43], 0 offset:312 ; 4-byte Folded Reload
	buffer_load_dword v24, off, s[40:43], 0 offset:316 ; 4-byte Folded Reload
	buffer_load_dword v25, off, s[40:43], 0 offset:320 ; 4-byte Folded Reload
	buffer_load_dword v26, off, s[40:43], 0 offset:324 ; 4-byte Folded Reload
	buffer_load_dword v27, off, s[40:43], 0 offset:208 ; 4-byte Folded Reload
	s_waitcnt vmcnt(0)
	v_fmac_f32_e32 v6, v23, v27
	buffer_load_dword v23, off, s[40:43], 0 offset:204 ; 4-byte Folded Reload
	s_waitcnt vmcnt(0)
	v_fmac_f32_e32 v6, v24, v23
	buffer_load_dword v23, off, s[40:43], 0 offset:200 ; 4-byte Folded Reload
	s_waitcnt vmcnt(0)
	v_fmac_f32_e32 v6, v25, v23
	buffer_load_dword v23, off, s[40:43], 0 offset:196 ; 4-byte Folded Reload
	;; [unrolled: 16-line block ×3, first 2 shown]
	s_waitcnt vmcnt(0)
	v_fmac_f32_e32 v6, v26, v23
	buffer_load_dword v23, off, s[40:43], 0 offset:176 ; 4-byte Folded Reload
	s_waitcnt vmcnt(0) lgkmcnt(8)
	v_fmac_f32_e32 v6, v29, v23
	buffer_load_dword v23, off, s[40:43], 0 offset:172 ; 4-byte Folded Reload
	s_waitcnt vmcnt(0)
	v_fmac_f32_e32 v6, v30, v23
	buffer_load_dword v23, off, s[40:43], 0 offset:168 ; 4-byte Folded Reload
	s_waitcnt vmcnt(0)
	v_fmac_f32_e32 v6, v31, v23
	buffer_load_dword v23, off, s[40:43], 0 offset:164 ; 4-byte Folded Reload
	s_waitcnt vmcnt(0)
	v_fmac_f32_e32 v6, v32, v23
	buffer_load_dword v23, off, s[40:43], 0 offset:160 ; 4-byte Folded Reload
	s_waitcnt vmcnt(0) lgkmcnt(7)
	v_fmac_f32_e32 v6, v33, v23
	buffer_load_dword v23, off, s[40:43], 0 offset:156 ; 4-byte Folded Reload
	s_waitcnt vmcnt(0)
	v_fmac_f32_e32 v6, v34, v23
	buffer_load_dword v23, off, s[40:43], 0 offset:152 ; 4-byte Folded Reload
	s_waitcnt vmcnt(0)
	v_fmac_f32_e32 v6, v35, v23
	buffer_load_dword v23, off, s[40:43], 0 offset:148 ; 4-byte Folded Reload
	;; [unrolled: 12-line block ×5, first 2 shown]
	s_waitcnt vmcnt(0)
	v_fmac_f32_e32 v6, v48, v23
	s_waitcnt lgkmcnt(3)
	v_fmac_f32_e32 v6, v49, v9
	v_fmac_f32_e32 v6, v50, v10
	;; [unrolled: 1-line block ×4, first 2 shown]
	s_waitcnt lgkmcnt(2)
	v_fmac_f32_e32 v6, v53, v0
	v_fmac_f32_e32 v6, v54, v13
	;; [unrolled: 1-line block ×4, first 2 shown]
	s_waitcnt lgkmcnt(1)
	v_fmac_f32_e32 v6, v57, v16
	v_fmac_f32_e32 v6, v58, v17
	buffer_load_dword v0, off, s[40:43], 0 offset:344 ; 4-byte Folded Reload
	v_fmac_f32_e32 v6, v59, v18
	v_fmac_f32_e32 v6, v60, v19
	s_waitcnt lgkmcnt(0)
	v_fmac_f32_e32 v6, v1, v20
	v_fmac_f32_e32 v6, v2, v21
	;; [unrolled: 1-line block ×4, first 2 shown]
	buffer_load_dword v5, off, s[40:43], 0 offset:348 ; 4-byte Folded Reload
	s_waitcnt vmcnt(1)
	ds_bpermute_b32 v0, v0, v6
	s_waitcnt lgkmcnt(0)
	v_add_f32_e32 v0, v6, v0
	s_waitcnt vmcnt(0)
	ds_bpermute_b32 v5, v5, v0
	s_and_saveexec_b64 s[30:31], vcc
	s_cbranch_execz .LBB35_9
; %bb.11:                               ;   in Loop: Header=BB35_10 Depth=1
	v_add_u32_e32 v6, s15, v8
	v_cvt_f32_i32_e32 v6, v6
	s_waitcnt lgkmcnt(0)
	v_add_f32_e32 v0, v0, v5
	v_cmp_gt_i32_e64 s[4:5], s33, v8
	v_max_f32_e32 v5, v28, v28
	v_mul_f32_e32 v6, s26, v6
	v_cndmask_b32_e64 v6, 0, v6, s[2:3]
	v_fmac_f32_e32 v6, s27, v0
	v_cndmask_b32_e64 v0, 0, v6, s[4:5]
	ds_write_b32 v63, v0
	v_max_f32_e32 v0, v5, v6
	v_cndmask_b32_e64 v28, v28, v0, s[4:5]
	s_branch .LBB35_9
.LBB35_12:
	s_or_b64 exec, exec, s[28:29]
	buffer_load_dword v22, off, s[40:43], 0 offset:356 ; 4-byte Folded Reload
	buffer_load_dword v24, off, s[40:43], 0 offset:360 ; 4-byte Folded Reload
	;; [unrolled: 1-line block ×7, first 2 shown]
	s_waitcnt vmcnt(0)
	v_add_u32_e32 v15, 64, v8
.LBB35_13:
	s_or_b64 exec, exec, s[6:7]
	v_xor_b32_e32 v0, 32, v14
	v_cmp_lt_i32_e32 vcc, v0, v15
	v_cndmask_b32_e32 v0, v14, v0, vcc
	v_lshlrev_b32_e32 v0, 2, v0
	ds_bpermute_b32 v1, v0, v28
	v_xor_b32_e32 v3, 16, v14
	v_max_f32_e32 v2, v28, v28
	v_cmp_lt_i32_e32 vcc, v3, v15
	v_xor_b32_e32 v4, 8, v14
	s_waitcnt lgkmcnt(0)
	v_max_f32_e32 v1, v1, v1
	v_max_f32_e32 v2, v2, v1
	v_cndmask_b32_e32 v1, v14, v3, vcc
	v_lshlrev_b32_e32 v1, 2, v1
	ds_bpermute_b32 v3, v1, v2
	v_cmp_lt_i32_e32 vcc, v4, v15
	v_xor_b32_e32 v5, 4, v14
	v_and_b32_e32 v23, 63, v22
	s_waitcnt lgkmcnt(0)
	v_max_f32_e32 v3, v3, v3
	v_max_f32_e32 v2, v2, v3
	v_cndmask_b32_e32 v3, v14, v4, vcc
	v_lshlrev_b32_e32 v4, 2, v3
	ds_bpermute_b32 v3, v4, v2
	v_cmp_lt_i32_e32 vcc, v5, v15
	s_waitcnt lgkmcnt(0)
	v_max_f32_e32 v3, v3, v3
	v_max_f32_e32 v3, v2, v3
	v_cndmask_b32_e32 v2, v14, v5, vcc
	v_lshlrev_b32_e32 v5, 2, v2
	ds_bpermute_b32 v6, v5, v3
	v_cmp_eq_u32_e32 vcc, 0, v23
	v_lshlrev_b32_e32 v2, 2, v9
	s_and_saveexec_b64 s[2:3], vcc
	s_cbranch_execz .LBB35_15
; %bb.14:
	s_waitcnt lgkmcnt(0)
	v_max_f32_e32 v6, v6, v6
	v_max_f32_e32 v3, v3, v3
	;; [unrolled: 1-line block ×3, first 2 shown]
	ds_write_b32 v2, v3 offset:1024
.LBB35_15:
	s_or_b64 exec, exec, s[2:3]
	v_cmp_gt_u32_e64 s[2:3], 2, v23
	s_waitcnt lgkmcnt(0)
	v_mov_b32_e32 v6, 0xff7fffff
	v_lshlrev_b32_e32 v3, 2, v23
	s_waitcnt vmcnt(0)
	s_barrier
	s_and_saveexec_b64 s[4:5], s[2:3]
; %bb.16:
	ds_read_b32 v6, v3 offset:1024
; %bb.17:
	s_or_b64 exec, exec, s[4:5]
	v_xor_b32_e32 v7, 1, v14
	v_cmp_lt_i32_e64 s[4:5], v7, v15
	v_cndmask_b32_e64 v7, v14, v7, s[4:5]
	v_lshlrev_b32_e32 v21, 2, v7
	s_waitcnt lgkmcnt(0)
	ds_bpermute_b32 v7, v21, v6
	v_max_f32_e32 v6, v6, v6
	s_lshl_b32 s4, s12, 4
	s_min_i32 s15, s4, s33
	v_cmp_gt_i32_e64 s[4:5], s15, v22
	s_waitcnt lgkmcnt(0)
	v_max_f32_e32 v7, v7, v7
	v_max_f32_e32 v6, v6, v7
	v_lshlrev_b32_e32 v7, 2, v8
	ds_bpermute_b32 v7, v7, v6
	v_mov_b32_e32 v6, 0
	s_and_saveexec_b64 s[26:27], s[4:5]
	s_cbranch_execz .LBB35_21
; %bb.18:
	v_mov_b32_e32 v6, 0x410
	v_mov_b32_e32 v11, v9
	v_lshl_add_u32 v8, v22, 2, v6
	v_mov_b32_e32 v6, 0
	s_mov_b64 s[28:29], 0
	v_mov_b32_e32 v9, v22
.LBB35_19:                              ; =>This Inner Loop Header: Depth=1
	ds_read_b32 v10, v8
	v_add_u32_e32 v9, 0x80, v9
	v_cmp_le_i32_e64 s[6:7], s15, v9
	s_or_b64 s[28:29], s[6:7], s[28:29]
	s_waitcnt lgkmcnt(0)
	v_sub_f32_e32 v10, v10, v7
	v_mul_f32_e32 v10, 0x3fb8aa3b, v10
	v_exp_f32_e32 v10, v10
	ds_write_b32 v8, v10
	v_add_f32_e32 v6, v6, v10
	v_add_u32_e32 v8, 0x200, v8
	s_andn2_b64 exec, exec, s[28:29]
	s_cbranch_execnz .LBB35_19
; %bb.20:
	s_or_b64 exec, exec, s[28:29]
	v_mov_b32_e32 v9, v11
.LBB35_21:
	s_or_b64 exec, exec, s[26:27]
	ds_bpermute_b32 v0, v0, v6
	s_waitcnt lgkmcnt(0)
	v_add_f32_e32 v0, v6, v0
	ds_bpermute_b32 v1, v1, v0
	s_waitcnt lgkmcnt(0)
	v_add_f32_e32 v0, v0, v1
	ds_bpermute_b32 v1, v4, v0
	v_xor_b32_e32 v4, 2, v14
	v_cmp_lt_i32_e64 s[6:7], v4, v15
	v_cndmask_b32_e64 v4, v14, v4, s[6:7]
	v_lshlrev_b32_e32 v17, 2, v4
	s_waitcnt lgkmcnt(0)
	v_add_f32_e32 v0, v0, v1
	ds_bpermute_b32 v1, v5, v0
	s_waitcnt lgkmcnt(0)
	v_add_f32_e32 v0, v0, v1
	ds_bpermute_b32 v1, v17, v0
	;; [unrolled: 3-line block ×3, first 2 shown]
	s_waitcnt lgkmcnt(0)
	v_add_f32_e32 v0, v0, v1
	s_and_saveexec_b64 s[6:7], vcc
; %bb.22:
	ds_write_b32 v2, v0 offset:1032
; %bb.23:
	s_or_b64 exec, exec, s[6:7]
	s_waitcnt lgkmcnt(0)
	s_barrier
	s_and_saveexec_b64 s[6:7], s[2:3]
; %bb.24:
	ds_read_b32 v0, v3 offset:1032
; %bb.25:
	s_or_b64 exec, exec, s[6:7]
	s_waitcnt lgkmcnt(0)
	ds_bpermute_b32 v1, v21, v0
	v_lshlrev_b32_e32 v2, 2, v14
	s_waitcnt lgkmcnt(0)
	v_add_f32_e32 v0, v0, v1
	v_and_b32_e32 v1, 0xffffff00, v2
	ds_bpermute_b32 v0, v1, v0
	s_and_saveexec_b64 s[2:3], s[4:5]
	s_cbranch_execz .LBB35_28
; %bb.26:
	s_waitcnt lgkmcnt(0)
	v_add_f32_e32 v1, 0x358637bd, v0
	v_div_scale_f32 v0, s[4:5], v1, v1, 1.0
	v_div_scale_f32 v2, vcc, 1.0, v1, 1.0
	s_mov_b64 s[4:5], 0
	v_rcp_f32_e32 v3, v0
	v_fma_f32 v4, -v0, v3, 1.0
	v_fmac_f32_e32 v3, v4, v3
	v_mul_f32_e32 v4, v2, v3
	v_fma_f32 v5, -v0, v4, v2
	v_fmac_f32_e32 v4, v5, v3
	v_fma_f32 v0, -v0, v4, v2
	v_div_fmas_f32 v2, v0, v3, v4
	v_mov_b32_e32 v0, 0x410
	v_lshl_add_u32 v0, v22, 2, v0
	v_div_fixup_f32 v1, v2, v1, 1.0
	v_mov_b32_e32 v2, v22
.LBB35_27:                              ; =>This Inner Loop Header: Depth=1
	ds_read_b32 v3, v0
	v_add_u32_e32 v2, 0x80, v2
	v_cmp_le_i32_e32 vcc, s15, v2
	s_or_b64 s[4:5], vcc, s[4:5]
	s_waitcnt lgkmcnt(0)
	v_mul_f32_e32 v3, v1, v3
	ds_write_b32 v0, v3
	v_add_u32_e32 v0, 0x200, v0
	s_andn2_b64 exec, exec, s[4:5]
	s_cbranch_execnz .LBB35_27
.LBB35_28:
	s_or_b64 exec, exec, s[2:3]
	v_mov_b32_e32 v5, 0
	v_mov_b32_e32 v3, 0
	;; [unrolled: 1-line block ×16, first 2 shown]
	s_waitcnt lgkmcnt(0)
	s_barrier
	s_and_saveexec_b64 s[2:3], s[0:1]
	s_cbranch_execz .LBB35_64
; %bb.29:
	v_and_b32_e32 v1, 0xfc, v12
	v_or_b32_e32 v2, 0xf00, v12
	v_lshlrev_b32_e32 v1, 2, v1
	buffer_store_dword v17, off, s[40:43], 0 offset:136 ; 4-byte Folded Spill
	buffer_store_dword v21, off, s[40:43], 0 offset:132 ; 4-byte Folded Spill
	buffer_store_dword v23, off, s[40:43], 0 offset:128 ; 4-byte Folded Spill
	buffer_store_dword v1, off, s[40:43], 0 offset:120 ; 4-byte Folded Spill
	v_lshlrev_b32_e32 v1, 2, v2
	buffer_store_dword v1, off, s[40:43], 0 offset:124 ; 4-byte Folded Spill
	v_mov_b32_e32 v1, 0
	buffer_store_dword v1, off, s[40:43], 0 offset:52 ; 4-byte Folded Spill
	v_mov_b32_e32 v1, 0
	;; [unrolled: 2-line block ×5, first 2 shown]
	s_ashr_i32 s15, s14, 31
	buffer_store_dword v1, off, s[40:43], 0 offset:68 ; 4-byte Folded Spill
	v_mov_b32_e32 v1, 0
	s_lshl_b64 s[0:1], s[14:15], 2
	buffer_store_dword v1, off, s[40:43], 0 offset:72 ; 4-byte Folded Spill
	v_mov_b32_e32 v1, 0
	v_and_b32_e32 v0, 12, v12
	s_add_u32 s14, s24, s0
	v_lshlrev_b32_e32 v3, 4, v9
	buffer_store_dword v1, off, s[40:43], 0 offset:76 ; 4-byte Folded Spill
	v_mov_b32_e32 v1, 0
	s_addc_u32 s6, s25, s1
	s_add_i32 s15, s12, -1
	v_or3_b32 v0, v3, v0, 3
	v_lshlrev_b32_e32 v3, 4, v24
	s_lshl_b64 s[0:1], s[22:23], 2
	buffer_store_dword v1, off, s[40:43], 0 offset:80 ; 4-byte Folded Spill
	v_mov_b32_e32 v1, 0
	v_lshl_or_b32 v3, v9, 6, v3
	s_add_u32 s0, s20, s0
	buffer_store_dword v1, off, s[40:43], 0 offset:84 ; 4-byte Folded Spill
	v_mov_b32_e32 v1, 0
	v_add_u32_e32 v63, 0x410, v3
	v_and_b32_e32 v3, 60, v13
	s_addc_u32 s1, s21, s1
	buffer_store_dword v1, off, s[40:43], 0 offset:88 ; 4-byte Folded Spill
	v_mov_b32_e32 v1, 0
	v_mov_b32_e32 v4, s1
	v_add_co_u32_e32 v61, vcc, s0, v3
	buffer_store_dword v1, off, s[40:43], 0 offset:92 ; 4-byte Folded Spill
	v_mov_b32_e32 v1, 0
	v_mov_b32_e32 v25, 0
	v_addc_co_u32_e32 v62, vcc, 0, v4, vcc
	s_mov_b64 s[4:5], 0
	v_mov_b32_e32 v3, s6
	v_mov_b32_e32 v10, 0
	buffer_store_dword v1, off, s[40:43], 0 offset:96 ; 4-byte Folded Spill
	v_mov_b32_e32 v1, 0
	v_mov_b32_e32 v5, 0
	buffer_store_dword v3, off, s[40:43], 0 offset:116 ; 4-byte Folded Spill
	buffer_store_dword v1, off, s[40:43], 0 offset:100 ; 4-byte Folded Spill
	s_branch .LBB35_31
.LBB35_30:                              ;   in Loop: Header=BB35_31 Depth=1
	s_or_b64 exec, exec, s[6:7]
	s_waitcnt lgkmcnt(0)
	v_mul_f32_e32 v9, v1, v9
	v_fmac_f32_e32 v9, v2, v10
	v_fmac_f32_e32 v9, v3, v11
	;; [unrolled: 1-line block ×3, first 2 shown]
	v_mul_f32_e32 v12, v1, v33
	buffer_load_dword v33, off, s[40:43], 0 offset:52 ; 4-byte Folded Reload
	v_mul_f32_e32 v5, v1, v5
	v_fmac_f32_e32 v5, v2, v6
	v_fmac_f32_e32 v5, v3, v7
	v_fmac_f32_e32 v5, v4, v8
	v_mul_f32_e32 v6, v1, v57
	v_fmac_f32_e32 v6, v2, v58
	v_fmac_f32_e32 v6, v3, v59
	v_fmac_f32_e32 v6, v4, v60
	;; [unrolled: 4-line block ×6, first 2 shown]
	v_fmac_f32_e32 v12, v2, v34
	v_fmac_f32_e32 v12, v3, v35
	;; [unrolled: 1-line block ×3, first 2 shown]
	v_add_u32_e32 v0, 32, v0
	v_add_u32_e32 v63, 0x80, v63
	s_waitcnt vmcnt(0)
	v_add_f32_e32 v33, v33, v9
	buffer_load_dword v9, off, s[40:43], 0 offset:56 ; 4-byte Folded Reload
	s_waitcnt vmcnt(0)
	v_add_f32_e32 v9, v9, v5
	buffer_load_dword v5, off, s[40:43], 0 offset:60 ; 4-byte Folded Reload
	s_waitcnt vmcnt(0)
	v_add_f32_e32 v5, v5, v6
	buffer_store_dword v5, off, s[40:43], 0 offset:60 ; 4-byte Folded Spill
	buffer_load_dword v5, off, s[40:43], 0 offset:64 ; 4-byte Folded Reload
	s_nop 0
	buffer_load_dword v6, off, s[40:43], 0 offset:80 ; 4-byte Folded Reload
	s_waitcnt vmcnt(1)
	v_add_f32_e32 v5, v5, v7
	buffer_store_dword v5, off, s[40:43], 0 offset:64 ; 4-byte Folded Spill
	buffer_load_dword v5, off, s[40:43], 0 offset:68 ; 4-byte Folded Reload
	s_waitcnt vmcnt(0)
	v_add_f32_e32 v5, v5, v8
	buffer_store_dword v5, off, s[40:43], 0 offset:68 ; 4-byte Folded Spill
	;; [unrolled: 4-line block ×3, first 2 shown]
	buffer_load_dword v5, off, s[40:43], 0 offset:76 ; 4-byte Folded Reload
	s_nop 0
	buffer_load_dword v10, off, s[40:43], 0 offset:108 ; 4-byte Folded Reload
	s_waitcnt vmcnt(1)
	v_add_f32_e32 v5, v5, v11
	buffer_store_dword v5, off, s[40:43], 0 offset:76 ; 4-byte Folded Spill
	v_mul_f32_e32 v5, v1, v29
	v_fmac_f32_e32 v5, v2, v30
	v_fmac_f32_e32 v5, v3, v31
	;; [unrolled: 1-line block ×3, first 2 shown]
	v_add_f32_e32 v6, v6, v5
	buffer_store_dword v6, off, s[40:43], 0 offset:80 ; 4-byte Folded Spill
	buffer_load_dword v6, off, s[40:43], 0 offset:84 ; 4-byte Folded Reload
	v_mul_f32_e32 v5, v1, v25
	v_fmac_f32_e32 v5, v2, v26
	v_fmac_f32_e32 v5, v3, v27
	v_fmac_f32_e32 v5, v4, v28
	buffer_store_dword v33, off, s[40:43], 0 offset:52 ; 4-byte Folded Spill
	buffer_store_dword v9, off, s[40:43], 0 offset:56 ; 4-byte Folded Spill
	s_waitcnt vmcnt(5)
	v_add_f32_e32 v10, v10, v12
	s_waitcnt vmcnt(2)
	v_add_f32_e32 v6, v6, v5
	buffer_store_dword v6, off, s[40:43], 0 offset:84 ; 4-byte Folded Spill
	buffer_load_dword v5, off, s[40:43], 0 offset:32 ; 4-byte Folded Reload
	s_nop 0
	buffer_load_dword v6, off, s[40:43], 0 offset:36 ; 4-byte Folded Reload
	buffer_load_dword v7, off, s[40:43], 0 offset:40 ; 4-byte Folded Reload
	;; [unrolled: 1-line block ×3, first 2 shown]
	s_waitcnt vmcnt(3)
	v_mul_f32_e32 v5, v1, v5
	s_waitcnt vmcnt(2)
	v_fmac_f32_e32 v5, v2, v6
	buffer_load_dword v6, off, s[40:43], 0 offset:88 ; 4-byte Folded Reload
	s_waitcnt vmcnt(2)
	v_fmac_f32_e32 v5, v3, v7
	s_waitcnt vmcnt(1)
	v_fmac_f32_e32 v5, v4, v8
	s_waitcnt vmcnt(0)
	v_add_f32_e32 v6, v6, v5
	buffer_store_dword v6, off, s[40:43], 0 offset:88 ; 4-byte Folded Spill
	buffer_load_dword v6, off, s[40:43], 0 offset:92 ; 4-byte Folded Reload
	v_mul_f32_e32 v5, v1, v17
	v_fmac_f32_e32 v5, v2, v18
	v_fmac_f32_e32 v5, v3, v19
	;; [unrolled: 1-line block ×3, first 2 shown]
	s_waitcnt vmcnt(0)
	v_add_f32_e32 v6, v6, v5
	buffer_store_dword v6, off, s[40:43], 0 offset:92 ; 4-byte Folded Spill
	buffer_load_dword v6, off, s[40:43], 0 offset:96 ; 4-byte Folded Reload
	v_mul_f32_e32 v5, v1, v13
	v_fmac_f32_e32 v5, v2, v14
	v_fmac_f32_e32 v5, v3, v15
	;; [unrolled: 1-line block ×3, first 2 shown]
	s_waitcnt vmcnt(0)
	v_add_f32_e32 v6, v6, v5
	buffer_store_dword v6, off, s[40:43], 0 offset:96 ; 4-byte Folded Spill
	buffer_load_dword v5, off, s[40:43], 0 offset:16 ; 4-byte Folded Reload
	s_nop 0
	buffer_load_dword v6, off, s[40:43], 0 offset:20 ; 4-byte Folded Reload
	buffer_load_dword v7, off, s[40:43], 0 offset:24 ; 4-byte Folded Reload
	;; [unrolled: 1-line block ×3, first 2 shown]
	s_waitcnt vmcnt(3)
	v_mul_f32_e32 v5, v1, v5
	s_waitcnt vmcnt(2)
	v_fmac_f32_e32 v5, v2, v6
	buffer_load_dword v6, off, s[40:43], 0 offset:100 ; 4-byte Folded Reload
	s_waitcnt vmcnt(2)
	v_fmac_f32_e32 v5, v3, v7
	s_waitcnt vmcnt(1)
	v_fmac_f32_e32 v5, v4, v8
	s_waitcnt vmcnt(0)
	v_add_f32_e32 v6, v6, v5
	buffer_store_dword v6, off, s[40:43], 0 offset:100 ; 4-byte Folded Spill
	buffer_load_dword v5, off, s[40:43], 0  ; 4-byte Folded Reload
	s_nop 0
	buffer_load_dword v6, off, s[40:43], 0 offset:4 ; 4-byte Folded Reload
	buffer_load_dword v7, off, s[40:43], 0 offset:8 ; 4-byte Folded Reload
	;; [unrolled: 1-line block ×5, first 2 shown]
	s_waitcnt vmcnt(5)
	v_mul_f32_e32 v5, v1, v5
	s_waitcnt vmcnt(4)
	v_fmac_f32_e32 v5, v2, v6
	buffer_load_dword v6, off, s[40:43], 0 offset:112 ; 4-byte Folded Reload
	v_mul_f32_e32 v1, v1, v53
	v_fmac_f32_e32 v1, v2, v54
	s_waitcnt vmcnt(4)
	v_fmac_f32_e32 v5, v3, v7
	v_fmac_f32_e32 v1, v3, v55
	s_waitcnt vmcnt(3)
	v_fmac_f32_e32 v5, v4, v8
	v_fmac_f32_e32 v1, v4, v56
	s_waitcnt vmcnt(1)
	v_add_u32_e32 v9, 2, v9
	v_add_f32_e32 v25, v25, v1
	v_cmp_le_i32_e32 vcc, s12, v9
	s_or_b64 s[4:5], vcc, s[4:5]
	v_add_co_u32_e32 v61, vcc, 8, v61
	v_addc_co_u32_e32 v62, vcc, 0, v62, vcc
	s_waitcnt vmcnt(0)
	v_add_f32_e32 v5, v6, v5
	s_andn2_b64 exec, exec, s[4:5]
	s_cbranch_execz .LBB35_63
.LBB35_31:                              ; =>This Inner Loop Header: Depth=1
	buffer_store_dword v5, off, s[40:43], 0 offset:112 ; 4-byte Folded Spill
	buffer_store_dword v10, off, s[40:43], 0 offset:108 ; 4-byte Folded Spill
	;; [unrolled: 1-line block ×3, first 2 shown]
	global_load_dword v1, v[61:62], off
	v_mov_b32_e32 v5, v9
	v_add_u32_e32 v23, -2, v0
	v_add_u32_e32 v22, -1, v0
	s_waitcnt vmcnt(0)
	v_mad_i64_i32 v[1:2], s[0:1], v1, s13, 0
	v_cmp_eq_u32_e64 s[0:1], s15, v5
	v_lshlrev_b64 v[1:2], 2, v[1:2]
	v_add_co_u32_e32 v53, vcc, s14, v1
	buffer_load_dword v1, off, s[40:43], 0 offset:116 ; 4-byte Folded Reload
	s_waitcnt vmcnt(0)
	v_addc_co_u32_e32 v54, vcc, v1, v2, vcc
	buffer_load_dword v1, off, s[40:43], 0 offset:120 ; 4-byte Folded Reload
	s_waitcnt vmcnt(0)
	v_add_co_u32_e32 v9, vcc, v53, v1
	v_addc_co_u32_e32 v10, vcc, 0, v54, vcc
	global_load_dwordx4 v[1:4], v[9:10], off
	s_waitcnt vmcnt(0)
	buffer_store_dword v1, off, s[40:43], 0 ; 4-byte Folded Spill
	s_nop 0
	buffer_store_dword v2, off, s[40:43], 0 offset:4 ; 4-byte Folded Spill
	buffer_store_dword v3, off, s[40:43], 0 offset:8 ; 4-byte Folded Spill
	;; [unrolled: 1-line block ×3, first 2 shown]
	ds_read_b128 v[1:4], v63
	buffer_store_dword v5, off, s[40:43], 0 offset:48 ; 4-byte Folded Spill
	s_and_saveexec_b64 s[6:7], s[0:1]
	s_cbranch_execz .LBB35_33
; %bb.32:                               ;   in Loop: Header=BB35_31 Depth=1
	v_add_u32_e32 v5, -3, v0
	v_cmp_gt_i32_e32 vcc, s33, v5
	buffer_load_dword v5, off, s[40:43], 0  ; 4-byte Folded Reload
	buffer_load_dword v6, off, s[40:43], 0 offset:4 ; 4-byte Folded Reload
	buffer_load_dword v7, off, s[40:43], 0 offset:8 ; 4-byte Folded Reload
	;; [unrolled: 1-line block ×3, first 2 shown]
	s_waitcnt vmcnt(3)
	v_cndmask_b32_e32 v5, 0, v5, vcc
	v_cmp_gt_i32_e32 vcc, s33, v23
	s_waitcnt vmcnt(2)
	v_cndmask_b32_e32 v6, 0, v6, vcc
	v_cmp_gt_i32_e32 vcc, s33, v22
	;; [unrolled: 3-line block ×3, first 2 shown]
	s_waitcnt vmcnt(0)
	v_cndmask_b32_e32 v8, 0, v8, vcc
	buffer_store_dword v5, off, s[40:43], 0 ; 4-byte Folded Spill
	s_nop 0
	buffer_store_dword v6, off, s[40:43], 0 offset:4 ; 4-byte Folded Spill
	buffer_store_dword v7, off, s[40:43], 0 offset:8 ; 4-byte Folded Spill
	;; [unrolled: 1-line block ×3, first 2 shown]
.LBB35_33:                              ;   in Loop: Header=BB35_31 Depth=1
	s_or_b64 exec, exec, s[6:7]
	global_load_dwordx4 v[5:8], v[9:10], off offset:1024
	s_waitcnt vmcnt(0)
	buffer_store_dword v5, off, s[40:43], 0 offset:16 ; 4-byte Folded Spill
	s_nop 0
	buffer_store_dword v6, off, s[40:43], 0 offset:20 ; 4-byte Folded Spill
	buffer_store_dword v7, off, s[40:43], 0 offset:24 ; 4-byte Folded Spill
	;; [unrolled: 1-line block ×3, first 2 shown]
	s_and_saveexec_b64 s[6:7], s[0:1]
	s_cbranch_execnz .LBB35_61
; %bb.34:                               ;   in Loop: Header=BB35_31 Depth=1
	s_or_b64 exec, exec, s[6:7]
	global_load_dwordx4 v[13:16], v[9:10], off offset:2048
	s_and_saveexec_b64 s[6:7], s[0:1]
	s_cbranch_execnz .LBB35_62
.LBB35_35:                              ;   in Loop: Header=BB35_31 Depth=1
	s_or_b64 exec, exec, s[6:7]
	global_load_dwordx4 v[17:20], v[9:10], off offset:3072
	s_and_saveexec_b64 s[6:7], s[0:1]
	s_cbranch_execz .LBB35_37
.LBB35_36:                              ;   in Loop: Header=BB35_31 Depth=1
	v_add_u32_e32 v5, -3, v0
	v_cmp_gt_i32_e32 vcc, s33, v5
	s_waitcnt vmcnt(0)
	v_cndmask_b32_e32 v17, 0, v17, vcc
	v_cmp_gt_i32_e32 vcc, s33, v23
	v_cndmask_b32_e32 v18, 0, v18, vcc
	v_cmp_gt_i32_e32 vcc, s33, v22
	;; [unrolled: 2-line block ×3, first 2 shown]
	v_cndmask_b32_e32 v20, 0, v20, vcc
.LBB35_37:                              ;   in Loop: Header=BB35_31 Depth=1
	s_or_b64 exec, exec, s[6:7]
	v_add_co_u32_e32 v5, vcc, 0x1000, v9
	v_addc_co_u32_e32 v6, vcc, 0, v10, vcc
	global_load_dwordx4 v[5:8], v[5:6], off
	s_waitcnt vmcnt(0)
	buffer_store_dword v5, off, s[40:43], 0 offset:32 ; 4-byte Folded Spill
	s_nop 0
	buffer_store_dword v6, off, s[40:43], 0 offset:36 ; 4-byte Folded Spill
	buffer_store_dword v7, off, s[40:43], 0 offset:40 ; 4-byte Folded Spill
	;; [unrolled: 1-line block ×3, first 2 shown]
	s_and_saveexec_b64 s[6:7], s[0:1]
	s_cbranch_execz .LBB35_39
; %bb.38:                               ;   in Loop: Header=BB35_31 Depth=1
	v_add_u32_e32 v5, -3, v0
	v_cmp_gt_i32_e32 vcc, s33, v5
	buffer_load_dword v5, off, s[40:43], 0 offset:32 ; 4-byte Folded Reload
	buffer_load_dword v6, off, s[40:43], 0 offset:36 ; 4-byte Folded Reload
	;; [unrolled: 1-line block ×4, first 2 shown]
	s_waitcnt vmcnt(3)
	v_cndmask_b32_e32 v5, 0, v5, vcc
	v_cmp_gt_i32_e32 vcc, s33, v23
	s_waitcnt vmcnt(2)
	v_cndmask_b32_e32 v6, 0, v6, vcc
	v_cmp_gt_i32_e32 vcc, s33, v22
	;; [unrolled: 3-line block ×3, first 2 shown]
	s_waitcnt vmcnt(0)
	v_cndmask_b32_e32 v8, 0, v8, vcc
	buffer_store_dword v5, off, s[40:43], 0 offset:32 ; 4-byte Folded Spill
	s_nop 0
	buffer_store_dword v6, off, s[40:43], 0 offset:36 ; 4-byte Folded Spill
	buffer_store_dword v7, off, s[40:43], 0 offset:40 ; 4-byte Folded Spill
	;; [unrolled: 1-line block ×3, first 2 shown]
.LBB35_39:                              ;   in Loop: Header=BB35_31 Depth=1
	s_or_b64 exec, exec, s[6:7]
	v_add_co_u32_e32 v5, vcc, 0x1000, v9
	v_addc_co_u32_e32 v6, vcc, 0, v10, vcc
	global_load_dwordx4 v[25:28], v[5:6], off offset:1024
	s_and_saveexec_b64 s[6:7], s[0:1]
	s_cbranch_execz .LBB35_41
; %bb.40:                               ;   in Loop: Header=BB35_31 Depth=1
	v_add_u32_e32 v5, -3, v0
	v_cmp_gt_i32_e32 vcc, s33, v5
	s_waitcnt vmcnt(0)
	v_cndmask_b32_e32 v25, 0, v25, vcc
	v_cmp_gt_i32_e32 vcc, s33, v23
	v_cndmask_b32_e32 v26, 0, v26, vcc
	v_cmp_gt_i32_e32 vcc, s33, v22
	v_cndmask_b32_e32 v27, 0, v27, vcc
	v_cmp_gt_i32_e32 vcc, s33, v0
	v_cndmask_b32_e32 v28, 0, v28, vcc
.LBB35_41:                              ;   in Loop: Header=BB35_31 Depth=1
	s_or_b64 exec, exec, s[6:7]
	v_add_co_u32_e32 v5, vcc, 0x1000, v9
	v_addc_co_u32_e32 v6, vcc, 0, v10, vcc
	global_load_dwordx4 v[29:32], v[5:6], off offset:2048
	s_and_saveexec_b64 s[6:7], s[0:1]
	s_cbranch_execz .LBB35_43
; %bb.42:                               ;   in Loop: Header=BB35_31 Depth=1
	v_add_u32_e32 v5, -3, v0
	v_cmp_gt_i32_e32 vcc, s33, v5
	s_waitcnt vmcnt(0)
	v_cndmask_b32_e32 v29, 0, v29, vcc
	v_cmp_gt_i32_e32 vcc, s33, v23
	v_cndmask_b32_e32 v30, 0, v30, vcc
	v_cmp_gt_i32_e32 vcc, s33, v22
	v_cndmask_b32_e32 v31, 0, v31, vcc
	v_cmp_gt_i32_e32 vcc, s33, v0
	v_cndmask_b32_e32 v32, 0, v32, vcc
.LBB35_43:                              ;   in Loop: Header=BB35_31 Depth=1
	;; [unrolled: 18-line block ×3, first 2 shown]
	s_or_b64 exec, exec, s[6:7]
	v_add_co_u32_e32 v5, vcc, 0x2000, v9
	v_addc_co_u32_e32 v6, vcc, 0, v10, vcc
	global_load_dwordx4 v[37:40], v[5:6], off
	s_and_saveexec_b64 s[6:7], s[0:1]
	s_cbranch_execz .LBB35_47
; %bb.46:                               ;   in Loop: Header=BB35_31 Depth=1
	v_add_u32_e32 v5, -3, v0
	v_cmp_gt_i32_e32 vcc, s33, v5
	s_waitcnt vmcnt(0)
	v_cndmask_b32_e32 v37, 0, v37, vcc
	v_cmp_gt_i32_e32 vcc, s33, v23
	v_cndmask_b32_e32 v38, 0, v38, vcc
	v_cmp_gt_i32_e32 vcc, s33, v22
	v_cndmask_b32_e32 v39, 0, v39, vcc
	v_cmp_gt_i32_e32 vcc, s33, v0
	v_cndmask_b32_e32 v40, 0, v40, vcc
.LBB35_47:                              ;   in Loop: Header=BB35_31 Depth=1
	s_or_b64 exec, exec, s[6:7]
	v_add_co_u32_e32 v5, vcc, 0x2000, v9
	v_addc_co_u32_e32 v6, vcc, 0, v10, vcc
	global_load_dwordx4 v[41:44], v[5:6], off offset:1024
	s_and_saveexec_b64 s[6:7], s[0:1]
	s_cbranch_execz .LBB35_49
; %bb.48:                               ;   in Loop: Header=BB35_31 Depth=1
	v_add_u32_e32 v5, -3, v0
	v_cmp_gt_i32_e32 vcc, s33, v5
	s_waitcnt vmcnt(0)
	v_cndmask_b32_e32 v41, 0, v41, vcc
	v_cmp_gt_i32_e32 vcc, s33, v23
	v_cndmask_b32_e32 v42, 0, v42, vcc
	v_cmp_gt_i32_e32 vcc, s33, v22
	v_cndmask_b32_e32 v43, 0, v43, vcc
	v_cmp_gt_i32_e32 vcc, s33, v0
	v_cndmask_b32_e32 v44, 0, v44, vcc
.LBB35_49:                              ;   in Loop: Header=BB35_31 Depth=1
	s_or_b64 exec, exec, s[6:7]
	v_add_co_u32_e32 v5, vcc, 0x2000, v9
	v_addc_co_u32_e32 v6, vcc, 0, v10, vcc
	global_load_dwordx4 v[45:48], v[5:6], off offset:2048
	;; [unrolled: 18-line block ×3, first 2 shown]
	s_and_saveexec_b64 s[6:7], s[0:1]
	s_cbranch_execz .LBB35_53
; %bb.52:                               ;   in Loop: Header=BB35_31 Depth=1
	v_add_u32_e32 v5, -3, v0
	v_cmp_gt_i32_e32 vcc, s33, v5
	s_waitcnt vmcnt(0)
	v_cndmask_b32_e32 v49, 0, v49, vcc
	v_cmp_gt_i32_e32 vcc, s33, v23
	v_cndmask_b32_e32 v50, 0, v50, vcc
	v_cmp_gt_i32_e32 vcc, s33, v22
	;; [unrolled: 2-line block ×3, first 2 shown]
	v_cndmask_b32_e32 v52, 0, v52, vcc
.LBB35_53:                              ;   in Loop: Header=BB35_31 Depth=1
	s_or_b64 exec, exec, s[6:7]
	v_add_co_u32_e32 v5, vcc, 0x3000, v9
	v_addc_co_u32_e32 v6, vcc, 0, v10, vcc
	global_load_dwordx4 v[57:60], v[5:6], off
	s_and_saveexec_b64 s[6:7], s[0:1]
	s_cbranch_execz .LBB35_55
; %bb.54:                               ;   in Loop: Header=BB35_31 Depth=1
	v_add_u32_e32 v5, -3, v0
	v_cmp_gt_i32_e32 vcc, s33, v5
	s_waitcnt vmcnt(0)
	v_cndmask_b32_e32 v57, 0, v57, vcc
	v_cmp_gt_i32_e32 vcc, s33, v23
	v_cndmask_b32_e32 v58, 0, v58, vcc
	v_cmp_gt_i32_e32 vcc, s33, v22
	;; [unrolled: 2-line block ×3, first 2 shown]
	v_cndmask_b32_e32 v60, 0, v60, vcc
.LBB35_55:                              ;   in Loop: Header=BB35_31 Depth=1
	s_or_b64 exec, exec, s[6:7]
	v_add_co_u32_e32 v5, vcc, 0x3000, v9
	v_addc_co_u32_e32 v6, vcc, 0, v10, vcc
	global_load_dwordx4 v[5:8], v[5:6], off offset:1024
	s_and_saveexec_b64 s[6:7], s[0:1]
	s_cbranch_execz .LBB35_57
; %bb.56:                               ;   in Loop: Header=BB35_31 Depth=1
	v_add_u32_e32 v11, -3, v0
	v_cmp_gt_i32_e32 vcc, s33, v11
	s_waitcnt vmcnt(0)
	v_cndmask_b32_e32 v5, 0, v5, vcc
	v_cmp_gt_i32_e32 vcc, s33, v23
	v_cndmask_b32_e32 v6, 0, v6, vcc
	v_cmp_gt_i32_e32 vcc, s33, v22
	;; [unrolled: 2-line block ×3, first 2 shown]
	v_cndmask_b32_e32 v8, 0, v8, vcc
.LBB35_57:                              ;   in Loop: Header=BB35_31 Depth=1
	s_or_b64 exec, exec, s[6:7]
	v_add_co_u32_e32 v9, vcc, 0x3000, v9
	v_addc_co_u32_e32 v10, vcc, 0, v10, vcc
	global_load_dwordx4 v[9:12], v[9:10], off offset:2048
	s_and_saveexec_b64 s[6:7], s[0:1]
	s_cbranch_execz .LBB35_59
; %bb.58:                               ;   in Loop: Header=BB35_31 Depth=1
	v_add_u32_e32 v55, -3, v0
	v_cmp_gt_i32_e32 vcc, s33, v55
	s_waitcnt vmcnt(0)
	v_cndmask_b32_e32 v9, 0, v9, vcc
	v_cmp_gt_i32_e32 vcc, s33, v23
	v_cndmask_b32_e32 v10, 0, v10, vcc
	v_cmp_gt_i32_e32 vcc, s33, v22
	;; [unrolled: 2-line block ×3, first 2 shown]
	v_cndmask_b32_e32 v12, 0, v12, vcc
.LBB35_59:                              ;   in Loop: Header=BB35_31 Depth=1
	s_or_b64 exec, exec, s[6:7]
	buffer_load_dword v55, off, s[40:43], 0 offset:124 ; 4-byte Folded Reload
	s_waitcnt vmcnt(0)
	v_add_co_u32_e32 v53, vcc, v53, v55
	v_addc_co_u32_e32 v54, vcc, 0, v54, vcc
	global_load_dwordx4 v[53:56], v[53:54], off
	s_and_saveexec_b64 s[6:7], s[0:1]
	s_cbranch_execz .LBB35_30
; %bb.60:                               ;   in Loop: Header=BB35_31 Depth=1
	v_mov_b32_e32 v21, v20
	v_mov_b32_e32 v20, v19
	;; [unrolled: 1-line block ×9, first 2 shown]
	v_add_u32_e32 v63, -3, v0
	v_cmp_gt_i32_e32 vcc, s33, v63
	s_waitcnt vmcnt(0)
	v_cndmask_b32_e32 v53, 0, v53, vcc
	v_cmp_gt_i32_e32 vcc, s33, v23
	v_mov_b32_e32 v63, v13
	v_mov_b32_e32 v13, v14
	v_cndmask_b32_e32 v54, 0, v54, vcc
	v_cmp_gt_i32_e32 vcc, s33, v22
	v_mov_b32_e32 v14, v15
	v_mov_b32_e32 v15, v16
	;; [unrolled: 1-line block ×4, first 2 shown]
	v_cndmask_b32_e32 v55, 0, v55, vcc
	v_cmp_gt_i32_e32 vcc, s33, v0
	v_mov_b32_e32 v18, v19
	v_mov_b32_e32 v19, v20
	;; [unrolled: 1-line block ×3, first 2 shown]
	v_cndmask_b32_e32 v56, 0, v56, vcc
	s_branch .LBB35_30
.LBB35_61:                              ;   in Loop: Header=BB35_31 Depth=1
	v_add_u32_e32 v5, -3, v0
	v_cmp_gt_i32_e32 vcc, s33, v5
	buffer_load_dword v5, off, s[40:43], 0 offset:16 ; 4-byte Folded Reload
	buffer_load_dword v6, off, s[40:43], 0 offset:20 ; 4-byte Folded Reload
	;; [unrolled: 1-line block ×4, first 2 shown]
	s_waitcnt vmcnt(3)
	v_cndmask_b32_e32 v5, 0, v5, vcc
	v_cmp_gt_i32_e32 vcc, s33, v23
	s_waitcnt vmcnt(2)
	v_cndmask_b32_e32 v6, 0, v6, vcc
	v_cmp_gt_i32_e32 vcc, s33, v22
	;; [unrolled: 3-line block ×3, first 2 shown]
	s_waitcnt vmcnt(0)
	v_cndmask_b32_e32 v8, 0, v8, vcc
	buffer_store_dword v5, off, s[40:43], 0 offset:16 ; 4-byte Folded Spill
	s_nop 0
	buffer_store_dword v6, off, s[40:43], 0 offset:20 ; 4-byte Folded Spill
	buffer_store_dword v7, off, s[40:43], 0 offset:24 ; 4-byte Folded Spill
	;; [unrolled: 1-line block ×3, first 2 shown]
	s_or_b64 exec, exec, s[6:7]
	global_load_dwordx4 v[13:16], v[9:10], off offset:2048
	s_and_saveexec_b64 s[6:7], s[0:1]
	s_cbranch_execz .LBB35_35
.LBB35_62:                              ;   in Loop: Header=BB35_31 Depth=1
	v_add_u32_e32 v5, -3, v0
	v_cmp_gt_i32_e32 vcc, s33, v5
	s_waitcnt vmcnt(0)
	v_cndmask_b32_e32 v13, 0, v13, vcc
	v_cmp_gt_i32_e32 vcc, s33, v23
	v_cndmask_b32_e32 v14, 0, v14, vcc
	v_cmp_gt_i32_e32 vcc, s33, v22
	;; [unrolled: 2-line block ×3, first 2 shown]
	v_cndmask_b32_e32 v16, 0, v16, vcc
	s_or_b64 exec, exec, s[6:7]
	global_load_dwordx4 v[17:20], v[9:10], off offset:3072
	s_and_saveexec_b64 s[6:7], s[0:1]
	s_cbranch_execnz .LBB35_36
	s_branch .LBB35_37
.LBB35_63:
	s_or_b64 exec, exec, s[4:5]
	buffer_load_dword v22, off, s[40:43], 0 offset:356 ; 4-byte Folded Reload
	buffer_load_dword v24, off, s[40:43], 0 offset:360 ; 4-byte Folded Reload
	buffer_load_dword v23, off, s[40:43], 0 offset:128 ; 4-byte Folded Reload
	buffer_load_dword v21, off, s[40:43], 0 offset:132 ; 4-byte Folded Reload
	buffer_load_dword v17, off, s[40:43], 0 offset:136 ; 4-byte Folded Reload
	buffer_load_dword v19, off, s[40:43], 0 offset:52 ; 4-byte Folded Reload
	buffer_load_dword v18, off, s[40:43], 0 offset:56 ; 4-byte Folded Reload
	buffer_load_dword v15, off, s[40:43], 0 offset:60 ; 4-byte Folded Reload
	buffer_load_dword v16, off, s[40:43], 0 offset:64 ; 4-byte Folded Reload
	buffer_load_dword v14, off, s[40:43], 0 offset:68 ; 4-byte Folded Reload
	buffer_load_dword v20, off, s[40:43], 0 offset:72 ; 4-byte Folded Reload
	buffer_load_dword v26, off, s[40:43], 0 offset:76 ; 4-byte Folded Reload
	buffer_load_dword v11, off, s[40:43], 0 offset:80 ; 4-byte Folded Reload
	buffer_load_dword v27, off, s[40:43], 0 offset:84 ; 4-byte Folded Reload
	buffer_load_dword v7, off, s[40:43], 0 offset:88 ; 4-byte Folded Reload
	buffer_load_dword v8, off, s[40:43], 0 offset:92 ; 4-byte Folded Reload
	buffer_load_dword v28, off, s[40:43], 0 offset:96 ; 4-byte Folded Reload
	buffer_load_dword v3, off, s[40:43], 0 offset:100 ; 4-byte Folded Reload
.LBB35_64:
	s_or_b64 exec, exec, s[2:3]
	s_waitcnt vmcnt(0)
	ds_bpermute_b32 v1, v17, v3
	ds_bpermute_b32 v0, v17, v5
	ds_bpermute_b32 v2, v17, v28
	ds_bpermute_b32 v6, v17, v7
	s_waitcnt lgkmcnt(0)
	v_add_f32_e32 v1, v3, v1
	v_add_f32_e32 v0, v5, v0
	ds_bpermute_b32 v4, v21, v1
	ds_bpermute_b32 v5, v17, v8
	;; [unrolled: 1-line block ×3, first 2 shown]
	v_add_f32_e32 v2, v28, v2
	v_add_f32_e32 v6, v7, v6
	s_waitcnt lgkmcnt(2)
	v_add_f32_e32 v1, v1, v4
	s_waitcnt lgkmcnt(1)
	;; [unrolled: 2-line block ×3, first 2 shown]
	v_add_f32_e32 v0, v0, v3
	ds_bpermute_b32 v3, v21, v2
	ds_bpermute_b32 v5, v21, v4
	;; [unrolled: 1-line block ×4, first 2 shown]
	s_waitcnt lgkmcnt(0)
	s_barrier
	v_add_f32_e32 v2, v2, v3
	v_add_f32_e32 v3, v4, v5
	ds_bpermute_b32 v5, v17, v11
	v_add_f32_e32 v4, v6, v7
	v_add_f32_e32 v7, v27, v8
	ds_bpermute_b32 v6, v17, v10
	ds_bpermute_b32 v8, v21, v7
	s_waitcnt lgkmcnt(2)
	v_add_f32_e32 v9, v11, v5
	v_mov_b32_e32 v5, v10
	ds_bpermute_b32 v10, v21, v9
	s_waitcnt lgkmcnt(2)
	v_add_f32_e32 v11, v5, v6
	s_waitcnt lgkmcnt(1)
	v_add_f32_e32 v5, v7, v8
	ds_bpermute_b32 v8, v17, v26
	ds_bpermute_b32 v12, v21, v11
	s_waitcnt lgkmcnt(2)
	v_add_f32_e32 v6, v9, v10
	ds_bpermute_b32 v9, v17, v20
	ds_bpermute_b32 v10, v17, v14
	s_waitcnt lgkmcnt(3)
	v_add_f32_e32 v8, v26, v8
	s_waitcnt lgkmcnt(2)
	v_add_f32_e32 v7, v11, v12
	ds_bpermute_b32 v11, v21, v8
	s_waitcnt lgkmcnt(2)
	v_add_f32_e32 v9, v20, v9
	ds_bpermute_b32 v12, v21, v9
	;; [unrolled: 3-line block ×4, first 2 shown]
	ds_bpermute_b32 v13, v21, v10
	s_waitcnt lgkmcnt(3)
	v_add_f32_e32 v9, v9, v12
	s_waitcnt lgkmcnt(2)
	v_add_f32_e32 v12, v16, v14
	ds_bpermute_b32 v14, v17, v18
	s_waitcnt lgkmcnt(2)
	v_add_f32_e32 v15, v15, v11
	ds_bpermute_b32 v11, v17, v19
	ds_bpermute_b32 v17, v17, v25
	s_waitcnt lgkmcnt(3)
	v_add_f32_e32 v10, v10, v13
	ds_bpermute_b32 v13, v21, v12
	ds_bpermute_b32 v16, v21, v15
	s_waitcnt lgkmcnt(4)
	v_add_f32_e32 v14, v18, v14
	s_waitcnt lgkmcnt(3)
	v_add_f32_e32 v19, v19, v11
	s_waitcnt lgkmcnt(2)
	v_add_f32_e32 v17, v25, v17
	ds_bpermute_b32 v18, v21, v14
	ds_bpermute_b32 v20, v21, v19
	;; [unrolled: 1-line block ×3, first 2 shown]
	s_waitcnt lgkmcnt(4)
	v_add_f32_e32 v11, v12, v13
	s_waitcnt lgkmcnt(3)
	v_add_f32_e32 v12, v15, v16
	v_and_b32_e32 v16, 0x3c3, v22
	s_waitcnt lgkmcnt(2)
	v_add_f32_e32 v13, v14, v18
	s_waitcnt lgkmcnt(1)
	v_add_f32_e32 v14, v19, v20
	;; [unrolled: 2-line block ×3, first 2 shown]
	v_cmp_eq_u32_e32 vcc, 64, v16
	s_and_saveexec_b64 s[0:1], vcc
	s_cbranch_execz .LBB35_66
; %bb.65:
	v_add_u32_e32 v17, 0x410, v23
	ds_write2_b32 v17, v0, v1 offset1:16
	ds_write2_b32 v17, v2, v3 offset0:32 offset1:48
	ds_write2_b32 v17, v4, v5 offset0:64 offset1:80
	;; [unrolled: 1-line block ×7, first 2 shown]
.LBB35_66:
	s_or_b64 exec, exec, s[0:1]
	v_cmp_gt_u32_e32 vcc, 64, v22
	s_waitcnt lgkmcnt(0)
	s_barrier
	s_and_saveexec_b64 s[0:1], vcc
	s_cbranch_execz .LBB35_85
; %bb.67:
	buffer_load_dword v18, off, s[40:43], 0 offset:368 ; 4-byte Folded Reload
	v_mov_b32_e32 v17, 0x410
	v_cmp_eq_u32_e32 vcc, 0, v24
	s_waitcnt vmcnt(0)
	v_lshl_add_u32 v17, v18, 2, v17
	s_and_saveexec_b64 s[2:3], vcc
	s_cbranch_execnz .LBB35_88
; %bb.68:
	s_or_b64 exec, exec, s[2:3]
	s_and_saveexec_b64 s[2:3], vcc
	s_cbranch_execnz .LBB35_89
.LBB35_69:
	s_or_b64 exec, exec, s[2:3]
	s_and_saveexec_b64 s[2:3], vcc
	s_cbranch_execnz .LBB35_90
.LBB35_70:
	s_or_b64 exec, exec, s[2:3]
	s_and_saveexec_b64 s[2:3], vcc
	s_cbranch_execnz .LBB35_91
.LBB35_71:
	s_or_b64 exec, exec, s[2:3]
	s_and_saveexec_b64 s[2:3], vcc
	s_cbranch_execnz .LBB35_92
.LBB35_72:
	s_or_b64 exec, exec, s[2:3]
	s_and_saveexec_b64 s[2:3], vcc
	s_cbranch_execnz .LBB35_93
.LBB35_73:
	s_or_b64 exec, exec, s[2:3]
	s_and_saveexec_b64 s[2:3], vcc
	s_cbranch_execnz .LBB35_94
.LBB35_74:
	s_or_b64 exec, exec, s[2:3]
	s_and_saveexec_b64 s[2:3], vcc
	s_cbranch_execnz .LBB35_95
.LBB35_75:
	s_or_b64 exec, exec, s[2:3]
	s_and_saveexec_b64 s[2:3], vcc
	s_cbranch_execnz .LBB35_96
.LBB35_76:
	s_or_b64 exec, exec, s[2:3]
	s_and_saveexec_b64 s[2:3], vcc
	s_cbranch_execnz .LBB35_97
.LBB35_77:
	s_or_b64 exec, exec, s[2:3]
	s_and_saveexec_b64 s[2:3], vcc
	s_cbranch_execnz .LBB35_98
.LBB35_78:
	s_or_b64 exec, exec, s[2:3]
	s_and_saveexec_b64 s[2:3], vcc
	s_cbranch_execnz .LBB35_99
.LBB35_79:
	s_or_b64 exec, exec, s[2:3]
	s_and_saveexec_b64 s[2:3], vcc
	s_cbranch_execnz .LBB35_100
.LBB35_80:
	s_or_b64 exec, exec, s[2:3]
	s_and_saveexec_b64 s[2:3], vcc
	s_cbranch_execnz .LBB35_101
.LBB35_81:
	s_or_b64 exec, exec, s[2:3]
	s_and_saveexec_b64 s[2:3], vcc
	s_cbranch_execnz .LBB35_102
.LBB35_82:
	s_or_b64 exec, exec, s[2:3]
	s_and_saveexec_b64 s[2:3], vcc
	s_cbranch_execz .LBB35_84
.LBB35_83:
	ds_read_b32 v17, v17 offset:960
	s_waitcnt lgkmcnt(0)
	v_add_f32_e32 v15, v15, v17
.LBB35_84:
	s_or_b64 exec, exec, s[2:3]
.LBB35_85:
	s_or_b64 exec, exec, s[0:1]
	v_cmp_eq_u32_e32 vcc, 0, v16
	s_barrier
	s_and_saveexec_b64 s[0:1], vcc
	s_cbranch_execz .LBB35_87
; %bb.86:
	buffer_load_dword v16, off, s[40:43], 0 offset:364 ; 4-byte Folded Reload
	s_mul_i32 s0, s10, s11
	s_mul_i32 s0, s0, s9
	s_lshl_b32 s0, s0, 8
	s_ashr_i32 s1, s0, 31
	s_lshl_b64 s[0:1], s[0:1], 2
	s_add_u32 s2, s18, s0
	s_mul_i32 s0, s11, s16
	s_addc_u32 s3, s19, s1
	s_ashr_i32 s1, s0, 31
	s_lshl_b64 s[0:1], s[0:1], 2
	s_add_u32 s2, s2, s0
	s_addc_u32 s3, s3, s1
	s_lshl_b32 s0, s8, 8
	s_ashr_i32 s1, s0, 31
	s_lshl_b64 s[0:1], s[0:1], 2
	s_add_u32 s0, s2, s0
	s_addc_u32 s1, s3, s1
	s_waitcnt vmcnt(0)
	global_store_dword v16, v0, s[0:1]
	global_store_dword v16, v1, s[0:1] offset:64
	global_store_dword v16, v2, s[0:1] offset:128
	;; [unrolled: 1-line block ×15, first 2 shown]
.LBB35_87:
	s_endpgm
.LBB35_88:
	ds_read_b32 v18, v17
	s_waitcnt lgkmcnt(0)
	v_add_f32_e32 v0, v0, v18
	s_or_b64 exec, exec, s[2:3]
	s_and_saveexec_b64 s[2:3], vcc
	s_cbranch_execz .LBB35_69
.LBB35_89:
	ds_read_b32 v18, v17 offset:64
	s_waitcnt lgkmcnt(0)
	v_add_f32_e32 v1, v1, v18
	s_or_b64 exec, exec, s[2:3]
	s_and_saveexec_b64 s[2:3], vcc
	s_cbranch_execz .LBB35_70
.LBB35_90:
	ds_read_b32 v18, v17 offset:128
	s_waitcnt lgkmcnt(0)
	v_add_f32_e32 v2, v2, v18
	s_or_b64 exec, exec, s[2:3]
	s_and_saveexec_b64 s[2:3], vcc
	s_cbranch_execz .LBB35_71
.LBB35_91:
	ds_read_b32 v18, v17 offset:192
	s_waitcnt lgkmcnt(0)
	v_add_f32_e32 v3, v3, v18
	s_or_b64 exec, exec, s[2:3]
	s_and_saveexec_b64 s[2:3], vcc
	s_cbranch_execz .LBB35_72
.LBB35_92:
	ds_read_b32 v18, v17 offset:256
	s_waitcnt lgkmcnt(0)
	v_add_f32_e32 v4, v4, v18
	s_or_b64 exec, exec, s[2:3]
	s_and_saveexec_b64 s[2:3], vcc
	s_cbranch_execz .LBB35_73
.LBB35_93:
	ds_read_b32 v18, v17 offset:320
	s_waitcnt lgkmcnt(0)
	v_add_f32_e32 v5, v5, v18
	s_or_b64 exec, exec, s[2:3]
	s_and_saveexec_b64 s[2:3], vcc
	s_cbranch_execz .LBB35_74
.LBB35_94:
	ds_read_b32 v18, v17 offset:384
	s_waitcnt lgkmcnt(0)
	v_add_f32_e32 v6, v6, v18
	s_or_b64 exec, exec, s[2:3]
	s_and_saveexec_b64 s[2:3], vcc
	s_cbranch_execz .LBB35_75
.LBB35_95:
	ds_read_b32 v18, v17 offset:448
	s_waitcnt lgkmcnt(0)
	v_add_f32_e32 v7, v7, v18
	s_or_b64 exec, exec, s[2:3]
	s_and_saveexec_b64 s[2:3], vcc
	s_cbranch_execz .LBB35_76
.LBB35_96:
	ds_read_b32 v18, v17 offset:512
	s_waitcnt lgkmcnt(0)
	v_add_f32_e32 v8, v8, v18
	s_or_b64 exec, exec, s[2:3]
	s_and_saveexec_b64 s[2:3], vcc
	s_cbranch_execz .LBB35_77
.LBB35_97:
	ds_read_b32 v18, v17 offset:576
	s_waitcnt lgkmcnt(0)
	v_add_f32_e32 v9, v9, v18
	s_or_b64 exec, exec, s[2:3]
	s_and_saveexec_b64 s[2:3], vcc
	s_cbranch_execz .LBB35_78
.LBB35_98:
	ds_read_b32 v18, v17 offset:640
	s_waitcnt lgkmcnt(0)
	v_add_f32_e32 v10, v10, v18
	s_or_b64 exec, exec, s[2:3]
	s_and_saveexec_b64 s[2:3], vcc
	s_cbranch_execz .LBB35_79
.LBB35_99:
	ds_read_b32 v18, v17 offset:704
	s_waitcnt lgkmcnt(0)
	v_add_f32_e32 v11, v11, v18
	s_or_b64 exec, exec, s[2:3]
	s_and_saveexec_b64 s[2:3], vcc
	s_cbranch_execz .LBB35_80
.LBB35_100:
	ds_read_b32 v18, v17 offset:768
	s_waitcnt lgkmcnt(0)
	v_add_f32_e32 v12, v12, v18
	s_or_b64 exec, exec, s[2:3]
	s_and_saveexec_b64 s[2:3], vcc
	s_cbranch_execz .LBB35_81
.LBB35_101:
	ds_read_b32 v18, v17 offset:832
	s_waitcnt lgkmcnt(0)
	v_add_f32_e32 v13, v13, v18
	s_or_b64 exec, exec, s[2:3]
	s_and_saveexec_b64 s[2:3], vcc
	s_cbranch_execz .LBB35_82
.LBB35_102:
	ds_read_b32 v18, v17 offset:896
	s_waitcnt lgkmcnt(0)
	v_add_f32_e32 v14, v14, v18
	s_or_b64 exec, exec, s[2:3]
	s_and_saveexec_b64 s[2:3], vcc
	s_cbranch_execnz .LBB35_83
	s_branch .LBB35_84
	.section	.rodata,"a",@progbits
	.p2align	6, 0x0
	.amdhsa_kernel _ZN4vllm25paged_attention_v1_kernelIffLi256ELi16ELi128ELNS_18Fp8KVCacheDataTypeE0ELb0EEEvPT_PKS2_PKT0_S8_ifPKiSA_iPKfiiiSC_SC_iiiii
		.amdhsa_group_segment_fixed_size 1040
		.amdhsa_private_segment_fixed_size 392
		.amdhsa_kernarg_size 384
		.amdhsa_user_sgpr_count 6
		.amdhsa_user_sgpr_private_segment_buffer 1
		.amdhsa_user_sgpr_dispatch_ptr 0
		.amdhsa_user_sgpr_queue_ptr 0
		.amdhsa_user_sgpr_kernarg_segment_ptr 1
		.amdhsa_user_sgpr_dispatch_id 0
		.amdhsa_user_sgpr_flat_scratch_init 0
		.amdhsa_user_sgpr_private_segment_size 0
		.amdhsa_uses_dynamic_stack 0
		.amdhsa_system_sgpr_private_segment_wavefront_offset 1
		.amdhsa_system_sgpr_workgroup_id_x 1
		.amdhsa_system_sgpr_workgroup_id_y 1
		.amdhsa_system_sgpr_workgroup_id_z 1
		.amdhsa_system_sgpr_workgroup_info 0
		.amdhsa_system_vgpr_workitem_id 0
		.amdhsa_next_free_vgpr 64
		.amdhsa_next_free_sgpr 44
		.amdhsa_reserve_vcc 1
		.amdhsa_reserve_flat_scratch 0
		.amdhsa_float_round_mode_32 0
		.amdhsa_float_round_mode_16_64 0
		.amdhsa_float_denorm_mode_32 3
		.amdhsa_float_denorm_mode_16_64 3
		.amdhsa_dx10_clamp 1
		.amdhsa_ieee_mode 1
		.amdhsa_fp16_overflow 0
		.amdhsa_exception_fp_ieee_invalid_op 0
		.amdhsa_exception_fp_denorm_src 0
		.amdhsa_exception_fp_ieee_div_zero 0
		.amdhsa_exception_fp_ieee_overflow 0
		.amdhsa_exception_fp_ieee_underflow 0
		.amdhsa_exception_fp_ieee_inexact 0
		.amdhsa_exception_int_div_zero 0
	.end_amdhsa_kernel
	.section	.text._ZN4vllm25paged_attention_v1_kernelIffLi256ELi16ELi128ELNS_18Fp8KVCacheDataTypeE0ELb0EEEvPT_PKS2_PKT0_S8_ifPKiSA_iPKfiiiSC_SC_iiiii,"axG",@progbits,_ZN4vllm25paged_attention_v1_kernelIffLi256ELi16ELi128ELNS_18Fp8KVCacheDataTypeE0ELb0EEEvPT_PKS2_PKT0_S8_ifPKiSA_iPKfiiiSC_SC_iiiii,comdat
.Lfunc_end35:
	.size	_ZN4vllm25paged_attention_v1_kernelIffLi256ELi16ELi128ELNS_18Fp8KVCacheDataTypeE0ELb0EEEvPT_PKS2_PKT0_S8_ifPKiSA_iPKfiiiSC_SC_iiiii, .Lfunc_end35-_ZN4vllm25paged_attention_v1_kernelIffLi256ELi16ELi128ELNS_18Fp8KVCacheDataTypeE0ELb0EEEvPT_PKS2_PKT0_S8_ifPKiSA_iPKfiiiSC_SC_iiiii
                                        ; -- End function
	.set _ZN4vllm25paged_attention_v1_kernelIffLi256ELi16ELi128ELNS_18Fp8KVCacheDataTypeE0ELb0EEEvPT_PKS2_PKT0_S8_ifPKiSA_iPKfiiiSC_SC_iiiii.num_vgpr, 64
	.set _ZN4vllm25paged_attention_v1_kernelIffLi256ELi16ELi128ELNS_18Fp8KVCacheDataTypeE0ELb0EEEvPT_PKS2_PKT0_S8_ifPKiSA_iPKfiiiSC_SC_iiiii.num_agpr, 0
	.set _ZN4vllm25paged_attention_v1_kernelIffLi256ELi16ELi128ELNS_18Fp8KVCacheDataTypeE0ELb0EEEvPT_PKS2_PKT0_S8_ifPKiSA_iPKfiiiSC_SC_iiiii.numbered_sgpr, 44
	.set _ZN4vllm25paged_attention_v1_kernelIffLi256ELi16ELi128ELNS_18Fp8KVCacheDataTypeE0ELb0EEEvPT_PKS2_PKT0_S8_ifPKiSA_iPKfiiiSC_SC_iiiii.num_named_barrier, 0
	.set _ZN4vllm25paged_attention_v1_kernelIffLi256ELi16ELi128ELNS_18Fp8KVCacheDataTypeE0ELb0EEEvPT_PKS2_PKT0_S8_ifPKiSA_iPKfiiiSC_SC_iiiii.private_seg_size, 392
	.set _ZN4vllm25paged_attention_v1_kernelIffLi256ELi16ELi128ELNS_18Fp8KVCacheDataTypeE0ELb0EEEvPT_PKS2_PKT0_S8_ifPKiSA_iPKfiiiSC_SC_iiiii.uses_vcc, 1
	.set _ZN4vllm25paged_attention_v1_kernelIffLi256ELi16ELi128ELNS_18Fp8KVCacheDataTypeE0ELb0EEEvPT_PKS2_PKT0_S8_ifPKiSA_iPKfiiiSC_SC_iiiii.uses_flat_scratch, 0
	.set _ZN4vllm25paged_attention_v1_kernelIffLi256ELi16ELi128ELNS_18Fp8KVCacheDataTypeE0ELb0EEEvPT_PKS2_PKT0_S8_ifPKiSA_iPKfiiiSC_SC_iiiii.has_dyn_sized_stack, 0
	.set _ZN4vllm25paged_attention_v1_kernelIffLi256ELi16ELi128ELNS_18Fp8KVCacheDataTypeE0ELb0EEEvPT_PKS2_PKT0_S8_ifPKiSA_iPKfiiiSC_SC_iiiii.has_recursion, 0
	.set _ZN4vllm25paged_attention_v1_kernelIffLi256ELi16ELi128ELNS_18Fp8KVCacheDataTypeE0ELb0EEEvPT_PKS2_PKT0_S8_ifPKiSA_iPKfiiiSC_SC_iiiii.has_indirect_call, 0
	.section	.AMDGPU.csdata,"",@progbits
; Kernel info:
; codeLenInByte = 9400
; TotalNumSgprs: 48
; NumVgprs: 64
; ScratchSize: 392
; MemoryBound: 0
; FloatMode: 240
; IeeeMode: 1
; LDSByteSize: 1040 bytes/workgroup (compile time only)
; SGPRBlocks: 5
; VGPRBlocks: 15
; NumSGPRsForWavesPerEU: 48
; NumVGPRsForWavesPerEU: 64
; Occupancy: 4
; WaveLimiterHint : 1
; COMPUTE_PGM_RSRC2:SCRATCH_EN: 1
; COMPUTE_PGM_RSRC2:USER_SGPR: 6
; COMPUTE_PGM_RSRC2:TRAP_HANDLER: 0
; COMPUTE_PGM_RSRC2:TGID_X_EN: 1
; COMPUTE_PGM_RSRC2:TGID_Y_EN: 1
; COMPUTE_PGM_RSRC2:TGID_Z_EN: 1
; COMPUTE_PGM_RSRC2:TIDIG_COMP_CNT: 0
	.section	.text._ZN4vllm25paged_attention_v1_kernelIffLi32ELi32ELi128ELNS_18Fp8KVCacheDataTypeE0ELb1EEEvPT_PKS2_PKT0_S8_ifPKiSA_iPKfiiiSC_SC_iiiii,"axG",@progbits,_ZN4vllm25paged_attention_v1_kernelIffLi32ELi32ELi128ELNS_18Fp8KVCacheDataTypeE0ELb1EEEvPT_PKS2_PKT0_S8_ifPKiSA_iPKfiiiSC_SC_iiiii,comdat
	.protected	_ZN4vllm25paged_attention_v1_kernelIffLi32ELi32ELi128ELNS_18Fp8KVCacheDataTypeE0ELb1EEEvPT_PKS2_PKT0_S8_ifPKiSA_iPKfiiiSC_SC_iiiii ; -- Begin function _ZN4vllm25paged_attention_v1_kernelIffLi32ELi32ELi128ELNS_18Fp8KVCacheDataTypeE0ELb1EEEvPT_PKS2_PKT0_S8_ifPKiSA_iPKfiiiSC_SC_iiiii
	.globl	_ZN4vllm25paged_attention_v1_kernelIffLi32ELi32ELi128ELNS_18Fp8KVCacheDataTypeE0ELb1EEEvPT_PKS2_PKT0_S8_ifPKiSA_iPKfiiiSC_SC_iiiii
	.p2align	8
	.type	_ZN4vllm25paged_attention_v1_kernelIffLi32ELi32ELi128ELNS_18Fp8KVCacheDataTypeE0ELb1EEEvPT_PKS2_PKT0_S8_ifPKiSA_iPKfiiiSC_SC_iiiii,@function
_ZN4vllm25paged_attention_v1_kernelIffLi32ELi32ELi128ELNS_18Fp8KVCacheDataTypeE0ELb1EEEvPT_PKS2_PKT0_S8_ifPKiSA_iPKfiiiSC_SC_iiiii: ; @_ZN4vllm25paged_attention_v1_kernelIffLi32ELi32ELi128ELNS_18Fp8KVCacheDataTypeE0ELb1EEEvPT_PKS2_PKT0_S8_ifPKiSA_iPKfiiiSC_SC_iiiii
; %bb.0:
	s_load_dword s9, s[4:5], 0x80
	s_load_dwordx2 s[0:1], s[4:5], 0x30
	s_load_dwordx2 s[30:31], s[4:5], 0x20
	s_mov_b32 s10, s7
	s_ashr_i32 s11, s7, 31
	s_lshl_b64 s[2:3], s[10:11], 2
	s_waitcnt lgkmcnt(0)
	s_add_u32 s0, s0, s2
	s_addc_u32 s1, s1, s3
	s_abs_i32 s2, s30
	v_cvt_f32_u32_e32 v1, s2
	s_sub_i32 s11, 0, s2
	s_abs_i32 s7, s9
	s_xor_b32 s3, s9, s30
	v_rcp_iflag_f32_e32 v1, v1
	s_ashr_i32 s3, s3, 31
	s_mov_b32 s42, 0
	v_mul_f32_e32 v1, 0x4f7ffffe, v1
	v_cvt_u32_f32_e32 v1, v1
	v_readfirstlane_b32 s12, v1
	s_mul_i32 s11, s11, s12
	s_mul_hi_u32 s11, s12, s11
	s_add_i32 s12, s12, s11
	s_mul_hi_u32 s11, s7, s12
	s_mul_i32 s12, s11, s2
	s_sub_i32 s7, s7, s12
	s_add_i32 s12, s11, 1
	s_sub_i32 s13, s7, s2
	s_cmp_ge_u32 s7, s2
	s_cselect_b32 s11, s12, s11
	s_cselect_b32 s7, s13, s7
	s_add_i32 s12, s11, 1
	s_cmp_ge_u32 s7, s2
	s_cselect_b32 s2, s12, s11
	s_xor_b32 s2, s2, s3
	s_sub_i32 s12, s2, s3
	s_abs_i32 s11, s12
	v_cvt_f32_u32_e32 v1, s11
	s_load_dwordx2 s[2:3], s[4:5], 0x40
	s_sub_i32 s7, 0, s11
	s_abs_i32 s22, s6
	v_rcp_iflag_f32_e32 v1, v1
	v_mul_f32_e32 v1, 0x4f7ffffe, v1
	v_cvt_u32_f32_e32 v1, v1
	v_readfirstlane_b32 s13, v1
	s_mul_i32 s7, s7, s13
	s_mul_hi_u32 s7, s13, s7
	s_add_i32 s13, s13, s7
	s_waitcnt lgkmcnt(0)
	s_cmp_eq_u64 s[2:3], 0
	s_mul_hi_u32 s23, s22, s13
	s_cbranch_scc1 .LBB36_2
; %bb.1:
	s_ashr_i32 s7, s6, 31
	s_lshl_b64 s[14:15], s[6:7], 2
	s_add_u32 s2, s2, s14
	s_addc_u32 s3, s3, s15
	s_load_dword s42, s[2:3], 0x0
.LBB36_2:
	s_load_dword s33, s[0:1], 0x0
	s_ashr_i32 s7, s12, 31
	s_load_dwordx4 s[12:15], s[4:5], 0x48
	s_ashr_i32 s2, s6, 31
	v_and_b32_e32 v1, 1, v0
	s_lshl_b32 s20, s6, 5
	v_cmp_gt_u32_e32 vcc, 16, v0
	v_lshlrev_b32_e32 v2, 3, v0
	v_lshlrev_b32_e32 v3, 2, v0
	s_and_saveexec_b64 s[0:1], vcc
	s_cbranch_execz .LBB36_4
; %bb.3:
	s_load_dwordx2 s[16:17], s[4:5], 0x8
	s_waitcnt lgkmcnt(0)
	s_mul_i32 s18, s12, s10
	s_ashr_i32 s19, s18, 31
	s_lshl_b64 s[18:19], s[18:19], 2
	v_and_b32_e32 v6, 0xff8, v3
	s_add_u32 s3, s16, s18
	s_addc_u32 s12, s17, s19
	s_ashr_i32 s21, s20, 31
	s_lshl_b64 s[16:17], s[20:21], 2
	s_add_u32 s16, s3, s16
	s_addc_u32 s17, s12, s17
	global_load_dwordx2 v[4:5], v2, s[16:17]
	v_lshl_add_u32 v6, v1, 6, v6
	s_waitcnt vmcnt(0)
	ds_write_b64 v6, v[4:5]
.LBB36_4:
	s_or_b64 exec, exec, s[0:1]
	s_mul_i32 s1, s23, s11
	s_sub_i32 s1, s22, s1
	s_xor_b32 s0, s2, s7
	s_add_i32 s2, s23, 1
	s_sub_i32 s7, s1, s11
	s_load_dwordx4 s[16:19], s[4:5], 0x68
	s_load_dword s3, s[4:5], 0x78
	s_cmp_ge_u32 s1, s11
	s_cselect_b32 s2, s2, s23
	s_cselect_b32 s1, s7, s1
	s_add_i32 s7, s2, 1
	s_cmp_ge_u32 s1, s11
	s_cselect_b32 s1, s7, s2
	s_waitcnt lgkmcnt(0)
	s_abs_i32 s21, s19
	v_cvt_f32_u32_e32 v4, s21
	s_xor_b32 s1, s1, s0
	s_sub_i32 s2, s1, s0
	s_sub_i32 s0, 0, s21
	v_rcp_iflag_f32_e32 v4, v4
	s_add_i32 s11, s33, -1
	s_abs_i32 s7, s11
	v_mul_f32_e32 v4, 0x4f7ffffe, v4
	v_cvt_u32_f32_e32 v4, v4
	s_barrier
	v_readfirstlane_b32 s40, v4
	s_mul_i32 s0, s0, s40
	s_mul_hi_u32 s0, s40, s0
	s_add_i32 s40, s40, s0
	s_cmp_lt_i32 s3, 0
	s_mul_hi_u32 s12, s7, s40
	s_cbranch_scc0 .LBB36_6
; %bb.5:
	s_mul_i32 s0, s16, s30
	s_add_i32 s0, s2, s0
	s_mul_i32 s0, s0, s3
	s_sub_i32 s41, 1, s0
	s_mov_b64 s[0:1], 0
	s_branch .LBB36_7
.LBB36_6:
	s_mov_b64 s[0:1], -1
                                        ; implicit-def: $sgpr41
.LBB36_7:
	s_load_dwordx2 s[24:25], s[4:5], 0x28
	s_ashr_i32 s15, s11, 31
	s_andn2_b64 vcc, exec, s[0:1]
	s_ashr_i32 s19, s19, 31
	s_cbranch_vccnz .LBB36_9
; %bb.8:
	s_mul_i32 s0, s9, s16
	s_add_i32 s0, s0, s6
	s_mul_i32 s0, s0, s3
	s_add_i32 s41, s0, 1
.LBB36_9:
	s_load_dword s0, s[4:5], 0x38
	s_load_dwordx2 s[22:23], s[4:5], 0x0
	s_load_dwordx2 s[28:29], s[4:5], 0x18
	s_load_dword s11, s[4:5], 0x88
	s_xor_b32 s1, s15, s19
	s_waitcnt lgkmcnt(0)
	s_mul_i32 s26, s0, s10
	s_mul_i32 s0, s12, s21
	s_sub_i32 s0, s7, s0
	s_ashr_i32 s27, s26, 31
	s_add_i32 s3, s12, 1
	s_sub_i32 s6, s0, s21
	s_cmp_ge_u32 s0, s21
	s_cselect_b32 s3, s3, s12
	s_cselect_b32 s0, s6, s0
	s_add_i32 s6, s3, 1
	s_cmp_ge_u32 s0, s21
	s_cselect_b32 s0, s6, s3
	s_xor_b32 s0, s0, s1
	s_sub_i32 s12, s0, s1
	s_add_i32 s0, s33, 31
	s_ashr_i32 s1, s0, 31
	s_lshr_b32 s1, s1, 27
	s_add_i32 s0, s0, s1
	s_ashr_i32 s16, s0, 5
	v_lshrrev_b32_e32 v23, 6, v0
	v_cmp_gt_i32_e64 s[0:1], s16, v23
	v_mov_b32_e32 v7, 0xff7fffff
	s_mul_i32 s14, s2, s14
	v_lshrrev_b32_e32 v4, 4, v0
	v_lshlrev_b32_e32 v24, 5, v23
	v_mbcnt_lo_u32_b32 v5, -1, 0
	s_and_saveexec_b64 s[34:35], s[0:1]
	s_cbranch_execz .LBB36_21
; %bb.10:
	s_load_dwordx2 s[2:3], s[4:5], 0x10
	s_ashr_i32 s15, s14, 31
	s_sub_i32 s30, s12, s17
	s_lshl_b64 s[4:5], s[14:15], 2
	v_bfe_u32 v6, v0, 1, 5
	s_waitcnt lgkmcnt(0)
	s_add_u32 s2, s2, s4
	s_addc_u32 s3, s3, s5
	s_abs_i32 s15, s18
	v_cvt_f32_u32_e32 v7, s15
	v_mov_b32_e32 v9, s3
	s_sub_i32 s3, 0, s15
	v_lshlrev_b32_e32 v8, 4, v6
	v_rcp_iflag_f32_e32 v7, v7
	s_lshl_b64 s[4:5], s[26:27], 2
	v_and_b32_e32 v2, 8, v2
	v_lshlrev_b32_e32 v14, 2, v6
	v_mul_f32_e32 v7, 0x4f7ffffe, v7
	v_cvt_u32_f32_e32 v7, v7
	s_add_u32 s4, s24, s4
	v_cmp_eq_u32_e32 vcc, 0, v1
	s_addc_u32 s5, s25, s5
	v_mul_lo_u32 v10, s3, v7
	v_add_co_u32_e64 v8, s[2:3], s2, v8
	v_addc_co_u32_e64 v9, s[2:3], 0, v9, s[2:3]
	v_mul_hi_u32 v11, v7, v10
	v_add_co_u32_e64 v8, s[2:3], v8, v2
	v_lshlrev_b32_e32 v10, 6, v1
	v_add_u32_e32 v11, v7, v11
	v_subrev_u32_e32 v7, s33, v6
	v_and_b32_e32 v1, 60, v4
	v_add_u32_e32 v13, 1, v7
	v_lshl_or_b32 v7, v23, 7, v14
	v_mbcnt_hi_u32_b32 v16, -1, v5
	v_addc_co_u32_e64 v9, s[2:3], 0, v9, s[2:3]
	v_mov_b32_e32 v2, s5
	v_add_co_u32_e64 v1, s[4:5], s4, v1
	v_add_u32_e32 v14, 0x90, v7
	v_and_b32_e32 v7, 64, v16
	s_mov_b32 s43, s13
	v_cmp_neq_f32_e64 s[2:3], s42, 0
	v_addc_co_u32_e64 v2, s[4:5], 0, v2, s[4:5]
	v_lshlrev_b32_e32 v12, 5, v23
	v_mov_b32_e32 v15, 0xff7fffff
	s_mov_b64 s[36:37], 0
	v_xor_b32_e32 v17, 1, v16
	v_add_u32_e32 v18, 64, v7
	v_mov_b32_e32 v7, 0xff7fffff
	v_mov_b32_e32 v19, v23
	s_branch .LBB36_13
.LBB36_11:                              ;   in Loop: Header=BB36_13 Depth=1
	s_or_b64 exec, exec, s[38:39]
.LBB36_12:                              ;   in Loop: Header=BB36_13 Depth=1
	s_or_b64 exec, exec, s[6:7]
	v_add_co_u32_e64 v1, s[4:5], 8, v1
	v_add_u32_e32 v19, 2, v19
	v_addc_co_u32_e64 v2, s[4:5], 0, v2, s[4:5]
	v_cmp_le_i32_e64 s[4:5], s16, v19
	v_add_u32_e32 v12, 64, v12
	s_or_b64 s[36:37], s[4:5], s[36:37]
	v_add_u32_e32 v14, 0x100, v14
	s_andn2_b64 exec, exec, s[36:37]
	s_cbranch_execz .LBB36_20
.LBB36_13:                              ; =>This Inner Loop Header: Depth=1
	v_mul_hi_u32 v20, v12, s40
	s_waitcnt lgkmcnt(0)
	v_mul_lo_u32 v21, v20, s21
	v_add_u32_e32 v22, 1, v20
	v_sub_u32_e32 v21, v12, v21
	v_cmp_le_u32_e64 s[4:5], s21, v21
	v_cndmask_b32_e64 v20, v20, v22, s[4:5]
	v_subrev_u32_e32 v22, s21, v21
	v_cndmask_b32_e64 v21, v21, v22, s[4:5]
	v_add_u32_e32 v22, 1, v20
	v_cmp_le_u32_e64 s[4:5], s21, v21
	v_cndmask_b32_e64 v20, v20, v22, s[4:5]
	v_xor_b32_e32 v20, s19, v20
	v_subrev_u32_e32 v20, s19, v20
	v_add_u32_e32 v21, s41, v20
	v_sub_u32_e32 v22, 0, v21
	v_max_i32_e32 v22, v21, v22
	v_mul_hi_u32 v25, v22, v11
	v_ashrrev_i32_e32 v21, 31, v21
	v_cmp_ge_i32_e64 s[6:7], s30, v20
	v_mul_lo_u32 v25, v25, s15
	v_sub_u32_e32 v22, v22, v25
	v_subrev_u32_e32 v25, s15, v22
	v_cmp_le_u32_e64 s[4:5], s15, v22
	v_cndmask_b32_e64 v22, v22, v25, s[4:5]
	v_subrev_u32_e32 v25, s15, v22
	v_cmp_le_u32_e64 s[4:5], s15, v22
	v_cndmask_b32_e64 v22, v22, v25, s[4:5]
	v_xor_b32_e32 v22, v22, v21
	v_sub_u32_e32 v21, v22, v21
	v_cmp_ne_u32_e64 s[4:5], 0, v21
	s_and_b64 s[4:5], s[4:5], s[6:7]
	s_and_saveexec_b64 s[6:7], s[4:5]
	s_xor_b64 s[4:5], exec, s[6:7]
	s_cbranch_execz .LBB36_17
; %bb.14:                               ;   in Loop: Header=BB36_13 Depth=1
	s_and_saveexec_b64 s[6:7], vcc
; %bb.15:                               ;   in Loop: Header=BB36_13 Depth=1
	ds_write_b32 v14, v15
; %bb.16:                               ;   in Loop: Header=BB36_13 Depth=1
	s_or_b64 exec, exec, s[6:7]
.LBB36_17:                              ;   in Loop: Header=BB36_13 Depth=1
	s_andn2_saveexec_b64 s[6:7], s[4:5]
	s_cbranch_execz .LBB36_12
; %bb.18:                               ;   in Loop: Header=BB36_13 Depth=1
	global_load_dword v20, v[1:2], off
	s_waitcnt vmcnt(0)
	v_mad_i64_i32 v[20:21], s[4:5], v20, s43, 0
	v_lshlrev_b64 v[20:21], 2, v[20:21]
	v_add_co_u32_e64 v20, s[4:5], v8, v20
	v_addc_co_u32_e64 v21, s[4:5], v9, v21, s[4:5]
	global_load_dwordx2 v[41:42], v[20:21], off offset:512
	global_load_dwordx2 v[43:44], v[20:21], off offset:1024
	;; [unrolled: 1-line block ×3, first 2 shown]
	global_load_dwordx2 v[47:48], v[20:21], off
	global_load_dwordx2 v[49:50], v[20:21], off offset:2048
	global_load_dwordx2 v[51:52], v[20:21], off offset:2560
	global_load_dwordx2 v[53:54], v[20:21], off offset:3072
	s_nop 0
	global_load_dwordx2 v[20:21], v[20:21], off offset:3584
	ds_read_b128 v[25:28], v10
	ds_read_b128 v[29:32], v10 offset:16
	ds_read_b128 v[33:36], v10 offset:32
	;; [unrolled: 1-line block ×3, first 2 shown]
	v_cmp_lt_i32_e64 s[4:5], v17, v18
	v_cndmask_b32_e64 v22, v16, v17, s[4:5]
	v_lshlrev_b32_e32 v22, 2, v22
	s_waitcnt vmcnt(7) lgkmcnt(3)
	v_mul_f32_e32 v27, v27, v41
	v_mul_f32_e32 v28, v28, v42
	s_waitcnt vmcnt(4)
	v_fmac_f32_e32 v27, v25, v47
	v_fmac_f32_e32 v28, v26, v48
	s_waitcnt lgkmcnt(2)
	v_fmac_f32_e32 v27, v29, v43
	v_fmac_f32_e32 v28, v30, v44
	;; [unrolled: 1-line block ×4, first 2 shown]
	s_waitcnt vmcnt(3) lgkmcnt(1)
	v_fmac_f32_e32 v27, v33, v49
	v_fmac_f32_e32 v28, v34, v50
	s_waitcnt vmcnt(2)
	v_fmac_f32_e32 v27, v35, v51
	v_fmac_f32_e32 v28, v36, v52
	s_waitcnt vmcnt(1) lgkmcnt(0)
	v_fmac_f32_e32 v27, v37, v53
	v_fmac_f32_e32 v28, v38, v54
	s_waitcnt vmcnt(0)
	v_fmac_f32_e32 v27, v39, v20
	v_fmac_f32_e32 v28, v40, v21
	v_add_f32_e32 v20, v27, v28
	ds_bpermute_b32 v21, v22, v20
	s_and_saveexec_b64 s[38:39], vcc
	s_cbranch_execz .LBB36_11
; %bb.19:                               ;   in Loop: Header=BB36_13 Depth=1
	v_add_u32_e32 v22, v13, v12
	v_cvt_f32_i32_e32 v22, v22
	s_waitcnt lgkmcnt(0)
	v_add_f32_e32 v20, v20, v21
	v_add_u32_e32 v25, v6, v12
	v_cmp_gt_i32_e64 s[4:5], s33, v25
	v_mul_f32_e32 v21, s42, v22
	v_cndmask_b32_e64 v21, 0, v21, s[2:3]
	v_fmac_f32_e32 v21, s31, v20
	v_cndmask_b32_e64 v20, 0, v21, s[4:5]
	ds_write_b32 v14, v20
	v_max_f32_e32 v20, v7, v7
	v_max_f32_e32 v20, v20, v21
	v_cndmask_b32_e64 v7, v7, v20, s[4:5]
	s_branch .LBB36_11
.LBB36_20:
	s_or_b64 exec, exec, s[36:37]
.LBB36_21:
	s_or_b64 exec, exec, s[34:35]
	v_mbcnt_hi_u32_b32 v1, -1, v5
	v_and_b32_e32 v9, 64, v1
	v_add_u32_e32 v10, 64, v9
	v_xor_b32_e32 v2, 32, v1
	v_cmp_lt_i32_e32 vcc, v2, v10
	v_cndmask_b32_e32 v2, v1, v2, vcc
	v_lshlrev_b32_e32 v2, 2, v2
	ds_bpermute_b32 v5, v2, v7
	v_max_f32_e32 v6, v7, v7
	v_xor_b32_e32 v7, 16, v1
	v_cmp_lt_i32_e32 vcc, v7, v10
	v_xor_b32_e32 v8, 8, v1
	s_waitcnt lgkmcnt(0)
	v_max_f32_e32 v5, v5, v5
	v_max_f32_e32 v6, v6, v5
	v_cndmask_b32_e32 v5, v1, v7, vcc
	v_lshlrev_b32_e32 v5, 2, v5
	ds_bpermute_b32 v7, v5, v6
	v_cmp_lt_i32_e32 vcc, v8, v10
	v_xor_b32_e32 v11, 4, v1
	v_and_b32_e32 v25, 63, v0
	s_waitcnt lgkmcnt(0)
	v_max_f32_e32 v7, v7, v7
	v_max_f32_e32 v7, v6, v7
	v_cndmask_b32_e32 v6, v1, v8, vcc
	v_lshlrev_b32_e32 v6, 2, v6
	ds_bpermute_b32 v8, v6, v7
	v_cmp_lt_i32_e32 vcc, v11, v10
	s_waitcnt lgkmcnt(0)
	v_max_f32_e32 v8, v8, v8
	v_max_f32_e32 v7, v7, v8
	v_cndmask_b32_e32 v8, v1, v11, vcc
	v_lshlrev_b32_e32 v27, 2, v8
	ds_bpermute_b32 v8, v27, v7
	v_xor_b32_e32 v11, 2, v1
	v_cmp_lt_i32_e32 vcc, v11, v10
	s_waitcnt lgkmcnt(0)
	v_max_f32_e32 v8, v8, v8
	v_max_f32_e32 v8, v7, v8
	v_cndmask_b32_e32 v7, v1, v11, vcc
	v_lshlrev_b32_e32 v26, 2, v7
	ds_bpermute_b32 v11, v26, v8
	v_cmp_eq_u32_e32 vcc, 0, v25
	v_lshlrev_b32_e32 v7, 2, v23
	s_and_saveexec_b64 s[2:3], vcc
	s_cbranch_execz .LBB36_23
; %bb.22:
	s_waitcnt lgkmcnt(0)
	v_max_f32_e32 v11, v11, v11
	v_max_f32_e32 v8, v8, v8
	;; [unrolled: 1-line block ×3, first 2 shown]
	ds_write_b32 v7, v8 offset:128
.LBB36_23:
	s_or_b64 exec, exec, s[2:3]
	v_cmp_gt_u32_e64 s[2:3], 2, v25
	s_waitcnt lgkmcnt(0)
	v_mov_b32_e32 v11, 0xff7fffff
	v_lshlrev_b32_e32 v8, 2, v25
	s_barrier
	s_and_saveexec_b64 s[4:5], s[2:3]
; %bb.24:
	ds_read_b32 v11, v8 offset:128
; %bb.25:
	s_or_b64 exec, exec, s[4:5]
	v_xor_b32_e32 v12, 1, v1
	v_cmp_lt_i32_e64 s[4:5], v12, v10
	v_cndmask_b32_e64 v10, v1, v12, s[4:5]
	v_lshlrev_b32_e32 v28, 2, v10
	s_waitcnt lgkmcnt(0)
	ds_bpermute_b32 v10, v28, v11
	v_max_f32_e32 v11, v11, v11
	v_lshlrev_b32_e32 v9, 2, v9
	s_lshl_b32 s4, s16, 5
	s_min_i32 s15, s4, s33
	s_waitcnt lgkmcnt(0)
	v_max_f32_e32 v10, v10, v10
	v_max_f32_e32 v10, v11, v10
	ds_bpermute_b32 v10, v9, v10
	v_cmp_gt_i32_e64 s[4:5], s15, v0
	v_mov_b32_e32 v9, 0
	s_and_saveexec_b64 s[30:31], s[4:5]
	s_cbranch_execz .LBB36_29
; %bb.26:
	v_mov_b32_e32 v9, 0x90
	v_lshl_add_u32 v11, v0, 2, v9
	v_mov_b32_e32 v9, 0
	s_mov_b64 s[34:35], 0
	v_mov_b32_e32 v12, v0
.LBB36_27:                              ; =>This Inner Loop Header: Depth=1
	ds_read_b32 v13, v11
	v_add_u32_e32 v12, 0x80, v12
	v_cmp_le_i32_e64 s[6:7], s15, v12
	s_or_b64 s[34:35], s[6:7], s[34:35]
	s_waitcnt lgkmcnt(0)
	v_sub_f32_e32 v13, v13, v10
	v_mul_f32_e32 v13, 0x3fb8aa3b, v13
	v_exp_f32_e32 v13, v13
	ds_write_b32 v11, v13
	v_add_f32_e32 v9, v9, v13
	v_add_u32_e32 v11, 0x200, v11
	s_andn2_b64 exec, exec, s[34:35]
	s_cbranch_execnz .LBB36_27
; %bb.28:
	s_or_b64 exec, exec, s[34:35]
.LBB36_29:
	s_or_b64 exec, exec, s[30:31]
	ds_bpermute_b32 v2, v2, v9
	s_waitcnt lgkmcnt(0)
	v_add_f32_e32 v2, v9, v2
	ds_bpermute_b32 v5, v5, v2
	s_waitcnt lgkmcnt(0)
	v_add_f32_e32 v2, v2, v5
	;; [unrolled: 3-line block ×6, first 2 shown]
	s_and_saveexec_b64 s[6:7], vcc
; %bb.30:
	ds_write_b32 v7, v2 offset:136
; %bb.31:
	s_or_b64 exec, exec, s[6:7]
	s_waitcnt lgkmcnt(0)
	s_barrier
	s_and_saveexec_b64 s[6:7], s[2:3]
; %bb.32:
	ds_read_b32 v2, v8 offset:136
; %bb.33:
	s_or_b64 exec, exec, s[6:7]
	s_waitcnt lgkmcnt(0)
	ds_bpermute_b32 v5, v28, v2
	v_lshlrev_b32_e32 v1, 2, v1
	v_and_b32_e32 v1, 0x100, v1
	s_waitcnt lgkmcnt(0)
	v_add_f32_e32 v2, v2, v5
	ds_bpermute_b32 v1, v1, v2
	s_and_saveexec_b64 s[2:3], s[4:5]
	s_cbranch_execz .LBB36_36
; %bb.34:
	s_waitcnt lgkmcnt(0)
	v_add_f32_e32 v2, 0x358637bd, v1
	v_div_scale_f32 v1, s[4:5], v2, v2, 1.0
	v_div_scale_f32 v5, vcc, 1.0, v2, 1.0
	s_mov_b64 s[4:5], 0
	v_rcp_f32_e32 v6, v1
	v_fma_f32 v7, -v1, v6, 1.0
	v_fmac_f32_e32 v6, v7, v6
	v_mul_f32_e32 v7, v5, v6
	v_fma_f32 v8, -v1, v7, v5
	v_fmac_f32_e32 v7, v8, v6
	v_fma_f32 v1, -v1, v7, v5
	v_div_fmas_f32 v5, v1, v6, v7
	v_mov_b32_e32 v1, 0x90
	v_lshl_add_u32 v1, v0, 2, v1
	v_div_fixup_f32 v2, v5, v2, 1.0
	v_mov_b32_e32 v5, v0
.LBB36_35:                              ; =>This Inner Loop Header: Depth=1
	ds_read_b32 v6, v1
	v_add_u32_e32 v5, 0x80, v5
	v_cmp_le_i32_e32 vcc, s15, v5
	s_or_b64 s[4:5], vcc, s[4:5]
	s_waitcnt lgkmcnt(0)
	v_mul_f32_e32 v6, v2, v6
	ds_write_b32 v1, v6
	v_add_u32_e32 v1, 0x200, v1
	s_andn2_b64 exec, exec, s[4:5]
	s_cbranch_execnz .LBB36_35
.LBB36_36:
	s_or_b64 exec, exec, s[2:3]
	v_mov_b32_e32 v32, 0
	v_and_b32_e32 v29, 7, v0
	v_mov_b32_e32 v33, 0
	v_mov_b32_e32 v31, 0
	;; [unrolled: 1-line block ×3, first 2 shown]
	s_waitcnt lgkmcnt(0)
	s_barrier
	s_and_saveexec_b64 s[2:3], s[0:1]
	s_cbranch_execz .LBB36_50
; %bb.37:
	s_ashr_i32 s15, s14, 31
	s_sub_i32 s17, s12, s17
	s_lshl_b64 s[0:1], s[14:15], 2
	s_add_u32 s0, s28, s0
	s_addc_u32 s1, s29, s1
	s_abs_i32 s14, s18
	v_cvt_f32_u32_e32 v1, s14
	s_sub_i32 s4, 0, s14
	v_and_b32_e32 v34, 28, v3
	v_and_b32_e32 v3, 60, v4
	v_rcp_iflag_f32_e32 v1, v1
	v_lshlrev_b32_e32 v2, 4, v0
	v_and_b32_e32 v2, 0x3f0, v2
	s_add_i32 s18, s16, -1
	v_mul_f32_e32 v1, 0x4f7ffffe, v1
	v_cvt_u32_f32_e32 v1, v1
	v_mov_b32_e32 v5, s1
	v_add_co_u32_e32 v35, vcc, s0, v2
	v_mul_lo_u32 v4, s4, v1
	s_lshl_b64 s[0:1], s[26:27], 2
	s_add_u32 s0, s24, s0
	v_addc_co_u32_e32 v36, vcc, 0, v5, vcc
	v_mul_hi_u32 v4, v1, v4
	s_addc_u32 s1, s25, s1
	v_add_co_u32_e32 v21, vcc, s0, v3
	v_add_u32_e32 v37, v1, v4
	v_mov_b32_e32 v1, s1
	v_addc_co_u32_e32 v22, vcc, 0, v1, vcc
	v_lshlrev_b32_e32 v1, 4, v29
	v_lshl_or_b32 v1, v23, 7, v1
	s_mov_b32 s15, s13
	v_mov_b32_e32 v30, 0
	v_add_u32_e32 v38, 0x90, v1
	s_mov_b64 s[4:5], 0
	v_mov_b32_e32 v31, 0
	v_mov_b32_e32 v33, 0
	;; [unrolled: 1-line block ×3, first 2 shown]
	s_branch .LBB36_40
.LBB36_38:                              ;   in Loop: Header=BB36_40 Depth=1
	s_or_b64 exec, exec, s[0:1]
	s_waitcnt vmcnt(1) lgkmcnt(0)
	v_mul_f32_e32 v13, v1, v13
	v_mul_f32_e32 v9, v1, v9
	;; [unrolled: 1-line block ×3, first 2 shown]
	s_waitcnt vmcnt(0)
	v_mul_f32_e32 v1, v1, v17
	v_fmac_f32_e32 v13, v2, v14
	v_fmac_f32_e32 v9, v2, v10
	;; [unrolled: 1-line block ×12, first 2 shown]
	v_add_f32_e32 v31, v31, v13
	v_add_f32_e32 v33, v33, v9
	;; [unrolled: 1-line block ×4, first 2 shown]
.LBB36_39:                              ;   in Loop: Header=BB36_40 Depth=1
	s_or_b64 exec, exec, s[6:7]
	v_add_co_u32_e32 v21, vcc, 8, v21
	v_add_u32_e32 v23, 2, v23
	v_addc_co_u32_e32 v22, vcc, 0, v22, vcc
	v_cmp_le_i32_e32 vcc, s16, v23
	v_add_u32_e32 v24, 64, v24
	s_or_b64 s[4:5], vcc, s[4:5]
	v_add_u32_e32 v38, 0x100, v38
	s_andn2_b64 exec, exec, s[4:5]
	s_cbranch_execz .LBB36_49
.LBB36_40:                              ; =>This Inner Loop Header: Depth=1
	v_mul_hi_u32 v1, v24, s40
	v_mul_lo_u32 v2, v1, s21
	v_add_u32_e32 v3, 1, v1
	v_sub_u32_e32 v2, v24, v2
	v_cmp_le_u32_e32 vcc, s21, v2
	v_cndmask_b32_e32 v1, v1, v3, vcc
	v_subrev_u32_e32 v3, s21, v2
	v_cndmask_b32_e32 v2, v2, v3, vcc
	v_add_u32_e32 v3, 1, v1
	v_cmp_le_u32_e32 vcc, s21, v2
	v_cndmask_b32_e32 v1, v1, v3, vcc
	v_xor_b32_e32 v1, s19, v1
	v_subrev_u32_e32 v1, s19, v1
	v_add_u32_e32 v2, s41, v1
	v_sub_u32_e32 v3, 0, v2
	v_max_i32_e32 v3, v2, v3
	v_mul_hi_u32 v4, v3, v37
	v_ashrrev_i32_e32 v2, 31, v2
	v_cmp_lt_i32_e64 s[0:1], s17, v1
	v_mul_lo_u32 v4, v4, s14
	v_sub_u32_e32 v3, v3, v4
	v_subrev_u32_e32 v4, s14, v3
	v_cmp_le_u32_e32 vcc, s14, v3
	v_cndmask_b32_e32 v3, v3, v4, vcc
	v_subrev_u32_e32 v4, s14, v3
	v_cmp_le_u32_e32 vcc, s14, v3
	v_cndmask_b32_e32 v3, v3, v4, vcc
	v_xor_b32_e32 v3, v3, v2
	v_sub_u32_e32 v2, v3, v2
	v_cmp_eq_u32_e32 vcc, 0, v2
	s_or_b64 s[0:1], vcc, s[0:1]
	s_and_saveexec_b64 s[6:7], s[0:1]
	s_cbranch_execz .LBB36_39
; %bb.41:                               ;   in Loop: Header=BB36_40 Depth=1
	global_load_dword v1, v[21:22], off
	v_add_u32_e32 v39, v34, v24
	v_add_u32_e32 v42, 1, v39
	;; [unrolled: 1-line block ×4, first 2 shown]
	s_waitcnt vmcnt(0)
	v_mad_i64_i32 v[1:2], s[0:1], v1, s15, 0
	v_lshlrev_b64 v[1:2], 2, v[1:2]
	v_add_co_u32_e32 v17, vcc, v35, v1
	v_addc_co_u32_e32 v18, vcc, v36, v2, vcc
	global_load_dwordx4 v[5:8], v[17:18], off
	ds_read_b128 v[1:4], v38
	v_cmp_eq_u32_e32 vcc, s18, v23
	s_and_saveexec_b64 s[12:13], vcc
	s_cbranch_execnz .LBB36_45
; %bb.42:                               ;   in Loop: Header=BB36_40 Depth=1
	s_or_b64 exec, exec, s[12:13]
	global_load_dwordx4 v[9:12], v[17:18], off offset:1024
	s_and_saveexec_b64 s[12:13], vcc
	s_cbranch_execnz .LBB36_46
.LBB36_43:                              ;   in Loop: Header=BB36_40 Depth=1
	s_or_b64 exec, exec, s[12:13]
	global_load_dwordx4 v[13:16], v[17:18], off offset:2048
	s_and_saveexec_b64 s[12:13], vcc
	s_cbranch_execnz .LBB36_47
.LBB36_44:                              ;   in Loop: Header=BB36_40 Depth=1
	s_or_b64 exec, exec, s[12:13]
	global_load_dwordx4 v[17:20], v[17:18], off offset:3072
	s_and_saveexec_b64 s[0:1], vcc
	s_cbranch_execz .LBB36_38
	s_branch .LBB36_48
.LBB36_45:                              ;   in Loop: Header=BB36_40 Depth=1
	v_cmp_gt_i32_e64 s[0:1], s33, v39
	s_waitcnt vmcnt(0)
	v_cndmask_b32_e64 v5, 0, v5, s[0:1]
	v_cmp_gt_i32_e64 s[0:1], s33, v42
	v_cndmask_b32_e64 v6, 0, v6, s[0:1]
	v_cmp_gt_i32_e64 s[0:1], s33, v41
	;; [unrolled: 2-line block ×3, first 2 shown]
	v_cndmask_b32_e64 v8, 0, v8, s[0:1]
	s_or_b64 exec, exec, s[12:13]
	global_load_dwordx4 v[9:12], v[17:18], off offset:1024
	s_and_saveexec_b64 s[12:13], vcc
	s_cbranch_execz .LBB36_43
.LBB36_46:                              ;   in Loop: Header=BB36_40 Depth=1
	v_cmp_gt_i32_e64 s[0:1], s33, v39
	s_waitcnt vmcnt(0)
	v_cndmask_b32_e64 v9, 0, v9, s[0:1]
	v_cmp_gt_i32_e64 s[0:1], s33, v42
	v_cndmask_b32_e64 v10, 0, v10, s[0:1]
	v_cmp_gt_i32_e64 s[0:1], s33, v41
	;; [unrolled: 2-line block ×3, first 2 shown]
	v_cndmask_b32_e64 v12, 0, v12, s[0:1]
	s_or_b64 exec, exec, s[12:13]
	global_load_dwordx4 v[13:16], v[17:18], off offset:2048
	s_and_saveexec_b64 s[12:13], vcc
	s_cbranch_execz .LBB36_44
.LBB36_47:                              ;   in Loop: Header=BB36_40 Depth=1
	v_cmp_gt_i32_e64 s[0:1], s33, v39
	s_waitcnt vmcnt(0)
	v_cndmask_b32_e64 v13, 0, v13, s[0:1]
	v_cmp_gt_i32_e64 s[0:1], s33, v42
	v_cndmask_b32_e64 v14, 0, v14, s[0:1]
	v_cmp_gt_i32_e64 s[0:1], s33, v41
	;; [unrolled: 2-line block ×3, first 2 shown]
	v_cndmask_b32_e64 v16, 0, v16, s[0:1]
	s_or_b64 exec, exec, s[12:13]
	global_load_dwordx4 v[17:20], v[17:18], off offset:3072
	s_and_saveexec_b64 s[0:1], vcc
	s_cbranch_execz .LBB36_38
.LBB36_48:                              ;   in Loop: Header=BB36_40 Depth=1
	v_cmp_gt_i32_e32 vcc, s33, v39
	s_waitcnt vmcnt(0)
	v_cndmask_b32_e32 v17, 0, v17, vcc
	v_cmp_gt_i32_e32 vcc, s33, v42
	v_cndmask_b32_e32 v18, 0, v18, vcc
	v_cmp_gt_i32_e32 vcc, s33, v41
	;; [unrolled: 2-line block ×3, first 2 shown]
	v_cndmask_b32_e32 v20, 0, v20, vcc
	s_branch .LBB36_38
.LBB36_49:
	s_or_b64 exec, exec, s[4:5]
.LBB36_50:
	s_or_b64 exec, exec, s[2:3]
	ds_bpermute_b32 v1, v27, v32
	ds_bpermute_b32 v2, v27, v33
	;; [unrolled: 1-line block ×4, first 2 shown]
	s_waitcnt lgkmcnt(0)
	v_add_f32_e32 v1, v32, v1
	v_add_f32_e32 v2, v33, v2
	ds_bpermute_b32 v5, v26, v1
	v_add_f32_e32 v3, v31, v3
	v_add_f32_e32 v4, v30, v4
	ds_bpermute_b32 v6, v26, v2
	ds_bpermute_b32 v7, v26, v3
	;; [unrolled: 1-line block ×3, first 2 shown]
	s_waitcnt lgkmcnt(3)
	v_add_f32_e32 v1, v1, v5
	ds_bpermute_b32 v5, v28, v1
	s_waitcnt lgkmcnt(3)
	v_add_f32_e32 v2, v2, v6
	s_waitcnt lgkmcnt(2)
	v_add_f32_e32 v3, v3, v7
	;; [unrolled: 2-line block ×3, first 2 shown]
	ds_bpermute_b32 v6, v28, v2
	ds_bpermute_b32 v7, v28, v3
	;; [unrolled: 1-line block ×3, first 2 shown]
	s_waitcnt lgkmcnt(3)
	v_add_f32_e32 v1, v1, v5
	v_and_b32_e32 v5, 0x3c7, v0
	s_waitcnt lgkmcnt(2)
	v_add_f32_e32 v2, v2, v6
	s_waitcnt lgkmcnt(1)
	v_add_f32_e32 v3, v3, v7
	;; [unrolled: 2-line block ×3, first 2 shown]
	v_cmp_eq_u32_e32 vcc, 64, v5
	s_barrier
	s_and_saveexec_b64 s[0:1], vcc
	s_cbranch_execz .LBB36_52
; %bb.51:
	v_lshrrev_b32_e32 v6, 1, v25
	v_add_u32_e32 v6, 0x90, v6
	ds_write2_b32 v6, v1, v2 offset1:8
	ds_write2_b32 v6, v3, v4 offset0:16 offset1:24
.LBB36_52:
	s_or_b64 exec, exec, s[0:1]
	v_cmp_gt_u32_e32 vcc, 64, v0
	v_lshrrev_b32_e32 v0, 3, v0
	s_waitcnt lgkmcnt(0)
	s_barrier
	s_and_saveexec_b64 s[0:1], vcc
	s_cbranch_execz .LBB36_59
; %bb.53:
	v_mov_b32_e32 v6, 0x90
	v_cmp_eq_u32_e32 vcc, 0, v29
	v_lshl_add_u32 v6, v0, 2, v6
	s_and_saveexec_b64 s[2:3], vcc
	s_cbranch_execnz .LBB36_62
; %bb.54:
	s_or_b64 exec, exec, s[2:3]
	s_and_saveexec_b64 s[2:3], vcc
	s_cbranch_execnz .LBB36_63
.LBB36_55:
	s_or_b64 exec, exec, s[2:3]
	s_and_saveexec_b64 s[2:3], vcc
	s_cbranch_execnz .LBB36_64
.LBB36_56:
	s_or_b64 exec, exec, s[2:3]
	s_and_saveexec_b64 s[2:3], vcc
	s_cbranch_execz .LBB36_58
.LBB36_57:
	ds_read_b32 v6, v6 offset:96
	s_waitcnt lgkmcnt(0)
	v_add_f32_e32 v4, v4, v6
.LBB36_58:
	s_or_b64 exec, exec, s[2:3]
.LBB36_59:
	s_or_b64 exec, exec, s[0:1]
	v_cmp_eq_u32_e32 vcc, 0, v5
	s_barrier
	s_and_saveexec_b64 s[0:1], vcc
	s_cbranch_execz .LBB36_61
; %bb.60:
	s_mul_i32 s0, s10, s11
	s_mul_i32 s0, s0, s9
	s_lshl_b32 s0, s0, 5
	s_ashr_i32 s1, s0, 31
	s_lshl_b64 s[0:1], s[0:1], 2
	s_add_u32 s2, s22, s0
	s_mul_i32 s0, s11, s20
	s_addc_u32 s3, s23, s1
	s_ashr_i32 s1, s0, 31
	s_lshl_b64 s[0:1], s[0:1], 2
	s_add_u32 s2, s2, s0
	s_addc_u32 s3, s3, s1
	s_lshl_b32 s0, s8, 5
	s_ashr_i32 s1, s0, 31
	s_lshl_b64 s[0:1], s[0:1], 2
	s_add_u32 s0, s2, s0
	s_addc_u32 s1, s3, s1
	v_lshlrev_b32_e32 v0, 2, v0
	global_store_dword v0, v1, s[0:1]
	global_store_dword v0, v2, s[0:1] offset:32
	global_store_dword v0, v3, s[0:1] offset:64
	;; [unrolled: 1-line block ×3, first 2 shown]
.LBB36_61:
	s_endpgm
.LBB36_62:
	ds_read_b32 v7, v6
	s_waitcnt lgkmcnt(0)
	v_add_f32_e32 v1, v1, v7
	s_or_b64 exec, exec, s[2:3]
	s_and_saveexec_b64 s[2:3], vcc
	s_cbranch_execz .LBB36_55
.LBB36_63:
	ds_read_b32 v7, v6 offset:32
	s_waitcnt lgkmcnt(0)
	v_add_f32_e32 v2, v2, v7
	s_or_b64 exec, exec, s[2:3]
	s_and_saveexec_b64 s[2:3], vcc
	s_cbranch_execz .LBB36_56
.LBB36_64:
	ds_read_b32 v7, v6 offset:64
	s_waitcnt lgkmcnt(0)
	v_add_f32_e32 v3, v3, v7
	s_or_b64 exec, exec, s[2:3]
	s_and_saveexec_b64 s[2:3], vcc
	s_cbranch_execnz .LBB36_57
	s_branch .LBB36_58
	.section	.rodata,"a",@progbits
	.p2align	6, 0x0
	.amdhsa_kernel _ZN4vllm25paged_attention_v1_kernelIffLi32ELi32ELi128ELNS_18Fp8KVCacheDataTypeE0ELb1EEEvPT_PKS2_PKT0_S8_ifPKiSA_iPKfiiiSC_SC_iiiii
		.amdhsa_group_segment_fixed_size 144
		.amdhsa_private_segment_fixed_size 0
		.amdhsa_kernarg_size 384
		.amdhsa_user_sgpr_count 6
		.amdhsa_user_sgpr_private_segment_buffer 1
		.amdhsa_user_sgpr_dispatch_ptr 0
		.amdhsa_user_sgpr_queue_ptr 0
		.amdhsa_user_sgpr_kernarg_segment_ptr 1
		.amdhsa_user_sgpr_dispatch_id 0
		.amdhsa_user_sgpr_flat_scratch_init 0
		.amdhsa_user_sgpr_private_segment_size 0
		.amdhsa_uses_dynamic_stack 0
		.amdhsa_system_sgpr_private_segment_wavefront_offset 0
		.amdhsa_system_sgpr_workgroup_id_x 1
		.amdhsa_system_sgpr_workgroup_id_y 1
		.amdhsa_system_sgpr_workgroup_id_z 1
		.amdhsa_system_sgpr_workgroup_info 0
		.amdhsa_system_vgpr_workitem_id 0
		.amdhsa_next_free_vgpr 55
		.amdhsa_next_free_sgpr 44
		.amdhsa_reserve_vcc 1
		.amdhsa_reserve_flat_scratch 0
		.amdhsa_float_round_mode_32 0
		.amdhsa_float_round_mode_16_64 0
		.amdhsa_float_denorm_mode_32 3
		.amdhsa_float_denorm_mode_16_64 3
		.amdhsa_dx10_clamp 1
		.amdhsa_ieee_mode 1
		.amdhsa_fp16_overflow 0
		.amdhsa_exception_fp_ieee_invalid_op 0
		.amdhsa_exception_fp_denorm_src 0
		.amdhsa_exception_fp_ieee_div_zero 0
		.amdhsa_exception_fp_ieee_overflow 0
		.amdhsa_exception_fp_ieee_underflow 0
		.amdhsa_exception_fp_ieee_inexact 0
		.amdhsa_exception_int_div_zero 0
	.end_amdhsa_kernel
	.section	.text._ZN4vllm25paged_attention_v1_kernelIffLi32ELi32ELi128ELNS_18Fp8KVCacheDataTypeE0ELb1EEEvPT_PKS2_PKT0_S8_ifPKiSA_iPKfiiiSC_SC_iiiii,"axG",@progbits,_ZN4vllm25paged_attention_v1_kernelIffLi32ELi32ELi128ELNS_18Fp8KVCacheDataTypeE0ELb1EEEvPT_PKS2_PKT0_S8_ifPKiSA_iPKfiiiSC_SC_iiiii,comdat
.Lfunc_end36:
	.size	_ZN4vllm25paged_attention_v1_kernelIffLi32ELi32ELi128ELNS_18Fp8KVCacheDataTypeE0ELb1EEEvPT_PKS2_PKT0_S8_ifPKiSA_iPKfiiiSC_SC_iiiii, .Lfunc_end36-_ZN4vllm25paged_attention_v1_kernelIffLi32ELi32ELi128ELNS_18Fp8KVCacheDataTypeE0ELb1EEEvPT_PKS2_PKT0_S8_ifPKiSA_iPKfiiiSC_SC_iiiii
                                        ; -- End function
	.set _ZN4vllm25paged_attention_v1_kernelIffLi32ELi32ELi128ELNS_18Fp8KVCacheDataTypeE0ELb1EEEvPT_PKS2_PKT0_S8_ifPKiSA_iPKfiiiSC_SC_iiiii.num_vgpr, 55
	.set _ZN4vllm25paged_attention_v1_kernelIffLi32ELi32ELi128ELNS_18Fp8KVCacheDataTypeE0ELb1EEEvPT_PKS2_PKT0_S8_ifPKiSA_iPKfiiiSC_SC_iiiii.num_agpr, 0
	.set _ZN4vllm25paged_attention_v1_kernelIffLi32ELi32ELi128ELNS_18Fp8KVCacheDataTypeE0ELb1EEEvPT_PKS2_PKT0_S8_ifPKiSA_iPKfiiiSC_SC_iiiii.numbered_sgpr, 44
	.set _ZN4vllm25paged_attention_v1_kernelIffLi32ELi32ELi128ELNS_18Fp8KVCacheDataTypeE0ELb1EEEvPT_PKS2_PKT0_S8_ifPKiSA_iPKfiiiSC_SC_iiiii.num_named_barrier, 0
	.set _ZN4vllm25paged_attention_v1_kernelIffLi32ELi32ELi128ELNS_18Fp8KVCacheDataTypeE0ELb1EEEvPT_PKS2_PKT0_S8_ifPKiSA_iPKfiiiSC_SC_iiiii.private_seg_size, 0
	.set _ZN4vllm25paged_attention_v1_kernelIffLi32ELi32ELi128ELNS_18Fp8KVCacheDataTypeE0ELb1EEEvPT_PKS2_PKT0_S8_ifPKiSA_iPKfiiiSC_SC_iiiii.uses_vcc, 1
	.set _ZN4vllm25paged_attention_v1_kernelIffLi32ELi32ELi128ELNS_18Fp8KVCacheDataTypeE0ELb1EEEvPT_PKS2_PKT0_S8_ifPKiSA_iPKfiiiSC_SC_iiiii.uses_flat_scratch, 0
	.set _ZN4vllm25paged_attention_v1_kernelIffLi32ELi32ELi128ELNS_18Fp8KVCacheDataTypeE0ELb1EEEvPT_PKS2_PKT0_S8_ifPKiSA_iPKfiiiSC_SC_iiiii.has_dyn_sized_stack, 0
	.set _ZN4vllm25paged_attention_v1_kernelIffLi32ELi32ELi128ELNS_18Fp8KVCacheDataTypeE0ELb1EEEvPT_PKS2_PKT0_S8_ifPKiSA_iPKfiiiSC_SC_iiiii.has_recursion, 0
	.set _ZN4vllm25paged_attention_v1_kernelIffLi32ELi32ELi128ELNS_18Fp8KVCacheDataTypeE0ELb1EEEvPT_PKS2_PKT0_S8_ifPKiSA_iPKfiiiSC_SC_iiiii.has_indirect_call, 0
	.section	.AMDGPU.csdata,"",@progbits
; Kernel info:
; codeLenInByte = 4036
; TotalNumSgprs: 48
; NumVgprs: 55
; ScratchSize: 0
; MemoryBound: 0
; FloatMode: 240
; IeeeMode: 1
; LDSByteSize: 144 bytes/workgroup (compile time only)
; SGPRBlocks: 5
; VGPRBlocks: 13
; NumSGPRsForWavesPerEU: 48
; NumVGPRsForWavesPerEU: 55
; Occupancy: 4
; WaveLimiterHint : 1
; COMPUTE_PGM_RSRC2:SCRATCH_EN: 0
; COMPUTE_PGM_RSRC2:USER_SGPR: 6
; COMPUTE_PGM_RSRC2:TRAP_HANDLER: 0
; COMPUTE_PGM_RSRC2:TGID_X_EN: 1
; COMPUTE_PGM_RSRC2:TGID_Y_EN: 1
; COMPUTE_PGM_RSRC2:TGID_Z_EN: 1
; COMPUTE_PGM_RSRC2:TIDIG_COMP_CNT: 0
	.section	.text._ZN4vllm25paged_attention_v1_kernelIffLi64ELi32ELi128ELNS_18Fp8KVCacheDataTypeE0ELb1EEEvPT_PKS2_PKT0_S8_ifPKiSA_iPKfiiiSC_SC_iiiii,"axG",@progbits,_ZN4vllm25paged_attention_v1_kernelIffLi64ELi32ELi128ELNS_18Fp8KVCacheDataTypeE0ELb1EEEvPT_PKS2_PKT0_S8_ifPKiSA_iPKfiiiSC_SC_iiiii,comdat
	.protected	_ZN4vllm25paged_attention_v1_kernelIffLi64ELi32ELi128ELNS_18Fp8KVCacheDataTypeE0ELb1EEEvPT_PKS2_PKT0_S8_ifPKiSA_iPKfiiiSC_SC_iiiii ; -- Begin function _ZN4vllm25paged_attention_v1_kernelIffLi64ELi32ELi128ELNS_18Fp8KVCacheDataTypeE0ELb1EEEvPT_PKS2_PKT0_S8_ifPKiSA_iPKfiiiSC_SC_iiiii
	.globl	_ZN4vllm25paged_attention_v1_kernelIffLi64ELi32ELi128ELNS_18Fp8KVCacheDataTypeE0ELb1EEEvPT_PKS2_PKT0_S8_ifPKiSA_iPKfiiiSC_SC_iiiii
	.p2align	8
	.type	_ZN4vllm25paged_attention_v1_kernelIffLi64ELi32ELi128ELNS_18Fp8KVCacheDataTypeE0ELb1EEEvPT_PKS2_PKT0_S8_ifPKiSA_iPKfiiiSC_SC_iiiii,@function
_ZN4vllm25paged_attention_v1_kernelIffLi64ELi32ELi128ELNS_18Fp8KVCacheDataTypeE0ELb1EEEvPT_PKS2_PKT0_S8_ifPKiSA_iPKfiiiSC_SC_iiiii: ; @_ZN4vllm25paged_attention_v1_kernelIffLi64ELi32ELi128ELNS_18Fp8KVCacheDataTypeE0ELb1EEEvPT_PKS2_PKT0_S8_ifPKiSA_iPKfiiiSC_SC_iiiii
; %bb.0:
	s_load_dword s9, s[4:5], 0x80
	s_load_dwordx2 s[0:1], s[4:5], 0x30
	s_load_dwordx2 s[30:31], s[4:5], 0x20
	s_mov_b32 s10, s7
	s_ashr_i32 s11, s7, 31
	s_lshl_b64 s[2:3], s[10:11], 2
	s_waitcnt lgkmcnt(0)
	s_add_u32 s0, s0, s2
	s_addc_u32 s1, s1, s3
	s_abs_i32 s2, s30
	v_cvt_f32_u32_e32 v1, s2
	s_sub_i32 s11, 0, s2
	s_abs_i32 s7, s9
	s_xor_b32 s3, s9, s30
	v_rcp_iflag_f32_e32 v1, v1
	s_ashr_i32 s3, s3, 31
	s_mov_b32 s42, 0
	v_mul_f32_e32 v1, 0x4f7ffffe, v1
	v_cvt_u32_f32_e32 v1, v1
	v_readfirstlane_b32 s12, v1
	s_mul_i32 s11, s11, s12
	s_mul_hi_u32 s11, s12, s11
	s_add_i32 s12, s12, s11
	s_mul_hi_u32 s11, s7, s12
	s_mul_i32 s12, s11, s2
	s_sub_i32 s7, s7, s12
	s_add_i32 s12, s11, 1
	s_sub_i32 s13, s7, s2
	s_cmp_ge_u32 s7, s2
	s_cselect_b32 s11, s12, s11
	s_cselect_b32 s7, s13, s7
	s_add_i32 s12, s11, 1
	s_cmp_ge_u32 s7, s2
	s_cselect_b32 s2, s12, s11
	s_xor_b32 s2, s2, s3
	s_sub_i32 s12, s2, s3
	s_abs_i32 s11, s12
	v_cvt_f32_u32_e32 v1, s11
	s_load_dwordx2 s[2:3], s[4:5], 0x40
	s_sub_i32 s7, 0, s11
	s_abs_i32 s22, s6
	v_rcp_iflag_f32_e32 v1, v1
	v_mul_f32_e32 v1, 0x4f7ffffe, v1
	v_cvt_u32_f32_e32 v1, v1
	v_readfirstlane_b32 s13, v1
	s_mul_i32 s7, s7, s13
	s_mul_hi_u32 s7, s13, s7
	s_add_i32 s13, s13, s7
	s_waitcnt lgkmcnt(0)
	s_cmp_eq_u64 s[2:3], 0
	s_mul_hi_u32 s23, s22, s13
	s_cbranch_scc1 .LBB37_2
; %bb.1:
	s_ashr_i32 s7, s6, 31
	s_lshl_b64 s[14:15], s[6:7], 2
	s_add_u32 s2, s2, s14
	s_addc_u32 s3, s3, s15
	s_load_dword s42, s[2:3], 0x0
.LBB37_2:
	s_load_dword s33, s[0:1], 0x0
	s_ashr_i32 s7, s12, 31
	s_load_dwordx4 s[12:15], s[4:5], 0x48
	s_ashr_i32 s2, s6, 31
	v_and_b32_e32 v1, 1, v0
	s_lshl_b32 s20, s6, 6
	v_cmp_gt_u32_e32 vcc, 32, v0
	v_lshlrev_b32_e32 v2, 3, v0
	v_lshlrev_b32_e32 v3, 2, v0
	s_and_saveexec_b64 s[0:1], vcc
	s_cbranch_execz .LBB37_4
; %bb.3:
	s_load_dwordx2 s[16:17], s[4:5], 0x8
	s_waitcnt lgkmcnt(0)
	s_mul_i32 s18, s12, s10
	s_ashr_i32 s19, s18, 31
	s_lshl_b64 s[18:19], s[18:19], 2
	v_and_b32_e32 v6, 0xff8, v3
	s_add_u32 s3, s16, s18
	s_addc_u32 s12, s17, s19
	s_ashr_i32 s21, s20, 31
	s_lshl_b64 s[16:17], s[20:21], 2
	s_add_u32 s16, s3, s16
	s_addc_u32 s17, s12, s17
	global_load_dwordx2 v[4:5], v2, s[16:17]
	v_lshl_add_u32 v6, v1, 7, v6
	s_waitcnt vmcnt(0)
	ds_write_b64 v6, v[4:5]
.LBB37_4:
	s_or_b64 exec, exec, s[0:1]
	s_mul_i32 s1, s23, s11
	s_sub_i32 s1, s22, s1
	s_xor_b32 s0, s2, s7
	s_add_i32 s2, s23, 1
	s_sub_i32 s7, s1, s11
	s_load_dwordx4 s[16:19], s[4:5], 0x68
	s_load_dword s3, s[4:5], 0x78
	s_cmp_ge_u32 s1, s11
	s_cselect_b32 s2, s2, s23
	s_cselect_b32 s1, s7, s1
	s_add_i32 s7, s2, 1
	s_cmp_ge_u32 s1, s11
	s_cselect_b32 s1, s7, s2
	s_waitcnt lgkmcnt(0)
	s_abs_i32 s21, s19
	v_cvt_f32_u32_e32 v4, s21
	s_xor_b32 s1, s1, s0
	s_sub_i32 s2, s1, s0
	s_sub_i32 s0, 0, s21
	v_rcp_iflag_f32_e32 v4, v4
	s_add_i32 s11, s33, -1
	s_abs_i32 s7, s11
	v_mul_f32_e32 v4, 0x4f7ffffe, v4
	v_cvt_u32_f32_e32 v4, v4
	s_barrier
	v_readfirstlane_b32 s40, v4
	s_mul_i32 s0, s0, s40
	s_mul_hi_u32 s0, s40, s0
	s_add_i32 s40, s40, s0
	s_cmp_lt_i32 s3, 0
	s_mul_hi_u32 s12, s7, s40
	s_cbranch_scc0 .LBB37_6
; %bb.5:
	s_mul_i32 s0, s16, s30
	s_add_i32 s0, s2, s0
	s_mul_i32 s0, s0, s3
	s_sub_i32 s41, 1, s0
	s_mov_b64 s[0:1], 0
	s_branch .LBB37_7
.LBB37_6:
	s_mov_b64 s[0:1], -1
                                        ; implicit-def: $sgpr41
.LBB37_7:
	s_load_dwordx2 s[24:25], s[4:5], 0x28
	s_ashr_i32 s15, s11, 31
	s_andn2_b64 vcc, exec, s[0:1]
	s_ashr_i32 s19, s19, 31
	s_cbranch_vccnz .LBB37_9
; %bb.8:
	s_mul_i32 s0, s9, s16
	s_add_i32 s0, s0, s6
	s_mul_i32 s0, s0, s3
	s_add_i32 s41, s0, 1
.LBB37_9:
	s_load_dword s0, s[4:5], 0x38
	s_load_dwordx2 s[22:23], s[4:5], 0x0
	s_load_dwordx2 s[28:29], s[4:5], 0x18
	s_load_dword s11, s[4:5], 0x88
	s_xor_b32 s1, s15, s19
	s_waitcnt lgkmcnt(0)
	s_mul_i32 s26, s0, s10
	s_mul_i32 s0, s12, s21
	s_sub_i32 s0, s7, s0
	s_ashr_i32 s27, s26, 31
	s_add_i32 s3, s12, 1
	s_sub_i32 s6, s0, s21
	s_cmp_ge_u32 s0, s21
	s_cselect_b32 s3, s3, s12
	s_cselect_b32 s0, s6, s0
	s_add_i32 s6, s3, 1
	s_cmp_ge_u32 s0, s21
	s_cselect_b32 s0, s6, s3
	s_xor_b32 s0, s0, s1
	s_sub_i32 s12, s0, s1
	s_add_i32 s0, s33, 31
	s_ashr_i32 s1, s0, 31
	s_lshr_b32 s1, s1, 27
	s_add_i32 s0, s0, s1
	s_ashr_i32 s16, s0, 5
	v_lshrrev_b32_e32 v39, 6, v0
	v_cmp_gt_i32_e64 s[0:1], s16, v39
	v_mov_b32_e32 v8, 0xff7fffff
	s_mul_i32 s14, s2, s14
	v_lshrrev_b32_e32 v4, 4, v0
	v_lshlrev_b32_e32 v40, 5, v39
	v_mbcnt_lo_u32_b32 v5, -1, 0
	s_and_saveexec_b64 s[34:35], s[0:1]
	s_cbranch_execz .LBB37_21
; %bb.10:
	s_load_dwordx2 s[2:3], s[4:5], 0x10
	s_ashr_i32 s15, s14, 31
	s_sub_i32 s30, s12, s17
	s_lshl_b64 s[4:5], s[14:15], 2
	v_bfe_u32 v6, v0, 1, 5
	s_waitcnt lgkmcnt(0)
	s_add_u32 s2, s2, s4
	s_addc_u32 s3, s3, s5
	s_abs_i32 s15, s18
	v_cvt_f32_u32_e32 v7, s15
	v_mov_b32_e32 v9, s3
	s_sub_i32 s3, 0, s15
	s_lshl_b64 s[4:5], s[26:27], 2
	v_rcp_iflag_f32_e32 v7, v7
	v_and_b32_e32 v2, 8, v2
	v_lshlrev_b32_e32 v8, 2, v6
	s_add_u32 s4, s24, s4
	v_mul_f32_e32 v7, 0x4f7ffffe, v7
	v_cvt_u32_f32_e32 v11, v7
	v_lshlrev_b32_e32 v7, 4, v6
	v_cmp_eq_u32_e32 vcc, 0, v1
	s_addc_u32 s5, s25, s5
	v_mul_lo_u32 v10, s3, v11
	v_add_co_u32_e64 v7, s[2:3], s2, v7
	v_addc_co_u32_e64 v9, s[2:3], 0, v9, s[2:3]
	v_mul_hi_u32 v12, v11, v10
	v_add_co_u32_e64 v7, s[2:3], v7, v2
	v_lshlrev_b32_e32 v10, 7, v1
	v_and_b32_e32 v1, 60, v4
	v_lshl_or_b32 v8, v39, 7, v8
	v_mbcnt_hi_u32_b32 v16, -1, v5
	v_addc_co_u32_e64 v9, s[2:3], 0, v9, s[2:3]
	v_mov_b32_e32 v2, s5
	v_add_co_u32_e64 v1, s[4:5], s4, v1
	v_subrev_u32_e32 v13, s33, v6
	v_add_u32_e32 v14, 0x110, v8
	v_and_b32_e32 v8, 64, v16
	s_mov_b32 s43, s13
	v_cmp_neq_f32_e64 s[2:3], s42, 0
	v_add_u32_e32 v11, v11, v12
	v_addc_co_u32_e64 v2, s[4:5], 0, v2, s[4:5]
	v_lshlrev_b32_e32 v12, 5, v39
	v_add_u32_e32 v13, 1, v13
	v_mov_b32_e32 v15, 0xff7fffff
	s_mov_b64 s[36:37], 0
	s_movk_i32 s44, 0x1000
	v_xor_b32_e32 v17, 1, v16
	v_add_u32_e32 v18, 64, v8
	v_mov_b32_e32 v8, 0xff7fffff
	v_mov_b32_e32 v19, v39
	s_branch .LBB37_13
.LBB37_11:                              ;   in Loop: Header=BB37_13 Depth=1
	s_or_b64 exec, exec, s[38:39]
.LBB37_12:                              ;   in Loop: Header=BB37_13 Depth=1
	s_or_b64 exec, exec, s[6:7]
	v_add_co_u32_e64 v1, s[4:5], 8, v1
	v_add_u32_e32 v19, 2, v19
	v_addc_co_u32_e64 v2, s[4:5], 0, v2, s[4:5]
	v_cmp_le_i32_e64 s[4:5], s16, v19
	v_add_u32_e32 v12, 64, v12
	s_or_b64 s[36:37], s[4:5], s[36:37]
	v_add_u32_e32 v14, 0x100, v14
	s_andn2_b64 exec, exec, s[36:37]
	s_cbranch_execz .LBB37_20
.LBB37_13:                              ; =>This Inner Loop Header: Depth=1
	v_mul_hi_u32 v20, v12, s40
	s_waitcnt lgkmcnt(0)
	v_mul_lo_u32 v21, v20, s21
	v_add_u32_e32 v22, 1, v20
	v_sub_u32_e32 v21, v12, v21
	v_cmp_le_u32_e64 s[4:5], s21, v21
	v_cndmask_b32_e64 v20, v20, v22, s[4:5]
	v_subrev_u32_e32 v22, s21, v21
	v_cndmask_b32_e64 v21, v21, v22, s[4:5]
	v_add_u32_e32 v22, 1, v20
	v_cmp_le_u32_e64 s[4:5], s21, v21
	v_cndmask_b32_e64 v20, v20, v22, s[4:5]
	v_xor_b32_e32 v20, s19, v20
	v_subrev_u32_e32 v20, s19, v20
	v_add_u32_e32 v21, s41, v20
	v_sub_u32_e32 v22, 0, v21
	v_max_i32_e32 v22, v21, v22
	v_mul_hi_u32 v23, v22, v11
	v_ashrrev_i32_e32 v21, 31, v21
	v_cmp_ge_i32_e64 s[6:7], s30, v20
	v_mul_lo_u32 v23, v23, s15
	v_sub_u32_e32 v22, v22, v23
	v_subrev_u32_e32 v23, s15, v22
	v_cmp_le_u32_e64 s[4:5], s15, v22
	v_cndmask_b32_e64 v22, v22, v23, s[4:5]
	v_subrev_u32_e32 v23, s15, v22
	v_cmp_le_u32_e64 s[4:5], s15, v22
	v_cndmask_b32_e64 v22, v22, v23, s[4:5]
	v_xor_b32_e32 v22, v22, v21
	v_sub_u32_e32 v21, v22, v21
	v_cmp_ne_u32_e64 s[4:5], 0, v21
	s_and_b64 s[4:5], s[4:5], s[6:7]
	s_and_saveexec_b64 s[6:7], s[4:5]
	s_xor_b64 s[4:5], exec, s[6:7]
	s_cbranch_execz .LBB37_17
; %bb.14:                               ;   in Loop: Header=BB37_13 Depth=1
	s_and_saveexec_b64 s[6:7], vcc
; %bb.15:                               ;   in Loop: Header=BB37_13 Depth=1
	ds_write_b32 v14, v15
; %bb.16:                               ;   in Loop: Header=BB37_13 Depth=1
	s_or_b64 exec, exec, s[6:7]
.LBB37_17:                              ;   in Loop: Header=BB37_13 Depth=1
	s_andn2_saveexec_b64 s[6:7], s[4:5]
	s_cbranch_execz .LBB37_12
; %bb.18:                               ;   in Loop: Header=BB37_13 Depth=1
	global_load_dword v20, v[1:2], off
	s_waitcnt vmcnt(0)
	v_mad_i64_i32 v[20:21], s[4:5], v20, s43, 0
	v_lshlrev_b64 v[20:21], 2, v[20:21]
	v_add_co_u32_e64 v30, s[4:5], v7, v20
	v_addc_co_u32_e64 v31, s[4:5], v9, v21, s[4:5]
	global_load_dwordx2 v[20:21], v[30:31], off offset:512
	ds_read_b128 v[22:25], v10
	ds_read_b128 v[26:29], v10 offset:16
	global_load_dwordx2 v[32:33], v[30:31], off offset:1024
	global_load_dwordx2 v[34:35], v[30:31], off offset:1536
	s_waitcnt vmcnt(2) lgkmcnt(1)
	v_mul_f32_e32 v20, v24, v20
	v_mul_f32_e32 v21, v25, v21
	global_load_dwordx2 v[24:25], v[30:31], off
	global_load_dwordx2 v[36:37], v[30:31], off offset:2048
	global_load_dwordx2 v[41:42], v[30:31], off offset:2560
	s_waitcnt vmcnt(2)
	v_fmac_f32_e32 v20, v22, v24
	v_fmac_f32_e32 v21, v23, v25
	s_waitcnt lgkmcnt(0)
	v_fmac_f32_e32 v20, v26, v32
	v_fmac_f32_e32 v21, v27, v33
	global_load_dwordx2 v[32:33], v[30:31], off offset:3072
	ds_read_b128 v[22:25], v10 offset:32
	v_fmac_f32_e32 v20, v28, v34
	v_fmac_f32_e32 v21, v29, v35
	global_load_dwordx2 v[34:35], v[30:31], off offset:3584
	ds_read_b128 v[26:29], v10 offset:48
	v_add_co_u32_e64 v30, s[4:5], s44, v30
	s_waitcnt vmcnt(3) lgkmcnt(1)
	v_fmac_f32_e32 v20, v22, v36
	v_fmac_f32_e32 v21, v23, v37
	v_addc_co_u32_e64 v31, s[4:5], 0, v31, s[4:5]
	s_waitcnt vmcnt(2)
	v_fmac_f32_e32 v20, v24, v41
	v_fmac_f32_e32 v21, v25, v42
	global_load_dwordx2 v[36:37], v[30:31], off
	global_load_dwordx2 v[41:42], v[30:31], off offset:512
	ds_read_b128 v[22:25], v10 offset:64
	v_cmp_lt_i32_e64 s[4:5], v17, v18
	s_waitcnt vmcnt(3) lgkmcnt(1)
	v_fmac_f32_e32 v20, v26, v32
	v_fmac_f32_e32 v21, v27, v33
	global_load_dwordx2 v[32:33], v[30:31], off offset:1024
	s_waitcnt vmcnt(3)
	v_fmac_f32_e32 v20, v28, v34
	v_fmac_f32_e32 v21, v29, v35
	global_load_dwordx2 v[34:35], v[30:31], off offset:1536
	ds_read_b128 v[26:29], v10 offset:80
	s_waitcnt vmcnt(3) lgkmcnt(1)
	v_fmac_f32_e32 v20, v22, v36
	v_fmac_f32_e32 v21, v23, v37
	s_waitcnt vmcnt(2)
	v_fmac_f32_e32 v20, v24, v41
	v_fmac_f32_e32 v21, v25, v42
	global_load_dwordx2 v[36:37], v[30:31], off offset:2048
	global_load_dwordx2 v[41:42], v[30:31], off offset:2560
	s_waitcnt vmcnt(3) lgkmcnt(0)
	v_fmac_f32_e32 v20, v26, v32
	v_fmac_f32_e32 v21, v27, v33
	global_load_dwordx2 v[32:33], v[30:31], off offset:3072
	s_nop 0
	global_load_dwordx2 v[30:31], v[30:31], off offset:3584
	s_waitcnt vmcnt(4)
	v_fmac_f32_e32 v20, v28, v34
	v_fmac_f32_e32 v21, v29, v35
	ds_read_b128 v[22:25], v10 offset:96
	ds_read_b128 v[26:29], v10 offset:112
	s_waitcnt vmcnt(3) lgkmcnt(1)
	v_fmac_f32_e32 v20, v22, v36
	v_fmac_f32_e32 v21, v23, v37
	s_waitcnt vmcnt(2)
	v_fmac_f32_e32 v20, v24, v41
	v_fmac_f32_e32 v21, v25, v42
	v_cndmask_b32_e64 v22, v16, v17, s[4:5]
	v_lshlrev_b32_e32 v22, 2, v22
	s_waitcnt vmcnt(1) lgkmcnt(0)
	v_fmac_f32_e32 v20, v26, v32
	v_fmac_f32_e32 v21, v27, v33
	s_waitcnt vmcnt(0)
	v_fmac_f32_e32 v20, v28, v30
	v_fmac_f32_e32 v21, v29, v31
	v_add_f32_e32 v20, v20, v21
	ds_bpermute_b32 v21, v22, v20
	s_and_saveexec_b64 s[38:39], vcc
	s_cbranch_execz .LBB37_11
; %bb.19:                               ;   in Loop: Header=BB37_13 Depth=1
	v_add_u32_e32 v22, v13, v12
	v_cvt_f32_i32_e32 v22, v22
	s_waitcnt lgkmcnt(0)
	v_add_f32_e32 v20, v20, v21
	v_add_u32_e32 v23, v6, v12
	v_cmp_gt_i32_e64 s[4:5], s33, v23
	v_mul_f32_e32 v21, s42, v22
	v_cndmask_b32_e64 v21, 0, v21, s[2:3]
	v_fmac_f32_e32 v21, s31, v20
	v_cndmask_b32_e64 v20, 0, v21, s[4:5]
	ds_write_b32 v14, v20
	v_max_f32_e32 v20, v8, v8
	v_max_f32_e32 v20, v20, v21
	v_cndmask_b32_e64 v8, v8, v20, s[4:5]
	s_branch .LBB37_11
.LBB37_20:
	s_or_b64 exec, exec, s[36:37]
.LBB37_21:
	s_or_b64 exec, exec, s[34:35]
	v_mbcnt_hi_u32_b32 v1, -1, v5
	v_and_b32_e32 v9, 64, v1
	v_add_u32_e32 v10, 64, v9
	v_xor_b32_e32 v2, 32, v1
	v_cmp_lt_i32_e32 vcc, v2, v10
	v_cndmask_b32_e32 v2, v1, v2, vcc
	v_lshlrev_b32_e32 v2, 2, v2
	ds_bpermute_b32 v5, v2, v8
	v_xor_b32_e32 v7, 16, v1
	v_max_f32_e32 v6, v8, v8
	v_cmp_lt_i32_e32 vcc, v7, v10
	v_xor_b32_e32 v8, 8, v1
	s_waitcnt lgkmcnt(0)
	v_max_f32_e32 v5, v5, v5
	v_max_f32_e32 v6, v6, v5
	v_cndmask_b32_e32 v5, v1, v7, vcc
	v_lshlrev_b32_e32 v5, 2, v5
	ds_bpermute_b32 v7, v5, v6
	v_cmp_lt_i32_e32 vcc, v8, v10
	v_xor_b32_e32 v11, 4, v1
	v_and_b32_e32 v41, 63, v0
	s_waitcnt lgkmcnt(0)
	v_max_f32_e32 v7, v7, v7
	v_max_f32_e32 v7, v6, v7
	v_cndmask_b32_e32 v6, v1, v8, vcc
	v_lshlrev_b32_e32 v6, 2, v6
	ds_bpermute_b32 v8, v6, v7
	v_cmp_lt_i32_e32 vcc, v11, v10
	s_waitcnt lgkmcnt(0)
	v_max_f32_e32 v8, v8, v8
	v_max_f32_e32 v7, v7, v8
	v_cndmask_b32_e32 v8, v1, v11, vcc
	v_lshlrev_b32_e32 v42, 2, v8
	ds_bpermute_b32 v8, v42, v7
	v_xor_b32_e32 v11, 2, v1
	v_cmp_lt_i32_e32 vcc, v11, v10
	s_waitcnt lgkmcnt(0)
	v_max_f32_e32 v8, v8, v8
	v_max_f32_e32 v8, v7, v8
	v_cndmask_b32_e32 v7, v1, v11, vcc
	v_lshlrev_b32_e32 v43, 2, v7
	ds_bpermute_b32 v11, v43, v8
	v_cmp_eq_u32_e32 vcc, 0, v41
	v_lshlrev_b32_e32 v7, 2, v39
	s_and_saveexec_b64 s[2:3], vcc
	s_cbranch_execz .LBB37_23
; %bb.22:
	s_waitcnt lgkmcnt(0)
	v_max_f32_e32 v11, v11, v11
	v_max_f32_e32 v8, v8, v8
	;; [unrolled: 1-line block ×3, first 2 shown]
	ds_write_b32 v7, v8 offset:256
.LBB37_23:
	s_or_b64 exec, exec, s[2:3]
	v_cmp_gt_u32_e64 s[2:3], 2, v41
	s_waitcnt lgkmcnt(0)
	v_mov_b32_e32 v11, 0xff7fffff
	v_lshlrev_b32_e32 v8, 2, v41
	s_barrier
	s_and_saveexec_b64 s[4:5], s[2:3]
; %bb.24:
	ds_read_b32 v11, v8 offset:256
; %bb.25:
	s_or_b64 exec, exec, s[4:5]
	v_xor_b32_e32 v12, 1, v1
	v_cmp_lt_i32_e64 s[4:5], v12, v10
	v_cndmask_b32_e64 v10, v1, v12, s[4:5]
	v_lshlrev_b32_e32 v44, 2, v10
	s_waitcnt lgkmcnt(0)
	ds_bpermute_b32 v10, v44, v11
	v_max_f32_e32 v11, v11, v11
	v_lshlrev_b32_e32 v9, 2, v9
	s_lshl_b32 s4, s16, 5
	s_min_i32 s15, s4, s33
	s_waitcnt lgkmcnt(0)
	v_max_f32_e32 v10, v10, v10
	v_max_f32_e32 v10, v11, v10
	ds_bpermute_b32 v10, v9, v10
	v_cmp_gt_i32_e64 s[4:5], s15, v0
	v_mov_b32_e32 v9, 0
	s_and_saveexec_b64 s[30:31], s[4:5]
	s_cbranch_execz .LBB37_29
; %bb.26:
	v_mov_b32_e32 v9, 0x110
	v_lshl_add_u32 v11, v0, 2, v9
	v_mov_b32_e32 v9, 0
	s_mov_b64 s[34:35], 0
	v_mov_b32_e32 v12, v0
.LBB37_27:                              ; =>This Inner Loop Header: Depth=1
	ds_read_b32 v13, v11
	v_add_u32_e32 v12, 0x80, v12
	v_cmp_le_i32_e64 s[6:7], s15, v12
	s_or_b64 s[34:35], s[6:7], s[34:35]
	s_waitcnt lgkmcnt(0)
	v_sub_f32_e32 v13, v13, v10
	v_mul_f32_e32 v13, 0x3fb8aa3b, v13
	v_exp_f32_e32 v13, v13
	ds_write_b32 v11, v13
	v_add_f32_e32 v9, v9, v13
	v_add_u32_e32 v11, 0x200, v11
	s_andn2_b64 exec, exec, s[34:35]
	s_cbranch_execnz .LBB37_27
; %bb.28:
	s_or_b64 exec, exec, s[34:35]
.LBB37_29:
	s_or_b64 exec, exec, s[30:31]
	ds_bpermute_b32 v2, v2, v9
	s_waitcnt lgkmcnt(0)
	v_add_f32_e32 v2, v9, v2
	ds_bpermute_b32 v5, v5, v2
	s_waitcnt lgkmcnt(0)
	v_add_f32_e32 v2, v2, v5
	;; [unrolled: 3-line block ×6, first 2 shown]
	s_and_saveexec_b64 s[6:7], vcc
; %bb.30:
	ds_write_b32 v7, v2 offset:264
; %bb.31:
	s_or_b64 exec, exec, s[6:7]
	s_waitcnt lgkmcnt(0)
	s_barrier
	s_and_saveexec_b64 s[6:7], s[2:3]
; %bb.32:
	ds_read_b32 v2, v8 offset:264
; %bb.33:
	s_or_b64 exec, exec, s[6:7]
	s_waitcnt lgkmcnt(0)
	ds_bpermute_b32 v5, v44, v2
	v_lshlrev_b32_e32 v1, 2, v1
	v_and_b32_e32 v1, 0x100, v1
	s_waitcnt lgkmcnt(0)
	v_add_f32_e32 v2, v2, v5
	ds_bpermute_b32 v1, v1, v2
	s_and_saveexec_b64 s[2:3], s[4:5]
	s_cbranch_execz .LBB37_36
; %bb.34:
	s_waitcnt lgkmcnt(0)
	v_add_f32_e32 v2, 0x358637bd, v1
	v_div_scale_f32 v1, s[4:5], v2, v2, 1.0
	v_div_scale_f32 v5, vcc, 1.0, v2, 1.0
	s_mov_b64 s[4:5], 0
	v_rcp_f32_e32 v6, v1
	v_fma_f32 v7, -v1, v6, 1.0
	v_fmac_f32_e32 v6, v7, v6
	v_mul_f32_e32 v7, v5, v6
	v_fma_f32 v8, -v1, v7, v5
	v_fmac_f32_e32 v7, v8, v6
	v_fma_f32 v1, -v1, v7, v5
	v_div_fmas_f32 v5, v1, v6, v7
	v_mov_b32_e32 v1, 0x110
	v_lshl_add_u32 v1, v0, 2, v1
	v_div_fixup_f32 v2, v5, v2, 1.0
	v_mov_b32_e32 v5, v0
.LBB37_35:                              ; =>This Inner Loop Header: Depth=1
	ds_read_b32 v6, v1
	v_add_u32_e32 v5, 0x80, v5
	v_cmp_le_i32_e32 vcc, s15, v5
	s_or_b64 s[4:5], vcc, s[4:5]
	s_waitcnt lgkmcnt(0)
	v_mul_f32_e32 v6, v2, v6
	ds_write_b32 v1, v6
	v_add_u32_e32 v1, 0x200, v1
	s_andn2_b64 exec, exec, s[4:5]
	s_cbranch_execnz .LBB37_35
.LBB37_36:
	s_or_b64 exec, exec, s[2:3]
	v_mov_b32_e32 v52, 0
	v_and_b32_e32 v45, 7, v0
	v_mov_b32_e32 v53, 0
	v_mov_b32_e32 v51, 0
	;; [unrolled: 1-line block ×7, first 2 shown]
	s_waitcnt lgkmcnt(0)
	s_barrier
	s_and_saveexec_b64 s[2:3], s[0:1]
	s_cbranch_execz .LBB37_58
; %bb.37:
	s_ashr_i32 s15, s14, 31
	s_sub_i32 s17, s12, s17
	s_lshl_b64 s[0:1], s[14:15], 2
	s_add_u32 s0, s28, s0
	s_addc_u32 s1, s29, s1
	s_abs_i32 s14, s18
	v_cvt_f32_u32_e32 v1, s14
	s_sub_i32 s4, 0, s14
	v_and_b32_e32 v54, 28, v3
	v_and_b32_e32 v3, 60, v4
	v_rcp_iflag_f32_e32 v1, v1
	v_lshlrev_b32_e32 v2, 4, v0
	v_and_b32_e32 v2, 0x3f0, v2
	s_add_i32 s18, s16, -1
	v_mul_f32_e32 v1, 0x4f7ffffe, v1
	v_cvt_u32_f32_e32 v1, v1
	v_mov_b32_e32 v5, s1
	v_add_co_u32_e32 v55, vcc, s0, v2
	v_mul_lo_u32 v4, s4, v1
	s_lshl_b64 s[0:1], s[26:27], 2
	s_add_u32 s0, s24, s0
	v_addc_co_u32_e32 v56, vcc, 0, v5, vcc
	v_mul_hi_u32 v4, v1, v4
	s_addc_u32 s1, s25, s1
	v_add_co_u32_e32 v37, vcc, s0, v3
	v_add_u32_e32 v57, v1, v4
	v_mov_b32_e32 v1, s1
	v_addc_co_u32_e32 v38, vcc, 0, v1, vcc
	v_lshlrev_b32_e32 v1, 4, v45
	v_lshl_or_b32 v1, v39, 7, v1
	s_mov_b32 s15, s13
	v_mov_b32_e32 v46, 0
	v_add_u32_e32 v58, 0x110, v1
	s_mov_b64 s[4:5], 0
	v_mov_b32_e32 v47, 0
	v_mov_b32_e32 v48, 0
	;; [unrolled: 1-line block ×7, first 2 shown]
	s_branch .LBB37_40
.LBB37_38:                              ;   in Loop: Header=BB37_40 Depth=1
	s_or_b64 exec, exec, s[12:13]
	s_waitcnt vmcnt(1) lgkmcnt(0)
	v_mul_f32_e32 v33, v1, v33
	v_mul_f32_e32 v25, v1, v25
	;; [unrolled: 1-line block ×7, first 2 shown]
	s_waitcnt vmcnt(0)
	v_mul_f32_e32 v1, v1, v29
	v_fmac_f32_e32 v33, v2, v34
	v_fmac_f32_e32 v25, v2, v26
	;; [unrolled: 1-line block ×24, first 2 shown]
	v_add_f32_e32 v47, v47, v33
	v_add_f32_e32 v48, v48, v25
	;; [unrolled: 1-line block ×8, first 2 shown]
.LBB37_39:                              ;   in Loop: Header=BB37_40 Depth=1
	s_or_b64 exec, exec, s[6:7]
	v_add_co_u32_e32 v37, vcc, 8, v37
	v_add_u32_e32 v39, 2, v39
	v_addc_co_u32_e32 v38, vcc, 0, v38, vcc
	v_cmp_le_i32_e32 vcc, s16, v39
	v_add_u32_e32 v40, 64, v40
	s_or_b64 s[4:5], vcc, s[4:5]
	v_add_u32_e32 v58, 0x100, v58
	s_andn2_b64 exec, exec, s[4:5]
	s_cbranch_execz .LBB37_57
.LBB37_40:                              ; =>This Inner Loop Header: Depth=1
	v_mul_hi_u32 v1, v40, s40
	v_mul_lo_u32 v2, v1, s21
	v_add_u32_e32 v3, 1, v1
	v_sub_u32_e32 v2, v40, v2
	v_cmp_le_u32_e32 vcc, s21, v2
	v_cndmask_b32_e32 v1, v1, v3, vcc
	v_subrev_u32_e32 v3, s21, v2
	v_cndmask_b32_e32 v2, v2, v3, vcc
	v_add_u32_e32 v3, 1, v1
	v_cmp_le_u32_e32 vcc, s21, v2
	v_cndmask_b32_e32 v1, v1, v3, vcc
	v_xor_b32_e32 v1, s19, v1
	v_subrev_u32_e32 v1, s19, v1
	v_add_u32_e32 v2, s41, v1
	v_sub_u32_e32 v3, 0, v2
	v_max_i32_e32 v3, v2, v3
	v_mul_hi_u32 v4, v3, v57
	v_ashrrev_i32_e32 v2, 31, v2
	v_cmp_lt_i32_e64 s[0:1], s17, v1
	v_mul_lo_u32 v4, v4, s14
	v_sub_u32_e32 v3, v3, v4
	v_subrev_u32_e32 v4, s14, v3
	v_cmp_le_u32_e32 vcc, s14, v3
	v_cndmask_b32_e32 v3, v3, v4, vcc
	v_subrev_u32_e32 v4, s14, v3
	v_cmp_le_u32_e32 vcc, s14, v3
	v_cndmask_b32_e32 v3, v3, v4, vcc
	v_xor_b32_e32 v3, v3, v2
	v_sub_u32_e32 v2, v3, v2
	v_cmp_eq_u32_e32 vcc, 0, v2
	s_or_b64 s[0:1], vcc, s[0:1]
	s_and_saveexec_b64 s[6:7], s[0:1]
	s_cbranch_execz .LBB37_39
; %bb.41:                               ;   in Loop: Header=BB37_40 Depth=1
	global_load_dword v1, v[37:38], off
	v_add_u32_e32 v59, v54, v40
	v_add_u32_e32 v62, 1, v59
	;; [unrolled: 1-line block ×4, first 2 shown]
	s_waitcnt vmcnt(0)
	v_mad_i64_i32 v[1:2], s[0:1], v1, s15, 0
	v_cmp_eq_u32_e64 s[0:1], s18, v39
	v_lshlrev_b64 v[1:2], 2, v[1:2]
	v_add_co_u32_e32 v29, vcc, v55, v1
	v_addc_co_u32_e32 v30, vcc, v56, v2, vcc
	global_load_dwordx4 v[5:8], v[29:30], off
	ds_read_b128 v[1:4], v58
	s_and_saveexec_b64 s[12:13], s[0:1]
	s_cbranch_execnz .LBB37_54
; %bb.42:                               ;   in Loop: Header=BB37_40 Depth=1
	s_or_b64 exec, exec, s[12:13]
	global_load_dwordx4 v[9:12], v[29:30], off offset:1024
	s_and_saveexec_b64 s[12:13], s[0:1]
	s_cbranch_execnz .LBB37_55
.LBB37_43:                              ;   in Loop: Header=BB37_40 Depth=1
	s_or_b64 exec, exec, s[12:13]
	global_load_dwordx4 v[13:16], v[29:30], off offset:2048
	s_and_saveexec_b64 s[12:13], s[0:1]
	s_cbranch_execnz .LBB37_56
.LBB37_44:                              ;   in Loop: Header=BB37_40 Depth=1
	s_or_b64 exec, exec, s[12:13]
	global_load_dwordx4 v[17:20], v[29:30], off offset:3072
	s_and_saveexec_b64 s[12:13], s[0:1]
	s_cbranch_execz .LBB37_46
.LBB37_45:                              ;   in Loop: Header=BB37_40 Depth=1
	v_cmp_gt_i32_e32 vcc, s33, v59
	s_waitcnt vmcnt(0)
	v_cndmask_b32_e32 v17, 0, v17, vcc
	v_cmp_gt_i32_e32 vcc, s33, v62
	v_cndmask_b32_e32 v18, 0, v18, vcc
	v_cmp_gt_i32_e32 vcc, s33, v61
	;; [unrolled: 2-line block ×3, first 2 shown]
	v_cndmask_b32_e32 v20, 0, v20, vcc
.LBB37_46:                              ;   in Loop: Header=BB37_40 Depth=1
	s_or_b64 exec, exec, s[12:13]
	v_add_co_u32_e32 v21, vcc, 0x1000, v29
	v_addc_co_u32_e32 v22, vcc, 0, v30, vcc
	global_load_dwordx4 v[21:24], v[21:22], off
	s_and_saveexec_b64 s[12:13], s[0:1]
	s_cbranch_execz .LBB37_48
; %bb.47:                               ;   in Loop: Header=BB37_40 Depth=1
	v_cmp_gt_i32_e32 vcc, s33, v59
	s_waitcnt vmcnt(0)
	v_cndmask_b32_e32 v21, 0, v21, vcc
	v_cmp_gt_i32_e32 vcc, s33, v62
	v_cndmask_b32_e32 v22, 0, v22, vcc
	v_cmp_gt_i32_e32 vcc, s33, v61
	v_cndmask_b32_e32 v23, 0, v23, vcc
	v_cmp_gt_i32_e32 vcc, s33, v60
	v_cndmask_b32_e32 v24, 0, v24, vcc
.LBB37_48:                              ;   in Loop: Header=BB37_40 Depth=1
	s_or_b64 exec, exec, s[12:13]
	v_add_co_u32_e32 v25, vcc, 0x1000, v29
	v_addc_co_u32_e32 v26, vcc, 0, v30, vcc
	global_load_dwordx4 v[25:28], v[25:26], off offset:1024
	s_and_saveexec_b64 s[12:13], s[0:1]
	s_cbranch_execz .LBB37_50
; %bb.49:                               ;   in Loop: Header=BB37_40 Depth=1
	v_cmp_gt_i32_e32 vcc, s33, v59
	s_waitcnt vmcnt(0)
	v_cndmask_b32_e32 v25, 0, v25, vcc
	v_cmp_gt_i32_e32 vcc, s33, v62
	v_cndmask_b32_e32 v26, 0, v26, vcc
	v_cmp_gt_i32_e32 vcc, s33, v61
	v_cndmask_b32_e32 v27, 0, v27, vcc
	v_cmp_gt_i32_e32 vcc, s33, v60
	v_cndmask_b32_e32 v28, 0, v28, vcc
.LBB37_50:                              ;   in Loop: Header=BB37_40 Depth=1
	s_or_b64 exec, exec, s[12:13]
	v_add_co_u32_e32 v31, vcc, 0x1000, v29
	v_addc_co_u32_e32 v32, vcc, 0, v30, vcc
	global_load_dwordx4 v[33:36], v[31:32], off offset:2048
	;; [unrolled: 17-line block ×3, first 2 shown]
	s_and_saveexec_b64 s[12:13], s[0:1]
	s_cbranch_execz .LBB37_38
; %bb.53:                               ;   in Loop: Header=BB37_40 Depth=1
	v_cmp_gt_i32_e32 vcc, s33, v59
	s_waitcnt vmcnt(0)
	v_cndmask_b32_e32 v29, 0, v29, vcc
	v_cmp_gt_i32_e32 vcc, s33, v62
	v_cndmask_b32_e32 v30, 0, v30, vcc
	v_cmp_gt_i32_e32 vcc, s33, v61
	;; [unrolled: 2-line block ×3, first 2 shown]
	v_cndmask_b32_e32 v32, 0, v32, vcc
	s_branch .LBB37_38
.LBB37_54:                              ;   in Loop: Header=BB37_40 Depth=1
	v_cmp_gt_i32_e32 vcc, s33, v59
	s_waitcnt vmcnt(0)
	v_cndmask_b32_e32 v5, 0, v5, vcc
	v_cmp_gt_i32_e32 vcc, s33, v62
	v_cndmask_b32_e32 v6, 0, v6, vcc
	v_cmp_gt_i32_e32 vcc, s33, v61
	;; [unrolled: 2-line block ×3, first 2 shown]
	v_cndmask_b32_e32 v8, 0, v8, vcc
	s_or_b64 exec, exec, s[12:13]
	global_load_dwordx4 v[9:12], v[29:30], off offset:1024
	s_and_saveexec_b64 s[12:13], s[0:1]
	s_cbranch_execz .LBB37_43
.LBB37_55:                              ;   in Loop: Header=BB37_40 Depth=1
	v_cmp_gt_i32_e32 vcc, s33, v59
	s_waitcnt vmcnt(0)
	v_cndmask_b32_e32 v9, 0, v9, vcc
	v_cmp_gt_i32_e32 vcc, s33, v62
	v_cndmask_b32_e32 v10, 0, v10, vcc
	v_cmp_gt_i32_e32 vcc, s33, v61
	;; [unrolled: 2-line block ×3, first 2 shown]
	v_cndmask_b32_e32 v12, 0, v12, vcc
	s_or_b64 exec, exec, s[12:13]
	global_load_dwordx4 v[13:16], v[29:30], off offset:2048
	s_and_saveexec_b64 s[12:13], s[0:1]
	s_cbranch_execz .LBB37_44
.LBB37_56:                              ;   in Loop: Header=BB37_40 Depth=1
	v_cmp_gt_i32_e32 vcc, s33, v59
	s_waitcnt vmcnt(0)
	v_cndmask_b32_e32 v13, 0, v13, vcc
	v_cmp_gt_i32_e32 vcc, s33, v62
	v_cndmask_b32_e32 v14, 0, v14, vcc
	v_cmp_gt_i32_e32 vcc, s33, v61
	;; [unrolled: 2-line block ×3, first 2 shown]
	v_cndmask_b32_e32 v16, 0, v16, vcc
	s_or_b64 exec, exec, s[12:13]
	global_load_dwordx4 v[17:20], v[29:30], off offset:3072
	s_and_saveexec_b64 s[12:13], s[0:1]
	s_cbranch_execnz .LBB37_45
	s_branch .LBB37_46
.LBB37_57:
	s_or_b64 exec, exec, s[4:5]
.LBB37_58:
	s_or_b64 exec, exec, s[2:3]
	ds_bpermute_b32 v2, v42, v53
	ds_bpermute_b32 v3, v42, v51
	;; [unrolled: 1-line block ×5, first 2 shown]
	s_waitcnt lgkmcnt(4)
	v_add_f32_e32 v2, v53, v2
	ds_bpermute_b32 v6, v43, v2
	s_waitcnt lgkmcnt(4)
	v_add_f32_e32 v3, v51, v3
	ds_bpermute_b32 v7, v43, v3
	;; [unrolled: 3-line block ×6, first 2 shown]
	s_waitcnt lgkmcnt(2)
	v_add_f32_e32 v2, v2, v6
	v_add_f32_e32 v6, v49, v8
	ds_bpermute_b32 v8, v43, v6
	s_waitcnt lgkmcnt(2)
	v_add_f32_e32 v3, v3, v7
	ds_bpermute_b32 v7, v42, v48
	ds_bpermute_b32 v10, v42, v46
	v_add_f32_e32 v4, v50, v4
	s_waitcnt lgkmcnt(2)
	v_add_f32_e32 v6, v6, v8
	ds_bpermute_b32 v8, v42, v47
	v_add_f32_e32 v1, v1, v5
	ds_bpermute_b32 v5, v43, v4
	s_waitcnt lgkmcnt(3)
	v_add_f32_e32 v7, v48, v7
	s_waitcnt lgkmcnt(2)
	v_add_f32_e32 v10, v46, v10
	;; [unrolled: 2-line block ×3, first 2 shown]
	ds_bpermute_b32 v11, v43, v7
	ds_bpermute_b32 v12, v43, v8
	;; [unrolled: 1-line block ×3, first 2 shown]
	s_waitcnt lgkmcnt(3)
	v_add_f32_e32 v4, v4, v5
	ds_bpermute_b32 v5, v44, v4
	ds_bpermute_b32 v9, v44, v6
	s_waitcnt lgkmcnt(4)
	v_add_f32_e32 v7, v7, v11
	s_waitcnt lgkmcnt(3)
	v_add_f32_e32 v8, v8, v12
	;; [unrolled: 2-line block ×3, first 2 shown]
	ds_bpermute_b32 v11, v44, v7
	ds_bpermute_b32 v12, v44, v8
	;; [unrolled: 1-line block ×3, first 2 shown]
	s_waitcnt lgkmcnt(4)
	v_add_f32_e32 v4, v4, v5
	s_waitcnt lgkmcnt(3)
	v_add_f32_e32 v5, v6, v9
	v_and_b32_e32 v9, 0x3c7, v0
	s_waitcnt lgkmcnt(2)
	v_add_f32_e32 v6, v7, v11
	s_waitcnt lgkmcnt(1)
	v_add_f32_e32 v7, v8, v12
	;; [unrolled: 2-line block ×3, first 2 shown]
	v_cmp_eq_u32_e32 vcc, 64, v9
	s_barrier
	s_and_saveexec_b64 s[0:1], vcc
	s_cbranch_execz .LBB37_60
; %bb.59:
	v_lshrrev_b32_e32 v10, 1, v41
	v_add_u32_e32 v10, 0x110, v10
	ds_write2_b32 v10, v1, v2 offset1:8
	ds_write2_b32 v10, v3, v4 offset0:16 offset1:24
	ds_write2_b32 v10, v5, v6 offset0:32 offset1:40
	;; [unrolled: 1-line block ×3, first 2 shown]
.LBB37_60:
	s_or_b64 exec, exec, s[0:1]
	v_cmp_gt_u32_e32 vcc, 64, v0
	v_lshrrev_b32_e32 v0, 3, v0
	s_waitcnt lgkmcnt(0)
	s_barrier
	s_and_saveexec_b64 s[0:1], vcc
	s_cbranch_execz .LBB37_71
; %bb.61:
	v_mov_b32_e32 v10, 0x110
	v_cmp_eq_u32_e32 vcc, 0, v45
	v_lshl_add_u32 v10, v0, 2, v10
	s_and_saveexec_b64 s[2:3], vcc
	s_cbranch_execnz .LBB37_74
; %bb.62:
	s_or_b64 exec, exec, s[2:3]
	s_and_saveexec_b64 s[2:3], vcc
	s_cbranch_execnz .LBB37_75
.LBB37_63:
	s_or_b64 exec, exec, s[2:3]
	s_and_saveexec_b64 s[2:3], vcc
	s_cbranch_execnz .LBB37_76
.LBB37_64:
	s_or_b64 exec, exec, s[2:3]
	s_and_saveexec_b64 s[2:3], vcc
	s_cbranch_execnz .LBB37_77
.LBB37_65:
	s_or_b64 exec, exec, s[2:3]
	s_and_saveexec_b64 s[2:3], vcc
	s_cbranch_execnz .LBB37_78
.LBB37_66:
	s_or_b64 exec, exec, s[2:3]
	s_and_saveexec_b64 s[2:3], vcc
	s_cbranch_execnz .LBB37_79
.LBB37_67:
	s_or_b64 exec, exec, s[2:3]
	s_and_saveexec_b64 s[2:3], vcc
	s_cbranch_execnz .LBB37_80
.LBB37_68:
	s_or_b64 exec, exec, s[2:3]
	s_and_saveexec_b64 s[2:3], vcc
	s_cbranch_execz .LBB37_70
.LBB37_69:
	ds_read_b32 v10, v10 offset:224
	s_waitcnt lgkmcnt(0)
	v_add_f32_e32 v8, v8, v10
.LBB37_70:
	s_or_b64 exec, exec, s[2:3]
.LBB37_71:
	s_or_b64 exec, exec, s[0:1]
	v_cmp_eq_u32_e32 vcc, 0, v9
	s_barrier
	s_and_saveexec_b64 s[0:1], vcc
	s_cbranch_execz .LBB37_73
; %bb.72:
	s_mul_i32 s0, s10, s11
	s_mul_i32 s0, s0, s9
	s_lshl_b32 s0, s0, 6
	s_ashr_i32 s1, s0, 31
	s_lshl_b64 s[0:1], s[0:1], 2
	s_add_u32 s2, s22, s0
	s_mul_i32 s0, s11, s20
	s_addc_u32 s3, s23, s1
	s_ashr_i32 s1, s0, 31
	s_lshl_b64 s[0:1], s[0:1], 2
	s_add_u32 s2, s2, s0
	s_addc_u32 s3, s3, s1
	s_lshl_b32 s0, s8, 6
	s_ashr_i32 s1, s0, 31
	s_lshl_b64 s[0:1], s[0:1], 2
	s_add_u32 s0, s2, s0
	s_addc_u32 s1, s3, s1
	v_lshlrev_b32_e32 v0, 2, v0
	global_store_dword v0, v1, s[0:1]
	global_store_dword v0, v2, s[0:1] offset:32
	global_store_dword v0, v3, s[0:1] offset:64
	;; [unrolled: 1-line block ×7, first 2 shown]
.LBB37_73:
	s_endpgm
.LBB37_74:
	ds_read_b32 v11, v10
	s_waitcnt lgkmcnt(0)
	v_add_f32_e32 v1, v1, v11
	s_or_b64 exec, exec, s[2:3]
	s_and_saveexec_b64 s[2:3], vcc
	s_cbranch_execz .LBB37_63
.LBB37_75:
	ds_read_b32 v11, v10 offset:32
	s_waitcnt lgkmcnt(0)
	v_add_f32_e32 v2, v2, v11
	s_or_b64 exec, exec, s[2:3]
	s_and_saveexec_b64 s[2:3], vcc
	s_cbranch_execz .LBB37_64
.LBB37_76:
	ds_read_b32 v11, v10 offset:64
	s_waitcnt lgkmcnt(0)
	v_add_f32_e32 v3, v3, v11
	s_or_b64 exec, exec, s[2:3]
	s_and_saveexec_b64 s[2:3], vcc
	s_cbranch_execz .LBB37_65
.LBB37_77:
	ds_read_b32 v11, v10 offset:96
	s_waitcnt lgkmcnt(0)
	v_add_f32_e32 v4, v4, v11
	s_or_b64 exec, exec, s[2:3]
	s_and_saveexec_b64 s[2:3], vcc
	s_cbranch_execz .LBB37_66
.LBB37_78:
	ds_read_b32 v11, v10 offset:128
	s_waitcnt lgkmcnt(0)
	v_add_f32_e32 v5, v5, v11
	s_or_b64 exec, exec, s[2:3]
	s_and_saveexec_b64 s[2:3], vcc
	s_cbranch_execz .LBB37_67
.LBB37_79:
	ds_read_b32 v11, v10 offset:160
	s_waitcnt lgkmcnt(0)
	v_add_f32_e32 v6, v6, v11
	s_or_b64 exec, exec, s[2:3]
	s_and_saveexec_b64 s[2:3], vcc
	s_cbranch_execz .LBB37_68
.LBB37_80:
	ds_read_b32 v11, v10 offset:192
	s_waitcnt lgkmcnt(0)
	v_add_f32_e32 v7, v7, v11
	s_or_b64 exec, exec, s[2:3]
	s_and_saveexec_b64 s[2:3], vcc
	s_cbranch_execnz .LBB37_69
	s_branch .LBB37_70
	.section	.rodata,"a",@progbits
	.p2align	6, 0x0
	.amdhsa_kernel _ZN4vllm25paged_attention_v1_kernelIffLi64ELi32ELi128ELNS_18Fp8KVCacheDataTypeE0ELb1EEEvPT_PKS2_PKT0_S8_ifPKiSA_iPKfiiiSC_SC_iiiii
		.amdhsa_group_segment_fixed_size 272
		.amdhsa_private_segment_fixed_size 0
		.amdhsa_kernarg_size 384
		.amdhsa_user_sgpr_count 6
		.amdhsa_user_sgpr_private_segment_buffer 1
		.amdhsa_user_sgpr_dispatch_ptr 0
		.amdhsa_user_sgpr_queue_ptr 0
		.amdhsa_user_sgpr_kernarg_segment_ptr 1
		.amdhsa_user_sgpr_dispatch_id 0
		.amdhsa_user_sgpr_flat_scratch_init 0
		.amdhsa_user_sgpr_private_segment_size 0
		.amdhsa_uses_dynamic_stack 0
		.amdhsa_system_sgpr_private_segment_wavefront_offset 0
		.amdhsa_system_sgpr_workgroup_id_x 1
		.amdhsa_system_sgpr_workgroup_id_y 1
		.amdhsa_system_sgpr_workgroup_id_z 1
		.amdhsa_system_sgpr_workgroup_info 0
		.amdhsa_system_vgpr_workitem_id 0
		.amdhsa_next_free_vgpr 63
		.amdhsa_next_free_sgpr 45
		.amdhsa_reserve_vcc 1
		.amdhsa_reserve_flat_scratch 0
		.amdhsa_float_round_mode_32 0
		.amdhsa_float_round_mode_16_64 0
		.amdhsa_float_denorm_mode_32 3
		.amdhsa_float_denorm_mode_16_64 3
		.amdhsa_dx10_clamp 1
		.amdhsa_ieee_mode 1
		.amdhsa_fp16_overflow 0
		.amdhsa_exception_fp_ieee_invalid_op 0
		.amdhsa_exception_fp_denorm_src 0
		.amdhsa_exception_fp_ieee_div_zero 0
		.amdhsa_exception_fp_ieee_overflow 0
		.amdhsa_exception_fp_ieee_underflow 0
		.amdhsa_exception_fp_ieee_inexact 0
		.amdhsa_exception_int_div_zero 0
	.end_amdhsa_kernel
	.section	.text._ZN4vllm25paged_attention_v1_kernelIffLi64ELi32ELi128ELNS_18Fp8KVCacheDataTypeE0ELb1EEEvPT_PKS2_PKT0_S8_ifPKiSA_iPKfiiiSC_SC_iiiii,"axG",@progbits,_ZN4vllm25paged_attention_v1_kernelIffLi64ELi32ELi128ELNS_18Fp8KVCacheDataTypeE0ELb1EEEvPT_PKS2_PKT0_S8_ifPKiSA_iPKfiiiSC_SC_iiiii,comdat
.Lfunc_end37:
	.size	_ZN4vllm25paged_attention_v1_kernelIffLi64ELi32ELi128ELNS_18Fp8KVCacheDataTypeE0ELb1EEEvPT_PKS2_PKT0_S8_ifPKiSA_iPKfiiiSC_SC_iiiii, .Lfunc_end37-_ZN4vllm25paged_attention_v1_kernelIffLi64ELi32ELi128ELNS_18Fp8KVCacheDataTypeE0ELb1EEEvPT_PKS2_PKT0_S8_ifPKiSA_iPKfiiiSC_SC_iiiii
                                        ; -- End function
	.set _ZN4vllm25paged_attention_v1_kernelIffLi64ELi32ELi128ELNS_18Fp8KVCacheDataTypeE0ELb1EEEvPT_PKS2_PKT0_S8_ifPKiSA_iPKfiiiSC_SC_iiiii.num_vgpr, 63
	.set _ZN4vllm25paged_attention_v1_kernelIffLi64ELi32ELi128ELNS_18Fp8KVCacheDataTypeE0ELb1EEEvPT_PKS2_PKT0_S8_ifPKiSA_iPKfiiiSC_SC_iiiii.num_agpr, 0
	.set _ZN4vllm25paged_attention_v1_kernelIffLi64ELi32ELi128ELNS_18Fp8KVCacheDataTypeE0ELb1EEEvPT_PKS2_PKT0_S8_ifPKiSA_iPKfiiiSC_SC_iiiii.numbered_sgpr, 45
	.set _ZN4vllm25paged_attention_v1_kernelIffLi64ELi32ELi128ELNS_18Fp8KVCacheDataTypeE0ELb1EEEvPT_PKS2_PKT0_S8_ifPKiSA_iPKfiiiSC_SC_iiiii.num_named_barrier, 0
	.set _ZN4vllm25paged_attention_v1_kernelIffLi64ELi32ELi128ELNS_18Fp8KVCacheDataTypeE0ELb1EEEvPT_PKS2_PKT0_S8_ifPKiSA_iPKfiiiSC_SC_iiiii.private_seg_size, 0
	.set _ZN4vllm25paged_attention_v1_kernelIffLi64ELi32ELi128ELNS_18Fp8KVCacheDataTypeE0ELb1EEEvPT_PKS2_PKT0_S8_ifPKiSA_iPKfiiiSC_SC_iiiii.uses_vcc, 1
	.set _ZN4vllm25paged_attention_v1_kernelIffLi64ELi32ELi128ELNS_18Fp8KVCacheDataTypeE0ELb1EEEvPT_PKS2_PKT0_S8_ifPKiSA_iPKfiiiSC_SC_iiiii.uses_flat_scratch, 0
	.set _ZN4vllm25paged_attention_v1_kernelIffLi64ELi32ELi128ELNS_18Fp8KVCacheDataTypeE0ELb1EEEvPT_PKS2_PKT0_S8_ifPKiSA_iPKfiiiSC_SC_iiiii.has_dyn_sized_stack, 0
	.set _ZN4vllm25paged_attention_v1_kernelIffLi64ELi32ELi128ELNS_18Fp8KVCacheDataTypeE0ELb1EEEvPT_PKS2_PKT0_S8_ifPKiSA_iPKfiiiSC_SC_iiiii.has_recursion, 0
	.set _ZN4vllm25paged_attention_v1_kernelIffLi64ELi32ELi128ELNS_18Fp8KVCacheDataTypeE0ELb1EEEvPT_PKS2_PKT0_S8_ifPKiSA_iPKfiiiSC_SC_iiiii.has_indirect_call, 0
	.section	.AMDGPU.csdata,"",@progbits
; Kernel info:
; codeLenInByte = 4940
; TotalNumSgprs: 49
; NumVgprs: 63
; ScratchSize: 0
; MemoryBound: 0
; FloatMode: 240
; IeeeMode: 1
; LDSByteSize: 272 bytes/workgroup (compile time only)
; SGPRBlocks: 6
; VGPRBlocks: 15
; NumSGPRsForWavesPerEU: 49
; NumVGPRsForWavesPerEU: 63
; Occupancy: 4
; WaveLimiterHint : 1
; COMPUTE_PGM_RSRC2:SCRATCH_EN: 0
; COMPUTE_PGM_RSRC2:USER_SGPR: 6
; COMPUTE_PGM_RSRC2:TRAP_HANDLER: 0
; COMPUTE_PGM_RSRC2:TGID_X_EN: 1
; COMPUTE_PGM_RSRC2:TGID_Y_EN: 1
; COMPUTE_PGM_RSRC2:TGID_Z_EN: 1
; COMPUTE_PGM_RSRC2:TIDIG_COMP_CNT: 0
	.section	.text._ZN4vllm25paged_attention_v1_kernelIffLi80ELi32ELi128ELNS_18Fp8KVCacheDataTypeE0ELb1EEEvPT_PKS2_PKT0_S8_ifPKiSA_iPKfiiiSC_SC_iiiii,"axG",@progbits,_ZN4vllm25paged_attention_v1_kernelIffLi80ELi32ELi128ELNS_18Fp8KVCacheDataTypeE0ELb1EEEvPT_PKS2_PKT0_S8_ifPKiSA_iPKfiiiSC_SC_iiiii,comdat
	.protected	_ZN4vllm25paged_attention_v1_kernelIffLi80ELi32ELi128ELNS_18Fp8KVCacheDataTypeE0ELb1EEEvPT_PKS2_PKT0_S8_ifPKiSA_iPKfiiiSC_SC_iiiii ; -- Begin function _ZN4vllm25paged_attention_v1_kernelIffLi80ELi32ELi128ELNS_18Fp8KVCacheDataTypeE0ELb1EEEvPT_PKS2_PKT0_S8_ifPKiSA_iPKfiiiSC_SC_iiiii
	.globl	_ZN4vllm25paged_attention_v1_kernelIffLi80ELi32ELi128ELNS_18Fp8KVCacheDataTypeE0ELb1EEEvPT_PKS2_PKT0_S8_ifPKiSA_iPKfiiiSC_SC_iiiii
	.p2align	8
	.type	_ZN4vllm25paged_attention_v1_kernelIffLi80ELi32ELi128ELNS_18Fp8KVCacheDataTypeE0ELb1EEEvPT_PKS2_PKT0_S8_ifPKiSA_iPKfiiiSC_SC_iiiii,@function
_ZN4vllm25paged_attention_v1_kernelIffLi80ELi32ELi128ELNS_18Fp8KVCacheDataTypeE0ELb1EEEvPT_PKS2_PKT0_S8_ifPKiSA_iPKfiiiSC_SC_iiiii: ; @_ZN4vllm25paged_attention_v1_kernelIffLi80ELi32ELi128ELNS_18Fp8KVCacheDataTypeE0ELb1EEEvPT_PKS2_PKT0_S8_ifPKiSA_iPKfiiiSC_SC_iiiii
; %bb.0:
	s_mov_b64 s[50:51], s[2:3]
	s_mov_b64 s[48:49], s[0:1]
	s_add_u32 s48, s48, s9
	s_load_dword s9, s[4:5], 0x80
	s_load_dwordx2 s[0:1], s[4:5], 0x30
	s_load_dwordx2 s[30:31], s[4:5], 0x20
	s_addc_u32 s49, s49, 0
	s_mov_b32 s10, s7
	s_ashr_i32 s11, s7, 31
	s_lshl_b64 s[2:3], s[10:11], 2
	s_waitcnt lgkmcnt(0)
	s_add_u32 s0, s0, s2
	s_addc_u32 s1, s1, s3
	s_abs_i32 s2, s30
	v_mov_b32_e32 v41, v0
	v_cvt_f32_u32_e32 v0, s2
	s_sub_i32 s11, 0, s2
	s_abs_i32 s7, s9
	s_xor_b32 s3, s9, s30
	v_rcp_iflag_f32_e32 v0, v0
	s_ashr_i32 s3, s3, 31
	s_mov_b32 s42, 0
	v_mul_f32_e32 v0, 0x4f7ffffe, v0
	v_cvt_u32_f32_e32 v0, v0
	v_readfirstlane_b32 s12, v0
	s_mul_i32 s11, s11, s12
	s_mul_hi_u32 s11, s12, s11
	s_add_i32 s12, s12, s11
	s_mul_hi_u32 s11, s7, s12
	s_mul_i32 s12, s11, s2
	s_sub_i32 s7, s7, s12
	s_add_i32 s12, s11, 1
	s_sub_i32 s13, s7, s2
	s_cmp_ge_u32 s7, s2
	s_cselect_b32 s11, s12, s11
	s_cselect_b32 s7, s13, s7
	s_add_i32 s12, s11, 1
	s_cmp_ge_u32 s7, s2
	s_cselect_b32 s2, s12, s11
	s_xor_b32 s2, s2, s3
	s_sub_i32 s12, s2, s3
	s_abs_i32 s11, s12
	v_cvt_f32_u32_e32 v0, s11
	s_load_dwordx2 s[2:3], s[4:5], 0x40
	s_sub_i32 s7, 0, s11
	s_abs_i32 s22, s6
	v_rcp_iflag_f32_e32 v0, v0
	v_mul_f32_e32 v0, 0x4f7ffffe, v0
	v_cvt_u32_f32_e32 v0, v0
	v_readfirstlane_b32 s13, v0
	s_mul_i32 s7, s7, s13
	s_mul_hi_u32 s7, s13, s7
	s_add_i32 s13, s13, s7
	s_waitcnt lgkmcnt(0)
	s_cmp_eq_u64 s[2:3], 0
	s_mul_hi_u32 s23, s22, s13
	s_cbranch_scc1 .LBB38_2
; %bb.1:
	s_ashr_i32 s7, s6, 31
	s_lshl_b64 s[14:15], s[6:7], 2
	s_add_u32 s2, s2, s14
	s_addc_u32 s3, s3, s15
	s_load_dword s42, s[2:3], 0x0
.LBB38_2:
	s_load_dword s33, s[0:1], 0x0
	s_ashr_i32 s7, s12, 31
	s_load_dwordx4 s[12:15], s[4:5], 0x48
	s_ashr_i32 s2, s6, 31
	v_and_b32_e32 v1, 1, v41
	s_mul_i32 s20, s6, 0x50
	v_cmp_gt_u32_e32 vcc, 40, v41
	v_lshlrev_b32_e32 v2, 3, v41
	v_lshlrev_b32_e32 v3, 2, v41
	s_and_saveexec_b64 s[0:1], vcc
	s_cbranch_execz .LBB38_4
; %bb.3:
	s_load_dwordx2 s[16:17], s[4:5], 0x8
	s_waitcnt lgkmcnt(0)
	s_mul_i32 s18, s12, s10
	s_ashr_i32 s19, s18, 31
	s_lshl_b64 s[18:19], s[18:19], 2
	v_and_b32_e32 v0, 0xff8, v3
	s_add_u32 s3, s16, s18
	s_addc_u32 s12, s17, s19
	s_ashr_i32 s21, s20, 31
	s_lshl_b64 s[16:17], s[20:21], 2
	s_add_u32 s16, s3, s16
	s_addc_u32 s17, s12, s17
	global_load_dwordx2 v[4:5], v2, s[16:17]
	s_movk_i32 s3, 0xa0
	v_mad_u32_u24 v0, v1, s3, v0
	s_waitcnt vmcnt(0)
	ds_write_b64 v0, v[4:5]
.LBB38_4:
	s_or_b64 exec, exec, s[0:1]
	s_mul_i32 s1, s23, s11
	s_sub_i32 s1, s22, s1
	s_xor_b32 s0, s2, s7
	s_add_i32 s2, s23, 1
	s_sub_i32 s7, s1, s11
	s_load_dwordx4 s[16:19], s[4:5], 0x68
	s_load_dword s3, s[4:5], 0x78
	s_cmp_ge_u32 s1, s11
	s_cselect_b32 s2, s2, s23
	s_cselect_b32 s1, s7, s1
	s_add_i32 s7, s2, 1
	s_cmp_ge_u32 s1, s11
	s_cselect_b32 s1, s7, s2
	s_waitcnt lgkmcnt(0)
	s_abs_i32 s21, s19
	v_cvt_f32_u32_e32 v0, s21
	s_xor_b32 s1, s1, s0
	s_sub_i32 s2, s1, s0
	s_sub_i32 s0, 0, s21
	v_rcp_iflag_f32_e32 v0, v0
	s_add_i32 s11, s33, -1
	s_abs_i32 s7, s11
	v_mul_f32_e32 v0, 0x4f7ffffe, v0
	v_cvt_u32_f32_e32 v0, v0
	s_barrier
	v_readfirstlane_b32 s40, v0
	s_mul_i32 s0, s0, s40
	s_mul_hi_u32 s0, s40, s0
	s_add_i32 s40, s40, s0
	s_cmp_lt_i32 s3, 0
	s_mul_hi_u32 s12, s7, s40
	s_cbranch_scc0 .LBB38_6
; %bb.5:
	s_mul_i32 s0, s16, s30
	s_add_i32 s0, s2, s0
	s_mul_i32 s0, s0, s3
	s_sub_i32 s41, 1, s0
	s_mov_b64 s[0:1], 0
	s_branch .LBB38_7
.LBB38_6:
	s_mov_b64 s[0:1], -1
                                        ; implicit-def: $sgpr41
.LBB38_7:
	s_load_dwordx2 s[24:25], s[4:5], 0x28
	s_ashr_i32 s15, s11, 31
	s_andn2_b64 vcc, exec, s[0:1]
	s_ashr_i32 s19, s19, 31
	s_cbranch_vccnz .LBB38_9
; %bb.8:
	s_mul_i32 s0, s9, s16
	s_add_i32 s0, s0, s6
	s_mul_i32 s0, s0, s3
	s_add_i32 s41, s0, 1
.LBB38_9:
	s_load_dword s0, s[4:5], 0x38
	s_load_dwordx2 s[22:23], s[4:5], 0x0
	s_load_dwordx2 s[28:29], s[4:5], 0x18
	s_load_dword s11, s[4:5], 0x88
	s_xor_b32 s1, s15, s19
	s_waitcnt lgkmcnt(0)
	s_mul_i32 s26, s0, s10
	s_mul_i32 s0, s12, s21
	s_sub_i32 s0, s7, s0
	s_ashr_i32 s27, s26, 31
	s_add_i32 s3, s12, 1
	s_sub_i32 s6, s0, s21
	s_cmp_ge_u32 s0, s21
	s_cselect_b32 s3, s3, s12
	s_cselect_b32 s0, s6, s0
	s_add_i32 s6, s3, 1
	s_cmp_ge_u32 s0, s21
	s_cselect_b32 s0, s6, s3
	s_xor_b32 s0, s0, s1
	s_sub_i32 s12, s0, s1
	s_add_i32 s0, s33, 31
	s_ashr_i32 s1, s0, 31
	s_lshr_b32 s1, s1, 27
	s_add_i32 s0, s0, s1
	s_ashr_i32 s16, s0, 5
	v_lshrrev_b32_e32 v47, 6, v41
	v_cmp_gt_i32_e64 s[0:1], s16, v47
	v_mov_b32_e32 v8, 0xff7fffff
	s_mul_i32 s14, s2, s14
	v_lshrrev_b32_e32 v4, 4, v41
	v_lshlrev_b32_e32 v48, 5, v47
	v_mbcnt_lo_u32_b32 v0, -1, 0
	s_and_saveexec_b64 s[34:35], s[0:1]
	s_cbranch_execz .LBB38_21
; %bb.10:
	s_load_dwordx2 s[2:3], s[4:5], 0x10
	s_ashr_i32 s15, s14, 31
	s_sub_i32 s30, s12, s17
	s_lshl_b64 s[4:5], s[14:15], 2
	v_bfe_u32 v5, v41, 1, 5
	s_waitcnt lgkmcnt(0)
	s_add_u32 s2, s2, s4
	s_addc_u32 s3, s3, s5
	s_abs_i32 s15, s18
	v_cvt_f32_u32_e32 v6, s15
	v_mov_b32_e32 v7, s3
	s_sub_i32 s3, 0, s15
	s_lshl_b64 s[4:5], s[26:27], 2
	v_rcp_iflag_f32_e32 v6, v6
	v_and_b32_e32 v2, 8, v2
	v_lshlrev_b32_e32 v8, 2, v5
	s_add_u32 s4, s24, s4
	v_mul_f32_e32 v6, 0x4f7ffffe, v6
	v_cvt_u32_f32_e32 v10, v6
	v_lshlrev_b32_e32 v6, 4, v5
	v_cmp_eq_u32_e32 vcc, 0, v1
	s_addc_u32 s5, s25, s5
	v_mul_lo_u32 v9, s3, v10
	v_add_co_u32_e64 v6, s[2:3], s2, v6
	v_addc_co_u32_e64 v7, s[2:3], 0, v7, s[2:3]
	v_mul_hi_u32 v11, v10, v9
	v_add_co_u32_e64 v6, s[2:3], v6, v2
	v_mul_u32_u24_e32 v9, 0xa0, v1
	v_and_b32_e32 v1, 60, v4
	v_lshl_or_b32 v8, v47, 7, v8
	v_mbcnt_hi_u32_b32 v15, -1, v0
	v_addc_co_u32_e64 v7, s[2:3], 0, v7, s[2:3]
	v_mov_b32_e32 v2, s5
	v_add_co_u32_e64 v1, s[4:5], s4, v1
	v_subrev_u32_e32 v12, s33, v5
	v_add_u32_e32 v13, 0x150, v8
	v_and_b32_e32 v8, 64, v15
	s_mov_b32 s43, s13
	v_cmp_neq_f32_e64 s[2:3], s42, 0
	v_add_u32_e32 v10, v10, v11
	v_addc_co_u32_e64 v2, s[4:5], 0, v2, s[4:5]
	v_lshlrev_b32_e32 v11, 5, v47
	v_add_u32_e32 v12, 1, v12
	v_mov_b32_e32 v14, 0xff7fffff
	s_mov_b64 s[36:37], 0
	s_movk_i32 s44, 0x1000
	s_movk_i32 s45, 0x2000
	v_xor_b32_e32 v16, 1, v15
	v_add_u32_e32 v17, 64, v8
	v_mov_b32_e32 v8, 0xff7fffff
	v_mov_b32_e32 v18, v47
	s_branch .LBB38_13
.LBB38_11:                              ;   in Loop: Header=BB38_13 Depth=1
	s_or_b64 exec, exec, s[38:39]
.LBB38_12:                              ;   in Loop: Header=BB38_13 Depth=1
	s_or_b64 exec, exec, s[6:7]
	v_add_co_u32_e64 v1, s[4:5], 8, v1
	v_add_u32_e32 v18, 2, v18
	v_addc_co_u32_e64 v2, s[4:5], 0, v2, s[4:5]
	v_cmp_le_i32_e64 s[4:5], s16, v18
	v_add_u32_e32 v11, 64, v11
	s_or_b64 s[36:37], s[4:5], s[36:37]
	v_add_u32_e32 v13, 0x100, v13
	s_andn2_b64 exec, exec, s[36:37]
	s_cbranch_execz .LBB38_20
.LBB38_13:                              ; =>This Inner Loop Header: Depth=1
	v_mul_hi_u32 v19, v11, s40
	s_waitcnt lgkmcnt(0)
	v_mul_lo_u32 v20, v19, s21
	v_add_u32_e32 v21, 1, v19
	v_sub_u32_e32 v20, v11, v20
	v_cmp_le_u32_e64 s[4:5], s21, v20
	v_cndmask_b32_e64 v19, v19, v21, s[4:5]
	v_subrev_u32_e32 v21, s21, v20
	v_cndmask_b32_e64 v20, v20, v21, s[4:5]
	v_add_u32_e32 v21, 1, v19
	v_cmp_le_u32_e64 s[4:5], s21, v20
	v_cndmask_b32_e64 v19, v19, v21, s[4:5]
	v_xor_b32_e32 v19, s19, v19
	v_subrev_u32_e32 v19, s19, v19
	v_add_u32_e32 v20, s41, v19
	v_sub_u32_e32 v21, 0, v20
	v_max_i32_e32 v21, v20, v21
	v_mul_hi_u32 v22, v21, v10
	v_ashrrev_i32_e32 v20, 31, v20
	v_cmp_ge_i32_e64 s[6:7], s30, v19
	v_mul_lo_u32 v22, v22, s15
	v_sub_u32_e32 v21, v21, v22
	v_subrev_u32_e32 v22, s15, v21
	v_cmp_le_u32_e64 s[4:5], s15, v21
	v_cndmask_b32_e64 v21, v21, v22, s[4:5]
	v_subrev_u32_e32 v22, s15, v21
	v_cmp_le_u32_e64 s[4:5], s15, v21
	v_cndmask_b32_e64 v21, v21, v22, s[4:5]
	v_xor_b32_e32 v21, v21, v20
	v_sub_u32_e32 v20, v21, v20
	v_cmp_ne_u32_e64 s[4:5], 0, v20
	s_and_b64 s[4:5], s[4:5], s[6:7]
	s_and_saveexec_b64 s[6:7], s[4:5]
	s_xor_b64 s[4:5], exec, s[6:7]
	s_cbranch_execz .LBB38_17
; %bb.14:                               ;   in Loop: Header=BB38_13 Depth=1
	s_and_saveexec_b64 s[6:7], vcc
; %bb.15:                               ;   in Loop: Header=BB38_13 Depth=1
	ds_write_b32 v13, v14
; %bb.16:                               ;   in Loop: Header=BB38_13 Depth=1
	s_or_b64 exec, exec, s[6:7]
.LBB38_17:                              ;   in Loop: Header=BB38_13 Depth=1
	s_andn2_saveexec_b64 s[6:7], s[4:5]
	s_cbranch_execz .LBB38_12
; %bb.18:                               ;   in Loop: Header=BB38_13 Depth=1
	global_load_dword v19, v[1:2], off
	s_waitcnt vmcnt(0)
	v_mad_i64_i32 v[19:20], s[4:5], v19, s43, 0
	v_lshlrev_b64 v[19:20], 2, v[19:20]
	v_add_co_u32_e64 v29, s[4:5], v6, v19
	v_addc_co_u32_e64 v30, s[4:5], v7, v20, s[4:5]
	global_load_dwordx2 v[19:20], v[29:30], off offset:512
	ds_read_b128 v[21:24], v9
	ds_read_b128 v[25:28], v9 offset:16
	global_load_dwordx2 v[31:32], v[29:30], off offset:1024
	global_load_dwordx2 v[33:34], v[29:30], off offset:1536
	s_waitcnt vmcnt(2) lgkmcnt(1)
	v_mul_f32_e32 v19, v23, v19
	v_mul_f32_e32 v20, v24, v20
	global_load_dwordx2 v[23:24], v[29:30], off
	global_load_dwordx2 v[35:36], v[29:30], off offset:2048
	global_load_dwordx2 v[37:38], v[29:30], off offset:2560
	s_waitcnt vmcnt(2)
	v_fmac_f32_e32 v19, v21, v23
	v_fmac_f32_e32 v20, v22, v24
	ds_read_b128 v[21:24], v9 offset:32
	s_waitcnt lgkmcnt(1)
	v_fmac_f32_e32 v19, v25, v31
	v_fmac_f32_e32 v20, v26, v32
	v_fmac_f32_e32 v19, v27, v33
	v_fmac_f32_e32 v20, v28, v34
	s_waitcnt vmcnt(1) lgkmcnt(0)
	v_fmac_f32_e32 v19, v21, v35
	v_add_co_u32_e64 v35, s[4:5], s45, v29
	global_load_dwordx2 v[31:32], v[29:30], off offset:3072
	global_load_dwordx2 v[33:34], v[29:30], off offset:3584
	v_fmac_f32_e32 v20, v22, v36
	v_addc_co_u32_e64 v36, s[4:5], 0, v30, s[4:5]
	s_waitcnt vmcnt(2)
	v_fmac_f32_e32 v19, v23, v37
	v_fmac_f32_e32 v20, v24, v38
	global_load_dwordx2 v[37:38], v[35:36], off offset:-4096
	ds_read_b128 v[25:28], v9 offset:48
	ds_read_b128 v[21:24], v9 offset:64
	v_add_co_u32_e64 v29, s[4:5], s44, v29
	v_addc_co_u32_e64 v30, s[4:5], 0, v30, s[4:5]
	v_cmp_lt_i32_e64 s[4:5], v16, v17
	s_waitcnt vmcnt(2) lgkmcnt(1)
	v_fmac_f32_e32 v19, v25, v31
	v_fmac_f32_e32 v20, v26, v32
	s_waitcnt vmcnt(1)
	v_fmac_f32_e32 v19, v27, v33
	v_fmac_f32_e32 v20, v28, v34
	ds_read_b128 v[25:28], v9 offset:80
	global_load_dwordx2 v[31:32], v[29:30], off offset:3584
	s_waitcnt vmcnt(1) lgkmcnt(1)
	v_fmac_f32_e32 v19, v21, v37
	v_fmac_f32_e32 v20, v22, v38
	global_load_dwordx2 v[21:22], v[29:30], off offset:512
	global_load_dwordx2 v[33:34], v[29:30], off offset:1024
	;; [unrolled: 1-line block ×4, first 2 shown]
	s_waitcnt vmcnt(3)
	v_fmac_f32_e32 v19, v23, v21
	v_fmac_f32_e32 v20, v24, v22
	s_waitcnt vmcnt(2) lgkmcnt(0)
	v_fmac_f32_e32 v19, v25, v33
	v_fmac_f32_e32 v20, v26, v34
	s_waitcnt vmcnt(1)
	v_fmac_f32_e32 v19, v27, v37
	v_fmac_f32_e32 v20, v28, v38
	ds_read_b128 v[21:24], v9 offset:96
	ds_read_b128 v[25:28], v9 offset:112
	s_waitcnt vmcnt(0) lgkmcnt(1)
	v_fmac_f32_e32 v19, v21, v39
	v_fmac_f32_e32 v20, v22, v40
	global_load_dwordx2 v[21:22], v[29:30], off offset:2560
	s_nop 0
	global_load_dwordx2 v[29:30], v[29:30], off offset:3072
	s_nop 0
	global_load_dwordx2 v[33:34], v[35:36], off
	global_load_dwordx2 v[37:38], v[35:36], off offset:512
	s_waitcnt vmcnt(3)
	v_fmac_f32_e32 v19, v23, v21
	v_fmac_f32_e32 v20, v24, v22
	s_waitcnt vmcnt(2) lgkmcnt(0)
	v_fmac_f32_e32 v19, v25, v29
	v_fmac_f32_e32 v20, v26, v30
	global_load_dwordx2 v[29:30], v[35:36], off offset:1024
	s_nop 0
	global_load_dwordx2 v[35:36], v[35:36], off offset:1536
	v_fmac_f32_e32 v19, v27, v31
	v_fmac_f32_e32 v20, v28, v32
	ds_read_b128 v[21:24], v9 offset:128
	ds_read_b128 v[25:28], v9 offset:144
	s_waitcnt vmcnt(3) lgkmcnt(1)
	v_fmac_f32_e32 v19, v21, v33
	v_fmac_f32_e32 v20, v22, v34
	s_waitcnt vmcnt(2)
	v_fmac_f32_e32 v19, v23, v37
	v_fmac_f32_e32 v20, v24, v38
	v_cndmask_b32_e64 v21, v15, v16, s[4:5]
	v_lshlrev_b32_e32 v21, 2, v21
	s_waitcnt vmcnt(1) lgkmcnt(0)
	v_fmac_f32_e32 v19, v25, v29
	v_fmac_f32_e32 v20, v26, v30
	s_waitcnt vmcnt(0)
	v_fmac_f32_e32 v19, v27, v35
	v_fmac_f32_e32 v20, v28, v36
	v_add_f32_e32 v19, v19, v20
	ds_bpermute_b32 v20, v21, v19
	s_and_saveexec_b64 s[38:39], vcc
	s_cbranch_execz .LBB38_11
; %bb.19:                               ;   in Loop: Header=BB38_13 Depth=1
	v_add_u32_e32 v21, v12, v11
	v_cvt_f32_i32_e32 v21, v21
	s_waitcnt lgkmcnt(0)
	v_add_f32_e32 v19, v19, v20
	v_add_u32_e32 v22, v5, v11
	v_cmp_gt_i32_e64 s[4:5], s33, v22
	v_mul_f32_e32 v20, s42, v21
	v_cndmask_b32_e64 v20, 0, v20, s[2:3]
	v_fmac_f32_e32 v20, s31, v19
	v_cndmask_b32_e64 v19, 0, v20, s[4:5]
	ds_write_b32 v13, v19
	v_max_f32_e32 v19, v8, v8
	v_max_f32_e32 v19, v19, v20
	v_cndmask_b32_e64 v8, v8, v19, s[4:5]
	s_branch .LBB38_11
.LBB38_20:
	s_or_b64 exec, exec, s[36:37]
.LBB38_21:
	s_or_b64 exec, exec, s[34:35]
	v_mbcnt_hi_u32_b32 v0, -1, v0
	v_and_b32_e32 v9, 64, v0
	v_add_u32_e32 v10, 64, v9
	v_xor_b32_e32 v1, 32, v0
	v_cmp_lt_i32_e32 vcc, v1, v10
	v_cndmask_b32_e32 v1, v0, v1, vcc
	v_lshlrev_b32_e32 v1, 2, v1
	ds_bpermute_b32 v2, v1, v8
	v_xor_b32_e32 v6, 16, v0
	v_max_f32_e32 v5, v8, v8
	v_cmp_lt_i32_e32 vcc, v6, v10
	v_xor_b32_e32 v7, 8, v0
	s_waitcnt lgkmcnt(0)
	v_max_f32_e32 v2, v2, v2
	v_max_f32_e32 v5, v5, v2
	v_cndmask_b32_e32 v2, v0, v6, vcc
	v_lshlrev_b32_e32 v2, 2, v2
	ds_bpermute_b32 v6, v2, v5
	v_cmp_lt_i32_e32 vcc, v7, v10
	v_xor_b32_e32 v8, 4, v0
	v_and_b32_e32 v16, 63, v41
	s_waitcnt lgkmcnt(0)
	v_max_f32_e32 v6, v6, v6
	v_max_f32_e32 v6, v5, v6
	v_cndmask_b32_e32 v5, v0, v7, vcc
	v_lshlrev_b32_e32 v5, 2, v5
	ds_bpermute_b32 v7, v5, v6
	v_cmp_lt_i32_e32 vcc, v8, v10
	s_waitcnt lgkmcnt(0)
	v_max_f32_e32 v7, v7, v7
	v_max_f32_e32 v6, v6, v7
	v_cndmask_b32_e32 v7, v0, v8, vcc
	v_lshlrev_b32_e32 v13, 2, v7
	ds_bpermute_b32 v7, v13, v6
	v_xor_b32_e32 v8, 2, v0
	v_cmp_lt_i32_e32 vcc, v8, v10
	s_waitcnt lgkmcnt(0)
	v_max_f32_e32 v7, v7, v7
	v_max_f32_e32 v7, v6, v7
	v_cndmask_b32_e32 v6, v0, v8, vcc
	v_lshlrev_b32_e32 v14, 2, v6
	ds_bpermute_b32 v8, v14, v7
	v_cmp_eq_u32_e32 vcc, 0, v16
	v_lshlrev_b32_e32 v6, 2, v47
	s_and_saveexec_b64 s[2:3], vcc
	s_cbranch_execz .LBB38_23
; %bb.22:
	s_waitcnt lgkmcnt(0)
	v_max_f32_e32 v8, v8, v8
	v_max_f32_e32 v7, v7, v7
	;; [unrolled: 1-line block ×3, first 2 shown]
	ds_write_b32 v6, v7 offset:320
.LBB38_23:
	s_or_b64 exec, exec, s[2:3]
	v_cmp_gt_u32_e64 s[2:3], 2, v16
	s_waitcnt lgkmcnt(0)
	v_mov_b32_e32 v8, 0xff7fffff
	v_lshlrev_b32_e32 v7, 2, v16
	s_barrier
	s_and_saveexec_b64 s[4:5], s[2:3]
; %bb.24:
	ds_read_b32 v8, v7 offset:320
; %bb.25:
	s_or_b64 exec, exec, s[4:5]
	v_xor_b32_e32 v11, 1, v0
	v_cmp_lt_i32_e64 s[4:5], v11, v10
	v_cndmask_b32_e64 v10, v0, v11, s[4:5]
	v_lshlrev_b32_e32 v17, 2, v10
	s_waitcnt lgkmcnt(0)
	ds_bpermute_b32 v10, v17, v8
	v_max_f32_e32 v8, v8, v8
	v_lshlrev_b32_e32 v9, 2, v9
	s_lshl_b32 s4, s16, 5
	s_min_i32 s15, s4, s33
	s_waitcnt lgkmcnt(0)
	v_max_f32_e32 v10, v10, v10
	v_max_f32_e32 v8, v8, v10
	ds_bpermute_b32 v9, v9, v8
	v_cmp_gt_i32_e64 s[4:5], s15, v41
	v_mov_b32_e32 v8, 0
	s_and_saveexec_b64 s[30:31], s[4:5]
	s_cbranch_execz .LBB38_29
; %bb.26:
	v_mov_b32_e32 v8, 0x150
	v_lshl_add_u32 v10, v41, 2, v8
	v_mov_b32_e32 v8, 0
	s_mov_b64 s[34:35], 0
	v_mov_b32_e32 v11, v41
.LBB38_27:                              ; =>This Inner Loop Header: Depth=1
	ds_read_b32 v12, v10
	v_add_u32_e32 v11, 0x80, v11
	v_cmp_le_i32_e64 s[6:7], s15, v11
	s_or_b64 s[34:35], s[6:7], s[34:35]
	s_waitcnt lgkmcnt(0)
	v_sub_f32_e32 v12, v12, v9
	v_mul_f32_e32 v12, 0x3fb8aa3b, v12
	v_exp_f32_e32 v12, v12
	ds_write_b32 v10, v12
	v_add_f32_e32 v8, v8, v12
	v_add_u32_e32 v10, 0x200, v10
	s_andn2_b64 exec, exec, s[34:35]
	s_cbranch_execnz .LBB38_27
; %bb.28:
	s_or_b64 exec, exec, s[34:35]
.LBB38_29:
	s_or_b64 exec, exec, s[30:31]
	ds_bpermute_b32 v1, v1, v8
	s_waitcnt lgkmcnt(0)
	v_add_f32_e32 v1, v8, v1
	ds_bpermute_b32 v2, v2, v1
	s_waitcnt lgkmcnt(0)
	v_add_f32_e32 v1, v1, v2
	;; [unrolled: 3-line block ×6, first 2 shown]
	s_and_saveexec_b64 s[6:7], vcc
; %bb.30:
	ds_write_b32 v6, v1 offset:328
; %bb.31:
	s_or_b64 exec, exec, s[6:7]
	s_waitcnt lgkmcnt(0)
	s_barrier
	s_and_saveexec_b64 s[6:7], s[2:3]
; %bb.32:
	ds_read_b32 v1, v7 offset:328
; %bb.33:
	s_or_b64 exec, exec, s[6:7]
	s_waitcnt lgkmcnt(0)
	ds_bpermute_b32 v2, v17, v1
	v_lshlrev_b32_e32 v0, 2, v0
	v_and_b32_e32 v0, 0x100, v0
	s_waitcnt lgkmcnt(0)
	v_add_f32_e32 v1, v1, v2
	ds_bpermute_b32 v0, v0, v1
	s_and_saveexec_b64 s[2:3], s[4:5]
	s_cbranch_execz .LBB38_36
; %bb.34:
	s_waitcnt lgkmcnt(0)
	v_add_f32_e32 v1, 0x358637bd, v0
	v_div_scale_f32 v0, s[4:5], v1, v1, 1.0
	v_div_scale_f32 v2, vcc, 1.0, v1, 1.0
	s_mov_b64 s[4:5], 0
	v_rcp_f32_e32 v5, v0
	v_fma_f32 v6, -v0, v5, 1.0
	v_fmac_f32_e32 v5, v6, v5
	v_mul_f32_e32 v6, v2, v5
	v_fma_f32 v7, -v0, v6, v2
	v_fmac_f32_e32 v6, v7, v5
	v_fma_f32 v0, -v0, v6, v2
	v_div_fmas_f32 v2, v0, v5, v6
	v_mov_b32_e32 v0, 0x150
	v_lshl_add_u32 v0, v41, 2, v0
	v_div_fixup_f32 v1, v2, v1, 1.0
	v_mov_b32_e32 v2, v41
.LBB38_35:                              ; =>This Inner Loop Header: Depth=1
	ds_read_b32 v5, v0
	v_add_u32_e32 v2, 0x80, v2
	v_cmp_le_i32_e32 vcc, s15, v2
	s_or_b64 s[4:5], vcc, s[4:5]
	s_waitcnt lgkmcnt(0)
	v_mul_f32_e32 v5, v1, v5
	ds_write_b32 v0, v5
	v_add_u32_e32 v0, 0x200, v0
	s_andn2_b64 exec, exec, s[4:5]
	s_cbranch_execnz .LBB38_35
.LBB38_36:
	s_or_b64 exec, exec, s[2:3]
	v_mov_b32_e32 v62, 0
	v_and_b32_e32 v18, 7, v41
	v_mov_b32_e32 v63, 0
	v_mov_b32_e32 v61, 0
	;; [unrolled: 1-line block ×9, first 2 shown]
	s_waitcnt lgkmcnt(0)
	s_barrier
	s_and_saveexec_b64 s[2:3], s[0:1]
	s_cbranch_execz .LBB38_62
; %bb.37:
	s_ashr_i32 s15, s14, 31
	s_sub_i32 s17, s12, s17
	s_lshl_b64 s[0:1], s[14:15], 2
	s_add_u32 s0, s28, s0
	s_addc_u32 s1, s29, s1
	s_abs_i32 s14, s18
	v_cvt_f32_u32_e32 v0, s14
	v_and_b32_e32 v1, 28, v3
	s_sub_i32 s4, 0, s14
	buffer_store_dword v17, off, s[48:51], 0 offset:28 ; 4-byte Folded Spill
	buffer_store_dword v14, off, s[48:51], 0 offset:24 ; 4-byte Folded Spill
	;; [unrolled: 1-line block ×4, first 2 shown]
	v_rcp_iflag_f32_e32 v0, v0
	buffer_store_dword v1, off, s[48:51], 0 ; 4-byte Folded Spill
	v_lshlrev_b32_e32 v1, 4, v41
	v_and_b32_e32 v1, 0x3f0, v1
	v_mul_f32_e32 v0, 0x4f7ffffe, v0
	v_cvt_u32_f32_e32 v0, v0
	v_and_b32_e32 v2, 60, v4
	s_add_i32 s18, s16, -1
	v_mov_b32_e32 v4, s1
	v_mul_lo_u32 v3, s4, v0
	v_add_co_u32_e32 v1, vcc, s0, v1
	s_lshl_b64 s[0:1], s[26:27], 2
	s_add_u32 s0, s24, s0
	v_mul_hi_u32 v3, v0, v3
	buffer_store_dword v1, off, s[48:51], 0 offset:4 ; 4-byte Folded Spill
	v_addc_co_u32_e32 v1, vcc, 0, v4, vcc
	s_addc_u32 s1, s25, s1
	buffer_store_dword v1, off, s[48:51], 0 offset:8 ; 4-byte Folded Spill
	v_mov_b32_e32 v1, s1
	v_add_co_u32_e32 v45, vcc, s0, v2
	v_addc_co_u32_e32 v46, vcc, 0, v1, vcc
	v_lshlrev_b32_e32 v1, 4, v18
	v_lshl_or_b32 v1, v47, 7, v1
	s_mov_b32 s15, s13
	v_mov_b32_e32 v54, 0
	v_add_u32_e32 v0, v0, v3
	v_add_u32_e32 v51, 0x150, v1
	s_mov_b64 s[4:5], 0
	v_mov_b32_e32 v55, 0
	v_mov_b32_e32 v56, 0
	;; [unrolled: 1-line block ×9, first 2 shown]
	buffer_store_dword v41, off, s[48:51], 0 offset:12 ; 4-byte Folded Spill
	buffer_store_dword v18, off, s[48:51], 0 offset:32 ; 4-byte Folded Spill
	s_branch .LBB38_40
.LBB38_38:                              ;   in Loop: Header=BB38_40 Depth=1
	s_or_b64 exec, exec, s[12:13]
	s_waitcnt vmcnt(1) lgkmcnt(0)
	v_mul_f32_e32 v41, v1, v41
	v_mul_f32_e32 v33, v1, v33
	;; [unrolled: 1-line block ×9, first 2 shown]
	s_waitcnt vmcnt(0)
	v_mul_f32_e32 v1, v1, v37
	v_fmac_f32_e32 v41, v2, v42
	v_fmac_f32_e32 v33, v2, v34
	;; [unrolled: 1-line block ×30, first 2 shown]
	v_add_f32_e32 v55, v55, v41
	v_add_f32_e32 v56, v56, v33
	v_add_f32_e32 v57, v57, v29
	v_add_f32_e32 v58, v58, v25
	v_add_f32_e32 v59, v59, v21
	v_add_f32_e32 v60, v60, v17
	v_add_f32_e32 v61, v61, v13
	v_add_f32_e32 v63, v63, v9
	v_add_f32_e32 v62, v62, v5
	v_add_f32_e32 v54, v54, v1
.LBB38_39:                              ;   in Loop: Header=BB38_40 Depth=1
	s_or_b64 exec, exec, s[6:7]
	v_add_co_u32_e32 v45, vcc, 8, v45
	v_add_u32_e32 v47, 2, v47
	v_addc_co_u32_e32 v46, vcc, 0, v46, vcc
	v_cmp_le_i32_e32 vcc, s16, v47
	v_add_u32_e32 v48, 64, v48
	s_or_b64 s[4:5], vcc, s[4:5]
	v_add_u32_e32 v51, 0x100, v51
	s_andn2_b64 exec, exec, s[4:5]
	s_cbranch_execz .LBB38_61
.LBB38_40:                              ; =>This Inner Loop Header: Depth=1
	v_mul_hi_u32 v1, v48, s40
	v_mul_lo_u32 v2, v1, s21
	v_add_u32_e32 v3, 1, v1
	v_sub_u32_e32 v2, v48, v2
	v_cmp_le_u32_e32 vcc, s21, v2
	v_cndmask_b32_e32 v1, v1, v3, vcc
	v_subrev_u32_e32 v3, s21, v2
	v_cndmask_b32_e32 v2, v2, v3, vcc
	v_add_u32_e32 v3, 1, v1
	v_cmp_le_u32_e32 vcc, s21, v2
	v_cndmask_b32_e32 v1, v1, v3, vcc
	v_xor_b32_e32 v1, s19, v1
	v_subrev_u32_e32 v1, s19, v1
	v_add_u32_e32 v2, s41, v1
	v_sub_u32_e32 v3, 0, v2
	v_max_i32_e32 v3, v2, v3
	v_mul_hi_u32 v4, v3, v0
	v_ashrrev_i32_e32 v2, 31, v2
	v_cmp_lt_i32_e64 s[0:1], s17, v1
	v_mul_lo_u32 v4, v4, s14
	v_sub_u32_e32 v3, v3, v4
	v_subrev_u32_e32 v4, s14, v3
	v_cmp_le_u32_e32 vcc, s14, v3
	v_cndmask_b32_e32 v3, v3, v4, vcc
	v_subrev_u32_e32 v4, s14, v3
	v_cmp_le_u32_e32 vcc, s14, v3
	v_cndmask_b32_e32 v3, v3, v4, vcc
	v_xor_b32_e32 v3, v3, v2
	v_sub_u32_e32 v2, v3, v2
	v_cmp_eq_u32_e32 vcc, 0, v2
	s_or_b64 s[0:1], vcc, s[0:1]
	s_and_saveexec_b64 s[6:7], s[0:1]
	s_cbranch_execz .LBB38_39
; %bb.41:                               ;   in Loop: Header=BB38_40 Depth=1
	global_load_dword v1, v[45:46], off
	buffer_load_dword v3, off, s[48:51], 0 offset:4 ; 4-byte Folded Reload
	s_waitcnt vmcnt(1)
	v_mad_i64_i32 v[1:2], s[0:1], v1, s15, 0
	v_cmp_eq_u32_e64 s[0:1], s18, v47
	v_lshlrev_b64 v[1:2], 2, v[1:2]
	s_waitcnt vmcnt(0)
	v_add_co_u32_e32 v37, vcc, v3, v1
	buffer_load_dword v1, off, s[48:51], 0 offset:8 ; 4-byte Folded Reload
	s_waitcnt vmcnt(0)
	v_addc_co_u32_e32 v38, vcc, v1, v2, vcc
	buffer_load_dword v1, off, s[48:51], 0  ; 4-byte Folded Reload
	global_load_dwordx4 v[5:8], v[37:38], off
	s_waitcnt vmcnt(1)
	v_add_u32_e32 v49, v1, v48
	ds_read_b128 v[1:4], v51
	v_add_u32_e32 v52, 1, v49
	v_add_u32_e32 v50, 2, v49
	;; [unrolled: 1-line block ×3, first 2 shown]
	s_and_saveexec_b64 s[12:13], s[0:1]
	s_cbranch_execnz .LBB38_58
; %bb.42:                               ;   in Loop: Header=BB38_40 Depth=1
	s_or_b64 exec, exec, s[12:13]
	global_load_dwordx4 v[9:12], v[37:38], off offset:1024
	s_and_saveexec_b64 s[12:13], s[0:1]
	s_cbranch_execnz .LBB38_59
.LBB38_43:                              ;   in Loop: Header=BB38_40 Depth=1
	s_or_b64 exec, exec, s[12:13]
	global_load_dwordx4 v[13:16], v[37:38], off offset:2048
	s_and_saveexec_b64 s[12:13], s[0:1]
	s_cbranch_execnz .LBB38_60
.LBB38_44:                              ;   in Loop: Header=BB38_40 Depth=1
	s_or_b64 exec, exec, s[12:13]
	global_load_dwordx4 v[17:20], v[37:38], off offset:3072
	s_and_saveexec_b64 s[12:13], s[0:1]
	s_cbranch_execz .LBB38_46
.LBB38_45:                              ;   in Loop: Header=BB38_40 Depth=1
	v_cmp_gt_i32_e32 vcc, s33, v49
	s_waitcnt vmcnt(0)
	v_cndmask_b32_e32 v17, 0, v17, vcc
	v_cmp_gt_i32_e32 vcc, s33, v52
	v_cndmask_b32_e32 v18, 0, v18, vcc
	v_cmp_gt_i32_e32 vcc, s33, v50
	;; [unrolled: 2-line block ×3, first 2 shown]
	v_cndmask_b32_e32 v20, 0, v20, vcc
.LBB38_46:                              ;   in Loop: Header=BB38_40 Depth=1
	s_or_b64 exec, exec, s[12:13]
	v_add_co_u32_e32 v21, vcc, 0x1000, v37
	v_addc_co_u32_e32 v22, vcc, 0, v38, vcc
	global_load_dwordx4 v[21:24], v[21:22], off
	s_and_saveexec_b64 s[12:13], s[0:1]
	s_cbranch_execz .LBB38_48
; %bb.47:                               ;   in Loop: Header=BB38_40 Depth=1
	v_cmp_gt_i32_e32 vcc, s33, v49
	s_waitcnt vmcnt(0)
	v_cndmask_b32_e32 v21, 0, v21, vcc
	v_cmp_gt_i32_e32 vcc, s33, v52
	v_cndmask_b32_e32 v22, 0, v22, vcc
	v_cmp_gt_i32_e32 vcc, s33, v50
	v_cndmask_b32_e32 v23, 0, v23, vcc
	v_cmp_gt_i32_e32 vcc, s33, v53
	v_cndmask_b32_e32 v24, 0, v24, vcc
.LBB38_48:                              ;   in Loop: Header=BB38_40 Depth=1
	s_or_b64 exec, exec, s[12:13]
	v_add_co_u32_e32 v25, vcc, 0x1000, v37
	v_addc_co_u32_e32 v26, vcc, 0, v38, vcc
	global_load_dwordx4 v[25:28], v[25:26], off offset:1024
	s_and_saveexec_b64 s[12:13], s[0:1]
	s_cbranch_execz .LBB38_50
; %bb.49:                               ;   in Loop: Header=BB38_40 Depth=1
	v_cmp_gt_i32_e32 vcc, s33, v49
	s_waitcnt vmcnt(0)
	v_cndmask_b32_e32 v25, 0, v25, vcc
	v_cmp_gt_i32_e32 vcc, s33, v52
	v_cndmask_b32_e32 v26, 0, v26, vcc
	v_cmp_gt_i32_e32 vcc, s33, v50
	v_cndmask_b32_e32 v27, 0, v27, vcc
	v_cmp_gt_i32_e32 vcc, s33, v53
	v_cndmask_b32_e32 v28, 0, v28, vcc
.LBB38_50:                              ;   in Loop: Header=BB38_40 Depth=1
	s_or_b64 exec, exec, s[12:13]
	v_add_co_u32_e32 v29, vcc, 0x1000, v37
	v_addc_co_u32_e32 v30, vcc, 0, v38, vcc
	global_load_dwordx4 v[29:32], v[29:30], off offset:2048
	;; [unrolled: 17-line block ×3, first 2 shown]
	s_and_saveexec_b64 s[12:13], s[0:1]
	s_cbranch_execz .LBB38_54
; %bb.53:                               ;   in Loop: Header=BB38_40 Depth=1
	v_cmp_gt_i32_e32 vcc, s33, v49
	s_waitcnt vmcnt(0)
	v_cndmask_b32_e32 v33, 0, v33, vcc
	v_cmp_gt_i32_e32 vcc, s33, v52
	v_cndmask_b32_e32 v34, 0, v34, vcc
	v_cmp_gt_i32_e32 vcc, s33, v50
	;; [unrolled: 2-line block ×3, first 2 shown]
	v_cndmask_b32_e32 v36, 0, v36, vcc
.LBB38_54:                              ;   in Loop: Header=BB38_40 Depth=1
	s_or_b64 exec, exec, s[12:13]
	v_add_co_u32_e32 v39, vcc, 0x2000, v37
	v_addc_co_u32_e32 v40, vcc, 0, v38, vcc
	global_load_dwordx4 v[41:44], v[39:40], off
	s_and_saveexec_b64 s[12:13], s[0:1]
	s_cbranch_execz .LBB38_56
; %bb.55:                               ;   in Loop: Header=BB38_40 Depth=1
	v_cmp_gt_i32_e32 vcc, s33, v49
	s_waitcnt vmcnt(0)
	v_cndmask_b32_e32 v41, 0, v41, vcc
	v_cmp_gt_i32_e32 vcc, s33, v52
	v_cndmask_b32_e32 v42, 0, v42, vcc
	v_cmp_gt_i32_e32 vcc, s33, v50
	;; [unrolled: 2-line block ×3, first 2 shown]
	v_cndmask_b32_e32 v44, 0, v44, vcc
.LBB38_56:                              ;   in Loop: Header=BB38_40 Depth=1
	s_or_b64 exec, exec, s[12:13]
	v_add_co_u32_e32 v37, vcc, 0x2000, v37
	v_addc_co_u32_e32 v38, vcc, 0, v38, vcc
	global_load_dwordx4 v[37:40], v[37:38], off offset:1024
	s_and_saveexec_b64 s[12:13], s[0:1]
	s_cbranch_execz .LBB38_38
; %bb.57:                               ;   in Loop: Header=BB38_40 Depth=1
	v_cmp_gt_i32_e32 vcc, s33, v49
	s_waitcnt vmcnt(0)
	v_cndmask_b32_e32 v37, 0, v37, vcc
	v_cmp_gt_i32_e32 vcc, s33, v52
	v_cndmask_b32_e32 v38, 0, v38, vcc
	v_cmp_gt_i32_e32 vcc, s33, v50
	v_cndmask_b32_e32 v39, 0, v39, vcc
	v_cmp_gt_i32_e32 vcc, s33, v53
	v_cndmask_b32_e32 v40, 0, v40, vcc
	s_branch .LBB38_38
.LBB38_58:                              ;   in Loop: Header=BB38_40 Depth=1
	v_cmp_gt_i32_e32 vcc, s33, v49
	s_waitcnt vmcnt(0)
	v_cndmask_b32_e32 v5, 0, v5, vcc
	v_cmp_gt_i32_e32 vcc, s33, v52
	v_cndmask_b32_e32 v6, 0, v6, vcc
	v_cmp_gt_i32_e32 vcc, s33, v50
	;; [unrolled: 2-line block ×3, first 2 shown]
	v_cndmask_b32_e32 v8, 0, v8, vcc
	s_or_b64 exec, exec, s[12:13]
	global_load_dwordx4 v[9:12], v[37:38], off offset:1024
	s_and_saveexec_b64 s[12:13], s[0:1]
	s_cbranch_execz .LBB38_43
.LBB38_59:                              ;   in Loop: Header=BB38_40 Depth=1
	v_cmp_gt_i32_e32 vcc, s33, v49
	s_waitcnt vmcnt(0)
	v_cndmask_b32_e32 v9, 0, v9, vcc
	v_cmp_gt_i32_e32 vcc, s33, v52
	v_cndmask_b32_e32 v10, 0, v10, vcc
	v_cmp_gt_i32_e32 vcc, s33, v50
	;; [unrolled: 2-line block ×3, first 2 shown]
	v_cndmask_b32_e32 v12, 0, v12, vcc
	s_or_b64 exec, exec, s[12:13]
	global_load_dwordx4 v[13:16], v[37:38], off offset:2048
	s_and_saveexec_b64 s[12:13], s[0:1]
	s_cbranch_execz .LBB38_44
.LBB38_60:                              ;   in Loop: Header=BB38_40 Depth=1
	v_cmp_gt_i32_e32 vcc, s33, v49
	s_waitcnt vmcnt(0)
	v_cndmask_b32_e32 v13, 0, v13, vcc
	v_cmp_gt_i32_e32 vcc, s33, v52
	v_cndmask_b32_e32 v14, 0, v14, vcc
	v_cmp_gt_i32_e32 vcc, s33, v50
	;; [unrolled: 2-line block ×3, first 2 shown]
	v_cndmask_b32_e32 v16, 0, v16, vcc
	s_or_b64 exec, exec, s[12:13]
	global_load_dwordx4 v[17:20], v[37:38], off offset:3072
	s_and_saveexec_b64 s[12:13], s[0:1]
	s_cbranch_execnz .LBB38_45
	s_branch .LBB38_46
.LBB38_61:
	s_or_b64 exec, exec, s[4:5]
	buffer_load_dword v41, off, s[48:51], 0 offset:12 ; 4-byte Folded Reload
	buffer_load_dword v16, off, s[48:51], 0 offset:16 ; 4-byte Folded Reload
	;; [unrolled: 1-line block ×6, first 2 shown]
.LBB38_62:
	s_or_b64 exec, exec, s[2:3]
	s_waitcnt vmcnt(3)
	ds_bpermute_b32 v0, v13, v62
	ds_bpermute_b32 v1, v13, v63
	;; [unrolled: 1-line block ×5, first 2 shown]
	s_waitcnt lgkmcnt(4)
	v_add_f32_e32 v0, v62, v0
	s_waitcnt lgkmcnt(3)
	v_add_f32_e32 v1, v63, v1
	s_waitcnt vmcnt(2)
	ds_bpermute_b32 v4, v14, v0
	ds_bpermute_b32 v5, v14, v1
	s_waitcnt lgkmcnt(4)
	v_add_f32_e32 v2, v61, v2
	ds_bpermute_b32 v6, v14, v2
	s_waitcnt lgkmcnt(4)
	v_add_f32_e32 v3, v60, v3
	s_waitcnt lgkmcnt(2)
	v_add_f32_e32 v0, v0, v4
	;; [unrolled: 2-line block ×3, first 2 shown]
	s_waitcnt vmcnt(1)
	ds_bpermute_b32 v4, v17, v0
	ds_bpermute_b32 v5, v17, v1
	s_waitcnt lgkmcnt(2)
	v_add_f32_e32 v2, v2, v6
	ds_bpermute_b32 v6, v17, v2
	ds_bpermute_b32 v11, v13, v54
	s_waitcnt lgkmcnt(3)
	v_add_f32_e32 v0, v0, v4
	ds_bpermute_b32 v4, v14, v3
	s_waitcnt lgkmcnt(3)
	v_add_f32_e32 v1, v1, v5
	v_add_f32_e32 v5, v59, v7
	ds_bpermute_b32 v7, v14, v5
	s_waitcnt lgkmcnt(3)
	v_add_f32_e32 v2, v2, v6
	s_waitcnt lgkmcnt(1)
	v_add_f32_e32 v3, v3, v4
	ds_bpermute_b32 v4, v13, v58
	ds_bpermute_b32 v6, v17, v3
	s_waitcnt lgkmcnt(2)
	v_add_f32_e32 v5, v5, v7
	ds_bpermute_b32 v7, v13, v57
	ds_bpermute_b32 v8, v17, v5
	s_waitcnt lgkmcnt(3)
	v_add_f32_e32 v9, v58, v4
	s_waitcnt lgkmcnt(2)
	v_add_f32_e32 v3, v3, v6
	ds_bpermute_b32 v10, v14, v9
	s_waitcnt lgkmcnt(2)
	v_add_f32_e32 v6, v57, v7
	ds_bpermute_b32 v7, v14, v6
	s_waitcnt lgkmcnt(2)
	v_add_f32_e32 v4, v5, v8
	v_add_f32_e32 v11, v54, v11
	s_waitcnt lgkmcnt(1)
	v_add_f32_e32 v5, v9, v10
	ds_bpermute_b32 v9, v13, v56
	s_waitcnt lgkmcnt(1)
	v_add_f32_e32 v6, v6, v7
	ds_bpermute_b32 v7, v13, v55
	ds_bpermute_b32 v8, v17, v5
	;; [unrolled: 1-line block ×3, first 2 shown]
	s_waitcnt lgkmcnt(3)
	v_add_f32_e32 v9, v56, v9
	ds_bpermute_b32 v12, v14, v9
	s_waitcnt lgkmcnt(3)
	v_add_f32_e32 v7, v55, v7
	ds_bpermute_b32 v13, v14, v7
	ds_bpermute_b32 v14, v14, v11
	s_waitcnt lgkmcnt(4)
	v_add_f32_e32 v5, v5, v8
	s_waitcnt lgkmcnt(2)
	v_add_f32_e32 v9, v9, v12
	ds_bpermute_b32 v12, v17, v9
	s_waitcnt lgkmcnt(2)
	v_add_f32_e32 v13, v7, v13
	s_waitcnt lgkmcnt(1)
	v_add_f32_e32 v11, v11, v14
	ds_bpermute_b32 v14, v17, v11
	ds_bpermute_b32 v15, v17, v13
	s_waitcnt lgkmcnt(2)
	v_add_f32_e32 v7, v9, v12
	v_add_f32_e32 v6, v6, v10
	s_waitcnt lgkmcnt(0)
	v_add_f32_e32 v9, v11, v14
	v_and_b32_e32 v11, 0x3c7, v41
	v_add_f32_e32 v8, v13, v15
	v_cmp_eq_u32_e32 vcc, 64, v11
	s_waitcnt vmcnt(0)
	s_barrier
	s_and_saveexec_b64 s[0:1], vcc
	s_cbranch_execz .LBB38_64
; %bb.63:
	v_lshrrev_b32_e32 v10, 1, v16
	v_add_u32_e32 v10, 0x150, v10
	ds_write2_b32 v10, v0, v1 offset1:8
	ds_write2_b32 v10, v2, v3 offset0:16 offset1:24
	ds_write2_b32 v10, v4, v5 offset0:32 offset1:40
	;; [unrolled: 1-line block ×4, first 2 shown]
.LBB38_64:
	s_or_b64 exec, exec, s[0:1]
	v_cmp_gt_u32_e32 vcc, 64, v41
	v_lshrrev_b32_e32 v10, 3, v41
	s_waitcnt lgkmcnt(0)
	s_barrier
	s_and_saveexec_b64 s[0:1], vcc
	s_cbranch_execz .LBB38_77
; %bb.65:
	v_mov_b32_e32 v12, 0x150
	v_cmp_eq_u32_e32 vcc, 0, v18
	v_lshl_add_u32 v12, v10, 2, v12
	s_and_saveexec_b64 s[2:3], vcc
	s_cbranch_execnz .LBB38_80
; %bb.66:
	s_or_b64 exec, exec, s[2:3]
	s_and_saveexec_b64 s[2:3], vcc
	s_cbranch_execnz .LBB38_81
.LBB38_67:
	s_or_b64 exec, exec, s[2:3]
	s_and_saveexec_b64 s[2:3], vcc
	s_cbranch_execnz .LBB38_82
.LBB38_68:
	s_or_b64 exec, exec, s[2:3]
	s_and_saveexec_b64 s[2:3], vcc
	s_cbranch_execnz .LBB38_83
.LBB38_69:
	s_or_b64 exec, exec, s[2:3]
	s_and_saveexec_b64 s[2:3], vcc
	s_cbranch_execnz .LBB38_84
.LBB38_70:
	s_or_b64 exec, exec, s[2:3]
	s_and_saveexec_b64 s[2:3], vcc
	s_cbranch_execnz .LBB38_85
.LBB38_71:
	s_or_b64 exec, exec, s[2:3]
	s_and_saveexec_b64 s[2:3], vcc
	s_cbranch_execnz .LBB38_86
.LBB38_72:
	s_or_b64 exec, exec, s[2:3]
	s_and_saveexec_b64 s[2:3], vcc
	s_cbranch_execnz .LBB38_87
.LBB38_73:
	s_or_b64 exec, exec, s[2:3]
	s_and_saveexec_b64 s[2:3], vcc
	s_cbranch_execnz .LBB38_88
.LBB38_74:
	s_or_b64 exec, exec, s[2:3]
	s_and_saveexec_b64 s[2:3], vcc
	s_cbranch_execz .LBB38_76
.LBB38_75:
	ds_read_b32 v12, v12 offset:288
	s_waitcnt lgkmcnt(0)
	v_add_f32_e32 v9, v9, v12
.LBB38_76:
	s_or_b64 exec, exec, s[2:3]
.LBB38_77:
	s_or_b64 exec, exec, s[0:1]
	v_cmp_eq_u32_e32 vcc, 0, v11
	s_barrier
	s_and_saveexec_b64 s[0:1], vcc
	s_cbranch_execz .LBB38_79
; %bb.78:
	s_mul_i32 s0, s10, s11
	s_mul_i32 s0, s0, s9
	s_mulk_i32 s0, 0x50
	s_ashr_i32 s1, s0, 31
	s_lshl_b64 s[0:1], s[0:1], 2
	s_add_u32 s2, s22, s0
	s_mul_i32 s0, s11, s20
	s_addc_u32 s3, s23, s1
	s_ashr_i32 s1, s0, 31
	s_lshl_b64 s[0:1], s[0:1], 2
	s_add_u32 s2, s2, s0
	s_mul_i32 s0, s8, 0x50
	s_addc_u32 s3, s3, s1
	s_ashr_i32 s1, s0, 31
	s_lshl_b64 s[0:1], s[0:1], 2
	s_add_u32 s0, s2, s0
	s_addc_u32 s1, s3, s1
	v_lshlrev_b32_e32 v10, 2, v10
	global_store_dword v10, v0, s[0:1]
	global_store_dword v10, v1, s[0:1] offset:32
	global_store_dword v10, v2, s[0:1] offset:64
	;; [unrolled: 1-line block ×9, first 2 shown]
.LBB38_79:
	s_endpgm
.LBB38_80:
	ds_read_b32 v13, v12
	s_waitcnt lgkmcnt(0)
	v_add_f32_e32 v0, v0, v13
	s_or_b64 exec, exec, s[2:3]
	s_and_saveexec_b64 s[2:3], vcc
	s_cbranch_execz .LBB38_67
.LBB38_81:
	ds_read_b32 v13, v12 offset:32
	s_waitcnt lgkmcnt(0)
	v_add_f32_e32 v1, v1, v13
	s_or_b64 exec, exec, s[2:3]
	s_and_saveexec_b64 s[2:3], vcc
	s_cbranch_execz .LBB38_68
.LBB38_82:
	ds_read_b32 v13, v12 offset:64
	s_waitcnt lgkmcnt(0)
	v_add_f32_e32 v2, v2, v13
	s_or_b64 exec, exec, s[2:3]
	s_and_saveexec_b64 s[2:3], vcc
	s_cbranch_execz .LBB38_69
.LBB38_83:
	ds_read_b32 v13, v12 offset:96
	s_waitcnt lgkmcnt(0)
	v_add_f32_e32 v3, v3, v13
	s_or_b64 exec, exec, s[2:3]
	s_and_saveexec_b64 s[2:3], vcc
	s_cbranch_execz .LBB38_70
.LBB38_84:
	ds_read_b32 v13, v12 offset:128
	s_waitcnt lgkmcnt(0)
	v_add_f32_e32 v4, v4, v13
	s_or_b64 exec, exec, s[2:3]
	s_and_saveexec_b64 s[2:3], vcc
	s_cbranch_execz .LBB38_71
.LBB38_85:
	ds_read_b32 v13, v12 offset:160
	s_waitcnt lgkmcnt(0)
	v_add_f32_e32 v5, v5, v13
	s_or_b64 exec, exec, s[2:3]
	s_and_saveexec_b64 s[2:3], vcc
	s_cbranch_execz .LBB38_72
.LBB38_86:
	ds_read_b32 v13, v12 offset:192
	s_waitcnt lgkmcnt(0)
	v_add_f32_e32 v6, v6, v13
	s_or_b64 exec, exec, s[2:3]
	s_and_saveexec_b64 s[2:3], vcc
	s_cbranch_execz .LBB38_73
.LBB38_87:
	ds_read_b32 v13, v12 offset:224
	s_waitcnt lgkmcnt(0)
	v_add_f32_e32 v7, v7, v13
	s_or_b64 exec, exec, s[2:3]
	s_and_saveexec_b64 s[2:3], vcc
	s_cbranch_execz .LBB38_74
.LBB38_88:
	ds_read_b32 v13, v12 offset:256
	s_waitcnt lgkmcnt(0)
	v_add_f32_e32 v8, v8, v13
	s_or_b64 exec, exec, s[2:3]
	s_and_saveexec_b64 s[2:3], vcc
	s_cbranch_execnz .LBB38_75
	s_branch .LBB38_76
	.section	.rodata,"a",@progbits
	.p2align	6, 0x0
	.amdhsa_kernel _ZN4vllm25paged_attention_v1_kernelIffLi80ELi32ELi128ELNS_18Fp8KVCacheDataTypeE0ELb1EEEvPT_PKS2_PKT0_S8_ifPKiSA_iPKfiiiSC_SC_iiiii
		.amdhsa_group_segment_fixed_size 336
		.amdhsa_private_segment_fixed_size 40
		.amdhsa_kernarg_size 384
		.amdhsa_user_sgpr_count 6
		.amdhsa_user_sgpr_private_segment_buffer 1
		.amdhsa_user_sgpr_dispatch_ptr 0
		.amdhsa_user_sgpr_queue_ptr 0
		.amdhsa_user_sgpr_kernarg_segment_ptr 1
		.amdhsa_user_sgpr_dispatch_id 0
		.amdhsa_user_sgpr_flat_scratch_init 0
		.amdhsa_user_sgpr_private_segment_size 0
		.amdhsa_uses_dynamic_stack 0
		.amdhsa_system_sgpr_private_segment_wavefront_offset 1
		.amdhsa_system_sgpr_workgroup_id_x 1
		.amdhsa_system_sgpr_workgroup_id_y 1
		.amdhsa_system_sgpr_workgroup_id_z 1
		.amdhsa_system_sgpr_workgroup_info 0
		.amdhsa_system_vgpr_workitem_id 0
		.amdhsa_next_free_vgpr 64
		.amdhsa_next_free_sgpr 52
		.amdhsa_reserve_vcc 1
		.amdhsa_reserve_flat_scratch 0
		.amdhsa_float_round_mode_32 0
		.amdhsa_float_round_mode_16_64 0
		.amdhsa_float_denorm_mode_32 3
		.amdhsa_float_denorm_mode_16_64 3
		.amdhsa_dx10_clamp 1
		.amdhsa_ieee_mode 1
		.amdhsa_fp16_overflow 0
		.amdhsa_exception_fp_ieee_invalid_op 0
		.amdhsa_exception_fp_denorm_src 0
		.amdhsa_exception_fp_ieee_div_zero 0
		.amdhsa_exception_fp_ieee_overflow 0
		.amdhsa_exception_fp_ieee_underflow 0
		.amdhsa_exception_fp_ieee_inexact 0
		.amdhsa_exception_int_div_zero 0
	.end_amdhsa_kernel
	.section	.text._ZN4vllm25paged_attention_v1_kernelIffLi80ELi32ELi128ELNS_18Fp8KVCacheDataTypeE0ELb1EEEvPT_PKS2_PKT0_S8_ifPKiSA_iPKfiiiSC_SC_iiiii,"axG",@progbits,_ZN4vllm25paged_attention_v1_kernelIffLi80ELi32ELi128ELNS_18Fp8KVCacheDataTypeE0ELb1EEEvPT_PKS2_PKT0_S8_ifPKiSA_iPKfiiiSC_SC_iiiii,comdat
.Lfunc_end38:
	.size	_ZN4vllm25paged_attention_v1_kernelIffLi80ELi32ELi128ELNS_18Fp8KVCacheDataTypeE0ELb1EEEvPT_PKS2_PKT0_S8_ifPKiSA_iPKfiiiSC_SC_iiiii, .Lfunc_end38-_ZN4vllm25paged_attention_v1_kernelIffLi80ELi32ELi128ELNS_18Fp8KVCacheDataTypeE0ELb1EEEvPT_PKS2_PKT0_S8_ifPKiSA_iPKfiiiSC_SC_iiiii
                                        ; -- End function
	.set _ZN4vllm25paged_attention_v1_kernelIffLi80ELi32ELi128ELNS_18Fp8KVCacheDataTypeE0ELb1EEEvPT_PKS2_PKT0_S8_ifPKiSA_iPKfiiiSC_SC_iiiii.num_vgpr, 64
	.set _ZN4vllm25paged_attention_v1_kernelIffLi80ELi32ELi128ELNS_18Fp8KVCacheDataTypeE0ELb1EEEvPT_PKS2_PKT0_S8_ifPKiSA_iPKfiiiSC_SC_iiiii.num_agpr, 0
	.set _ZN4vllm25paged_attention_v1_kernelIffLi80ELi32ELi128ELNS_18Fp8KVCacheDataTypeE0ELb1EEEvPT_PKS2_PKT0_S8_ifPKiSA_iPKfiiiSC_SC_iiiii.numbered_sgpr, 52
	.set _ZN4vllm25paged_attention_v1_kernelIffLi80ELi32ELi128ELNS_18Fp8KVCacheDataTypeE0ELb1EEEvPT_PKS2_PKT0_S8_ifPKiSA_iPKfiiiSC_SC_iiiii.num_named_barrier, 0
	.set _ZN4vllm25paged_attention_v1_kernelIffLi80ELi32ELi128ELNS_18Fp8KVCacheDataTypeE0ELb1EEEvPT_PKS2_PKT0_S8_ifPKiSA_iPKfiiiSC_SC_iiiii.private_seg_size, 40
	.set _ZN4vllm25paged_attention_v1_kernelIffLi80ELi32ELi128ELNS_18Fp8KVCacheDataTypeE0ELb1EEEvPT_PKS2_PKT0_S8_ifPKiSA_iPKfiiiSC_SC_iiiii.uses_vcc, 1
	.set _ZN4vllm25paged_attention_v1_kernelIffLi80ELi32ELi128ELNS_18Fp8KVCacheDataTypeE0ELb1EEEvPT_PKS2_PKT0_S8_ifPKiSA_iPKfiiiSC_SC_iiiii.uses_flat_scratch, 0
	.set _ZN4vllm25paged_attention_v1_kernelIffLi80ELi32ELi128ELNS_18Fp8KVCacheDataTypeE0ELb1EEEvPT_PKS2_PKT0_S8_ifPKiSA_iPKfiiiSC_SC_iiiii.has_dyn_sized_stack, 0
	.set _ZN4vllm25paged_attention_v1_kernelIffLi80ELi32ELi128ELNS_18Fp8KVCacheDataTypeE0ELb1EEEvPT_PKS2_PKT0_S8_ifPKiSA_iPKfiiiSC_SC_iiiii.has_recursion, 0
	.set _ZN4vllm25paged_attention_v1_kernelIffLi80ELi32ELi128ELNS_18Fp8KVCacheDataTypeE0ELb1EEEvPT_PKS2_PKT0_S8_ifPKiSA_iPKfiiiSC_SC_iiiii.has_indirect_call, 0
	.section	.AMDGPU.csdata,"",@progbits
; Kernel info:
; codeLenInByte = 5656
; TotalNumSgprs: 56
; NumVgprs: 64
; ScratchSize: 40
; MemoryBound: 0
; FloatMode: 240
; IeeeMode: 1
; LDSByteSize: 336 bytes/workgroup (compile time only)
; SGPRBlocks: 6
; VGPRBlocks: 15
; NumSGPRsForWavesPerEU: 56
; NumVGPRsForWavesPerEU: 64
; Occupancy: 4
; WaveLimiterHint : 1
; COMPUTE_PGM_RSRC2:SCRATCH_EN: 1
; COMPUTE_PGM_RSRC2:USER_SGPR: 6
; COMPUTE_PGM_RSRC2:TRAP_HANDLER: 0
; COMPUTE_PGM_RSRC2:TGID_X_EN: 1
; COMPUTE_PGM_RSRC2:TGID_Y_EN: 1
; COMPUTE_PGM_RSRC2:TGID_Z_EN: 1
; COMPUTE_PGM_RSRC2:TIDIG_COMP_CNT: 0
	.section	.text._ZN4vllm25paged_attention_v1_kernelIffLi96ELi32ELi128ELNS_18Fp8KVCacheDataTypeE0ELb1EEEvPT_PKS2_PKT0_S8_ifPKiSA_iPKfiiiSC_SC_iiiii,"axG",@progbits,_ZN4vllm25paged_attention_v1_kernelIffLi96ELi32ELi128ELNS_18Fp8KVCacheDataTypeE0ELb1EEEvPT_PKS2_PKT0_S8_ifPKiSA_iPKfiiiSC_SC_iiiii,comdat
	.protected	_ZN4vllm25paged_attention_v1_kernelIffLi96ELi32ELi128ELNS_18Fp8KVCacheDataTypeE0ELb1EEEvPT_PKS2_PKT0_S8_ifPKiSA_iPKfiiiSC_SC_iiiii ; -- Begin function _ZN4vllm25paged_attention_v1_kernelIffLi96ELi32ELi128ELNS_18Fp8KVCacheDataTypeE0ELb1EEEvPT_PKS2_PKT0_S8_ifPKiSA_iPKfiiiSC_SC_iiiii
	.globl	_ZN4vllm25paged_attention_v1_kernelIffLi96ELi32ELi128ELNS_18Fp8KVCacheDataTypeE0ELb1EEEvPT_PKS2_PKT0_S8_ifPKiSA_iPKfiiiSC_SC_iiiii
	.p2align	8
	.type	_ZN4vllm25paged_attention_v1_kernelIffLi96ELi32ELi128ELNS_18Fp8KVCacheDataTypeE0ELb1EEEvPT_PKS2_PKT0_S8_ifPKiSA_iPKfiiiSC_SC_iiiii,@function
_ZN4vllm25paged_attention_v1_kernelIffLi96ELi32ELi128ELNS_18Fp8KVCacheDataTypeE0ELb1EEEvPT_PKS2_PKT0_S8_ifPKiSA_iPKfiiiSC_SC_iiiii: ; @_ZN4vllm25paged_attention_v1_kernelIffLi96ELi32ELi128ELNS_18Fp8KVCacheDataTypeE0ELb1EEEvPT_PKS2_PKT0_S8_ifPKiSA_iPKfiiiSC_SC_iiiii
; %bb.0:
	s_mov_b64 s[50:51], s[2:3]
	s_mov_b64 s[48:49], s[0:1]
	s_add_u32 s48, s48, s9
	s_load_dword s9, s[4:5], 0x80
	s_load_dwordx2 s[0:1], s[4:5], 0x30
	s_load_dwordx2 s[30:31], s[4:5], 0x20
	s_addc_u32 s49, s49, 0
	s_mov_b32 s10, s7
	s_ashr_i32 s11, s7, 31
	s_lshl_b64 s[2:3], s[10:11], 2
	s_waitcnt lgkmcnt(0)
	s_add_u32 s0, s0, s2
	s_addc_u32 s1, s1, s3
	s_abs_i32 s2, s30
	v_mov_b32_e32 v41, v0
	v_cvt_f32_u32_e32 v0, s2
	s_sub_i32 s11, 0, s2
	s_abs_i32 s7, s9
	s_xor_b32 s3, s9, s30
	v_rcp_iflag_f32_e32 v0, v0
	s_ashr_i32 s3, s3, 31
	s_mov_b32 s42, 0
	v_mul_f32_e32 v0, 0x4f7ffffe, v0
	v_cvt_u32_f32_e32 v0, v0
	v_readfirstlane_b32 s12, v0
	s_mul_i32 s11, s11, s12
	s_mul_hi_u32 s11, s12, s11
	s_add_i32 s12, s12, s11
	s_mul_hi_u32 s11, s7, s12
	s_mul_i32 s12, s11, s2
	s_sub_i32 s7, s7, s12
	s_add_i32 s12, s11, 1
	s_sub_i32 s13, s7, s2
	s_cmp_ge_u32 s7, s2
	s_cselect_b32 s11, s12, s11
	s_cselect_b32 s7, s13, s7
	s_add_i32 s12, s11, 1
	s_cmp_ge_u32 s7, s2
	s_cselect_b32 s2, s12, s11
	s_xor_b32 s2, s2, s3
	s_sub_i32 s12, s2, s3
	s_abs_i32 s11, s12
	v_cvt_f32_u32_e32 v0, s11
	s_load_dwordx2 s[2:3], s[4:5], 0x40
	s_sub_i32 s7, 0, s11
	s_abs_i32 s22, s6
	v_rcp_iflag_f32_e32 v0, v0
	v_mul_f32_e32 v0, 0x4f7ffffe, v0
	v_cvt_u32_f32_e32 v0, v0
	v_readfirstlane_b32 s13, v0
	s_mul_i32 s7, s7, s13
	s_mul_hi_u32 s7, s13, s7
	s_add_i32 s13, s13, s7
	s_waitcnt lgkmcnt(0)
	s_cmp_eq_u64 s[2:3], 0
	s_mul_hi_u32 s23, s22, s13
	s_cbranch_scc1 .LBB39_2
; %bb.1:
	s_ashr_i32 s7, s6, 31
	s_lshl_b64 s[14:15], s[6:7], 2
	s_add_u32 s2, s2, s14
	s_addc_u32 s3, s3, s15
	s_load_dword s42, s[2:3], 0x0
.LBB39_2:
	s_load_dword s33, s[0:1], 0x0
	s_ashr_i32 s7, s12, 31
	s_load_dwordx4 s[12:15], s[4:5], 0x48
	s_ashr_i32 s2, s6, 31
	v_and_b32_e32 v1, 1, v41
	s_mul_i32 s20, s6, 0x60
	v_cmp_gt_u32_e32 vcc, 48, v41
	v_lshlrev_b32_e32 v2, 3, v41
	v_lshlrev_b32_e32 v3, 2, v41
	s_and_saveexec_b64 s[0:1], vcc
	s_cbranch_execz .LBB39_4
; %bb.3:
	s_load_dwordx2 s[16:17], s[4:5], 0x8
	s_waitcnt lgkmcnt(0)
	s_mul_i32 s18, s12, s10
	s_ashr_i32 s19, s18, 31
	s_lshl_b64 s[18:19], s[18:19], 2
	v_and_b32_e32 v0, 0xff8, v3
	s_add_u32 s3, s16, s18
	s_addc_u32 s12, s17, s19
	s_ashr_i32 s21, s20, 31
	s_lshl_b64 s[16:17], s[20:21], 2
	s_add_u32 s16, s3, s16
	s_addc_u32 s17, s12, s17
	global_load_dwordx2 v[4:5], v2, s[16:17]
	s_movk_i32 s3, 0xc0
	v_mad_u32_u24 v0, v1, s3, v0
	s_waitcnt vmcnt(0)
	ds_write_b64 v0, v[4:5]
.LBB39_4:
	s_or_b64 exec, exec, s[0:1]
	s_mul_i32 s1, s23, s11
	s_sub_i32 s1, s22, s1
	s_xor_b32 s0, s2, s7
	s_add_i32 s2, s23, 1
	s_sub_i32 s7, s1, s11
	s_load_dwordx4 s[16:19], s[4:5], 0x68
	s_load_dword s3, s[4:5], 0x78
	s_cmp_ge_u32 s1, s11
	s_cselect_b32 s2, s2, s23
	s_cselect_b32 s1, s7, s1
	s_add_i32 s7, s2, 1
	s_cmp_ge_u32 s1, s11
	s_cselect_b32 s1, s7, s2
	s_waitcnt lgkmcnt(0)
	s_abs_i32 s21, s19
	v_cvt_f32_u32_e32 v0, s21
	s_xor_b32 s1, s1, s0
	s_sub_i32 s2, s1, s0
	s_sub_i32 s0, 0, s21
	v_rcp_iflag_f32_e32 v0, v0
	s_add_i32 s11, s33, -1
	s_abs_i32 s7, s11
	v_mul_f32_e32 v0, 0x4f7ffffe, v0
	v_cvt_u32_f32_e32 v0, v0
	s_barrier
	v_readfirstlane_b32 s40, v0
	s_mul_i32 s0, s0, s40
	s_mul_hi_u32 s0, s40, s0
	s_add_i32 s40, s40, s0
	s_cmp_lt_i32 s3, 0
	s_mul_hi_u32 s12, s7, s40
	s_cbranch_scc0 .LBB39_6
; %bb.5:
	s_mul_i32 s0, s16, s30
	s_add_i32 s0, s2, s0
	s_mul_i32 s0, s0, s3
	s_sub_i32 s41, 1, s0
	s_mov_b64 s[0:1], 0
	s_branch .LBB39_7
.LBB39_6:
	s_mov_b64 s[0:1], -1
                                        ; implicit-def: $sgpr41
.LBB39_7:
	s_load_dwordx2 s[24:25], s[4:5], 0x28
	s_ashr_i32 s15, s11, 31
	s_andn2_b64 vcc, exec, s[0:1]
	s_ashr_i32 s19, s19, 31
	s_cbranch_vccnz .LBB39_9
; %bb.8:
	s_mul_i32 s0, s9, s16
	s_add_i32 s0, s0, s6
	s_mul_i32 s0, s0, s3
	s_add_i32 s41, s0, 1
.LBB39_9:
	s_load_dword s0, s[4:5], 0x38
	s_load_dwordx2 s[22:23], s[4:5], 0x0
	s_load_dwordx2 s[28:29], s[4:5], 0x18
	s_load_dword s11, s[4:5], 0x88
	s_xor_b32 s1, s15, s19
	s_waitcnt lgkmcnt(0)
	s_mul_i32 s26, s0, s10
	s_mul_i32 s0, s12, s21
	s_sub_i32 s0, s7, s0
	s_ashr_i32 s27, s26, 31
	s_add_i32 s3, s12, 1
	s_sub_i32 s6, s0, s21
	s_cmp_ge_u32 s0, s21
	s_cselect_b32 s3, s3, s12
	s_cselect_b32 s0, s6, s0
	s_add_i32 s6, s3, 1
	s_cmp_ge_u32 s0, s21
	s_cselect_b32 s0, s6, s3
	s_xor_b32 s0, s0, s1
	s_sub_i32 s12, s0, s1
	s_add_i32 s0, s33, 31
	s_ashr_i32 s1, s0, 31
	s_lshr_b32 s1, s1, 27
	s_add_i32 s0, s0, s1
	s_ashr_i32 s16, s0, 5
	v_lshrrev_b32_e32 v55, 6, v41
	v_cmp_gt_i32_e64 s[0:1], s16, v55
	v_mov_b32_e32 v8, 0xff7fffff
	s_mul_i32 s14, s2, s14
	v_lshrrev_b32_e32 v4, 4, v41
	v_lshlrev_b32_e32 v56, 5, v55
	v_mbcnt_lo_u32_b32 v0, -1, 0
	s_and_saveexec_b64 s[34:35], s[0:1]
	s_cbranch_execz .LBB39_21
; %bb.10:
	s_load_dwordx2 s[2:3], s[4:5], 0x10
	s_ashr_i32 s15, s14, 31
	s_sub_i32 s30, s12, s17
	s_lshl_b64 s[4:5], s[14:15], 2
	v_bfe_u32 v5, v41, 1, 5
	s_waitcnt lgkmcnt(0)
	s_add_u32 s2, s2, s4
	s_addc_u32 s3, s3, s5
	s_abs_i32 s15, s18
	v_cvt_f32_u32_e32 v6, s15
	v_mov_b32_e32 v7, s3
	s_sub_i32 s3, 0, s15
	s_lshl_b64 s[4:5], s[26:27], 2
	v_rcp_iflag_f32_e32 v6, v6
	v_and_b32_e32 v2, 8, v2
	v_lshlrev_b32_e32 v8, 2, v5
	s_add_u32 s4, s24, s4
	v_mul_f32_e32 v6, 0x4f7ffffe, v6
	v_cvt_u32_f32_e32 v10, v6
	v_lshlrev_b32_e32 v6, 4, v5
	v_cmp_eq_u32_e32 vcc, 0, v1
	s_addc_u32 s5, s25, s5
	v_mul_lo_u32 v9, s3, v10
	v_add_co_u32_e64 v6, s[2:3], s2, v6
	v_addc_co_u32_e64 v7, s[2:3], 0, v7, s[2:3]
	v_mul_hi_u32 v11, v10, v9
	v_add_co_u32_e64 v6, s[2:3], v6, v2
	v_mul_u32_u24_e32 v9, 0xc0, v1
	v_and_b32_e32 v1, 60, v4
	v_lshl_or_b32 v8, v55, 7, v8
	v_mbcnt_hi_u32_b32 v15, -1, v0
	v_addc_co_u32_e64 v7, s[2:3], 0, v7, s[2:3]
	v_mov_b32_e32 v2, s5
	v_add_co_u32_e64 v1, s[4:5], s4, v1
	v_subrev_u32_e32 v12, s33, v5
	v_add_u32_e32 v13, 0x190, v8
	v_and_b32_e32 v8, 64, v15
	s_mov_b32 s43, s13
	v_cmp_neq_f32_e64 s[2:3], s42, 0
	v_add_u32_e32 v10, v10, v11
	v_addc_co_u32_e64 v2, s[4:5], 0, v2, s[4:5]
	v_lshlrev_b32_e32 v11, 5, v55
	v_add_u32_e32 v12, 1, v12
	v_mov_b32_e32 v14, 0xff7fffff
	s_mov_b64 s[36:37], 0
	s_movk_i32 s44, 0x1000
	s_movk_i32 s45, 0x2000
	v_xor_b32_e32 v16, 1, v15
	v_add_u32_e32 v17, 64, v8
	v_mov_b32_e32 v8, 0xff7fffff
	v_mov_b32_e32 v18, v55
	s_branch .LBB39_13
.LBB39_11:                              ;   in Loop: Header=BB39_13 Depth=1
	s_or_b64 exec, exec, s[38:39]
.LBB39_12:                              ;   in Loop: Header=BB39_13 Depth=1
	s_or_b64 exec, exec, s[6:7]
	v_add_co_u32_e64 v1, s[4:5], 8, v1
	v_add_u32_e32 v18, 2, v18
	v_addc_co_u32_e64 v2, s[4:5], 0, v2, s[4:5]
	v_cmp_le_i32_e64 s[4:5], s16, v18
	v_add_u32_e32 v11, 64, v11
	s_or_b64 s[36:37], s[4:5], s[36:37]
	v_add_u32_e32 v13, 0x100, v13
	s_andn2_b64 exec, exec, s[36:37]
	s_cbranch_execz .LBB39_20
.LBB39_13:                              ; =>This Inner Loop Header: Depth=1
	v_mul_hi_u32 v19, v11, s40
	s_waitcnt lgkmcnt(0)
	v_mul_lo_u32 v20, v19, s21
	v_add_u32_e32 v21, 1, v19
	v_sub_u32_e32 v20, v11, v20
	v_cmp_le_u32_e64 s[4:5], s21, v20
	v_cndmask_b32_e64 v19, v19, v21, s[4:5]
	v_subrev_u32_e32 v21, s21, v20
	v_cndmask_b32_e64 v20, v20, v21, s[4:5]
	v_add_u32_e32 v21, 1, v19
	v_cmp_le_u32_e64 s[4:5], s21, v20
	v_cndmask_b32_e64 v19, v19, v21, s[4:5]
	v_xor_b32_e32 v19, s19, v19
	v_subrev_u32_e32 v19, s19, v19
	v_add_u32_e32 v20, s41, v19
	v_sub_u32_e32 v21, 0, v20
	v_max_i32_e32 v21, v20, v21
	v_mul_hi_u32 v22, v21, v10
	v_ashrrev_i32_e32 v20, 31, v20
	v_cmp_ge_i32_e64 s[6:7], s30, v19
	v_mul_lo_u32 v22, v22, s15
	v_sub_u32_e32 v21, v21, v22
	v_subrev_u32_e32 v22, s15, v21
	v_cmp_le_u32_e64 s[4:5], s15, v21
	v_cndmask_b32_e64 v21, v21, v22, s[4:5]
	v_subrev_u32_e32 v22, s15, v21
	v_cmp_le_u32_e64 s[4:5], s15, v21
	v_cndmask_b32_e64 v21, v21, v22, s[4:5]
	v_xor_b32_e32 v21, v21, v20
	v_sub_u32_e32 v20, v21, v20
	v_cmp_ne_u32_e64 s[4:5], 0, v20
	s_and_b64 s[4:5], s[4:5], s[6:7]
	s_and_saveexec_b64 s[6:7], s[4:5]
	s_xor_b64 s[4:5], exec, s[6:7]
	s_cbranch_execz .LBB39_17
; %bb.14:                               ;   in Loop: Header=BB39_13 Depth=1
	s_and_saveexec_b64 s[6:7], vcc
; %bb.15:                               ;   in Loop: Header=BB39_13 Depth=1
	ds_write_b32 v13, v14
; %bb.16:                               ;   in Loop: Header=BB39_13 Depth=1
	s_or_b64 exec, exec, s[6:7]
.LBB39_17:                              ;   in Loop: Header=BB39_13 Depth=1
	s_andn2_saveexec_b64 s[6:7], s[4:5]
	s_cbranch_execz .LBB39_12
; %bb.18:                               ;   in Loop: Header=BB39_13 Depth=1
	global_load_dword v19, v[1:2], off
	s_waitcnt vmcnt(0)
	v_mad_i64_i32 v[19:20], s[4:5], v19, s43, 0
	v_lshlrev_b64 v[19:20], 2, v[19:20]
	v_add_co_u32_e64 v29, s[4:5], v6, v19
	v_addc_co_u32_e64 v30, s[4:5], v7, v20, s[4:5]
	global_load_dwordx2 v[19:20], v[29:30], off offset:512
	ds_read_b128 v[21:24], v9
	ds_read_b128 v[25:28], v9 offset:16
	global_load_dwordx2 v[31:32], v[29:30], off offset:1024
	global_load_dwordx2 v[33:34], v[29:30], off offset:1536
	s_waitcnt vmcnt(2) lgkmcnt(1)
	v_mul_f32_e32 v19, v23, v19
	v_mul_f32_e32 v20, v24, v20
	global_load_dwordx2 v[23:24], v[29:30], off
	global_load_dwordx2 v[35:36], v[29:30], off offset:2048
	global_load_dwordx2 v[37:38], v[29:30], off offset:2560
	s_waitcnt vmcnt(2)
	v_fmac_f32_e32 v19, v21, v23
	v_fmac_f32_e32 v20, v22, v24
	ds_read_b128 v[21:24], v9 offset:32
	s_waitcnt lgkmcnt(1)
	v_fmac_f32_e32 v19, v25, v31
	v_fmac_f32_e32 v20, v26, v32
	;; [unrolled: 1-line block ×4, first 2 shown]
	s_waitcnt vmcnt(1) lgkmcnt(0)
	v_fmac_f32_e32 v19, v21, v35
	v_add_co_u32_e64 v35, s[4:5], s45, v29
	global_load_dwordx2 v[31:32], v[29:30], off offset:3072
	global_load_dwordx2 v[33:34], v[29:30], off offset:3584
	v_fmac_f32_e32 v20, v22, v36
	v_addc_co_u32_e64 v36, s[4:5], 0, v30, s[4:5]
	s_waitcnt vmcnt(2)
	v_fmac_f32_e32 v19, v23, v37
	v_fmac_f32_e32 v20, v24, v38
	global_load_dwordx2 v[37:38], v[35:36], off offset:-4096
	ds_read_b128 v[25:28], v9 offset:48
	ds_read_b128 v[21:24], v9 offset:64
	v_add_co_u32_e64 v29, s[4:5], s44, v29
	v_addc_co_u32_e64 v30, s[4:5], 0, v30, s[4:5]
	v_cmp_lt_i32_e64 s[4:5], v16, v17
	s_waitcnt vmcnt(2) lgkmcnt(1)
	v_fmac_f32_e32 v19, v25, v31
	v_fmac_f32_e32 v20, v26, v32
	s_waitcnt vmcnt(1)
	v_fmac_f32_e32 v19, v27, v33
	v_fmac_f32_e32 v20, v28, v34
	ds_read_b128 v[25:28], v9 offset:80
	global_load_dwordx2 v[31:32], v[29:30], off offset:3584
	s_waitcnt vmcnt(1) lgkmcnt(1)
	v_fmac_f32_e32 v19, v21, v37
	v_fmac_f32_e32 v20, v22, v38
	global_load_dwordx2 v[21:22], v[29:30], off offset:512
	global_load_dwordx2 v[33:34], v[29:30], off offset:1024
	;; [unrolled: 1-line block ×4, first 2 shown]
	s_waitcnt vmcnt(3)
	v_fmac_f32_e32 v19, v23, v21
	v_fmac_f32_e32 v20, v24, v22
	s_waitcnt vmcnt(2) lgkmcnt(0)
	v_fmac_f32_e32 v19, v25, v33
	v_fmac_f32_e32 v20, v26, v34
	s_waitcnt vmcnt(1)
	v_fmac_f32_e32 v19, v27, v37
	v_fmac_f32_e32 v20, v28, v38
	ds_read_b128 v[21:24], v9 offset:96
	ds_read_b128 v[25:28], v9 offset:112
	s_waitcnt vmcnt(0) lgkmcnt(1)
	v_fmac_f32_e32 v19, v21, v39
	v_fmac_f32_e32 v20, v22, v40
	global_load_dwordx2 v[21:22], v[29:30], off offset:2560
	s_nop 0
	global_load_dwordx2 v[29:30], v[29:30], off offset:3072
	s_nop 0
	global_load_dwordx2 v[33:34], v[35:36], off
	global_load_dwordx2 v[37:38], v[35:36], off offset:512
	s_waitcnt vmcnt(3)
	v_fmac_f32_e32 v19, v23, v21
	v_fmac_f32_e32 v20, v24, v22
	s_waitcnt vmcnt(2) lgkmcnt(0)
	v_fmac_f32_e32 v19, v25, v29
	v_fmac_f32_e32 v20, v26, v30
	global_load_dwordx2 v[29:30], v[35:36], off offset:1024
	ds_read_b128 v[21:24], v9 offset:128
	v_fmac_f32_e32 v19, v27, v31
	v_fmac_f32_e32 v20, v28, v32
	global_load_dwordx2 v[31:32], v[35:36], off offset:1536
	ds_read_b128 v[25:28], v9 offset:144
	s_waitcnt vmcnt(3) lgkmcnt(1)
	v_fmac_f32_e32 v19, v21, v33
	v_fmac_f32_e32 v20, v22, v34
	s_waitcnt vmcnt(2)
	v_fmac_f32_e32 v19, v23, v37
	v_fmac_f32_e32 v20, v24, v38
	global_load_dwordx2 v[33:34], v[35:36], off offset:2048
	global_load_dwordx2 v[37:38], v[35:36], off offset:2560
	s_waitcnt vmcnt(3) lgkmcnt(0)
	v_fmac_f32_e32 v19, v25, v29
	v_fmac_f32_e32 v20, v26, v30
	global_load_dwordx2 v[29:30], v[35:36], off offset:3072
	s_nop 0
	global_load_dwordx2 v[35:36], v[35:36], off offset:3584
	s_waitcnt vmcnt(4)
	v_fmac_f32_e32 v19, v27, v31
	v_fmac_f32_e32 v20, v28, v32
	ds_read_b128 v[21:24], v9 offset:160
	ds_read_b128 v[25:28], v9 offset:176
	s_waitcnt vmcnt(3) lgkmcnt(1)
	v_fmac_f32_e32 v19, v21, v33
	v_fmac_f32_e32 v20, v22, v34
	s_waitcnt vmcnt(2)
	v_fmac_f32_e32 v19, v23, v37
	v_fmac_f32_e32 v20, v24, v38
	v_cndmask_b32_e64 v21, v15, v16, s[4:5]
	v_lshlrev_b32_e32 v21, 2, v21
	s_waitcnt vmcnt(1) lgkmcnt(0)
	v_fmac_f32_e32 v19, v25, v29
	v_fmac_f32_e32 v20, v26, v30
	s_waitcnt vmcnt(0)
	v_fmac_f32_e32 v19, v27, v35
	v_fmac_f32_e32 v20, v28, v36
	v_add_f32_e32 v19, v19, v20
	ds_bpermute_b32 v20, v21, v19
	s_and_saveexec_b64 s[38:39], vcc
	s_cbranch_execz .LBB39_11
; %bb.19:                               ;   in Loop: Header=BB39_13 Depth=1
	v_add_u32_e32 v21, v12, v11
	v_cvt_f32_i32_e32 v21, v21
	s_waitcnt lgkmcnt(0)
	v_add_f32_e32 v19, v19, v20
	v_add_u32_e32 v22, v5, v11
	v_cmp_gt_i32_e64 s[4:5], s33, v22
	v_mul_f32_e32 v20, s42, v21
	v_cndmask_b32_e64 v20, 0, v20, s[2:3]
	v_fmac_f32_e32 v20, s31, v19
	v_cndmask_b32_e64 v19, 0, v20, s[4:5]
	ds_write_b32 v13, v19
	v_max_f32_e32 v19, v8, v8
	v_max_f32_e32 v19, v19, v20
	v_cndmask_b32_e64 v8, v8, v19, s[4:5]
	s_branch .LBB39_11
.LBB39_20:
	s_or_b64 exec, exec, s[36:37]
.LBB39_21:
	s_or_b64 exec, exec, s[34:35]
	v_mbcnt_hi_u32_b32 v0, -1, v0
	v_and_b32_e32 v9, 64, v0
	v_add_u32_e32 v10, 64, v9
	v_xor_b32_e32 v1, 32, v0
	v_cmp_lt_i32_e32 vcc, v1, v10
	v_cndmask_b32_e32 v1, v0, v1, vcc
	v_lshlrev_b32_e32 v1, 2, v1
	ds_bpermute_b32 v2, v1, v8
	v_xor_b32_e32 v6, 16, v0
	v_max_f32_e32 v5, v8, v8
	v_cmp_lt_i32_e32 vcc, v6, v10
	v_xor_b32_e32 v7, 8, v0
	s_waitcnt lgkmcnt(0)
	v_max_f32_e32 v2, v2, v2
	v_max_f32_e32 v5, v5, v2
	v_cndmask_b32_e32 v2, v0, v6, vcc
	v_lshlrev_b32_e32 v2, 2, v2
	ds_bpermute_b32 v6, v2, v5
	v_cmp_lt_i32_e32 vcc, v7, v10
	v_xor_b32_e32 v8, 4, v0
	v_and_b32_e32 v18, 63, v41
	s_waitcnt lgkmcnt(0)
	v_max_f32_e32 v6, v6, v6
	v_max_f32_e32 v6, v5, v6
	v_cndmask_b32_e32 v5, v0, v7, vcc
	v_lshlrev_b32_e32 v5, 2, v5
	ds_bpermute_b32 v7, v5, v6
	v_cmp_lt_i32_e32 vcc, v8, v10
	s_waitcnt lgkmcnt(0)
	v_max_f32_e32 v7, v7, v7
	v_max_f32_e32 v6, v6, v7
	v_cndmask_b32_e32 v7, v0, v8, vcc
	v_lshlrev_b32_e32 v13, 2, v7
	ds_bpermute_b32 v7, v13, v6
	v_xor_b32_e32 v8, 2, v0
	v_cmp_lt_i32_e32 vcc, v8, v10
	s_waitcnt lgkmcnt(0)
	v_max_f32_e32 v7, v7, v7
	v_max_f32_e32 v7, v6, v7
	v_cndmask_b32_e32 v6, v0, v8, vcc
	v_lshlrev_b32_e32 v16, 2, v6
	ds_bpermute_b32 v8, v16, v7
	v_cmp_eq_u32_e32 vcc, 0, v18
	v_lshlrev_b32_e32 v6, 2, v55
	s_and_saveexec_b64 s[2:3], vcc
	s_cbranch_execz .LBB39_23
; %bb.22:
	s_waitcnt lgkmcnt(0)
	v_max_f32_e32 v8, v8, v8
	v_max_f32_e32 v7, v7, v7
	v_max_f32_e32 v7, v7, v8
	ds_write_b32 v6, v7 offset:384
.LBB39_23:
	s_or_b64 exec, exec, s[2:3]
	v_cmp_gt_u32_e64 s[2:3], 2, v18
	s_waitcnt lgkmcnt(0)
	v_mov_b32_e32 v8, 0xff7fffff
	v_lshlrev_b32_e32 v7, 2, v18
	s_barrier
	s_and_saveexec_b64 s[4:5], s[2:3]
; %bb.24:
	ds_read_b32 v8, v7 offset:384
; %bb.25:
	s_or_b64 exec, exec, s[4:5]
	v_xor_b32_e32 v11, 1, v0
	v_cmp_lt_i32_e64 s[4:5], v11, v10
	v_cndmask_b32_e64 v10, v0, v11, s[4:5]
	v_lshlrev_b32_e32 v19, 2, v10
	s_waitcnt lgkmcnt(0)
	ds_bpermute_b32 v10, v19, v8
	v_max_f32_e32 v8, v8, v8
	v_lshlrev_b32_e32 v9, 2, v9
	s_lshl_b32 s4, s16, 5
	s_min_i32 s15, s4, s33
	s_waitcnt lgkmcnt(0)
	v_max_f32_e32 v10, v10, v10
	v_max_f32_e32 v8, v8, v10
	ds_bpermute_b32 v9, v9, v8
	v_cmp_gt_i32_e64 s[4:5], s15, v41
	v_mov_b32_e32 v8, 0
	s_and_saveexec_b64 s[30:31], s[4:5]
	s_cbranch_execz .LBB39_29
; %bb.26:
	v_mov_b32_e32 v8, 0x190
	v_lshl_add_u32 v10, v41, 2, v8
	v_mov_b32_e32 v8, 0
	s_mov_b64 s[34:35], 0
	v_mov_b32_e32 v11, v41
.LBB39_27:                              ; =>This Inner Loop Header: Depth=1
	ds_read_b32 v12, v10
	v_add_u32_e32 v11, 0x80, v11
	v_cmp_le_i32_e64 s[6:7], s15, v11
	s_or_b64 s[34:35], s[6:7], s[34:35]
	s_waitcnt lgkmcnt(0)
	v_sub_f32_e32 v12, v12, v9
	v_mul_f32_e32 v12, 0x3fb8aa3b, v12
	v_exp_f32_e32 v12, v12
	ds_write_b32 v10, v12
	v_add_f32_e32 v8, v8, v12
	v_add_u32_e32 v10, 0x200, v10
	s_andn2_b64 exec, exec, s[34:35]
	s_cbranch_execnz .LBB39_27
; %bb.28:
	s_or_b64 exec, exec, s[34:35]
.LBB39_29:
	s_or_b64 exec, exec, s[30:31]
	ds_bpermute_b32 v1, v1, v8
	s_waitcnt lgkmcnt(0)
	v_add_f32_e32 v1, v8, v1
	ds_bpermute_b32 v2, v2, v1
	s_waitcnt lgkmcnt(0)
	v_add_f32_e32 v1, v1, v2
	;; [unrolled: 3-line block ×6, first 2 shown]
	s_and_saveexec_b64 s[6:7], vcc
; %bb.30:
	ds_write_b32 v6, v1 offset:392
; %bb.31:
	s_or_b64 exec, exec, s[6:7]
	s_waitcnt lgkmcnt(0)
	s_barrier
	s_and_saveexec_b64 s[6:7], s[2:3]
; %bb.32:
	ds_read_b32 v1, v7 offset:392
; %bb.33:
	s_or_b64 exec, exec, s[6:7]
	s_waitcnt lgkmcnt(0)
	ds_bpermute_b32 v2, v19, v1
	v_lshlrev_b32_e32 v0, 2, v0
	v_and_b32_e32 v0, 0x100, v0
	s_waitcnt lgkmcnt(0)
	v_add_f32_e32 v1, v1, v2
	ds_bpermute_b32 v0, v0, v1
	s_and_saveexec_b64 s[2:3], s[4:5]
	s_cbranch_execz .LBB39_36
; %bb.34:
	s_waitcnt lgkmcnt(0)
	v_add_f32_e32 v1, 0x358637bd, v0
	v_div_scale_f32 v0, s[4:5], v1, v1, 1.0
	v_div_scale_f32 v2, vcc, 1.0, v1, 1.0
	s_mov_b64 s[4:5], 0
	v_rcp_f32_e32 v5, v0
	v_fma_f32 v6, -v0, v5, 1.0
	v_fmac_f32_e32 v5, v6, v5
	v_mul_f32_e32 v6, v2, v5
	v_fma_f32 v7, -v0, v6, v2
	v_fmac_f32_e32 v6, v7, v5
	v_fma_f32 v0, -v0, v6, v2
	v_div_fmas_f32 v2, v0, v5, v6
	v_mov_b32_e32 v0, 0x190
	v_lshl_add_u32 v0, v41, 2, v0
	v_div_fixup_f32 v1, v2, v1, 1.0
	v_mov_b32_e32 v2, v41
.LBB39_35:                              ; =>This Inner Loop Header: Depth=1
	ds_read_b32 v5, v0
	v_add_u32_e32 v2, 0x80, v2
	v_cmp_le_i32_e32 vcc, s15, v2
	s_or_b64 s[4:5], vcc, s[4:5]
	s_waitcnt lgkmcnt(0)
	v_mul_f32_e32 v5, v1, v5
	ds_write_b32 v0, v5
	v_add_u32_e32 v0, 0x200, v0
	s_andn2_b64 exec, exec, s[4:5]
	s_cbranch_execnz .LBB39_35
.LBB39_36:
	s_or_b64 exec, exec, s[2:3]
	v_mov_b32_e32 v57, 0
	v_and_b32_e32 v20, 7, v41
	v_mov_b32_e32 v61, 0
	v_mov_b32_e32 v5, 0
	;; [unrolled: 1-line block ×11, first 2 shown]
	s_waitcnt lgkmcnt(0)
	s_barrier
	s_and_saveexec_b64 s[2:3], s[0:1]
	s_cbranch_execz .LBB39_66
; %bb.37:
	s_ashr_i32 s15, s14, 31
	s_sub_i32 s17, s12, s17
	s_lshl_b64 s[0:1], s[14:15], 2
	s_add_u32 s0, s28, s0
	s_addc_u32 s1, s29, s1
	s_abs_i32 s14, s18
	v_cvt_f32_u32_e32 v0, s14
	s_sub_i32 s4, 0, s14
	v_and_b32_e32 v1, 28, v3
	buffer_store_dword v19, off, s[48:51], 0 offset:68 ; 4-byte Folded Spill
	buffer_store_dword v16, off, s[48:51], 0 offset:64 ; 4-byte Folded Spill
	;; [unrolled: 1-line block ×4, first 2 shown]
	v_rcp_iflag_f32_e32 v0, v0
	buffer_store_dword v1, off, s[48:51], 0 offset:40 ; 4-byte Folded Spill
	v_lshlrev_b32_e32 v1, 4, v41
	v_and_b32_e32 v1, 0x3f0, v1
	v_mul_f32_e32 v0, 0x4f7ffffe, v0
	v_cvt_u32_f32_e32 v0, v0
	v_and_b32_e32 v2, 60, v4
	s_add_i32 s18, s16, -1
	v_mov_b32_e32 v4, s1
	v_mul_lo_u32 v3, s4, v0
	v_add_co_u32_e32 v1, vcc, s0, v1
	s_lshl_b64 s[0:1], s[26:27], 2
	v_mul_hi_u32 v3, v0, v3
	s_add_u32 s0, s24, s0
	buffer_store_dword v1, off, s[48:51], 0 offset:44 ; 4-byte Folded Spill
	v_addc_co_u32_e32 v1, vcc, 0, v4, vcc
	v_add_u32_e32 v0, v0, v3
	s_addc_u32 s1, s25, s1
	buffer_store_dword v0, off, s[48:51], 0 offset:36 ; 4-byte Folded Spill
	v_mov_b32_e32 v0, s1
	v_add_co_u32_e32 v53, vcc, s0, v2
	v_addc_co_u32_e32 v54, vcc, 0, v0, vcc
	v_lshlrev_b32_e32 v0, 4, v20
	v_lshl_or_b32 v0, v55, 7, v0
	v_add_u32_e32 v58, 0x190, v0
	v_mov_b32_e32 v0, 0
	buffer_store_dword v0, off, s[48:51], 0 ; 4-byte Folded Spill
	v_mov_b32_e32 v0, 0
	buffer_store_dword v0, off, s[48:51], 0 offset:4 ; 4-byte Folded Spill
	v_mov_b32_e32 v0, 0
	buffer_store_dword v0, off, s[48:51], 0 offset:8 ; 4-byte Folded Spill
	;; [unrolled: 2-line block ×6, first 2 shown]
	v_mov_b32_e32 v0, 0
	s_mov_b32 s15, s13
	v_mov_b32_e32 v63, 0
	s_mov_b64 s[4:5], 0
	buffer_store_dword v0, off, s[48:51], 0 offset:28 ; 4-byte Folded Spill
	v_mov_b32_e32 v0, 0
	v_mov_b32_e32 v61, 0
	;; [unrolled: 1-line block ×3, first 2 shown]
	buffer_store_dword v41, off, s[48:51], 0 offset:52 ; 4-byte Folded Spill
	buffer_store_dword v1, off, s[48:51], 0 offset:48 ; 4-byte Folded Spill
	;; [unrolled: 1-line block ×4, first 2 shown]
	s_branch .LBB39_40
.LBB39_38:                              ;   in Loop: Header=BB39_40 Depth=1
	s_or_b64 exec, exec, s[12:13]
	s_waitcnt vmcnt(2) lgkmcnt(0)
	v_mul_f32_e32 v45, v1, v45
	v_fmac_f32_e32 v45, v2, v46
	buffer_load_dword v46, off, s[48:51], 0 ; 4-byte Folded Reload
	s_waitcnt vmcnt(2)
	v_mul_f32_e32 v0, v1, v49
	v_fmac_f32_e32 v0, v2, v50
	v_fmac_f32_e32 v0, v3, v51
	;; [unrolled: 1-line block ×5, first 2 shown]
	s_waitcnt vmcnt(0)
	v_add_f32_e32 v46, v46, v0
	buffer_load_dword v0, off, s[48:51], 0 offset:4 ; 4-byte Folded Reload
	s_waitcnt vmcnt(0)
	v_add_f32_e32 v0, v0, v45
	buffer_store_dword v0, off, s[48:51], 0 offset:4 ; 4-byte Folded Spill
	v_mul_f32_e32 v0, v1, v37
	buffer_load_dword v37, off, s[48:51], 0 offset:8 ; 4-byte Folded Reload
	v_fmac_f32_e32 v0, v2, v38
	v_fmac_f32_e32 v0, v3, v39
	;; [unrolled: 1-line block ×3, first 2 shown]
	buffer_store_dword v46, off, s[48:51], 0 ; 4-byte Folded Spill
	s_waitcnt vmcnt(1)
	v_add_f32_e32 v37, v37, v0
	v_mul_f32_e32 v0, v1, v33
	buffer_load_dword v33, off, s[48:51], 0 offset:12 ; 4-byte Folded Reload
	v_fmac_f32_e32 v0, v2, v34
	v_fmac_f32_e32 v0, v3, v35
	v_fmac_f32_e32 v0, v4, v36
	buffer_store_dword v37, off, s[48:51], 0 offset:8 ; 4-byte Folded Spill
	s_waitcnt vmcnt(1)
	v_add_f32_e32 v33, v33, v0
	v_mul_f32_e32 v0, v1, v29
	buffer_load_dword v29, off, s[48:51], 0 offset:16 ; 4-byte Folded Reload
	v_fmac_f32_e32 v0, v2, v30
	v_fmac_f32_e32 v0, v3, v31
	v_fmac_f32_e32 v0, v4, v32
	buffer_store_dword v33, off, s[48:51], 0 offset:12 ; 4-byte Folded Spill
	;; [unrolled: 8-line block ×6, first 2 shown]
	s_waitcnt vmcnt(1)
	v_add_f32_e32 v13, v13, v0
	v_mul_f32_e32 v0, v1, v9
	v_fmac_f32_e32 v0, v2, v10
	v_fmac_f32_e32 v0, v3, v11
	v_fmac_f32_e32 v0, v4, v12
	v_add_f32_e32 v61, v61, v0
	v_mul_f32_e32 v0, v1, v5
	v_fmac_f32_e32 v0, v2, v6
	v_fmac_f32_e32 v0, v3, v7
	v_fmac_f32_e32 v0, v4, v8
	v_add_f32_e32 v57, v57, v0
	v_mul_f32_e32 v0, v1, v41
	v_fmac_f32_e32 v0, v2, v42
	v_fmac_f32_e32 v0, v3, v43
	v_fmac_f32_e32 v0, v4, v44
	v_add_f32_e32 v63, v63, v0
	buffer_store_dword v13, off, s[48:51], 0 offset:32 ; 4-byte Folded Spill
.LBB39_39:                              ;   in Loop: Header=BB39_40 Depth=1
	s_or_b64 exec, exec, s[6:7]
	v_add_co_u32_e32 v53, vcc, 8, v53
	v_add_u32_e32 v55, 2, v55
	v_addc_co_u32_e32 v54, vcc, 0, v54, vcc
	v_cmp_le_i32_e32 vcc, s16, v55
	v_add_u32_e32 v56, 64, v56
	s_or_b64 s[4:5], vcc, s[4:5]
	v_add_u32_e32 v58, 0x100, v58
	s_andn2_b64 exec, exec, s[4:5]
	s_cbranch_execz .LBB39_65
.LBB39_40:                              ; =>This Inner Loop Header: Depth=1
	buffer_load_dword v3, off, s[48:51], 0 offset:36 ; 4-byte Folded Reload
	v_mul_hi_u32 v0, v56, s40
	v_mul_lo_u32 v1, v0, s21
	v_add_u32_e32 v2, 1, v0
	v_sub_u32_e32 v1, v56, v1
	v_cmp_le_u32_e32 vcc, s21, v1
	v_cndmask_b32_e32 v0, v0, v2, vcc
	v_subrev_u32_e32 v2, s21, v1
	v_cndmask_b32_e32 v1, v1, v2, vcc
	v_add_u32_e32 v2, 1, v0
	v_cmp_le_u32_e32 vcc, s21, v1
	v_cndmask_b32_e32 v0, v0, v2, vcc
	v_xor_b32_e32 v0, s19, v0
	v_subrev_u32_e32 v0, s19, v0
	v_add_u32_e32 v1, s41, v0
	v_sub_u32_e32 v2, 0, v1
	v_max_i32_e32 v2, v1, v2
	v_ashrrev_i32_e32 v1, 31, v1
	v_cmp_lt_i32_e64 s[0:1], s17, v0
	s_waitcnt vmcnt(0)
	v_mul_hi_u32 v3, v2, v3
	v_mul_lo_u32 v3, v3, s14
	v_sub_u32_e32 v2, v2, v3
	v_subrev_u32_e32 v3, s14, v2
	v_cmp_le_u32_e32 vcc, s14, v2
	v_cndmask_b32_e32 v2, v2, v3, vcc
	v_subrev_u32_e32 v3, s14, v2
	v_cmp_le_u32_e32 vcc, s14, v2
	v_cndmask_b32_e32 v2, v2, v3, vcc
	v_xor_b32_e32 v2, v2, v1
	v_sub_u32_e32 v1, v2, v1
	v_cmp_eq_u32_e32 vcc, 0, v1
	s_or_b64 s[0:1], vcc, s[0:1]
	s_and_saveexec_b64 s[6:7], s[0:1]
	s_cbranch_execz .LBB39_39
; %bb.41:                               ;   in Loop: Header=BB39_40 Depth=1
	global_load_dword v0, v[53:54], off
	buffer_load_dword v2, off, s[48:51], 0 offset:44 ; 4-byte Folded Reload
	s_waitcnt vmcnt(1)
	v_mad_i64_i32 v[0:1], s[0:1], v0, s15, 0
	v_cmp_eq_u32_e64 s[0:1], s18, v55
	v_lshlrev_b64 v[0:1], 2, v[0:1]
	s_waitcnt vmcnt(0)
	v_add_co_u32_e32 v41, vcc, v2, v0
	buffer_load_dword v0, off, s[48:51], 0 offset:48 ; 4-byte Folded Reload
	s_waitcnt vmcnt(0)
	v_addc_co_u32_e32 v42, vcc, v0, v1, vcc
	buffer_load_dword v0, off, s[48:51], 0 offset:40 ; 4-byte Folded Reload
	global_load_dwordx4 v[5:8], v[41:42], off
	ds_read_b128 v[1:4], v58
	s_waitcnt vmcnt(1)
	v_add_u32_e32 v0, v0, v56
	v_add_u32_e32 v62, 1, v0
	;; [unrolled: 1-line block ×4, first 2 shown]
	s_and_saveexec_b64 s[12:13], s[0:1]
	s_cbranch_execnz .LBB39_62
; %bb.42:                               ;   in Loop: Header=BB39_40 Depth=1
	s_or_b64 exec, exec, s[12:13]
	global_load_dwordx4 v[9:12], v[41:42], off offset:1024
	s_and_saveexec_b64 s[12:13], s[0:1]
	s_cbranch_execnz .LBB39_63
.LBB39_43:                              ;   in Loop: Header=BB39_40 Depth=1
	s_or_b64 exec, exec, s[12:13]
	global_load_dwordx4 v[13:16], v[41:42], off offset:2048
	s_and_saveexec_b64 s[12:13], s[0:1]
	s_cbranch_execnz .LBB39_64
.LBB39_44:                              ;   in Loop: Header=BB39_40 Depth=1
	s_or_b64 exec, exec, s[12:13]
	global_load_dwordx4 v[17:20], v[41:42], off offset:3072
	s_and_saveexec_b64 s[12:13], s[0:1]
	s_cbranch_execz .LBB39_46
.LBB39_45:                              ;   in Loop: Header=BB39_40 Depth=1
	v_cmp_gt_i32_e32 vcc, s33, v0
	s_waitcnt vmcnt(0)
	v_cndmask_b32_e32 v17, 0, v17, vcc
	v_cmp_gt_i32_e32 vcc, s33, v62
	v_cndmask_b32_e32 v18, 0, v18, vcc
	v_cmp_gt_i32_e32 vcc, s33, v60
	;; [unrolled: 2-line block ×3, first 2 shown]
	v_cndmask_b32_e32 v20, 0, v20, vcc
.LBB39_46:                              ;   in Loop: Header=BB39_40 Depth=1
	s_or_b64 exec, exec, s[12:13]
	v_add_co_u32_e32 v21, vcc, 0x1000, v41
	v_addc_co_u32_e32 v22, vcc, 0, v42, vcc
	global_load_dwordx4 v[21:24], v[21:22], off
	s_and_saveexec_b64 s[12:13], s[0:1]
	s_cbranch_execz .LBB39_48
; %bb.47:                               ;   in Loop: Header=BB39_40 Depth=1
	v_cmp_gt_i32_e32 vcc, s33, v0
	s_waitcnt vmcnt(0)
	v_cndmask_b32_e32 v21, 0, v21, vcc
	v_cmp_gt_i32_e32 vcc, s33, v62
	v_cndmask_b32_e32 v22, 0, v22, vcc
	v_cmp_gt_i32_e32 vcc, s33, v60
	v_cndmask_b32_e32 v23, 0, v23, vcc
	v_cmp_gt_i32_e32 vcc, s33, v59
	v_cndmask_b32_e32 v24, 0, v24, vcc
.LBB39_48:                              ;   in Loop: Header=BB39_40 Depth=1
	s_or_b64 exec, exec, s[12:13]
	v_add_co_u32_e32 v25, vcc, 0x1000, v41
	v_addc_co_u32_e32 v26, vcc, 0, v42, vcc
	global_load_dwordx4 v[25:28], v[25:26], off offset:1024
	s_and_saveexec_b64 s[12:13], s[0:1]
	s_cbranch_execz .LBB39_50
; %bb.49:                               ;   in Loop: Header=BB39_40 Depth=1
	v_cmp_gt_i32_e32 vcc, s33, v0
	s_waitcnt vmcnt(0)
	v_cndmask_b32_e32 v25, 0, v25, vcc
	v_cmp_gt_i32_e32 vcc, s33, v62
	v_cndmask_b32_e32 v26, 0, v26, vcc
	v_cmp_gt_i32_e32 vcc, s33, v60
	v_cndmask_b32_e32 v27, 0, v27, vcc
	v_cmp_gt_i32_e32 vcc, s33, v59
	v_cndmask_b32_e32 v28, 0, v28, vcc
.LBB39_50:                              ;   in Loop: Header=BB39_40 Depth=1
	s_or_b64 exec, exec, s[12:13]
	v_add_co_u32_e32 v29, vcc, 0x1000, v41
	v_addc_co_u32_e32 v30, vcc, 0, v42, vcc
	global_load_dwordx4 v[29:32], v[29:30], off offset:2048
	s_and_saveexec_b64 s[12:13], s[0:1]
	s_cbranch_execz .LBB39_52
; %bb.51:                               ;   in Loop: Header=BB39_40 Depth=1
	v_cmp_gt_i32_e32 vcc, s33, v0
	s_waitcnt vmcnt(0)
	v_cndmask_b32_e32 v29, 0, v29, vcc
	v_cmp_gt_i32_e32 vcc, s33, v62
	v_cndmask_b32_e32 v30, 0, v30, vcc
	v_cmp_gt_i32_e32 vcc, s33, v60
	v_cndmask_b32_e32 v31, 0, v31, vcc
	v_cmp_gt_i32_e32 vcc, s33, v59
	v_cndmask_b32_e32 v32, 0, v32, vcc
.LBB39_52:                              ;   in Loop: Header=BB39_40 Depth=1
	s_or_b64 exec, exec, s[12:13]
	v_add_co_u32_e32 v33, vcc, 0x1000, v41
	v_addc_co_u32_e32 v34, vcc, 0, v42, vcc
	global_load_dwordx4 v[33:36], v[33:34], off offset:3072
	s_and_saveexec_b64 s[12:13], s[0:1]
	s_cbranch_execz .LBB39_54
; %bb.53:                               ;   in Loop: Header=BB39_40 Depth=1
	v_cmp_gt_i32_e32 vcc, s33, v0
	s_waitcnt vmcnt(0)
	v_cndmask_b32_e32 v33, 0, v33, vcc
	v_cmp_gt_i32_e32 vcc, s33, v62
	v_cndmask_b32_e32 v34, 0, v34, vcc
	v_cmp_gt_i32_e32 vcc, s33, v60
	;; [unrolled: 2-line block ×3, first 2 shown]
	v_cndmask_b32_e32 v36, 0, v36, vcc
.LBB39_54:                              ;   in Loop: Header=BB39_40 Depth=1
	s_or_b64 exec, exec, s[12:13]
	v_add_co_u32_e32 v37, vcc, 0x2000, v41
	v_addc_co_u32_e32 v38, vcc, 0, v42, vcc
	global_load_dwordx4 v[37:40], v[37:38], off
	s_and_saveexec_b64 s[12:13], s[0:1]
	s_cbranch_execz .LBB39_56
; %bb.55:                               ;   in Loop: Header=BB39_40 Depth=1
	v_cmp_gt_i32_e32 vcc, s33, v0
	s_waitcnt vmcnt(0)
	v_cndmask_b32_e32 v37, 0, v37, vcc
	v_cmp_gt_i32_e32 vcc, s33, v62
	v_cndmask_b32_e32 v38, 0, v38, vcc
	v_cmp_gt_i32_e32 vcc, s33, v60
	v_cndmask_b32_e32 v39, 0, v39, vcc
	v_cmp_gt_i32_e32 vcc, s33, v59
	v_cndmask_b32_e32 v40, 0, v40, vcc
.LBB39_56:                              ;   in Loop: Header=BB39_40 Depth=1
	s_or_b64 exec, exec, s[12:13]
	v_add_co_u32_e32 v43, vcc, 0x2000, v41
	v_addc_co_u32_e32 v44, vcc, 0, v42, vcc
	global_load_dwordx4 v[45:48], v[43:44], off offset:1024
	s_and_saveexec_b64 s[12:13], s[0:1]
	s_cbranch_execz .LBB39_58
; %bb.57:                               ;   in Loop: Header=BB39_40 Depth=1
	v_cmp_gt_i32_e32 vcc, s33, v0
	s_waitcnt vmcnt(0)
	v_cndmask_b32_e32 v45, 0, v45, vcc
	v_cmp_gt_i32_e32 vcc, s33, v62
	v_cndmask_b32_e32 v46, 0, v46, vcc
	v_cmp_gt_i32_e32 vcc, s33, v60
	v_cndmask_b32_e32 v47, 0, v47, vcc
	v_cmp_gt_i32_e32 vcc, s33, v59
	v_cndmask_b32_e32 v48, 0, v48, vcc
.LBB39_58:                              ;   in Loop: Header=BB39_40 Depth=1
	s_or_b64 exec, exec, s[12:13]
	v_add_co_u32_e32 v43, vcc, 0x2000, v41
	v_addc_co_u32_e32 v44, vcc, 0, v42, vcc
	global_load_dwordx4 v[49:52], v[43:44], off offset:2048
	;; [unrolled: 17-line block ×3, first 2 shown]
	s_and_saveexec_b64 s[12:13], s[0:1]
	s_cbranch_execz .LBB39_38
; %bb.61:                               ;   in Loop: Header=BB39_40 Depth=1
	v_cmp_gt_i32_e32 vcc, s33, v0
	s_waitcnt vmcnt(0)
	v_cndmask_b32_e32 v41, 0, v41, vcc
	v_cmp_gt_i32_e32 vcc, s33, v62
	v_cndmask_b32_e32 v42, 0, v42, vcc
	v_cmp_gt_i32_e32 vcc, s33, v60
	;; [unrolled: 2-line block ×3, first 2 shown]
	v_cndmask_b32_e32 v44, 0, v44, vcc
	s_branch .LBB39_38
.LBB39_62:                              ;   in Loop: Header=BB39_40 Depth=1
	v_cmp_gt_i32_e32 vcc, s33, v0
	s_waitcnt vmcnt(0)
	v_cndmask_b32_e32 v5, 0, v5, vcc
	v_cmp_gt_i32_e32 vcc, s33, v62
	v_cndmask_b32_e32 v6, 0, v6, vcc
	v_cmp_gt_i32_e32 vcc, s33, v60
	;; [unrolled: 2-line block ×3, first 2 shown]
	v_cndmask_b32_e32 v8, 0, v8, vcc
	s_or_b64 exec, exec, s[12:13]
	global_load_dwordx4 v[9:12], v[41:42], off offset:1024
	s_and_saveexec_b64 s[12:13], s[0:1]
	s_cbranch_execz .LBB39_43
.LBB39_63:                              ;   in Loop: Header=BB39_40 Depth=1
	v_cmp_gt_i32_e32 vcc, s33, v0
	s_waitcnt vmcnt(0)
	v_cndmask_b32_e32 v9, 0, v9, vcc
	v_cmp_gt_i32_e32 vcc, s33, v62
	v_cndmask_b32_e32 v10, 0, v10, vcc
	v_cmp_gt_i32_e32 vcc, s33, v60
	;; [unrolled: 2-line block ×3, first 2 shown]
	v_cndmask_b32_e32 v12, 0, v12, vcc
	s_or_b64 exec, exec, s[12:13]
	global_load_dwordx4 v[13:16], v[41:42], off offset:2048
	s_and_saveexec_b64 s[12:13], s[0:1]
	s_cbranch_execz .LBB39_44
.LBB39_64:                              ;   in Loop: Header=BB39_40 Depth=1
	v_cmp_gt_i32_e32 vcc, s33, v0
	s_waitcnt vmcnt(0)
	v_cndmask_b32_e32 v13, 0, v13, vcc
	v_cmp_gt_i32_e32 vcc, s33, v62
	v_cndmask_b32_e32 v14, 0, v14, vcc
	v_cmp_gt_i32_e32 vcc, s33, v60
	;; [unrolled: 2-line block ×3, first 2 shown]
	v_cndmask_b32_e32 v16, 0, v16, vcc
	s_or_b64 exec, exec, s[12:13]
	global_load_dwordx4 v[17:20], v[41:42], off offset:3072
	s_and_saveexec_b64 s[12:13], s[0:1]
	s_cbranch_execnz .LBB39_45
	s_branch .LBB39_46
.LBB39_65:
	s_or_b64 exec, exec, s[4:5]
	buffer_load_dword v41, off, s[48:51], 0 offset:52 ; 4-byte Folded Reload
	buffer_load_dword v18, off, s[48:51], 0 offset:56 ; 4-byte Folded Reload
	;; [unrolled: 1-line block ×6, first 2 shown]
	buffer_load_dword v15, off, s[48:51], 0 ; 4-byte Folded Reload
	buffer_load_dword v14, off, s[48:51], 0 offset:4 ; 4-byte Folded Reload
	buffer_load_dword v12, off, s[48:51], 0 offset:8 ; 4-byte Folded Reload
	;; [unrolled: 1-line block ×8, first 2 shown]
.LBB39_66:
	s_or_b64 exec, exec, s[2:3]
	s_waitcnt vmcnt(12)
	ds_bpermute_b32 v0, v13, v57
	ds_bpermute_b32 v1, v13, v61
	s_waitcnt vmcnt(0)
	ds_bpermute_b32 v2, v13, v5
	ds_bpermute_b32 v3, v13, v10
	;; [unrolled: 1-line block ×3, first 2 shown]
	s_waitcnt lgkmcnt(4)
	v_add_f32_e32 v0, v57, v0
	s_waitcnt lgkmcnt(3)
	v_add_f32_e32 v1, v61, v1
	ds_bpermute_b32 v4, v16, v0
	s_waitcnt lgkmcnt(3)
	v_add_f32_e32 v2, v5, v2
	ds_bpermute_b32 v5, v16, v1
	ds_bpermute_b32 v6, v16, v2
	s_waitcnt lgkmcnt(4)
	v_add_f32_e32 v3, v10, v3
	s_waitcnt lgkmcnt(2)
	v_add_f32_e32 v0, v0, v4
	ds_bpermute_b32 v4, v19, v0
	s_waitcnt lgkmcnt(2)
	v_add_f32_e32 v1, v1, v5
	ds_bpermute_b32 v5, v19, v1
	;; [unrolled: 3-line block ×4, first 2 shown]
	s_waitcnt lgkmcnt(2)
	v_add_f32_e32 v1, v1, v5
	v_add_f32_e32 v5, v8, v7
	ds_bpermute_b32 v7, v16, v5
	s_waitcnt lgkmcnt(2)
	v_add_f32_e32 v2, v2, v6
	s_waitcnt lgkmcnt(1)
	v_add_f32_e32 v3, v3, v4
	ds_bpermute_b32 v4, v13, v9
	ds_bpermute_b32 v6, v19, v3
	s_waitcnt lgkmcnt(2)
	v_add_f32_e32 v5, v5, v7
	ds_bpermute_b32 v7, v13, v17
	ds_bpermute_b32 v8, v19, v5
	s_waitcnt lgkmcnt(3)
	v_add_f32_e32 v9, v9, v4
	s_waitcnt lgkmcnt(2)
	v_add_f32_e32 v3, v3, v6
	ds_bpermute_b32 v10, v16, v9
	s_waitcnt lgkmcnt(2)
	v_add_f32_e32 v6, v17, v7
	ds_bpermute_b32 v7, v16, v6
	;; [unrolled: 3-line block ×11, first 2 shown]
	ds_bpermute_b32 v13, v13, v63
	s_waitcnt lgkmcnt(3)
	v_add_f32_e32 v11, v14, v11
	ds_bpermute_b32 v14, v16, v11
	ds_bpermute_b32 v12, v19, v9
	s_waitcnt lgkmcnt(3)
	v_add_f32_e32 v7, v15, v7
	s_waitcnt lgkmcnt(2)
	v_add_f32_e32 v13, v63, v13
	ds_bpermute_b32 v15, v16, v7
	ds_bpermute_b32 v16, v16, v13
	s_waitcnt lgkmcnt(3)
	v_add_f32_e32 v11, v11, v14
	ds_bpermute_b32 v14, v19, v11
	s_waitcnt lgkmcnt(0)
	v_add_f32_e32 v15, v7, v15
	v_add_f32_e32 v13, v13, v16
	ds_bpermute_b32 v16, v19, v13
	ds_bpermute_b32 v17, v19, v15
	v_add_f32_e32 v7, v8, v10
	v_add_f32_e32 v8, v9, v12
	;; [unrolled: 1-line block ×3, first 2 shown]
	s_waitcnt lgkmcnt(1)
	v_add_f32_e32 v11, v13, v16
	v_and_b32_e32 v13, 0x3c7, v41
	s_waitcnt lgkmcnt(0)
	v_add_f32_e32 v10, v15, v17
	v_cmp_eq_u32_e32 vcc, 64, v13
	s_barrier
	s_and_saveexec_b64 s[0:1], vcc
	s_cbranch_execz .LBB39_68
; %bb.67:
	v_lshrrev_b32_e32 v12, 1, v18
	v_add_u32_e32 v12, 0x190, v12
	ds_write2_b32 v12, v0, v1 offset1:8
	ds_write2_b32 v12, v2, v3 offset0:16 offset1:24
	ds_write2_b32 v12, v4, v5 offset0:32 offset1:40
	;; [unrolled: 1-line block ×5, first 2 shown]
.LBB39_68:
	s_or_b64 exec, exec, s[0:1]
	v_cmp_gt_u32_e32 vcc, 64, v41
	v_lshrrev_b32_e32 v12, 3, v41
	s_waitcnt lgkmcnt(0)
	s_barrier
	s_and_saveexec_b64 s[0:1], vcc
	s_cbranch_execz .LBB39_83
; %bb.69:
	v_mov_b32_e32 v14, 0x190
	v_cmp_eq_u32_e32 vcc, 0, v20
	v_lshl_add_u32 v14, v12, 2, v14
	s_and_saveexec_b64 s[2:3], vcc
	s_cbranch_execnz .LBB39_86
; %bb.70:
	s_or_b64 exec, exec, s[2:3]
	s_and_saveexec_b64 s[2:3], vcc
	s_cbranch_execnz .LBB39_87
.LBB39_71:
	s_or_b64 exec, exec, s[2:3]
	s_and_saveexec_b64 s[2:3], vcc
	s_cbranch_execnz .LBB39_88
.LBB39_72:
	s_or_b64 exec, exec, s[2:3]
	s_and_saveexec_b64 s[2:3], vcc
	s_cbranch_execnz .LBB39_89
.LBB39_73:
	s_or_b64 exec, exec, s[2:3]
	s_and_saveexec_b64 s[2:3], vcc
	s_cbranch_execnz .LBB39_90
.LBB39_74:
	s_or_b64 exec, exec, s[2:3]
	s_and_saveexec_b64 s[2:3], vcc
	s_cbranch_execnz .LBB39_91
.LBB39_75:
	s_or_b64 exec, exec, s[2:3]
	s_and_saveexec_b64 s[2:3], vcc
	s_cbranch_execnz .LBB39_92
.LBB39_76:
	s_or_b64 exec, exec, s[2:3]
	s_and_saveexec_b64 s[2:3], vcc
	s_cbranch_execnz .LBB39_93
.LBB39_77:
	s_or_b64 exec, exec, s[2:3]
	s_and_saveexec_b64 s[2:3], vcc
	s_cbranch_execnz .LBB39_94
.LBB39_78:
	s_or_b64 exec, exec, s[2:3]
	s_and_saveexec_b64 s[2:3], vcc
	s_cbranch_execnz .LBB39_95
.LBB39_79:
	s_or_b64 exec, exec, s[2:3]
	s_and_saveexec_b64 s[2:3], vcc
	s_cbranch_execnz .LBB39_96
.LBB39_80:
	s_or_b64 exec, exec, s[2:3]
	s_and_saveexec_b64 s[2:3], vcc
	s_cbranch_execz .LBB39_82
.LBB39_81:
	ds_read_b32 v14, v14 offset:352
	s_waitcnt lgkmcnt(0)
	v_add_f32_e32 v11, v11, v14
.LBB39_82:
	s_or_b64 exec, exec, s[2:3]
.LBB39_83:
	s_or_b64 exec, exec, s[0:1]
	v_cmp_eq_u32_e32 vcc, 0, v13
	s_barrier
	s_and_saveexec_b64 s[0:1], vcc
	s_cbranch_execz .LBB39_85
; %bb.84:
	s_mul_i32 s0, s10, s11
	s_mul_i32 s0, s0, s9
	s_mulk_i32 s0, 0x60
	s_ashr_i32 s1, s0, 31
	s_lshl_b64 s[0:1], s[0:1], 2
	s_add_u32 s2, s22, s0
	s_mul_i32 s0, s11, s20
	s_addc_u32 s3, s23, s1
	s_ashr_i32 s1, s0, 31
	s_lshl_b64 s[0:1], s[0:1], 2
	s_add_u32 s2, s2, s0
	s_mul_i32 s0, s8, 0x60
	s_addc_u32 s3, s3, s1
	s_ashr_i32 s1, s0, 31
	s_lshl_b64 s[0:1], s[0:1], 2
	s_add_u32 s0, s2, s0
	s_addc_u32 s1, s3, s1
	v_lshlrev_b32_e32 v12, 2, v12
	global_store_dword v12, v0, s[0:1]
	global_store_dword v12, v1, s[0:1] offset:32
	global_store_dword v12, v2, s[0:1] offset:64
	;; [unrolled: 1-line block ×11, first 2 shown]
.LBB39_85:
	s_endpgm
.LBB39_86:
	ds_read_b32 v15, v14
	s_waitcnt lgkmcnt(0)
	v_add_f32_e32 v0, v0, v15
	s_or_b64 exec, exec, s[2:3]
	s_and_saveexec_b64 s[2:3], vcc
	s_cbranch_execz .LBB39_71
.LBB39_87:
	ds_read_b32 v15, v14 offset:32
	s_waitcnt lgkmcnt(0)
	v_add_f32_e32 v1, v1, v15
	s_or_b64 exec, exec, s[2:3]
	s_and_saveexec_b64 s[2:3], vcc
	s_cbranch_execz .LBB39_72
.LBB39_88:
	ds_read_b32 v15, v14 offset:64
	s_waitcnt lgkmcnt(0)
	v_add_f32_e32 v2, v2, v15
	s_or_b64 exec, exec, s[2:3]
	s_and_saveexec_b64 s[2:3], vcc
	s_cbranch_execz .LBB39_73
.LBB39_89:
	ds_read_b32 v15, v14 offset:96
	s_waitcnt lgkmcnt(0)
	v_add_f32_e32 v3, v3, v15
	s_or_b64 exec, exec, s[2:3]
	s_and_saveexec_b64 s[2:3], vcc
	s_cbranch_execz .LBB39_74
.LBB39_90:
	ds_read_b32 v15, v14 offset:128
	s_waitcnt lgkmcnt(0)
	v_add_f32_e32 v4, v4, v15
	s_or_b64 exec, exec, s[2:3]
	s_and_saveexec_b64 s[2:3], vcc
	s_cbranch_execz .LBB39_75
.LBB39_91:
	ds_read_b32 v15, v14 offset:160
	s_waitcnt lgkmcnt(0)
	v_add_f32_e32 v5, v5, v15
	s_or_b64 exec, exec, s[2:3]
	s_and_saveexec_b64 s[2:3], vcc
	s_cbranch_execz .LBB39_76
.LBB39_92:
	ds_read_b32 v15, v14 offset:192
	s_waitcnt lgkmcnt(0)
	v_add_f32_e32 v6, v6, v15
	s_or_b64 exec, exec, s[2:3]
	s_and_saveexec_b64 s[2:3], vcc
	s_cbranch_execz .LBB39_77
.LBB39_93:
	ds_read_b32 v15, v14 offset:224
	s_waitcnt lgkmcnt(0)
	v_add_f32_e32 v7, v7, v15
	s_or_b64 exec, exec, s[2:3]
	s_and_saveexec_b64 s[2:3], vcc
	s_cbranch_execz .LBB39_78
.LBB39_94:
	ds_read_b32 v15, v14 offset:256
	s_waitcnt lgkmcnt(0)
	v_add_f32_e32 v8, v8, v15
	s_or_b64 exec, exec, s[2:3]
	s_and_saveexec_b64 s[2:3], vcc
	s_cbranch_execz .LBB39_79
.LBB39_95:
	ds_read_b32 v15, v14 offset:288
	s_waitcnt lgkmcnt(0)
	v_add_f32_e32 v9, v9, v15
	s_or_b64 exec, exec, s[2:3]
	s_and_saveexec_b64 s[2:3], vcc
	s_cbranch_execz .LBB39_80
.LBB39_96:
	ds_read_b32 v15, v14 offset:320
	s_waitcnt lgkmcnt(0)
	v_add_f32_e32 v10, v10, v15
	s_or_b64 exec, exec, s[2:3]
	s_and_saveexec_b64 s[2:3], vcc
	s_cbranch_execnz .LBB39_81
	s_branch .LBB39_82
	.section	.rodata,"a",@progbits
	.p2align	6, 0x0
	.amdhsa_kernel _ZN4vllm25paged_attention_v1_kernelIffLi96ELi32ELi128ELNS_18Fp8KVCacheDataTypeE0ELb1EEEvPT_PKS2_PKT0_S8_ifPKiSA_iPKfiiiSC_SC_iiiii
		.amdhsa_group_segment_fixed_size 400
		.amdhsa_private_segment_fixed_size 80
		.amdhsa_kernarg_size 384
		.amdhsa_user_sgpr_count 6
		.amdhsa_user_sgpr_private_segment_buffer 1
		.amdhsa_user_sgpr_dispatch_ptr 0
		.amdhsa_user_sgpr_queue_ptr 0
		.amdhsa_user_sgpr_kernarg_segment_ptr 1
		.amdhsa_user_sgpr_dispatch_id 0
		.amdhsa_user_sgpr_flat_scratch_init 0
		.amdhsa_user_sgpr_private_segment_size 0
		.amdhsa_uses_dynamic_stack 0
		.amdhsa_system_sgpr_private_segment_wavefront_offset 1
		.amdhsa_system_sgpr_workgroup_id_x 1
		.amdhsa_system_sgpr_workgroup_id_y 1
		.amdhsa_system_sgpr_workgroup_id_z 1
		.amdhsa_system_sgpr_workgroup_info 0
		.amdhsa_system_vgpr_workitem_id 0
		.amdhsa_next_free_vgpr 64
		.amdhsa_next_free_sgpr 52
		.amdhsa_reserve_vcc 1
		.amdhsa_reserve_flat_scratch 0
		.amdhsa_float_round_mode_32 0
		.amdhsa_float_round_mode_16_64 0
		.amdhsa_float_denorm_mode_32 3
		.amdhsa_float_denorm_mode_16_64 3
		.amdhsa_dx10_clamp 1
		.amdhsa_ieee_mode 1
		.amdhsa_fp16_overflow 0
		.amdhsa_exception_fp_ieee_invalid_op 0
		.amdhsa_exception_fp_denorm_src 0
		.amdhsa_exception_fp_ieee_div_zero 0
		.amdhsa_exception_fp_ieee_overflow 0
		.amdhsa_exception_fp_ieee_underflow 0
		.amdhsa_exception_fp_ieee_inexact 0
		.amdhsa_exception_int_div_zero 0
	.end_amdhsa_kernel
	.section	.text._ZN4vllm25paged_attention_v1_kernelIffLi96ELi32ELi128ELNS_18Fp8KVCacheDataTypeE0ELb1EEEvPT_PKS2_PKT0_S8_ifPKiSA_iPKfiiiSC_SC_iiiii,"axG",@progbits,_ZN4vllm25paged_attention_v1_kernelIffLi96ELi32ELi128ELNS_18Fp8KVCacheDataTypeE0ELb1EEEvPT_PKS2_PKT0_S8_ifPKiSA_iPKfiiiSC_SC_iiiii,comdat
.Lfunc_end39:
	.size	_ZN4vllm25paged_attention_v1_kernelIffLi96ELi32ELi128ELNS_18Fp8KVCacheDataTypeE0ELb1EEEvPT_PKS2_PKT0_S8_ifPKiSA_iPKfiiiSC_SC_iiiii, .Lfunc_end39-_ZN4vllm25paged_attention_v1_kernelIffLi96ELi32ELi128ELNS_18Fp8KVCacheDataTypeE0ELb1EEEvPT_PKS2_PKT0_S8_ifPKiSA_iPKfiiiSC_SC_iiiii
                                        ; -- End function
	.set _ZN4vllm25paged_attention_v1_kernelIffLi96ELi32ELi128ELNS_18Fp8KVCacheDataTypeE0ELb1EEEvPT_PKS2_PKT0_S8_ifPKiSA_iPKfiiiSC_SC_iiiii.num_vgpr, 64
	.set _ZN4vllm25paged_attention_v1_kernelIffLi96ELi32ELi128ELNS_18Fp8KVCacheDataTypeE0ELb1EEEvPT_PKS2_PKT0_S8_ifPKiSA_iPKfiiiSC_SC_iiiii.num_agpr, 0
	.set _ZN4vllm25paged_attention_v1_kernelIffLi96ELi32ELi128ELNS_18Fp8KVCacheDataTypeE0ELb1EEEvPT_PKS2_PKT0_S8_ifPKiSA_iPKfiiiSC_SC_iiiii.numbered_sgpr, 52
	.set _ZN4vllm25paged_attention_v1_kernelIffLi96ELi32ELi128ELNS_18Fp8KVCacheDataTypeE0ELb1EEEvPT_PKS2_PKT0_S8_ifPKiSA_iPKfiiiSC_SC_iiiii.num_named_barrier, 0
	.set _ZN4vllm25paged_attention_v1_kernelIffLi96ELi32ELi128ELNS_18Fp8KVCacheDataTypeE0ELb1EEEvPT_PKS2_PKT0_S8_ifPKiSA_iPKfiiiSC_SC_iiiii.private_seg_size, 80
	.set _ZN4vllm25paged_attention_v1_kernelIffLi96ELi32ELi128ELNS_18Fp8KVCacheDataTypeE0ELb1EEEvPT_PKS2_PKT0_S8_ifPKiSA_iPKfiiiSC_SC_iiiii.uses_vcc, 1
	.set _ZN4vllm25paged_attention_v1_kernelIffLi96ELi32ELi128ELNS_18Fp8KVCacheDataTypeE0ELb1EEEvPT_PKS2_PKT0_S8_ifPKiSA_iPKfiiiSC_SC_iiiii.uses_flat_scratch, 0
	.set _ZN4vllm25paged_attention_v1_kernelIffLi96ELi32ELi128ELNS_18Fp8KVCacheDataTypeE0ELb1EEEvPT_PKS2_PKT0_S8_ifPKiSA_iPKfiiiSC_SC_iiiii.has_dyn_sized_stack, 0
	.set _ZN4vllm25paged_attention_v1_kernelIffLi96ELi32ELi128ELNS_18Fp8KVCacheDataTypeE0ELb1EEEvPT_PKS2_PKT0_S8_ifPKiSA_iPKfiiiSC_SC_iiiii.has_recursion, 0
	.set _ZN4vllm25paged_attention_v1_kernelIffLi96ELi32ELi128ELNS_18Fp8KVCacheDataTypeE0ELb1EEEvPT_PKS2_PKT0_S8_ifPKiSA_iPKfiiiSC_SC_iiiii.has_indirect_call, 0
	.section	.AMDGPU.csdata,"",@progbits
; Kernel info:
; codeLenInByte = 6476
; TotalNumSgprs: 56
; NumVgprs: 64
; ScratchSize: 80
; MemoryBound: 0
; FloatMode: 240
; IeeeMode: 1
; LDSByteSize: 400 bytes/workgroup (compile time only)
; SGPRBlocks: 6
; VGPRBlocks: 15
; NumSGPRsForWavesPerEU: 56
; NumVGPRsForWavesPerEU: 64
; Occupancy: 4
; WaveLimiterHint : 1
; COMPUTE_PGM_RSRC2:SCRATCH_EN: 1
; COMPUTE_PGM_RSRC2:USER_SGPR: 6
; COMPUTE_PGM_RSRC2:TRAP_HANDLER: 0
; COMPUTE_PGM_RSRC2:TGID_X_EN: 1
; COMPUTE_PGM_RSRC2:TGID_Y_EN: 1
; COMPUTE_PGM_RSRC2:TGID_Z_EN: 1
; COMPUTE_PGM_RSRC2:TIDIG_COMP_CNT: 0
	.section	.text._ZN4vllm25paged_attention_v1_kernelIffLi112ELi32ELi128ELNS_18Fp8KVCacheDataTypeE0ELb1EEEvPT_PKS2_PKT0_S8_ifPKiSA_iPKfiiiSC_SC_iiiii,"axG",@progbits,_ZN4vllm25paged_attention_v1_kernelIffLi112ELi32ELi128ELNS_18Fp8KVCacheDataTypeE0ELb1EEEvPT_PKS2_PKT0_S8_ifPKiSA_iPKfiiiSC_SC_iiiii,comdat
	.protected	_ZN4vllm25paged_attention_v1_kernelIffLi112ELi32ELi128ELNS_18Fp8KVCacheDataTypeE0ELb1EEEvPT_PKS2_PKT0_S8_ifPKiSA_iPKfiiiSC_SC_iiiii ; -- Begin function _ZN4vllm25paged_attention_v1_kernelIffLi112ELi32ELi128ELNS_18Fp8KVCacheDataTypeE0ELb1EEEvPT_PKS2_PKT0_S8_ifPKiSA_iPKfiiiSC_SC_iiiii
	.globl	_ZN4vllm25paged_attention_v1_kernelIffLi112ELi32ELi128ELNS_18Fp8KVCacheDataTypeE0ELb1EEEvPT_PKS2_PKT0_S8_ifPKiSA_iPKfiiiSC_SC_iiiii
	.p2align	8
	.type	_ZN4vllm25paged_attention_v1_kernelIffLi112ELi32ELi128ELNS_18Fp8KVCacheDataTypeE0ELb1EEEvPT_PKS2_PKT0_S8_ifPKiSA_iPKfiiiSC_SC_iiiii,@function
_ZN4vllm25paged_attention_v1_kernelIffLi112ELi32ELi128ELNS_18Fp8KVCacheDataTypeE0ELb1EEEvPT_PKS2_PKT0_S8_ifPKiSA_iPKfiiiSC_SC_iiiii: ; @_ZN4vllm25paged_attention_v1_kernelIffLi112ELi32ELi128ELNS_18Fp8KVCacheDataTypeE0ELb1EEEvPT_PKS2_PKT0_S8_ifPKiSA_iPKfiiiSC_SC_iiiii
; %bb.0:
	s_mov_b64 s[50:51], s[2:3]
	s_mov_b64 s[48:49], s[0:1]
	s_add_u32 s48, s48, s9
	s_load_dword s9, s[4:5], 0x80
	s_load_dwordx2 s[0:1], s[4:5], 0x30
	s_load_dwordx2 s[30:31], s[4:5], 0x20
	s_addc_u32 s49, s49, 0
	s_mov_b32 s10, s7
	s_ashr_i32 s11, s7, 31
	s_lshl_b64 s[2:3], s[10:11], 2
	s_waitcnt lgkmcnt(0)
	s_add_u32 s0, s0, s2
	s_addc_u32 s1, s1, s3
	s_abs_i32 s2, s30
	v_mov_b32_e32 v45, v0
	v_cvt_f32_u32_e32 v0, s2
	s_sub_i32 s11, 0, s2
	s_abs_i32 s7, s9
	s_xor_b32 s3, s9, s30
	v_rcp_iflag_f32_e32 v0, v0
	s_ashr_i32 s3, s3, 31
	s_mov_b32 s42, 0
	v_mul_f32_e32 v0, 0x4f7ffffe, v0
	v_cvt_u32_f32_e32 v0, v0
	v_readfirstlane_b32 s12, v0
	s_mul_i32 s11, s11, s12
	s_mul_hi_u32 s11, s12, s11
	s_add_i32 s12, s12, s11
	s_mul_hi_u32 s11, s7, s12
	s_mul_i32 s12, s11, s2
	s_sub_i32 s7, s7, s12
	s_add_i32 s12, s11, 1
	s_sub_i32 s13, s7, s2
	s_cmp_ge_u32 s7, s2
	s_cselect_b32 s11, s12, s11
	s_cselect_b32 s7, s13, s7
	s_add_i32 s12, s11, 1
	s_cmp_ge_u32 s7, s2
	s_cselect_b32 s2, s12, s11
	s_xor_b32 s2, s2, s3
	s_sub_i32 s12, s2, s3
	s_abs_i32 s11, s12
	v_cvt_f32_u32_e32 v0, s11
	s_load_dwordx2 s[2:3], s[4:5], 0x40
	s_sub_i32 s7, 0, s11
	s_abs_i32 s22, s6
	v_rcp_iflag_f32_e32 v0, v0
	v_mul_f32_e32 v0, 0x4f7ffffe, v0
	v_cvt_u32_f32_e32 v0, v0
	v_readfirstlane_b32 s13, v0
	s_mul_i32 s7, s7, s13
	s_mul_hi_u32 s7, s13, s7
	s_add_i32 s13, s13, s7
	s_waitcnt lgkmcnt(0)
	s_cmp_eq_u64 s[2:3], 0
	s_mul_hi_u32 s23, s22, s13
	s_cbranch_scc1 .LBB40_2
; %bb.1:
	s_ashr_i32 s7, s6, 31
	s_lshl_b64 s[14:15], s[6:7], 2
	s_add_u32 s2, s2, s14
	s_addc_u32 s3, s3, s15
	s_load_dword s42, s[2:3], 0x0
.LBB40_2:
	s_load_dword s33, s[0:1], 0x0
	s_ashr_i32 s7, s12, 31
	s_load_dwordx4 s[12:15], s[4:5], 0x48
	s_ashr_i32 s2, s6, 31
	v_and_b32_e32 v1, 1, v45
	s_mul_i32 s20, s6, 0x70
	v_cmp_gt_u32_e32 vcc, 56, v45
	v_lshlrev_b32_e32 v2, 3, v45
	v_lshlrev_b32_e32 v9, 2, v45
	s_and_saveexec_b64 s[0:1], vcc
	s_cbranch_execz .LBB40_4
; %bb.3:
	s_load_dwordx2 s[16:17], s[4:5], 0x8
	s_waitcnt lgkmcnt(0)
	s_mul_i32 s18, s12, s10
	s_ashr_i32 s19, s18, 31
	s_lshl_b64 s[18:19], s[18:19], 2
	v_and_b32_e32 v0, 0xff8, v9
	s_add_u32 s3, s16, s18
	s_addc_u32 s12, s17, s19
	s_ashr_i32 s21, s20, 31
	s_lshl_b64 s[16:17], s[20:21], 2
	s_add_u32 s16, s3, s16
	s_addc_u32 s17, s12, s17
	global_load_dwordx2 v[3:4], v2, s[16:17]
	s_movk_i32 s3, 0xe0
	v_mad_u32_u24 v0, v1, s3, v0
	s_waitcnt vmcnt(0)
	ds_write_b64 v0, v[3:4]
.LBB40_4:
	s_or_b64 exec, exec, s[0:1]
	s_mul_i32 s1, s23, s11
	s_sub_i32 s1, s22, s1
	s_xor_b32 s0, s2, s7
	s_add_i32 s2, s23, 1
	s_sub_i32 s7, s1, s11
	s_load_dwordx4 s[16:19], s[4:5], 0x68
	s_load_dword s3, s[4:5], 0x78
	s_cmp_ge_u32 s1, s11
	s_cselect_b32 s2, s2, s23
	s_cselect_b32 s1, s7, s1
	s_add_i32 s7, s2, 1
	s_cmp_ge_u32 s1, s11
	s_cselect_b32 s1, s7, s2
	s_waitcnt lgkmcnt(0)
	s_abs_i32 s21, s19
	v_cvt_f32_u32_e32 v0, s21
	s_xor_b32 s1, s1, s0
	s_sub_i32 s2, s1, s0
	s_sub_i32 s0, 0, s21
	v_rcp_iflag_f32_e32 v0, v0
	s_add_i32 s11, s33, -1
	s_abs_i32 s7, s11
	v_mul_f32_e32 v0, 0x4f7ffffe, v0
	v_cvt_u32_f32_e32 v0, v0
	s_barrier
	v_readfirstlane_b32 s40, v0
	s_mul_i32 s0, s0, s40
	s_mul_hi_u32 s0, s40, s0
	s_add_i32 s40, s40, s0
	s_cmp_lt_i32 s3, 0
	s_mul_hi_u32 s12, s7, s40
	s_cbranch_scc0 .LBB40_6
; %bb.5:
	s_mul_i32 s0, s16, s30
	s_add_i32 s0, s2, s0
	s_mul_i32 s0, s0, s3
	s_sub_i32 s41, 1, s0
	s_mov_b64 s[0:1], 0
	s_branch .LBB40_7
.LBB40_6:
	s_mov_b64 s[0:1], -1
                                        ; implicit-def: $sgpr41
.LBB40_7:
	s_load_dwordx2 s[24:25], s[4:5], 0x28
	s_ashr_i32 s15, s11, 31
	s_andn2_b64 vcc, exec, s[0:1]
	s_ashr_i32 s19, s19, 31
	s_cbranch_vccnz .LBB40_9
; %bb.8:
	s_mul_i32 s0, s9, s16
	s_add_i32 s0, s0, s6
	s_mul_i32 s0, s0, s3
	s_add_i32 s41, s0, 1
.LBB40_9:
	s_load_dword s0, s[4:5], 0x38
	s_load_dwordx2 s[22:23], s[4:5], 0x0
	s_load_dwordx2 s[28:29], s[4:5], 0x18
	s_load_dword s11, s[4:5], 0x88
	s_xor_b32 s1, s15, s19
	s_waitcnt lgkmcnt(0)
	s_mul_i32 s26, s0, s10
	s_mul_i32 s0, s12, s21
	s_sub_i32 s0, s7, s0
	s_ashr_i32 s27, s26, 31
	s_add_i32 s3, s12, 1
	s_sub_i32 s6, s0, s21
	s_cmp_ge_u32 s0, s21
	s_cselect_b32 s3, s3, s12
	s_cselect_b32 s0, s6, s0
	s_add_i32 s6, s3, 1
	s_cmp_ge_u32 s0, s21
	s_cselect_b32 s0, s6, s3
	s_xor_b32 s0, s0, s1
	s_sub_i32 s12, s0, s1
	s_add_i32 s0, s33, 31
	s_ashr_i32 s1, s0, 31
	s_lshr_b32 s1, s1, 27
	s_add_i32 s0, s0, s1
	s_ashr_i32 s16, s0, 5
	v_lshrrev_b32_e32 v0, 6, v45
	v_cmp_gt_i32_e64 s[0:1], s16, v0
	v_mov_b32_e32 v15, 0xff7fffff
	s_mul_i32 s14, s2, s14
	v_lshrrev_b32_e32 v10, 4, v45
	buffer_store_dword v0, off, s[48:51], 0 ; 4-byte Folded Spill
	v_lshlrev_b32_e32 v46, 5, v0
	v_mbcnt_lo_u32_b32 v0, -1, 0
	s_and_saveexec_b64 s[34:35], s[0:1]
	s_cbranch_execz .LBB40_21
; %bb.10:
	s_load_dwordx2 s[2:3], s[4:5], 0x10
	s_ashr_i32 s15, s14, 31
	s_sub_i32 s30, s12, s17
	s_lshl_b64 s[4:5], s[14:15], 2
	v_bfe_u32 v11, v45, 1, 5
	s_waitcnt lgkmcnt(0)
	s_add_u32 s2, s2, s4
	s_addc_u32 s3, s3, s5
	s_abs_i32 s15, s18
	v_cvt_f32_u32_e32 v3, s15
	v_mov_b32_e32 v6, s3
	s_sub_i32 s3, 0, s15
	v_lshlrev_b32_e32 v5, 4, v11
	v_rcp_iflag_f32_e32 v3, v3
	s_lshl_b64 s[4:5], s[26:27], 2
	v_and_b32_e32 v2, 8, v2
	v_lshlrev_b32_e32 v4, 2, v11
	v_mul_f32_e32 v3, 0x4f7ffffe, v3
	v_cvt_u32_f32_e32 v3, v3
	s_add_u32 s4, s24, s4
	v_lshrrev_b32_e32 v24, 6, v45
	v_cmp_eq_u32_e32 vcc, 0, v1
	v_mul_lo_u32 v7, s3, v3
	v_add_co_u32_e64 v5, s[2:3], s2, v5
	v_addc_co_u32_e64 v6, s[2:3], 0, v6, s[2:3]
	v_mul_hi_u32 v7, v3, v7
	v_add_co_u32_e64 v12, s[2:3], v5, v2
	v_mul_u32_u24_e32 v14, 0xe0, v1
	v_add_u32_e32 v16, v3, v7
	v_subrev_u32_e32 v3, s33, v11
	v_and_b32_e32 v1, 60, v10
	s_addc_u32 s5, s25, s5
	v_add_u32_e32 v18, 1, v3
	v_lshl_or_b32 v3, v24, 7, v4
	v_mbcnt_hi_u32_b32 v21, -1, v0
	v_addc_co_u32_e64 v13, s[2:3], 0, v6, s[2:3]
	v_mov_b32_e32 v2, s5
	v_add_co_u32_e64 v1, s[4:5], s4, v1
	v_add_u32_e32 v19, 0x1d0, v3
	v_and_b32_e32 v3, 64, v21
	s_mov_b32 s43, s13
	v_cmp_neq_f32_e64 s[2:3], s42, 0
	v_addc_co_u32_e64 v2, s[4:5], 0, v2, s[4:5]
	v_lshlrev_b32_e32 v17, 5, v24
	v_mov_b32_e32 v20, 0xff7fffff
	s_mov_b64 s[36:37], 0
	s_movk_i32 s44, 0x1000
	s_movk_i32 s45, 0x2000
	;; [unrolled: 1-line block ×3, first 2 shown]
	v_xor_b32_e32 v22, 1, v21
	v_add_u32_e32 v23, 64, v3
	v_mov_b32_e32 v15, 0xff7fffff
	s_branch .LBB40_13
.LBB40_11:                              ;   in Loop: Header=BB40_13 Depth=1
	s_or_b64 exec, exec, s[38:39]
.LBB40_12:                              ;   in Loop: Header=BB40_13 Depth=1
	s_or_b64 exec, exec, s[6:7]
	v_add_co_u32_e64 v1, s[4:5], 8, v1
	v_add_u32_e32 v24, 2, v24
	v_addc_co_u32_e64 v2, s[4:5], 0, v2, s[4:5]
	v_cmp_le_i32_e64 s[4:5], s16, v24
	v_add_u32_e32 v17, 64, v17
	s_or_b64 s[36:37], s[4:5], s[36:37]
	v_add_u32_e32 v19, 0x100, v19
	s_andn2_b64 exec, exec, s[36:37]
	s_cbranch_execz .LBB40_20
.LBB40_13:                              ; =>This Inner Loop Header: Depth=1
	v_mul_hi_u32 v3, v17, s40
	s_waitcnt lgkmcnt(0)
	v_mul_lo_u32 v4, v3, s21
	v_add_u32_e32 v5, 1, v3
	v_sub_u32_e32 v4, v17, v4
	v_cmp_le_u32_e64 s[4:5], s21, v4
	v_cndmask_b32_e64 v3, v3, v5, s[4:5]
	v_subrev_u32_e32 v5, s21, v4
	v_cndmask_b32_e64 v4, v4, v5, s[4:5]
	v_add_u32_e32 v5, 1, v3
	v_cmp_le_u32_e64 s[4:5], s21, v4
	v_cndmask_b32_e64 v3, v3, v5, s[4:5]
	v_xor_b32_e32 v3, s19, v3
	v_subrev_u32_e32 v3, s19, v3
	v_add_u32_e32 v4, s41, v3
	v_sub_u32_e32 v5, 0, v4
	v_max_i32_e32 v5, v4, v5
	v_mul_hi_u32 v6, v5, v16
	v_ashrrev_i32_e32 v4, 31, v4
	v_cmp_ge_i32_e64 s[6:7], s30, v3
	v_mul_lo_u32 v6, v6, s15
	v_sub_u32_e32 v5, v5, v6
	v_subrev_u32_e32 v6, s15, v5
	v_cmp_le_u32_e64 s[4:5], s15, v5
	v_cndmask_b32_e64 v5, v5, v6, s[4:5]
	v_subrev_u32_e32 v6, s15, v5
	v_cmp_le_u32_e64 s[4:5], s15, v5
	v_cndmask_b32_e64 v5, v5, v6, s[4:5]
	v_xor_b32_e32 v5, v5, v4
	v_sub_u32_e32 v4, v5, v4
	v_cmp_ne_u32_e64 s[4:5], 0, v4
	s_and_b64 s[4:5], s[4:5], s[6:7]
	s_and_saveexec_b64 s[6:7], s[4:5]
	s_xor_b64 s[4:5], exec, s[6:7]
	s_cbranch_execz .LBB40_17
; %bb.14:                               ;   in Loop: Header=BB40_13 Depth=1
	s_and_saveexec_b64 s[6:7], vcc
; %bb.15:                               ;   in Loop: Header=BB40_13 Depth=1
	ds_write_b32 v19, v20
; %bb.16:                               ;   in Loop: Header=BB40_13 Depth=1
	s_or_b64 exec, exec, s[6:7]
.LBB40_17:                              ;   in Loop: Header=BB40_13 Depth=1
	s_andn2_saveexec_b64 s[6:7], s[4:5]
	s_cbranch_execz .LBB40_12
; %bb.18:                               ;   in Loop: Header=BB40_13 Depth=1
	global_load_dword v3, v[1:2], off
	s_waitcnt vmcnt(0)
	v_mad_i64_i32 v[3:4], s[4:5], v3, s43, 0
	v_lshlrev_b64 v[3:4], 2, v[3:4]
	v_add_co_u32_e64 v3, s[4:5], v12, v3
	v_addc_co_u32_e64 v4, s[4:5], v13, v4, s[4:5]
	global_load_dwordx2 v[25:26], v[3:4], off offset:512
	ds_read_b128 v[5:8], v14
	ds_read_b128 v[27:30], v14 offset:16
	global_load_dwordx2 v[31:32], v[3:4], off offset:1024
	global_load_dwordx2 v[33:34], v[3:4], off offset:1536
	s_waitcnt vmcnt(2) lgkmcnt(1)
	v_mul_f32_e32 v25, v7, v25
	v_mul_f32_e32 v26, v8, v26
	global_load_dwordx2 v[7:8], v[3:4], off
	global_load_dwordx2 v[35:36], v[3:4], off offset:2048
	global_load_dwordx2 v[37:38], v[3:4], off offset:2560
	s_waitcnt vmcnt(2)
	v_fmac_f32_e32 v25, v5, v7
	v_fmac_f32_e32 v26, v6, v8
	s_waitcnt lgkmcnt(0)
	v_fmac_f32_e32 v25, v27, v31
	v_fmac_f32_e32 v26, v28, v32
	;; [unrolled: 1-line block ×4, first 2 shown]
	global_load_dwordx2 v[31:32], v[3:4], off offset:3072
	global_load_dwordx2 v[33:34], v[3:4], off offset:3584
	ds_read_b128 v[5:8], v14 offset:32
	ds_read_b128 v[27:30], v14 offset:48
	s_waitcnt vmcnt(3) lgkmcnt(1)
	v_fmac_f32_e32 v25, v5, v35
	v_fmac_f32_e32 v26, v6, v36
	s_waitcnt vmcnt(2)
	v_fmac_f32_e32 v25, v7, v37
	v_add_co_u32_e64 v7, s[4:5], s45, v3
	v_fmac_f32_e32 v26, v8, v38
	v_addc_co_u32_e64 v8, s[4:5], 0, v4, s[4:5]
	global_load_dwordx2 v[35:36], v[7:8], off offset:-4096
	v_add_co_u32_e64 v37, s[4:5], s44, v3
	v_addc_co_u32_e64 v38, s[4:5], 0, v4, s[4:5]
	v_add_co_u32_e64 v5, s[4:5], s46, v3
	v_addc_co_u32_e64 v6, s[4:5], 0, v4, s[4:5]
	global_load_dwordx2 v[3:4], v[5:6], off offset:1536
	v_cmp_lt_i32_e64 s[4:5], v22, v23
	s_waitcnt vmcnt(3) lgkmcnt(0)
	v_fmac_f32_e32 v25, v27, v31
	v_fmac_f32_e32 v26, v28, v32
	s_waitcnt vmcnt(2)
	v_fmac_f32_e32 v25, v29, v33
	v_fmac_f32_e32 v26, v30, v34
	ds_read_b128 v[27:30], v14 offset:64
	ds_read_b128 v[31:34], v14 offset:80
	s_waitcnt vmcnt(1) lgkmcnt(1)
	v_fmac_f32_e32 v25, v27, v35
	v_fmac_f32_e32 v26, v28, v36
	global_load_dwordx2 v[27:28], v[37:38], off offset:512
	global_load_dwordx2 v[35:36], v[37:38], off offset:1024
	;; [unrolled: 1-line block ×4, first 2 shown]
	s_waitcnt vmcnt(3)
	v_fmac_f32_e32 v25, v29, v27
	v_fmac_f32_e32 v26, v30, v28
	s_waitcnt vmcnt(2) lgkmcnt(0)
	v_fmac_f32_e32 v25, v31, v35
	v_fmac_f32_e32 v26, v32, v36
	s_waitcnt vmcnt(1)
	v_fmac_f32_e32 v25, v33, v39
	v_fmac_f32_e32 v26, v34, v40
	ds_read_b128 v[27:30], v14 offset:96
	ds_read_b128 v[31:34], v14 offset:112
	s_waitcnt vmcnt(0) lgkmcnt(1)
	v_fmac_f32_e32 v25, v27, v41
	v_fmac_f32_e32 v26, v28, v42
	global_load_dwordx2 v[27:28], v[37:38], off offset:2560
	global_load_dwordx2 v[35:36], v[37:38], off offset:3072
	s_nop 0
	global_load_dwordx2 v[37:38], v[37:38], off offset:3584
	s_nop 0
	global_load_dwordx2 v[39:40], v[5:6], off
	s_waitcnt vmcnt(3)
	v_fmac_f32_e32 v25, v29, v27
	v_fmac_f32_e32 v26, v30, v28
	s_waitcnt vmcnt(2) lgkmcnt(0)
	v_fmac_f32_e32 v25, v31, v35
	v_fmac_f32_e32 v26, v32, v36
	s_waitcnt vmcnt(1)
	v_fmac_f32_e32 v25, v33, v37
	v_fmac_f32_e32 v26, v34, v38
	global_load_dwordx2 v[35:36], v[7:8], off
	global_load_dwordx2 v[37:38], v[7:8], off offset:512
	global_load_dwordx2 v[41:42], v[7:8], off offset:1024
	;; [unrolled: 1-line block ×3, first 2 shown]
	ds_read_b128 v[27:30], v14 offset:128
	ds_read_b128 v[31:34], v14 offset:144
	s_waitcnt vmcnt(3) lgkmcnt(1)
	v_fmac_f32_e32 v25, v27, v35
	v_fmac_f32_e32 v26, v28, v36
	s_waitcnt vmcnt(2)
	v_fmac_f32_e32 v25, v29, v37
	v_fmac_f32_e32 v26, v30, v38
	s_waitcnt vmcnt(1) lgkmcnt(0)
	v_fmac_f32_e32 v25, v31, v41
	v_fmac_f32_e32 v26, v32, v42
	global_load_dwordx2 v[35:36], v[7:8], off offset:2048
	global_load_dwordx2 v[37:38], v[7:8], off offset:2560
	;; [unrolled: 1-line block ×3, first 2 shown]
	s_nop 0
	global_load_dwordx2 v[7:8], v[7:8], off offset:3584
	s_waitcnt vmcnt(4)
	v_fmac_f32_e32 v25, v33, v43
	v_fmac_f32_e32 v26, v34, v44
	ds_read_b128 v[27:30], v14 offset:160
	ds_read_b128 v[31:34], v14 offset:176
	s_waitcnt vmcnt(3) lgkmcnt(1)
	v_fmac_f32_e32 v25, v27, v35
	v_fmac_f32_e32 v26, v28, v36
	s_waitcnt vmcnt(2)
	v_fmac_f32_e32 v25, v29, v37
	v_fmac_f32_e32 v26, v30, v38
	s_waitcnt vmcnt(1) lgkmcnt(0)
	v_fmac_f32_e32 v25, v31, v41
	v_fmac_f32_e32 v26, v32, v42
	s_waitcnt vmcnt(0)
	v_fmac_f32_e32 v25, v33, v7
	v_fmac_f32_e32 v26, v34, v8
	ds_read_b128 v[27:30], v14 offset:192
	ds_read_b128 v[31:34], v14 offset:208
	global_load_dwordx2 v[7:8], v[5:6], off offset:512
	s_nop 0
	global_load_dwordx2 v[5:6], v[5:6], off offset:1024
	s_waitcnt lgkmcnt(1)
	v_fmac_f32_e32 v25, v27, v39
	v_fmac_f32_e32 v26, v28, v40
	s_waitcnt vmcnt(1)
	v_fmac_f32_e32 v25, v7, v29
	v_fmac_f32_e32 v26, v8, v30
	s_waitcnt vmcnt(0) lgkmcnt(0)
	v_fmac_f32_e32 v25, v5, v31
	v_fmac_f32_e32 v26, v6, v32
	v_cndmask_b32_e64 v7, v21, v22, s[4:5]
	v_fmac_f32_e32 v25, v3, v33
	v_fmac_f32_e32 v26, v4, v34
	v_lshlrev_b32_e32 v7, 2, v7
	v_add_f32_e32 v3, v25, v26
	ds_bpermute_b32 v4, v7, v3
	s_and_saveexec_b64 s[38:39], vcc
	s_cbranch_execz .LBB40_11
; %bb.19:                               ;   in Loop: Header=BB40_13 Depth=1
	v_add_u32_e32 v5, v18, v17
	v_cvt_f32_i32_e32 v5, v5
	s_waitcnt lgkmcnt(0)
	v_add_f32_e32 v3, v3, v4
	v_add_u32_e32 v6, v11, v17
	v_cmp_gt_i32_e64 s[4:5], s33, v6
	v_mul_f32_e32 v4, s42, v5
	v_cndmask_b32_e64 v4, 0, v4, s[2:3]
	v_fmac_f32_e32 v4, s31, v3
	v_cndmask_b32_e64 v3, 0, v4, s[4:5]
	ds_write_b32 v19, v3
	v_max_f32_e32 v3, v15, v15
	v_max_f32_e32 v3, v3, v4
	v_cndmask_b32_e64 v15, v15, v3, s[4:5]
	s_branch .LBB40_11
.LBB40_20:
	s_or_b64 exec, exec, s[36:37]
.LBB40_21:
	s_or_b64 exec, exec, s[34:35]
	v_mbcnt_hi_u32_b32 v0, -1, v0
	v_and_b32_e32 v6, 64, v0
	v_add_u32_e32 v7, 64, v6
	v_xor_b32_e32 v1, 32, v0
	v_cmp_lt_i32_e32 vcc, v1, v7
	v_cndmask_b32_e32 v1, v0, v1, vcc
	v_lshlrev_b32_e32 v1, 2, v1
	ds_bpermute_b32 v2, v1, v15
	s_waitcnt lgkmcnt(1)
	v_xor_b32_e32 v4, 16, v0
	v_max_f32_e32 v3, v15, v15
	v_cmp_lt_i32_e32 vcc, v4, v7
	v_xor_b32_e32 v5, 8, v0
	s_waitcnt lgkmcnt(0)
	v_max_f32_e32 v2, v2, v2
	v_max_f32_e32 v3, v3, v2
	v_cndmask_b32_e32 v2, v0, v4, vcc
	v_lshlrev_b32_e32 v2, 2, v2
	ds_bpermute_b32 v4, v2, v3
	v_cmp_lt_i32_e32 vcc, v5, v7
	v_xor_b32_e32 v8, 4, v0
	v_and_b32_e32 v19, 63, v45
	s_waitcnt lgkmcnt(0)
	v_max_f32_e32 v4, v4, v4
	v_max_f32_e32 v4, v3, v4
	v_cndmask_b32_e32 v3, v0, v5, vcc
	v_lshlrev_b32_e32 v3, 2, v3
	ds_bpermute_b32 v5, v3, v4
	v_cmp_lt_i32_e32 vcc, v8, v7
	s_waitcnt lgkmcnt(0)
	v_max_f32_e32 v5, v5, v5
	v_max_f32_e32 v4, v4, v5
	v_cndmask_b32_e32 v5, v0, v8, vcc
	v_lshlrev_b32_e32 v15, 2, v5
	ds_bpermute_b32 v5, v15, v4
	v_xor_b32_e32 v8, 2, v0
	v_cmp_lt_i32_e32 vcc, v8, v7
	s_waitcnt lgkmcnt(0)
	v_max_f32_e32 v5, v5, v5
	v_max_f32_e32 v5, v4, v5
	v_cndmask_b32_e32 v4, v0, v8, vcc
	v_lshlrev_b32_e32 v18, 2, v4
	ds_bpermute_b32 v8, v18, v5
	v_lshrrev_b32_e32 v4, 6, v45
	v_cmp_eq_u32_e32 vcc, 0, v19
	v_lshlrev_b32_e32 v4, 2, v4
	s_and_saveexec_b64 s[2:3], vcc
	s_cbranch_execz .LBB40_23
; %bb.22:
	s_waitcnt lgkmcnt(0)
	v_max_f32_e32 v8, v8, v8
	v_max_f32_e32 v5, v5, v5
	;; [unrolled: 1-line block ×3, first 2 shown]
	ds_write_b32 v4, v5 offset:448
.LBB40_23:
	s_or_b64 exec, exec, s[2:3]
	v_cmp_gt_u32_e64 s[2:3], 2, v19
	s_waitcnt lgkmcnt(0)
	v_mov_b32_e32 v8, 0xff7fffff
	v_lshlrev_b32_e32 v5, 2, v19
	s_waitcnt vmcnt(0)
	s_barrier
	s_and_saveexec_b64 s[4:5], s[2:3]
; %bb.24:
	ds_read_b32 v8, v5 offset:448
; %bb.25:
	s_or_b64 exec, exec, s[4:5]
	v_xor_b32_e32 v11, 1, v0
	v_cmp_lt_i32_e64 s[4:5], v11, v7
	v_cndmask_b32_e64 v7, v0, v11, s[4:5]
	v_lshlrev_b32_e32 v20, 2, v7
	s_waitcnt lgkmcnt(0)
	ds_bpermute_b32 v7, v20, v8
	v_max_f32_e32 v8, v8, v8
	v_lshlrev_b32_e32 v6, 2, v6
	s_lshl_b32 s4, s16, 5
	s_min_i32 s15, s4, s33
	s_waitcnt lgkmcnt(0)
	v_max_f32_e32 v7, v7, v7
	v_max_f32_e32 v7, v8, v7
	ds_bpermute_b32 v7, v6, v7
	v_cmp_gt_i32_e64 s[4:5], s15, v45
	v_mov_b32_e32 v6, 0
	s_and_saveexec_b64 s[30:31], s[4:5]
	s_cbranch_execz .LBB40_29
; %bb.26:
	v_mov_b32_e32 v6, 0x1d0
	v_lshl_add_u32 v8, v45, 2, v6
	v_mov_b32_e32 v6, 0
	s_mov_b64 s[34:35], 0
	v_mov_b32_e32 v11, v45
.LBB40_27:                              ; =>This Inner Loop Header: Depth=1
	ds_read_b32 v12, v8
	v_add_u32_e32 v11, 0x80, v11
	v_cmp_le_i32_e64 s[6:7], s15, v11
	s_or_b64 s[34:35], s[6:7], s[34:35]
	s_waitcnt lgkmcnt(0)
	v_sub_f32_e32 v12, v12, v7
	v_mul_f32_e32 v12, 0x3fb8aa3b, v12
	v_exp_f32_e32 v12, v12
	ds_write_b32 v8, v12
	v_add_f32_e32 v6, v6, v12
	v_add_u32_e32 v8, 0x200, v8
	s_andn2_b64 exec, exec, s[34:35]
	s_cbranch_execnz .LBB40_27
; %bb.28:
	s_or_b64 exec, exec, s[34:35]
.LBB40_29:
	s_or_b64 exec, exec, s[30:31]
	ds_bpermute_b32 v1, v1, v6
	s_waitcnt lgkmcnt(0)
	v_add_f32_e32 v1, v6, v1
	ds_bpermute_b32 v2, v2, v1
	s_waitcnt lgkmcnt(0)
	v_add_f32_e32 v1, v1, v2
	;; [unrolled: 3-line block ×6, first 2 shown]
	s_and_saveexec_b64 s[6:7], vcc
; %bb.30:
	ds_write_b32 v4, v1 offset:456
; %bb.31:
	s_or_b64 exec, exec, s[6:7]
	s_waitcnt lgkmcnt(0)
	s_barrier
	s_and_saveexec_b64 s[6:7], s[2:3]
; %bb.32:
	ds_read_b32 v1, v5 offset:456
; %bb.33:
	s_or_b64 exec, exec, s[6:7]
	s_waitcnt lgkmcnt(0)
	ds_bpermute_b32 v2, v20, v1
	v_lshlrev_b32_e32 v0, 2, v0
	v_and_b32_e32 v0, 0x100, v0
	s_waitcnt lgkmcnt(0)
	v_add_f32_e32 v1, v1, v2
	ds_bpermute_b32 v0, v0, v1
	s_and_saveexec_b64 s[2:3], s[4:5]
	s_cbranch_execz .LBB40_36
; %bb.34:
	s_waitcnt lgkmcnt(0)
	v_add_f32_e32 v1, 0x358637bd, v0
	v_div_scale_f32 v0, s[4:5], v1, v1, 1.0
	v_div_scale_f32 v2, vcc, 1.0, v1, 1.0
	s_mov_b64 s[4:5], 0
	v_rcp_f32_e32 v3, v0
	v_fma_f32 v4, -v0, v3, 1.0
	v_fmac_f32_e32 v3, v4, v3
	v_mul_f32_e32 v4, v2, v3
	v_fma_f32 v5, -v0, v4, v2
	v_fmac_f32_e32 v4, v5, v3
	v_fma_f32 v0, -v0, v4, v2
	v_div_fmas_f32 v2, v0, v3, v4
	v_mov_b32_e32 v0, 0x1d0
	v_lshl_add_u32 v0, v45, 2, v0
	v_div_fixup_f32 v1, v2, v1, 1.0
	v_mov_b32_e32 v2, v45
.LBB40_35:                              ; =>This Inner Loop Header: Depth=1
	ds_read_b32 v3, v0
	v_add_u32_e32 v2, 0x80, v2
	v_cmp_le_i32_e32 vcc, s15, v2
	s_or_b64 s[4:5], vcc, s[4:5]
	s_waitcnt lgkmcnt(0)
	v_mul_f32_e32 v3, v1, v3
	ds_write_b32 v0, v3
	v_add_u32_e32 v0, 0x200, v0
	s_andn2_b64 exec, exec, s[4:5]
	s_cbranch_execnz .LBB40_35
.LBB40_36:
	s_or_b64 exec, exec, s[2:3]
	v_mov_b32_e32 v4, 0
	s_waitcnt lgkmcnt(0)
	v_and_b32_e32 v0, 7, v45
	v_mov_b32_e32 v7, 0
	v_mov_b32_e32 v5, 0
	;; [unrolled: 1-line block ×13, first 2 shown]
	s_barrier
	buffer_store_dword v0, off, s[48:51], 0 offset:112 ; 4-byte Folded Spill
	s_and_saveexec_b64 s[2:3], s[0:1]
	s_cbranch_execz .LBB40_70
; %bb.37:
	s_ashr_i32 s15, s14, 31
	s_sub_i32 s17, s12, s17
	s_lshl_b64 s[0:1], s[14:15], 2
	s_add_u32 s0, s28, s0
	s_addc_u32 s1, s29, s1
	s_abs_i32 s14, s18
	v_cvt_f32_u32_e32 v0, s14
	s_sub_i32 s4, 0, s14
	v_and_b32_e32 v1, 28, v9
	buffer_store_dword v20, off, s[48:51], 0 offset:132 ; 4-byte Folded Spill
	buffer_store_dword v18, off, s[48:51], 0 offset:128 ; 4-byte Folded Spill
	;; [unrolled: 1-line block ×4, first 2 shown]
	v_rcp_iflag_f32_e32 v0, v0
	buffer_store_dword v1, off, s[48:51], 0 offset:100 ; 4-byte Folded Spill
	v_lshlrev_b32_e32 v1, 4, v45
	v_and_b32_e32 v1, 0x3f0, v1
	v_mul_f32_e32 v0, 0x4f7ffffe, v0
	v_cvt_u32_f32_e32 v0, v0
	s_add_i32 s18, s16, -1
	v_mov_b32_e32 v4, s1
	v_add_co_u32_e32 v1, vcc, s0, v1
	v_mul_lo_u32 v3, s4, v0
	s_lshl_b64 s[0:1], s[26:27], 2
	s_add_u32 s0, s24, s0
	v_and_b32_e32 v2, 60, v10
	v_mul_hi_u32 v3, v0, v3
	buffer_store_dword v1, off, s[48:51], 0 offset:104 ; 4-byte Folded Spill
	v_addc_co_u32_e32 v1, vcc, 0, v4, vcc
	v_add_u32_e32 v0, v0, v3
	s_addc_u32 s1, s25, s1
	buffer_store_dword v0, off, s[48:51], 0 offset:88 ; 4-byte Folded Spill
	v_mov_b32_e32 v0, s1
	v_add_co_u32_e32 v61, vcc, s0, v2
	v_addc_co_u32_e32 v62, vcc, 0, v0, vcc
	buffer_load_dword v0, off, s[48:51], 0 offset:112 ; 4-byte Folded Reload
	s_mov_b32 s15, s13
	buffer_store_dword v1, off, s[48:51], 0 offset:108 ; 4-byte Folded Spill
	buffer_load_dword v1, off, s[48:51], 0  ; 4-byte Folded Reload
	v_mov_b32_e32 v21, 0
	s_mov_b64 s[4:5], 0
	v_mov_b32_e32 v6, 0
	buffer_store_dword v45, off, s[48:51], 0 offset:116 ; 4-byte Folded Spill
	s_waitcnt vmcnt(3)
	v_lshlrev_b32_e32 v0, 4, v0
	s_waitcnt vmcnt(1)
	v_lshl_or_b32 v0, v1, 7, v0
	v_mov_b32_e32 v1, 0
	buffer_store_dword v1, off, s[48:51], 0 offset:40 ; 4-byte Folded Spill
	v_mov_b32_e32 v1, 0
	buffer_store_dword v1, off, s[48:51], 0 offset:44 ; 4-byte Folded Spill
	;; [unrolled: 2-line block ×10, first 2 shown]
	v_mov_b32_e32 v1, 0
	v_add_u32_e32 v0, 0x1d0, v0
	buffer_store_dword v1, off, s[48:51], 0 offset:84 ; 4-byte Folded Spill
	v_mov_b32_e32 v1, 0
	buffer_store_dword v1, off, s[48:51], 0 offset:80 ; 4-byte Folded Spill
	s_branch .LBB40_40
.LBB40_38:                              ;   in Loop: Header=BB40_40 Depth=1
	s_or_b64 exec, exec, s[12:13]
	s_waitcnt vmcnt(4) lgkmcnt(0)
	v_mul_f32_e32 v8, v1, v41
	buffer_load_dword v41, off, s[48:51], 0 offset:40 ; 4-byte Folded Reload
	s_waitcnt vmcnt(2)
	v_mul_f32_e32 v5, v1, v57
	v_fmac_f32_e32 v5, v2, v58
	v_fmac_f32_e32 v5, v3, v59
	v_fmac_f32_e32 v5, v4, v60
	v_mul_f32_e32 v6, v1, v53
	v_fmac_f32_e32 v6, v2, v54
	v_fmac_f32_e32 v6, v3, v55
	v_fmac_f32_e32 v6, v4, v56
	;; [unrolled: 4-line block ×3, first 2 shown]
	v_fmac_f32_e32 v8, v2, v42
	v_fmac_f32_e32 v8, v3, v43
	;; [unrolled: 1-line block ×3, first 2 shown]
	s_waitcnt vmcnt(0)
	v_add_f32_e32 v41, v41, v5
	buffer_load_dword v5, off, s[48:51], 0 offset:44 ; 4-byte Folded Reload
	s_waitcnt vmcnt(0)
	v_add_f32_e32 v5, v5, v6
	buffer_store_dword v5, off, s[48:51], 0 offset:44 ; 4-byte Folded Spill
	buffer_load_dword v5, off, s[48:51], 0 offset:48 ; 4-byte Folded Reload
	s_nop 0
	buffer_load_dword v6, off, s[48:51], 0 offset:56 ; 4-byte Folded Reload
	s_waitcnt vmcnt(1)
	v_add_f32_e32 v5, v5, v7
	buffer_store_dword v5, off, s[48:51], 0 offset:48 ; 4-byte Folded Spill
	buffer_load_dword v5, off, s[48:51], 0 offset:52 ; 4-byte Folded Reload
	s_nop 0
	buffer_load_dword v7, off, s[48:51], 0 offset:76 ; 4-byte Folded Reload
	s_waitcnt vmcnt(1)
	v_add_f32_e32 v5, v5, v8
	buffer_store_dword v5, off, s[48:51], 0 offset:52 ; 4-byte Folded Spill
	v_mul_f32_e32 v5, v1, v37
	v_fmac_f32_e32 v5, v2, v38
	v_fmac_f32_e32 v5, v3, v39
	;; [unrolled: 1-line block ×3, first 2 shown]
	v_add_f32_e32 v6, v6, v5
	buffer_store_dword v6, off, s[48:51], 0 offset:56 ; 4-byte Folded Spill
	buffer_load_dword v6, off, s[48:51], 0 offset:60 ; 4-byte Folded Reload
	v_mul_f32_e32 v5, v1, v33
	v_fmac_f32_e32 v5, v2, v34
	v_fmac_f32_e32 v5, v3, v35
	;; [unrolled: 1-line block ×3, first 2 shown]
	buffer_store_dword v41, off, s[48:51], 0 offset:40 ; 4-byte Folded Spill
	s_waitcnt vmcnt(1)
	v_add_f32_e32 v6, v6, v5
	buffer_store_dword v6, off, s[48:51], 0 offset:60 ; 4-byte Folded Spill
	buffer_load_dword v6, off, s[48:51], 0 offset:64 ; 4-byte Folded Reload
	v_mul_f32_e32 v5, v1, v29
	v_fmac_f32_e32 v5, v2, v30
	v_fmac_f32_e32 v5, v3, v31
	v_fmac_f32_e32 v5, v4, v32
	s_waitcnt vmcnt(0)
	v_add_f32_e32 v6, v6, v5
	buffer_store_dword v6, off, s[48:51], 0 offset:64 ; 4-byte Folded Spill
	buffer_load_dword v6, off, s[48:51], 0 offset:68 ; 4-byte Folded Reload
	v_mul_f32_e32 v5, v1, v25
	v_fmac_f32_e32 v5, v2, v26
	v_fmac_f32_e32 v5, v3, v27
	v_fmac_f32_e32 v5, v4, v28
	;; [unrolled: 8-line block ×4, first 2 shown]
	s_waitcnt vmcnt(0)
	v_add_f32_e32 v6, v6, v5
	v_mul_f32_e32 v5, v1, v13
	v_fmac_f32_e32 v5, v2, v14
	v_fmac_f32_e32 v5, v3, v15
	;; [unrolled: 1-line block ×3, first 2 shown]
	v_add_f32_e32 v7, v7, v5
	buffer_store_dword v7, off, s[48:51], 0 offset:76 ; 4-byte Folded Spill
	buffer_load_dword v7, off, s[48:51], 0 offset:24 ; 4-byte Folded Reload
	s_nop 0
	buffer_load_dword v8, off, s[48:51], 0 offset:28 ; 4-byte Folded Reload
	buffer_load_dword v9, off, s[48:51], 0 offset:32 ; 4-byte Folded Reload
	;; [unrolled: 1-line block ×3, first 2 shown]
	s_waitcnt vmcnt(3)
	v_mul_f32_e32 v5, v1, v7
	buffer_load_dword v7, off, s[48:51], 0 offset:84 ; 4-byte Folded Reload
	s_waitcnt vmcnt(3)
	v_fmac_f32_e32 v5, v2, v8
	s_waitcnt vmcnt(2)
	v_fmac_f32_e32 v5, v3, v9
	;; [unrolled: 2-line block ×3, first 2 shown]
	s_waitcnt vmcnt(0)
	v_add_f32_e32 v7, v7, v5
	buffer_store_dword v7, off, s[48:51], 0 offset:84 ; 4-byte Folded Spill
	buffer_load_dword v7, off, s[48:51], 0 offset:8 ; 4-byte Folded Reload
	s_nop 0
	buffer_load_dword v8, off, s[48:51], 0 offset:12 ; 4-byte Folded Reload
	buffer_load_dword v9, off, s[48:51], 0 offset:16 ; 4-byte Folded Reload
	;; [unrolled: 1-line block ×4, first 2 shown]
	s_waitcnt vmcnt(4)
	v_mul_f32_e32 v5, v1, v7
	buffer_load_dword v7, off, s[48:51], 0 offset:80 ; 4-byte Folded Reload
	v_mul_f32_e32 v1, v1, v49
	s_waitcnt vmcnt(4)
	v_fmac_f32_e32 v5, v2, v8
	v_fmac_f32_e32 v1, v2, v50
	s_waitcnt vmcnt(3)
	v_fmac_f32_e32 v5, v3, v9
	v_fmac_f32_e32 v1, v3, v51
	;; [unrolled: 3-line block ×3, first 2 shown]
	s_waitcnt vmcnt(1)
	v_add_f32_e32 v21, v21, v1
	s_waitcnt vmcnt(0)
	v_add_f32_e32 v7, v7, v5
	buffer_store_dword v7, off, s[48:51], 0 offset:80 ; 4-byte Folded Spill
.LBB40_39:                              ;   in Loop: Header=BB40_40 Depth=1
	s_or_b64 exec, exec, s[6:7]
	buffer_load_dword v1, off, s[48:51], 0  ; 4-byte Folded Reload
	buffer_load_dword v46, off, s[48:51], 0 offset:4 ; 4-byte Folded Reload
	v_add_co_u32_e32 v61, vcc, 8, v61
	v_addc_co_u32_e32 v62, vcc, 0, v62, vcc
	v_add_u32_e32 v0, 0x100, v0
	s_waitcnt vmcnt(1)
	v_add_u32_e32 v1, 2, v1
	v_cmp_le_i32_e32 vcc, s16, v1
	s_waitcnt vmcnt(0)
	v_add_u32_e32 v46, 64, v46
	s_or_b64 s[4:5], vcc, s[4:5]
	buffer_store_dword v1, off, s[48:51], 0 ; 4-byte Folded Spill
	s_andn2_b64 exec, exec, s[4:5]
	s_cbranch_execz .LBB40_69
.LBB40_40:                              ; =>This Inner Loop Header: Depth=1
	buffer_load_dword v4, off, s[48:51], 0 offset:88 ; 4-byte Folded Reload
	v_mul_hi_u32 v1, v46, s40
	buffer_store_dword v46, off, s[48:51], 0 offset:4 ; 4-byte Folded Spill
	v_mul_lo_u32 v2, v1, s21
	v_add_u32_e32 v3, 1, v1
	v_sub_u32_e32 v2, v46, v2
	v_cmp_le_u32_e32 vcc, s21, v2
	v_cndmask_b32_e32 v1, v1, v3, vcc
	v_subrev_u32_e32 v3, s21, v2
	v_cndmask_b32_e32 v2, v2, v3, vcc
	v_add_u32_e32 v3, 1, v1
	v_cmp_le_u32_e32 vcc, s21, v2
	v_cndmask_b32_e32 v1, v1, v3, vcc
	v_xor_b32_e32 v1, s19, v1
	v_subrev_u32_e32 v1, s19, v1
	v_add_u32_e32 v2, s41, v1
	v_sub_u32_e32 v3, 0, v2
	v_max_i32_e32 v3, v2, v3
	v_ashrrev_i32_e32 v2, 31, v2
	v_cmp_lt_i32_e64 s[0:1], s17, v1
	s_waitcnt vmcnt(1)
	v_mul_hi_u32 v4, v3, v4
	v_mul_lo_u32 v4, v4, s14
	v_sub_u32_e32 v3, v3, v4
	v_subrev_u32_e32 v4, s14, v3
	v_cmp_le_u32_e32 vcc, s14, v3
	v_cndmask_b32_e32 v3, v3, v4, vcc
	v_subrev_u32_e32 v4, s14, v3
	v_cmp_le_u32_e32 vcc, s14, v3
	v_cndmask_b32_e32 v3, v3, v4, vcc
	v_xor_b32_e32 v3, v3, v2
	v_sub_u32_e32 v2, v3, v2
	v_cmp_eq_u32_e32 vcc, 0, v2
	s_or_b64 s[0:1], vcc, s[0:1]
	s_and_saveexec_b64 s[6:7], s[0:1]
	s_cbranch_execz .LBB40_39
; %bb.41:                               ;   in Loop: Header=BB40_40 Depth=1
	buffer_store_dword v6, off, s[48:51], 0 offset:96 ; 4-byte Folded Spill
	buffer_store_dword v21, off, s[48:51], 0 offset:92 ; 4-byte Folded Spill
	global_load_dword v1, v[61:62], off
	buffer_load_dword v3, off, s[48:51], 0 offset:104 ; 4-byte Folded Reload
	s_waitcnt vmcnt(1)
	v_mad_i64_i32 v[1:2], s[0:1], v1, s15, 0
	v_lshlrev_b64 v[1:2], 2, v[1:2]
	s_waitcnt vmcnt(0)
	v_add_co_u32_e32 v49, vcc, v3, v1
	buffer_load_dword v1, off, s[48:51], 0 offset:108 ; 4-byte Folded Reload
	s_waitcnt vmcnt(0)
	v_addc_co_u32_e32 v50, vcc, v1, v2, vcc
	global_load_dwordx4 v[1:4], v[49:50], off
	s_waitcnt vmcnt(0)
	buffer_store_dword v1, off, s[48:51], 0 offset:8 ; 4-byte Folded Spill
	s_nop 0
	buffer_store_dword v2, off, s[48:51], 0 offset:12 ; 4-byte Folded Spill
	buffer_store_dword v3, off, s[48:51], 0 offset:16 ; 4-byte Folded Spill
	buffer_store_dword v4, off, s[48:51], 0 offset:20 ; 4-byte Folded Spill
	buffer_load_dword v1, off, s[48:51], 0 offset:4 ; 4-byte Folded Reload
	s_nop 0
	buffer_load_dword v2, off, s[48:51], 0 offset:100 ; 4-byte Folded Reload
	buffer_load_dword v5, off, s[48:51], 0  ; 4-byte Folded Reload
	s_waitcnt vmcnt(1)
	v_add_u32_e32 v7, v2, v1
	ds_read_b128 v[1:4], v0
	s_waitcnt vmcnt(0)
	v_cmp_eq_u32_e64 s[0:1], s18, v5
	v_add_u32_e32 v6, 1, v7
	v_add_u32_e32 v5, 2, v7
	v_mov_b32_e32 v11, v7
	v_add_u32_e32 v63, 3, v7
	s_and_saveexec_b64 s[12:13], s[0:1]
	s_cbranch_execz .LBB40_43
; %bb.42:                               ;   in Loop: Header=BB40_40 Depth=1
	buffer_load_dword v7, off, s[48:51], 0 offset:8 ; 4-byte Folded Reload
	buffer_load_dword v8, off, s[48:51], 0 offset:12 ; 4-byte Folded Reload
	;; [unrolled: 1-line block ×4, first 2 shown]
	v_cmp_gt_i32_e32 vcc, s33, v11
	s_waitcnt vmcnt(3)
	v_cndmask_b32_e32 v7, 0, v7, vcc
	v_cmp_gt_i32_e32 vcc, s33, v6
	s_waitcnt vmcnt(2)
	v_cndmask_b32_e32 v8, 0, v8, vcc
	;; [unrolled: 3-line block ×4, first 2 shown]
	buffer_store_dword v7, off, s[48:51], 0 offset:8 ; 4-byte Folded Spill
	s_nop 0
	buffer_store_dword v8, off, s[48:51], 0 offset:12 ; 4-byte Folded Spill
	buffer_store_dword v9, off, s[48:51], 0 offset:16 ; 4-byte Folded Spill
	;; [unrolled: 1-line block ×3, first 2 shown]
.LBB40_43:                              ;   in Loop: Header=BB40_40 Depth=1
	s_or_b64 exec, exec, s[12:13]
	global_load_dwordx4 v[7:10], v[49:50], off offset:1024
	s_waitcnt vmcnt(0)
	buffer_store_dword v7, off, s[48:51], 0 offset:24 ; 4-byte Folded Spill
	s_nop 0
	buffer_store_dword v8, off, s[48:51], 0 offset:28 ; 4-byte Folded Spill
	buffer_store_dword v9, off, s[48:51], 0 offset:32 ; 4-byte Folded Spill
	;; [unrolled: 1-line block ×3, first 2 shown]
	s_and_saveexec_b64 s[12:13], s[0:1]
	s_cbranch_execnz .LBB40_67
; %bb.44:                               ;   in Loop: Header=BB40_40 Depth=1
	s_or_b64 exec, exec, s[12:13]
	global_load_dwordx4 v[13:16], v[49:50], off offset:2048
	s_and_saveexec_b64 s[12:13], s[0:1]
	s_cbranch_execnz .LBB40_68
.LBB40_45:                              ;   in Loop: Header=BB40_40 Depth=1
	s_or_b64 exec, exec, s[12:13]
	global_load_dwordx4 v[17:20], v[49:50], off offset:3072
	s_and_saveexec_b64 s[12:13], s[0:1]
	s_cbranch_execz .LBB40_47
.LBB40_46:                              ;   in Loop: Header=BB40_40 Depth=1
	v_cmp_gt_i32_e32 vcc, s33, v11
	s_waitcnt vmcnt(0)
	v_cndmask_b32_e32 v17, 0, v17, vcc
	v_cmp_gt_i32_e32 vcc, s33, v6
	v_cndmask_b32_e32 v18, 0, v18, vcc
	v_cmp_gt_i32_e32 vcc, s33, v5
	;; [unrolled: 2-line block ×3, first 2 shown]
	v_cndmask_b32_e32 v20, 0, v20, vcc
.LBB40_47:                              ;   in Loop: Header=BB40_40 Depth=1
	s_or_b64 exec, exec, s[12:13]
	v_add_co_u32_e32 v7, vcc, 0x1000, v49
	v_addc_co_u32_e32 v8, vcc, 0, v50, vcc
	global_load_dwordx4 v[21:24], v[7:8], off
	s_and_saveexec_b64 s[12:13], s[0:1]
	s_cbranch_execz .LBB40_49
; %bb.48:                               ;   in Loop: Header=BB40_40 Depth=1
	v_cmp_gt_i32_e32 vcc, s33, v11
	s_waitcnt vmcnt(0)
	v_cndmask_b32_e32 v21, 0, v21, vcc
	v_cmp_gt_i32_e32 vcc, s33, v6
	v_cndmask_b32_e32 v22, 0, v22, vcc
	v_cmp_gt_i32_e32 vcc, s33, v5
	v_cndmask_b32_e32 v23, 0, v23, vcc
	v_cmp_gt_i32_e32 vcc, s33, v63
	v_cndmask_b32_e32 v24, 0, v24, vcc
.LBB40_49:                              ;   in Loop: Header=BB40_40 Depth=1
	s_or_b64 exec, exec, s[12:13]
	v_add_co_u32_e32 v7, vcc, 0x1000, v49
	v_addc_co_u32_e32 v8, vcc, 0, v50, vcc
	global_load_dwordx4 v[25:28], v[7:8], off offset:1024
	s_and_saveexec_b64 s[12:13], s[0:1]
	s_cbranch_execz .LBB40_51
; %bb.50:                               ;   in Loop: Header=BB40_40 Depth=1
	v_cmp_gt_i32_e32 vcc, s33, v11
	s_waitcnt vmcnt(0)
	v_cndmask_b32_e32 v25, 0, v25, vcc
	v_cmp_gt_i32_e32 vcc, s33, v6
	v_cndmask_b32_e32 v26, 0, v26, vcc
	v_cmp_gt_i32_e32 vcc, s33, v5
	v_cndmask_b32_e32 v27, 0, v27, vcc
	v_cmp_gt_i32_e32 vcc, s33, v63
	v_cndmask_b32_e32 v28, 0, v28, vcc
.LBB40_51:                              ;   in Loop: Header=BB40_40 Depth=1
	s_or_b64 exec, exec, s[12:13]
	v_add_co_u32_e32 v7, vcc, 0x1000, v49
	v_addc_co_u32_e32 v8, vcc, 0, v50, vcc
	global_load_dwordx4 v[29:32], v[7:8], off offset:2048
	;; [unrolled: 17-line block ×3, first 2 shown]
	s_and_saveexec_b64 s[12:13], s[0:1]
	s_cbranch_execz .LBB40_55
; %bb.54:                               ;   in Loop: Header=BB40_40 Depth=1
	v_cmp_gt_i32_e32 vcc, s33, v11
	s_waitcnt vmcnt(0)
	v_cndmask_b32_e32 v33, 0, v33, vcc
	v_cmp_gt_i32_e32 vcc, s33, v6
	v_cndmask_b32_e32 v34, 0, v34, vcc
	v_cmp_gt_i32_e32 vcc, s33, v5
	;; [unrolled: 2-line block ×3, first 2 shown]
	v_cndmask_b32_e32 v36, 0, v36, vcc
.LBB40_55:                              ;   in Loop: Header=BB40_40 Depth=1
	s_or_b64 exec, exec, s[12:13]
	v_add_co_u32_e32 v7, vcc, 0x2000, v49
	v_addc_co_u32_e32 v8, vcc, 0, v50, vcc
	global_load_dwordx4 v[37:40], v[7:8], off
	s_and_saveexec_b64 s[12:13], s[0:1]
	s_cbranch_execz .LBB40_57
; %bb.56:                               ;   in Loop: Header=BB40_40 Depth=1
	v_cmp_gt_i32_e32 vcc, s33, v11
	s_waitcnt vmcnt(0)
	v_cndmask_b32_e32 v37, 0, v37, vcc
	v_cmp_gt_i32_e32 vcc, s33, v6
	v_cndmask_b32_e32 v38, 0, v38, vcc
	v_cmp_gt_i32_e32 vcc, s33, v5
	v_cndmask_b32_e32 v39, 0, v39, vcc
	v_cmp_gt_i32_e32 vcc, s33, v63
	v_cndmask_b32_e32 v40, 0, v40, vcc
.LBB40_57:                              ;   in Loop: Header=BB40_40 Depth=1
	s_or_b64 exec, exec, s[12:13]
	v_add_co_u32_e32 v7, vcc, 0x2000, v49
	v_addc_co_u32_e32 v8, vcc, 0, v50, vcc
	global_load_dwordx4 v[41:44], v[7:8], off offset:1024
	s_and_saveexec_b64 s[12:13], s[0:1]
	s_cbranch_execz .LBB40_59
; %bb.58:                               ;   in Loop: Header=BB40_40 Depth=1
	v_cmp_gt_i32_e32 vcc, s33, v11
	s_waitcnt vmcnt(0)
	v_cndmask_b32_e32 v41, 0, v41, vcc
	v_cmp_gt_i32_e32 vcc, s33, v6
	v_cndmask_b32_e32 v42, 0, v42, vcc
	v_cmp_gt_i32_e32 vcc, s33, v5
	v_cndmask_b32_e32 v43, 0, v43, vcc
	v_cmp_gt_i32_e32 vcc, s33, v63
	v_cndmask_b32_e32 v44, 0, v44, vcc
.LBB40_59:                              ;   in Loop: Header=BB40_40 Depth=1
	s_or_b64 exec, exec, s[12:13]
	v_add_co_u32_e32 v7, vcc, 0x2000, v49
	v_addc_co_u32_e32 v8, vcc, 0, v50, vcc
	global_load_dwordx4 v[45:48], v[7:8], off offset:2048
	;; [unrolled: 17-line block ×3, first 2 shown]
	s_and_saveexec_b64 s[12:13], s[0:1]
	s_cbranch_execz .LBB40_63
; %bb.62:                               ;   in Loop: Header=BB40_40 Depth=1
	v_cmp_gt_i32_e32 vcc, s33, v11
	s_waitcnt vmcnt(0)
	v_cndmask_b32_e32 v53, 0, v53, vcc
	v_cmp_gt_i32_e32 vcc, s33, v6
	v_cndmask_b32_e32 v54, 0, v54, vcc
	v_cmp_gt_i32_e32 vcc, s33, v5
	;; [unrolled: 2-line block ×3, first 2 shown]
	v_cndmask_b32_e32 v56, 0, v56, vcc
.LBB40_63:                              ;   in Loop: Header=BB40_40 Depth=1
	s_or_b64 exec, exec, s[12:13]
	v_add_co_u32_e32 v7, vcc, 0x3000, v49
	v_addc_co_u32_e32 v8, vcc, 0, v50, vcc
	global_load_dwordx4 v[57:60], v[7:8], off
	s_and_saveexec_b64 s[12:13], s[0:1]
	s_cbranch_execz .LBB40_65
; %bb.64:                               ;   in Loop: Header=BB40_40 Depth=1
	v_cmp_gt_i32_e32 vcc, s33, v11
	s_waitcnt vmcnt(0)
	v_cndmask_b32_e32 v57, 0, v57, vcc
	v_cmp_gt_i32_e32 vcc, s33, v6
	v_cndmask_b32_e32 v58, 0, v58, vcc
	v_cmp_gt_i32_e32 vcc, s33, v5
	;; [unrolled: 2-line block ×3, first 2 shown]
	v_cndmask_b32_e32 v60, 0, v60, vcc
.LBB40_65:                              ;   in Loop: Header=BB40_40 Depth=1
	s_or_b64 exec, exec, s[12:13]
	v_add_co_u32_e32 v7, vcc, 0x3000, v49
	v_addc_co_u32_e32 v8, vcc, 0, v50, vcc
	global_load_dwordx4 v[49:52], v[7:8], off offset:1024
	s_and_saveexec_b64 s[12:13], s[0:1]
	s_cbranch_execz .LBB40_38
; %bb.66:                               ;   in Loop: Header=BB40_40 Depth=1
	v_cmp_gt_i32_e32 vcc, s33, v11
	s_waitcnt vmcnt(0)
	v_cndmask_b32_e32 v49, 0, v49, vcc
	v_cmp_gt_i32_e32 vcc, s33, v6
	v_cndmask_b32_e32 v50, 0, v50, vcc
	v_cmp_gt_i32_e32 vcc, s33, v5
	;; [unrolled: 2-line block ×3, first 2 shown]
	v_cndmask_b32_e32 v52, 0, v52, vcc
	s_branch .LBB40_38
.LBB40_67:                              ;   in Loop: Header=BB40_40 Depth=1
	buffer_load_dword v7, off, s[48:51], 0 offset:24 ; 4-byte Folded Reload
	buffer_load_dword v8, off, s[48:51], 0 offset:28 ; 4-byte Folded Reload
	;; [unrolled: 1-line block ×4, first 2 shown]
	v_cmp_gt_i32_e32 vcc, s33, v11
	s_waitcnt vmcnt(3)
	v_cndmask_b32_e32 v7, 0, v7, vcc
	v_cmp_gt_i32_e32 vcc, s33, v6
	s_waitcnt vmcnt(2)
	v_cndmask_b32_e32 v8, 0, v8, vcc
	;; [unrolled: 3-line block ×4, first 2 shown]
	buffer_store_dword v7, off, s[48:51], 0 offset:24 ; 4-byte Folded Spill
	s_nop 0
	buffer_store_dword v8, off, s[48:51], 0 offset:28 ; 4-byte Folded Spill
	buffer_store_dword v9, off, s[48:51], 0 offset:32 ; 4-byte Folded Spill
	;; [unrolled: 1-line block ×3, first 2 shown]
	s_or_b64 exec, exec, s[12:13]
	global_load_dwordx4 v[13:16], v[49:50], off offset:2048
	s_and_saveexec_b64 s[12:13], s[0:1]
	s_cbranch_execz .LBB40_45
.LBB40_68:                              ;   in Loop: Header=BB40_40 Depth=1
	v_cmp_gt_i32_e32 vcc, s33, v11
	s_waitcnt vmcnt(0)
	v_cndmask_b32_e32 v13, 0, v13, vcc
	v_cmp_gt_i32_e32 vcc, s33, v6
	v_cndmask_b32_e32 v14, 0, v14, vcc
	v_cmp_gt_i32_e32 vcc, s33, v5
	;; [unrolled: 2-line block ×3, first 2 shown]
	v_cndmask_b32_e32 v16, 0, v16, vcc
	s_or_b64 exec, exec, s[12:13]
	global_load_dwordx4 v[17:20], v[49:50], off offset:3072
	s_and_saveexec_b64 s[12:13], s[0:1]
	s_cbranch_execnz .LBB40_46
	s_branch .LBB40_47
.LBB40_69:
	s_or_b64 exec, exec, s[4:5]
	buffer_load_dword v45, off, s[48:51], 0 offset:116 ; 4-byte Folded Reload
	buffer_load_dword v19, off, s[48:51], 0 offset:120 ; 4-byte Folded Reload
	;; [unrolled: 1-line block ×17, first 2 shown]
.LBB40_70:
	s_or_b64 exec, exec, s[2:3]
	s_waitcnt vmcnt(0)
	ds_bpermute_b32 v1, v15, v7
	ds_bpermute_b32 v0, v15, v4
	;; [unrolled: 1-line block ×4, first 2 shown]
	v_mov_b32_e32 v9, v6
	s_waitcnt lgkmcnt(3)
	v_add_f32_e32 v1, v7, v1
	s_waitcnt lgkmcnt(2)
	v_add_f32_e32 v0, v4, v0
	;; [unrolled: 2-line block ×3, first 2 shown]
	ds_bpermute_b32 v5, v18, v1
	ds_bpermute_b32 v4, v18, v0
	;; [unrolled: 1-line block ×4, first 2 shown]
	s_waitcnt lgkmcnt(4)
	v_add_f32_e32 v3, v9, v3
	s_waitcnt lgkmcnt(3)
	v_add_f32_e32 v1, v1, v5
	;; [unrolled: 2-line block ×3, first 2 shown]
	ds_bpermute_b32 v5, v20, v1
	ds_bpermute_b32 v4, v20, v0
	s_waitcnt lgkmcnt(2)
	v_add_f32_e32 v2, v2, v6
	ds_bpermute_b32 v6, v20, v2
	s_waitcnt lgkmcnt(0)
	v_add_f32_e32 v1, v1, v5
	v_add_f32_e32 v5, v8, v7
	;; [unrolled: 1-line block ×3, first 2 shown]
	ds_bpermute_b32 v4, v18, v3
	ds_bpermute_b32 v7, v18, v5
	v_add_f32_e32 v2, v2, v6
	s_waitcnt lgkmcnt(0)
	s_barrier
	v_add_f32_e32 v3, v3, v4
	v_add_f32_e32 v5, v5, v7
	ds_bpermute_b32 v4, v15, v23
	ds_bpermute_b32 v6, v20, v3
	ds_bpermute_b32 v7, v15, v13
	ds_bpermute_b32 v8, v20, v5
	s_waitcnt lgkmcnt(3)
	v_add_f32_e32 v9, v23, v4
	s_waitcnt lgkmcnt(2)
	v_add_f32_e32 v3, v3, v6
	;; [unrolled: 2-line block ×4, first 2 shown]
	ds_bpermute_b32 v8, v15, v11
	ds_bpermute_b32 v10, v18, v9
	;; [unrolled: 1-line block ×3, first 2 shown]
	s_waitcnt lgkmcnt(2)
	v_add_f32_e32 v8, v11, v8
	s_waitcnt lgkmcnt(1)
	v_add_f32_e32 v5, v9, v10
	;; [unrolled: 2-line block ×3, first 2 shown]
	ds_bpermute_b32 v7, v15, v12
	ds_bpermute_b32 v11, v18, v8
	;; [unrolled: 1-line block ×4, first 2 shown]
	s_waitcnt lgkmcnt(3)
	v_add_f32_e32 v7, v12, v7
	s_waitcnt lgkmcnt(2)
	v_add_f32_e32 v8, v8, v11
	s_waitcnt lgkmcnt(1)
	v_add_f32_e32 v5, v5, v9
	ds_bpermute_b32 v9, v18, v7
	ds_bpermute_b32 v11, v20, v8
	;; [unrolled: 1-line block ×3, first 2 shown]
	s_waitcnt lgkmcnt(3)
	v_add_f32_e32 v6, v6, v10
	ds_bpermute_b32 v10, v15, v14
	s_waitcnt lgkmcnt(3)
	v_add_f32_e32 v9, v7, v9
	s_waitcnt lgkmcnt(2)
	v_add_f32_e32 v7, v8, v11
	;; [unrolled: 2-line block ×3, first 2 shown]
	ds_bpermute_b32 v13, v20, v9
	ds_bpermute_b32 v12, v18, v11
	s_waitcnt lgkmcnt(2)
	v_add_f32_e32 v10, v14, v10
	ds_bpermute_b32 v14, v18, v10
	s_waitcnt lgkmcnt(2)
	v_add_f32_e32 v8, v9, v13
	;; [unrolled: 3-line block ×3, first 2 shown]
	ds_bpermute_b32 v12, v15, v17
	ds_bpermute_b32 v15, v15, v21
	s_waitcnt lgkmcnt(3)
	v_add_f32_e32 v9, v10, v14
	s_waitcnt lgkmcnt(2)
	v_add_f32_e32 v13, v16, v13
	ds_bpermute_b32 v16, v18, v13
	s_waitcnt lgkmcnt(2)
	v_add_f32_e32 v12, v17, v12
	s_waitcnt lgkmcnt(1)
	v_add_f32_e32 v15, v21, v15
	ds_bpermute_b32 v17, v18, v12
	ds_bpermute_b32 v18, v18, v15
	s_waitcnt lgkmcnt(2)
	v_add_f32_e32 v13, v13, v16
	ds_bpermute_b32 v10, v20, v9
	ds_bpermute_b32 v14, v20, v11
	;; [unrolled: 1-line block ×3, first 2 shown]
	s_waitcnt lgkmcnt(3)
	v_add_f32_e32 v15, v15, v18
	v_add_f32_e32 v12, v12, v17
	ds_bpermute_b32 v18, v20, v15
	ds_bpermute_b32 v17, v20, v12
	s_waitcnt lgkmcnt(4)
	v_add_f32_e32 v9, v9, v10
	s_waitcnt lgkmcnt(3)
	v_add_f32_e32 v10, v11, v14
	;; [unrolled: 2-line block ×4, first 2 shown]
	v_and_b32_e32 v15, 0x3c7, v45
	s_waitcnt lgkmcnt(0)
	v_add_f32_e32 v12, v12, v17
	v_cmp_eq_u32_e32 vcc, 64, v15
	s_and_saveexec_b64 s[0:1], vcc
	s_cbranch_execz .LBB40_72
; %bb.71:
	v_lshrrev_b32_e32 v14, 1, v19
	v_add_u32_e32 v14, 0x1d0, v14
	ds_write2_b32 v14, v0, v1 offset1:8
	ds_write2_b32 v14, v2, v3 offset0:16 offset1:24
	ds_write2_b32 v14, v4, v5 offset0:32 offset1:40
	;; [unrolled: 1-line block ×6, first 2 shown]
.LBB40_72:
	s_or_b64 exec, exec, s[0:1]
	v_cmp_gt_u32_e32 vcc, 64, v45
	v_lshrrev_b32_e32 v14, 3, v45
	s_waitcnt lgkmcnt(0)
	s_barrier
	s_and_saveexec_b64 s[0:1], vcc
	s_cbranch_execz .LBB40_89
; %bb.73:
	buffer_load_dword v16, off, s[48:51], 0 offset:112 ; 4-byte Folded Reload
	s_waitcnt vmcnt(0)
	v_cmp_eq_u32_e32 vcc, 0, v16
	v_mov_b32_e32 v16, 0x1d0
	v_lshl_add_u32 v16, v14, 2, v16
	s_and_saveexec_b64 s[2:3], vcc
	s_cbranch_execnz .LBB40_92
; %bb.74:
	s_or_b64 exec, exec, s[2:3]
	s_and_saveexec_b64 s[2:3], vcc
	s_cbranch_execnz .LBB40_93
.LBB40_75:
	s_or_b64 exec, exec, s[2:3]
	s_and_saveexec_b64 s[2:3], vcc
	s_cbranch_execnz .LBB40_94
.LBB40_76:
	s_or_b64 exec, exec, s[2:3]
	s_and_saveexec_b64 s[2:3], vcc
	s_cbranch_execnz .LBB40_95
.LBB40_77:
	s_or_b64 exec, exec, s[2:3]
	s_and_saveexec_b64 s[2:3], vcc
	s_cbranch_execnz .LBB40_96
.LBB40_78:
	s_or_b64 exec, exec, s[2:3]
	s_and_saveexec_b64 s[2:3], vcc
	s_cbranch_execnz .LBB40_97
.LBB40_79:
	s_or_b64 exec, exec, s[2:3]
	s_and_saveexec_b64 s[2:3], vcc
	s_cbranch_execnz .LBB40_98
.LBB40_80:
	s_or_b64 exec, exec, s[2:3]
	s_and_saveexec_b64 s[2:3], vcc
	s_cbranch_execnz .LBB40_99
.LBB40_81:
	s_or_b64 exec, exec, s[2:3]
	s_and_saveexec_b64 s[2:3], vcc
	s_cbranch_execnz .LBB40_100
.LBB40_82:
	s_or_b64 exec, exec, s[2:3]
	s_and_saveexec_b64 s[2:3], vcc
	s_cbranch_execnz .LBB40_101
.LBB40_83:
	s_or_b64 exec, exec, s[2:3]
	s_and_saveexec_b64 s[2:3], vcc
	s_cbranch_execnz .LBB40_102
.LBB40_84:
	s_or_b64 exec, exec, s[2:3]
	s_and_saveexec_b64 s[2:3], vcc
	s_cbranch_execnz .LBB40_103
.LBB40_85:
	s_or_b64 exec, exec, s[2:3]
	s_and_saveexec_b64 s[2:3], vcc
	s_cbranch_execnz .LBB40_104
.LBB40_86:
	s_or_b64 exec, exec, s[2:3]
	s_and_saveexec_b64 s[2:3], vcc
	s_cbranch_execz .LBB40_88
.LBB40_87:
	ds_read_b32 v16, v16 offset:416
	s_waitcnt lgkmcnt(0)
	v_add_f32_e32 v13, v13, v16
.LBB40_88:
	s_or_b64 exec, exec, s[2:3]
.LBB40_89:
	s_or_b64 exec, exec, s[0:1]
	v_cmp_eq_u32_e32 vcc, 0, v15
	s_barrier
	s_and_saveexec_b64 s[0:1], vcc
	s_cbranch_execz .LBB40_91
; %bb.90:
	s_mul_i32 s0, s10, s11
	s_mul_i32 s0, s0, s9
	s_mulk_i32 s0, 0x70
	s_ashr_i32 s1, s0, 31
	s_lshl_b64 s[0:1], s[0:1], 2
	s_add_u32 s2, s22, s0
	s_mul_i32 s0, s11, s20
	s_addc_u32 s3, s23, s1
	s_ashr_i32 s1, s0, 31
	s_lshl_b64 s[0:1], s[0:1], 2
	s_add_u32 s2, s2, s0
	s_mul_i32 s0, s8, 0x70
	s_addc_u32 s3, s3, s1
	s_ashr_i32 s1, s0, 31
	s_lshl_b64 s[0:1], s[0:1], 2
	s_add_u32 s0, s2, s0
	s_addc_u32 s1, s3, s1
	v_lshlrev_b32_e32 v14, 2, v14
	global_store_dword v14, v0, s[0:1]
	global_store_dword v14, v1, s[0:1] offset:32
	global_store_dword v14, v2, s[0:1] offset:64
	;; [unrolled: 1-line block ×13, first 2 shown]
.LBB40_91:
	s_endpgm
.LBB40_92:
	ds_read_b32 v17, v16
	s_waitcnt lgkmcnt(0)
	v_add_f32_e32 v0, v0, v17
	s_or_b64 exec, exec, s[2:3]
	s_and_saveexec_b64 s[2:3], vcc
	s_cbranch_execz .LBB40_75
.LBB40_93:
	ds_read_b32 v17, v16 offset:32
	s_waitcnt lgkmcnt(0)
	v_add_f32_e32 v1, v1, v17
	s_or_b64 exec, exec, s[2:3]
	s_and_saveexec_b64 s[2:3], vcc
	s_cbranch_execz .LBB40_76
.LBB40_94:
	ds_read_b32 v17, v16 offset:64
	s_waitcnt lgkmcnt(0)
	v_add_f32_e32 v2, v2, v17
	s_or_b64 exec, exec, s[2:3]
	s_and_saveexec_b64 s[2:3], vcc
	s_cbranch_execz .LBB40_77
.LBB40_95:
	ds_read_b32 v17, v16 offset:96
	s_waitcnt lgkmcnt(0)
	v_add_f32_e32 v3, v3, v17
	s_or_b64 exec, exec, s[2:3]
	s_and_saveexec_b64 s[2:3], vcc
	s_cbranch_execz .LBB40_78
.LBB40_96:
	ds_read_b32 v17, v16 offset:128
	s_waitcnt lgkmcnt(0)
	v_add_f32_e32 v4, v4, v17
	s_or_b64 exec, exec, s[2:3]
	s_and_saveexec_b64 s[2:3], vcc
	s_cbranch_execz .LBB40_79
.LBB40_97:
	ds_read_b32 v17, v16 offset:160
	s_waitcnt lgkmcnt(0)
	v_add_f32_e32 v5, v5, v17
	s_or_b64 exec, exec, s[2:3]
	s_and_saveexec_b64 s[2:3], vcc
	s_cbranch_execz .LBB40_80
.LBB40_98:
	ds_read_b32 v17, v16 offset:192
	s_waitcnt lgkmcnt(0)
	v_add_f32_e32 v6, v6, v17
	s_or_b64 exec, exec, s[2:3]
	s_and_saveexec_b64 s[2:3], vcc
	s_cbranch_execz .LBB40_81
.LBB40_99:
	ds_read_b32 v17, v16 offset:224
	s_waitcnt lgkmcnt(0)
	v_add_f32_e32 v7, v7, v17
	s_or_b64 exec, exec, s[2:3]
	s_and_saveexec_b64 s[2:3], vcc
	s_cbranch_execz .LBB40_82
.LBB40_100:
	ds_read_b32 v17, v16 offset:256
	s_waitcnt lgkmcnt(0)
	v_add_f32_e32 v8, v8, v17
	s_or_b64 exec, exec, s[2:3]
	s_and_saveexec_b64 s[2:3], vcc
	s_cbranch_execz .LBB40_83
.LBB40_101:
	ds_read_b32 v17, v16 offset:288
	s_waitcnt lgkmcnt(0)
	v_add_f32_e32 v9, v9, v17
	s_or_b64 exec, exec, s[2:3]
	s_and_saveexec_b64 s[2:3], vcc
	s_cbranch_execz .LBB40_84
.LBB40_102:
	ds_read_b32 v17, v16 offset:320
	s_waitcnt lgkmcnt(0)
	v_add_f32_e32 v10, v10, v17
	s_or_b64 exec, exec, s[2:3]
	s_and_saveexec_b64 s[2:3], vcc
	s_cbranch_execz .LBB40_85
.LBB40_103:
	ds_read_b32 v17, v16 offset:352
	s_waitcnt lgkmcnt(0)
	v_add_f32_e32 v11, v11, v17
	s_or_b64 exec, exec, s[2:3]
	s_and_saveexec_b64 s[2:3], vcc
	s_cbranch_execz .LBB40_86
.LBB40_104:
	ds_read_b32 v17, v16 offset:384
	s_waitcnt lgkmcnt(0)
	v_add_f32_e32 v12, v12, v17
	s_or_b64 exec, exec, s[2:3]
	s_and_saveexec_b64 s[2:3], vcc
	s_cbranch_execnz .LBB40_87
	s_branch .LBB40_88
	.section	.rodata,"a",@progbits
	.p2align	6, 0x0
	.amdhsa_kernel _ZN4vllm25paged_attention_v1_kernelIffLi112ELi32ELi128ELNS_18Fp8KVCacheDataTypeE0ELb1EEEvPT_PKS2_PKT0_S8_ifPKiSA_iPKfiiiSC_SC_iiiii
		.amdhsa_group_segment_fixed_size 464
		.amdhsa_private_segment_fixed_size 140
		.amdhsa_kernarg_size 384
		.amdhsa_user_sgpr_count 6
		.amdhsa_user_sgpr_private_segment_buffer 1
		.amdhsa_user_sgpr_dispatch_ptr 0
		.amdhsa_user_sgpr_queue_ptr 0
		.amdhsa_user_sgpr_kernarg_segment_ptr 1
		.amdhsa_user_sgpr_dispatch_id 0
		.amdhsa_user_sgpr_flat_scratch_init 0
		.amdhsa_user_sgpr_private_segment_size 0
		.amdhsa_uses_dynamic_stack 0
		.amdhsa_system_sgpr_private_segment_wavefront_offset 1
		.amdhsa_system_sgpr_workgroup_id_x 1
		.amdhsa_system_sgpr_workgroup_id_y 1
		.amdhsa_system_sgpr_workgroup_id_z 1
		.amdhsa_system_sgpr_workgroup_info 0
		.amdhsa_system_vgpr_workitem_id 0
		.amdhsa_next_free_vgpr 64
		.amdhsa_next_free_sgpr 52
		.amdhsa_reserve_vcc 1
		.amdhsa_reserve_flat_scratch 0
		.amdhsa_float_round_mode_32 0
		.amdhsa_float_round_mode_16_64 0
		.amdhsa_float_denorm_mode_32 3
		.amdhsa_float_denorm_mode_16_64 3
		.amdhsa_dx10_clamp 1
		.amdhsa_ieee_mode 1
		.amdhsa_fp16_overflow 0
		.amdhsa_exception_fp_ieee_invalid_op 0
		.amdhsa_exception_fp_denorm_src 0
		.amdhsa_exception_fp_ieee_div_zero 0
		.amdhsa_exception_fp_ieee_overflow 0
		.amdhsa_exception_fp_ieee_underflow 0
		.amdhsa_exception_fp_ieee_inexact 0
		.amdhsa_exception_int_div_zero 0
	.end_amdhsa_kernel
	.section	.text._ZN4vllm25paged_attention_v1_kernelIffLi112ELi32ELi128ELNS_18Fp8KVCacheDataTypeE0ELb1EEEvPT_PKS2_PKT0_S8_ifPKiSA_iPKfiiiSC_SC_iiiii,"axG",@progbits,_ZN4vllm25paged_attention_v1_kernelIffLi112ELi32ELi128ELNS_18Fp8KVCacheDataTypeE0ELb1EEEvPT_PKS2_PKT0_S8_ifPKiSA_iPKfiiiSC_SC_iiiii,comdat
.Lfunc_end40:
	.size	_ZN4vllm25paged_attention_v1_kernelIffLi112ELi32ELi128ELNS_18Fp8KVCacheDataTypeE0ELb1EEEvPT_PKS2_PKT0_S8_ifPKiSA_iPKfiiiSC_SC_iiiii, .Lfunc_end40-_ZN4vllm25paged_attention_v1_kernelIffLi112ELi32ELi128ELNS_18Fp8KVCacheDataTypeE0ELb1EEEvPT_PKS2_PKT0_S8_ifPKiSA_iPKfiiiSC_SC_iiiii
                                        ; -- End function
	.set _ZN4vllm25paged_attention_v1_kernelIffLi112ELi32ELi128ELNS_18Fp8KVCacheDataTypeE0ELb1EEEvPT_PKS2_PKT0_S8_ifPKiSA_iPKfiiiSC_SC_iiiii.num_vgpr, 64
	.set _ZN4vllm25paged_attention_v1_kernelIffLi112ELi32ELi128ELNS_18Fp8KVCacheDataTypeE0ELb1EEEvPT_PKS2_PKT0_S8_ifPKiSA_iPKfiiiSC_SC_iiiii.num_agpr, 0
	.set _ZN4vllm25paged_attention_v1_kernelIffLi112ELi32ELi128ELNS_18Fp8KVCacheDataTypeE0ELb1EEEvPT_PKS2_PKT0_S8_ifPKiSA_iPKfiiiSC_SC_iiiii.numbered_sgpr, 52
	.set _ZN4vllm25paged_attention_v1_kernelIffLi112ELi32ELi128ELNS_18Fp8KVCacheDataTypeE0ELb1EEEvPT_PKS2_PKT0_S8_ifPKiSA_iPKfiiiSC_SC_iiiii.num_named_barrier, 0
	.set _ZN4vllm25paged_attention_v1_kernelIffLi112ELi32ELi128ELNS_18Fp8KVCacheDataTypeE0ELb1EEEvPT_PKS2_PKT0_S8_ifPKiSA_iPKfiiiSC_SC_iiiii.private_seg_size, 140
	.set _ZN4vllm25paged_attention_v1_kernelIffLi112ELi32ELi128ELNS_18Fp8KVCacheDataTypeE0ELb1EEEvPT_PKS2_PKT0_S8_ifPKiSA_iPKfiiiSC_SC_iiiii.uses_vcc, 1
	.set _ZN4vllm25paged_attention_v1_kernelIffLi112ELi32ELi128ELNS_18Fp8KVCacheDataTypeE0ELb1EEEvPT_PKS2_PKT0_S8_ifPKiSA_iPKfiiiSC_SC_iiiii.uses_flat_scratch, 0
	.set _ZN4vllm25paged_attention_v1_kernelIffLi112ELi32ELi128ELNS_18Fp8KVCacheDataTypeE0ELb1EEEvPT_PKS2_PKT0_S8_ifPKiSA_iPKfiiiSC_SC_iiiii.has_dyn_sized_stack, 0
	.set _ZN4vllm25paged_attention_v1_kernelIffLi112ELi32ELi128ELNS_18Fp8KVCacheDataTypeE0ELb1EEEvPT_PKS2_PKT0_S8_ifPKiSA_iPKfiiiSC_SC_iiiii.has_recursion, 0
	.set _ZN4vllm25paged_attention_v1_kernelIffLi112ELi32ELi128ELNS_18Fp8KVCacheDataTypeE0ELb1EEEvPT_PKS2_PKT0_S8_ifPKiSA_iPKfiiiSC_SC_iiiii.has_indirect_call, 0
	.section	.AMDGPU.csdata,"",@progbits
; Kernel info:
; codeLenInByte = 7576
; TotalNumSgprs: 56
; NumVgprs: 64
; ScratchSize: 140
; MemoryBound: 0
; FloatMode: 240
; IeeeMode: 1
; LDSByteSize: 464 bytes/workgroup (compile time only)
; SGPRBlocks: 6
; VGPRBlocks: 15
; NumSGPRsForWavesPerEU: 56
; NumVGPRsForWavesPerEU: 64
; Occupancy: 4
; WaveLimiterHint : 1
; COMPUTE_PGM_RSRC2:SCRATCH_EN: 1
; COMPUTE_PGM_RSRC2:USER_SGPR: 6
; COMPUTE_PGM_RSRC2:TRAP_HANDLER: 0
; COMPUTE_PGM_RSRC2:TGID_X_EN: 1
; COMPUTE_PGM_RSRC2:TGID_Y_EN: 1
; COMPUTE_PGM_RSRC2:TGID_Z_EN: 1
; COMPUTE_PGM_RSRC2:TIDIG_COMP_CNT: 0
	.section	.text._ZN4vllm25paged_attention_v1_kernelIffLi120ELi32ELi128ELNS_18Fp8KVCacheDataTypeE0ELb1EEEvPT_PKS2_PKT0_S8_ifPKiSA_iPKfiiiSC_SC_iiiii,"axG",@progbits,_ZN4vllm25paged_attention_v1_kernelIffLi120ELi32ELi128ELNS_18Fp8KVCacheDataTypeE0ELb1EEEvPT_PKS2_PKT0_S8_ifPKiSA_iPKfiiiSC_SC_iiiii,comdat
	.protected	_ZN4vllm25paged_attention_v1_kernelIffLi120ELi32ELi128ELNS_18Fp8KVCacheDataTypeE0ELb1EEEvPT_PKS2_PKT0_S8_ifPKiSA_iPKfiiiSC_SC_iiiii ; -- Begin function _ZN4vllm25paged_attention_v1_kernelIffLi120ELi32ELi128ELNS_18Fp8KVCacheDataTypeE0ELb1EEEvPT_PKS2_PKT0_S8_ifPKiSA_iPKfiiiSC_SC_iiiii
	.globl	_ZN4vllm25paged_attention_v1_kernelIffLi120ELi32ELi128ELNS_18Fp8KVCacheDataTypeE0ELb1EEEvPT_PKS2_PKT0_S8_ifPKiSA_iPKfiiiSC_SC_iiiii
	.p2align	8
	.type	_ZN4vllm25paged_attention_v1_kernelIffLi120ELi32ELi128ELNS_18Fp8KVCacheDataTypeE0ELb1EEEvPT_PKS2_PKT0_S8_ifPKiSA_iPKfiiiSC_SC_iiiii,@function
_ZN4vllm25paged_attention_v1_kernelIffLi120ELi32ELi128ELNS_18Fp8KVCacheDataTypeE0ELb1EEEvPT_PKS2_PKT0_S8_ifPKiSA_iPKfiiiSC_SC_iiiii: ; @_ZN4vllm25paged_attention_v1_kernelIffLi120ELi32ELi128ELNS_18Fp8KVCacheDataTypeE0ELb1EEEvPT_PKS2_PKT0_S8_ifPKiSA_iPKfiiiSC_SC_iiiii
; %bb.0:
	s_mov_b64 s[50:51], s[2:3]
	s_mov_b64 s[48:49], s[0:1]
	s_add_u32 s48, s48, s9
	s_load_dword s9, s[4:5], 0x80
	s_load_dwordx2 s[0:1], s[4:5], 0x30
	s_load_dwordx2 s[30:31], s[4:5], 0x20
	s_addc_u32 s49, s49, 0
	s_mov_b32 s10, s7
	s_ashr_i32 s11, s7, 31
	s_lshl_b64 s[2:3], s[10:11], 2
	s_waitcnt lgkmcnt(0)
	s_add_u32 s0, s0, s2
	s_addc_u32 s1, s1, s3
	s_abs_i32 s2, s30
	v_mov_b32_e32 v47, v0
	v_cvt_f32_u32_e32 v0, s2
	s_sub_i32 s11, 0, s2
	s_abs_i32 s7, s9
	s_xor_b32 s3, s9, s30
	v_rcp_iflag_f32_e32 v0, v0
	s_ashr_i32 s3, s3, 31
	s_mov_b32 s42, 0
	v_mul_f32_e32 v0, 0x4f7ffffe, v0
	v_cvt_u32_f32_e32 v0, v0
	v_readfirstlane_b32 s12, v0
	s_mul_i32 s11, s11, s12
	s_mul_hi_u32 s11, s12, s11
	s_add_i32 s12, s12, s11
	s_mul_hi_u32 s11, s7, s12
	s_mul_i32 s12, s11, s2
	s_sub_i32 s7, s7, s12
	s_add_i32 s12, s11, 1
	s_sub_i32 s13, s7, s2
	s_cmp_ge_u32 s7, s2
	s_cselect_b32 s11, s12, s11
	s_cselect_b32 s7, s13, s7
	s_add_i32 s12, s11, 1
	s_cmp_ge_u32 s7, s2
	s_cselect_b32 s2, s12, s11
	s_xor_b32 s2, s2, s3
	s_sub_i32 s12, s2, s3
	s_abs_i32 s11, s12
	v_cvt_f32_u32_e32 v0, s11
	s_load_dwordx2 s[2:3], s[4:5], 0x40
	s_sub_i32 s7, 0, s11
	s_abs_i32 s22, s6
	v_rcp_iflag_f32_e32 v0, v0
	v_mul_f32_e32 v0, 0x4f7ffffe, v0
	v_cvt_u32_f32_e32 v0, v0
	v_readfirstlane_b32 s13, v0
	s_mul_i32 s7, s7, s13
	s_mul_hi_u32 s7, s13, s7
	s_add_i32 s13, s13, s7
	s_waitcnt lgkmcnt(0)
	s_cmp_eq_u64 s[2:3], 0
	s_mul_hi_u32 s23, s22, s13
	s_cbranch_scc1 .LBB41_2
; %bb.1:
	s_ashr_i32 s7, s6, 31
	s_lshl_b64 s[14:15], s[6:7], 2
	s_add_u32 s2, s2, s14
	s_addc_u32 s3, s3, s15
	s_load_dword s42, s[2:3], 0x0
.LBB41_2:
	s_load_dword s33, s[0:1], 0x0
	s_ashr_i32 s7, s12, 31
	s_load_dwordx4 s[12:15], s[4:5], 0x48
	s_ashr_i32 s2, s6, 31
	v_and_b32_e32 v1, 1, v47
	s_mul_i32 s20, s6, 0x78
	v_cmp_gt_u32_e32 vcc, 60, v47
	v_lshlrev_b32_e32 v2, 3, v47
	v_lshlrev_b32_e32 v9, 2, v47
	s_and_saveexec_b64 s[0:1], vcc
	s_cbranch_execz .LBB41_4
; %bb.3:
	s_load_dwordx2 s[16:17], s[4:5], 0x8
	s_waitcnt lgkmcnt(0)
	s_mul_i32 s18, s12, s10
	s_ashr_i32 s19, s18, 31
	s_lshl_b64 s[18:19], s[18:19], 2
	v_and_b32_e32 v0, 0xff8, v9
	s_add_u32 s3, s16, s18
	s_addc_u32 s12, s17, s19
	s_ashr_i32 s21, s20, 31
	s_lshl_b64 s[16:17], s[20:21], 2
	s_add_u32 s16, s3, s16
	s_addc_u32 s17, s12, s17
	global_load_dwordx2 v[3:4], v2, s[16:17]
	s_movk_i32 s3, 0xf0
	v_mad_u32_u24 v0, v1, s3, v0
	s_waitcnt vmcnt(0)
	ds_write_b64 v0, v[3:4]
.LBB41_4:
	s_or_b64 exec, exec, s[0:1]
	s_mul_i32 s1, s23, s11
	s_sub_i32 s1, s22, s1
	s_xor_b32 s0, s2, s7
	s_add_i32 s2, s23, 1
	s_sub_i32 s7, s1, s11
	s_load_dwordx4 s[16:19], s[4:5], 0x68
	s_load_dword s3, s[4:5], 0x78
	s_cmp_ge_u32 s1, s11
	s_cselect_b32 s2, s2, s23
	s_cselect_b32 s1, s7, s1
	s_add_i32 s7, s2, 1
	s_cmp_ge_u32 s1, s11
	s_cselect_b32 s1, s7, s2
	s_waitcnt lgkmcnt(0)
	s_abs_i32 s21, s19
	v_cvt_f32_u32_e32 v0, s21
	s_xor_b32 s1, s1, s0
	s_sub_i32 s2, s1, s0
	s_sub_i32 s0, 0, s21
	v_rcp_iflag_f32_e32 v0, v0
	s_add_i32 s11, s33, -1
	s_abs_i32 s7, s11
	v_mul_f32_e32 v0, 0x4f7ffffe, v0
	v_cvt_u32_f32_e32 v0, v0
	s_barrier
	v_readfirstlane_b32 s40, v0
	s_mul_i32 s0, s0, s40
	s_mul_hi_u32 s0, s40, s0
	s_add_i32 s40, s40, s0
	s_cmp_lt_i32 s3, 0
	s_mul_hi_u32 s12, s7, s40
	s_cbranch_scc0 .LBB41_6
; %bb.5:
	s_mul_i32 s0, s16, s30
	s_add_i32 s0, s2, s0
	s_mul_i32 s0, s0, s3
	s_sub_i32 s41, 1, s0
	s_mov_b64 s[0:1], 0
	s_branch .LBB41_7
.LBB41_6:
	s_mov_b64 s[0:1], -1
                                        ; implicit-def: $sgpr41
.LBB41_7:
	s_load_dwordx2 s[24:25], s[4:5], 0x28
	s_ashr_i32 s15, s11, 31
	s_andn2_b64 vcc, exec, s[0:1]
	s_ashr_i32 s19, s19, 31
	s_cbranch_vccnz .LBB41_9
; %bb.8:
	s_mul_i32 s0, s9, s16
	s_add_i32 s0, s0, s6
	s_mul_i32 s0, s0, s3
	s_add_i32 s41, s0, 1
.LBB41_9:
	s_load_dword s0, s[4:5], 0x38
	s_load_dwordx2 s[22:23], s[4:5], 0x0
	s_load_dwordx2 s[28:29], s[4:5], 0x18
	s_load_dword s11, s[4:5], 0x88
	s_xor_b32 s1, s15, s19
	s_waitcnt lgkmcnt(0)
	s_mul_i32 s26, s0, s10
	s_mul_i32 s0, s12, s21
	s_sub_i32 s0, s7, s0
	s_ashr_i32 s27, s26, 31
	s_add_i32 s3, s12, 1
	s_sub_i32 s6, s0, s21
	s_cmp_ge_u32 s0, s21
	s_cselect_b32 s3, s3, s12
	s_cselect_b32 s0, s6, s0
	s_add_i32 s6, s3, 1
	s_cmp_ge_u32 s0, s21
	s_cselect_b32 s0, s6, s3
	s_xor_b32 s0, s0, s1
	s_sub_i32 s12, s0, s1
	s_add_i32 s0, s33, 31
	s_ashr_i32 s1, s0, 31
	s_lshr_b32 s1, s1, 27
	s_add_i32 s0, s0, s1
	s_ashr_i32 s16, s0, 5
	v_lshrrev_b32_e32 v0, 6, v47
	v_cmp_gt_i32_e64 s[0:1], s16, v0
	v_mov_b32_e32 v15, 0xff7fffff
	s_mul_i32 s14, s2, s14
	v_lshrrev_b32_e32 v10, 4, v47
	buffer_store_dword v0, off, s[48:51], 0 ; 4-byte Folded Spill
	v_lshlrev_b32_e32 v48, 5, v0
	v_mbcnt_lo_u32_b32 v0, -1, 0
	s_and_saveexec_b64 s[34:35], s[0:1]
	s_cbranch_execz .LBB41_21
; %bb.10:
	s_load_dwordx2 s[2:3], s[4:5], 0x10
	s_ashr_i32 s15, s14, 31
	s_sub_i32 s30, s12, s17
	s_lshl_b64 s[4:5], s[14:15], 2
	v_bfe_u32 v11, v47, 1, 5
	s_waitcnt lgkmcnt(0)
	s_add_u32 s2, s2, s4
	s_addc_u32 s3, s3, s5
	s_abs_i32 s15, s18
	v_cvt_f32_u32_e32 v3, s15
	v_mov_b32_e32 v6, s3
	s_sub_i32 s3, 0, s15
	v_lshlrev_b32_e32 v5, 4, v11
	v_rcp_iflag_f32_e32 v3, v3
	s_lshl_b64 s[4:5], s[26:27], 2
	v_and_b32_e32 v2, 8, v2
	v_lshlrev_b32_e32 v4, 2, v11
	v_mul_f32_e32 v3, 0x4f7ffffe, v3
	v_cvt_u32_f32_e32 v3, v3
	s_add_u32 s4, s24, s4
	v_lshrrev_b32_e32 v24, 6, v47
	v_cmp_eq_u32_e32 vcc, 0, v1
	v_mul_lo_u32 v7, s3, v3
	v_add_co_u32_e64 v5, s[2:3], s2, v5
	v_addc_co_u32_e64 v6, s[2:3], 0, v6, s[2:3]
	v_mul_hi_u32 v7, v3, v7
	v_add_co_u32_e64 v12, s[2:3], v5, v2
	v_mul_u32_u24_e32 v14, 0xf0, v1
	v_add_u32_e32 v16, v3, v7
	v_subrev_u32_e32 v3, s33, v11
	v_and_b32_e32 v1, 60, v10
	s_addc_u32 s5, s25, s5
	v_add_u32_e32 v18, 1, v3
	v_lshl_or_b32 v3, v24, 7, v4
	v_mbcnt_hi_u32_b32 v21, -1, v0
	v_addc_co_u32_e64 v13, s[2:3], 0, v6, s[2:3]
	v_mov_b32_e32 v2, s5
	v_add_co_u32_e64 v1, s[4:5], s4, v1
	v_add_u32_e32 v19, 0x1f0, v3
	v_and_b32_e32 v3, 64, v21
	s_mov_b32 s43, s13
	v_cmp_neq_f32_e64 s[2:3], s42, 0
	v_addc_co_u32_e64 v2, s[4:5], 0, v2, s[4:5]
	v_lshlrev_b32_e32 v17, 5, v24
	v_mov_b32_e32 v20, 0xff7fffff
	s_mov_b64 s[36:37], 0
	s_movk_i32 s44, 0x1000
	s_movk_i32 s45, 0x2000
	s_movk_i32 s46, 0x3000
	v_xor_b32_e32 v22, 1, v21
	v_add_u32_e32 v23, 64, v3
	v_mov_b32_e32 v15, 0xff7fffff
	s_branch .LBB41_13
.LBB41_11:                              ;   in Loop: Header=BB41_13 Depth=1
	s_or_b64 exec, exec, s[38:39]
.LBB41_12:                              ;   in Loop: Header=BB41_13 Depth=1
	s_or_b64 exec, exec, s[6:7]
	v_add_co_u32_e64 v1, s[4:5], 8, v1
	v_add_u32_e32 v24, 2, v24
	v_addc_co_u32_e64 v2, s[4:5], 0, v2, s[4:5]
	v_cmp_le_i32_e64 s[4:5], s16, v24
	v_add_u32_e32 v17, 64, v17
	s_or_b64 s[36:37], s[4:5], s[36:37]
	v_add_u32_e32 v19, 0x100, v19
	s_andn2_b64 exec, exec, s[36:37]
	s_cbranch_execz .LBB41_20
.LBB41_13:                              ; =>This Inner Loop Header: Depth=1
	v_mul_hi_u32 v3, v17, s40
	s_waitcnt lgkmcnt(0)
	v_mul_lo_u32 v4, v3, s21
	v_add_u32_e32 v5, 1, v3
	v_sub_u32_e32 v4, v17, v4
	v_cmp_le_u32_e64 s[4:5], s21, v4
	v_cndmask_b32_e64 v3, v3, v5, s[4:5]
	v_subrev_u32_e32 v5, s21, v4
	v_cndmask_b32_e64 v4, v4, v5, s[4:5]
	v_add_u32_e32 v5, 1, v3
	v_cmp_le_u32_e64 s[4:5], s21, v4
	v_cndmask_b32_e64 v3, v3, v5, s[4:5]
	v_xor_b32_e32 v3, s19, v3
	v_subrev_u32_e32 v3, s19, v3
	v_add_u32_e32 v4, s41, v3
	v_sub_u32_e32 v5, 0, v4
	v_max_i32_e32 v5, v4, v5
	v_mul_hi_u32 v6, v5, v16
	v_ashrrev_i32_e32 v4, 31, v4
	v_cmp_ge_i32_e64 s[6:7], s30, v3
	v_mul_lo_u32 v6, v6, s15
	v_sub_u32_e32 v5, v5, v6
	v_subrev_u32_e32 v6, s15, v5
	v_cmp_le_u32_e64 s[4:5], s15, v5
	v_cndmask_b32_e64 v5, v5, v6, s[4:5]
	v_subrev_u32_e32 v6, s15, v5
	v_cmp_le_u32_e64 s[4:5], s15, v5
	v_cndmask_b32_e64 v5, v5, v6, s[4:5]
	v_xor_b32_e32 v5, v5, v4
	v_sub_u32_e32 v4, v5, v4
	v_cmp_ne_u32_e64 s[4:5], 0, v4
	s_and_b64 s[4:5], s[4:5], s[6:7]
	s_and_saveexec_b64 s[6:7], s[4:5]
	s_xor_b64 s[4:5], exec, s[6:7]
	s_cbranch_execz .LBB41_17
; %bb.14:                               ;   in Loop: Header=BB41_13 Depth=1
	s_and_saveexec_b64 s[6:7], vcc
; %bb.15:                               ;   in Loop: Header=BB41_13 Depth=1
	ds_write_b32 v19, v20
; %bb.16:                               ;   in Loop: Header=BB41_13 Depth=1
	s_or_b64 exec, exec, s[6:7]
.LBB41_17:                              ;   in Loop: Header=BB41_13 Depth=1
	s_andn2_saveexec_b64 s[6:7], s[4:5]
	s_cbranch_execz .LBB41_12
; %bb.18:                               ;   in Loop: Header=BB41_13 Depth=1
	global_load_dword v3, v[1:2], off
	s_waitcnt vmcnt(0)
	v_mad_i64_i32 v[3:4], s[4:5], v3, s43, 0
	v_lshlrev_b64 v[3:4], 2, v[3:4]
	v_add_co_u32_e64 v31, s[4:5], v12, v3
	v_addc_co_u32_e64 v32, s[4:5], v13, v4, s[4:5]
	global_load_dwordx2 v[7:8], v[31:32], off offset:512
	ds_read_b128 v[3:6], v14
	ds_read_b128 v[27:30], v14 offset:16
	global_load_dwordx2 v[33:34], v[31:32], off offset:1024
	global_load_dwordx2 v[35:36], v[31:32], off offset:1536
	s_waitcnt vmcnt(2) lgkmcnt(1)
	v_mul_f32_e32 v25, v5, v7
	v_mul_f32_e32 v26, v6, v8
	global_load_dwordx2 v[5:6], v[31:32], off
	global_load_dwordx2 v[7:8], v[31:32], off offset:2048
	global_load_dwordx2 v[37:38], v[31:32], off offset:2560
	s_waitcnt vmcnt(2)
	v_fmac_f32_e32 v25, v3, v5
	v_fmac_f32_e32 v26, v4, v6
	ds_read_b128 v[3:6], v14 offset:32
	s_waitcnt lgkmcnt(1)
	v_fmac_f32_e32 v25, v27, v33
	v_fmac_f32_e32 v26, v28, v34
	;; [unrolled: 1-line block ×3, first 2 shown]
	global_load_dwordx2 v[33:34], v[31:32], off offset:3072
	v_fmac_f32_e32 v26, v30, v36
	ds_read_b128 v[27:30], v14 offset:48
	s_waitcnt vmcnt(2) lgkmcnt(1)
	v_fmac_f32_e32 v25, v3, v7
	global_load_dwordx2 v[35:36], v[31:32], off offset:3584
	v_fmac_f32_e32 v26, v4, v8
	s_waitcnt vmcnt(2)
	v_fmac_f32_e32 v25, v5, v37
	v_add_co_u32_e64 v37, s[4:5], s44, v31
	v_fmac_f32_e32 v26, v6, v38
	v_addc_co_u32_e64 v38, s[4:5], 0, v32, s[4:5]
	v_add_co_u32_e64 v7, s[4:5], s45, v31
	v_addc_co_u32_e64 v8, s[4:5], 0, v32, s[4:5]
	global_load_dwordx2 v[39:40], v[7:8], off offset:-4096
	v_add_co_u32_e64 v5, s[4:5], s46, v31
	v_addc_co_u32_e64 v6, s[4:5], 0, v32, s[4:5]
	v_cmp_lt_i32_e64 s[4:5], v22, v23
	s_waitcnt vmcnt(2) lgkmcnt(0)
	v_fmac_f32_e32 v25, v27, v33
	v_fmac_f32_e32 v26, v28, v34
	s_waitcnt vmcnt(1)
	v_fmac_f32_e32 v25, v29, v35
	v_fmac_f32_e32 v26, v30, v36
	global_load_dwordx2 v[35:36], v[7:8], off
	global_load_dwordx2 v[41:42], v[7:8], off offset:512
	global_load_dwordx2 v[3:4], v[5:6], off offset:2560
	ds_read_b128 v[27:30], v14 offset:64
	ds_read_b128 v[31:34], v14 offset:80
	s_waitcnt vmcnt(3) lgkmcnt(1)
	v_fmac_f32_e32 v25, v27, v39
	v_fmac_f32_e32 v26, v28, v40
	global_load_dwordx2 v[27:28], v[37:38], off offset:512
	global_load_dwordx2 v[39:40], v[37:38], off offset:1024
	;; [unrolled: 1-line block ×4, first 2 shown]
	s_waitcnt vmcnt(3)
	v_fmac_f32_e32 v25, v29, v27
	v_fmac_f32_e32 v26, v30, v28
	s_waitcnt vmcnt(2) lgkmcnt(0)
	v_fmac_f32_e32 v25, v31, v39
	v_fmac_f32_e32 v26, v32, v40
	s_waitcnt vmcnt(1)
	v_fmac_f32_e32 v25, v33, v43
	v_fmac_f32_e32 v26, v34, v44
	ds_read_b128 v[27:30], v14 offset:96
	ds_read_b128 v[31:34], v14 offset:112
	s_waitcnt vmcnt(0) lgkmcnt(1)
	v_fmac_f32_e32 v25, v27, v45
	v_fmac_f32_e32 v26, v28, v46
	global_load_dwordx2 v[27:28], v[37:38], off offset:2560
	global_load_dwordx2 v[39:40], v[37:38], off offset:3072
	s_nop 0
	global_load_dwordx2 v[37:38], v[37:38], off offset:3584
	s_nop 0
	global_load_dwordx2 v[43:44], v[5:6], off
	s_waitcnt vmcnt(3)
	v_fmac_f32_e32 v25, v29, v27
	v_fmac_f32_e32 v26, v30, v28
	s_waitcnt vmcnt(2) lgkmcnt(0)
	v_fmac_f32_e32 v25, v31, v39
	v_fmac_f32_e32 v26, v32, v40
	s_waitcnt vmcnt(1)
	v_fmac_f32_e32 v25, v33, v37
	v_fmac_f32_e32 v26, v34, v38
	ds_read_b128 v[27:30], v14 offset:128
	ds_read_b128 v[31:34], v14 offset:144
	s_waitcnt lgkmcnt(1)
	v_fmac_f32_e32 v25, v27, v35
	v_fmac_f32_e32 v26, v28, v36
	;; [unrolled: 1-line block ×4, first 2 shown]
	global_load_dwordx2 v[27:28], v[7:8], off offset:1024
	global_load_dwordx2 v[29:30], v[7:8], off offset:1536
	;; [unrolled: 1-line block ×4, first 2 shown]
	s_waitcnt vmcnt(3) lgkmcnt(0)
	v_fmac_f32_e32 v25, v31, v27
	v_fmac_f32_e32 v26, v32, v28
	s_waitcnt vmcnt(2)
	v_fmac_f32_e32 v25, v33, v29
	v_fmac_f32_e32 v26, v34, v30
	ds_read_b128 v[27:30], v14 offset:160
	ds_read_b128 v[31:34], v14 offset:176
	s_waitcnt vmcnt(1) lgkmcnt(1)
	v_fmac_f32_e32 v25, v27, v35
	v_fmac_f32_e32 v26, v28, v36
	global_load_dwordx2 v[27:28], v[7:8], off offset:3072
	s_nop 0
	global_load_dwordx2 v[7:8], v[7:8], off offset:3584
	s_waitcnt vmcnt(2)
	v_fmac_f32_e32 v25, v29, v37
	v_fmac_f32_e32 v26, v30, v38
	s_waitcnt vmcnt(1) lgkmcnt(0)
	v_fmac_f32_e32 v25, v31, v27
	v_fmac_f32_e32 v26, v32, v28
	s_waitcnt vmcnt(0)
	v_fmac_f32_e32 v25, v33, v7
	v_fmac_f32_e32 v26, v34, v8
	ds_read_b128 v[27:30], v14 offset:192
	ds_read_b128 v[31:34], v14 offset:208
	s_waitcnt lgkmcnt(1)
	v_fmac_f32_e32 v25, v27, v43
	v_fmac_f32_e32 v26, v28, v44
	global_load_dwordx2 v[7:8], v[5:6], off offset:512
	global_load_dwordx2 v[27:28], v[5:6], off offset:1024
	global_load_dwordx2 v[35:36], v[5:6], off offset:1536
	global_load_dwordx2 v[37:38], v[5:6], off offset:2048
	s_waitcnt vmcnt(3)
	v_fmac_f32_e32 v25, v7, v29
	v_fmac_f32_e32 v26, v8, v30
	ds_read_b128 v[5:8], v14 offset:224
	s_waitcnt vmcnt(2) lgkmcnt(1)
	v_fmac_f32_e32 v25, v27, v31
	v_fmac_f32_e32 v26, v28, v32
	s_waitcnt vmcnt(1)
	v_fmac_f32_e32 v25, v35, v33
	v_fmac_f32_e32 v26, v36, v34
	s_waitcnt vmcnt(0) lgkmcnt(0)
	v_fmac_f32_e32 v25, v37, v5
	v_fmac_f32_e32 v26, v38, v6
	v_cndmask_b32_e64 v27, v21, v22, s[4:5]
	v_fmac_f32_e32 v25, v3, v7
	v_fmac_f32_e32 v26, v4, v8
	v_lshlrev_b32_e32 v27, 2, v27
	v_add_f32_e32 v3, v25, v26
	ds_bpermute_b32 v4, v27, v3
	s_and_saveexec_b64 s[38:39], vcc
	s_cbranch_execz .LBB41_11
; %bb.19:                               ;   in Loop: Header=BB41_13 Depth=1
	v_add_u32_e32 v5, v18, v17
	v_cvt_f32_i32_e32 v5, v5
	s_waitcnt lgkmcnt(0)
	v_add_f32_e32 v3, v3, v4
	v_add_u32_e32 v6, v11, v17
	v_cmp_gt_i32_e64 s[4:5], s33, v6
	v_mul_f32_e32 v4, s42, v5
	v_cndmask_b32_e64 v4, 0, v4, s[2:3]
	v_fmac_f32_e32 v4, s31, v3
	v_cndmask_b32_e64 v3, 0, v4, s[4:5]
	ds_write_b32 v19, v3
	v_max_f32_e32 v3, v15, v15
	v_max_f32_e32 v3, v3, v4
	v_cndmask_b32_e64 v15, v15, v3, s[4:5]
	s_branch .LBB41_11
.LBB41_20:
	s_or_b64 exec, exec, s[36:37]
.LBB41_21:
	s_or_b64 exec, exec, s[34:35]
	v_mbcnt_hi_u32_b32 v0, -1, v0
	v_and_b32_e32 v6, 64, v0
	v_add_u32_e32 v7, 64, v6
	v_xor_b32_e32 v1, 32, v0
	v_cmp_lt_i32_e32 vcc, v1, v7
	v_cndmask_b32_e32 v1, v0, v1, vcc
	v_lshlrev_b32_e32 v1, 2, v1
	ds_bpermute_b32 v2, v1, v15
	s_waitcnt lgkmcnt(1)
	v_xor_b32_e32 v4, 16, v0
	v_max_f32_e32 v3, v15, v15
	v_cmp_lt_i32_e32 vcc, v4, v7
	v_xor_b32_e32 v5, 8, v0
	s_waitcnt lgkmcnt(0)
	v_max_f32_e32 v2, v2, v2
	v_max_f32_e32 v3, v3, v2
	v_cndmask_b32_e32 v2, v0, v4, vcc
	v_lshlrev_b32_e32 v2, 2, v2
	ds_bpermute_b32 v4, v2, v3
	v_cmp_lt_i32_e32 vcc, v5, v7
	v_xor_b32_e32 v8, 4, v0
	v_and_b32_e32 v21, 63, v47
	s_waitcnt lgkmcnt(0)
	v_max_f32_e32 v4, v4, v4
	v_max_f32_e32 v4, v3, v4
	v_cndmask_b32_e32 v3, v0, v5, vcc
	v_lshlrev_b32_e32 v3, 2, v3
	ds_bpermute_b32 v5, v3, v4
	v_cmp_lt_i32_e32 vcc, v8, v7
	s_waitcnt lgkmcnt(0)
	v_max_f32_e32 v5, v5, v5
	v_max_f32_e32 v4, v4, v5
	v_cndmask_b32_e32 v5, v0, v8, vcc
	v_lshlrev_b32_e32 v16, 2, v5
	ds_bpermute_b32 v5, v16, v4
	v_xor_b32_e32 v8, 2, v0
	v_cmp_lt_i32_e32 vcc, v8, v7
	s_waitcnt lgkmcnt(0)
	v_max_f32_e32 v5, v5, v5
	v_max_f32_e32 v5, v4, v5
	v_cndmask_b32_e32 v4, v0, v8, vcc
	v_lshlrev_b32_e32 v19, 2, v4
	ds_bpermute_b32 v8, v19, v5
	v_lshrrev_b32_e32 v4, 6, v47
	v_cmp_eq_u32_e32 vcc, 0, v21
	v_lshlrev_b32_e32 v4, 2, v4
	s_and_saveexec_b64 s[2:3], vcc
	s_cbranch_execz .LBB41_23
; %bb.22:
	s_waitcnt lgkmcnt(0)
	v_max_f32_e32 v8, v8, v8
	v_max_f32_e32 v5, v5, v5
	;; [unrolled: 1-line block ×3, first 2 shown]
	ds_write_b32 v4, v5 offset:480
.LBB41_23:
	s_or_b64 exec, exec, s[2:3]
	v_cmp_gt_u32_e64 s[2:3], 2, v21
	s_waitcnt lgkmcnt(0)
	v_mov_b32_e32 v8, 0xff7fffff
	v_lshlrev_b32_e32 v5, 2, v21
	s_waitcnt vmcnt(0)
	s_barrier
	s_and_saveexec_b64 s[4:5], s[2:3]
; %bb.24:
	ds_read_b32 v8, v5 offset:480
; %bb.25:
	s_or_b64 exec, exec, s[4:5]
	v_xor_b32_e32 v11, 1, v0
	v_cmp_lt_i32_e64 s[4:5], v11, v7
	v_cndmask_b32_e64 v7, v0, v11, s[4:5]
	v_lshlrev_b32_e32 v22, 2, v7
	s_waitcnt lgkmcnt(0)
	ds_bpermute_b32 v7, v22, v8
	v_max_f32_e32 v8, v8, v8
	v_lshlrev_b32_e32 v6, 2, v6
	s_lshl_b32 s4, s16, 5
	s_min_i32 s15, s4, s33
	s_waitcnt lgkmcnt(0)
	v_max_f32_e32 v7, v7, v7
	v_max_f32_e32 v7, v8, v7
	ds_bpermute_b32 v7, v6, v7
	v_cmp_gt_i32_e64 s[4:5], s15, v47
	v_mov_b32_e32 v6, 0
	s_and_saveexec_b64 s[30:31], s[4:5]
	s_cbranch_execz .LBB41_29
; %bb.26:
	v_mov_b32_e32 v6, 0x1f0
	v_lshl_add_u32 v8, v47, 2, v6
	v_mov_b32_e32 v6, 0
	s_mov_b64 s[34:35], 0
	v_mov_b32_e32 v11, v47
.LBB41_27:                              ; =>This Inner Loop Header: Depth=1
	ds_read_b32 v12, v8
	v_add_u32_e32 v11, 0x80, v11
	v_cmp_le_i32_e64 s[6:7], s15, v11
	s_or_b64 s[34:35], s[6:7], s[34:35]
	s_waitcnt lgkmcnt(0)
	v_sub_f32_e32 v12, v12, v7
	v_mul_f32_e32 v12, 0x3fb8aa3b, v12
	v_exp_f32_e32 v12, v12
	ds_write_b32 v8, v12
	v_add_f32_e32 v6, v6, v12
	v_add_u32_e32 v8, 0x200, v8
	s_andn2_b64 exec, exec, s[34:35]
	s_cbranch_execnz .LBB41_27
; %bb.28:
	s_or_b64 exec, exec, s[34:35]
.LBB41_29:
	s_or_b64 exec, exec, s[30:31]
	ds_bpermute_b32 v1, v1, v6
	s_waitcnt lgkmcnt(0)
	v_add_f32_e32 v1, v6, v1
	ds_bpermute_b32 v2, v2, v1
	s_waitcnt lgkmcnt(0)
	v_add_f32_e32 v1, v1, v2
	;; [unrolled: 3-line block ×6, first 2 shown]
	s_and_saveexec_b64 s[6:7], vcc
; %bb.30:
	ds_write_b32 v4, v1 offset:488
; %bb.31:
	s_or_b64 exec, exec, s[6:7]
	s_waitcnt lgkmcnt(0)
	s_barrier
	s_and_saveexec_b64 s[6:7], s[2:3]
; %bb.32:
	ds_read_b32 v1, v5 offset:488
; %bb.33:
	s_or_b64 exec, exec, s[6:7]
	s_waitcnt lgkmcnt(0)
	ds_bpermute_b32 v2, v22, v1
	v_lshlrev_b32_e32 v0, 2, v0
	v_and_b32_e32 v0, 0x100, v0
	s_waitcnt lgkmcnt(0)
	v_add_f32_e32 v1, v1, v2
	ds_bpermute_b32 v0, v0, v1
	s_and_saveexec_b64 s[2:3], s[4:5]
	s_cbranch_execz .LBB41_36
; %bb.34:
	s_waitcnt lgkmcnt(0)
	v_add_f32_e32 v1, 0x358637bd, v0
	v_div_scale_f32 v0, s[4:5], v1, v1, 1.0
	v_div_scale_f32 v2, vcc, 1.0, v1, 1.0
	s_mov_b64 s[4:5], 0
	v_rcp_f32_e32 v3, v0
	v_fma_f32 v4, -v0, v3, 1.0
	v_fmac_f32_e32 v3, v4, v3
	v_mul_f32_e32 v4, v2, v3
	v_fma_f32 v5, -v0, v4, v2
	v_fmac_f32_e32 v4, v5, v3
	v_fma_f32 v0, -v0, v4, v2
	v_div_fmas_f32 v2, v0, v3, v4
	v_mov_b32_e32 v0, 0x1f0
	v_lshl_add_u32 v0, v47, 2, v0
	v_div_fixup_f32 v1, v2, v1, 1.0
	v_mov_b32_e32 v2, v47
.LBB41_35:                              ; =>This Inner Loop Header: Depth=1
	ds_read_b32 v3, v0
	v_add_u32_e32 v2, 0x80, v2
	v_cmp_le_i32_e32 vcc, s15, v2
	s_or_b64 s[4:5], vcc, s[4:5]
	s_waitcnt lgkmcnt(0)
	v_mul_f32_e32 v3, v1, v3
	ds_write_b32 v0, v3
	v_add_u32_e32 v0, 0x200, v0
	s_andn2_b64 exec, exec, s[4:5]
	s_cbranch_execnz .LBB41_35
.LBB41_36:
	s_or_b64 exec, exec, s[2:3]
	v_mov_b32_e32 v5, 0
	s_waitcnt lgkmcnt(0)
	v_and_b32_e32 v0, 7, v47
	v_mov_b32_e32 v3, 0
	v_mov_b32_e32 v6, 0
	;; [unrolled: 1-line block ×14, first 2 shown]
	s_barrier
	buffer_store_dword v0, off, s[48:51], 0 offset:132 ; 4-byte Folded Spill
	s_and_saveexec_b64 s[2:3], s[0:1]
	s_cbranch_execz .LBB41_72
; %bb.37:
	s_ashr_i32 s15, s14, 31
	s_sub_i32 s17, s12, s17
	s_lshl_b64 s[0:1], s[14:15], 2
	s_add_u32 s0, s28, s0
	s_addc_u32 s1, s29, s1
	s_abs_i32 s14, s18
	v_cvt_f32_u32_e32 v0, s14
	s_sub_i32 s4, 0, s14
	v_and_b32_e32 v1, 28, v9
	buffer_store_dword v22, off, s[48:51], 0 offset:152 ; 4-byte Folded Spill
	buffer_store_dword v19, off, s[48:51], 0 offset:148 ; 4-byte Folded Spill
	;; [unrolled: 1-line block ×4, first 2 shown]
	v_rcp_iflag_f32_e32 v0, v0
	buffer_store_dword v1, off, s[48:51], 0 offset:120 ; 4-byte Folded Spill
	v_lshlrev_b32_e32 v1, 4, v47
	v_and_b32_e32 v1, 0x3f0, v1
	v_mul_f32_e32 v0, 0x4f7ffffe, v0
	v_cvt_u32_f32_e32 v0, v0
	s_add_i32 s18, s16, -1
	v_mov_b32_e32 v4, s1
	v_add_co_u32_e32 v1, vcc, s0, v1
	v_mul_lo_u32 v3, s4, v0
	s_lshl_b64 s[0:1], s[26:27], 2
	s_add_u32 s0, s24, s0
	v_and_b32_e32 v2, 60, v10
	v_mul_hi_u32 v3, v0, v3
	buffer_store_dword v1, off, s[48:51], 0 offset:124 ; 4-byte Folded Spill
	v_addc_co_u32_e32 v1, vcc, 0, v4, vcc
	v_add_u32_e32 v0, v0, v3
	s_addc_u32 s1, s25, s1
	buffer_store_dword v0, off, s[48:51], 0 offset:108 ; 4-byte Folded Spill
	v_mov_b32_e32 v0, s1
	v_add_co_u32_e32 v61, vcc, s0, v2
	v_addc_co_u32_e32 v62, vcc, 0, v0, vcc
	buffer_load_dword v0, off, s[48:51], 0 offset:132 ; 4-byte Folded Reload
	s_mov_b32 s15, s13
	buffer_store_dword v1, off, s[48:51], 0 offset:128 ; 4-byte Folded Spill
	buffer_load_dword v1, off, s[48:51], 0  ; 4-byte Folded Reload
	v_mov_b32_e32 v20, 0
	s_mov_b64 s[4:5], 0
	v_mov_b32_e32 v5, 0
	buffer_store_dword v47, off, s[48:51], 0 offset:136 ; 4-byte Folded Spill
	s_waitcnt vmcnt(3)
	v_lshlrev_b32_e32 v0, 4, v0
	s_waitcnt vmcnt(1)
	v_lshl_or_b32 v0, v1, 7, v0
	v_mov_b32_e32 v1, 0
	buffer_store_dword v1, off, s[48:51], 0 offset:56 ; 4-byte Folded Spill
	v_mov_b32_e32 v1, 0
	buffer_store_dword v1, off, s[48:51], 0 offset:60 ; 4-byte Folded Spill
	;; [unrolled: 2-line block ×11, first 2 shown]
	v_mov_b32_e32 v1, 0
	v_add_u32_e32 v0, 0x1f0, v0
	buffer_store_dword v1, off, s[48:51], 0 offset:100 ; 4-byte Folded Spill
	v_mov_b32_e32 v1, 0
	buffer_store_dword v1, off, s[48:51], 0 offset:104 ; 4-byte Folded Spill
	s_branch .LBB41_40
.LBB41_38:                              ;   in Loop: Header=BB41_40 Depth=1
	s_or_b64 exec, exec, s[12:13]
	buffer_load_dword v10, off, s[48:51], 0 offset:56 ; 4-byte Folded Reload
	s_waitcnt vmcnt(2) lgkmcnt(0)
	v_mul_f32_e32 v5, v1, v5
	v_fmac_f32_e32 v5, v2, v6
	v_fmac_f32_e32 v5, v3, v7
	v_fmac_f32_e32 v5, v4, v8
	v_mul_f32_e32 v6, v1, v57
	v_fmac_f32_e32 v6, v2, v58
	v_fmac_f32_e32 v6, v3, v59
	v_fmac_f32_e32 v6, v4, v60
	;; [unrolled: 4-line block ×5, first 2 shown]
	s_waitcnt vmcnt(0)
	v_add_f32_e32 v10, v10, v5
	buffer_load_dword v5, off, s[48:51], 0 offset:60 ; 4-byte Folded Reload
	s_waitcnt vmcnt(0)
	v_add_f32_e32 v5, v5, v6
	buffer_store_dword v5, off, s[48:51], 0 offset:60 ; 4-byte Folded Spill
	buffer_load_dword v5, off, s[48:51], 0 offset:64 ; 4-byte Folded Reload
	s_nop 0
	buffer_load_dword v6, off, s[48:51], 0 offset:76 ; 4-byte Folded Reload
	s_waitcnt vmcnt(1)
	v_add_f32_e32 v5, v5, v7
	buffer_store_dword v5, off, s[48:51], 0 offset:64 ; 4-byte Folded Spill
	buffer_load_dword v5, off, s[48:51], 0 offset:68 ; 4-byte Folded Reload
	s_waitcnt vmcnt(0)
	v_add_f32_e32 v5, v5, v8
	buffer_store_dword v5, off, s[48:51], 0 offset:68 ; 4-byte Folded Spill
	;; [unrolled: 4-line block ×3, first 2 shown]
	v_mul_f32_e32 v5, v1, v37
	v_fmac_f32_e32 v5, v2, v38
	v_fmac_f32_e32 v5, v3, v39
	;; [unrolled: 1-line block ×3, first 2 shown]
	v_add_f32_e32 v6, v6, v5
	buffer_store_dword v6, off, s[48:51], 0 offset:76 ; 4-byte Folded Spill
	buffer_load_dword v6, off, s[48:51], 0 offset:80 ; 4-byte Folded Reload
	v_mul_f32_e32 v5, v1, v33
	v_fmac_f32_e32 v5, v2, v34
	v_fmac_f32_e32 v5, v3, v35
	v_fmac_f32_e32 v5, v4, v36
	buffer_store_dword v10, off, s[48:51], 0 offset:56 ; 4-byte Folded Spill
	s_waitcnt vmcnt(1)
	v_add_f32_e32 v6, v6, v5
	buffer_store_dword v6, off, s[48:51], 0 offset:80 ; 4-byte Folded Spill
	buffer_load_dword v6, off, s[48:51], 0 offset:84 ; 4-byte Folded Reload
	v_mul_f32_e32 v5, v1, v29
	v_fmac_f32_e32 v5, v2, v30
	v_fmac_f32_e32 v5, v3, v31
	v_fmac_f32_e32 v5, v4, v32
	s_waitcnt vmcnt(0)
	v_add_f32_e32 v6, v6, v5
	buffer_store_dword v6, off, s[48:51], 0 offset:84 ; 4-byte Folded Spill
	buffer_load_dword v6, off, s[48:51], 0 offset:88 ; 4-byte Folded Reload
	v_mul_f32_e32 v5, v1, v25
	v_fmac_f32_e32 v5, v2, v26
	v_fmac_f32_e32 v5, v3, v27
	v_fmac_f32_e32 v5, v4, v28
	;; [unrolled: 8-line block ×4, first 2 shown]
	s_waitcnt vmcnt(0)
	v_add_f32_e32 v6, v6, v5
	buffer_store_dword v6, off, s[48:51], 0 offset:96 ; 4-byte Folded Spill
	buffer_load_dword v5, off, s[48:51], 0 offset:40 ; 4-byte Folded Reload
	s_nop 0
	buffer_load_dword v6, off, s[48:51], 0 offset:44 ; 4-byte Folded Reload
	buffer_load_dword v7, off, s[48:51], 0 offset:48 ; 4-byte Folded Reload
	;; [unrolled: 1-line block ×3, first 2 shown]
	s_waitcnt vmcnt(3)
	v_mul_f32_e32 v5, v1, v5
	s_waitcnt vmcnt(2)
	v_fmac_f32_e32 v5, v2, v6
	buffer_load_dword v6, off, s[48:51], 0 offset:100 ; 4-byte Folded Reload
	s_waitcnt vmcnt(2)
	v_fmac_f32_e32 v5, v3, v7
	s_waitcnt vmcnt(1)
	v_fmac_f32_e32 v5, v4, v8
	s_waitcnt vmcnt(0)
	v_add_f32_e32 v6, v6, v5
	buffer_store_dword v6, off, s[48:51], 0 offset:100 ; 4-byte Folded Spill
	buffer_load_dword v5, off, s[48:51], 0 offset:24 ; 4-byte Folded Reload
	s_nop 0
	buffer_load_dword v6, off, s[48:51], 0 offset:28 ; 4-byte Folded Reload
	buffer_load_dword v7, off, s[48:51], 0 offset:32 ; 4-byte Folded Reload
	;; [unrolled: 1-line block ×3, first 2 shown]
	s_waitcnt vmcnt(3)
	v_mul_f32_e32 v5, v1, v5
	s_waitcnt vmcnt(2)
	v_fmac_f32_e32 v5, v2, v6
	buffer_load_dword v6, off, s[48:51], 0 offset:104 ; 4-byte Folded Reload
	s_waitcnt vmcnt(2)
	v_fmac_f32_e32 v5, v3, v7
	s_waitcnt vmcnt(1)
	v_fmac_f32_e32 v5, v4, v8
	s_waitcnt vmcnt(0)
	v_add_f32_e32 v6, v6, v5
	buffer_store_dword v6, off, s[48:51], 0 offset:104 ; 4-byte Folded Spill
	buffer_load_dword v5, off, s[48:51], 0 offset:8 ; 4-byte Folded Reload
	s_nop 0
	buffer_load_dword v6, off, s[48:51], 0 offset:12 ; 4-byte Folded Reload
	buffer_load_dword v7, off, s[48:51], 0 offset:16 ; 4-byte Folded Reload
	;; [unrolled: 1-line block ×4, first 2 shown]
	s_waitcnt vmcnt(4)
	v_mul_f32_e32 v5, v1, v5
	s_waitcnt vmcnt(3)
	v_fmac_f32_e32 v5, v2, v6
	buffer_load_dword v6, off, s[48:51], 0 offset:116 ; 4-byte Folded Reload
	v_mul_f32_e32 v1, v1, v53
	v_fmac_f32_e32 v1, v2, v54
	s_waitcnt vmcnt(3)
	v_fmac_f32_e32 v5, v3, v7
	v_fmac_f32_e32 v1, v3, v55
	s_waitcnt vmcnt(2)
	v_fmac_f32_e32 v5, v4, v8
	v_fmac_f32_e32 v1, v4, v56
	s_waitcnt vmcnt(1)
	v_add_f32_e32 v20, v20, v1
	s_waitcnt vmcnt(0)
	v_add_f32_e32 v5, v6, v5
.LBB41_39:                              ;   in Loop: Header=BB41_40 Depth=1
	s_or_b64 exec, exec, s[6:7]
	buffer_load_dword v1, off, s[48:51], 0  ; 4-byte Folded Reload
	buffer_load_dword v48, off, s[48:51], 0 offset:4 ; 4-byte Folded Reload
	v_add_co_u32_e32 v61, vcc, 8, v61
	v_addc_co_u32_e32 v62, vcc, 0, v62, vcc
	v_add_u32_e32 v0, 0x100, v0
	s_waitcnt vmcnt(1)
	v_add_u32_e32 v1, 2, v1
	v_cmp_le_i32_e32 vcc, s16, v1
	s_waitcnt vmcnt(0)
	v_add_u32_e32 v48, 64, v48
	s_or_b64 s[4:5], vcc, s[4:5]
	buffer_store_dword v1, off, s[48:51], 0 ; 4-byte Folded Spill
	s_andn2_b64 exec, exec, s[4:5]
	s_cbranch_execz .LBB41_71
.LBB41_40:                              ; =>This Inner Loop Header: Depth=1
	buffer_load_dword v4, off, s[48:51], 0 offset:108 ; 4-byte Folded Reload
	v_mul_hi_u32 v1, v48, s40
	buffer_store_dword v48, off, s[48:51], 0 offset:4 ; 4-byte Folded Spill
	v_mul_lo_u32 v2, v1, s21
	v_add_u32_e32 v3, 1, v1
	v_sub_u32_e32 v2, v48, v2
	v_cmp_le_u32_e32 vcc, s21, v2
	v_cndmask_b32_e32 v1, v1, v3, vcc
	v_subrev_u32_e32 v3, s21, v2
	v_cndmask_b32_e32 v2, v2, v3, vcc
	v_add_u32_e32 v3, 1, v1
	v_cmp_le_u32_e32 vcc, s21, v2
	v_cndmask_b32_e32 v1, v1, v3, vcc
	v_xor_b32_e32 v1, s19, v1
	v_subrev_u32_e32 v1, s19, v1
	v_add_u32_e32 v2, s41, v1
	v_sub_u32_e32 v3, 0, v2
	v_max_i32_e32 v3, v2, v3
	v_ashrrev_i32_e32 v2, 31, v2
	v_cmp_lt_i32_e64 s[0:1], s17, v1
	s_waitcnt vmcnt(1)
	v_mul_hi_u32 v4, v3, v4
	v_mul_lo_u32 v4, v4, s14
	v_sub_u32_e32 v3, v3, v4
	v_subrev_u32_e32 v4, s14, v3
	v_cmp_le_u32_e32 vcc, s14, v3
	v_cndmask_b32_e32 v3, v3, v4, vcc
	v_subrev_u32_e32 v4, s14, v3
	v_cmp_le_u32_e32 vcc, s14, v3
	v_cndmask_b32_e32 v3, v3, v4, vcc
	v_xor_b32_e32 v3, v3, v2
	v_sub_u32_e32 v2, v3, v2
	v_cmp_eq_u32_e32 vcc, 0, v2
	s_or_b64 s[0:1], vcc, s[0:1]
	s_and_saveexec_b64 s[6:7], s[0:1]
	s_cbranch_execz .LBB41_39
; %bb.41:                               ;   in Loop: Header=BB41_40 Depth=1
	buffer_store_dword v5, off, s[48:51], 0 offset:116 ; 4-byte Folded Spill
	buffer_store_dword v20, off, s[48:51], 0 offset:112 ; 4-byte Folded Spill
	global_load_dword v1, v[61:62], off
	buffer_load_dword v3, off, s[48:51], 0 offset:124 ; 4-byte Folded Reload
	s_waitcnt vmcnt(1)
	v_mad_i64_i32 v[1:2], s[0:1], v1, s15, 0
	v_lshlrev_b64 v[1:2], 2, v[1:2]
	s_waitcnt vmcnt(0)
	v_add_co_u32_e32 v53, vcc, v3, v1
	buffer_load_dword v1, off, s[48:51], 0 offset:128 ; 4-byte Folded Reload
	s_waitcnt vmcnt(0)
	v_addc_co_u32_e32 v54, vcc, v1, v2, vcc
	global_load_dwordx4 v[1:4], v[53:54], off
	s_waitcnt vmcnt(0)
	buffer_store_dword v1, off, s[48:51], 0 offset:8 ; 4-byte Folded Spill
	s_nop 0
	buffer_store_dword v2, off, s[48:51], 0 offset:12 ; 4-byte Folded Spill
	buffer_store_dword v3, off, s[48:51], 0 offset:16 ; 4-byte Folded Spill
	;; [unrolled: 1-line block ×3, first 2 shown]
	buffer_load_dword v1, off, s[48:51], 0 offset:4 ; 4-byte Folded Reload
	s_nop 0
	buffer_load_dword v2, off, s[48:51], 0 offset:120 ; 4-byte Folded Reload
	buffer_load_dword v5, off, s[48:51], 0  ; 4-byte Folded Reload
	s_waitcnt vmcnt(1)
	v_add_u32_e32 v6, v2, v1
	ds_read_b128 v[1:4], v0
	s_waitcnt vmcnt(0)
	v_cmp_eq_u32_e64 s[0:1], s18, v5
	v_add_u32_e32 v10, 1, v6
	v_add_u32_e32 v9, 2, v6
	v_mov_b32_e32 v13, v6
	v_add_u32_e32 v63, 3, v6
	s_and_saveexec_b64 s[12:13], s[0:1]
	s_cbranch_execz .LBB41_43
; %bb.42:                               ;   in Loop: Header=BB41_40 Depth=1
	buffer_load_dword v5, off, s[48:51], 0 offset:8 ; 4-byte Folded Reload
	buffer_load_dword v6, off, s[48:51], 0 offset:12 ; 4-byte Folded Reload
	;; [unrolled: 1-line block ×4, first 2 shown]
	v_cmp_gt_i32_e32 vcc, s33, v13
	s_waitcnt vmcnt(3)
	v_cndmask_b32_e32 v5, 0, v5, vcc
	v_cmp_gt_i32_e32 vcc, s33, v10
	s_waitcnt vmcnt(2)
	v_cndmask_b32_e32 v6, 0, v6, vcc
	;; [unrolled: 3-line block ×4, first 2 shown]
	buffer_store_dword v5, off, s[48:51], 0 offset:8 ; 4-byte Folded Spill
	s_nop 0
	buffer_store_dword v6, off, s[48:51], 0 offset:12 ; 4-byte Folded Spill
	buffer_store_dword v7, off, s[48:51], 0 offset:16 ; 4-byte Folded Spill
	;; [unrolled: 1-line block ×3, first 2 shown]
.LBB41_43:                              ;   in Loop: Header=BB41_40 Depth=1
	s_or_b64 exec, exec, s[12:13]
	global_load_dwordx4 v[5:8], v[53:54], off offset:1024
	s_waitcnt vmcnt(0)
	buffer_store_dword v5, off, s[48:51], 0 offset:24 ; 4-byte Folded Spill
	s_nop 0
	buffer_store_dword v6, off, s[48:51], 0 offset:28 ; 4-byte Folded Spill
	buffer_store_dword v7, off, s[48:51], 0 offset:32 ; 4-byte Folded Spill
	;; [unrolled: 1-line block ×3, first 2 shown]
	s_and_saveexec_b64 s[12:13], s[0:1]
	s_cbranch_execz .LBB41_45
; %bb.44:                               ;   in Loop: Header=BB41_40 Depth=1
	buffer_load_dword v5, off, s[48:51], 0 offset:24 ; 4-byte Folded Reload
	buffer_load_dword v6, off, s[48:51], 0 offset:28 ; 4-byte Folded Reload
	;; [unrolled: 1-line block ×4, first 2 shown]
	v_cmp_gt_i32_e32 vcc, s33, v13
	s_waitcnt vmcnt(3)
	v_cndmask_b32_e32 v5, 0, v5, vcc
	v_cmp_gt_i32_e32 vcc, s33, v10
	s_waitcnt vmcnt(2)
	v_cndmask_b32_e32 v6, 0, v6, vcc
	;; [unrolled: 3-line block ×4, first 2 shown]
	buffer_store_dword v5, off, s[48:51], 0 offset:24 ; 4-byte Folded Spill
	s_nop 0
	buffer_store_dword v6, off, s[48:51], 0 offset:28 ; 4-byte Folded Spill
	buffer_store_dword v7, off, s[48:51], 0 offset:32 ; 4-byte Folded Spill
	buffer_store_dword v8, off, s[48:51], 0 offset:36 ; 4-byte Folded Spill
.LBB41_45:                              ;   in Loop: Header=BB41_40 Depth=1
	s_or_b64 exec, exec, s[12:13]
	global_load_dwordx4 v[5:8], v[53:54], off offset:2048
	s_waitcnt vmcnt(0)
	buffer_store_dword v5, off, s[48:51], 0 offset:40 ; 4-byte Folded Spill
	s_nop 0
	buffer_store_dword v6, off, s[48:51], 0 offset:44 ; 4-byte Folded Spill
	buffer_store_dword v7, off, s[48:51], 0 offset:48 ; 4-byte Folded Spill
	;; [unrolled: 1-line block ×3, first 2 shown]
	s_and_saveexec_b64 s[12:13], s[0:1]
	s_cbranch_execz .LBB41_47
; %bb.46:                               ;   in Loop: Header=BB41_40 Depth=1
	buffer_load_dword v5, off, s[48:51], 0 offset:40 ; 4-byte Folded Reload
	buffer_load_dword v6, off, s[48:51], 0 offset:44 ; 4-byte Folded Reload
	;; [unrolled: 1-line block ×4, first 2 shown]
	v_cmp_gt_i32_e32 vcc, s33, v13
	s_waitcnt vmcnt(3)
	v_cndmask_b32_e32 v5, 0, v5, vcc
	v_cmp_gt_i32_e32 vcc, s33, v10
	s_waitcnt vmcnt(2)
	v_cndmask_b32_e32 v6, 0, v6, vcc
	;; [unrolled: 3-line block ×4, first 2 shown]
	buffer_store_dword v5, off, s[48:51], 0 offset:40 ; 4-byte Folded Spill
	s_nop 0
	buffer_store_dword v6, off, s[48:51], 0 offset:44 ; 4-byte Folded Spill
	buffer_store_dword v7, off, s[48:51], 0 offset:48 ; 4-byte Folded Spill
	;; [unrolled: 1-line block ×3, first 2 shown]
.LBB41_47:                              ;   in Loop: Header=BB41_40 Depth=1
	s_or_b64 exec, exec, s[12:13]
	global_load_dwordx4 v[17:20], v[53:54], off offset:3072
	s_and_saveexec_b64 s[12:13], s[0:1]
	s_cbranch_execz .LBB41_49
; %bb.48:                               ;   in Loop: Header=BB41_40 Depth=1
	v_cmp_gt_i32_e32 vcc, s33, v13
	s_waitcnt vmcnt(0)
	v_cndmask_b32_e32 v17, 0, v17, vcc
	v_cmp_gt_i32_e32 vcc, s33, v10
	v_cndmask_b32_e32 v18, 0, v18, vcc
	v_cmp_gt_i32_e32 vcc, s33, v9
	;; [unrolled: 2-line block ×3, first 2 shown]
	v_cndmask_b32_e32 v20, 0, v20, vcc
.LBB41_49:                              ;   in Loop: Header=BB41_40 Depth=1
	s_or_b64 exec, exec, s[12:13]
	v_add_co_u32_e32 v5, vcc, 0x1000, v53
	v_addc_co_u32_e32 v6, vcc, 0, v54, vcc
	global_load_dwordx4 v[21:24], v[5:6], off
	s_and_saveexec_b64 s[12:13], s[0:1]
	s_cbranch_execz .LBB41_51
; %bb.50:                               ;   in Loop: Header=BB41_40 Depth=1
	v_cmp_gt_i32_e32 vcc, s33, v13
	s_waitcnt vmcnt(0)
	v_cndmask_b32_e32 v21, 0, v21, vcc
	v_cmp_gt_i32_e32 vcc, s33, v10
	v_cndmask_b32_e32 v22, 0, v22, vcc
	v_cmp_gt_i32_e32 vcc, s33, v9
	v_cndmask_b32_e32 v23, 0, v23, vcc
	v_cmp_gt_i32_e32 vcc, s33, v63
	v_cndmask_b32_e32 v24, 0, v24, vcc
.LBB41_51:                              ;   in Loop: Header=BB41_40 Depth=1
	s_or_b64 exec, exec, s[12:13]
	v_add_co_u32_e32 v5, vcc, 0x1000, v53
	v_addc_co_u32_e32 v6, vcc, 0, v54, vcc
	global_load_dwordx4 v[25:28], v[5:6], off offset:1024
	s_and_saveexec_b64 s[12:13], s[0:1]
	s_cbranch_execz .LBB41_53
; %bb.52:                               ;   in Loop: Header=BB41_40 Depth=1
	v_cmp_gt_i32_e32 vcc, s33, v13
	s_waitcnt vmcnt(0)
	v_cndmask_b32_e32 v25, 0, v25, vcc
	v_cmp_gt_i32_e32 vcc, s33, v10
	v_cndmask_b32_e32 v26, 0, v26, vcc
	v_cmp_gt_i32_e32 vcc, s33, v9
	v_cndmask_b32_e32 v27, 0, v27, vcc
	v_cmp_gt_i32_e32 vcc, s33, v63
	v_cndmask_b32_e32 v28, 0, v28, vcc
.LBB41_53:                              ;   in Loop: Header=BB41_40 Depth=1
	s_or_b64 exec, exec, s[12:13]
	v_add_co_u32_e32 v5, vcc, 0x1000, v53
	v_addc_co_u32_e32 v6, vcc, 0, v54, vcc
	global_load_dwordx4 v[29:32], v[5:6], off offset:2048
	;; [unrolled: 17-line block ×3, first 2 shown]
	s_and_saveexec_b64 s[12:13], s[0:1]
	s_cbranch_execz .LBB41_57
; %bb.56:                               ;   in Loop: Header=BB41_40 Depth=1
	v_cmp_gt_i32_e32 vcc, s33, v13
	s_waitcnt vmcnt(0)
	v_cndmask_b32_e32 v33, 0, v33, vcc
	v_cmp_gt_i32_e32 vcc, s33, v10
	v_cndmask_b32_e32 v34, 0, v34, vcc
	v_cmp_gt_i32_e32 vcc, s33, v9
	;; [unrolled: 2-line block ×3, first 2 shown]
	v_cndmask_b32_e32 v36, 0, v36, vcc
.LBB41_57:                              ;   in Loop: Header=BB41_40 Depth=1
	s_or_b64 exec, exec, s[12:13]
	v_add_co_u32_e32 v5, vcc, 0x2000, v53
	v_addc_co_u32_e32 v6, vcc, 0, v54, vcc
	global_load_dwordx4 v[37:40], v[5:6], off
	s_and_saveexec_b64 s[12:13], s[0:1]
	s_cbranch_execz .LBB41_59
; %bb.58:                               ;   in Loop: Header=BB41_40 Depth=1
	v_cmp_gt_i32_e32 vcc, s33, v13
	s_waitcnt vmcnt(0)
	v_cndmask_b32_e32 v37, 0, v37, vcc
	v_cmp_gt_i32_e32 vcc, s33, v10
	v_cndmask_b32_e32 v38, 0, v38, vcc
	v_cmp_gt_i32_e32 vcc, s33, v9
	v_cndmask_b32_e32 v39, 0, v39, vcc
	v_cmp_gt_i32_e32 vcc, s33, v63
	v_cndmask_b32_e32 v40, 0, v40, vcc
.LBB41_59:                              ;   in Loop: Header=BB41_40 Depth=1
	s_or_b64 exec, exec, s[12:13]
	v_add_co_u32_e32 v5, vcc, 0x2000, v53
	v_addc_co_u32_e32 v6, vcc, 0, v54, vcc
	global_load_dwordx4 v[41:44], v[5:6], off offset:1024
	s_and_saveexec_b64 s[12:13], s[0:1]
	s_cbranch_execz .LBB41_61
; %bb.60:                               ;   in Loop: Header=BB41_40 Depth=1
	v_cmp_gt_i32_e32 vcc, s33, v13
	s_waitcnt vmcnt(0)
	v_cndmask_b32_e32 v41, 0, v41, vcc
	v_cmp_gt_i32_e32 vcc, s33, v10
	v_cndmask_b32_e32 v42, 0, v42, vcc
	v_cmp_gt_i32_e32 vcc, s33, v9
	v_cndmask_b32_e32 v43, 0, v43, vcc
	v_cmp_gt_i32_e32 vcc, s33, v63
	v_cndmask_b32_e32 v44, 0, v44, vcc
.LBB41_61:                              ;   in Loop: Header=BB41_40 Depth=1
	s_or_b64 exec, exec, s[12:13]
	v_add_co_u32_e32 v5, vcc, 0x2000, v53
	v_addc_co_u32_e32 v6, vcc, 0, v54, vcc
	global_load_dwordx4 v[45:48], v[5:6], off offset:2048
	;; [unrolled: 17-line block ×3, first 2 shown]
	s_and_saveexec_b64 s[12:13], s[0:1]
	s_cbranch_execz .LBB41_65
; %bb.64:                               ;   in Loop: Header=BB41_40 Depth=1
	v_cmp_gt_i32_e32 vcc, s33, v13
	s_waitcnt vmcnt(0)
	v_cndmask_b32_e32 v49, 0, v49, vcc
	v_cmp_gt_i32_e32 vcc, s33, v10
	v_cndmask_b32_e32 v50, 0, v50, vcc
	v_cmp_gt_i32_e32 vcc, s33, v9
	;; [unrolled: 2-line block ×3, first 2 shown]
	v_cndmask_b32_e32 v52, 0, v52, vcc
.LBB41_65:                              ;   in Loop: Header=BB41_40 Depth=1
	s_or_b64 exec, exec, s[12:13]
	v_add_co_u32_e32 v5, vcc, 0x3000, v53
	v_addc_co_u32_e32 v6, vcc, 0, v54, vcc
	global_load_dwordx4 v[57:60], v[5:6], off
	s_and_saveexec_b64 s[12:13], s[0:1]
	s_cbranch_execz .LBB41_67
; %bb.66:                               ;   in Loop: Header=BB41_40 Depth=1
	v_cmp_gt_i32_e32 vcc, s33, v13
	s_waitcnt vmcnt(0)
	v_cndmask_b32_e32 v57, 0, v57, vcc
	v_cmp_gt_i32_e32 vcc, s33, v10
	v_cndmask_b32_e32 v58, 0, v58, vcc
	v_cmp_gt_i32_e32 vcc, s33, v9
	;; [unrolled: 2-line block ×3, first 2 shown]
	v_cndmask_b32_e32 v60, 0, v60, vcc
.LBB41_67:                              ;   in Loop: Header=BB41_40 Depth=1
	s_or_b64 exec, exec, s[12:13]
	v_add_co_u32_e32 v5, vcc, 0x3000, v53
	v_addc_co_u32_e32 v6, vcc, 0, v54, vcc
	global_load_dwordx4 v[5:8], v[5:6], off offset:1024
	s_and_saveexec_b64 s[12:13], s[0:1]
	s_cbranch_execz .LBB41_69
; %bb.68:                               ;   in Loop: Header=BB41_40 Depth=1
	v_cmp_gt_i32_e32 vcc, s33, v13
	s_waitcnt vmcnt(0)
	v_cndmask_b32_e32 v5, 0, v5, vcc
	v_cmp_gt_i32_e32 vcc, s33, v10
	v_cndmask_b32_e32 v6, 0, v6, vcc
	v_cmp_gt_i32_e32 vcc, s33, v9
	;; [unrolled: 2-line block ×3, first 2 shown]
	v_cndmask_b32_e32 v8, 0, v8, vcc
.LBB41_69:                              ;   in Loop: Header=BB41_40 Depth=1
	s_or_b64 exec, exec, s[12:13]
	v_add_co_u32_e32 v11, vcc, 0x3000, v53
	v_addc_co_u32_e32 v12, vcc, 0, v54, vcc
	global_load_dwordx4 v[53:56], v[11:12], off offset:2048
	s_and_saveexec_b64 s[12:13], s[0:1]
	s_cbranch_execz .LBB41_38
; %bb.70:                               ;   in Loop: Header=BB41_40 Depth=1
	v_cmp_gt_i32_e32 vcc, s33, v13
	s_waitcnt vmcnt(0)
	v_cndmask_b32_e32 v53, 0, v53, vcc
	v_cmp_gt_i32_e32 vcc, s33, v10
	v_cndmask_b32_e32 v54, 0, v54, vcc
	v_cmp_gt_i32_e32 vcc, s33, v9
	;; [unrolled: 2-line block ×3, first 2 shown]
	v_cndmask_b32_e32 v56, 0, v56, vcc
	s_branch .LBB41_38
.LBB41_71:
	s_or_b64 exec, exec, s[4:5]
	buffer_load_dword v47, off, s[48:51], 0 offset:136 ; 4-byte Folded Reload
	buffer_load_dword v21, off, s[48:51], 0 offset:140 ; 4-byte Folded Reload
	;; [unrolled: 1-line block ×18, first 2 shown]
.LBB41_72:
	s_or_b64 exec, exec, s[2:3]
	s_waitcnt vmcnt(15)
	ds_bpermute_b32 v0, v16, v5
	s_waitcnt vmcnt(0)
	ds_bpermute_b32 v1, v16, v3
	ds_bpermute_b32 v2, v16, v6
	s_waitcnt lgkmcnt(0)
	s_barrier
	v_add_f32_e32 v0, v5, v0
	v_add_f32_e32 v1, v3, v1
	ds_bpermute_b32 v3, v19, v0
	ds_bpermute_b32 v5, v16, v7
	;; [unrolled: 1-line block ×3, first 2 shown]
	v_add_f32_e32 v2, v6, v2
	ds_bpermute_b32 v6, v19, v2
	s_waitcnt lgkmcnt(3)
	v_add_f32_e32 v0, v0, v3
	ds_bpermute_b32 v3, v22, v0
	s_waitcnt lgkmcnt(3)
	v_add_f32_e32 v5, v7, v5
	s_waitcnt lgkmcnt(2)
	v_add_f32_e32 v1, v1, v4
	ds_bpermute_b32 v7, v19, v5
	ds_bpermute_b32 v4, v22, v1
	s_waitcnt lgkmcnt(2)
	v_add_f32_e32 v0, v0, v3
	ds_bpermute_b32 v3, v16, v8
	v_add_f32_e32 v2, v2, v6
	s_waitcnt lgkmcnt(2)
	v_add_f32_e32 v5, v5, v7
	s_waitcnt lgkmcnt(1)
	v_add_f32_e32 v1, v1, v4
	ds_bpermute_b32 v4, v22, v2
	s_waitcnt lgkmcnt(1)
	v_add_f32_e32 v8, v8, v3
	ds_bpermute_b32 v6, v16, v24
	ds_bpermute_b32 v7, v22, v5
	;; [unrolled: 1-line block ×3, first 2 shown]
	s_waitcnt lgkmcnt(3)
	v_add_f32_e32 v2, v2, v4
	s_waitcnt lgkmcnt(0)
	v_add_f32_e32 v4, v24, v6
	v_add_f32_e32 v3, v5, v7
	;; [unrolled: 1-line block ×3, first 2 shown]
	ds_bpermute_b32 v6, v19, v4
	ds_bpermute_b32 v7, v16, v11
	;; [unrolled: 1-line block ×4, first 2 shown]
	s_waitcnt lgkmcnt(3)
	v_add_f32_e32 v6, v4, v6
	s_waitcnt lgkmcnt(2)
	v_add_f32_e32 v7, v11, v7
	;; [unrolled: 2-line block ×4, first 2 shown]
	ds_bpermute_b32 v10, v22, v6
	ds_bpermute_b32 v11, v19, v7
	;; [unrolled: 1-line block ×3, first 2 shown]
	s_waitcnt lgkmcnt(2)
	v_add_f32_e32 v5, v6, v10
	s_waitcnt lgkmcnt(1)
	v_add_f32_e32 v6, v7, v11
	ds_bpermute_b32 v7, v16, v12
	s_waitcnt lgkmcnt(1)
	v_add_f32_e32 v8, v8, v9
	ds_bpermute_b32 v9, v16, v23
	ds_bpermute_b32 v10, v22, v6
	;; [unrolled: 1-line block ×3, first 2 shown]
	s_waitcnt lgkmcnt(3)
	v_add_f32_e32 v12, v12, v7
	ds_bpermute_b32 v13, v19, v12
	s_waitcnt lgkmcnt(3)
	v_add_f32_e32 v9, v23, v9
	s_waitcnt lgkmcnt(2)
	v_add_f32_e32 v6, v6, v10
	ds_bpermute_b32 v10, v19, v9
	s_waitcnt lgkmcnt(2)
	v_add_f32_e32 v7, v8, v11
	s_waitcnt lgkmcnt(1)
	v_add_f32_e32 v8, v12, v13
	ds_bpermute_b32 v11, v16, v14
	ds_bpermute_b32 v12, v22, v8
	s_waitcnt lgkmcnt(2)
	v_add_f32_e32 v9, v9, v10
	ds_bpermute_b32 v10, v16, v15
	ds_bpermute_b32 v13, v22, v9
	s_waitcnt lgkmcnt(3)
	v_add_f32_e32 v11, v14, v11
	ds_bpermute_b32 v14, v19, v11
	s_waitcnt lgkmcnt(3)
	v_add_f32_e32 v8, v8, v12
	s_waitcnt lgkmcnt(2)
	v_add_f32_e32 v10, v15, v10
	ds_bpermute_b32 v12, v19, v10
	s_waitcnt lgkmcnt(2)
	v_add_f32_e32 v9, v9, v13
	s_waitcnt lgkmcnt(1)
	v_add_f32_e32 v11, v11, v14
	ds_bpermute_b32 v14, v16, v17
	ds_bpermute_b32 v13, v22, v11
	s_waitcnt lgkmcnt(2)
	v_add_f32_e32 v12, v10, v12
	ds_bpermute_b32 v10, v16, v18
	ds_bpermute_b32 v16, v16, v20
	;; [unrolled: 4-line block ×3, first 2 shown]
	s_waitcnt lgkmcnt(3)
	v_add_f32_e32 v10, v18, v10
	s_waitcnt lgkmcnt(2)
	v_add_f32_e32 v16, v20, v16
	ds_bpermute_b32 v18, v19, v10
	ds_bpermute_b32 v19, v19, v16
	s_waitcnt lgkmcnt(3)
	v_add_f32_e32 v14, v14, v17
	ds_bpermute_b32 v17, v22, v14
	s_waitcnt lgkmcnt(2)
	v_add_f32_e32 v18, v10, v18
	s_waitcnt lgkmcnt(1)
	v_add_f32_e32 v16, v16, v19
	ds_bpermute_b32 v19, v22, v16
	ds_bpermute_b32 v20, v22, v18
	v_add_f32_e32 v10, v11, v13
	v_add_f32_e32 v11, v12, v15
	s_waitcnt lgkmcnt(2)
	v_add_f32_e32 v12, v14, v17
	s_waitcnt lgkmcnt(1)
	v_add_f32_e32 v14, v16, v19
	v_and_b32_e32 v16, 0x3c7, v47
	s_waitcnt lgkmcnt(0)
	v_add_f32_e32 v13, v18, v20
	v_cmp_eq_u32_e32 vcc, 64, v16
	s_and_saveexec_b64 s[0:1], vcc
	s_cbranch_execz .LBB41_74
; %bb.73:
	v_lshrrev_b32_e32 v15, 1, v21
	v_add_u32_e32 v15, 0x1f0, v15
	ds_write2_b32 v15, v0, v1 offset1:8
	ds_write2_b32 v15, v2, v3 offset0:16 offset1:24
	ds_write2_b32 v15, v4, v5 offset0:32 offset1:40
	;; [unrolled: 1-line block ×6, first 2 shown]
	ds_write_b32 v15, v14 offset:448
.LBB41_74:
	s_or_b64 exec, exec, s[0:1]
	v_cmp_gt_u32_e32 vcc, 64, v47
	v_lshrrev_b32_e32 v15, 3, v47
	s_waitcnt lgkmcnt(0)
	s_barrier
	s_and_saveexec_b64 s[0:1], vcc
	s_cbranch_execz .LBB41_92
; %bb.75:
	buffer_load_dword v17, off, s[48:51], 0 offset:132 ; 4-byte Folded Reload
	s_waitcnt vmcnt(0)
	v_cmp_eq_u32_e32 vcc, 0, v17
	v_mov_b32_e32 v17, 0x1f0
	v_lshl_add_u32 v17, v15, 2, v17
	s_and_saveexec_b64 s[2:3], vcc
	s_cbranch_execnz .LBB41_95
; %bb.76:
	s_or_b64 exec, exec, s[2:3]
	s_and_saveexec_b64 s[2:3], vcc
	s_cbranch_execnz .LBB41_96
.LBB41_77:
	s_or_b64 exec, exec, s[2:3]
	s_and_saveexec_b64 s[2:3], vcc
	s_cbranch_execnz .LBB41_97
.LBB41_78:
	s_or_b64 exec, exec, s[2:3]
	s_and_saveexec_b64 s[2:3], vcc
	s_cbranch_execnz .LBB41_98
.LBB41_79:
	s_or_b64 exec, exec, s[2:3]
	s_and_saveexec_b64 s[2:3], vcc
	s_cbranch_execnz .LBB41_99
.LBB41_80:
	s_or_b64 exec, exec, s[2:3]
	s_and_saveexec_b64 s[2:3], vcc
	s_cbranch_execnz .LBB41_100
.LBB41_81:
	s_or_b64 exec, exec, s[2:3]
	s_and_saveexec_b64 s[2:3], vcc
	s_cbranch_execnz .LBB41_101
.LBB41_82:
	s_or_b64 exec, exec, s[2:3]
	s_and_saveexec_b64 s[2:3], vcc
	s_cbranch_execnz .LBB41_102
.LBB41_83:
	s_or_b64 exec, exec, s[2:3]
	s_and_saveexec_b64 s[2:3], vcc
	s_cbranch_execnz .LBB41_103
.LBB41_84:
	s_or_b64 exec, exec, s[2:3]
	s_and_saveexec_b64 s[2:3], vcc
	s_cbranch_execnz .LBB41_104
.LBB41_85:
	s_or_b64 exec, exec, s[2:3]
	s_and_saveexec_b64 s[2:3], vcc
	s_cbranch_execnz .LBB41_105
.LBB41_86:
	s_or_b64 exec, exec, s[2:3]
	s_and_saveexec_b64 s[2:3], vcc
	s_cbranch_execnz .LBB41_106
.LBB41_87:
	s_or_b64 exec, exec, s[2:3]
	s_and_saveexec_b64 s[2:3], vcc
	s_cbranch_execnz .LBB41_107
.LBB41_88:
	s_or_b64 exec, exec, s[2:3]
	s_and_saveexec_b64 s[2:3], vcc
	s_cbranch_execnz .LBB41_108
.LBB41_89:
	s_or_b64 exec, exec, s[2:3]
	s_and_saveexec_b64 s[2:3], vcc
	s_cbranch_execz .LBB41_91
.LBB41_90:
	ds_read_b32 v17, v17 offset:448
	s_waitcnt lgkmcnt(0)
	v_add_f32_e32 v14, v14, v17
.LBB41_91:
	s_or_b64 exec, exec, s[2:3]
.LBB41_92:
	s_or_b64 exec, exec, s[0:1]
	v_cmp_eq_u32_e32 vcc, 0, v16
	s_barrier
	s_and_saveexec_b64 s[0:1], vcc
	s_cbranch_execz .LBB41_94
; %bb.93:
	s_mul_i32 s0, s10, s11
	s_mul_i32 s0, s0, s9
	s_mulk_i32 s0, 0x78
	s_ashr_i32 s1, s0, 31
	s_lshl_b64 s[0:1], s[0:1], 2
	s_add_u32 s2, s22, s0
	s_mul_i32 s0, s11, s20
	s_addc_u32 s3, s23, s1
	s_ashr_i32 s1, s0, 31
	s_lshl_b64 s[0:1], s[0:1], 2
	s_add_u32 s2, s2, s0
	s_mul_i32 s0, s8, 0x78
	s_addc_u32 s3, s3, s1
	s_ashr_i32 s1, s0, 31
	s_lshl_b64 s[0:1], s[0:1], 2
	s_add_u32 s0, s2, s0
	s_addc_u32 s1, s3, s1
	v_lshlrev_b32_e32 v15, 2, v15
	global_store_dword v15, v0, s[0:1]
	global_store_dword v15, v1, s[0:1] offset:32
	global_store_dword v15, v2, s[0:1] offset:64
	;; [unrolled: 1-line block ×14, first 2 shown]
.LBB41_94:
	s_endpgm
.LBB41_95:
	ds_read_b32 v18, v17
	s_waitcnt lgkmcnt(0)
	v_add_f32_e32 v0, v0, v18
	s_or_b64 exec, exec, s[2:3]
	s_and_saveexec_b64 s[2:3], vcc
	s_cbranch_execz .LBB41_77
.LBB41_96:
	ds_read_b32 v18, v17 offset:32
	s_waitcnt lgkmcnt(0)
	v_add_f32_e32 v1, v1, v18
	s_or_b64 exec, exec, s[2:3]
	s_and_saveexec_b64 s[2:3], vcc
	s_cbranch_execz .LBB41_78
.LBB41_97:
	ds_read_b32 v18, v17 offset:64
	s_waitcnt lgkmcnt(0)
	v_add_f32_e32 v2, v2, v18
	s_or_b64 exec, exec, s[2:3]
	s_and_saveexec_b64 s[2:3], vcc
	s_cbranch_execz .LBB41_79
.LBB41_98:
	ds_read_b32 v18, v17 offset:96
	s_waitcnt lgkmcnt(0)
	v_add_f32_e32 v3, v3, v18
	s_or_b64 exec, exec, s[2:3]
	s_and_saveexec_b64 s[2:3], vcc
	s_cbranch_execz .LBB41_80
.LBB41_99:
	ds_read_b32 v18, v17 offset:128
	s_waitcnt lgkmcnt(0)
	v_add_f32_e32 v4, v4, v18
	s_or_b64 exec, exec, s[2:3]
	s_and_saveexec_b64 s[2:3], vcc
	s_cbranch_execz .LBB41_81
.LBB41_100:
	ds_read_b32 v18, v17 offset:160
	s_waitcnt lgkmcnt(0)
	v_add_f32_e32 v5, v5, v18
	s_or_b64 exec, exec, s[2:3]
	s_and_saveexec_b64 s[2:3], vcc
	s_cbranch_execz .LBB41_82
.LBB41_101:
	ds_read_b32 v18, v17 offset:192
	s_waitcnt lgkmcnt(0)
	v_add_f32_e32 v6, v6, v18
	s_or_b64 exec, exec, s[2:3]
	s_and_saveexec_b64 s[2:3], vcc
	s_cbranch_execz .LBB41_83
.LBB41_102:
	ds_read_b32 v18, v17 offset:224
	s_waitcnt lgkmcnt(0)
	v_add_f32_e32 v7, v7, v18
	s_or_b64 exec, exec, s[2:3]
	s_and_saveexec_b64 s[2:3], vcc
	s_cbranch_execz .LBB41_84
.LBB41_103:
	ds_read_b32 v18, v17 offset:256
	s_waitcnt lgkmcnt(0)
	v_add_f32_e32 v8, v8, v18
	s_or_b64 exec, exec, s[2:3]
	s_and_saveexec_b64 s[2:3], vcc
	s_cbranch_execz .LBB41_85
.LBB41_104:
	ds_read_b32 v18, v17 offset:288
	s_waitcnt lgkmcnt(0)
	v_add_f32_e32 v9, v9, v18
	s_or_b64 exec, exec, s[2:3]
	s_and_saveexec_b64 s[2:3], vcc
	s_cbranch_execz .LBB41_86
.LBB41_105:
	ds_read_b32 v18, v17 offset:320
	s_waitcnt lgkmcnt(0)
	v_add_f32_e32 v10, v10, v18
	s_or_b64 exec, exec, s[2:3]
	s_and_saveexec_b64 s[2:3], vcc
	s_cbranch_execz .LBB41_87
.LBB41_106:
	ds_read_b32 v18, v17 offset:352
	s_waitcnt lgkmcnt(0)
	v_add_f32_e32 v11, v11, v18
	s_or_b64 exec, exec, s[2:3]
	s_and_saveexec_b64 s[2:3], vcc
	s_cbranch_execz .LBB41_88
.LBB41_107:
	ds_read_b32 v18, v17 offset:384
	s_waitcnt lgkmcnt(0)
	v_add_f32_e32 v12, v12, v18
	s_or_b64 exec, exec, s[2:3]
	s_and_saveexec_b64 s[2:3], vcc
	s_cbranch_execz .LBB41_89
.LBB41_108:
	ds_read_b32 v18, v17 offset:416
	s_waitcnt lgkmcnt(0)
	v_add_f32_e32 v13, v13, v18
	s_or_b64 exec, exec, s[2:3]
	s_and_saveexec_b64 s[2:3], vcc
	s_cbranch_execnz .LBB41_90
	s_branch .LBB41_91
	.section	.rodata,"a",@progbits
	.p2align	6, 0x0
	.amdhsa_kernel _ZN4vllm25paged_attention_v1_kernelIffLi120ELi32ELi128ELNS_18Fp8KVCacheDataTypeE0ELb1EEEvPT_PKS2_PKT0_S8_ifPKiSA_iPKfiiiSC_SC_iiiii
		.amdhsa_group_segment_fixed_size 496
		.amdhsa_private_segment_fixed_size 160
		.amdhsa_kernarg_size 384
		.amdhsa_user_sgpr_count 6
		.amdhsa_user_sgpr_private_segment_buffer 1
		.amdhsa_user_sgpr_dispatch_ptr 0
		.amdhsa_user_sgpr_queue_ptr 0
		.amdhsa_user_sgpr_kernarg_segment_ptr 1
		.amdhsa_user_sgpr_dispatch_id 0
		.amdhsa_user_sgpr_flat_scratch_init 0
		.amdhsa_user_sgpr_private_segment_size 0
		.amdhsa_uses_dynamic_stack 0
		.amdhsa_system_sgpr_private_segment_wavefront_offset 1
		.amdhsa_system_sgpr_workgroup_id_x 1
		.amdhsa_system_sgpr_workgroup_id_y 1
		.amdhsa_system_sgpr_workgroup_id_z 1
		.amdhsa_system_sgpr_workgroup_info 0
		.amdhsa_system_vgpr_workitem_id 0
		.amdhsa_next_free_vgpr 64
		.amdhsa_next_free_sgpr 52
		.amdhsa_reserve_vcc 1
		.amdhsa_reserve_flat_scratch 0
		.amdhsa_float_round_mode_32 0
		.amdhsa_float_round_mode_16_64 0
		.amdhsa_float_denorm_mode_32 3
		.amdhsa_float_denorm_mode_16_64 3
		.amdhsa_dx10_clamp 1
		.amdhsa_ieee_mode 1
		.amdhsa_fp16_overflow 0
		.amdhsa_exception_fp_ieee_invalid_op 0
		.amdhsa_exception_fp_denorm_src 0
		.amdhsa_exception_fp_ieee_div_zero 0
		.amdhsa_exception_fp_ieee_overflow 0
		.amdhsa_exception_fp_ieee_underflow 0
		.amdhsa_exception_fp_ieee_inexact 0
		.amdhsa_exception_int_div_zero 0
	.end_amdhsa_kernel
	.section	.text._ZN4vllm25paged_attention_v1_kernelIffLi120ELi32ELi128ELNS_18Fp8KVCacheDataTypeE0ELb1EEEvPT_PKS2_PKT0_S8_ifPKiSA_iPKfiiiSC_SC_iiiii,"axG",@progbits,_ZN4vllm25paged_attention_v1_kernelIffLi120ELi32ELi128ELNS_18Fp8KVCacheDataTypeE0ELb1EEEvPT_PKS2_PKT0_S8_ifPKiSA_iPKfiiiSC_SC_iiiii,comdat
.Lfunc_end41:
	.size	_ZN4vllm25paged_attention_v1_kernelIffLi120ELi32ELi128ELNS_18Fp8KVCacheDataTypeE0ELb1EEEvPT_PKS2_PKT0_S8_ifPKiSA_iPKfiiiSC_SC_iiiii, .Lfunc_end41-_ZN4vllm25paged_attention_v1_kernelIffLi120ELi32ELi128ELNS_18Fp8KVCacheDataTypeE0ELb1EEEvPT_PKS2_PKT0_S8_ifPKiSA_iPKfiiiSC_SC_iiiii
                                        ; -- End function
	.set _ZN4vllm25paged_attention_v1_kernelIffLi120ELi32ELi128ELNS_18Fp8KVCacheDataTypeE0ELb1EEEvPT_PKS2_PKT0_S8_ifPKiSA_iPKfiiiSC_SC_iiiii.num_vgpr, 64
	.set _ZN4vllm25paged_attention_v1_kernelIffLi120ELi32ELi128ELNS_18Fp8KVCacheDataTypeE0ELb1EEEvPT_PKS2_PKT0_S8_ifPKiSA_iPKfiiiSC_SC_iiiii.num_agpr, 0
	.set _ZN4vllm25paged_attention_v1_kernelIffLi120ELi32ELi128ELNS_18Fp8KVCacheDataTypeE0ELb1EEEvPT_PKS2_PKT0_S8_ifPKiSA_iPKfiiiSC_SC_iiiii.numbered_sgpr, 52
	.set _ZN4vllm25paged_attention_v1_kernelIffLi120ELi32ELi128ELNS_18Fp8KVCacheDataTypeE0ELb1EEEvPT_PKS2_PKT0_S8_ifPKiSA_iPKfiiiSC_SC_iiiii.num_named_barrier, 0
	.set _ZN4vllm25paged_attention_v1_kernelIffLi120ELi32ELi128ELNS_18Fp8KVCacheDataTypeE0ELb1EEEvPT_PKS2_PKT0_S8_ifPKiSA_iPKfiiiSC_SC_iiiii.private_seg_size, 160
	.set _ZN4vllm25paged_attention_v1_kernelIffLi120ELi32ELi128ELNS_18Fp8KVCacheDataTypeE0ELb1EEEvPT_PKS2_PKT0_S8_ifPKiSA_iPKfiiiSC_SC_iiiii.uses_vcc, 1
	.set _ZN4vllm25paged_attention_v1_kernelIffLi120ELi32ELi128ELNS_18Fp8KVCacheDataTypeE0ELb1EEEvPT_PKS2_PKT0_S8_ifPKiSA_iPKfiiiSC_SC_iiiii.uses_flat_scratch, 0
	.set _ZN4vllm25paged_attention_v1_kernelIffLi120ELi32ELi128ELNS_18Fp8KVCacheDataTypeE0ELb1EEEvPT_PKS2_PKT0_S8_ifPKiSA_iPKfiiiSC_SC_iiiii.has_dyn_sized_stack, 0
	.set _ZN4vllm25paged_attention_v1_kernelIffLi120ELi32ELi128ELNS_18Fp8KVCacheDataTypeE0ELb1EEEvPT_PKS2_PKT0_S8_ifPKiSA_iPKfiiiSC_SC_iiiii.has_recursion, 0
	.set _ZN4vllm25paged_attention_v1_kernelIffLi120ELi32ELi128ELNS_18Fp8KVCacheDataTypeE0ELb1EEEvPT_PKS2_PKT0_S8_ifPKiSA_iPKfiiiSC_SC_iiiii.has_indirect_call, 0
	.section	.AMDGPU.csdata,"",@progbits
; Kernel info:
; codeLenInByte = 7968
; TotalNumSgprs: 56
; NumVgprs: 64
; ScratchSize: 160
; MemoryBound: 0
; FloatMode: 240
; IeeeMode: 1
; LDSByteSize: 496 bytes/workgroup (compile time only)
; SGPRBlocks: 6
; VGPRBlocks: 15
; NumSGPRsForWavesPerEU: 56
; NumVGPRsForWavesPerEU: 64
; Occupancy: 4
; WaveLimiterHint : 1
; COMPUTE_PGM_RSRC2:SCRATCH_EN: 1
; COMPUTE_PGM_RSRC2:USER_SGPR: 6
; COMPUTE_PGM_RSRC2:TRAP_HANDLER: 0
; COMPUTE_PGM_RSRC2:TGID_X_EN: 1
; COMPUTE_PGM_RSRC2:TGID_Y_EN: 1
; COMPUTE_PGM_RSRC2:TGID_Z_EN: 1
; COMPUTE_PGM_RSRC2:TIDIG_COMP_CNT: 0
	.section	.text._ZN4vllm25paged_attention_v1_kernelIffLi128ELi32ELi128ELNS_18Fp8KVCacheDataTypeE0ELb1EEEvPT_PKS2_PKT0_S8_ifPKiSA_iPKfiiiSC_SC_iiiii,"axG",@progbits,_ZN4vllm25paged_attention_v1_kernelIffLi128ELi32ELi128ELNS_18Fp8KVCacheDataTypeE0ELb1EEEvPT_PKS2_PKT0_S8_ifPKiSA_iPKfiiiSC_SC_iiiii,comdat
	.protected	_ZN4vllm25paged_attention_v1_kernelIffLi128ELi32ELi128ELNS_18Fp8KVCacheDataTypeE0ELb1EEEvPT_PKS2_PKT0_S8_ifPKiSA_iPKfiiiSC_SC_iiiii ; -- Begin function _ZN4vllm25paged_attention_v1_kernelIffLi128ELi32ELi128ELNS_18Fp8KVCacheDataTypeE0ELb1EEEvPT_PKS2_PKT0_S8_ifPKiSA_iPKfiiiSC_SC_iiiii
	.globl	_ZN4vllm25paged_attention_v1_kernelIffLi128ELi32ELi128ELNS_18Fp8KVCacheDataTypeE0ELb1EEEvPT_PKS2_PKT0_S8_ifPKiSA_iPKfiiiSC_SC_iiiii
	.p2align	8
	.type	_ZN4vllm25paged_attention_v1_kernelIffLi128ELi32ELi128ELNS_18Fp8KVCacheDataTypeE0ELb1EEEvPT_PKS2_PKT0_S8_ifPKiSA_iPKfiiiSC_SC_iiiii,@function
_ZN4vllm25paged_attention_v1_kernelIffLi128ELi32ELi128ELNS_18Fp8KVCacheDataTypeE0ELb1EEEvPT_PKS2_PKT0_S8_ifPKiSA_iPKfiiiSC_SC_iiiii: ; @_ZN4vllm25paged_attention_v1_kernelIffLi128ELi32ELi128ELNS_18Fp8KVCacheDataTypeE0ELb1EEEvPT_PKS2_PKT0_S8_ifPKiSA_iPKfiiiSC_SC_iiiii
; %bb.0:
	s_mov_b64 s[54:55], s[2:3]
	s_mov_b64 s[52:53], s[0:1]
	s_add_u32 s52, s52, s9
	s_load_dword s9, s[4:5], 0x80
	s_load_dwordx2 s[0:1], s[4:5], 0x30
	s_load_dwordx2 s[34:35], s[4:5], 0x20
	s_addc_u32 s53, s53, 0
	s_mov_b32 s20, s7
	s_ashr_i32 s21, s7, 31
	s_lshl_b64 s[2:3], s[20:21], 2
	s_waitcnt lgkmcnt(0)
	s_add_u32 s0, s0, s2
	s_addc_u32 s1, s1, s3
	s_abs_i32 s2, s34
	v_mov_b32_e32 v45, v0
	v_cvt_f32_u32_e32 v0, s2
	s_sub_i32 s10, 0, s2
	s_abs_i32 s7, s9
	s_xor_b32 s3, s9, s34
	v_rcp_iflag_f32_e32 v0, v0
	s_ashr_i32 s3, s3, 31
	s_mov_b32 s44, 0
	v_mul_f32_e32 v0, 0x4f7ffffe, v0
	v_cvt_u32_f32_e32 v0, v0
	v_readfirstlane_b32 s11, v0
	s_mul_i32 s10, s10, s11
	s_mul_hi_u32 s10, s11, s10
	s_add_i32 s11, s11, s10
	s_mul_hi_u32 s10, s7, s11
	s_mul_i32 s11, s10, s2
	s_sub_i32 s7, s7, s11
	s_add_i32 s11, s10, 1
	s_sub_i32 s12, s7, s2
	s_cmp_ge_u32 s7, s2
	s_cselect_b32 s10, s11, s10
	s_cselect_b32 s7, s12, s7
	s_add_i32 s11, s10, 1
	s_cmp_ge_u32 s7, s2
	s_cselect_b32 s2, s11, s10
	s_xor_b32 s2, s2, s3
	s_sub_i32 s12, s2, s3
	s_abs_i32 s10, s12
	v_cvt_f32_u32_e32 v0, s10
	s_load_dwordx2 s[2:3], s[4:5], 0x40
	s_sub_i32 s7, 0, s10
	s_abs_i32 s11, s6
	v_rcp_iflag_f32_e32 v0, v0
	v_mul_f32_e32 v0, 0x4f7ffffe, v0
	v_cvt_u32_f32_e32 v0, v0
	v_readfirstlane_b32 s13, v0
	s_mul_i32 s7, s7, s13
	s_mul_hi_u32 s7, s13, s7
	s_add_i32 s13, s13, s7
	s_waitcnt lgkmcnt(0)
	s_cmp_eq_u64 s[2:3], 0
	s_mul_hi_u32 s24, s11, s13
	s_cbranch_scc1 .LBB42_2
; %bb.1:
	s_ashr_i32 s7, s6, 31
	s_lshl_b64 s[14:15], s[6:7], 2
	s_add_u32 s2, s2, s14
	s_addc_u32 s3, s3, s15
	s_load_dword s44, s[2:3], 0x0
.LBB42_2:
	s_load_dword s21, s[0:1], 0x0
	s_ashr_i32 s25, s12, 31
	s_load_dwordx4 s[12:15], s[4:5], 0x48
	s_ashr_i32 s7, s6, 31
	v_and_b32_e32 v1, 1, v45
	s_lshl_b32 s22, s6, 7
	v_cmp_gt_u32_e64 s[0:1], 64, v45
	v_lshlrev_b32_e32 v2, 3, v45
	v_lshlrev_b32_e32 v9, 2, v45
	s_and_saveexec_b64 s[2:3], s[0:1]
	s_cbranch_execz .LBB42_4
; %bb.3:
	s_load_dwordx2 s[16:17], s[4:5], 0x8
	s_waitcnt lgkmcnt(0)
	s_mul_i32 s18, s12, s20
	s_ashr_i32 s19, s18, 31
	s_lshl_b64 s[18:19], s[18:19], 2
	v_and_b32_e32 v0, 0xff8, v9
	s_add_u32 s12, s16, s18
	s_addc_u32 s15, s17, s19
	s_ashr_i32 s23, s22, 31
	s_lshl_b64 s[16:17], s[22:23], 2
	s_add_u32 s16, s12, s16
	s_addc_u32 s17, s15, s17
	global_load_dwordx2 v[3:4], v2, s[16:17]
	v_lshl_add_u32 v0, v1, 8, v0
	s_waitcnt vmcnt(0)
	ds_write_b64 v0, v[3:4]
.LBB42_4:
	s_or_b64 exec, exec, s[2:3]
	s_mul_i32 s3, s24, s10
	s_sub_i32 s3, s11, s3
	s_xor_b32 s2, s7, s25
	s_add_i32 s7, s24, 1
	s_sub_i32 s11, s3, s10
	s_load_dwordx4 s[16:19], s[4:5], 0x68
	s_waitcnt lgkmcnt(0)
	s_load_dword s12, s[4:5], 0x78
	s_cmp_ge_u32 s3, s10
	s_cselect_b32 s7, s7, s24
	s_cselect_b32 s3, s11, s3
	s_add_i32 s11, s7, 1
	s_cmp_ge_u32 s3, s10
	s_cselect_b32 s3, s11, s7
	s_abs_i32 s23, s19
	v_cvt_f32_u32_e32 v0, s23
	s_xor_b32 s3, s3, s2
	s_sub_i32 s7, s3, s2
	s_sub_i32 s2, 0, s23
	v_rcp_iflag_f32_e32 v0, v0
	s_add_i32 s15, s21, -1
	s_abs_i32 s10, s15
	s_waitcnt lgkmcnt(0)
	v_mul_f32_e32 v0, 0x4f7ffffe, v0
	v_cvt_u32_f32_e32 v0, v0
	s_barrier
	v_readfirstlane_b32 s33, v0
	s_mul_i32 s2, s2, s33
	s_mul_hi_u32 s2, s33, s2
	s_add_i32 s33, s33, s2
	s_cmp_lt_i32 s12, 0
	s_mul_hi_u32 s11, s10, s33
	s_cbranch_scc0 .LBB42_6
; %bb.5:
	s_mul_i32 s2, s16, s34
	s_add_i32 s2, s7, s2
	s_mul_i32 s2, s2, s12
	s_sub_i32 s42, 1, s2
	s_mov_b64 s[2:3], 0
	s_branch .LBB42_7
.LBB42_6:
	s_mov_b64 s[2:3], -1
                                        ; implicit-def: $sgpr42
.LBB42_7:
	s_load_dwordx2 s[26:27], s[4:5], 0x28
	s_ashr_i32 s15, s15, 31
	s_andn2_b64 vcc, exec, s[2:3]
	s_ashr_i32 s19, s19, 31
	s_cbranch_vccnz .LBB42_9
; %bb.8:
	s_mul_i32 s2, s9, s16
	s_add_i32 s2, s2, s6
	s_mul_i32 s2, s2, s12
	s_add_i32 s42, s2, 1
.LBB42_9:
	s_load_dword s2, s[4:5], 0x38
	s_load_dwordx2 s[24:25], s[4:5], 0x0
	s_load_dwordx2 s[30:31], s[4:5], 0x18
	s_load_dword s16, s[4:5], 0x88
	s_xor_b32 s3, s15, s19
	s_waitcnt lgkmcnt(0)
	s_mul_i32 s28, s2, s20
	s_mul_i32 s2, s11, s23
	s_sub_i32 s2, s10, s2
	s_ashr_i32 s29, s28, 31
	s_add_i32 s6, s11, 1
	s_sub_i32 s10, s2, s23
	s_cmp_ge_u32 s2, s23
	s_cselect_b32 s6, s6, s11
	s_cselect_b32 s2, s10, s2
	s_add_i32 s10, s6, 1
	s_cmp_ge_u32 s2, s23
	s_cselect_b32 s2, s10, s6
	s_xor_b32 s2, s2, s3
	s_sub_i32 s12, s2, s3
	s_add_i32 s2, s21, 31
	s_ashr_i32 s3, s2, 31
	s_lshr_b32 s3, s3, 27
	s_add_i32 s2, s2, s3
	s_ashr_i32 s43, s2, 5
	v_lshrrev_b32_e32 v3, 6, v45
	v_cmp_gt_i32_e64 s[2:3], s43, v3
	v_mov_b32_e32 v15, 0xff7fffff
	s_mul_i32 s14, s7, s14
	v_lshrrev_b32_e32 v0, 4, v45
	v_lshlrev_b32_e32 v46, 5, v3
	v_mbcnt_lo_u32_b32 v10, -1, 0
	buffer_store_dword v3, off, s[52:55], 0 ; 4-byte Folded Spill
	s_and_saveexec_b64 s[36:37], s[2:3]
	s_cbranch_execz .LBB42_21
; %bb.10:
	s_load_dwordx2 s[4:5], s[4:5], 0x10
	s_ashr_i32 s15, s14, 31
	s_sub_i32 s34, s12, s17
	s_lshl_b64 s[6:7], s[14:15], 2
	v_bfe_u32 v11, v45, 1, 5
	s_waitcnt lgkmcnt(0)
	s_add_u32 s4, s4, s6
	s_addc_u32 s5, s5, s7
	s_abs_i32 s15, s18
	v_cvt_f32_u32_e32 v3, s15
	v_mov_b32_e32 v6, s5
	s_sub_i32 s5, 0, s15
	v_lshlrev_b32_e32 v5, 4, v11
	v_rcp_iflag_f32_e32 v3, v3
	s_lshl_b64 s[6:7], s[28:29], 2
	v_and_b32_e32 v2, 8, v2
	v_lshlrev_b32_e32 v4, 2, v11
	v_mul_f32_e32 v3, 0x4f7ffffe, v3
	v_cvt_u32_f32_e32 v3, v3
	s_add_u32 s6, s26, s6
	v_lshrrev_b32_e32 v24, 6, v45
	v_cmp_eq_u32_e32 vcc, 0, v1
	v_mul_lo_u32 v7, s5, v3
	v_add_co_u32_e64 v5, s[4:5], s4, v5
	v_addc_co_u32_e64 v6, s[4:5], 0, v6, s[4:5]
	v_mul_hi_u32 v7, v3, v7
	v_add_co_u32_e64 v12, s[4:5], v5, v2
	v_lshlrev_b32_e32 v14, 8, v1
	v_add_u32_e32 v16, v3, v7
	v_subrev_u32_e32 v3, s21, v11
	v_and_b32_e32 v1, 60, v0
	s_addc_u32 s7, s27, s7
	v_add_u32_e32 v18, 1, v3
	v_lshl_or_b32 v3, v24, 7, v4
	v_mbcnt_hi_u32_b32 v21, -1, v10
	v_addc_co_u32_e64 v13, s[4:5], 0, v6, s[4:5]
	v_mov_b32_e32 v2, s7
	v_add_co_u32_e64 v1, s[6:7], s6, v1
	v_add_u32_e32 v19, 0x210, v3
	v_and_b32_e32 v3, 64, v21
	s_mov_b32 s45, s13
	v_cmp_neq_f32_e64 s[4:5], s44, 0
	v_addc_co_u32_e64 v2, s[6:7], 0, v2, s[6:7]
	v_lshlrev_b32_e32 v17, 5, v24
	v_mov_b32_e32 v20, 0xff7fffff
	s_mov_b64 s[38:39], 0
	s_movk_i32 s46, 0x1000
	s_movk_i32 s47, 0x2000
	;; [unrolled: 1-line block ×3, first 2 shown]
	v_xor_b32_e32 v22, 1, v21
	v_add_u32_e32 v23, 64, v3
	v_mov_b32_e32 v15, 0xff7fffff
	s_branch .LBB42_13
.LBB42_11:                              ;   in Loop: Header=BB42_13 Depth=1
	s_or_b64 exec, exec, s[40:41]
.LBB42_12:                              ;   in Loop: Header=BB42_13 Depth=1
	s_or_b64 exec, exec, s[10:11]
	v_add_co_u32_e64 v1, s[6:7], 8, v1
	v_add_u32_e32 v24, 2, v24
	v_addc_co_u32_e64 v2, s[6:7], 0, v2, s[6:7]
	v_cmp_le_i32_e64 s[6:7], s43, v24
	v_add_u32_e32 v17, 64, v17
	s_or_b64 s[38:39], s[6:7], s[38:39]
	v_add_u32_e32 v19, 0x100, v19
	s_andn2_b64 exec, exec, s[38:39]
	s_cbranch_execz .LBB42_20
.LBB42_13:                              ; =>This Inner Loop Header: Depth=1
	v_mul_hi_u32 v3, v17, s33
	s_waitcnt lgkmcnt(0)
	v_mul_lo_u32 v4, v3, s23
	v_add_u32_e32 v5, 1, v3
	v_sub_u32_e32 v4, v17, v4
	v_cmp_le_u32_e64 s[6:7], s23, v4
	v_cndmask_b32_e64 v3, v3, v5, s[6:7]
	v_subrev_u32_e32 v5, s23, v4
	v_cndmask_b32_e64 v4, v4, v5, s[6:7]
	v_add_u32_e32 v5, 1, v3
	v_cmp_le_u32_e64 s[6:7], s23, v4
	v_cndmask_b32_e64 v3, v3, v5, s[6:7]
	v_xor_b32_e32 v3, s19, v3
	v_subrev_u32_e32 v3, s19, v3
	v_add_u32_e32 v4, s42, v3
	v_sub_u32_e32 v5, 0, v4
	v_max_i32_e32 v5, v4, v5
	v_mul_hi_u32 v6, v5, v16
	v_ashrrev_i32_e32 v4, 31, v4
	v_cmp_ge_i32_e64 s[10:11], s34, v3
	v_mul_lo_u32 v6, v6, s15
	v_sub_u32_e32 v5, v5, v6
	v_subrev_u32_e32 v6, s15, v5
	v_cmp_le_u32_e64 s[6:7], s15, v5
	v_cndmask_b32_e64 v5, v5, v6, s[6:7]
	v_subrev_u32_e32 v6, s15, v5
	v_cmp_le_u32_e64 s[6:7], s15, v5
	v_cndmask_b32_e64 v5, v5, v6, s[6:7]
	v_xor_b32_e32 v5, v5, v4
	v_sub_u32_e32 v4, v5, v4
	v_cmp_ne_u32_e64 s[6:7], 0, v4
	s_and_b64 s[6:7], s[6:7], s[10:11]
	s_and_saveexec_b64 s[10:11], s[6:7]
	s_xor_b64 s[6:7], exec, s[10:11]
	s_cbranch_execz .LBB42_17
; %bb.14:                               ;   in Loop: Header=BB42_13 Depth=1
	s_and_saveexec_b64 s[10:11], vcc
; %bb.15:                               ;   in Loop: Header=BB42_13 Depth=1
	ds_write_b32 v19, v20
; %bb.16:                               ;   in Loop: Header=BB42_13 Depth=1
	s_or_b64 exec, exec, s[10:11]
.LBB42_17:                              ;   in Loop: Header=BB42_13 Depth=1
	s_andn2_saveexec_b64 s[10:11], s[6:7]
	s_cbranch_execz .LBB42_12
; %bb.18:                               ;   in Loop: Header=BB42_13 Depth=1
	global_load_dword v3, v[1:2], off
	s_waitcnt vmcnt(0)
	v_mad_i64_i32 v[3:4], s[6:7], v3, s45, 0
	v_lshlrev_b64 v[3:4], 2, v[3:4]
	v_add_co_u32_e64 v3, s[6:7], v12, v3
	v_addc_co_u32_e64 v4, s[6:7], v13, v4, s[6:7]
	global_load_dwordx2 v[25:26], v[3:4], off offset:512
	ds_read_b128 v[5:8], v14
	ds_read_b128 v[27:30], v14 offset:16
	global_load_dwordx2 v[31:32], v[3:4], off offset:1024
	global_load_dwordx2 v[33:34], v[3:4], off offset:1536
	s_waitcnt vmcnt(2) lgkmcnt(1)
	v_mul_f32_e32 v25, v7, v25
	v_mul_f32_e32 v26, v8, v26
	global_load_dwordx2 v[7:8], v[3:4], off
	global_load_dwordx2 v[35:36], v[3:4], off offset:2048
	global_load_dwordx2 v[37:38], v[3:4], off offset:2560
	s_waitcnt vmcnt(2)
	v_fmac_f32_e32 v25, v5, v7
	v_fmac_f32_e32 v26, v6, v8
	s_waitcnt lgkmcnt(0)
	v_fmac_f32_e32 v25, v27, v31
	v_fmac_f32_e32 v26, v28, v32
	;; [unrolled: 1-line block ×4, first 2 shown]
	global_load_dwordx2 v[31:32], v[3:4], off offset:3072
	global_load_dwordx2 v[33:34], v[3:4], off offset:3584
	ds_read_b128 v[5:8], v14 offset:32
	ds_read_b128 v[27:30], v14 offset:48
	s_waitcnt vmcnt(3) lgkmcnt(1)
	v_fmac_f32_e32 v25, v5, v35
	v_fmac_f32_e32 v26, v6, v36
	s_waitcnt vmcnt(2)
	v_fmac_f32_e32 v25, v7, v37
	v_add_co_u32_e64 v7, s[6:7], s47, v3
	v_fmac_f32_e32 v26, v8, v38
	v_addc_co_u32_e64 v8, s[6:7], 0, v4, s[6:7]
	global_load_dwordx2 v[35:36], v[7:8], off offset:-4096
	v_add_co_u32_e64 v37, s[6:7], s46, v3
	v_addc_co_u32_e64 v38, s[6:7], 0, v4, s[6:7]
	v_add_co_u32_e64 v5, s[6:7], s48, v3
	v_addc_co_u32_e64 v6, s[6:7], 0, v4, s[6:7]
	global_load_dwordx2 v[3:4], v[5:6], off offset:3584
	v_cmp_lt_i32_e64 s[6:7], v22, v23
	s_waitcnt vmcnt(3) lgkmcnt(0)
	v_fmac_f32_e32 v25, v27, v31
	v_fmac_f32_e32 v26, v28, v32
	s_waitcnt vmcnt(2)
	v_fmac_f32_e32 v25, v29, v33
	v_fmac_f32_e32 v26, v30, v34
	ds_read_b128 v[27:30], v14 offset:64
	ds_read_b128 v[31:34], v14 offset:80
	s_waitcnt vmcnt(1) lgkmcnt(1)
	v_fmac_f32_e32 v25, v27, v35
	v_fmac_f32_e32 v26, v28, v36
	global_load_dwordx2 v[27:28], v[37:38], off offset:512
	global_load_dwordx2 v[35:36], v[37:38], off offset:1024
	;; [unrolled: 1-line block ×4, first 2 shown]
	s_waitcnt vmcnt(3)
	v_fmac_f32_e32 v25, v29, v27
	v_fmac_f32_e32 v26, v30, v28
	s_waitcnt vmcnt(2) lgkmcnt(0)
	v_fmac_f32_e32 v25, v31, v35
	v_fmac_f32_e32 v26, v32, v36
	s_waitcnt vmcnt(1)
	v_fmac_f32_e32 v25, v33, v39
	v_fmac_f32_e32 v26, v34, v40
	ds_read_b128 v[27:30], v14 offset:96
	ds_read_b128 v[31:34], v14 offset:112
	s_waitcnt vmcnt(0) lgkmcnt(1)
	v_fmac_f32_e32 v25, v27, v41
	v_fmac_f32_e32 v26, v28, v42
	global_load_dwordx2 v[27:28], v[37:38], off offset:2560
	global_load_dwordx2 v[35:36], v[37:38], off offset:3072
	s_nop 0
	global_load_dwordx2 v[37:38], v[37:38], off offset:3584
	s_nop 0
	global_load_dwordx2 v[39:40], v[5:6], off
	s_waitcnt vmcnt(3)
	v_fmac_f32_e32 v25, v29, v27
	v_fmac_f32_e32 v26, v30, v28
	s_waitcnt vmcnt(2) lgkmcnt(0)
	v_fmac_f32_e32 v25, v31, v35
	v_fmac_f32_e32 v26, v32, v36
	s_waitcnt vmcnt(1)
	v_fmac_f32_e32 v25, v33, v37
	v_fmac_f32_e32 v26, v34, v38
	global_load_dwordx2 v[35:36], v[7:8], off
	global_load_dwordx2 v[37:38], v[7:8], off offset:512
	global_load_dwordx2 v[41:42], v[7:8], off offset:1024
	;; [unrolled: 1-line block ×3, first 2 shown]
	ds_read_b128 v[27:30], v14 offset:128
	ds_read_b128 v[31:34], v14 offset:144
	s_waitcnt vmcnt(3) lgkmcnt(1)
	v_fmac_f32_e32 v25, v27, v35
	v_fmac_f32_e32 v26, v28, v36
	s_waitcnt vmcnt(2)
	v_fmac_f32_e32 v25, v29, v37
	v_fmac_f32_e32 v26, v30, v38
	s_waitcnt vmcnt(1) lgkmcnt(0)
	v_fmac_f32_e32 v25, v31, v41
	v_fmac_f32_e32 v26, v32, v42
	global_load_dwordx2 v[35:36], v[7:8], off offset:2048
	global_load_dwordx2 v[37:38], v[7:8], off offset:2560
	;; [unrolled: 1-line block ×3, first 2 shown]
	s_nop 0
	global_load_dwordx2 v[7:8], v[7:8], off offset:3584
	s_waitcnt vmcnt(4)
	v_fmac_f32_e32 v25, v33, v43
	v_fmac_f32_e32 v26, v34, v44
	ds_read_b128 v[27:30], v14 offset:160
	ds_read_b128 v[31:34], v14 offset:176
	s_waitcnt vmcnt(3) lgkmcnt(1)
	v_fmac_f32_e32 v25, v27, v35
	v_fmac_f32_e32 v26, v28, v36
	s_waitcnt vmcnt(2)
	v_fmac_f32_e32 v25, v29, v37
	v_fmac_f32_e32 v26, v30, v38
	s_waitcnt vmcnt(1) lgkmcnt(0)
	v_fmac_f32_e32 v25, v31, v41
	v_fmac_f32_e32 v26, v32, v42
	s_waitcnt vmcnt(0)
	v_fmac_f32_e32 v25, v33, v7
	v_fmac_f32_e32 v26, v34, v8
	ds_read_b128 v[27:30], v14 offset:192
	ds_read_b128 v[31:34], v14 offset:208
	s_waitcnt lgkmcnt(1)
	v_fmac_f32_e32 v25, v27, v39
	v_fmac_f32_e32 v26, v28, v40
	global_load_dwordx2 v[7:8], v[5:6], off offset:512
	global_load_dwordx2 v[27:28], v[5:6], off offset:1024
	;; [unrolled: 1-line block ×4, first 2 shown]
	s_waitcnt vmcnt(3)
	v_fmac_f32_e32 v25, v7, v29
	v_fmac_f32_e32 v26, v8, v30
	s_waitcnt vmcnt(2) lgkmcnt(0)
	v_fmac_f32_e32 v25, v27, v31
	v_fmac_f32_e32 v26, v28, v32
	s_waitcnt vmcnt(1)
	v_fmac_f32_e32 v25, v35, v33
	v_fmac_f32_e32 v26, v36, v34
	ds_read_b128 v[27:30], v14 offset:224
	ds_read_b128 v[31:34], v14 offset:240
	global_load_dwordx2 v[7:8], v[5:6], off offset:2560
	s_nop 0
	global_load_dwordx2 v[5:6], v[5:6], off offset:3072
	s_waitcnt vmcnt(2) lgkmcnt(1)
	v_fmac_f32_e32 v25, v37, v27
	v_fmac_f32_e32 v26, v38, v28
	s_waitcnt vmcnt(1)
	v_fmac_f32_e32 v25, v7, v29
	v_fmac_f32_e32 v26, v8, v30
	s_waitcnt vmcnt(0) lgkmcnt(0)
	v_fmac_f32_e32 v25, v5, v31
	v_fmac_f32_e32 v26, v6, v32
	v_cndmask_b32_e64 v7, v21, v22, s[6:7]
	v_fmac_f32_e32 v25, v3, v33
	v_fmac_f32_e32 v26, v4, v34
	v_lshlrev_b32_e32 v7, 2, v7
	v_add_f32_e32 v3, v25, v26
	ds_bpermute_b32 v4, v7, v3
	s_and_saveexec_b64 s[40:41], vcc
	s_cbranch_execz .LBB42_11
; %bb.19:                               ;   in Loop: Header=BB42_13 Depth=1
	v_add_u32_e32 v5, v18, v17
	v_cvt_f32_i32_e32 v5, v5
	s_waitcnt lgkmcnt(0)
	v_add_f32_e32 v3, v3, v4
	v_add_u32_e32 v6, v11, v17
	v_cmp_gt_i32_e64 s[6:7], s21, v6
	v_mul_f32_e32 v4, s44, v5
	v_cndmask_b32_e64 v4, 0, v4, s[4:5]
	v_fmac_f32_e32 v4, s35, v3
	v_cndmask_b32_e64 v3, 0, v4, s[6:7]
	ds_write_b32 v19, v3
	v_max_f32_e32 v3, v15, v15
	v_max_f32_e32 v3, v3, v4
	v_cndmask_b32_e64 v15, v15, v3, s[6:7]
	s_branch .LBB42_11
.LBB42_20:
	s_or_b64 exec, exec, s[38:39]
.LBB42_21:
	s_or_b64 exec, exec, s[36:37]
	v_mbcnt_hi_u32_b32 v1, -1, v10
	v_and_b32_e32 v7, 64, v1
	v_add_u32_e32 v8, 64, v7
	v_xor_b32_e32 v2, 32, v1
	v_cmp_lt_i32_e32 vcc, v2, v8
	v_cndmask_b32_e32 v2, v1, v2, vcc
	v_lshlrev_b32_e32 v2, 2, v2
	ds_bpermute_b32 v3, v2, v15
	v_xor_b32_e32 v5, 16, v1
	s_waitcnt lgkmcnt(1)
	v_max_f32_e32 v4, v15, v15
	v_cmp_lt_i32_e32 vcc, v5, v8
	v_xor_b32_e32 v6, 8, v1
	s_waitcnt lgkmcnt(0)
	v_max_f32_e32 v3, v3, v3
	v_max_f32_e32 v4, v4, v3
	v_cndmask_b32_e32 v3, v1, v5, vcc
	v_lshlrev_b32_e32 v3, 2, v3
	ds_bpermute_b32 v5, v3, v4
	v_cmp_lt_i32_e32 vcc, v6, v8
	v_xor_b32_e32 v10, 4, v1
	v_and_b32_e32 v22, 63, v45
	s_waitcnt lgkmcnt(0)
	v_max_f32_e32 v5, v5, v5
	v_max_f32_e32 v5, v4, v5
	v_cndmask_b32_e32 v4, v1, v6, vcc
	v_lshlrev_b32_e32 v4, 2, v4
	ds_bpermute_b32 v6, v4, v5
	v_cmp_lt_i32_e32 vcc, v10, v8
	s_waitcnt lgkmcnt(0)
	v_max_f32_e32 v6, v6, v6
	v_max_f32_e32 v5, v5, v6
	v_cndmask_b32_e32 v6, v1, v10, vcc
	v_lshlrev_b32_e32 v17, 2, v6
	ds_bpermute_b32 v6, v17, v5
	v_xor_b32_e32 v10, 2, v1
	v_cmp_lt_i32_e32 vcc, v10, v8
	s_waitcnt lgkmcnt(0)
	v_max_f32_e32 v6, v6, v6
	v_max_f32_e32 v6, v5, v6
	v_cndmask_b32_e32 v5, v1, v10, vcc
	v_lshlrev_b32_e32 v20, 2, v5
	ds_bpermute_b32 v10, v20, v6
	v_lshrrev_b32_e32 v5, 6, v45
	v_cmp_eq_u32_e32 vcc, 0, v22
	v_lshlrev_b32_e32 v5, 2, v5
	s_and_saveexec_b64 s[4:5], vcc
	s_cbranch_execz .LBB42_23
; %bb.22:
	s_waitcnt lgkmcnt(0)
	v_max_f32_e32 v10, v10, v10
	v_max_f32_e32 v6, v6, v6
	v_max_f32_e32 v6, v6, v10
	ds_write_b32 v5, v6 offset:512
.LBB42_23:
	s_or_b64 exec, exec, s[4:5]
	v_cmp_gt_u32_e64 s[4:5], 2, v22
	s_waitcnt lgkmcnt(0)
	v_mov_b32_e32 v10, 0xff7fffff
	v_lshlrev_b32_e32 v6, 2, v22
	s_waitcnt vmcnt(0)
	s_barrier
	s_and_saveexec_b64 s[6:7], s[4:5]
; %bb.24:
	ds_read_b32 v10, v6 offset:512
; %bb.25:
	s_or_b64 exec, exec, s[6:7]
	v_xor_b32_e32 v11, 1, v1
	v_cmp_lt_i32_e64 s[6:7], v11, v8
	v_cndmask_b32_e64 v8, v1, v11, s[6:7]
	v_lshlrev_b32_e32 v23, 2, v8
	s_waitcnt lgkmcnt(0)
	ds_bpermute_b32 v8, v23, v10
	v_max_f32_e32 v10, v10, v10
	v_lshlrev_b32_e32 v7, 2, v7
	s_lshl_b32 s6, s43, 5
	s_min_i32 s15, s6, s21
	s_waitcnt lgkmcnt(0)
	v_max_f32_e32 v8, v8, v8
	v_max_f32_e32 v8, v10, v8
	ds_bpermute_b32 v8, v7, v8
	v_cmp_gt_i32_e64 s[6:7], s15, v45
	v_mov_b32_e32 v7, 0
	s_and_saveexec_b64 s[34:35], s[6:7]
	s_cbranch_execz .LBB42_29
; %bb.26:
	v_mov_b32_e32 v7, 0x210
	v_lshl_add_u32 v10, v45, 2, v7
	v_mov_b32_e32 v7, 0
	s_mov_b64 s[36:37], 0
	v_mov_b32_e32 v11, v45
.LBB42_27:                              ; =>This Inner Loop Header: Depth=1
	ds_read_b32 v12, v10
	v_add_u32_e32 v11, 0x80, v11
	v_cmp_le_i32_e64 s[10:11], s15, v11
	s_or_b64 s[36:37], s[10:11], s[36:37]
	s_waitcnt lgkmcnt(0)
	v_sub_f32_e32 v12, v12, v8
	v_mul_f32_e32 v12, 0x3fb8aa3b, v12
	v_exp_f32_e32 v12, v12
	ds_write_b32 v10, v12
	v_add_f32_e32 v7, v7, v12
	v_add_u32_e32 v10, 0x200, v10
	s_andn2_b64 exec, exec, s[36:37]
	s_cbranch_execnz .LBB42_27
; %bb.28:
	s_or_b64 exec, exec, s[36:37]
.LBB42_29:
	s_or_b64 exec, exec, s[34:35]
	ds_bpermute_b32 v2, v2, v7
	s_waitcnt lgkmcnt(0)
	v_add_f32_e32 v2, v7, v2
	ds_bpermute_b32 v3, v3, v2
	s_waitcnt lgkmcnt(0)
	v_add_f32_e32 v2, v2, v3
	;; [unrolled: 3-line block ×6, first 2 shown]
	s_and_saveexec_b64 s[10:11], vcc
; %bb.30:
	ds_write_b32 v5, v2 offset:520
; %bb.31:
	s_or_b64 exec, exec, s[10:11]
	s_waitcnt lgkmcnt(0)
	s_barrier
	s_and_saveexec_b64 s[10:11], s[4:5]
; %bb.32:
	ds_read_b32 v2, v6 offset:520
; %bb.33:
	s_or_b64 exec, exec, s[10:11]
	s_waitcnt lgkmcnt(0)
	ds_bpermute_b32 v3, v23, v2
	v_lshlrev_b32_e32 v1, 2, v1
	v_and_b32_e32 v1, 0x100, v1
	s_waitcnt lgkmcnt(0)
	v_add_f32_e32 v2, v2, v3
	ds_bpermute_b32 v1, v1, v2
	s_and_saveexec_b64 s[4:5], s[6:7]
	s_cbranch_execz .LBB42_36
; %bb.34:
	s_waitcnt lgkmcnt(0)
	v_add_f32_e32 v2, 0x358637bd, v1
	v_div_scale_f32 v1, s[6:7], v2, v2, 1.0
	v_div_scale_f32 v3, vcc, 1.0, v2, 1.0
	s_mov_b64 s[6:7], 0
	v_rcp_f32_e32 v4, v1
	v_fma_f32 v5, -v1, v4, 1.0
	v_fmac_f32_e32 v4, v5, v4
	v_mul_f32_e32 v5, v3, v4
	v_fma_f32 v6, -v1, v5, v3
	v_fmac_f32_e32 v5, v6, v4
	v_fma_f32 v1, -v1, v5, v3
	v_div_fmas_f32 v3, v1, v4, v5
	v_mov_b32_e32 v1, 0x210
	v_lshl_add_u32 v1, v45, 2, v1
	v_div_fixup_f32 v2, v3, v2, 1.0
	v_mov_b32_e32 v3, v45
.LBB42_35:                              ; =>This Inner Loop Header: Depth=1
	ds_read_b32 v4, v1
	v_add_u32_e32 v3, 0x80, v3
	v_cmp_le_i32_e32 vcc, s15, v3
	s_or_b64 s[6:7], vcc, s[6:7]
	s_waitcnt lgkmcnt(0)
	v_mul_f32_e32 v4, v2, v4
	ds_write_b32 v1, v4
	v_add_u32_e32 v1, 0x200, v1
	s_andn2_b64 exec, exec, s[6:7]
	s_cbranch_execnz .LBB42_35
.LBB42_36:
	s_or_b64 exec, exec, s[4:5]
	v_mov_b32_e32 v4, 0
	s_waitcnt lgkmcnt(0)
	v_and_b32_e32 v1, 7, v45
	v_mov_b32_e32 v6, 0
	v_mov_b32_e32 v5, 0
	;; [unrolled: 1-line block ×15, first 2 shown]
	s_barrier
	buffer_store_dword v1, off, s[52:55], 0 offset:140 ; 4-byte Folded Spill
	s_and_saveexec_b64 s[4:5], s[2:3]
	s_cbranch_execz .LBB42_74
; %bb.37:
	s_ashr_i32 s15, s14, 31
	s_sub_i32 s17, s12, s17
	s_lshl_b64 s[2:3], s[14:15], 2
	s_add_u32 s14, s30, s2
	s_addc_u32 s15, s31, s3
	s_abs_i32 s18, s18
	v_cvt_f32_u32_e32 v1, s18
	s_sub_i32 s2, 0, s18
	s_add_i32 s31, s43, -1
	buffer_store_dword v23, off, s[52:55], 0 offset:160 ; 4-byte Folded Spill
	buffer_store_dword v20, off, s[52:55], 0 offset:156 ; 4-byte Folded Spill
	;; [unrolled: 1-line block ×5, first 2 shown]
	v_rcp_iflag_f32_e32 v1, v1
	v_and_b32_e32 v0, 60, v0
	v_and_b32_e32 v2, 28, v9
	buffer_store_dword v2, off, s[52:55], 0 offset:128 ; 4-byte Folded Spill
	v_mul_f32_e32 v1, 0x4f7ffffe, v1
	v_cvt_u32_f32_e32 v1, v1
	v_and_b32_e32 v2, 0xfc, v9
	v_mov_b32_e32 v3, 0
	buffer_store_dword v3, off, s[52:55], 0 offset:60 ; 4-byte Folded Spill
	v_mul_lo_u32 v4, s2, v1
	s_lshl_b64 s[2:3], s[28:29], 2
	s_add_u32 s2, s26, s2
	v_add_co_u32_e32 v61, vcc, s2, v0
	v_mul_hi_u32 v4, v1, v4
	buffer_load_dword v0, off, s[52:55], 0 offset:140 ; 4-byte Folded Reload
	v_or_b32_e32 v3, 0xf00, v9
	s_addc_u32 s3, s27, s3
	v_add_u32_e32 v1, v1, v4
	buffer_store_dword v1, off, s[52:55], 0 offset:120 ; 4-byte Folded Spill
	buffer_load_dword v1, off, s[52:55], 0  ; 4-byte Folded Reload
	v_mov_b32_e32 v5, s3
	s_mov_b32 s30, s13
	v_addc_co_u32_e32 v62, vcc, 0, v5, vcc
	s_mov_b64 s[6:7], 0
	v_mov_b32_e32 v10, 0
	s_waitcnt vmcnt(2)
	v_lshlrev_b32_e32 v0, 4, v0
	s_waitcnt vmcnt(0)
	v_lshl_or_b32 v0, v1, 7, v0
	v_lshlrev_b32_e32 v1, 2, v2
	buffer_store_dword v1, off, s[52:55], 0 offset:132 ; 4-byte Folded Spill
	v_lshlrev_b32_e32 v1, 2, v3
	buffer_store_dword v1, off, s[52:55], 0 offset:136 ; 4-byte Folded Spill
	v_mov_b32_e32 v1, 0
	buffer_store_dword v1, off, s[52:55], 0 offset:64 ; 4-byte Folded Spill
	v_mov_b32_e32 v1, 0
	;; [unrolled: 2-line block ×13, first 2 shown]
	v_add_u32_e32 v0, 0x210, v0
	buffer_store_dword v1, off, s[52:55], 0 offset:116 ; 4-byte Folded Spill
	v_mov_b32_e32 v1, 0
	buffer_store_dword v0, off, s[52:55], 0 offset:4 ; 4-byte Folded Spill
	buffer_store_dword v1, off, s[52:55], 0 offset:112 ; 4-byte Folded Spill
	s_branch .LBB42_40
.LBB42_38:                              ;   in Loop: Header=BB42_40 Depth=1
	s_or_b64 exec, exec, s[12:13]
	s_waitcnt lgkmcnt(0)
	v_mul_f32_e32 v9, v1, v9
	v_fmac_f32_e32 v9, v2, v10
	v_fmac_f32_e32 v9, v3, v11
	;; [unrolled: 1-line block ×3, first 2 shown]
	buffer_load_dword v12, off, s[52:55], 0 offset:64 ; 4-byte Folded Reload
	v_mul_f32_e32 v5, v1, v5
	v_fmac_f32_e32 v5, v2, v6
	v_fmac_f32_e32 v5, v3, v7
	v_fmac_f32_e32 v5, v4, v8
	v_mul_f32_e32 v6, v1, v57
	v_fmac_f32_e32 v6, v2, v58
	v_fmac_f32_e32 v6, v3, v59
	v_fmac_f32_e32 v6, v4, v60
	;; [unrolled: 4-line block ×6, first 2 shown]
	s_waitcnt vmcnt(0)
	v_add_f32_e32 v12, v12, v9
	buffer_load_dword v9, off, s[52:55], 0 offset:68 ; 4-byte Folded Reload
	s_waitcnt vmcnt(0)
	v_add_f32_e32 v9, v9, v5
	buffer_load_dword v5, off, s[52:55], 0 offset:72 ; 4-byte Folded Reload
	s_waitcnt vmcnt(0)
	v_add_f32_e32 v5, v5, v6
	buffer_store_dword v5, off, s[52:55], 0 offset:72 ; 4-byte Folded Spill
	buffer_load_dword v5, off, s[52:55], 0 offset:76 ; 4-byte Folded Reload
	s_nop 0
	buffer_load_dword v6, off, s[52:55], 0 offset:92 ; 4-byte Folded Reload
	s_waitcnt vmcnt(1)
	v_add_f32_e32 v5, v5, v7
	buffer_store_dword v5, off, s[52:55], 0 offset:76 ; 4-byte Folded Spill
	buffer_load_dword v5, off, s[52:55], 0 offset:80 ; 4-byte Folded Reload
	s_waitcnt vmcnt(0)
	v_add_f32_e32 v5, v5, v8
	buffer_store_dword v5, off, s[52:55], 0 offset:80 ; 4-byte Folded Spill
	;; [unrolled: 4-line block ×3, first 2 shown]
	buffer_load_dword v5, off, s[52:55], 0 offset:88 ; 4-byte Folded Reload
	s_nop 0
	buffer_load_dword v10, off, s[52:55], 0 offset:124 ; 4-byte Folded Reload
	s_waitcnt vmcnt(1)
	v_add_f32_e32 v5, v5, v11
	buffer_store_dword v5, off, s[52:55], 0 offset:88 ; 4-byte Folded Spill
	v_mul_f32_e32 v5, v1, v33
	v_fmac_f32_e32 v5, v2, v34
	v_fmac_f32_e32 v5, v3, v35
	;; [unrolled: 1-line block ×3, first 2 shown]
	v_add_f32_e32 v6, v6, v5
	buffer_store_dword v6, off, s[52:55], 0 offset:92 ; 4-byte Folded Spill
	buffer_load_dword v6, off, s[52:55], 0 offset:96 ; 4-byte Folded Reload
	v_mul_f32_e32 v5, v1, v29
	v_fmac_f32_e32 v5, v2, v30
	v_fmac_f32_e32 v5, v3, v31
	;; [unrolled: 1-line block ×3, first 2 shown]
	s_waitcnt vmcnt(3)
	v_add_f32_e32 v10, v10, v5
	v_mul_f32_e32 v5, v1, v25
	v_fmac_f32_e32 v5, v2, v26
	v_fmac_f32_e32 v5, v3, v27
	;; [unrolled: 1-line block ×3, first 2 shown]
	buffer_store_dword v12, off, s[52:55], 0 offset:64 ; 4-byte Folded Spill
	buffer_store_dword v9, off, s[52:55], 0 offset:68 ; 4-byte Folded Spill
	s_waitcnt vmcnt(2)
	v_add_f32_e32 v6, v6, v5
	buffer_store_dword v6, off, s[52:55], 0 offset:96 ; 4-byte Folded Spill
	buffer_load_dword v6, off, s[52:55], 0 offset:100 ; 4-byte Folded Reload
	v_mul_f32_e32 v5, v1, v21
	v_fmac_f32_e32 v5, v2, v22
	v_fmac_f32_e32 v5, v3, v23
	;; [unrolled: 1-line block ×3, first 2 shown]
	s_waitcnt vmcnt(0)
	v_add_f32_e32 v6, v6, v5
	buffer_store_dword v6, off, s[52:55], 0 offset:100 ; 4-byte Folded Spill
	buffer_load_dword v6, off, s[52:55], 0 offset:104 ; 4-byte Folded Reload
	v_mul_f32_e32 v5, v1, v17
	v_fmac_f32_e32 v5, v2, v18
	v_fmac_f32_e32 v5, v3, v19
	;; [unrolled: 1-line block ×3, first 2 shown]
	s_waitcnt vmcnt(0)
	v_add_f32_e32 v6, v6, v5
	buffer_store_dword v6, off, s[52:55], 0 offset:104 ; 4-byte Folded Spill
	buffer_load_dword v5, off, s[52:55], 0 offset:44 ; 4-byte Folded Reload
	s_nop 0
	buffer_load_dword v6, off, s[52:55], 0 offset:48 ; 4-byte Folded Reload
	buffer_load_dword v7, off, s[52:55], 0 offset:52 ; 4-byte Folded Reload
	;; [unrolled: 1-line block ×3, first 2 shown]
	s_waitcnt vmcnt(3)
	v_mul_f32_e32 v5, v1, v5
	s_waitcnt vmcnt(2)
	v_fmac_f32_e32 v5, v2, v6
	buffer_load_dword v6, off, s[52:55], 0 offset:108 ; 4-byte Folded Reload
	s_waitcnt vmcnt(2)
	v_fmac_f32_e32 v5, v3, v7
	s_waitcnt vmcnt(1)
	v_fmac_f32_e32 v5, v4, v8
	s_waitcnt vmcnt(0)
	v_add_f32_e32 v6, v6, v5
	buffer_store_dword v6, off, s[52:55], 0 offset:108 ; 4-byte Folded Spill
	buffer_load_dword v5, off, s[52:55], 0 offset:28 ; 4-byte Folded Reload
	s_nop 0
	buffer_load_dword v6, off, s[52:55], 0 offset:32 ; 4-byte Folded Reload
	buffer_load_dword v7, off, s[52:55], 0 offset:36 ; 4-byte Folded Reload
	;; [unrolled: 1-line block ×3, first 2 shown]
	s_waitcnt vmcnt(3)
	v_mul_f32_e32 v5, v1, v5
	s_waitcnt vmcnt(2)
	v_fmac_f32_e32 v5, v2, v6
	buffer_load_dword v6, off, s[52:55], 0 offset:116 ; 4-byte Folded Reload
	s_waitcnt vmcnt(2)
	v_fmac_f32_e32 v5, v3, v7
	s_waitcnt vmcnt(1)
	v_fmac_f32_e32 v5, v4, v8
	s_waitcnt vmcnt(0)
	v_add_f32_e32 v6, v6, v5
	buffer_store_dword v6, off, s[52:55], 0 offset:116 ; 4-byte Folded Spill
	buffer_load_dword v5, off, s[52:55], 0 offset:12 ; 4-byte Folded Reload
	s_nop 0
	buffer_load_dword v6, off, s[52:55], 0 offset:16 ; 4-byte Folded Reload
	buffer_load_dword v7, off, s[52:55], 0 offset:20 ; 4-byte Folded Reload
	;; [unrolled: 1-line block ×3, first 2 shown]
	s_waitcnt vmcnt(3)
	v_mul_f32_e32 v5, v1, v5
	v_mul_f32_e32 v1, v1, v53
	s_waitcnt vmcnt(2)
	v_fmac_f32_e32 v5, v2, v6
	buffer_load_dword v6, off, s[52:55], 0 offset:112 ; 4-byte Folded Reload
	v_fmac_f32_e32 v1, v2, v54
	buffer_load_dword v2, off, s[52:55], 0 offset:60 ; 4-byte Folded Reload
	s_waitcnt vmcnt(3)
	v_fmac_f32_e32 v5, v3, v7
	v_fmac_f32_e32 v1, v3, v55
	s_waitcnt vmcnt(2)
	v_fmac_f32_e32 v5, v4, v8
	v_fmac_f32_e32 v1, v4, v56
	s_waitcnt vmcnt(1)
	v_add_f32_e32 v6, v6, v5
	buffer_store_dword v6, off, s[52:55], 0 offset:112 ; 4-byte Folded Spill
	s_waitcnt vmcnt(1)
	v_add_f32_e32 v2, v2, v1
	buffer_store_dword v2, off, s[52:55], 0 offset:60 ; 4-byte Folded Spill
.LBB42_39:                              ;   in Loop: Header=BB42_40 Depth=1
	s_or_b64 exec, exec, s[10:11]
	buffer_load_dword v1, off, s[52:55], 0  ; 4-byte Folded Reload
	buffer_load_dword v46, off, s[52:55], 0 offset:8 ; 4-byte Folded Reload
	buffer_load_dword v0, off, s[52:55], 0 offset:4 ; 4-byte Folded Reload
	v_add_co_u32_e32 v61, vcc, 8, v61
	v_addc_co_u32_e32 v62, vcc, 0, v62, vcc
	s_waitcnt vmcnt(2)
	v_add_u32_e32 v1, 2, v1
	v_cmp_le_i32_e32 vcc, s43, v1
	s_waitcnt vmcnt(1)
	v_add_u32_e32 v46, 64, v46
	s_or_b64 s[6:7], vcc, s[6:7]
	s_waitcnt vmcnt(0)
	v_add_u32_e32 v0, 0x100, v0
	buffer_store_dword v1, off, s[52:55], 0 ; 4-byte Folded Spill
	buffer_store_dword v0, off, s[52:55], 0 offset:4 ; 4-byte Folded Spill
	s_andn2_b64 exec, exec, s[6:7]
	s_cbranch_execz .LBB42_73
.LBB42_40:                              ; =>This Inner Loop Header: Depth=1
	buffer_load_dword v4, off, s[52:55], 0 offset:120 ; 4-byte Folded Reload
	v_mul_hi_u32 v1, v46, s33
	buffer_store_dword v46, off, s[52:55], 0 offset:8 ; 4-byte Folded Spill
	v_mul_lo_u32 v2, v1, s23
	v_add_u32_e32 v3, 1, v1
	v_sub_u32_e32 v2, v46, v2
	v_cmp_le_u32_e32 vcc, s23, v2
	v_cndmask_b32_e32 v1, v1, v3, vcc
	v_subrev_u32_e32 v3, s23, v2
	v_cndmask_b32_e32 v2, v2, v3, vcc
	v_add_u32_e32 v3, 1, v1
	v_cmp_le_u32_e32 vcc, s23, v2
	v_cndmask_b32_e32 v1, v1, v3, vcc
	v_xor_b32_e32 v1, s19, v1
	v_subrev_u32_e32 v1, s19, v1
	v_add_u32_e32 v2, s42, v1
	v_sub_u32_e32 v3, 0, v2
	v_max_i32_e32 v3, v2, v3
	v_ashrrev_i32_e32 v2, 31, v2
	v_cmp_lt_i32_e64 s[2:3], s17, v1
	s_waitcnt vmcnt(1)
	v_mul_hi_u32 v4, v3, v4
	v_mul_lo_u32 v4, v4, s18
	v_sub_u32_e32 v3, v3, v4
	v_subrev_u32_e32 v4, s18, v3
	v_cmp_le_u32_e32 vcc, s18, v3
	v_cndmask_b32_e32 v3, v3, v4, vcc
	v_subrev_u32_e32 v4, s18, v3
	v_cmp_le_u32_e32 vcc, s18, v3
	v_cndmask_b32_e32 v3, v3, v4, vcc
	v_xor_b32_e32 v3, v3, v2
	v_sub_u32_e32 v2, v3, v2
	v_cmp_eq_u32_e32 vcc, 0, v2
	s_or_b64 s[2:3], vcc, s[2:3]
	s_and_saveexec_b64 s[10:11], s[2:3]
	s_cbranch_execz .LBB42_39
; %bb.41:                               ;   in Loop: Header=BB42_40 Depth=1
	global_load_dword v1, v[61:62], off
	v_mov_b32_e32 v3, s15
	buffer_store_dword v10, off, s[52:55], 0 offset:124 ; 4-byte Folded Spill
	s_waitcnt vmcnt(1)
	v_mad_i64_i32 v[1:2], s[2:3], v1, s30, 0
	v_lshlrev_b64 v[1:2], 2, v[1:2]
	v_add_co_u32_e32 v15, vcc, s14, v1
	buffer_load_dword v1, off, s[52:55], 0 offset:132 ; 4-byte Folded Reload
	v_addc_co_u32_e32 v16, vcc, v3, v2, vcc
	s_waitcnt vmcnt(0)
	v_add_co_u32_e32 v9, vcc, v15, v1
	v_addc_co_u32_e32 v10, vcc, 0, v16, vcc
	global_load_dwordx4 v[1:4], v[9:10], off
	s_waitcnt vmcnt(0)
	buffer_store_dword v1, off, s[52:55], 0 offset:12 ; 4-byte Folded Spill
	s_nop 0
	buffer_store_dword v2, off, s[52:55], 0 offset:16 ; 4-byte Folded Spill
	buffer_store_dword v3, off, s[52:55], 0 offset:20 ; 4-byte Folded Spill
	;; [unrolled: 1-line block ×3, first 2 shown]
	buffer_load_dword v1, off, s[52:55], 0 offset:8 ; 4-byte Folded Reload
	s_nop 0
	buffer_load_dword v2, off, s[52:55], 0 offset:128 ; 4-byte Folded Reload
	buffer_load_dword v0, off, s[52:55], 0 offset:4 ; 4-byte Folded Reload
	buffer_load_dword v5, off, s[52:55], 0  ; 4-byte Folded Reload
	s_waitcnt vmcnt(2)
	v_add_u32_e32 v6, v2, v1
	s_waitcnt vmcnt(1)
	ds_read_b128 v[1:4], v0
	s_waitcnt vmcnt(0)
	v_cmp_eq_u32_e64 s[2:3], s31, v5
	v_add_u32_e32 v14, 1, v6
	v_add_u32_e32 v13, 2, v6
	v_mov_b32_e32 v0, v6
	v_add_u32_e32 v63, 3, v6
	s_and_saveexec_b64 s[12:13], s[2:3]
	s_cbranch_execz .LBB42_43
; %bb.42:                               ;   in Loop: Header=BB42_40 Depth=1
	buffer_load_dword v5, off, s[52:55], 0 offset:12 ; 4-byte Folded Reload
	buffer_load_dword v6, off, s[52:55], 0 offset:16 ; 4-byte Folded Reload
	;; [unrolled: 1-line block ×4, first 2 shown]
	v_cmp_gt_i32_e32 vcc, s21, v0
	s_waitcnt vmcnt(3)
	v_cndmask_b32_e32 v5, 0, v5, vcc
	v_cmp_gt_i32_e32 vcc, s21, v14
	s_waitcnt vmcnt(2)
	v_cndmask_b32_e32 v6, 0, v6, vcc
	;; [unrolled: 3-line block ×4, first 2 shown]
	buffer_store_dword v5, off, s[52:55], 0 offset:12 ; 4-byte Folded Spill
	s_nop 0
	buffer_store_dword v6, off, s[52:55], 0 offset:16 ; 4-byte Folded Spill
	buffer_store_dword v7, off, s[52:55], 0 offset:20 ; 4-byte Folded Spill
	;; [unrolled: 1-line block ×3, first 2 shown]
.LBB42_43:                              ;   in Loop: Header=BB42_40 Depth=1
	s_or_b64 exec, exec, s[12:13]
	global_load_dwordx4 v[5:8], v[9:10], off offset:1024
	s_waitcnt vmcnt(0)
	buffer_store_dword v5, off, s[52:55], 0 offset:28 ; 4-byte Folded Spill
	s_nop 0
	buffer_store_dword v6, off, s[52:55], 0 offset:32 ; 4-byte Folded Spill
	buffer_store_dword v7, off, s[52:55], 0 offset:36 ; 4-byte Folded Spill
	;; [unrolled: 1-line block ×3, first 2 shown]
	s_and_saveexec_b64 s[12:13], s[2:3]
	s_cbranch_execz .LBB42_45
; %bb.44:                               ;   in Loop: Header=BB42_40 Depth=1
	buffer_load_dword v5, off, s[52:55], 0 offset:28 ; 4-byte Folded Reload
	buffer_load_dword v6, off, s[52:55], 0 offset:32 ; 4-byte Folded Reload
	;; [unrolled: 1-line block ×4, first 2 shown]
	v_cmp_gt_i32_e32 vcc, s21, v0
	s_waitcnt vmcnt(3)
	v_cndmask_b32_e32 v5, 0, v5, vcc
	v_cmp_gt_i32_e32 vcc, s21, v14
	s_waitcnt vmcnt(2)
	v_cndmask_b32_e32 v6, 0, v6, vcc
	;; [unrolled: 3-line block ×4, first 2 shown]
	buffer_store_dword v5, off, s[52:55], 0 offset:28 ; 4-byte Folded Spill
	s_nop 0
	buffer_store_dword v6, off, s[52:55], 0 offset:32 ; 4-byte Folded Spill
	buffer_store_dword v7, off, s[52:55], 0 offset:36 ; 4-byte Folded Spill
	;; [unrolled: 1-line block ×3, first 2 shown]
.LBB42_45:                              ;   in Loop: Header=BB42_40 Depth=1
	s_or_b64 exec, exec, s[12:13]
	global_load_dwordx4 v[5:8], v[9:10], off offset:2048
	s_waitcnt vmcnt(0)
	buffer_store_dword v5, off, s[52:55], 0 offset:44 ; 4-byte Folded Spill
	s_nop 0
	buffer_store_dword v6, off, s[52:55], 0 offset:48 ; 4-byte Folded Spill
	buffer_store_dword v7, off, s[52:55], 0 offset:52 ; 4-byte Folded Spill
	;; [unrolled: 1-line block ×3, first 2 shown]
	s_and_saveexec_b64 s[12:13], s[2:3]
	s_cbranch_execz .LBB42_47
; %bb.46:                               ;   in Loop: Header=BB42_40 Depth=1
	buffer_load_dword v5, off, s[52:55], 0 offset:44 ; 4-byte Folded Reload
	buffer_load_dword v6, off, s[52:55], 0 offset:48 ; 4-byte Folded Reload
	;; [unrolled: 1-line block ×4, first 2 shown]
	v_cmp_gt_i32_e32 vcc, s21, v0
	s_waitcnt vmcnt(3)
	v_cndmask_b32_e32 v5, 0, v5, vcc
	v_cmp_gt_i32_e32 vcc, s21, v14
	s_waitcnt vmcnt(2)
	v_cndmask_b32_e32 v6, 0, v6, vcc
	;; [unrolled: 3-line block ×4, first 2 shown]
	buffer_store_dword v5, off, s[52:55], 0 offset:44 ; 4-byte Folded Spill
	s_nop 0
	buffer_store_dword v6, off, s[52:55], 0 offset:48 ; 4-byte Folded Spill
	buffer_store_dword v7, off, s[52:55], 0 offset:52 ; 4-byte Folded Spill
	;; [unrolled: 1-line block ×3, first 2 shown]
.LBB42_47:                              ;   in Loop: Header=BB42_40 Depth=1
	s_or_b64 exec, exec, s[12:13]
	global_load_dwordx4 v[17:20], v[9:10], off offset:3072
	s_and_saveexec_b64 s[12:13], s[2:3]
	s_cbranch_execz .LBB42_49
; %bb.48:                               ;   in Loop: Header=BB42_40 Depth=1
	v_cmp_gt_i32_e32 vcc, s21, v0
	s_waitcnt vmcnt(0)
	v_cndmask_b32_e32 v17, 0, v17, vcc
	v_cmp_gt_i32_e32 vcc, s21, v14
	v_cndmask_b32_e32 v18, 0, v18, vcc
	v_cmp_gt_i32_e32 vcc, s21, v13
	;; [unrolled: 2-line block ×3, first 2 shown]
	v_cndmask_b32_e32 v20, 0, v20, vcc
.LBB42_49:                              ;   in Loop: Header=BB42_40 Depth=1
	s_or_b64 exec, exec, s[12:13]
	v_add_co_u32_e32 v5, vcc, 0x1000, v9
	v_addc_co_u32_e32 v6, vcc, 0, v10, vcc
	global_load_dwordx4 v[21:24], v[5:6], off
	s_and_saveexec_b64 s[12:13], s[2:3]
	s_cbranch_execz .LBB42_51
; %bb.50:                               ;   in Loop: Header=BB42_40 Depth=1
	v_cmp_gt_i32_e32 vcc, s21, v0
	s_waitcnt vmcnt(0)
	v_cndmask_b32_e32 v21, 0, v21, vcc
	v_cmp_gt_i32_e32 vcc, s21, v14
	v_cndmask_b32_e32 v22, 0, v22, vcc
	v_cmp_gt_i32_e32 vcc, s21, v13
	v_cndmask_b32_e32 v23, 0, v23, vcc
	v_cmp_gt_i32_e32 vcc, s21, v63
	v_cndmask_b32_e32 v24, 0, v24, vcc
.LBB42_51:                              ;   in Loop: Header=BB42_40 Depth=1
	s_or_b64 exec, exec, s[12:13]
	v_add_co_u32_e32 v5, vcc, 0x1000, v9
	v_addc_co_u32_e32 v6, vcc, 0, v10, vcc
	global_load_dwordx4 v[25:28], v[5:6], off offset:1024
	s_and_saveexec_b64 s[12:13], s[2:3]
	s_cbranch_execz .LBB42_53
; %bb.52:                               ;   in Loop: Header=BB42_40 Depth=1
	v_cmp_gt_i32_e32 vcc, s21, v0
	s_waitcnt vmcnt(0)
	v_cndmask_b32_e32 v25, 0, v25, vcc
	v_cmp_gt_i32_e32 vcc, s21, v14
	v_cndmask_b32_e32 v26, 0, v26, vcc
	v_cmp_gt_i32_e32 vcc, s21, v13
	v_cndmask_b32_e32 v27, 0, v27, vcc
	v_cmp_gt_i32_e32 vcc, s21, v63
	v_cndmask_b32_e32 v28, 0, v28, vcc
.LBB42_53:                              ;   in Loop: Header=BB42_40 Depth=1
	s_or_b64 exec, exec, s[12:13]
	v_add_co_u32_e32 v5, vcc, 0x1000, v9
	v_addc_co_u32_e32 v6, vcc, 0, v10, vcc
	global_load_dwordx4 v[29:32], v[5:6], off offset:2048
	;; [unrolled: 17-line block ×3, first 2 shown]
	s_and_saveexec_b64 s[12:13], s[2:3]
	s_cbranch_execz .LBB42_57
; %bb.56:                               ;   in Loop: Header=BB42_40 Depth=1
	v_cmp_gt_i32_e32 vcc, s21, v0
	s_waitcnt vmcnt(0)
	v_cndmask_b32_e32 v33, 0, v33, vcc
	v_cmp_gt_i32_e32 vcc, s21, v14
	v_cndmask_b32_e32 v34, 0, v34, vcc
	v_cmp_gt_i32_e32 vcc, s21, v13
	;; [unrolled: 2-line block ×3, first 2 shown]
	v_cndmask_b32_e32 v36, 0, v36, vcc
.LBB42_57:                              ;   in Loop: Header=BB42_40 Depth=1
	s_or_b64 exec, exec, s[12:13]
	v_add_co_u32_e32 v5, vcc, 0x2000, v9
	v_addc_co_u32_e32 v6, vcc, 0, v10, vcc
	global_load_dwordx4 v[37:40], v[5:6], off
	s_and_saveexec_b64 s[12:13], s[2:3]
	s_cbranch_execz .LBB42_59
; %bb.58:                               ;   in Loop: Header=BB42_40 Depth=1
	v_cmp_gt_i32_e32 vcc, s21, v0
	s_waitcnt vmcnt(0)
	v_cndmask_b32_e32 v37, 0, v37, vcc
	v_cmp_gt_i32_e32 vcc, s21, v14
	v_cndmask_b32_e32 v38, 0, v38, vcc
	v_cmp_gt_i32_e32 vcc, s21, v13
	v_cndmask_b32_e32 v39, 0, v39, vcc
	v_cmp_gt_i32_e32 vcc, s21, v63
	v_cndmask_b32_e32 v40, 0, v40, vcc
.LBB42_59:                              ;   in Loop: Header=BB42_40 Depth=1
	s_or_b64 exec, exec, s[12:13]
	v_add_co_u32_e32 v5, vcc, 0x2000, v9
	v_addc_co_u32_e32 v6, vcc, 0, v10, vcc
	global_load_dwordx4 v[41:44], v[5:6], off offset:1024
	s_and_saveexec_b64 s[12:13], s[2:3]
	s_cbranch_execz .LBB42_61
; %bb.60:                               ;   in Loop: Header=BB42_40 Depth=1
	v_cmp_gt_i32_e32 vcc, s21, v0
	s_waitcnt vmcnt(0)
	v_cndmask_b32_e32 v41, 0, v41, vcc
	v_cmp_gt_i32_e32 vcc, s21, v14
	v_cndmask_b32_e32 v42, 0, v42, vcc
	v_cmp_gt_i32_e32 vcc, s21, v13
	v_cndmask_b32_e32 v43, 0, v43, vcc
	v_cmp_gt_i32_e32 vcc, s21, v63
	v_cndmask_b32_e32 v44, 0, v44, vcc
.LBB42_61:                              ;   in Loop: Header=BB42_40 Depth=1
	s_or_b64 exec, exec, s[12:13]
	v_add_co_u32_e32 v5, vcc, 0x2000, v9
	v_addc_co_u32_e32 v6, vcc, 0, v10, vcc
	global_load_dwordx4 v[45:48], v[5:6], off offset:2048
	s_and_saveexec_b64 s[12:13], s[2:3]
	s_cbranch_execz .LBB42_63
; %bb.62:                               ;   in Loop: Header=BB42_40 Depth=1
	v_cmp_gt_i32_e32 vcc, s21, v0
	s_waitcnt vmcnt(0)
	v_cndmask_b32_e32 v45, 0, v45, vcc
	v_cmp_gt_i32_e32 vcc, s21, v14
	v_cndmask_b32_e32 v46, 0, v46, vcc
	v_cmp_gt_i32_e32 vcc, s21, v13
	v_cndmask_b32_e32 v47, 0, v47, vcc
	v_cmp_gt_i32_e32 vcc, s21, v63
	v_cndmask_b32_e32 v48, 0, v48, vcc
.LBB42_63:                              ;   in Loop: Header=BB42_40 Depth=1
	s_or_b64 exec, exec, s[12:13]
	v_add_co_u32_e32 v5, vcc, 0x2000, v9
	v_addc_co_u32_e32 v6, vcc, 0, v10, vcc
	global_load_dwordx4 v[49:52], v[5:6], off offset:3072
	s_and_saveexec_b64 s[12:13], s[2:3]
	s_cbranch_execz .LBB42_65
; %bb.64:                               ;   in Loop: Header=BB42_40 Depth=1
	v_cmp_gt_i32_e32 vcc, s21, v0
	s_waitcnt vmcnt(0)
	v_cndmask_b32_e32 v49, 0, v49, vcc
	v_cmp_gt_i32_e32 vcc, s21, v14
	v_cndmask_b32_e32 v50, 0, v50, vcc
	v_cmp_gt_i32_e32 vcc, s21, v13
	;; [unrolled: 2-line block ×3, first 2 shown]
	v_cndmask_b32_e32 v52, 0, v52, vcc
.LBB42_65:                              ;   in Loop: Header=BB42_40 Depth=1
	s_or_b64 exec, exec, s[12:13]
	v_add_co_u32_e32 v5, vcc, 0x3000, v9
	v_addc_co_u32_e32 v6, vcc, 0, v10, vcc
	global_load_dwordx4 v[57:60], v[5:6], off
	s_and_saveexec_b64 s[12:13], s[2:3]
	s_cbranch_execz .LBB42_67
; %bb.66:                               ;   in Loop: Header=BB42_40 Depth=1
	v_cmp_gt_i32_e32 vcc, s21, v0
	s_waitcnt vmcnt(0)
	v_cndmask_b32_e32 v57, 0, v57, vcc
	v_cmp_gt_i32_e32 vcc, s21, v14
	v_cndmask_b32_e32 v58, 0, v58, vcc
	v_cmp_gt_i32_e32 vcc, s21, v13
	;; [unrolled: 2-line block ×3, first 2 shown]
	v_cndmask_b32_e32 v60, 0, v60, vcc
.LBB42_67:                              ;   in Loop: Header=BB42_40 Depth=1
	s_or_b64 exec, exec, s[12:13]
	v_add_co_u32_e32 v5, vcc, 0x3000, v9
	v_addc_co_u32_e32 v6, vcc, 0, v10, vcc
	global_load_dwordx4 v[5:8], v[5:6], off offset:1024
	s_and_saveexec_b64 s[12:13], s[2:3]
	s_cbranch_execz .LBB42_69
; %bb.68:                               ;   in Loop: Header=BB42_40 Depth=1
	v_cmp_gt_i32_e32 vcc, s21, v0
	s_waitcnt vmcnt(0)
	v_cndmask_b32_e32 v5, 0, v5, vcc
	v_cmp_gt_i32_e32 vcc, s21, v14
	v_cndmask_b32_e32 v6, 0, v6, vcc
	v_cmp_gt_i32_e32 vcc, s21, v13
	v_cndmask_b32_e32 v7, 0, v7, vcc
	v_cmp_gt_i32_e32 vcc, s21, v63
	v_cndmask_b32_e32 v8, 0, v8, vcc
.LBB42_69:                              ;   in Loop: Header=BB42_40 Depth=1
	s_or_b64 exec, exec, s[12:13]
	v_add_co_u32_e32 v9, vcc, 0x3000, v9
	v_addc_co_u32_e32 v10, vcc, 0, v10, vcc
	global_load_dwordx4 v[9:12], v[9:10], off offset:2048
	s_and_saveexec_b64 s[12:13], s[2:3]
	s_cbranch_execz .LBB42_71
; %bb.70:                               ;   in Loop: Header=BB42_40 Depth=1
	v_cmp_gt_i32_e32 vcc, s21, v0
	s_waitcnt vmcnt(0)
	v_cndmask_b32_e32 v9, 0, v9, vcc
	v_cmp_gt_i32_e32 vcc, s21, v14
	v_cndmask_b32_e32 v10, 0, v10, vcc
	v_cmp_gt_i32_e32 vcc, s21, v13
	;; [unrolled: 2-line block ×3, first 2 shown]
	v_cndmask_b32_e32 v12, 0, v12, vcc
.LBB42_71:                              ;   in Loop: Header=BB42_40 Depth=1
	s_or_b64 exec, exec, s[12:13]
	buffer_load_dword v53, off, s[52:55], 0 offset:136 ; 4-byte Folded Reload
	s_waitcnt vmcnt(0)
	v_add_co_u32_e32 v15, vcc, v15, v53
	v_addc_co_u32_e32 v16, vcc, 0, v16, vcc
	global_load_dwordx4 v[53:56], v[15:16], off
	s_and_saveexec_b64 s[12:13], s[2:3]
	s_cbranch_execz .LBB42_38
; %bb.72:                               ;   in Loop: Header=BB42_40 Depth=1
	v_cmp_gt_i32_e32 vcc, s21, v0
	s_waitcnt vmcnt(0)
	v_cndmask_b32_e32 v53, 0, v53, vcc
	v_cmp_gt_i32_e32 vcc, s21, v14
	v_cndmask_b32_e32 v54, 0, v54, vcc
	v_cmp_gt_i32_e32 vcc, s21, v13
	;; [unrolled: 2-line block ×3, first 2 shown]
	v_cndmask_b32_e32 v56, 0, v56, vcc
	s_branch .LBB42_38
.LBB42_73:
	s_or_b64 exec, exec, s[6:7]
	buffer_load_dword v45, off, s[52:55], 0 offset:144 ; 4-byte Folded Reload
	buffer_load_dword v22, off, s[52:55], 0 offset:148 ; 4-byte Folded Reload
	buffer_load_dword v17, off, s[52:55], 0 offset:152 ; 4-byte Folded Reload
	buffer_load_dword v20, off, s[52:55], 0 offset:156 ; 4-byte Folded Reload
	buffer_load_dword v23, off, s[52:55], 0 offset:160 ; 4-byte Folded Reload
	buffer_load_dword v21, off, s[52:55], 0 offset:60 ; 4-byte Folded Reload
	buffer_load_dword v19, off, s[52:55], 0 offset:64 ; 4-byte Folded Reload
	buffer_load_dword v18, off, s[52:55], 0 offset:68 ; 4-byte Folded Reload
	buffer_load_dword v24, off, s[52:55], 0 offset:72 ; 4-byte Folded Reload
	buffer_load_dword v15, off, s[52:55], 0 offset:76 ; 4-byte Folded Reload
	buffer_load_dword v16, off, s[52:55], 0 offset:80 ; 4-byte Folded Reload
	buffer_load_dword v14, off, s[52:55], 0 offset:84 ; 4-byte Folded Reload
	buffer_load_dword v12, off, s[52:55], 0 offset:88 ; 4-byte Folded Reload
	buffer_load_dword v11, off, s[52:55], 0 offset:92 ; 4-byte Folded Reload
	buffer_load_dword v13, off, s[52:55], 0 offset:96 ; 4-byte Folded Reload
	buffer_load_dword v8, off, s[52:55], 0 offset:100 ; 4-byte Folded Reload
	buffer_load_dword v25, off, s[52:55], 0 offset:104 ; 4-byte Folded Reload
	buffer_load_dword v5, off, s[52:55], 0 offset:108 ; 4-byte Folded Reload
	buffer_load_dword v4, off, s[52:55], 0 offset:112 ; 4-byte Folded Reload
	buffer_load_dword v6, off, s[52:55], 0 offset:116 ; 4-byte Folded Reload
.LBB42_74:
	s_or_b64 exec, exec, s[4:5]
	s_waitcnt vmcnt(0)
	ds_bpermute_b32 v1, v17, v6
	ds_bpermute_b32 v0, v17, v4
	;; [unrolled: 1-line block ×5, first 2 shown]
	s_waitcnt lgkmcnt(4)
	v_add_f32_e32 v1, v6, v1
	s_waitcnt lgkmcnt(3)
	v_add_f32_e32 v0, v4, v0
	;; [unrolled: 2-line block ×3, first 2 shown]
	ds_bpermute_b32 v5, v20, v1
	ds_bpermute_b32 v4, v20, v0
	;; [unrolled: 1-line block ×3, first 2 shown]
	s_waitcnt lgkmcnt(4)
	v_add_f32_e32 v3, v25, v3
	s_waitcnt lgkmcnt(0)
	v_add_f32_e32 v1, v1, v5
	v_add_f32_e32 v0, v0, v4
	ds_bpermute_b32 v5, v23, v1
	ds_bpermute_b32 v4, v23, v0
	v_add_f32_e32 v2, v2, v6
	ds_bpermute_b32 v6, v23, v2
	s_waitcnt lgkmcnt(0)
	s_barrier
	v_add_f32_e32 v1, v1, v5
	v_add_f32_e32 v5, v8, v7
	;; [unrolled: 1-line block ×3, first 2 shown]
	ds_bpermute_b32 v4, v20, v3
	ds_bpermute_b32 v7, v20, v5
	v_add_f32_e32 v2, v2, v6
	s_waitcnt lgkmcnt(0)
	v_add_f32_e32 v3, v3, v4
	ds_bpermute_b32 v4, v17, v13
	v_add_f32_e32 v5, v5, v7
	ds_bpermute_b32 v6, v23, v3
	ds_bpermute_b32 v7, v17, v10
	;; [unrolled: 1-line block ×3, first 2 shown]
	s_waitcnt lgkmcnt(3)
	v_add_f32_e32 v9, v13, v4
	v_mov_b32_e32 v4, v10
	s_waitcnt lgkmcnt(2)
	v_add_f32_e32 v3, v3, v6
	s_waitcnt lgkmcnt(1)
	v_add_f32_e32 v6, v4, v7
	;; [unrolled: 2-line block ×3, first 2 shown]
	ds_bpermute_b32 v8, v17, v11
	ds_bpermute_b32 v10, v20, v9
	;; [unrolled: 1-line block ×3, first 2 shown]
	s_waitcnt lgkmcnt(2)
	v_add_f32_e32 v8, v11, v8
	s_waitcnt lgkmcnt(1)
	v_add_f32_e32 v5, v9, v10
	s_waitcnt lgkmcnt(0)
	v_add_f32_e32 v6, v6, v7
	ds_bpermute_b32 v7, v17, v12
	ds_bpermute_b32 v11, v20, v8
	;; [unrolled: 1-line block ×4, first 2 shown]
	s_waitcnt lgkmcnt(3)
	v_add_f32_e32 v7, v12, v7
	s_waitcnt lgkmcnt(2)
	v_add_f32_e32 v8, v8, v11
	;; [unrolled: 2-line block ×3, first 2 shown]
	ds_bpermute_b32 v9, v20, v7
	s_waitcnt lgkmcnt(1)
	v_add_f32_e32 v6, v6, v10
	ds_bpermute_b32 v10, v17, v14
	ds_bpermute_b32 v11, v23, v8
	;; [unrolled: 1-line block ×3, first 2 shown]
	s_waitcnt lgkmcnt(3)
	v_add_f32_e32 v9, v7, v9
	ds_bpermute_b32 v13, v23, v9
	s_waitcnt lgkmcnt(3)
	v_add_f32_e32 v10, v14, v10
	s_waitcnt lgkmcnt(2)
	v_add_f32_e32 v7, v8, v11
	;; [unrolled: 2-line block ×3, first 2 shown]
	ds_bpermute_b32 v14, v20, v10
	ds_bpermute_b32 v12, v20, v11
	s_waitcnt lgkmcnt(2)
	v_add_f32_e32 v8, v9, v13
	s_waitcnt lgkmcnt(1)
	v_add_f32_e32 v9, v10, v14
	ds_bpermute_b32 v10, v17, v15
	s_waitcnt lgkmcnt(1)
	v_add_f32_e32 v11, v11, v12
	ds_bpermute_b32 v12, v17, v24
	ds_bpermute_b32 v13, v23, v9
	;; [unrolled: 1-line block ×3, first 2 shown]
	s_waitcnt lgkmcnt(3)
	v_add_f32_e32 v15, v15, v10
	ds_bpermute_b32 v16, v20, v15
	s_waitcnt lgkmcnt(3)
	v_add_f32_e32 v12, v24, v12
	s_waitcnt lgkmcnt(2)
	v_add_f32_e32 v9, v9, v13
	ds_bpermute_b32 v13, v20, v12
	s_waitcnt lgkmcnt(2)
	v_add_f32_e32 v10, v11, v14
	s_waitcnt lgkmcnt(1)
	v_add_f32_e32 v11, v15, v16
	ds_bpermute_b32 v15, v17, v18
	ds_bpermute_b32 v14, v23, v11
	s_waitcnt lgkmcnt(2)
	v_add_f32_e32 v12, v12, v13
	ds_bpermute_b32 v13, v17, v19
	ds_bpermute_b32 v17, v17, v21
	;; [unrolled: 4-line block ×3, first 2 shown]
	s_waitcnt lgkmcnt(3)
	v_add_f32_e32 v13, v19, v13
	s_waitcnt lgkmcnt(2)
	v_add_f32_e32 v17, v21, v17
	ds_bpermute_b32 v19, v20, v13
	ds_bpermute_b32 v20, v20, v17
	s_waitcnt lgkmcnt(3)
	v_add_f32_e32 v15, v15, v18
	ds_bpermute_b32 v18, v23, v15
	v_add_f32_e32 v11, v11, v14
	s_waitcnt lgkmcnt(2)
	v_add_f32_e32 v19, v13, v19
	s_waitcnt lgkmcnt(1)
	v_add_f32_e32 v17, v17, v20
	ds_bpermute_b32 v20, v23, v17
	ds_bpermute_b32 v21, v23, v19
	s_waitcnt lgkmcnt(2)
	v_add_f32_e32 v13, v15, v18
	v_add_f32_e32 v12, v12, v16
	s_waitcnt lgkmcnt(1)
	v_add_f32_e32 v15, v17, v20
	v_and_b32_e32 v17, 0x3c7, v45
	s_waitcnt lgkmcnt(0)
	v_add_f32_e32 v14, v19, v21
	v_cmp_eq_u32_e32 vcc, 64, v17
	s_and_saveexec_b64 s[2:3], vcc
	s_cbranch_execz .LBB42_76
; %bb.75:
	v_lshrrev_b32_e32 v16, 1, v22
	v_add_u32_e32 v16, 0x210, v16
	ds_write2_b32 v16, v0, v1 offset1:8
	ds_write2_b32 v16, v2, v3 offset0:16 offset1:24
	ds_write2_b32 v16, v4, v5 offset0:32 offset1:40
	;; [unrolled: 1-line block ×7, first 2 shown]
.LBB42_76:
	s_or_b64 exec, exec, s[2:3]
	v_lshrrev_b32_e32 v16, 3, v45
	s_waitcnt lgkmcnt(0)
	s_barrier
	s_and_saveexec_b64 s[2:3], s[0:1]
	s_cbranch_execz .LBB42_95
; %bb.77:
	buffer_load_dword v18, off, s[52:55], 0 offset:140 ; 4-byte Folded Reload
	s_waitcnt vmcnt(0)
	v_cmp_eq_u32_e32 vcc, 0, v18
	v_mov_b32_e32 v18, 0x210
	v_lshl_add_u32 v18, v16, 2, v18
	s_and_saveexec_b64 s[0:1], vcc
	s_cbranch_execnz .LBB42_98
; %bb.78:
	s_or_b64 exec, exec, s[0:1]
	s_and_saveexec_b64 s[0:1], vcc
	s_cbranch_execnz .LBB42_99
.LBB42_79:
	s_or_b64 exec, exec, s[0:1]
	s_and_saveexec_b64 s[0:1], vcc
	s_cbranch_execnz .LBB42_100
.LBB42_80:
	s_or_b64 exec, exec, s[0:1]
	s_and_saveexec_b64 s[0:1], vcc
	s_cbranch_execnz .LBB42_101
.LBB42_81:
	s_or_b64 exec, exec, s[0:1]
	s_and_saveexec_b64 s[0:1], vcc
	s_cbranch_execnz .LBB42_102
.LBB42_82:
	s_or_b64 exec, exec, s[0:1]
	s_and_saveexec_b64 s[0:1], vcc
	s_cbranch_execnz .LBB42_103
.LBB42_83:
	s_or_b64 exec, exec, s[0:1]
	s_and_saveexec_b64 s[0:1], vcc
	s_cbranch_execnz .LBB42_104
.LBB42_84:
	s_or_b64 exec, exec, s[0:1]
	s_and_saveexec_b64 s[0:1], vcc
	s_cbranch_execnz .LBB42_105
.LBB42_85:
	s_or_b64 exec, exec, s[0:1]
	s_and_saveexec_b64 s[0:1], vcc
	s_cbranch_execnz .LBB42_106
.LBB42_86:
	s_or_b64 exec, exec, s[0:1]
	s_and_saveexec_b64 s[0:1], vcc
	s_cbranch_execnz .LBB42_107
.LBB42_87:
	s_or_b64 exec, exec, s[0:1]
	s_and_saveexec_b64 s[0:1], vcc
	s_cbranch_execnz .LBB42_108
.LBB42_88:
	s_or_b64 exec, exec, s[0:1]
	s_and_saveexec_b64 s[0:1], vcc
	s_cbranch_execnz .LBB42_109
.LBB42_89:
	s_or_b64 exec, exec, s[0:1]
	s_and_saveexec_b64 s[0:1], vcc
	s_cbranch_execnz .LBB42_110
.LBB42_90:
	s_or_b64 exec, exec, s[0:1]
	s_and_saveexec_b64 s[0:1], vcc
	s_cbranch_execnz .LBB42_111
.LBB42_91:
	s_or_b64 exec, exec, s[0:1]
	s_and_saveexec_b64 s[0:1], vcc
	s_cbranch_execnz .LBB42_112
.LBB42_92:
	s_or_b64 exec, exec, s[0:1]
	s_and_saveexec_b64 s[0:1], vcc
	s_cbranch_execz .LBB42_94
.LBB42_93:
	ds_read_b32 v18, v18 offset:480
	s_waitcnt lgkmcnt(0)
	v_add_f32_e32 v15, v15, v18
.LBB42_94:
	s_or_b64 exec, exec, s[0:1]
.LBB42_95:
	s_or_b64 exec, exec, s[2:3]
	v_cmp_eq_u32_e32 vcc, 0, v17
	s_barrier
	s_and_saveexec_b64 s[0:1], vcc
	s_cbranch_execz .LBB42_97
; %bb.96:
	s_mul_i32 s0, s20, s16
	s_mul_i32 s0, s0, s9
	s_lshl_b32 s0, s0, 7
	s_ashr_i32 s1, s0, 31
	s_lshl_b64 s[0:1], s[0:1], 2
	s_add_u32 s2, s24, s0
	s_mul_i32 s0, s16, s22
	s_addc_u32 s3, s25, s1
	s_ashr_i32 s1, s0, 31
	s_lshl_b64 s[0:1], s[0:1], 2
	s_add_u32 s2, s2, s0
	s_addc_u32 s3, s3, s1
	s_lshl_b32 s0, s8, 7
	s_ashr_i32 s1, s0, 31
	s_lshl_b64 s[0:1], s[0:1], 2
	s_add_u32 s0, s2, s0
	s_addc_u32 s1, s3, s1
	v_lshlrev_b32_e32 v16, 2, v16
	global_store_dword v16, v0, s[0:1]
	global_store_dword v16, v1, s[0:1] offset:32
	global_store_dword v16, v2, s[0:1] offset:64
	;; [unrolled: 1-line block ×15, first 2 shown]
.LBB42_97:
	s_endpgm
.LBB42_98:
	ds_read_b32 v19, v18
	s_waitcnt lgkmcnt(0)
	v_add_f32_e32 v0, v0, v19
	s_or_b64 exec, exec, s[0:1]
	s_and_saveexec_b64 s[0:1], vcc
	s_cbranch_execz .LBB42_79
.LBB42_99:
	ds_read_b32 v19, v18 offset:32
	s_waitcnt lgkmcnt(0)
	v_add_f32_e32 v1, v1, v19
	s_or_b64 exec, exec, s[0:1]
	s_and_saveexec_b64 s[0:1], vcc
	s_cbranch_execz .LBB42_80
.LBB42_100:
	ds_read_b32 v19, v18 offset:64
	s_waitcnt lgkmcnt(0)
	v_add_f32_e32 v2, v2, v19
	s_or_b64 exec, exec, s[0:1]
	s_and_saveexec_b64 s[0:1], vcc
	s_cbranch_execz .LBB42_81
.LBB42_101:
	ds_read_b32 v19, v18 offset:96
	s_waitcnt lgkmcnt(0)
	v_add_f32_e32 v3, v3, v19
	s_or_b64 exec, exec, s[0:1]
	s_and_saveexec_b64 s[0:1], vcc
	s_cbranch_execz .LBB42_82
.LBB42_102:
	ds_read_b32 v19, v18 offset:128
	s_waitcnt lgkmcnt(0)
	v_add_f32_e32 v4, v4, v19
	s_or_b64 exec, exec, s[0:1]
	s_and_saveexec_b64 s[0:1], vcc
	s_cbranch_execz .LBB42_83
.LBB42_103:
	ds_read_b32 v19, v18 offset:160
	s_waitcnt lgkmcnt(0)
	v_add_f32_e32 v5, v5, v19
	s_or_b64 exec, exec, s[0:1]
	s_and_saveexec_b64 s[0:1], vcc
	s_cbranch_execz .LBB42_84
.LBB42_104:
	ds_read_b32 v19, v18 offset:192
	s_waitcnt lgkmcnt(0)
	v_add_f32_e32 v6, v6, v19
	s_or_b64 exec, exec, s[0:1]
	s_and_saveexec_b64 s[0:1], vcc
	s_cbranch_execz .LBB42_85
.LBB42_105:
	ds_read_b32 v19, v18 offset:224
	s_waitcnt lgkmcnt(0)
	v_add_f32_e32 v7, v7, v19
	s_or_b64 exec, exec, s[0:1]
	s_and_saveexec_b64 s[0:1], vcc
	s_cbranch_execz .LBB42_86
.LBB42_106:
	ds_read_b32 v19, v18 offset:256
	s_waitcnt lgkmcnt(0)
	v_add_f32_e32 v8, v8, v19
	s_or_b64 exec, exec, s[0:1]
	s_and_saveexec_b64 s[0:1], vcc
	s_cbranch_execz .LBB42_87
.LBB42_107:
	ds_read_b32 v19, v18 offset:288
	s_waitcnt lgkmcnt(0)
	v_add_f32_e32 v9, v9, v19
	s_or_b64 exec, exec, s[0:1]
	s_and_saveexec_b64 s[0:1], vcc
	s_cbranch_execz .LBB42_88
.LBB42_108:
	ds_read_b32 v19, v18 offset:320
	s_waitcnt lgkmcnt(0)
	v_add_f32_e32 v10, v10, v19
	s_or_b64 exec, exec, s[0:1]
	s_and_saveexec_b64 s[0:1], vcc
	s_cbranch_execz .LBB42_89
.LBB42_109:
	ds_read_b32 v19, v18 offset:352
	s_waitcnt lgkmcnt(0)
	v_add_f32_e32 v11, v11, v19
	s_or_b64 exec, exec, s[0:1]
	s_and_saveexec_b64 s[0:1], vcc
	s_cbranch_execz .LBB42_90
.LBB42_110:
	ds_read_b32 v19, v18 offset:384
	s_waitcnt lgkmcnt(0)
	v_add_f32_e32 v12, v12, v19
	s_or_b64 exec, exec, s[0:1]
	s_and_saveexec_b64 s[0:1], vcc
	s_cbranch_execz .LBB42_91
.LBB42_111:
	ds_read_b32 v19, v18 offset:416
	s_waitcnt lgkmcnt(0)
	v_add_f32_e32 v13, v13, v19
	s_or_b64 exec, exec, s[0:1]
	s_and_saveexec_b64 s[0:1], vcc
	s_cbranch_execz .LBB42_92
.LBB42_112:
	ds_read_b32 v19, v18 offset:448
	s_waitcnt lgkmcnt(0)
	v_add_f32_e32 v14, v14, v19
	s_or_b64 exec, exec, s[0:1]
	s_and_saveexec_b64 s[0:1], vcc
	s_cbranch_execnz .LBB42_93
	s_branch .LBB42_94
	.section	.rodata,"a",@progbits
	.p2align	6, 0x0
	.amdhsa_kernel _ZN4vllm25paged_attention_v1_kernelIffLi128ELi32ELi128ELNS_18Fp8KVCacheDataTypeE0ELb1EEEvPT_PKS2_PKT0_S8_ifPKiSA_iPKfiiiSC_SC_iiiii
		.amdhsa_group_segment_fixed_size 528
		.amdhsa_private_segment_fixed_size 168
		.amdhsa_kernarg_size 384
		.amdhsa_user_sgpr_count 6
		.amdhsa_user_sgpr_private_segment_buffer 1
		.amdhsa_user_sgpr_dispatch_ptr 0
		.amdhsa_user_sgpr_queue_ptr 0
		.amdhsa_user_sgpr_kernarg_segment_ptr 1
		.amdhsa_user_sgpr_dispatch_id 0
		.amdhsa_user_sgpr_flat_scratch_init 0
		.amdhsa_user_sgpr_private_segment_size 0
		.amdhsa_uses_dynamic_stack 0
		.amdhsa_system_sgpr_private_segment_wavefront_offset 1
		.amdhsa_system_sgpr_workgroup_id_x 1
		.amdhsa_system_sgpr_workgroup_id_y 1
		.amdhsa_system_sgpr_workgroup_id_z 1
		.amdhsa_system_sgpr_workgroup_info 0
		.amdhsa_system_vgpr_workitem_id 0
		.amdhsa_next_free_vgpr 64
		.amdhsa_next_free_sgpr 56
		.amdhsa_reserve_vcc 1
		.amdhsa_reserve_flat_scratch 0
		.amdhsa_float_round_mode_32 0
		.amdhsa_float_round_mode_16_64 0
		.amdhsa_float_denorm_mode_32 3
		.amdhsa_float_denorm_mode_16_64 3
		.amdhsa_dx10_clamp 1
		.amdhsa_ieee_mode 1
		.amdhsa_fp16_overflow 0
		.amdhsa_exception_fp_ieee_invalid_op 0
		.amdhsa_exception_fp_denorm_src 0
		.amdhsa_exception_fp_ieee_div_zero 0
		.amdhsa_exception_fp_ieee_overflow 0
		.amdhsa_exception_fp_ieee_underflow 0
		.amdhsa_exception_fp_ieee_inexact 0
		.amdhsa_exception_int_div_zero 0
	.end_amdhsa_kernel
	.section	.text._ZN4vllm25paged_attention_v1_kernelIffLi128ELi32ELi128ELNS_18Fp8KVCacheDataTypeE0ELb1EEEvPT_PKS2_PKT0_S8_ifPKiSA_iPKfiiiSC_SC_iiiii,"axG",@progbits,_ZN4vllm25paged_attention_v1_kernelIffLi128ELi32ELi128ELNS_18Fp8KVCacheDataTypeE0ELb1EEEvPT_PKS2_PKT0_S8_ifPKiSA_iPKfiiiSC_SC_iiiii,comdat
.Lfunc_end42:
	.size	_ZN4vllm25paged_attention_v1_kernelIffLi128ELi32ELi128ELNS_18Fp8KVCacheDataTypeE0ELb1EEEvPT_PKS2_PKT0_S8_ifPKiSA_iPKfiiiSC_SC_iiiii, .Lfunc_end42-_ZN4vllm25paged_attention_v1_kernelIffLi128ELi32ELi128ELNS_18Fp8KVCacheDataTypeE0ELb1EEEvPT_PKS2_PKT0_S8_ifPKiSA_iPKfiiiSC_SC_iiiii
                                        ; -- End function
	.set _ZN4vllm25paged_attention_v1_kernelIffLi128ELi32ELi128ELNS_18Fp8KVCacheDataTypeE0ELb1EEEvPT_PKS2_PKT0_S8_ifPKiSA_iPKfiiiSC_SC_iiiii.num_vgpr, 64
	.set _ZN4vllm25paged_attention_v1_kernelIffLi128ELi32ELi128ELNS_18Fp8KVCacheDataTypeE0ELb1EEEvPT_PKS2_PKT0_S8_ifPKiSA_iPKfiiiSC_SC_iiiii.num_agpr, 0
	.set _ZN4vllm25paged_attention_v1_kernelIffLi128ELi32ELi128ELNS_18Fp8KVCacheDataTypeE0ELb1EEEvPT_PKS2_PKT0_S8_ifPKiSA_iPKfiiiSC_SC_iiiii.numbered_sgpr, 56
	.set _ZN4vllm25paged_attention_v1_kernelIffLi128ELi32ELi128ELNS_18Fp8KVCacheDataTypeE0ELb1EEEvPT_PKS2_PKT0_S8_ifPKiSA_iPKfiiiSC_SC_iiiii.num_named_barrier, 0
	.set _ZN4vllm25paged_attention_v1_kernelIffLi128ELi32ELi128ELNS_18Fp8KVCacheDataTypeE0ELb1EEEvPT_PKS2_PKT0_S8_ifPKiSA_iPKfiiiSC_SC_iiiii.private_seg_size, 168
	.set _ZN4vllm25paged_attention_v1_kernelIffLi128ELi32ELi128ELNS_18Fp8KVCacheDataTypeE0ELb1EEEvPT_PKS2_PKT0_S8_ifPKiSA_iPKfiiiSC_SC_iiiii.uses_vcc, 1
	.set _ZN4vllm25paged_attention_v1_kernelIffLi128ELi32ELi128ELNS_18Fp8KVCacheDataTypeE0ELb1EEEvPT_PKS2_PKT0_S8_ifPKiSA_iPKfiiiSC_SC_iiiii.uses_flat_scratch, 0
	.set _ZN4vllm25paged_attention_v1_kernelIffLi128ELi32ELi128ELNS_18Fp8KVCacheDataTypeE0ELb1EEEvPT_PKS2_PKT0_S8_ifPKiSA_iPKfiiiSC_SC_iiiii.has_dyn_sized_stack, 0
	.set _ZN4vllm25paged_attention_v1_kernelIffLi128ELi32ELi128ELNS_18Fp8KVCacheDataTypeE0ELb1EEEvPT_PKS2_PKT0_S8_ifPKiSA_iPKfiiiSC_SC_iiiii.has_recursion, 0
	.set _ZN4vllm25paged_attention_v1_kernelIffLi128ELi32ELi128ELNS_18Fp8KVCacheDataTypeE0ELb1EEEvPT_PKS2_PKT0_S8_ifPKiSA_iPKfiiiSC_SC_iiiii.has_indirect_call, 0
	.section	.AMDGPU.csdata,"",@progbits
; Kernel info:
; codeLenInByte = 8304
; TotalNumSgprs: 60
; NumVgprs: 64
; ScratchSize: 168
; MemoryBound: 0
; FloatMode: 240
; IeeeMode: 1
; LDSByteSize: 528 bytes/workgroup (compile time only)
; SGPRBlocks: 7
; VGPRBlocks: 15
; NumSGPRsForWavesPerEU: 60
; NumVGPRsForWavesPerEU: 64
; Occupancy: 4
; WaveLimiterHint : 1
; COMPUTE_PGM_RSRC2:SCRATCH_EN: 1
; COMPUTE_PGM_RSRC2:USER_SGPR: 6
; COMPUTE_PGM_RSRC2:TRAP_HANDLER: 0
; COMPUTE_PGM_RSRC2:TGID_X_EN: 1
; COMPUTE_PGM_RSRC2:TGID_Y_EN: 1
; COMPUTE_PGM_RSRC2:TGID_Z_EN: 1
; COMPUTE_PGM_RSRC2:TIDIG_COMP_CNT: 0
	.section	.text._ZN4vllm25paged_attention_v1_kernelIffLi192ELi32ELi128ELNS_18Fp8KVCacheDataTypeE0ELb1EEEvPT_PKS2_PKT0_S8_ifPKiSA_iPKfiiiSC_SC_iiiii,"axG",@progbits,_ZN4vllm25paged_attention_v1_kernelIffLi192ELi32ELi128ELNS_18Fp8KVCacheDataTypeE0ELb1EEEvPT_PKS2_PKT0_S8_ifPKiSA_iPKfiiiSC_SC_iiiii,comdat
	.protected	_ZN4vllm25paged_attention_v1_kernelIffLi192ELi32ELi128ELNS_18Fp8KVCacheDataTypeE0ELb1EEEvPT_PKS2_PKT0_S8_ifPKiSA_iPKfiiiSC_SC_iiiii ; -- Begin function _ZN4vllm25paged_attention_v1_kernelIffLi192ELi32ELi128ELNS_18Fp8KVCacheDataTypeE0ELb1EEEvPT_PKS2_PKT0_S8_ifPKiSA_iPKfiiiSC_SC_iiiii
	.globl	_ZN4vllm25paged_attention_v1_kernelIffLi192ELi32ELi128ELNS_18Fp8KVCacheDataTypeE0ELb1EEEvPT_PKS2_PKT0_S8_ifPKiSA_iPKfiiiSC_SC_iiiii
	.p2align	8
	.type	_ZN4vllm25paged_attention_v1_kernelIffLi192ELi32ELi128ELNS_18Fp8KVCacheDataTypeE0ELb1EEEvPT_PKS2_PKT0_S8_ifPKiSA_iPKfiiiSC_SC_iiiii,@function
_ZN4vllm25paged_attention_v1_kernelIffLi192ELi32ELi128ELNS_18Fp8KVCacheDataTypeE0ELb1EEEvPT_PKS2_PKT0_S8_ifPKiSA_iPKfiiiSC_SC_iiiii: ; @_ZN4vllm25paged_attention_v1_kernelIffLi192ELi32ELi128ELNS_18Fp8KVCacheDataTypeE0ELb1EEEvPT_PKS2_PKT0_S8_ifPKiSA_iPKfiiiSC_SC_iiiii
; %bb.0:
	s_mov_b64 s[54:55], s[2:3]
	s_mov_b64 s[52:53], s[0:1]
	s_add_u32 s52, s52, s9
	s_load_dword s9, s[4:5], 0x80
	s_load_dwordx2 s[0:1], s[4:5], 0x30
	s_load_dwordx2 s[30:31], s[4:5], 0x20
	s_addc_u32 s53, s53, 0
	s_mov_b32 s10, s7
	s_ashr_i32 s11, s7, 31
	s_lshl_b64 s[2:3], s[10:11], 2
	s_waitcnt lgkmcnt(0)
	s_add_u32 s0, s0, s2
	s_addc_u32 s1, s1, s3
	s_abs_i32 s2, s30
	v_mov_b32_e32 v50, v0
	v_cvt_f32_u32_e32 v0, s2
	s_sub_i32 s11, 0, s2
	s_abs_i32 s7, s9
	s_xor_b32 s3, s9, s30
	v_rcp_iflag_f32_e32 v0, v0
	s_ashr_i32 s3, s3, 31
	s_mov_b32 s42, 0
	v_mul_f32_e32 v0, 0x4f7ffffe, v0
	v_cvt_u32_f32_e32 v0, v0
	v_readfirstlane_b32 s12, v0
	s_mul_i32 s11, s11, s12
	s_mul_hi_u32 s11, s12, s11
	s_add_i32 s12, s12, s11
	s_mul_hi_u32 s11, s7, s12
	s_mul_i32 s12, s11, s2
	s_sub_i32 s7, s7, s12
	s_add_i32 s12, s11, 1
	s_sub_i32 s13, s7, s2
	s_cmp_ge_u32 s7, s2
	s_cselect_b32 s11, s12, s11
	s_cselect_b32 s7, s13, s7
	s_add_i32 s12, s11, 1
	s_cmp_ge_u32 s7, s2
	s_cselect_b32 s2, s12, s11
	s_xor_b32 s2, s2, s3
	s_sub_i32 s12, s2, s3
	s_abs_i32 s11, s12
	v_cvt_f32_u32_e32 v0, s11
	s_load_dwordx2 s[2:3], s[4:5], 0x40
	s_sub_i32 s7, 0, s11
	s_abs_i32 s22, s6
	v_rcp_iflag_f32_e32 v0, v0
	v_mul_f32_e32 v0, 0x4f7ffffe, v0
	v_cvt_u32_f32_e32 v0, v0
	v_readfirstlane_b32 s13, v0
	s_mul_i32 s7, s7, s13
	s_mul_hi_u32 s7, s13, s7
	s_add_i32 s13, s13, s7
	s_waitcnt lgkmcnt(0)
	s_cmp_eq_u64 s[2:3], 0
	s_mul_hi_u32 s23, s22, s13
	s_cbranch_scc1 .LBB43_2
; %bb.1:
	s_ashr_i32 s7, s6, 31
	s_lshl_b64 s[14:15], s[6:7], 2
	s_add_u32 s2, s2, s14
	s_addc_u32 s3, s3, s15
	s_load_dword s42, s[2:3], 0x0
.LBB43_2:
	s_load_dword s33, s[0:1], 0x0
	s_ashr_i32 s7, s12, 31
	s_load_dwordx4 s[12:15], s[4:5], 0x48
	s_movk_i32 s0, 0x60
	s_ashr_i32 s2, s6, 31
	v_and_b32_e32 v1, 1, v50
	s_mul_i32 s20, s6, 0xc0
	v_cmp_gt_u32_e32 vcc, s0, v50
	v_lshlrev_b32_e32 v2, 3, v50
	v_lshlrev_b32_e32 v0, 2, v50
	s_and_saveexec_b64 s[0:1], vcc
	s_cbranch_execz .LBB43_4
; %bb.3:
	s_load_dwordx2 s[16:17], s[4:5], 0x8
	s_waitcnt lgkmcnt(0)
	s_mul_i32 s18, s12, s10
	s_ashr_i32 s19, s18, 31
	s_lshl_b64 s[18:19], s[18:19], 2
	v_and_b32_e32 v5, 0xff8, v0
	s_add_u32 s3, s16, s18
	s_addc_u32 s12, s17, s19
	s_ashr_i32 s21, s20, 31
	s_lshl_b64 s[16:17], s[20:21], 2
	s_add_u32 s16, s3, s16
	s_addc_u32 s17, s12, s17
	global_load_dwordx2 v[3:4], v2, s[16:17]
	s_movk_i32 s3, 0x180
	v_mad_u32_u24 v5, v1, s3, v5
	s_waitcnt vmcnt(0)
	ds_write_b64 v5, v[3:4]
.LBB43_4:
	s_or_b64 exec, exec, s[0:1]
	s_mul_i32 s1, s23, s11
	s_sub_i32 s1, s22, s1
	s_xor_b32 s0, s2, s7
	s_add_i32 s2, s23, 1
	s_sub_i32 s7, s1, s11
	s_load_dwordx4 s[16:19], s[4:5], 0x68
	s_load_dword s3, s[4:5], 0x78
	s_cmp_ge_u32 s1, s11
	s_cselect_b32 s2, s2, s23
	s_cselect_b32 s1, s7, s1
	s_add_i32 s7, s2, 1
	s_cmp_ge_u32 s1, s11
	s_cselect_b32 s1, s7, s2
	s_waitcnt lgkmcnt(0)
	s_abs_i32 s21, s19
	v_cvt_f32_u32_e32 v3, s21
	s_xor_b32 s1, s1, s0
	s_sub_i32 s2, s1, s0
	s_sub_i32 s0, 0, s21
	v_rcp_iflag_f32_e32 v3, v3
	s_add_i32 s11, s33, -1
	s_abs_i32 s7, s11
	v_mul_f32_e32 v3, 0x4f7ffffe, v3
	v_cvt_u32_f32_e32 v3, v3
	s_barrier
	v_readfirstlane_b32 s40, v3
	s_mul_i32 s0, s0, s40
	s_mul_hi_u32 s0, s40, s0
	s_add_i32 s40, s40, s0
	s_cmp_lt_i32 s3, 0
	s_mul_hi_u32 s12, s7, s40
	s_cbranch_scc0 .LBB43_6
; %bb.5:
	s_mul_i32 s0, s16, s30
	s_add_i32 s0, s2, s0
	s_mul_i32 s0, s0, s3
	s_sub_i32 s41, 1, s0
	s_mov_b64 s[0:1], 0
	s_branch .LBB43_7
.LBB43_6:
	s_mov_b64 s[0:1], -1
                                        ; implicit-def: $sgpr41
.LBB43_7:
	s_load_dwordx2 s[24:25], s[4:5], 0x28
	s_ashr_i32 s15, s11, 31
	s_andn2_b64 vcc, exec, s[0:1]
	s_ashr_i32 s19, s19, 31
	s_cbranch_vccnz .LBB43_9
; %bb.8:
	s_mul_i32 s0, s9, s16
	s_add_i32 s0, s0, s6
	s_mul_i32 s0, s0, s3
	s_add_i32 s41, s0, 1
.LBB43_9:
	s_load_dword s0, s[4:5], 0x38
	s_load_dwordx2 s[22:23], s[4:5], 0x0
	s_load_dwordx2 s[28:29], s[4:5], 0x18
	s_load_dword s11, s[4:5], 0x88
	s_xor_b32 s1, s15, s19
	s_waitcnt lgkmcnt(0)
	s_mul_i32 s26, s0, s10
	s_mul_i32 s0, s12, s21
	s_sub_i32 s0, s7, s0
	s_ashr_i32 s27, s26, 31
	s_add_i32 s3, s12, 1
	s_sub_i32 s6, s0, s21
	s_cmp_ge_u32 s0, s21
	s_cselect_b32 s3, s3, s12
	s_cselect_b32 s0, s6, s0
	s_add_i32 s6, s3, 1
	s_cmp_ge_u32 s0, s21
	s_cselect_b32 s0, s6, s3
	s_xor_b32 s0, s0, s1
	s_sub_i32 s12, s0, s1
	s_add_i32 s0, s33, 31
	s_ashr_i32 s1, s0, 31
	s_lshr_b32 s1, s1, 27
	s_add_i32 s0, s0, s1
	s_ashr_i32 s16, s0, 5
	v_lshrrev_b32_e32 v3, 6, v50
	v_cmp_gt_i32_e64 s[0:1], s16, v3
	v_mov_b32_e32 v20, 0xff7fffff
	s_mul_i32 s14, s2, s14
	v_lshrrev_b32_e32 v13, 4, v50
	v_lshlrev_b32_e32 v46, 5, v3
	v_mbcnt_lo_u32_b32 v14, -1, 0
	buffer_store_dword v3, off, s[52:55], 0 ; 4-byte Folded Spill
	s_and_saveexec_b64 s[34:35], s[0:1]
	s_cbranch_execz .LBB43_21
; %bb.10:
	s_load_dwordx2 s[2:3], s[4:5], 0x10
	s_ashr_i32 s15, s14, 31
	s_sub_i32 s30, s12, s17
	s_lshl_b64 s[4:5], s[14:15], 2
	v_bfe_u32 v15, v50, 1, 5
	s_waitcnt lgkmcnt(0)
	s_add_u32 s2, s2, s4
	s_addc_u32 s3, s3, s5
	s_abs_i32 s15, s18
	v_cvt_f32_u32_e32 v3, s15
	v_mov_b32_e32 v6, s3
	s_sub_i32 s3, 0, s15
	v_lshlrev_b32_e32 v5, 4, v15
	v_rcp_iflag_f32_e32 v3, v3
	s_lshl_b64 s[4:5], s[26:27], 2
	v_and_b32_e32 v2, 8, v2
	v_lshlrev_b32_e32 v4, 2, v15
	v_mul_f32_e32 v3, 0x4f7ffffe, v3
	v_cvt_u32_f32_e32 v3, v3
	s_add_u32 s4, s24, s4
	v_lshrrev_b32_e32 v28, 6, v50
	v_cmp_eq_u32_e32 vcc, 0, v1
	v_mul_lo_u32 v7, s3, v3
	v_add_co_u32_e64 v5, s[2:3], s2, v5
	v_addc_co_u32_e64 v6, s[2:3], 0, v6, s[2:3]
	v_mul_hi_u32 v7, v3, v7
	v_add_co_u32_e64 v16, s[2:3], v5, v2
	v_mul_u32_u24_e32 v18, 0x180, v1
	v_add_u32_e32 v19, v3, v7
	v_subrev_u32_e32 v3, s33, v15
	v_and_b32_e32 v1, 60, v13
	s_addc_u32 s5, s25, s5
	v_add_u32_e32 v22, 1, v3
	v_lshl_or_b32 v3, v28, 7, v4
	v_mbcnt_hi_u32_b32 v25, -1, v14
	v_addc_co_u32_e64 v17, s[2:3], 0, v6, s[2:3]
	v_mov_b32_e32 v2, s5
	v_add_co_u32_e64 v1, s[4:5], s4, v1
	v_add_u32_e32 v23, 0x310, v3
	v_and_b32_e32 v3, 64, v25
	s_mov_b32 s43, s13
	v_cmp_neq_f32_e64 s[2:3], s42, 0
	v_addc_co_u32_e64 v2, s[4:5], 0, v2, s[4:5]
	v_lshlrev_b32_e32 v21, 5, v28
	v_mov_b32_e32 v24, 0xff7fffff
	s_mov_b64 s[36:37], 0
	s_movk_i32 s44, 0x1000
	s_movk_i32 s45, 0x2000
	;; [unrolled: 1-line block ×5, first 2 shown]
	v_xor_b32_e32 v26, 1, v25
	v_add_u32_e32 v27, 64, v3
	v_mov_b32_e32 v20, 0xff7fffff
	s_branch .LBB43_13
.LBB43_11:                              ;   in Loop: Header=BB43_13 Depth=1
	s_or_b64 exec, exec, s[38:39]
	v_mov_b32_e32 v46, v49
.LBB43_12:                              ;   in Loop: Header=BB43_13 Depth=1
	s_or_b64 exec, exec, s[6:7]
	v_add_co_u32_e64 v1, s[4:5], 8, v1
	v_add_u32_e32 v28, 2, v28
	v_addc_co_u32_e64 v2, s[4:5], 0, v2, s[4:5]
	v_cmp_le_i32_e64 s[4:5], s16, v28
	v_add_u32_e32 v21, 64, v21
	s_or_b64 s[36:37], s[4:5], s[36:37]
	v_add_u32_e32 v23, 0x100, v23
	s_andn2_b64 exec, exec, s[36:37]
	s_cbranch_execz .LBB43_20
.LBB43_13:                              ; =>This Inner Loop Header: Depth=1
	v_mul_hi_u32 v3, v21, s40
	s_waitcnt lgkmcnt(0)
	v_mul_lo_u32 v4, v3, s21
	v_add_u32_e32 v5, 1, v3
	v_sub_u32_e32 v4, v21, v4
	v_cmp_le_u32_e64 s[4:5], s21, v4
	v_cndmask_b32_e64 v3, v3, v5, s[4:5]
	v_subrev_u32_e32 v5, s21, v4
	v_cndmask_b32_e64 v4, v4, v5, s[4:5]
	v_add_u32_e32 v5, 1, v3
	v_cmp_le_u32_e64 s[4:5], s21, v4
	v_cndmask_b32_e64 v3, v3, v5, s[4:5]
	v_xor_b32_e32 v3, s19, v3
	v_subrev_u32_e32 v3, s19, v3
	v_add_u32_e32 v4, s41, v3
	v_sub_u32_e32 v5, 0, v4
	v_max_i32_e32 v5, v4, v5
	v_mul_hi_u32 v6, v5, v19
	v_ashrrev_i32_e32 v4, 31, v4
	v_cmp_ge_i32_e64 s[6:7], s30, v3
	v_mul_lo_u32 v6, v6, s15
	v_sub_u32_e32 v5, v5, v6
	v_subrev_u32_e32 v6, s15, v5
	v_cmp_le_u32_e64 s[4:5], s15, v5
	v_cndmask_b32_e64 v5, v5, v6, s[4:5]
	v_subrev_u32_e32 v6, s15, v5
	v_cmp_le_u32_e64 s[4:5], s15, v5
	v_cndmask_b32_e64 v5, v5, v6, s[4:5]
	v_xor_b32_e32 v5, v5, v4
	v_sub_u32_e32 v4, v5, v4
	v_cmp_ne_u32_e64 s[4:5], 0, v4
	s_and_b64 s[4:5], s[4:5], s[6:7]
	s_and_saveexec_b64 s[6:7], s[4:5]
	s_xor_b64 s[4:5], exec, s[6:7]
	s_cbranch_execz .LBB43_17
; %bb.14:                               ;   in Loop: Header=BB43_13 Depth=1
	s_and_saveexec_b64 s[6:7], vcc
; %bb.15:                               ;   in Loop: Header=BB43_13 Depth=1
	ds_write_b32 v23, v24
; %bb.16:                               ;   in Loop: Header=BB43_13 Depth=1
	s_or_b64 exec, exec, s[6:7]
.LBB43_17:                              ;   in Loop: Header=BB43_13 Depth=1
	s_andn2_saveexec_b64 s[6:7], s[4:5]
	s_cbranch_execz .LBB43_12
; %bb.18:                               ;   in Loop: Header=BB43_13 Depth=1
	global_load_dword v3, v[1:2], off
	v_mov_b32_e32 v49, v46
	s_waitcnt vmcnt(0)
	v_mad_i64_i32 v[3:4], s[4:5], v3, s43, 0
	v_lshlrev_b64 v[3:4], 2, v[3:4]
	v_add_co_u32_e64 v7, s[4:5], v16, v3
	v_addc_co_u32_e64 v8, s[4:5], v17, v4, s[4:5]
	global_load_dwordx2 v[29:30], v[7:8], off offset:512
	ds_read_b128 v[3:6], v18
	ds_read_b128 v[9:12], v18 offset:16
	global_load_dwordx2 v[31:32], v[7:8], off offset:1024
	global_load_dwordx2 v[33:34], v[7:8], off offset:1536
	s_waitcnt vmcnt(2) lgkmcnt(1)
	v_mul_f32_e32 v29, v5, v29
	v_mul_f32_e32 v30, v6, v30
	global_load_dwordx2 v[5:6], v[7:8], off
	global_load_dwordx2 v[35:36], v[7:8], off offset:2048
	global_load_dwordx2 v[37:38], v[7:8], off offset:2560
	s_waitcnt vmcnt(2)
	v_fmac_f32_e32 v29, v3, v5
	v_fmac_f32_e32 v30, v4, v6
	s_waitcnt lgkmcnt(0)
	v_fmac_f32_e32 v29, v9, v31
	v_fmac_f32_e32 v30, v10, v32
	ds_read_b128 v[3:6], v18 offset:32
	global_load_dwordx2 v[9:10], v[7:8], off offset:3072
	global_load_dwordx2 v[39:40], v[7:8], off offset:3584
	v_fmac_f32_e32 v29, v11, v33
	v_add_co_u32_e64 v11, s[4:5], s45, v7
	v_fmac_f32_e32 v30, v12, v34
	v_addc_co_u32_e64 v12, s[4:5], 0, v8, s[4:5]
	global_load_dwordx2 v[41:42], v[11:12], off offset:-4096
	ds_read_b128 v[31:34], v18 offset:48
	s_waitcnt vmcnt(4) lgkmcnt(1)
	v_fmac_f32_e32 v29, v3, v35
	v_fmac_f32_e32 v30, v4, v36
	s_waitcnt vmcnt(3)
	v_fmac_f32_e32 v29, v5, v37
	v_fmac_f32_e32 v30, v6, v38
	v_add_co_u32_e64 v5, s[4:5], s48, v7
	v_addc_co_u32_e64 v6, s[4:5], 0, v8, s[4:5]
	s_waitcnt vmcnt(2) lgkmcnt(0)
	v_fmac_f32_e32 v29, v31, v9
	v_fmac_f32_e32 v30, v32, v10
	s_waitcnt vmcnt(1)
	v_fmac_f32_e32 v29, v33, v39
	v_fmac_f32_e32 v30, v34, v40
	ds_read_b128 v[31:34], v18 offset:64
	v_add_co_u32_e64 v9, s[4:5], s44, v7
	v_addc_co_u32_e64 v10, s[4:5], 0, v8, s[4:5]
	global_load_dwordx2 v[39:40], v[11:12], off
	global_load_dwordx2 v[3:4], v[5:6], off offset:3584
	ds_read_b128 v[35:38], v18 offset:80
	s_waitcnt vmcnt(2) lgkmcnt(1)
	v_fmac_f32_e32 v29, v31, v41
	v_fmac_f32_e32 v30, v32, v42
	global_load_dwordx2 v[31:32], v[9:10], off offset:512
	global_load_dwordx2 v[41:42], v[9:10], off offset:1024
	;; [unrolled: 1-line block ×4, first 2 shown]
	s_waitcnt vmcnt(3)
	v_fmac_f32_e32 v29, v33, v31
	v_fmac_f32_e32 v30, v34, v32
	s_waitcnt vmcnt(2) lgkmcnt(0)
	v_fmac_f32_e32 v29, v35, v41
	v_fmac_f32_e32 v30, v36, v42
	s_waitcnt vmcnt(1)
	v_fmac_f32_e32 v29, v37, v43
	v_fmac_f32_e32 v30, v38, v44
	ds_read_b128 v[31:34], v18 offset:96
	ds_read_b128 v[35:38], v18 offset:112
	s_waitcnt vmcnt(0) lgkmcnt(1)
	v_fmac_f32_e32 v29, v31, v45
	v_fmac_f32_e32 v30, v32, v46
	global_load_dwordx2 v[31:32], v[9:10], off offset:2560
	global_load_dwordx2 v[41:42], v[9:10], off offset:3072
	;; [unrolled: 1-line block ×3, first 2 shown]
	v_add_co_u32_e64 v9, s[4:5], s46, v7
	v_addc_co_u32_e64 v10, s[4:5], 0, v8, s[4:5]
	global_load_dwordx2 v[45:46], v[9:10], off offset:512
	v_add_co_u32_e64 v7, s[4:5], s47, v7
	v_addc_co_u32_e64 v8, s[4:5], 0, v8, s[4:5]
	v_cmp_lt_i32_e64 s[4:5], v26, v27
	s_waitcnt vmcnt(3)
	v_fmac_f32_e32 v29, v33, v31
	v_fmac_f32_e32 v30, v34, v32
	s_waitcnt vmcnt(2) lgkmcnt(0)
	v_fmac_f32_e32 v29, v35, v41
	v_fmac_f32_e32 v30, v36, v42
	s_waitcnt vmcnt(1)
	v_fmac_f32_e32 v29, v37, v43
	v_fmac_f32_e32 v30, v38, v44
	ds_read_b128 v[31:34], v18 offset:128
	ds_read_b128 v[35:38], v18 offset:144
	s_waitcnt lgkmcnt(1)
	v_fmac_f32_e32 v29, v31, v39
	v_fmac_f32_e32 v30, v32, v40
	global_load_dwordx2 v[31:32], v[11:12], off offset:512
	global_load_dwordx2 v[39:40], v[11:12], off offset:1024
	;; [unrolled: 1-line block ×4, first 2 shown]
	s_waitcnt vmcnt(3)
	v_fmac_f32_e32 v29, v33, v31
	v_fmac_f32_e32 v30, v34, v32
	s_waitcnt vmcnt(2) lgkmcnt(0)
	v_fmac_f32_e32 v29, v35, v39
	v_fmac_f32_e32 v30, v36, v40
	s_waitcnt vmcnt(1)
	v_fmac_f32_e32 v29, v37, v41
	v_fmac_f32_e32 v30, v38, v42
	ds_read_b128 v[31:34], v18 offset:160
	ds_read_b128 v[35:38], v18 offset:176
	s_waitcnt vmcnt(0) lgkmcnt(1)
	v_fmac_f32_e32 v29, v31, v43
	v_fmac_f32_e32 v30, v32, v44
	global_load_dwordx2 v[31:32], v[11:12], off offset:2560
	global_load_dwordx2 v[39:40], v[11:12], off offset:3072
	s_nop 0
	global_load_dwordx2 v[11:12], v[11:12], off offset:3584
	s_nop 0
	global_load_dwordx2 v[41:42], v[7:8], off offset:-4096
	s_waitcnt vmcnt(3)
	v_fmac_f32_e32 v29, v33, v31
	v_fmac_f32_e32 v30, v34, v32
	s_waitcnt vmcnt(2) lgkmcnt(0)
	v_fmac_f32_e32 v29, v35, v39
	v_fmac_f32_e32 v30, v36, v40
	s_waitcnt vmcnt(1)
	v_fmac_f32_e32 v29, v37, v11
	v_fmac_f32_e32 v30, v38, v12
	ds_read_b128 v[31:34], v18 offset:192
	ds_read_b128 v[35:38], v18 offset:208
	s_waitcnt vmcnt(0) lgkmcnt(1)
	v_fmac_f32_e32 v29, v31, v41
	v_fmac_f32_e32 v30, v32, v42
	global_load_dwordx2 v[11:12], v[9:10], off offset:1024
	global_load_dwordx2 v[31:32], v[9:10], off offset:1536
	global_load_dwordx2 v[39:40], v[9:10], off offset:2048
	global_load_dwordx2 v[41:42], v[9:10], off offset:2560
	v_fmac_f32_e32 v29, v45, v33
	v_fmac_f32_e32 v30, v46, v34
	s_waitcnt vmcnt(3) lgkmcnt(0)
	v_fmac_f32_e32 v29, v11, v35
	v_fmac_f32_e32 v30, v12, v36
	s_waitcnt vmcnt(2)
	v_fmac_f32_e32 v29, v31, v37
	v_fmac_f32_e32 v30, v32, v38
	ds_read_b128 v[31:34], v18 offset:224
	ds_read_b128 v[35:38], v18 offset:240
	s_waitcnt vmcnt(1) lgkmcnt(1)
	v_fmac_f32_e32 v29, v39, v31
	v_fmac_f32_e32 v30, v40, v32
	s_waitcnt vmcnt(0)
	v_fmac_f32_e32 v29, v41, v33
	v_fmac_f32_e32 v30, v42, v34
	global_load_dwordx2 v[11:12], v[9:10], off offset:3072
	s_nop 0
	global_load_dwordx2 v[9:10], v[9:10], off offset:3584
	s_nop 0
	global_load_dwordx2 v[39:40], v[5:6], off
	global_load_dwordx2 v[41:42], v[5:6], off offset:512
	s_waitcnt vmcnt(3) lgkmcnt(0)
	v_fmac_f32_e32 v29, v11, v35
	v_fmac_f32_e32 v30, v12, v36
	s_waitcnt vmcnt(2)
	v_fmac_f32_e32 v29, v9, v37
	v_fmac_f32_e32 v30, v10, v38
	global_load_dwordx2 v[35:36], v[7:8], off
	global_load_dwordx2 v[37:38], v[7:8], off offset:512
	global_load_dwordx2 v[43:44], v[7:8], off offset:1024
	;; [unrolled: 1-line block ×3, first 2 shown]
	ds_read_b128 v[9:12], v18 offset:256
	ds_read_b128 v[31:34], v18 offset:272
	s_waitcnt vmcnt(3) lgkmcnt(1)
	v_fmac_f32_e32 v29, v35, v9
	v_fmac_f32_e32 v30, v36, v10
	s_waitcnt vmcnt(2)
	v_fmac_f32_e32 v29, v37, v11
	v_fmac_f32_e32 v30, v38, v12
	s_waitcnt vmcnt(1) lgkmcnt(0)
	v_fmac_f32_e32 v29, v43, v31
	v_fmac_f32_e32 v30, v44, v32
	global_load_dwordx2 v[11:12], v[7:8], off offset:2048
	global_load_dwordx2 v[35:36], v[7:8], off offset:2560
	;; [unrolled: 1-line block ×4, first 2 shown]
	s_waitcnt vmcnt(4)
	v_fmac_f32_e32 v29, v45, v33
	v_fmac_f32_e32 v30, v46, v34
	ds_read_b128 v[7:10], v18 offset:288
	ds_read_b128 v[31:34], v18 offset:304
	s_waitcnt vmcnt(3) lgkmcnt(1)
	v_fmac_f32_e32 v29, v11, v7
	v_fmac_f32_e32 v30, v12, v8
	s_waitcnt vmcnt(2)
	v_fmac_f32_e32 v29, v35, v9
	v_fmac_f32_e32 v30, v36, v10
	s_waitcnt vmcnt(1) lgkmcnt(0)
	v_fmac_f32_e32 v29, v37, v31
	v_fmac_f32_e32 v30, v38, v32
	s_waitcnt vmcnt(0)
	v_fmac_f32_e32 v29, v43, v33
	v_fmac_f32_e32 v30, v44, v34
	ds_read_b128 v[7:10], v18 offset:320
	ds_read_b128 v[31:34], v18 offset:336
	s_waitcnt lgkmcnt(1)
	v_fmac_f32_e32 v29, v39, v7
	v_fmac_f32_e32 v30, v40, v8
	;; [unrolled: 1-line block ×4, first 2 shown]
	global_load_dwordx2 v[7:8], v[5:6], off offset:1024
	global_load_dwordx2 v[9:10], v[5:6], off offset:1536
	;; [unrolled: 1-line block ×4, first 2 shown]
	s_waitcnt vmcnt(3) lgkmcnt(0)
	v_fmac_f32_e32 v29, v7, v31
	v_fmac_f32_e32 v30, v8, v32
	s_waitcnt vmcnt(2)
	v_fmac_f32_e32 v29, v9, v33
	v_fmac_f32_e32 v30, v10, v34
	ds_read_b128 v[7:10], v18 offset:352
	ds_read_b128 v[31:34], v18 offset:368
	global_load_dwordx2 v[5:6], v[5:6], off offset:3072
	s_waitcnt vmcnt(2) lgkmcnt(1)
	v_fmac_f32_e32 v29, v11, v7
	v_fmac_f32_e32 v30, v12, v8
	s_waitcnt vmcnt(1)
	v_fmac_f32_e32 v29, v35, v9
	v_fmac_f32_e32 v30, v36, v10
	v_cndmask_b32_e64 v7, v25, v26, s[4:5]
	v_lshlrev_b32_e32 v7, 2, v7
	s_waitcnt vmcnt(0) lgkmcnt(0)
	v_fmac_f32_e32 v29, v5, v31
	v_fmac_f32_e32 v30, v6, v32
	;; [unrolled: 1-line block ×4, first 2 shown]
	v_add_f32_e32 v3, v29, v30
	ds_bpermute_b32 v4, v7, v3
	s_and_saveexec_b64 s[38:39], vcc
	s_cbranch_execz .LBB43_11
; %bb.19:                               ;   in Loop: Header=BB43_13 Depth=1
	v_add_u32_e32 v5, v22, v21
	v_cvt_f32_i32_e32 v5, v5
	s_waitcnt lgkmcnt(0)
	v_add_f32_e32 v3, v3, v4
	v_add_u32_e32 v6, v15, v21
	v_cmp_gt_i32_e64 s[4:5], s33, v6
	v_mul_f32_e32 v4, s42, v5
	v_cndmask_b32_e64 v4, 0, v4, s[2:3]
	v_fmac_f32_e32 v4, s31, v3
	v_cndmask_b32_e64 v3, 0, v4, s[4:5]
	ds_write_b32 v23, v3
	v_max_f32_e32 v3, v20, v20
	v_max_f32_e32 v3, v3, v4
	v_cndmask_b32_e64 v20, v20, v3, s[4:5]
	s_branch .LBB43_11
.LBB43_20:
	s_or_b64 exec, exec, s[36:37]
.LBB43_21:
	s_or_b64 exec, exec, s[34:35]
	v_mbcnt_hi_u32_b32 v1, -1, v14
	v_and_b32_e32 v7, 64, v1
	v_add_u32_e32 v8, 64, v7
	v_xor_b32_e32 v2, 32, v1
	v_cmp_lt_i32_e32 vcc, v2, v8
	v_cndmask_b32_e32 v2, v1, v2, vcc
	v_lshlrev_b32_e32 v2, 2, v2
	ds_bpermute_b32 v3, v2, v20
	v_xor_b32_e32 v5, 16, v1
	s_waitcnt lgkmcnt(1)
	v_max_f32_e32 v4, v20, v20
	v_cmp_lt_i32_e32 vcc, v5, v8
	v_xor_b32_e32 v6, 8, v1
	s_waitcnt lgkmcnt(0)
	v_max_f32_e32 v3, v3, v3
	v_max_f32_e32 v4, v4, v3
	v_cndmask_b32_e32 v3, v1, v5, vcc
	v_lshlrev_b32_e32 v3, 2, v3
	ds_bpermute_b32 v5, v3, v4
	v_cmp_lt_i32_e32 vcc, v6, v8
	v_xor_b32_e32 v9, 4, v1
	v_and_b32_e32 v30, 63, v50
	s_waitcnt lgkmcnt(0)
	v_max_f32_e32 v5, v5, v5
	v_max_f32_e32 v5, v4, v5
	v_cndmask_b32_e32 v4, v1, v6, vcc
	v_lshlrev_b32_e32 v4, 2, v4
	ds_bpermute_b32 v6, v4, v5
	v_cmp_lt_i32_e32 vcc, v9, v8
	s_waitcnt lgkmcnt(0)
	v_max_f32_e32 v6, v6, v6
	v_max_f32_e32 v5, v5, v6
	v_cndmask_b32_e32 v6, v1, v9, vcc
	v_lshlrev_b32_e32 v25, 2, v6
	ds_bpermute_b32 v6, v25, v5
	v_xor_b32_e32 v9, 2, v1
	v_cmp_lt_i32_e32 vcc, v9, v8
	s_waitcnt lgkmcnt(0)
	v_max_f32_e32 v6, v6, v6
	v_max_f32_e32 v6, v5, v6
	v_cndmask_b32_e32 v5, v1, v9, vcc
	v_lshlrev_b32_e32 v28, 2, v5
	ds_bpermute_b32 v9, v28, v6
	v_lshrrev_b32_e32 v5, 6, v50
	v_cmp_eq_u32_e32 vcc, 0, v30
	v_lshlrev_b32_e32 v5, 2, v5
	s_and_saveexec_b64 s[2:3], vcc
	s_cbranch_execz .LBB43_23
; %bb.22:
	s_waitcnt lgkmcnt(0)
	v_max_f32_e32 v9, v9, v9
	v_max_f32_e32 v6, v6, v6
	;; [unrolled: 1-line block ×3, first 2 shown]
	ds_write_b32 v5, v6 offset:768
.LBB43_23:
	s_or_b64 exec, exec, s[2:3]
	v_cmp_gt_u32_e64 s[2:3], 2, v30
	s_waitcnt lgkmcnt(0)
	v_mov_b32_e32 v9, 0xff7fffff
	v_lshlrev_b32_e32 v6, 2, v30
	s_waitcnt vmcnt(0)
	s_barrier
	s_and_saveexec_b64 s[4:5], s[2:3]
; %bb.24:
	ds_read_b32 v9, v6 offset:768
; %bb.25:
	s_or_b64 exec, exec, s[4:5]
	v_xor_b32_e32 v10, 1, v1
	v_cmp_lt_i32_e64 s[4:5], v10, v8
	v_cndmask_b32_e64 v8, v1, v10, s[4:5]
	v_lshlrev_b32_e32 v31, 2, v8
	s_waitcnt lgkmcnt(0)
	ds_bpermute_b32 v8, v31, v9
	v_max_f32_e32 v9, v9, v9
	v_lshlrev_b32_e32 v7, 2, v7
	s_lshl_b32 s4, s16, 5
	s_min_i32 s15, s4, s33
	s_waitcnt lgkmcnt(0)
	v_max_f32_e32 v8, v8, v8
	v_max_f32_e32 v8, v9, v8
	ds_bpermute_b32 v8, v7, v8
	v_cmp_gt_i32_e64 s[4:5], s15, v50
	v_mov_b32_e32 v7, 0
	s_and_saveexec_b64 s[30:31], s[4:5]
	s_cbranch_execz .LBB43_29
; %bb.26:
	v_mov_b32_e32 v7, 0x310
	v_lshl_add_u32 v9, v50, 2, v7
	v_mov_b32_e32 v7, 0
	s_mov_b64 s[34:35], 0
	v_mov_b32_e32 v10, v50
.LBB43_27:                              ; =>This Inner Loop Header: Depth=1
	ds_read_b32 v11, v9
	v_add_u32_e32 v10, 0x80, v10
	v_cmp_le_i32_e64 s[6:7], s15, v10
	s_or_b64 s[34:35], s[6:7], s[34:35]
	s_waitcnt lgkmcnt(0)
	v_sub_f32_e32 v11, v11, v8
	v_mul_f32_e32 v11, 0x3fb8aa3b, v11
	v_exp_f32_e32 v11, v11
	ds_write_b32 v9, v11
	v_add_f32_e32 v7, v7, v11
	v_add_u32_e32 v9, 0x200, v9
	s_andn2_b64 exec, exec, s[34:35]
	s_cbranch_execnz .LBB43_27
; %bb.28:
	s_or_b64 exec, exec, s[34:35]
.LBB43_29:
	s_or_b64 exec, exec, s[30:31]
	ds_bpermute_b32 v2, v2, v7
	s_waitcnt lgkmcnt(0)
	v_add_f32_e32 v2, v7, v2
	ds_bpermute_b32 v3, v3, v2
	s_waitcnt lgkmcnt(0)
	v_add_f32_e32 v2, v2, v3
	;; [unrolled: 3-line block ×6, first 2 shown]
	s_and_saveexec_b64 s[6:7], vcc
; %bb.30:
	ds_write_b32 v5, v2 offset:776
; %bb.31:
	s_or_b64 exec, exec, s[6:7]
	s_waitcnt lgkmcnt(0)
	s_barrier
	s_and_saveexec_b64 s[6:7], s[2:3]
; %bb.32:
	ds_read_b32 v2, v6 offset:776
; %bb.33:
	s_or_b64 exec, exec, s[6:7]
	s_waitcnt lgkmcnt(0)
	ds_bpermute_b32 v3, v31, v2
	v_lshlrev_b32_e32 v1, 2, v1
	v_and_b32_e32 v1, 0x100, v1
	s_waitcnt lgkmcnt(0)
	v_add_f32_e32 v2, v2, v3
	ds_bpermute_b32 v1, v1, v2
	s_and_saveexec_b64 s[2:3], s[4:5]
	s_cbranch_execz .LBB43_36
; %bb.34:
	s_waitcnt lgkmcnt(0)
	v_add_f32_e32 v2, 0x358637bd, v1
	v_div_scale_f32 v1, s[4:5], v2, v2, 1.0
	v_div_scale_f32 v3, vcc, 1.0, v2, 1.0
	s_mov_b64 s[4:5], 0
	v_rcp_f32_e32 v4, v1
	v_fma_f32 v5, -v1, v4, 1.0
	v_fmac_f32_e32 v4, v5, v4
	v_mul_f32_e32 v5, v3, v4
	v_fma_f32 v6, -v1, v5, v3
	v_fmac_f32_e32 v5, v6, v4
	v_fma_f32 v1, -v1, v5, v3
	v_div_fmas_f32 v3, v1, v4, v5
	v_mov_b32_e32 v1, 0x310
	v_lshl_add_u32 v1, v50, 2, v1
	v_div_fixup_f32 v2, v3, v2, 1.0
	v_mov_b32_e32 v3, v50
.LBB43_35:                              ; =>This Inner Loop Header: Depth=1
	ds_read_b32 v4, v1
	v_add_u32_e32 v3, 0x80, v3
	v_cmp_le_i32_e32 vcc, s15, v3
	s_or_b64 s[4:5], vcc, s[4:5]
	s_waitcnt lgkmcnt(0)
	v_mul_f32_e32 v4, v2, v4
	ds_write_b32 v1, v4
	v_add_u32_e32 v1, 0x200, v1
	s_andn2_b64 exec, exec, s[4:5]
	s_cbranch_execnz .LBB43_35
.LBB43_36:
	s_or_b64 exec, exec, s[2:3]
	v_mov_b32_e32 v4, 0
	s_waitcnt lgkmcnt(0)
	v_and_b32_e32 v1, 7, v50
	v_mov_b32_e32 v6, 0
	v_mov_b32_e32 v5, 0
	;; [unrolled: 1-line block ×23, first 2 shown]
	s_barrier
	buffer_store_dword v1, off, s[52:55], 0 offset:292 ; 4-byte Folded Spill
	s_and_saveexec_b64 s[2:3], s[0:1]
	s_cbranch_execz .LBB43_90
; %bb.37:
	s_ashr_i32 s15, s14, 31
	s_sub_i32 s17, s12, s17
	s_lshl_b64 s[0:1], s[14:15], 2
	s_add_u32 s14, s28, s0
	s_addc_u32 s15, s29, s1
	s_abs_i32 s18, s18
	v_cvt_f32_u32_e32 v1, s18
	s_sub_i32 s0, 0, s18
	buffer_store_dword v31, off, s[52:55], 0 offset:304 ; 4-byte Folded Spill
	buffer_store_dword v28, off, s[52:55], 0 offset:300 ; 4-byte Folded Spill
	;; [unrolled: 1-line block ×3, first 2 shown]
	v_and_b32_e32 v2, 28, v0
	v_rcp_iflag_f32_e32 v1, v1
	buffer_store_dword v2, off, s[52:55], 0 offset:280 ; 4-byte Folded Spill
	v_and_b32_e32 v2, 0xfc, v0
	v_or_b32_e32 v0, 0xf00, v0
	v_mul_f32_e32 v1, 0x4f7ffffe, v1
	v_cvt_u32_f32_e32 v1, v1
	v_lshlrev_b32_e32 v0, 2, v0
	buffer_store_dword v0, off, s[52:55], 0 offset:288 ; 4-byte Folded Spill
	v_mov_b32_e32 v0, 0
	v_mul_lo_u32 v3, s0, v1
	buffer_store_dword v0, off, s[52:55], 0 offset:184 ; 4-byte Folded Spill
	v_mov_b32_e32 v0, 0
	buffer_store_dword v0, off, s[52:55], 0 offset:188 ; 4-byte Folded Spill
	v_mul_hi_u32 v3, v1, v3
	v_mov_b32_e32 v0, 0
	buffer_store_dword v0, off, s[52:55], 0 offset:192 ; 4-byte Folded Spill
	v_mov_b32_e32 v0, 0
	v_add_u32_e32 v1, v1, v3
	buffer_load_dword v3, off, s[52:55], 0  ; 4-byte Folded Reload
	s_add_i32 s29, s16, -1
	buffer_store_dword v0, off, s[52:55], 0 offset:196 ; 4-byte Folded Spill
	v_mov_b32_e32 v0, 0
	buffer_store_dword v0, off, s[52:55], 0 offset:200 ; 4-byte Folded Spill
	v_mov_b32_e32 v0, 0
	;; [unrolled: 2-line block ×12, first 2 shown]
	s_lshl_b64 s[0:1], s[26:27], 2
	buffer_store_dword v1, off, s[52:55], 0 offset:268 ; 4-byte Folded Spill
	v_and_b32_e32 v1, 7, v50
	buffer_store_dword v0, off, s[52:55], 0 offset:244 ; 4-byte Folded Spill
	v_mov_b32_e32 v0, 0
	s_add_u32 s0, s24, s0
	v_lshlrev_b32_e32 v1, 4, v1
	buffer_store_dword v0, off, s[52:55], 0 offset:248 ; 4-byte Folded Spill
	v_mov_b32_e32 v0, 0
	v_and_b32_e32 v4, 60, v13
	s_addc_u32 s1, s25, s1
	buffer_store_dword v0, off, s[52:55], 0 offset:252 ; 4-byte Folded Spill
	v_mov_b32_e32 v0, 0
	v_mov_b32_e32 v5, s1
	v_add_co_u32_e32 v61, vcc, s0, v4
	buffer_store_dword v0, off, s[52:55], 0 offset:256 ; 4-byte Folded Spill
	v_mov_b32_e32 v0, 0
	s_mov_b32 s28, s13
	v_mov_b32_e32 v47, 0
	v_addc_co_u32_e32 v62, vcc, 0, v5, vcc
	s_mov_b64 s[4:5], 0
	v_mov_b32_e32 v9, 0
	v_mov_b32_e32 v10, 0
	buffer_store_dword v0, off, s[52:55], 0 offset:264 ; 4-byte Folded Spill
	v_mov_b32_e32 v0, 0
	buffer_store_dword v50, off, s[52:55], 0 offset:308 ; 4-byte Folded Spill
	buffer_store_dword v0, off, s[52:55], 0 offset:260 ; 4-byte Folded Spill
	s_waitcnt vmcnt(20)
	v_lshl_or_b32 v1, v3, 7, v1
	v_add_u32_e32 v1, 0x310, v1
	buffer_store_dword v1, off, s[52:55], 0 offset:4 ; 4-byte Folded Spill
	v_lshlrev_b32_e32 v1, 2, v2
	buffer_store_dword v1, off, s[52:55], 0 offset:284 ; 4-byte Folded Spill
	s_branch .LBB43_40
.LBB43_38:                              ;   in Loop: Header=BB43_40 Depth=1
	s_or_b64 exec, exec, s[12:13]
	s_waitcnt vmcnt(2) lgkmcnt(0)
	v_mul_f32_e32 v37, v1, v37
	v_fmac_f32_e32 v37, v2, v38
	v_fmac_f32_e32 v37, v3, v39
	s_waitcnt vmcnt(1)
	v_mul_f32_e32 v0, v1, v41
	v_fmac_f32_e32 v37, v4, v40
	buffer_load_dword v38, off, s[52:55], 0 offset:168 ; 4-byte Folded Reload
	buffer_load_dword v39, off, s[52:55], 0 offset:172 ; 4-byte Folded Reload
	;; [unrolled: 1-line block ×4, first 2 shown]
	v_mul_f32_e32 v9, v1, v9
	v_fmac_f32_e32 v9, v2, v10
	v_fmac_f32_e32 v9, v3, v11
	;; [unrolled: 1-line block ×3, first 2 shown]
	v_mul_f32_e32 v13, v1, v13
	v_fmac_f32_e32 v13, v2, v14
	v_fmac_f32_e32 v13, v3, v15
	;; [unrolled: 1-line block ×6, first 2 shown]
	v_mul_f32_e32 v33, v1, v33
	v_fmac_f32_e32 v33, v2, v34
	v_fmac_f32_e32 v33, v3, v35
	v_fmac_f32_e32 v33, v4, v36
	v_mul_f32_e32 v29, v1, v29
	v_fmac_f32_e32 v29, v2, v30
	v_fmac_f32_e32 v29, v3, v31
	v_fmac_f32_e32 v29, v4, v32
	;; [unrolled: 4-line block ×8, first 2 shown]
	s_waitcnt vmcnt(3)
	v_mul_f32_e32 v10, v1, v38
	s_waitcnt vmcnt(2)
	v_fmac_f32_e32 v10, v2, v39
	s_waitcnt vmcnt(1)
	v_fmac_f32_e32 v10, v3, v40
	s_waitcnt vmcnt(0)
	v_fmac_f32_e32 v10, v4, v41
	buffer_load_dword v38, off, s[52:55], 0 offset:152 ; 4-byte Folded Reload
	buffer_load_dword v39, off, s[52:55], 0 offset:156 ; 4-byte Folded Reload
	buffer_load_dword v40, off, s[52:55], 0 offset:160 ; 4-byte Folded Reload
	buffer_load_dword v41, off, s[52:55], 0 offset:164 ; 4-byte Folded Reload
	s_waitcnt vmcnt(3)
	v_mul_f32_e32 v11, v1, v38
	s_waitcnt vmcnt(2)
	v_fmac_f32_e32 v11, v2, v39
	s_waitcnt vmcnt(1)
	v_fmac_f32_e32 v11, v3, v40
	s_waitcnt vmcnt(0)
	v_fmac_f32_e32 v11, v4, v41
	buffer_load_dword v38, off, s[52:55], 0 offset:136 ; 4-byte Folded Reload
	buffer_load_dword v39, off, s[52:55], 0 offset:140 ; 4-byte Folded Reload
	buffer_load_dword v40, off, s[52:55], 0 offset:144 ; 4-byte Folded Reload
	buffer_load_dword v41, off, s[52:55], 0 offset:148 ; 4-byte Folded Reload
	;; [unrolled: 12-line block ×4, first 2 shown]
	buffer_load_dword v16, off, s[52:55], 0 offset:184 ; 4-byte Folded Reload
	s_waitcnt vmcnt(4)
	v_mul_f32_e32 v15, v1, v38
	s_waitcnt vmcnt(3)
	v_fmac_f32_e32 v15, v2, v39
	s_waitcnt vmcnt(2)
	v_fmac_f32_e32 v15, v3, v40
	;; [unrolled: 2-line block ×3, first 2 shown]
	s_waitcnt vmcnt(0)
	v_add_f32_e32 v16, v16, v0
	buffer_load_dword v0, off, s[52:55], 0 offset:188 ; 4-byte Folded Reload
	s_waitcnt vmcnt(0)
	v_add_f32_e32 v0, v0, v37
	buffer_store_dword v0, off, s[52:55], 0 offset:188 ; 4-byte Folded Spill
	buffer_load_dword v0, off, s[52:55], 0 offset:192 ; 4-byte Folded Reload
	s_waitcnt vmcnt(0)
	v_add_f32_e32 v0, v0, v33
	buffer_store_dword v0, off, s[52:55], 0 offset:192 ; 4-byte Folded Spill
	;; [unrolled: 4-line block ×7, first 2 shown]
	buffer_load_dword v0, off, s[52:55], 0 offset:216 ; 4-byte Folded Reload
	s_nop 0
	buffer_load_dword v9, off, s[52:55], 0 offset:272 ; 4-byte Folded Reload
	s_waitcnt vmcnt(1)
	v_add_f32_e32 v0, v0, v5
	buffer_store_dword v0, off, s[52:55], 0 offset:216 ; 4-byte Folded Spill
	buffer_load_dword v0, off, s[52:55], 0 offset:220 ; 4-byte Folded Reload
	s_waitcnt vmcnt(2)
	v_add_f32_e32 v9, v9, v15
	buffer_store_dword v16, off, s[52:55], 0 offset:184 ; 4-byte Folded Spill
	s_waitcnt vmcnt(1)
	v_add_f32_e32 v0, v0, v6
	buffer_store_dword v0, off, s[52:55], 0 offset:220 ; 4-byte Folded Spill
	buffer_load_dword v0, off, s[52:55], 0 offset:224 ; 4-byte Folded Reload
	s_waitcnt vmcnt(0)
	v_add_f32_e32 v0, v0, v7
	buffer_store_dword v0, off, s[52:55], 0 offset:224 ; 4-byte Folded Spill
	buffer_load_dword v0, off, s[52:55], 0 offset:228 ; 4-byte Folded Reload
	;; [unrolled: 4-line block ×7, first 2 shown]
	buffer_load_dword v6, off, s[52:55], 0 offset:92 ; 4-byte Folded Reload
	buffer_load_dword v7, off, s[52:55], 0 offset:96 ; 4-byte Folded Reload
	;; [unrolled: 1-line block ×4, first 2 shown]
	s_waitcnt vmcnt(4)
	v_mul_f32_e32 v0, v1, v5
	s_waitcnt vmcnt(3)
	v_fmac_f32_e32 v0, v2, v6
	s_waitcnt vmcnt(2)
	v_fmac_f32_e32 v0, v3, v7
	;; [unrolled: 2-line block ×3, first 2 shown]
	buffer_load_dword v5, off, s[52:55], 0 offset:72 ; 4-byte Folded Reload
	buffer_load_dword v6, off, s[52:55], 0 offset:76 ; 4-byte Folded Reload
	buffer_load_dword v7, off, s[52:55], 0 offset:80 ; 4-byte Folded Reload
	buffer_load_dword v8, off, s[52:55], 0 offset:84 ; 4-byte Folded Reload
	s_waitcnt vmcnt(4)
	v_add_f32_e32 v10, v10, v0
	s_waitcnt vmcnt(3)
	v_mul_f32_e32 v0, v1, v5
	buffer_load_dword v5, off, s[52:55], 0 offset:248 ; 4-byte Folded Reload
	s_waitcnt vmcnt(3)
	v_fmac_f32_e32 v0, v2, v6
	s_waitcnt vmcnt(2)
	v_fmac_f32_e32 v0, v3, v7
	s_waitcnt vmcnt(1)
	v_fmac_f32_e32 v0, v4, v8
	s_waitcnt vmcnt(0)
	v_add_f32_e32 v5, v5, v0
	buffer_store_dword v5, off, s[52:55], 0 offset:248 ; 4-byte Folded Spill
	buffer_load_dword v5, off, s[52:55], 0 offset:56 ; 4-byte Folded Reload
	s_nop 0
	buffer_load_dword v6, off, s[52:55], 0 offset:60 ; 4-byte Folded Reload
	buffer_load_dword v7, off, s[52:55], 0 offset:64 ; 4-byte Folded Reload
	buffer_load_dword v8, off, s[52:55], 0 offset:68 ; 4-byte Folded Reload
	s_waitcnt vmcnt(3)
	v_mul_f32_e32 v0, v1, v5
	buffer_load_dword v5, off, s[52:55], 0 offset:252 ; 4-byte Folded Reload
	s_waitcnt vmcnt(3)
	v_fmac_f32_e32 v0, v2, v6
	s_waitcnt vmcnt(2)
	v_fmac_f32_e32 v0, v3, v7
	s_waitcnt vmcnt(1)
	v_fmac_f32_e32 v0, v4, v8
	s_waitcnt vmcnt(0)
	v_add_f32_e32 v5, v5, v0
	buffer_store_dword v5, off, s[52:55], 0 offset:252 ; 4-byte Folded Spill
	buffer_load_dword v5, off, s[52:55], 0 offset:40 ; 4-byte Folded Reload
	s_nop 0
	buffer_load_dword v6, off, s[52:55], 0 offset:44 ; 4-byte Folded Reload
	buffer_load_dword v7, off, s[52:55], 0 offset:48 ; 4-byte Folded Reload
	buffer_load_dword v8, off, s[52:55], 0 offset:52 ; 4-byte Folded Reload
	;; [unrolled: 17-line block ×4, first 2 shown]
	s_waitcnt vmcnt(3)
	v_mul_f32_e32 v0, v1, v5
	buffer_load_dword v5, off, s[52:55], 0 offset:260 ; 4-byte Folded Reload
	s_waitcnt vmcnt(3)
	v_fmac_f32_e32 v0, v2, v6
	s_waitcnt vmcnt(2)
	v_fmac_f32_e32 v0, v3, v7
	;; [unrolled: 2-line block ×3, first 2 shown]
	s_waitcnt vmcnt(0)
	v_add_f32_e32 v5, v5, v0
	v_mul_f32_e32 v0, v1, v25
	v_fmac_f32_e32 v0, v2, v26
	v_fmac_f32_e32 v0, v3, v27
	;; [unrolled: 1-line block ×3, first 2 shown]
	v_add_f32_e32 v47, v47, v0
	buffer_store_dword v5, off, s[52:55], 0 offset:260 ; 4-byte Folded Spill
.LBB43_39:                              ;   in Loop: Header=BB43_40 Depth=1
	s_or_b64 exec, exec, s[6:7]
	buffer_load_dword v0, off, s[52:55], 0  ; 4-byte Folded Reload
	v_add_co_u32_e32 v61, vcc, 8, v61
	v_addc_co_u32_e32 v62, vcc, 0, v62, vcc
	v_add_u32_e32 v46, 64, v46
	s_waitcnt vmcnt(0)
	v_add_u32_e32 v0, 2, v0
	buffer_store_dword v0, off, s[52:55], 0 ; 4-byte Folded Spill
	v_cmp_le_i32_e32 vcc, s16, v0
	buffer_load_dword v0, off, s[52:55], 0 offset:4 ; 4-byte Folded Reload
	s_or_b64 s[4:5], vcc, s[4:5]
	s_waitcnt vmcnt(0)
	v_add_u32_e32 v0, 0x100, v0
	buffer_store_dword v0, off, s[52:55], 0 offset:4 ; 4-byte Folded Spill
	s_andn2_b64 exec, exec, s[4:5]
	s_cbranch_execz .LBB43_89
.LBB43_40:                              ; =>This Inner Loop Header: Depth=1
	buffer_load_dword v3, off, s[52:55], 0 offset:268 ; 4-byte Folded Reload
	v_mul_hi_u32 v0, v46, s40
	v_mul_lo_u32 v1, v0, s21
	v_add_u32_e32 v2, 1, v0
	v_sub_u32_e32 v1, v46, v1
	v_cmp_le_u32_e32 vcc, s21, v1
	v_cndmask_b32_e32 v0, v0, v2, vcc
	v_subrev_u32_e32 v2, s21, v1
	v_cndmask_b32_e32 v1, v1, v2, vcc
	v_add_u32_e32 v2, 1, v0
	v_cmp_le_u32_e32 vcc, s21, v1
	v_cndmask_b32_e32 v0, v0, v2, vcc
	v_xor_b32_e32 v0, s19, v0
	v_subrev_u32_e32 v0, s19, v0
	v_add_u32_e32 v1, s41, v0
	v_sub_u32_e32 v2, 0, v1
	v_max_i32_e32 v2, v1, v2
	v_ashrrev_i32_e32 v1, 31, v1
	v_cmp_lt_i32_e64 s[0:1], s17, v0
	s_waitcnt vmcnt(0)
	v_mul_hi_u32 v3, v2, v3
	v_mul_lo_u32 v3, v3, s18
	v_sub_u32_e32 v2, v2, v3
	v_subrev_u32_e32 v3, s18, v2
	v_cmp_le_u32_e32 vcc, s18, v2
	v_cndmask_b32_e32 v2, v2, v3, vcc
	v_subrev_u32_e32 v3, s18, v2
	v_cmp_le_u32_e32 vcc, s18, v2
	v_cndmask_b32_e32 v2, v2, v3, vcc
	v_xor_b32_e32 v2, v2, v1
	v_sub_u32_e32 v1, v2, v1
	v_cmp_eq_u32_e32 vcc, 0, v1
	s_or_b64 s[0:1], vcc, s[0:1]
	s_and_saveexec_b64 s[6:7], s[0:1]
	s_cbranch_execz .LBB43_39
; %bb.41:                               ;   in Loop: Header=BB43_40 Depth=1
	buffer_store_dword v10, off, s[52:55], 0 offset:276 ; 4-byte Folded Spill
	buffer_store_dword v9, off, s[52:55], 0 offset:272 ; 4-byte Folded Spill
	global_load_dword v0, v[61:62], off
	v_mov_b32_e32 v2, s15
	s_waitcnt vmcnt(0)
	v_mad_i64_i32 v[0:1], s[0:1], v0, s28, 0
	v_lshlrev_b64 v[0:1], 2, v[0:1]
	v_add_co_u32_e32 v9, vcc, s14, v0
	buffer_load_dword v0, off, s[52:55], 0 offset:284 ; 4-byte Folded Reload
	v_addc_co_u32_e32 v10, vcc, v2, v1, vcc
	s_waitcnt vmcnt(0)
	v_add_co_u32_e32 v25, vcc, v9, v0
	v_addc_co_u32_e32 v26, vcc, 0, v10, vcc
	global_load_dwordx4 v[0:3], v[25:26], off
	s_waitcnt vmcnt(0)
	buffer_store_dword v0, off, s[52:55], 0 offset:8 ; 4-byte Folded Spill
	s_nop 0
	buffer_store_dword v1, off, s[52:55], 0 offset:12 ; 4-byte Folded Spill
	buffer_store_dword v2, off, s[52:55], 0 offset:16 ; 4-byte Folded Spill
	;; [unrolled: 1-line block ×3, first 2 shown]
	buffer_load_dword v0, off, s[52:55], 0 offset:280 ; 4-byte Folded Reload
	s_waitcnt vmcnt(0)
	v_add_u32_e32 v5, v0, v46
	buffer_load_dword v0, off, s[52:55], 0 offset:4 ; 4-byte Folded Reload
	v_add_u32_e32 v45, 1, v5
	v_mov_b32_e32 v48, v5
	v_add_u32_e32 v63, 3, v5
	s_waitcnt vmcnt(0)
	ds_read_b128 v[1:4], v0
	buffer_load_dword v0, off, s[52:55], 0  ; 4-byte Folded Reload
	s_waitcnt vmcnt(0)
	v_cmp_eq_u32_e64 s[0:1], s29, v0
	v_add_u32_e32 v0, 2, v5
	s_and_saveexec_b64 s[12:13], s[0:1]
	s_cbranch_execz .LBB43_43
; %bb.42:                               ;   in Loop: Header=BB43_40 Depth=1
	buffer_load_dword v5, off, s[52:55], 0 offset:8 ; 4-byte Folded Reload
	buffer_load_dword v6, off, s[52:55], 0 offset:12 ; 4-byte Folded Reload
	buffer_load_dword v7, off, s[52:55], 0 offset:16 ; 4-byte Folded Reload
	buffer_load_dword v8, off, s[52:55], 0 offset:20 ; 4-byte Folded Reload
	v_cmp_gt_i32_e32 vcc, s33, v48
	s_waitcnt vmcnt(3)
	v_cndmask_b32_e32 v5, 0, v5, vcc
	v_cmp_gt_i32_e32 vcc, s33, v45
	s_waitcnt vmcnt(2)
	v_cndmask_b32_e32 v6, 0, v6, vcc
	v_cmp_gt_i32_e32 vcc, s33, v0
	s_waitcnt vmcnt(1)
	v_cndmask_b32_e32 v7, 0, v7, vcc
	v_cmp_gt_i32_e32 vcc, s33, v63
	s_waitcnt vmcnt(0)
	v_cndmask_b32_e32 v8, 0, v8, vcc
	buffer_store_dword v5, off, s[52:55], 0 offset:8 ; 4-byte Folded Spill
	s_nop 0
	buffer_store_dword v6, off, s[52:55], 0 offset:12 ; 4-byte Folded Spill
	buffer_store_dword v7, off, s[52:55], 0 offset:16 ; 4-byte Folded Spill
	buffer_store_dword v8, off, s[52:55], 0 offset:20 ; 4-byte Folded Spill
.LBB43_43:                              ;   in Loop: Header=BB43_40 Depth=1
	s_or_b64 exec, exec, s[12:13]
	global_load_dwordx4 v[5:8], v[25:26], off offset:1024
	s_waitcnt vmcnt(0)
	buffer_store_dword v5, off, s[52:55], 0 offset:24 ; 4-byte Folded Spill
	s_nop 0
	buffer_store_dword v6, off, s[52:55], 0 offset:28 ; 4-byte Folded Spill
	buffer_store_dword v7, off, s[52:55], 0 offset:32 ; 4-byte Folded Spill
	buffer_store_dword v8, off, s[52:55], 0 offset:36 ; 4-byte Folded Spill
	s_and_saveexec_b64 s[12:13], s[0:1]
	s_cbranch_execz .LBB43_45
; %bb.44:                               ;   in Loop: Header=BB43_40 Depth=1
	buffer_load_dword v5, off, s[52:55], 0 offset:24 ; 4-byte Folded Reload
	buffer_load_dword v6, off, s[52:55], 0 offset:28 ; 4-byte Folded Reload
	buffer_load_dword v7, off, s[52:55], 0 offset:32 ; 4-byte Folded Reload
	buffer_load_dword v8, off, s[52:55], 0 offset:36 ; 4-byte Folded Reload
	v_cmp_gt_i32_e32 vcc, s33, v48
	s_waitcnt vmcnt(3)
	v_cndmask_b32_e32 v5, 0, v5, vcc
	v_cmp_gt_i32_e32 vcc, s33, v45
	s_waitcnt vmcnt(2)
	v_cndmask_b32_e32 v6, 0, v6, vcc
	v_cmp_gt_i32_e32 vcc, s33, v0
	s_waitcnt vmcnt(1)
	v_cndmask_b32_e32 v7, 0, v7, vcc
	v_cmp_gt_i32_e32 vcc, s33, v63
	s_waitcnt vmcnt(0)
	v_cndmask_b32_e32 v8, 0, v8, vcc
	buffer_store_dword v5, off, s[52:55], 0 offset:24 ; 4-byte Folded Spill
	s_nop 0
	buffer_store_dword v6, off, s[52:55], 0 offset:28 ; 4-byte Folded Spill
	buffer_store_dword v7, off, s[52:55], 0 offset:32 ; 4-byte Folded Spill
	buffer_store_dword v8, off, s[52:55], 0 offset:36 ; 4-byte Folded Spill
.LBB43_45:                              ;   in Loop: Header=BB43_40 Depth=1
	s_or_b64 exec, exec, s[12:13]
	global_load_dwordx4 v[5:8], v[25:26], off offset:2048
	s_waitcnt vmcnt(0)
	buffer_store_dword v5, off, s[52:55], 0 offset:40 ; 4-byte Folded Spill
	s_nop 0
	buffer_store_dword v6, off, s[52:55], 0 offset:44 ; 4-byte Folded Spill
	buffer_store_dword v7, off, s[52:55], 0 offset:48 ; 4-byte Folded Spill
	buffer_store_dword v8, off, s[52:55], 0 offset:52 ; 4-byte Folded Spill
	;; [unrolled: 33-line block ×3, first 2 shown]
	s_and_saveexec_b64 s[12:13], s[0:1]
	s_cbranch_execz .LBB43_49
; %bb.48:                               ;   in Loop: Header=BB43_40 Depth=1
	buffer_load_dword v5, off, s[52:55], 0 offset:56 ; 4-byte Folded Reload
	buffer_load_dword v6, off, s[52:55], 0 offset:60 ; 4-byte Folded Reload
	;; [unrolled: 1-line block ×4, first 2 shown]
	v_cmp_gt_i32_e32 vcc, s33, v48
	s_waitcnt vmcnt(3)
	v_cndmask_b32_e32 v5, 0, v5, vcc
	v_cmp_gt_i32_e32 vcc, s33, v45
	s_waitcnt vmcnt(2)
	v_cndmask_b32_e32 v6, 0, v6, vcc
	;; [unrolled: 3-line block ×4, first 2 shown]
	buffer_store_dword v5, off, s[52:55], 0 offset:56 ; 4-byte Folded Spill
	s_nop 0
	buffer_store_dword v6, off, s[52:55], 0 offset:60 ; 4-byte Folded Spill
	buffer_store_dword v7, off, s[52:55], 0 offset:64 ; 4-byte Folded Spill
	;; [unrolled: 1-line block ×3, first 2 shown]
.LBB43_49:                              ;   in Loop: Header=BB43_40 Depth=1
	s_or_b64 exec, exec, s[12:13]
	v_add_co_u32_e32 v5, vcc, 0x1000, v25
	v_addc_co_u32_e32 v6, vcc, 0, v26, vcc
	global_load_dwordx4 v[5:8], v[5:6], off
	s_waitcnt vmcnt(0)
	buffer_store_dword v5, off, s[52:55], 0 offset:72 ; 4-byte Folded Spill
	s_nop 0
	buffer_store_dword v6, off, s[52:55], 0 offset:76 ; 4-byte Folded Spill
	buffer_store_dword v7, off, s[52:55], 0 offset:80 ; 4-byte Folded Spill
	buffer_store_dword v8, off, s[52:55], 0 offset:84 ; 4-byte Folded Spill
	s_and_saveexec_b64 s[12:13], s[0:1]
	s_cbranch_execz .LBB43_51
; %bb.50:                               ;   in Loop: Header=BB43_40 Depth=1
	buffer_load_dword v5, off, s[52:55], 0 offset:72 ; 4-byte Folded Reload
	buffer_load_dword v6, off, s[52:55], 0 offset:76 ; 4-byte Folded Reload
	buffer_load_dword v7, off, s[52:55], 0 offset:80 ; 4-byte Folded Reload
	buffer_load_dword v8, off, s[52:55], 0 offset:84 ; 4-byte Folded Reload
	v_cmp_gt_i32_e32 vcc, s33, v48
	s_waitcnt vmcnt(3)
	v_cndmask_b32_e32 v5, 0, v5, vcc
	v_cmp_gt_i32_e32 vcc, s33, v45
	s_waitcnt vmcnt(2)
	v_cndmask_b32_e32 v6, 0, v6, vcc
	v_cmp_gt_i32_e32 vcc, s33, v0
	s_waitcnt vmcnt(1)
	v_cndmask_b32_e32 v7, 0, v7, vcc
	v_cmp_gt_i32_e32 vcc, s33, v63
	s_waitcnt vmcnt(0)
	v_cndmask_b32_e32 v8, 0, v8, vcc
	buffer_store_dword v5, off, s[52:55], 0 offset:72 ; 4-byte Folded Spill
	s_nop 0
	buffer_store_dword v6, off, s[52:55], 0 offset:76 ; 4-byte Folded Spill
	buffer_store_dword v7, off, s[52:55], 0 offset:80 ; 4-byte Folded Spill
	buffer_store_dword v8, off, s[52:55], 0 offset:84 ; 4-byte Folded Spill
.LBB43_51:                              ;   in Loop: Header=BB43_40 Depth=1
	s_or_b64 exec, exec, s[12:13]
	v_add_co_u32_e32 v5, vcc, 0x1000, v25
	v_addc_co_u32_e32 v6, vcc, 0, v26, vcc
	global_load_dwordx4 v[5:8], v[5:6], off offset:1024
	s_waitcnt vmcnt(0)
	buffer_store_dword v5, off, s[52:55], 0 offset:88 ; 4-byte Folded Spill
	s_nop 0
	buffer_store_dword v6, off, s[52:55], 0 offset:92 ; 4-byte Folded Spill
	buffer_store_dword v7, off, s[52:55], 0 offset:96 ; 4-byte Folded Spill
	buffer_store_dword v8, off, s[52:55], 0 offset:100 ; 4-byte Folded Spill
	s_and_saveexec_b64 s[12:13], s[0:1]
	s_cbranch_execz .LBB43_53
; %bb.52:                               ;   in Loop: Header=BB43_40 Depth=1
	buffer_load_dword v5, off, s[52:55], 0 offset:88 ; 4-byte Folded Reload
	buffer_load_dword v6, off, s[52:55], 0 offset:92 ; 4-byte Folded Reload
	buffer_load_dword v7, off, s[52:55], 0 offset:96 ; 4-byte Folded Reload
	buffer_load_dword v8, off, s[52:55], 0 offset:100 ; 4-byte Folded Reload
	v_cmp_gt_i32_e32 vcc, s33, v48
	s_waitcnt vmcnt(3)
	v_cndmask_b32_e32 v5, 0, v5, vcc
	v_cmp_gt_i32_e32 vcc, s33, v45
	s_waitcnt vmcnt(2)
	v_cndmask_b32_e32 v6, 0, v6, vcc
	v_cmp_gt_i32_e32 vcc, s33, v0
	s_waitcnt vmcnt(1)
	v_cndmask_b32_e32 v7, 0, v7, vcc
	v_cmp_gt_i32_e32 vcc, s33, v63
	s_waitcnt vmcnt(0)
	v_cndmask_b32_e32 v8, 0, v8, vcc
	buffer_store_dword v5, off, s[52:55], 0 offset:88 ; 4-byte Folded Spill
	s_nop 0
	buffer_store_dword v6, off, s[52:55], 0 offset:92 ; 4-byte Folded Spill
	buffer_store_dword v7, off, s[52:55], 0 offset:96 ; 4-byte Folded Spill
	buffer_store_dword v8, off, s[52:55], 0 offset:100 ; 4-byte Folded Spill
.LBB43_53:                              ;   in Loop: Header=BB43_40 Depth=1
	s_or_b64 exec, exec, s[12:13]
	v_add_co_u32_e32 v5, vcc, 0x1000, v25
	v_addc_co_u32_e32 v6, vcc, 0, v26, vcc
	global_load_dwordx4 v[5:8], v[5:6], off offset:2048
	;; [unrolled: 35-line block ×3, first 2 shown]
	s_waitcnt vmcnt(0)
	buffer_store_dword v5, off, s[52:55], 0 offset:120 ; 4-byte Folded Spill
	s_nop 0
	buffer_store_dword v6, off, s[52:55], 0 offset:124 ; 4-byte Folded Spill
	buffer_store_dword v7, off, s[52:55], 0 offset:128 ; 4-byte Folded Spill
	;; [unrolled: 1-line block ×3, first 2 shown]
	s_and_saveexec_b64 s[12:13], s[0:1]
	s_cbranch_execz .LBB43_57
; %bb.56:                               ;   in Loop: Header=BB43_40 Depth=1
	buffer_load_dword v5, off, s[52:55], 0 offset:120 ; 4-byte Folded Reload
	buffer_load_dword v6, off, s[52:55], 0 offset:124 ; 4-byte Folded Reload
	;; [unrolled: 1-line block ×4, first 2 shown]
	v_cmp_gt_i32_e32 vcc, s33, v48
	s_waitcnt vmcnt(3)
	v_cndmask_b32_e32 v5, 0, v5, vcc
	v_cmp_gt_i32_e32 vcc, s33, v45
	s_waitcnt vmcnt(2)
	v_cndmask_b32_e32 v6, 0, v6, vcc
	v_cmp_gt_i32_e32 vcc, s33, v0
	s_waitcnt vmcnt(1)
	v_cndmask_b32_e32 v7, 0, v7, vcc
	v_cmp_gt_i32_e32 vcc, s33, v63
	s_waitcnt vmcnt(0)
	v_cndmask_b32_e32 v8, 0, v8, vcc
	buffer_store_dword v5, off, s[52:55], 0 offset:120 ; 4-byte Folded Spill
	s_nop 0
	buffer_store_dword v6, off, s[52:55], 0 offset:124 ; 4-byte Folded Spill
	buffer_store_dword v7, off, s[52:55], 0 offset:128 ; 4-byte Folded Spill
	;; [unrolled: 1-line block ×3, first 2 shown]
.LBB43_57:                              ;   in Loop: Header=BB43_40 Depth=1
	s_or_b64 exec, exec, s[12:13]
	v_add_co_u32_e32 v5, vcc, 0x2000, v25
	v_addc_co_u32_e32 v6, vcc, 0, v26, vcc
	global_load_dwordx4 v[5:8], v[5:6], off
	s_waitcnt vmcnt(0)
	buffer_store_dword v5, off, s[52:55], 0 offset:136 ; 4-byte Folded Spill
	s_nop 0
	buffer_store_dword v6, off, s[52:55], 0 offset:140 ; 4-byte Folded Spill
	buffer_store_dword v7, off, s[52:55], 0 offset:144 ; 4-byte Folded Spill
	buffer_store_dword v8, off, s[52:55], 0 offset:148 ; 4-byte Folded Spill
	s_and_saveexec_b64 s[12:13], s[0:1]
	s_cbranch_execz .LBB43_59
; %bb.58:                               ;   in Loop: Header=BB43_40 Depth=1
	buffer_load_dword v5, off, s[52:55], 0 offset:136 ; 4-byte Folded Reload
	buffer_load_dword v6, off, s[52:55], 0 offset:140 ; 4-byte Folded Reload
	buffer_load_dword v7, off, s[52:55], 0 offset:144 ; 4-byte Folded Reload
	buffer_load_dword v8, off, s[52:55], 0 offset:148 ; 4-byte Folded Reload
	v_cmp_gt_i32_e32 vcc, s33, v48
	s_waitcnt vmcnt(3)
	v_cndmask_b32_e32 v5, 0, v5, vcc
	v_cmp_gt_i32_e32 vcc, s33, v45
	s_waitcnt vmcnt(2)
	v_cndmask_b32_e32 v6, 0, v6, vcc
	v_cmp_gt_i32_e32 vcc, s33, v0
	s_waitcnt vmcnt(1)
	v_cndmask_b32_e32 v7, 0, v7, vcc
	v_cmp_gt_i32_e32 vcc, s33, v63
	s_waitcnt vmcnt(0)
	v_cndmask_b32_e32 v8, 0, v8, vcc
	buffer_store_dword v5, off, s[52:55], 0 offset:136 ; 4-byte Folded Spill
	s_nop 0
	buffer_store_dword v6, off, s[52:55], 0 offset:140 ; 4-byte Folded Spill
	buffer_store_dword v7, off, s[52:55], 0 offset:144 ; 4-byte Folded Spill
	buffer_store_dword v8, off, s[52:55], 0 offset:148 ; 4-byte Folded Spill
.LBB43_59:                              ;   in Loop: Header=BB43_40 Depth=1
	s_or_b64 exec, exec, s[12:13]
	v_add_co_u32_e32 v5, vcc, 0x2000, v25
	v_addc_co_u32_e32 v6, vcc, 0, v26, vcc
	global_load_dwordx4 v[5:8], v[5:6], off offset:1024
	s_waitcnt vmcnt(0)
	buffer_store_dword v5, off, s[52:55], 0 offset:152 ; 4-byte Folded Spill
	s_nop 0
	buffer_store_dword v6, off, s[52:55], 0 offset:156 ; 4-byte Folded Spill
	buffer_store_dword v7, off, s[52:55], 0 offset:160 ; 4-byte Folded Spill
	buffer_store_dword v8, off, s[52:55], 0 offset:164 ; 4-byte Folded Spill
	s_and_saveexec_b64 s[12:13], s[0:1]
	s_cbranch_execz .LBB43_61
; %bb.60:                               ;   in Loop: Header=BB43_40 Depth=1
	buffer_load_dword v5, off, s[52:55], 0 offset:152 ; 4-byte Folded Reload
	buffer_load_dword v6, off, s[52:55], 0 offset:156 ; 4-byte Folded Reload
	buffer_load_dword v7, off, s[52:55], 0 offset:160 ; 4-byte Folded Reload
	buffer_load_dword v8, off, s[52:55], 0 offset:164 ; 4-byte Folded Reload
	v_cmp_gt_i32_e32 vcc, s33, v48
	s_waitcnt vmcnt(3)
	v_cndmask_b32_e32 v5, 0, v5, vcc
	v_cmp_gt_i32_e32 vcc, s33, v45
	s_waitcnt vmcnt(2)
	v_cndmask_b32_e32 v6, 0, v6, vcc
	v_cmp_gt_i32_e32 vcc, s33, v0
	s_waitcnt vmcnt(1)
	v_cndmask_b32_e32 v7, 0, v7, vcc
	v_cmp_gt_i32_e32 vcc, s33, v63
	s_waitcnt vmcnt(0)
	v_cndmask_b32_e32 v8, 0, v8, vcc
	buffer_store_dword v5, off, s[52:55], 0 offset:152 ; 4-byte Folded Spill
	s_nop 0
	buffer_store_dword v6, off, s[52:55], 0 offset:156 ; 4-byte Folded Spill
	buffer_store_dword v7, off, s[52:55], 0 offset:160 ; 4-byte Folded Spill
	buffer_store_dword v8, off, s[52:55], 0 offset:164 ; 4-byte Folded Spill
.LBB43_61:                              ;   in Loop: Header=BB43_40 Depth=1
	s_or_b64 exec, exec, s[12:13]
	v_add_co_u32_e32 v5, vcc, 0x2000, v25
	v_addc_co_u32_e32 v6, vcc, 0, v26, vcc
	global_load_dwordx4 v[5:8], v[5:6], off offset:2048
	;; [unrolled: 35-line block ×3, first 2 shown]
	s_and_saveexec_b64 s[12:13], s[0:1]
	s_cbranch_execz .LBB43_65
; %bb.64:                               ;   in Loop: Header=BB43_40 Depth=1
	v_cmp_gt_i32_e32 vcc, s33, v48
	s_waitcnt vmcnt(0)
	v_cndmask_b32_e32 v49, 0, v49, vcc
	v_cmp_gt_i32_e32 vcc, s33, v45
	v_cndmask_b32_e32 v50, 0, v50, vcc
	v_cmp_gt_i32_e32 vcc, s33, v0
	;; [unrolled: 2-line block ×3, first 2 shown]
	v_cndmask_b32_e32 v52, 0, v52, vcc
.LBB43_65:                              ;   in Loop: Header=BB43_40 Depth=1
	s_or_b64 exec, exec, s[12:13]
	v_add_co_u32_e32 v5, vcc, 0x3000, v25
	v_addc_co_u32_e32 v6, vcc, 0, v26, vcc
	global_load_dwordx4 v[53:56], v[5:6], off
	s_and_saveexec_b64 s[12:13], s[0:1]
	s_cbranch_execz .LBB43_67
; %bb.66:                               ;   in Loop: Header=BB43_40 Depth=1
	v_cmp_gt_i32_e32 vcc, s33, v48
	s_waitcnt vmcnt(0)
	v_cndmask_b32_e32 v53, 0, v53, vcc
	v_cmp_gt_i32_e32 vcc, s33, v45
	v_cndmask_b32_e32 v54, 0, v54, vcc
	v_cmp_gt_i32_e32 vcc, s33, v0
	;; [unrolled: 2-line block ×3, first 2 shown]
	v_cndmask_b32_e32 v56, 0, v56, vcc
.LBB43_67:                              ;   in Loop: Header=BB43_40 Depth=1
	s_or_b64 exec, exec, s[12:13]
	v_add_co_u32_e32 v5, vcc, 0x3000, v25
	v_addc_co_u32_e32 v6, vcc, 0, v26, vcc
	global_load_dwordx4 v[57:60], v[5:6], off offset:1024
	s_and_saveexec_b64 s[12:13], s[0:1]
	s_cbranch_execz .LBB43_69
; %bb.68:                               ;   in Loop: Header=BB43_40 Depth=1
	v_cmp_gt_i32_e32 vcc, s33, v48
	s_waitcnt vmcnt(0)
	v_cndmask_b32_e32 v57, 0, v57, vcc
	v_cmp_gt_i32_e32 vcc, s33, v45
	v_cndmask_b32_e32 v58, 0, v58, vcc
	v_cmp_gt_i32_e32 vcc, s33, v0
	;; [unrolled: 2-line block ×3, first 2 shown]
	v_cndmask_b32_e32 v60, 0, v60, vcc
.LBB43_69:                              ;   in Loop: Header=BB43_40 Depth=1
	s_or_b64 exec, exec, s[12:13]
	v_add_co_u32_e32 v5, vcc, 0x3000, v25
	v_addc_co_u32_e32 v6, vcc, 0, v26, vcc
	global_load_dwordx4 v[5:8], v[5:6], off offset:2048
	s_and_saveexec_b64 s[12:13], s[0:1]
	s_cbranch_execz .LBB43_71
; %bb.70:                               ;   in Loop: Header=BB43_40 Depth=1
	v_cmp_gt_i32_e32 vcc, s33, v48
	s_waitcnt vmcnt(0)
	v_cndmask_b32_e32 v5, 0, v5, vcc
	v_cmp_gt_i32_e32 vcc, s33, v45
	v_cndmask_b32_e32 v6, 0, v6, vcc
	v_cmp_gt_i32_e32 vcc, s33, v0
	v_cndmask_b32_e32 v7, 0, v7, vcc
	v_cmp_gt_i32_e32 vcc, s33, v63
	v_cndmask_b32_e32 v8, 0, v8, vcc
.LBB43_71:                              ;   in Loop: Header=BB43_40 Depth=1
	s_or_b64 exec, exec, s[12:13]
	buffer_load_dword v11, off, s[52:55], 0 offset:288 ; 4-byte Folded Reload
	s_waitcnt vmcnt(0)
	v_add_co_u32_e32 v9, vcc, v9, v11
	v_addc_co_u32_e32 v10, vcc, 0, v10, vcc
	global_load_dwordx4 v[9:12], v[9:10], off
	s_and_saveexec_b64 s[12:13], s[0:1]
	s_cbranch_execz .LBB43_73
; %bb.72:                               ;   in Loop: Header=BB43_40 Depth=1
	v_cmp_gt_i32_e32 vcc, s33, v48
	s_waitcnt vmcnt(0)
	v_cndmask_b32_e32 v9, 0, v9, vcc
	v_cmp_gt_i32_e32 vcc, s33, v45
	v_cndmask_b32_e32 v10, 0, v10, vcc
	v_cmp_gt_i32_e32 vcc, s33, v0
	;; [unrolled: 2-line block ×3, first 2 shown]
	v_cndmask_b32_e32 v12, 0, v12, vcc
.LBB43_73:                              ;   in Loop: Header=BB43_40 Depth=1
	s_or_b64 exec, exec, s[12:13]
	v_add_co_u32_e32 v13, vcc, 0x4000, v25
	v_addc_co_u32_e32 v14, vcc, 0, v26, vcc
	global_load_dwordx4 v[13:16], v[13:14], off
	s_and_saveexec_b64 s[12:13], s[0:1]
	s_cbranch_execz .LBB43_75
; %bb.74:                               ;   in Loop: Header=BB43_40 Depth=1
	v_cmp_gt_i32_e32 vcc, s33, v48
	s_waitcnt vmcnt(0)
	v_cndmask_b32_e32 v13, 0, v13, vcc
	v_cmp_gt_i32_e32 vcc, s33, v45
	v_cndmask_b32_e32 v14, 0, v14, vcc
	v_cmp_gt_i32_e32 vcc, s33, v0
	v_cndmask_b32_e32 v15, 0, v15, vcc
	v_cmp_gt_i32_e32 vcc, s33, v63
	v_cndmask_b32_e32 v16, 0, v16, vcc
.LBB43_75:                              ;   in Loop: Header=BB43_40 Depth=1
	s_or_b64 exec, exec, s[12:13]
	v_add_co_u32_e32 v17, vcc, 0x4000, v25
	v_addc_co_u32_e32 v18, vcc, 0, v26, vcc
	global_load_dwordx4 v[17:20], v[17:18], off offset:1024
	s_and_saveexec_b64 s[12:13], s[0:1]
	s_cbranch_execz .LBB43_77
; %bb.76:                               ;   in Loop: Header=BB43_40 Depth=1
	v_cmp_gt_i32_e32 vcc, s33, v48
	s_waitcnt vmcnt(0)
	v_cndmask_b32_e32 v17, 0, v17, vcc
	v_cmp_gt_i32_e32 vcc, s33, v45
	v_cndmask_b32_e32 v18, 0, v18, vcc
	v_cmp_gt_i32_e32 vcc, s33, v0
	v_cndmask_b32_e32 v19, 0, v19, vcc
	v_cmp_gt_i32_e32 vcc, s33, v63
	v_cndmask_b32_e32 v20, 0, v20, vcc
.LBB43_77:                              ;   in Loop: Header=BB43_40 Depth=1
	s_or_b64 exec, exec, s[12:13]
	v_add_co_u32_e32 v21, vcc, 0x4000, v25
	v_addc_co_u32_e32 v22, vcc, 0, v26, vcc
	global_load_dwordx4 v[21:24], v[21:22], off offset:2048
	;; [unrolled: 17-line block ×3, first 2 shown]
	s_and_saveexec_b64 s[12:13], s[0:1]
	s_cbranch_execz .LBB43_81
; %bb.80:                               ;   in Loop: Header=BB43_40 Depth=1
	v_cmp_gt_i32_e32 vcc, s33, v48
	s_waitcnt vmcnt(0)
	v_cndmask_b32_e32 v29, 0, v29, vcc
	v_cmp_gt_i32_e32 vcc, s33, v45
	v_cndmask_b32_e32 v30, 0, v30, vcc
	v_cmp_gt_i32_e32 vcc, s33, v0
	;; [unrolled: 2-line block ×3, first 2 shown]
	v_cndmask_b32_e32 v32, 0, v32, vcc
.LBB43_81:                              ;   in Loop: Header=BB43_40 Depth=1
	s_or_b64 exec, exec, s[12:13]
	v_add_co_u32_e32 v27, vcc, 0x5000, v25
	v_addc_co_u32_e32 v28, vcc, 0, v26, vcc
	global_load_dwordx4 v[33:36], v[27:28], off
	s_and_saveexec_b64 s[12:13], s[0:1]
	s_cbranch_execz .LBB43_83
; %bb.82:                               ;   in Loop: Header=BB43_40 Depth=1
	v_cmp_gt_i32_e32 vcc, s33, v48
	s_waitcnt vmcnt(0)
	v_cndmask_b32_e32 v33, 0, v33, vcc
	v_cmp_gt_i32_e32 vcc, s33, v45
	v_cndmask_b32_e32 v34, 0, v34, vcc
	v_cmp_gt_i32_e32 vcc, s33, v0
	v_cndmask_b32_e32 v35, 0, v35, vcc
	v_cmp_gt_i32_e32 vcc, s33, v63
	v_cndmask_b32_e32 v36, 0, v36, vcc
.LBB43_83:                              ;   in Loop: Header=BB43_40 Depth=1
	s_or_b64 exec, exec, s[12:13]
	v_add_co_u32_e32 v27, vcc, 0x5000, v25
	v_addc_co_u32_e32 v28, vcc, 0, v26, vcc
	global_load_dwordx4 v[37:40], v[27:28], off offset:1024
	s_and_saveexec_b64 s[12:13], s[0:1]
	s_cbranch_execz .LBB43_85
; %bb.84:                               ;   in Loop: Header=BB43_40 Depth=1
	v_cmp_gt_i32_e32 vcc, s33, v48
	s_waitcnt vmcnt(0)
	v_cndmask_b32_e32 v37, 0, v37, vcc
	v_cmp_gt_i32_e32 vcc, s33, v45
	v_cndmask_b32_e32 v38, 0, v38, vcc
	v_cmp_gt_i32_e32 vcc, s33, v0
	v_cndmask_b32_e32 v39, 0, v39, vcc
	v_cmp_gt_i32_e32 vcc, s33, v63
	v_cndmask_b32_e32 v40, 0, v40, vcc
.LBB43_85:                              ;   in Loop: Header=BB43_40 Depth=1
	s_or_b64 exec, exec, s[12:13]
	v_add_co_u32_e32 v27, vcc, 0x5000, v25
	v_addc_co_u32_e32 v28, vcc, 0, v26, vcc
	global_load_dwordx4 v[41:44], v[27:28], off offset:2048
	;; [unrolled: 17-line block ×3, first 2 shown]
	s_and_saveexec_b64 s[12:13], s[0:1]
	s_cbranch_execz .LBB43_38
; %bb.88:                               ;   in Loop: Header=BB43_40 Depth=1
	v_cmp_gt_i32_e32 vcc, s33, v48
	s_waitcnt vmcnt(0)
	v_cndmask_b32_e32 v25, 0, v25, vcc
	v_cmp_gt_i32_e32 vcc, s33, v45
	v_cndmask_b32_e32 v26, 0, v26, vcc
	v_cmp_gt_i32_e32 vcc, s33, v0
	;; [unrolled: 2-line block ×3, first 2 shown]
	v_cndmask_b32_e32 v28, 0, v28, vcc
	s_branch .LBB43_38
.LBB43_89:
	s_or_b64 exec, exec, s[4:5]
	buffer_load_dword v50, off, s[52:55], 0 offset:308 ; 4-byte Folded Reload
	buffer_load_dword v25, off, s[52:55], 0 offset:296 ; 4-byte Folded Reload
	;; [unrolled: 1-line block ×25, first 2 shown]
	s_waitcnt vmcnt(24)
	v_and_b32_e32 v30, 63, v50
.LBB43_90:
	s_or_b64 exec, exec, s[2:3]
	s_waitcnt vmcnt(0)
	ds_bpermute_b32 v1, v25, v6
	ds_bpermute_b32 v0, v25, v4
	;; [unrolled: 1-line block ×5, first 2 shown]
	s_waitcnt lgkmcnt(4)
	v_add_f32_e32 v1, v6, v1
	s_waitcnt lgkmcnt(3)
	v_add_f32_e32 v0, v4, v0
	;; [unrolled: 2-line block ×3, first 2 shown]
	ds_bpermute_b32 v5, v28, v1
	ds_bpermute_b32 v4, v28, v0
	;; [unrolled: 1-line block ×3, first 2 shown]
	s_waitcnt lgkmcnt(4)
	v_add_f32_e32 v3, v32, v3
	v_mov_b32_e32 v13, v9
	s_waitcnt lgkmcnt(2)
	v_add_f32_e32 v1, v1, v5
	s_waitcnt lgkmcnt(1)
	v_add_f32_e32 v0, v0, v4
	ds_bpermute_b32 v5, v31, v1
	ds_bpermute_b32 v4, v31, v0
	s_waitcnt lgkmcnt(2)
	v_add_f32_e32 v2, v2, v6
	ds_bpermute_b32 v6, v31, v2
	s_waitcnt lgkmcnt(0)
	v_add_f32_e32 v1, v1, v5
	v_add_f32_e32 v5, v8, v7
	;; [unrolled: 1-line block ×3, first 2 shown]
	ds_bpermute_b32 v4, v28, v3
	ds_bpermute_b32 v7, v28, v5
	v_add_f32_e32 v2, v2, v6
	s_waitcnt lgkmcnt(0)
	s_barrier
	v_add_f32_e32 v3, v3, v4
	v_add_f32_e32 v5, v5, v7
	ds_bpermute_b32 v4, v25, v10
	ds_bpermute_b32 v6, v31, v3
	;; [unrolled: 1-line block ×4, first 2 shown]
	s_waitcnt lgkmcnt(3)
	v_add_f32_e32 v9, v10, v4
	s_waitcnt lgkmcnt(2)
	v_add_f32_e32 v3, v3, v6
	;; [unrolled: 2-line block ×4, first 2 shown]
	ds_bpermute_b32 v8, v25, v11
	ds_bpermute_b32 v10, v28, v9
	;; [unrolled: 1-line block ×3, first 2 shown]
	s_waitcnt lgkmcnt(2)
	v_add_f32_e32 v8, v11, v8
	s_waitcnt lgkmcnt(1)
	v_add_f32_e32 v5, v9, v10
	;; [unrolled: 2-line block ×3, first 2 shown]
	ds_bpermute_b32 v7, v25, v12
	ds_bpermute_b32 v11, v28, v8
	;; [unrolled: 1-line block ×4, first 2 shown]
	s_waitcnt lgkmcnt(3)
	v_add_f32_e32 v7, v12, v7
	s_waitcnt lgkmcnt(2)
	v_add_f32_e32 v8, v8, v11
	;; [unrolled: 2-line block ×3, first 2 shown]
	ds_bpermute_b32 v9, v28, v7
	ds_bpermute_b32 v11, v31, v8
	ds_bpermute_b32 v12, v25, v16
	s_waitcnt lgkmcnt(3)
	v_add_f32_e32 v6, v6, v10
	ds_bpermute_b32 v10, v25, v14
	s_waitcnt lgkmcnt(3)
	v_add_f32_e32 v9, v7, v9
	s_waitcnt lgkmcnt(2)
	v_add_f32_e32 v7, v8, v11
	;; [unrolled: 2-line block ×3, first 2 shown]
	ds_bpermute_b32 v12, v28, v11
	s_waitcnt lgkmcnt(1)
	v_add_f32_e32 v10, v14, v10
	ds_bpermute_b32 v13, v31, v9
	ds_bpermute_b32 v14, v28, v10
	s_waitcnt lgkmcnt(2)
	v_add_f32_e32 v11, v11, v12
	ds_bpermute_b32 v12, v25, v19
	s_waitcnt lgkmcnt(2)
	v_add_f32_e32 v8, v9, v13
	s_waitcnt lgkmcnt(1)
	v_add_f32_e32 v9, v10, v14
	ds_bpermute_b32 v10, v25, v15
	ds_bpermute_b32 v14, v31, v11
	;; [unrolled: 1-line block ×3, first 2 shown]
	s_waitcnt lgkmcnt(3)
	v_add_f32_e32 v12, v19, v12
	s_waitcnt lgkmcnt(2)
	v_add_f32_e32 v15, v15, v10
	;; [unrolled: 2-line block ×3, first 2 shown]
	ds_bpermute_b32 v14, v25, v17
	ds_bpermute_b32 v16, v28, v15
	s_waitcnt lgkmcnt(2)
	v_add_f32_e32 v9, v9, v13
	ds_bpermute_b32 v13, v28, v12
	s_waitcnt lgkmcnt(2)
	v_add_f32_e32 v14, v17, v14
	s_waitcnt lgkmcnt(1)
	v_add_f32_e32 v11, v15, v16
	ds_bpermute_b32 v17, v28, v14
	s_waitcnt lgkmcnt(1)
	v_add_f32_e32 v12, v12, v13
	ds_bpermute_b32 v13, v25, v18
	ds_bpermute_b32 v15, v31, v11
	;; [unrolled: 1-line block ×3, first 2 shown]
	s_waitcnt lgkmcnt(3)
	v_add_f32_e32 v14, v14, v17
	ds_bpermute_b32 v17, v31, v14
	s_waitcnt lgkmcnt(3)
	v_add_f32_e32 v13, v18, v13
	s_waitcnt lgkmcnt(2)
	v_add_f32_e32 v11, v11, v15
	ds_bpermute_b32 v15, v28, v13
	s_waitcnt lgkmcnt(2)
	v_add_f32_e32 v12, v12, v16
	ds_bpermute_b32 v16, v25, v20
	ds_bpermute_b32 v18, v25, v22
	s_waitcnt lgkmcnt(2)
	v_add_f32_e32 v15, v13, v15
	v_add_f32_e32 v13, v14, v17
	s_waitcnt lgkmcnt(1)
	v_add_f32_e32 v16, v20, v16
	s_waitcnt lgkmcnt(0)
	v_add_f32_e32 v17, v22, v18
	ds_bpermute_b32 v19, v31, v15
	ds_bpermute_b32 v20, v28, v16
	;; [unrolled: 1-line block ×3, first 2 shown]
	s_waitcnt lgkmcnt(2)
	v_add_f32_e32 v14, v15, v19
	s_waitcnt lgkmcnt(1)
	v_add_f32_e32 v15, v16, v20
	ds_bpermute_b32 v16, v25, v21
	s_waitcnt lgkmcnt(1)
	v_add_f32_e32 v17, v17, v18
	ds_bpermute_b32 v18, v25, v29
	ds_bpermute_b32 v19, v31, v15
	;; [unrolled: 1-line block ×3, first 2 shown]
	s_waitcnt lgkmcnt(3)
	v_add_f32_e32 v21, v21, v16
	ds_bpermute_b32 v22, v28, v21
	s_waitcnt lgkmcnt(3)
	v_add_f32_e32 v18, v29, v18
	s_waitcnt lgkmcnt(2)
	v_add_f32_e32 v15, v15, v19
	ds_bpermute_b32 v19, v28, v18
	s_waitcnt lgkmcnt(2)
	v_add_f32_e32 v16, v17, v20
	s_waitcnt lgkmcnt(1)
	v_add_f32_e32 v17, v21, v22
	ds_bpermute_b32 v20, v25, v23
	ds_bpermute_b32 v21, v31, v17
	s_waitcnt lgkmcnt(2)
	v_add_f32_e32 v18, v18, v19
	ds_bpermute_b32 v19, v25, v24
	ds_bpermute_b32 v22, v31, v18
	s_waitcnt lgkmcnt(3)
	v_add_f32_e32 v20, v23, v20
	ds_bpermute_b32 v23, v28, v20
	s_waitcnt lgkmcnt(3)
	v_add_f32_e32 v17, v17, v21
	s_waitcnt lgkmcnt(2)
	v_add_f32_e32 v19, v24, v19
	ds_bpermute_b32 v21, v28, v19
	s_waitcnt lgkmcnt(2)
	v_add_f32_e32 v18, v18, v22
	s_waitcnt lgkmcnt(1)
	v_add_f32_e32 v20, v20, v23
	ds_bpermute_b32 v23, v25, v26
	ds_bpermute_b32 v22, v31, v20
	s_waitcnt lgkmcnt(2)
	v_add_f32_e32 v21, v19, v21
	ds_bpermute_b32 v19, v25, v27
	ds_bpermute_b32 v25, v25, v47
	;; [unrolled: 4-line block ×3, first 2 shown]
	s_waitcnt lgkmcnt(3)
	v_add_f32_e32 v19, v27, v19
	s_waitcnt lgkmcnt(2)
	v_add_f32_e32 v25, v47, v25
	ds_bpermute_b32 v27, v28, v19
	ds_bpermute_b32 v28, v28, v25
	s_waitcnt lgkmcnt(3)
	v_add_f32_e32 v23, v23, v26
	ds_bpermute_b32 v26, v31, v23
	s_waitcnt lgkmcnt(2)
	v_add_f32_e32 v27, v19, v27
	s_waitcnt lgkmcnt(1)
	v_add_f32_e32 v25, v25, v28
	ds_bpermute_b32 v28, v31, v25
	ds_bpermute_b32 v29, v31, v27
	v_add_f32_e32 v19, v20, v22
	v_add_f32_e32 v20, v21, v24
	s_waitcnt lgkmcnt(2)
	v_add_f32_e32 v21, v23, v26
	s_waitcnt lgkmcnt(1)
	v_add_f32_e32 v23, v25, v28
	v_and_b32_e32 v25, 0x3c7, v50
	s_waitcnt lgkmcnt(0)
	v_add_f32_e32 v22, v27, v29
	v_cmp_eq_u32_e32 vcc, 64, v25
	s_and_saveexec_b64 s[0:1], vcc
	s_cbranch_execz .LBB43_92
; %bb.91:
	v_lshrrev_b32_e32 v24, 1, v30
	v_add_u32_e32 v24, 0x310, v24
	ds_write2_b32 v24, v0, v1 offset1:8
	ds_write2_b32 v24, v2, v3 offset0:16 offset1:24
	ds_write2_b32 v24, v4, v5 offset0:32 offset1:40
	;; [unrolled: 1-line block ×11, first 2 shown]
.LBB43_92:
	s_or_b64 exec, exec, s[0:1]
	v_cmp_gt_u32_e32 vcc, 64, v50
	v_lshrrev_b32_e32 v24, 3, v50
	s_waitcnt lgkmcnt(0)
	s_barrier
	s_and_saveexec_b64 s[0:1], vcc
	s_cbranch_execz .LBB43_119
; %bb.93:
	buffer_load_dword v26, off, s[52:55], 0 offset:292 ; 4-byte Folded Reload
	s_waitcnt vmcnt(0)
	v_cmp_eq_u32_e32 vcc, 0, v26
	v_mov_b32_e32 v26, 0x310
	v_lshl_add_u32 v26, v24, 2, v26
	s_and_saveexec_b64 s[2:3], vcc
	s_cbranch_execnz .LBB43_122
; %bb.94:
	s_or_b64 exec, exec, s[2:3]
	s_and_saveexec_b64 s[2:3], vcc
	s_cbranch_execnz .LBB43_123
.LBB43_95:
	s_or_b64 exec, exec, s[2:3]
	s_and_saveexec_b64 s[2:3], vcc
	s_cbranch_execnz .LBB43_124
.LBB43_96:
	s_or_b64 exec, exec, s[2:3]
	s_and_saveexec_b64 s[2:3], vcc
	s_cbranch_execnz .LBB43_125
.LBB43_97:
	s_or_b64 exec, exec, s[2:3]
	s_and_saveexec_b64 s[2:3], vcc
	s_cbranch_execnz .LBB43_126
.LBB43_98:
	s_or_b64 exec, exec, s[2:3]
	s_and_saveexec_b64 s[2:3], vcc
	s_cbranch_execnz .LBB43_127
.LBB43_99:
	s_or_b64 exec, exec, s[2:3]
	s_and_saveexec_b64 s[2:3], vcc
	s_cbranch_execnz .LBB43_128
.LBB43_100:
	s_or_b64 exec, exec, s[2:3]
	s_and_saveexec_b64 s[2:3], vcc
	s_cbranch_execnz .LBB43_129
.LBB43_101:
	s_or_b64 exec, exec, s[2:3]
	s_and_saveexec_b64 s[2:3], vcc
	s_cbranch_execnz .LBB43_130
.LBB43_102:
	s_or_b64 exec, exec, s[2:3]
	s_and_saveexec_b64 s[2:3], vcc
	s_cbranch_execnz .LBB43_131
.LBB43_103:
	s_or_b64 exec, exec, s[2:3]
	s_and_saveexec_b64 s[2:3], vcc
	s_cbranch_execnz .LBB43_132
.LBB43_104:
	s_or_b64 exec, exec, s[2:3]
	s_and_saveexec_b64 s[2:3], vcc
	s_cbranch_execnz .LBB43_133
.LBB43_105:
	s_or_b64 exec, exec, s[2:3]
	s_and_saveexec_b64 s[2:3], vcc
	s_cbranch_execnz .LBB43_134
.LBB43_106:
	s_or_b64 exec, exec, s[2:3]
	s_and_saveexec_b64 s[2:3], vcc
	s_cbranch_execnz .LBB43_135
.LBB43_107:
	s_or_b64 exec, exec, s[2:3]
	s_and_saveexec_b64 s[2:3], vcc
	s_cbranch_execnz .LBB43_136
.LBB43_108:
	s_or_b64 exec, exec, s[2:3]
	s_and_saveexec_b64 s[2:3], vcc
	s_cbranch_execnz .LBB43_137
.LBB43_109:
	s_or_b64 exec, exec, s[2:3]
	s_and_saveexec_b64 s[2:3], vcc
	s_cbranch_execnz .LBB43_138
.LBB43_110:
	s_or_b64 exec, exec, s[2:3]
	s_and_saveexec_b64 s[2:3], vcc
	s_cbranch_execnz .LBB43_139
.LBB43_111:
	s_or_b64 exec, exec, s[2:3]
	s_and_saveexec_b64 s[2:3], vcc
	s_cbranch_execnz .LBB43_140
.LBB43_112:
	s_or_b64 exec, exec, s[2:3]
	s_and_saveexec_b64 s[2:3], vcc
	s_cbranch_execnz .LBB43_141
.LBB43_113:
	s_or_b64 exec, exec, s[2:3]
	s_and_saveexec_b64 s[2:3], vcc
	s_cbranch_execnz .LBB43_142
.LBB43_114:
	s_or_b64 exec, exec, s[2:3]
	s_and_saveexec_b64 s[2:3], vcc
	s_cbranch_execnz .LBB43_143
.LBB43_115:
	s_or_b64 exec, exec, s[2:3]
	s_and_saveexec_b64 s[2:3], vcc
	s_cbranch_execnz .LBB43_144
.LBB43_116:
	s_or_b64 exec, exec, s[2:3]
	s_and_saveexec_b64 s[2:3], vcc
	s_cbranch_execz .LBB43_118
.LBB43_117:
	ds_read_b32 v26, v26 offset:736
	s_waitcnt lgkmcnt(0)
	v_add_f32_e32 v23, v23, v26
.LBB43_118:
	s_or_b64 exec, exec, s[2:3]
.LBB43_119:
	s_or_b64 exec, exec, s[0:1]
	v_cmp_eq_u32_e32 vcc, 0, v25
	s_barrier
	s_and_saveexec_b64 s[0:1], vcc
	s_cbranch_execz .LBB43_121
; %bb.120:
	s_mul_i32 s0, s10, s11
	s_mul_i32 s0, s0, s9
	s_mulk_i32 s0, 0xc0
	s_ashr_i32 s1, s0, 31
	s_lshl_b64 s[0:1], s[0:1], 2
	s_add_u32 s2, s22, s0
	s_mul_i32 s0, s11, s20
	s_addc_u32 s3, s23, s1
	s_ashr_i32 s1, s0, 31
	s_lshl_b64 s[0:1], s[0:1], 2
	s_add_u32 s2, s2, s0
	s_mul_i32 s0, s8, 0xc0
	s_addc_u32 s3, s3, s1
	s_ashr_i32 s1, s0, 31
	s_lshl_b64 s[0:1], s[0:1], 2
	s_add_u32 s0, s2, s0
	s_addc_u32 s1, s3, s1
	v_lshlrev_b32_e32 v24, 2, v24
	global_store_dword v24, v0, s[0:1]
	global_store_dword v24, v1, s[0:1] offset:32
	global_store_dword v24, v2, s[0:1] offset:64
	;; [unrolled: 1-line block ×23, first 2 shown]
.LBB43_121:
	s_endpgm
.LBB43_122:
	ds_read_b32 v27, v26
	s_waitcnt lgkmcnt(0)
	v_add_f32_e32 v0, v0, v27
	s_or_b64 exec, exec, s[2:3]
	s_and_saveexec_b64 s[2:3], vcc
	s_cbranch_execz .LBB43_95
.LBB43_123:
	ds_read_b32 v27, v26 offset:32
	s_waitcnt lgkmcnt(0)
	v_add_f32_e32 v1, v1, v27
	s_or_b64 exec, exec, s[2:3]
	s_and_saveexec_b64 s[2:3], vcc
	s_cbranch_execz .LBB43_96
.LBB43_124:
	ds_read_b32 v27, v26 offset:64
	s_waitcnt lgkmcnt(0)
	v_add_f32_e32 v2, v2, v27
	s_or_b64 exec, exec, s[2:3]
	s_and_saveexec_b64 s[2:3], vcc
	s_cbranch_execz .LBB43_97
.LBB43_125:
	ds_read_b32 v27, v26 offset:96
	s_waitcnt lgkmcnt(0)
	v_add_f32_e32 v3, v3, v27
	s_or_b64 exec, exec, s[2:3]
	s_and_saveexec_b64 s[2:3], vcc
	s_cbranch_execz .LBB43_98
.LBB43_126:
	ds_read_b32 v27, v26 offset:128
	s_waitcnt lgkmcnt(0)
	v_add_f32_e32 v4, v4, v27
	s_or_b64 exec, exec, s[2:3]
	s_and_saveexec_b64 s[2:3], vcc
	s_cbranch_execz .LBB43_99
.LBB43_127:
	ds_read_b32 v27, v26 offset:160
	s_waitcnt lgkmcnt(0)
	v_add_f32_e32 v5, v5, v27
	s_or_b64 exec, exec, s[2:3]
	s_and_saveexec_b64 s[2:3], vcc
	s_cbranch_execz .LBB43_100
.LBB43_128:
	ds_read_b32 v27, v26 offset:192
	s_waitcnt lgkmcnt(0)
	v_add_f32_e32 v6, v6, v27
	s_or_b64 exec, exec, s[2:3]
	s_and_saveexec_b64 s[2:3], vcc
	s_cbranch_execz .LBB43_101
.LBB43_129:
	ds_read_b32 v27, v26 offset:224
	s_waitcnt lgkmcnt(0)
	v_add_f32_e32 v7, v7, v27
	s_or_b64 exec, exec, s[2:3]
	s_and_saveexec_b64 s[2:3], vcc
	s_cbranch_execz .LBB43_102
.LBB43_130:
	ds_read_b32 v27, v26 offset:256
	s_waitcnt lgkmcnt(0)
	v_add_f32_e32 v8, v8, v27
	s_or_b64 exec, exec, s[2:3]
	s_and_saveexec_b64 s[2:3], vcc
	s_cbranch_execz .LBB43_103
.LBB43_131:
	ds_read_b32 v27, v26 offset:288
	s_waitcnt lgkmcnt(0)
	v_add_f32_e32 v9, v9, v27
	s_or_b64 exec, exec, s[2:3]
	s_and_saveexec_b64 s[2:3], vcc
	s_cbranch_execz .LBB43_104
.LBB43_132:
	ds_read_b32 v27, v26 offset:320
	s_waitcnt lgkmcnt(0)
	v_add_f32_e32 v10, v10, v27
	s_or_b64 exec, exec, s[2:3]
	s_and_saveexec_b64 s[2:3], vcc
	s_cbranch_execz .LBB43_105
.LBB43_133:
	ds_read_b32 v27, v26 offset:352
	s_waitcnt lgkmcnt(0)
	v_add_f32_e32 v11, v11, v27
	s_or_b64 exec, exec, s[2:3]
	s_and_saveexec_b64 s[2:3], vcc
	s_cbranch_execz .LBB43_106
.LBB43_134:
	ds_read_b32 v27, v26 offset:384
	s_waitcnt lgkmcnt(0)
	v_add_f32_e32 v12, v12, v27
	s_or_b64 exec, exec, s[2:3]
	s_and_saveexec_b64 s[2:3], vcc
	s_cbranch_execz .LBB43_107
.LBB43_135:
	ds_read_b32 v27, v26 offset:416
	s_waitcnt lgkmcnt(0)
	v_add_f32_e32 v13, v13, v27
	s_or_b64 exec, exec, s[2:3]
	s_and_saveexec_b64 s[2:3], vcc
	s_cbranch_execz .LBB43_108
.LBB43_136:
	ds_read_b32 v27, v26 offset:448
	s_waitcnt lgkmcnt(0)
	v_add_f32_e32 v14, v14, v27
	s_or_b64 exec, exec, s[2:3]
	s_and_saveexec_b64 s[2:3], vcc
	s_cbranch_execz .LBB43_109
.LBB43_137:
	ds_read_b32 v27, v26 offset:480
	s_waitcnt lgkmcnt(0)
	v_add_f32_e32 v15, v15, v27
	s_or_b64 exec, exec, s[2:3]
	s_and_saveexec_b64 s[2:3], vcc
	s_cbranch_execz .LBB43_110
.LBB43_138:
	ds_read_b32 v27, v26 offset:512
	s_waitcnt lgkmcnt(0)
	v_add_f32_e32 v16, v16, v27
	s_or_b64 exec, exec, s[2:3]
	s_and_saveexec_b64 s[2:3], vcc
	s_cbranch_execz .LBB43_111
.LBB43_139:
	ds_read_b32 v27, v26 offset:544
	s_waitcnt lgkmcnt(0)
	v_add_f32_e32 v17, v17, v27
	s_or_b64 exec, exec, s[2:3]
	s_and_saveexec_b64 s[2:3], vcc
	s_cbranch_execz .LBB43_112
.LBB43_140:
	ds_read_b32 v27, v26 offset:576
	s_waitcnt lgkmcnt(0)
	v_add_f32_e32 v18, v18, v27
	s_or_b64 exec, exec, s[2:3]
	s_and_saveexec_b64 s[2:3], vcc
	s_cbranch_execz .LBB43_113
.LBB43_141:
	ds_read_b32 v27, v26 offset:608
	s_waitcnt lgkmcnt(0)
	v_add_f32_e32 v19, v19, v27
	s_or_b64 exec, exec, s[2:3]
	s_and_saveexec_b64 s[2:3], vcc
	s_cbranch_execz .LBB43_114
.LBB43_142:
	ds_read_b32 v27, v26 offset:640
	s_waitcnt lgkmcnt(0)
	v_add_f32_e32 v20, v20, v27
	s_or_b64 exec, exec, s[2:3]
	s_and_saveexec_b64 s[2:3], vcc
	s_cbranch_execz .LBB43_115
.LBB43_143:
	ds_read_b32 v27, v26 offset:672
	s_waitcnt lgkmcnt(0)
	v_add_f32_e32 v21, v21, v27
	s_or_b64 exec, exec, s[2:3]
	s_and_saveexec_b64 s[2:3], vcc
	s_cbranch_execz .LBB43_116
.LBB43_144:
	ds_read_b32 v27, v26 offset:704
	s_waitcnt lgkmcnt(0)
	v_add_f32_e32 v22, v22, v27
	s_or_b64 exec, exec, s[2:3]
	s_and_saveexec_b64 s[2:3], vcc
	s_cbranch_execnz .LBB43_117
	s_branch .LBB43_118
	.section	.rodata,"a",@progbits
	.p2align	6, 0x0
	.amdhsa_kernel _ZN4vllm25paged_attention_v1_kernelIffLi192ELi32ELi128ELNS_18Fp8KVCacheDataTypeE0ELb1EEEvPT_PKS2_PKT0_S8_ifPKiSA_iPKfiiiSC_SC_iiiii
		.amdhsa_group_segment_fixed_size 784
		.amdhsa_private_segment_fixed_size 316
		.amdhsa_kernarg_size 384
		.amdhsa_user_sgpr_count 6
		.amdhsa_user_sgpr_private_segment_buffer 1
		.amdhsa_user_sgpr_dispatch_ptr 0
		.amdhsa_user_sgpr_queue_ptr 0
		.amdhsa_user_sgpr_kernarg_segment_ptr 1
		.amdhsa_user_sgpr_dispatch_id 0
		.amdhsa_user_sgpr_flat_scratch_init 0
		.amdhsa_user_sgpr_private_segment_size 0
		.amdhsa_uses_dynamic_stack 0
		.amdhsa_system_sgpr_private_segment_wavefront_offset 1
		.amdhsa_system_sgpr_workgroup_id_x 1
		.amdhsa_system_sgpr_workgroup_id_y 1
		.amdhsa_system_sgpr_workgroup_id_z 1
		.amdhsa_system_sgpr_workgroup_info 0
		.amdhsa_system_vgpr_workitem_id 0
		.amdhsa_next_free_vgpr 64
		.amdhsa_next_free_sgpr 56
		.amdhsa_reserve_vcc 1
		.amdhsa_reserve_flat_scratch 0
		.amdhsa_float_round_mode_32 0
		.amdhsa_float_round_mode_16_64 0
		.amdhsa_float_denorm_mode_32 3
		.amdhsa_float_denorm_mode_16_64 3
		.amdhsa_dx10_clamp 1
		.amdhsa_ieee_mode 1
		.amdhsa_fp16_overflow 0
		.amdhsa_exception_fp_ieee_invalid_op 0
		.amdhsa_exception_fp_denorm_src 0
		.amdhsa_exception_fp_ieee_div_zero 0
		.amdhsa_exception_fp_ieee_overflow 0
		.amdhsa_exception_fp_ieee_underflow 0
		.amdhsa_exception_fp_ieee_inexact 0
		.amdhsa_exception_int_div_zero 0
	.end_amdhsa_kernel
	.section	.text._ZN4vllm25paged_attention_v1_kernelIffLi192ELi32ELi128ELNS_18Fp8KVCacheDataTypeE0ELb1EEEvPT_PKS2_PKT0_S8_ifPKiSA_iPKfiiiSC_SC_iiiii,"axG",@progbits,_ZN4vllm25paged_attention_v1_kernelIffLi192ELi32ELi128ELNS_18Fp8KVCacheDataTypeE0ELb1EEEvPT_PKS2_PKT0_S8_ifPKiSA_iPKfiiiSC_SC_iiiii,comdat
.Lfunc_end43:
	.size	_ZN4vllm25paged_attention_v1_kernelIffLi192ELi32ELi128ELNS_18Fp8KVCacheDataTypeE0ELb1EEEvPT_PKS2_PKT0_S8_ifPKiSA_iPKfiiiSC_SC_iiiii, .Lfunc_end43-_ZN4vllm25paged_attention_v1_kernelIffLi192ELi32ELi128ELNS_18Fp8KVCacheDataTypeE0ELb1EEEvPT_PKS2_PKT0_S8_ifPKiSA_iPKfiiiSC_SC_iiiii
                                        ; -- End function
	.set _ZN4vllm25paged_attention_v1_kernelIffLi192ELi32ELi128ELNS_18Fp8KVCacheDataTypeE0ELb1EEEvPT_PKS2_PKT0_S8_ifPKiSA_iPKfiiiSC_SC_iiiii.num_vgpr, 64
	.set _ZN4vllm25paged_attention_v1_kernelIffLi192ELi32ELi128ELNS_18Fp8KVCacheDataTypeE0ELb1EEEvPT_PKS2_PKT0_S8_ifPKiSA_iPKfiiiSC_SC_iiiii.num_agpr, 0
	.set _ZN4vllm25paged_attention_v1_kernelIffLi192ELi32ELi128ELNS_18Fp8KVCacheDataTypeE0ELb1EEEvPT_PKS2_PKT0_S8_ifPKiSA_iPKfiiiSC_SC_iiiii.numbered_sgpr, 56
	.set _ZN4vllm25paged_attention_v1_kernelIffLi192ELi32ELi128ELNS_18Fp8KVCacheDataTypeE0ELb1EEEvPT_PKS2_PKT0_S8_ifPKiSA_iPKfiiiSC_SC_iiiii.num_named_barrier, 0
	.set _ZN4vllm25paged_attention_v1_kernelIffLi192ELi32ELi128ELNS_18Fp8KVCacheDataTypeE0ELb1EEEvPT_PKS2_PKT0_S8_ifPKiSA_iPKfiiiSC_SC_iiiii.private_seg_size, 316
	.set _ZN4vllm25paged_attention_v1_kernelIffLi192ELi32ELi128ELNS_18Fp8KVCacheDataTypeE0ELb1EEEvPT_PKS2_PKT0_S8_ifPKiSA_iPKfiiiSC_SC_iiiii.uses_vcc, 1
	.set _ZN4vllm25paged_attention_v1_kernelIffLi192ELi32ELi128ELNS_18Fp8KVCacheDataTypeE0ELb1EEEvPT_PKS2_PKT0_S8_ifPKiSA_iPKfiiiSC_SC_iiiii.uses_flat_scratch, 0
	.set _ZN4vllm25paged_attention_v1_kernelIffLi192ELi32ELi128ELNS_18Fp8KVCacheDataTypeE0ELb1EEEvPT_PKS2_PKT0_S8_ifPKiSA_iPKfiiiSC_SC_iiiii.has_dyn_sized_stack, 0
	.set _ZN4vllm25paged_attention_v1_kernelIffLi192ELi32ELi128ELNS_18Fp8KVCacheDataTypeE0ELb1EEEvPT_PKS2_PKT0_S8_ifPKiSA_iPKfiiiSC_SC_iiiii.has_recursion, 0
	.set _ZN4vllm25paged_attention_v1_kernelIffLi192ELi32ELi128ELNS_18Fp8KVCacheDataTypeE0ELb1EEEvPT_PKS2_PKT0_S8_ifPKiSA_iPKfiiiSC_SC_iiiii.has_indirect_call, 0
	.section	.AMDGPU.csdata,"",@progbits
; Kernel info:
; codeLenInByte = 11856
; TotalNumSgprs: 60
; NumVgprs: 64
; ScratchSize: 316
; MemoryBound: 0
; FloatMode: 240
; IeeeMode: 1
; LDSByteSize: 784 bytes/workgroup (compile time only)
; SGPRBlocks: 7
; VGPRBlocks: 15
; NumSGPRsForWavesPerEU: 60
; NumVGPRsForWavesPerEU: 64
; Occupancy: 4
; WaveLimiterHint : 1
; COMPUTE_PGM_RSRC2:SCRATCH_EN: 1
; COMPUTE_PGM_RSRC2:USER_SGPR: 6
; COMPUTE_PGM_RSRC2:TRAP_HANDLER: 0
; COMPUTE_PGM_RSRC2:TGID_X_EN: 1
; COMPUTE_PGM_RSRC2:TGID_Y_EN: 1
; COMPUTE_PGM_RSRC2:TGID_Z_EN: 1
; COMPUTE_PGM_RSRC2:TIDIG_COMP_CNT: 0
	.section	.text._ZN4vllm25paged_attention_v1_kernelIffLi256ELi32ELi128ELNS_18Fp8KVCacheDataTypeE0ELb1EEEvPT_PKS2_PKT0_S8_ifPKiSA_iPKfiiiSC_SC_iiiii,"axG",@progbits,_ZN4vllm25paged_attention_v1_kernelIffLi256ELi32ELi128ELNS_18Fp8KVCacheDataTypeE0ELb1EEEvPT_PKS2_PKT0_S8_ifPKiSA_iPKfiiiSC_SC_iiiii,comdat
	.protected	_ZN4vllm25paged_attention_v1_kernelIffLi256ELi32ELi128ELNS_18Fp8KVCacheDataTypeE0ELb1EEEvPT_PKS2_PKT0_S8_ifPKiSA_iPKfiiiSC_SC_iiiii ; -- Begin function _ZN4vllm25paged_attention_v1_kernelIffLi256ELi32ELi128ELNS_18Fp8KVCacheDataTypeE0ELb1EEEvPT_PKS2_PKT0_S8_ifPKiSA_iPKfiiiSC_SC_iiiii
	.globl	_ZN4vllm25paged_attention_v1_kernelIffLi256ELi32ELi128ELNS_18Fp8KVCacheDataTypeE0ELb1EEEvPT_PKS2_PKT0_S8_ifPKiSA_iPKfiiiSC_SC_iiiii
	.p2align	8
	.type	_ZN4vllm25paged_attention_v1_kernelIffLi256ELi32ELi128ELNS_18Fp8KVCacheDataTypeE0ELb1EEEvPT_PKS2_PKT0_S8_ifPKiSA_iPKfiiiSC_SC_iiiii,@function
_ZN4vllm25paged_attention_v1_kernelIffLi256ELi32ELi128ELNS_18Fp8KVCacheDataTypeE0ELb1EEEvPT_PKS2_PKT0_S8_ifPKiSA_iPKfiiiSC_SC_iiiii: ; @_ZN4vllm25paged_attention_v1_kernelIffLi256ELi32ELi128ELNS_18Fp8KVCacheDataTypeE0ELb1EEEvPT_PKS2_PKT0_S8_ifPKiSA_iPKfiiiSC_SC_iiiii
; %bb.0:
	s_mov_b64 s[54:55], s[2:3]
	s_mov_b64 s[52:53], s[0:1]
	s_add_u32 s52, s52, s9
	s_addc_u32 s53, s53, 0
	buffer_store_dword v0, off, s[52:55], 0 offset:440 ; 4-byte Folded Spill
	s_load_dword s9, s[4:5], 0x80
	s_load_dwordx2 s[0:1], s[4:5], 0x30
	s_load_dwordx2 s[30:31], s[4:5], 0x20
	s_mov_b32 s10, s7
	s_ashr_i32 s11, s7, 31
	s_lshl_b64 s[2:3], s[10:11], 2
	s_waitcnt lgkmcnt(0)
	s_add_u32 s0, s0, s2
	s_addc_u32 s1, s1, s3
	s_abs_i32 s2, s30
	v_cvt_f32_u32_e32 v0, s2
	s_sub_i32 s11, 0, s2
	s_abs_i32 s7, s9
	s_xor_b32 s3, s9, s30
	v_rcp_iflag_f32_e32 v0, v0
	s_ashr_i32 s3, s3, 31
	s_mov_b32 s42, 0
	v_mul_f32_e32 v0, 0x4f7ffffe, v0
	v_cvt_u32_f32_e32 v0, v0
	v_readfirstlane_b32 s12, v0
	s_mul_i32 s11, s11, s12
	s_mul_hi_u32 s11, s12, s11
	s_add_i32 s12, s12, s11
	s_mul_hi_u32 s11, s7, s12
	s_mul_i32 s12, s11, s2
	s_sub_i32 s7, s7, s12
	s_add_i32 s12, s11, 1
	s_sub_i32 s13, s7, s2
	s_cmp_ge_u32 s7, s2
	s_cselect_b32 s11, s12, s11
	s_cselect_b32 s7, s13, s7
	s_add_i32 s12, s11, 1
	s_cmp_ge_u32 s7, s2
	s_cselect_b32 s2, s12, s11
	s_xor_b32 s2, s2, s3
	s_sub_i32 s12, s2, s3
	s_abs_i32 s11, s12
	v_cvt_f32_u32_e32 v0, s11
	s_load_dwordx2 s[2:3], s[4:5], 0x40
	s_sub_i32 s7, 0, s11
	s_abs_i32 s22, s6
	v_rcp_iflag_f32_e32 v0, v0
	v_mul_f32_e32 v0, 0x4f7ffffe, v0
	v_cvt_u32_f32_e32 v0, v0
	v_readfirstlane_b32 s13, v0
	s_mul_i32 s7, s7, s13
	s_mul_hi_u32 s7, s13, s7
	s_add_i32 s13, s13, s7
	s_waitcnt lgkmcnt(0)
	s_cmp_eq_u64 s[2:3], 0
	s_mul_hi_u32 s23, s22, s13
	s_cbranch_scc1 .LBB44_2
; %bb.1:
	s_ashr_i32 s7, s6, 31
	s_lshl_b64 s[14:15], s[6:7], 2
	s_add_u32 s2, s2, s14
	s_addc_u32 s3, s3, s15
	s_load_dword s42, s[2:3], 0x0
.LBB44_2:
	buffer_load_dword v0, off, s[52:55], 0 offset:440 ; 4-byte Folded Reload
	s_load_dword s33, s[0:1], 0x0
	s_ashr_i32 s7, s12, 31
	s_load_dwordx4 s[12:15], s[4:5], 0x48
	s_movk_i32 s0, 0x80
	s_ashr_i32 s2, s6, 31
	s_lshl_b32 s20, s6, 8
	s_waitcnt vmcnt(0)
	v_and_b32_e32 v1, 1, v0
	v_cmp_gt_u32_e32 vcc, s0, v0
	v_lshlrev_b32_e32 v2, 3, v0
	v_lshlrev_b32_e32 v0, 2, v0
	s_and_saveexec_b64 s[0:1], vcc
	s_cbranch_execz .LBB44_4
; %bb.3:
	s_load_dwordx2 s[16:17], s[4:5], 0x8
	s_waitcnt lgkmcnt(0)
	s_mul_i32 s18, s12, s10
	s_ashr_i32 s19, s18, 31
	s_lshl_b64 s[18:19], s[18:19], 2
	v_and_b32_e32 v5, 0xff8, v0
	s_add_u32 s3, s16, s18
	s_addc_u32 s12, s17, s19
	s_ashr_i32 s21, s20, 31
	s_lshl_b64 s[16:17], s[20:21], 2
	s_add_u32 s16, s3, s16
	s_addc_u32 s17, s12, s17
	global_load_dwordx2 v[3:4], v2, s[16:17]
	v_lshl_add_u32 v5, v1, 9, v5
	s_waitcnt vmcnt(0)
	ds_write_b64 v5, v[3:4]
.LBB44_4:
	s_or_b64 exec, exec, s[0:1]
	s_mul_i32 s1, s23, s11
	s_sub_i32 s1, s22, s1
	s_xor_b32 s0, s2, s7
	s_add_i32 s2, s23, 1
	s_sub_i32 s7, s1, s11
	s_load_dwordx4 s[16:19], s[4:5], 0x68
	s_load_dword s3, s[4:5], 0x78
	s_cmp_ge_u32 s1, s11
	s_cselect_b32 s2, s2, s23
	s_cselect_b32 s1, s7, s1
	s_add_i32 s7, s2, 1
	s_cmp_ge_u32 s1, s11
	s_cselect_b32 s1, s7, s2
	s_waitcnt lgkmcnt(0)
	s_abs_i32 s21, s19
	v_cvt_f32_u32_e32 v3, s21
	s_xor_b32 s1, s1, s0
	s_sub_i32 s2, s1, s0
	s_sub_i32 s0, 0, s21
	v_rcp_iflag_f32_e32 v3, v3
	s_add_i32 s11, s33, -1
	s_abs_i32 s7, s11
	v_mul_f32_e32 v3, 0x4f7ffffe, v3
	v_cvt_u32_f32_e32 v3, v3
	s_barrier
	v_readfirstlane_b32 s40, v3
	s_mul_i32 s0, s0, s40
	s_mul_hi_u32 s0, s40, s0
	s_add_i32 s40, s40, s0
	s_cmp_lt_i32 s3, 0
	s_mul_hi_u32 s12, s7, s40
	s_cbranch_scc0 .LBB44_6
; %bb.5:
	s_mul_i32 s0, s16, s30
	s_add_i32 s0, s2, s0
	s_mul_i32 s0, s0, s3
	s_sub_i32 s41, 1, s0
	s_mov_b64 s[0:1], 0
	s_branch .LBB44_7
.LBB44_6:
	s_mov_b64 s[0:1], -1
                                        ; implicit-def: $sgpr41
.LBB44_7:
	s_load_dwordx2 s[24:25], s[4:5], 0x28
	s_ashr_i32 s15, s11, 31
	s_andn2_b64 vcc, exec, s[0:1]
	s_ashr_i32 s19, s19, 31
	s_cbranch_vccnz .LBB44_9
; %bb.8:
	s_mul_i32 s0, s9, s16
	s_add_i32 s0, s0, s6
	s_mul_i32 s0, s0, s3
	s_add_i32 s41, s0, 1
.LBB44_9:
	s_load_dword s0, s[4:5], 0x38
	s_load_dwordx2 s[22:23], s[4:5], 0x0
	s_load_dwordx2 s[28:29], s[4:5], 0x18
	s_load_dword s11, s[4:5], 0x88
	buffer_load_dword v4, off, s[52:55], 0 offset:440 ; 4-byte Folded Reload
	s_waitcnt lgkmcnt(0)
	s_mul_i32 s26, s0, s10
	s_mul_i32 s0, s12, s21
	s_sub_i32 s0, s7, s0
	s_xor_b32 s1, s15, s19
	s_ashr_i32 s27, s26, 31
	s_add_i32 s3, s12, 1
	s_sub_i32 s6, s0, s21
	s_cmp_ge_u32 s0, s21
	s_cselect_b32 s3, s3, s12
	s_cselect_b32 s0, s6, s0
	s_add_i32 s6, s3, 1
	s_cmp_ge_u32 s0, s21
	s_cselect_b32 s0, s6, s3
	s_xor_b32 s0, s0, s1
	s_sub_i32 s12, s0, s1
	s_add_i32 s0, s33, 31
	s_ashr_i32 s1, s0, 31
	s_lshr_b32 s1, s1, 27
	s_add_i32 s0, s0, s1
	s_ashr_i32 s16, s0, 5
	v_mov_b32_e32 v20, 0xff7fffff
	s_mul_i32 s14, s2, s14
	v_mbcnt_lo_u32_b32 v14, -1, 0
	s_waitcnt vmcnt(0)
	v_lshrrev_b32_e32 v3, 6, v4
	v_cmp_gt_i32_e64 s[0:1], s16, v3
	v_lshrrev_b32_e32 v13, 4, v4
	v_lshlrev_b32_e32 v49, 5, v3
	buffer_store_dword v3, off, s[52:55], 0 ; 4-byte Folded Spill
	s_and_saveexec_b64 s[34:35], s[0:1]
	s_cbranch_execz .LBB44_21
; %bb.10:
	buffer_load_dword v4, off, s[52:55], 0 offset:440 ; 4-byte Folded Reload
	buffer_load_dword v28, off, s[52:55], 0 ; 4-byte Folded Reload
	s_load_dwordx2 s[2:3], s[4:5], 0x10
	s_ashr_i32 s15, s14, 31
	s_sub_i32 s30, s12, s17
	s_lshl_b64 s[4:5], s[14:15], 2
	v_and_b32_e32 v2, 8, v2
	s_waitcnt lgkmcnt(0)
	s_add_u32 s2, s2, s4
	s_addc_u32 s3, s3, s5
	s_abs_i32 s15, s18
	v_cvt_f32_u32_e32 v3, s15
	v_mov_b32_e32 v6, s3
	s_sub_i32 s3, 0, s15
	s_lshl_b64 s[4:5], s[26:27], 2
	v_rcp_iflag_f32_e32 v3, v3
	s_add_u32 s4, s24, s4
	v_cmp_eq_u32_e32 vcc, 0, v1
	v_lshlrev_b32_e32 v18, 9, v1
	v_mul_f32_e32 v3, 0x4f7ffffe, v3
	v_cvt_u32_f32_e32 v3, v3
	v_and_b32_e32 v1, 60, v13
	s_addc_u32 s5, s25, s5
	v_mbcnt_hi_u32_b32 v25, -1, v14
	v_mul_lo_u32 v7, s3, v3
	s_mov_b32 s43, s13
	v_mov_b32_e32 v24, 0xff7fffff
	s_mov_b64 s[36:37], 0
	v_mul_hi_u32 v7, v3, v7
	s_movk_i32 s44, 0x1000
	s_movk_i32 s45, 0x2000
	;; [unrolled: 1-line block ×3, first 2 shown]
	v_add_u32_e32 v19, v3, v7
	s_movk_i32 s47, 0x4000
	s_movk_i32 s48, 0x5000
	;; [unrolled: 1-line block ×4, first 2 shown]
	v_xor_b32_e32 v26, 1, v25
	v_mov_b32_e32 v20, 0xff7fffff
	s_waitcnt vmcnt(1)
	v_bfe_u32 v15, v4, 1, 5
	v_lshlrev_b32_e32 v5, 4, v15
	v_add_co_u32_e64 v5, s[2:3], s2, v5
	v_lshlrev_b32_e32 v4, 2, v15
	v_addc_co_u32_e64 v6, s[2:3], 0, v6, s[2:3]
	v_subrev_u32_e32 v3, s33, v15
	v_add_co_u32_e64 v16, s[2:3], v5, v2
	v_add_u32_e32 v22, 1, v3
	s_waitcnt vmcnt(0)
	v_lshl_or_b32 v3, v28, 7, v4
	v_addc_co_u32_e64 v17, s[2:3], 0, v6, s[2:3]
	v_mov_b32_e32 v2, s5
	v_add_co_u32_e64 v1, s[4:5], s4, v1
	v_add_u32_e32 v23, 0x410, v3
	v_and_b32_e32 v3, 64, v25
	v_cmp_neq_f32_e64 s[2:3], s42, 0
	v_addc_co_u32_e64 v2, s[4:5], 0, v2, s[4:5]
	v_lshlrev_b32_e32 v21, 5, v28
	v_add_u32_e32 v27, 64, v3
	s_branch .LBB44_13
.LBB44_11:                              ;   in Loop: Header=BB44_13 Depth=1
	s_or_b64 exec, exec, s[38:39]
.LBB44_12:                              ;   in Loop: Header=BB44_13 Depth=1
	s_or_b64 exec, exec, s[6:7]
	v_add_co_u32_e64 v1, s[4:5], 8, v1
	v_add_u32_e32 v28, 2, v28
	v_addc_co_u32_e64 v2, s[4:5], 0, v2, s[4:5]
	v_cmp_le_i32_e64 s[4:5], s16, v28
	v_add_u32_e32 v21, 64, v21
	s_or_b64 s[36:37], s[4:5], s[36:37]
	v_add_u32_e32 v23, 0x100, v23
	s_andn2_b64 exec, exec, s[36:37]
	s_cbranch_execz .LBB44_20
.LBB44_13:                              ; =>This Inner Loop Header: Depth=1
	v_mul_hi_u32 v3, v21, s40
	s_waitcnt lgkmcnt(0)
	v_mul_lo_u32 v4, v3, s21
	v_add_u32_e32 v5, 1, v3
	v_sub_u32_e32 v4, v21, v4
	v_cmp_le_u32_e64 s[4:5], s21, v4
	v_cndmask_b32_e64 v3, v3, v5, s[4:5]
	v_subrev_u32_e32 v5, s21, v4
	v_cndmask_b32_e64 v4, v4, v5, s[4:5]
	v_add_u32_e32 v5, 1, v3
	v_cmp_le_u32_e64 s[4:5], s21, v4
	v_cndmask_b32_e64 v3, v3, v5, s[4:5]
	v_xor_b32_e32 v3, s19, v3
	v_subrev_u32_e32 v3, s19, v3
	v_add_u32_e32 v4, s41, v3
	v_sub_u32_e32 v5, 0, v4
	v_max_i32_e32 v5, v4, v5
	v_mul_hi_u32 v6, v5, v19
	v_ashrrev_i32_e32 v4, 31, v4
	v_cmp_ge_i32_e64 s[6:7], s30, v3
	v_mul_lo_u32 v6, v6, s15
	v_sub_u32_e32 v5, v5, v6
	v_subrev_u32_e32 v6, s15, v5
	v_cmp_le_u32_e64 s[4:5], s15, v5
	v_cndmask_b32_e64 v5, v5, v6, s[4:5]
	v_subrev_u32_e32 v6, s15, v5
	v_cmp_le_u32_e64 s[4:5], s15, v5
	v_cndmask_b32_e64 v5, v5, v6, s[4:5]
	v_xor_b32_e32 v5, v5, v4
	v_sub_u32_e32 v4, v5, v4
	v_cmp_ne_u32_e64 s[4:5], 0, v4
	s_and_b64 s[4:5], s[4:5], s[6:7]
	s_and_saveexec_b64 s[6:7], s[4:5]
	s_xor_b64 s[4:5], exec, s[6:7]
	s_cbranch_execz .LBB44_17
; %bb.14:                               ;   in Loop: Header=BB44_13 Depth=1
	s_and_saveexec_b64 s[6:7], vcc
; %bb.15:                               ;   in Loop: Header=BB44_13 Depth=1
	ds_write_b32 v23, v24
; %bb.16:                               ;   in Loop: Header=BB44_13 Depth=1
	s_or_b64 exec, exec, s[6:7]
.LBB44_17:                              ;   in Loop: Header=BB44_13 Depth=1
	s_andn2_saveexec_b64 s[6:7], s[4:5]
	s_cbranch_execz .LBB44_12
; %bb.18:                               ;   in Loop: Header=BB44_13 Depth=1
	global_load_dword v3, v[1:2], off
	s_waitcnt vmcnt(0)
	v_mad_i64_i32 v[3:4], s[4:5], v3, s43, 0
	v_lshlrev_b64 v[3:4], 2, v[3:4]
	v_add_co_u32_e64 v7, s[4:5], v16, v3
	v_addc_co_u32_e64 v8, s[4:5], v17, v4, s[4:5]
	global_load_dwordx2 v[29:30], v[7:8], off offset:512
	ds_read_b128 v[3:6], v18
	ds_read_b128 v[9:12], v18 offset:16
	global_load_dwordx2 v[31:32], v[7:8], off offset:1024
	global_load_dwordx2 v[33:34], v[7:8], off offset:1536
	s_waitcnt vmcnt(2) lgkmcnt(1)
	v_mul_f32_e32 v29, v5, v29
	v_mul_f32_e32 v30, v6, v30
	global_load_dwordx2 v[5:6], v[7:8], off
	global_load_dwordx2 v[35:36], v[7:8], off offset:2048
	global_load_dwordx2 v[37:38], v[7:8], off offset:2560
	;; [unrolled: 1-line block ×3, first 2 shown]
	s_waitcnt vmcnt(3)
	v_fmac_f32_e32 v29, v3, v5
	v_fmac_f32_e32 v30, v4, v6
	s_waitcnt lgkmcnt(0)
	v_fmac_f32_e32 v29, v9, v31
	v_fmac_f32_e32 v30, v10, v32
	;; [unrolled: 1-line block ×4, first 2 shown]
	global_load_dwordx2 v[11:12], v[7:8], off offset:3584
	v_add_co_u32_e64 v9, s[4:5], s45, v7
	v_addc_co_u32_e64 v10, s[4:5], 0, v8, s[4:5]
	global_load_dwordx2 v[41:42], v[9:10], off offset:-4096
	ds_read_b128 v[3:6], v18 offset:32
	ds_read_b128 v[31:34], v18 offset:48
	s_waitcnt vmcnt(4) lgkmcnt(1)
	v_fmac_f32_e32 v29, v3, v35
	v_fmac_f32_e32 v30, v4, v36
	s_waitcnt vmcnt(3)
	v_fmac_f32_e32 v29, v5, v37
	v_fmac_f32_e32 v30, v6, v38
	s_waitcnt vmcnt(2) lgkmcnt(0)
	v_fmac_f32_e32 v29, v31, v39
	v_fmac_f32_e32 v30, v32, v40
	v_add_co_u32_e64 v5, s[4:5], s50, v7
	v_addc_co_u32_e64 v6, s[4:5], 0, v8, s[4:5]
	global_load_dwordx2 v[39:40], v[9:10], off
	global_load_dwordx2 v[43:44], v[9:10], off offset:512
	global_load_dwordx2 v[3:4], v[5:6], off offset:3584
	s_waitcnt vmcnt(4)
	v_fmac_f32_e32 v29, v33, v11
	v_fmac_f32_e32 v30, v34, v12
	ds_read_b128 v[31:34], v18 offset:64
	ds_read_b128 v[35:38], v18 offset:80
	v_add_co_u32_e64 v11, s[4:5], s44, v7
	v_addc_co_u32_e64 v12, s[4:5], 0, v8, s[4:5]
	s_waitcnt vmcnt(3) lgkmcnt(1)
	v_fmac_f32_e32 v29, v31, v41
	v_fmac_f32_e32 v30, v32, v42
	global_load_dwordx2 v[31:32], v[11:12], off offset:512
	global_load_dwordx2 v[41:42], v[11:12], off offset:1024
	;; [unrolled: 1-line block ×4, first 2 shown]
	s_waitcnt vmcnt(3)
	v_fmac_f32_e32 v29, v33, v31
	v_fmac_f32_e32 v30, v34, v32
	s_waitcnt vmcnt(2) lgkmcnt(0)
	v_fmac_f32_e32 v29, v35, v41
	v_fmac_f32_e32 v30, v36, v42
	s_waitcnt vmcnt(1)
	v_fmac_f32_e32 v29, v37, v45
	v_fmac_f32_e32 v30, v38, v46
	ds_read_b128 v[31:34], v18 offset:96
	ds_read_b128 v[35:38], v18 offset:112
	s_waitcnt vmcnt(0) lgkmcnt(1)
	v_fmac_f32_e32 v29, v31, v47
	v_fmac_f32_e32 v30, v32, v48
	global_load_dwordx2 v[31:32], v[11:12], off offset:2560
	global_load_dwordx2 v[41:42], v[11:12], off offset:3072
	;; [unrolled: 1-line block ×3, first 2 shown]
	v_add_co_u32_e64 v11, s[4:5], s46, v7
	v_addc_co_u32_e64 v12, s[4:5], 0, v8, s[4:5]
	global_load_dwordx2 v[47:48], v[11:12], off offset:512
	s_waitcnt vmcnt(3)
	v_fmac_f32_e32 v29, v33, v31
	v_fmac_f32_e32 v30, v34, v32
	s_waitcnt vmcnt(2) lgkmcnt(0)
	v_fmac_f32_e32 v29, v35, v41
	v_fmac_f32_e32 v30, v36, v42
	s_waitcnt vmcnt(1)
	v_fmac_f32_e32 v29, v37, v45
	v_fmac_f32_e32 v30, v38, v46
	ds_read_b128 v[31:34], v18 offset:128
	ds_read_b128 v[35:38], v18 offset:144
	s_waitcnt lgkmcnt(1)
	v_fmac_f32_e32 v29, v31, v39
	v_fmac_f32_e32 v30, v32, v40
	;; [unrolled: 1-line block ×4, first 2 shown]
	global_load_dwordx2 v[31:32], v[9:10], off offset:1024
	global_load_dwordx2 v[33:34], v[9:10], off offset:1536
	;; [unrolled: 1-line block ×4, first 2 shown]
	s_waitcnt vmcnt(3) lgkmcnt(0)
	v_fmac_f32_e32 v29, v35, v31
	v_fmac_f32_e32 v30, v36, v32
	s_waitcnt vmcnt(2)
	v_fmac_f32_e32 v29, v37, v33
	v_fmac_f32_e32 v30, v38, v34
	ds_read_b128 v[31:34], v18 offset:160
	ds_read_b128 v[35:38], v18 offset:176
	s_waitcnt vmcnt(1) lgkmcnt(1)
	v_fmac_f32_e32 v29, v31, v39
	v_fmac_f32_e32 v30, v32, v40
	s_waitcnt vmcnt(0)
	v_fmac_f32_e32 v29, v33, v41
	v_fmac_f32_e32 v30, v34, v42
	global_load_dwordx2 v[31:32], v[9:10], off offset:3072
	global_load_dwordx2 v[33:34], v[9:10], off offset:3584
	v_add_co_u32_e64 v9, s[4:5], s47, v7
	v_addc_co_u32_e64 v10, s[4:5], 0, v8, s[4:5]
	global_load_dwordx2 v[39:40], v[9:10], off offset:-4096
	global_load_dwordx2 v[41:42], v[9:10], off
	s_waitcnt vmcnt(3) lgkmcnt(0)
	v_fmac_f32_e32 v29, v35, v31
	v_fmac_f32_e32 v30, v36, v32
	s_waitcnt vmcnt(2)
	v_fmac_f32_e32 v29, v37, v33
	v_fmac_f32_e32 v30, v38, v34
	ds_read_b128 v[31:34], v18 offset:192
	ds_read_b128 v[35:38], v18 offset:208
	s_waitcnt vmcnt(1) lgkmcnt(1)
	v_fmac_f32_e32 v29, v31, v39
	v_fmac_f32_e32 v30, v32, v40
	;; [unrolled: 1-line block ×4, first 2 shown]
	global_load_dwordx2 v[31:32], v[11:12], off offset:1024
	global_load_dwordx2 v[33:34], v[11:12], off offset:1536
	;; [unrolled: 1-line block ×4, first 2 shown]
	s_waitcnt vmcnt(3) lgkmcnt(0)
	v_fmac_f32_e32 v29, v31, v35
	v_fmac_f32_e32 v30, v32, v36
	s_waitcnt vmcnt(2)
	v_fmac_f32_e32 v29, v33, v37
	v_fmac_f32_e32 v30, v34, v38
	ds_read_b128 v[31:34], v18 offset:224
	ds_read_b128 v[35:38], v18 offset:240
	s_waitcnt vmcnt(1) lgkmcnt(1)
	v_fmac_f32_e32 v29, v39, v31
	v_fmac_f32_e32 v30, v40, v32
	s_waitcnt vmcnt(0)
	v_fmac_f32_e32 v29, v43, v33
	v_fmac_f32_e32 v30, v44, v34
	global_load_dwordx2 v[31:32], v[11:12], off offset:3072
	global_load_dwordx2 v[33:34], v[11:12], off offset:3584
	v_add_co_u32_e64 v11, s[4:5], s48, v7
	v_addc_co_u32_e64 v12, s[4:5], 0, v8, s[4:5]
	global_load_dwordx2 v[39:40], v[11:12], off offset:512
	global_load_dwordx2 v[43:44], v[11:12], off offset:1024
	v_add_co_u32_e64 v7, s[4:5], s49, v7
	v_addc_co_u32_e64 v8, s[4:5], 0, v8, s[4:5]
	v_cmp_lt_i32_e64 s[4:5], v26, v27
	s_waitcnt vmcnt(3) lgkmcnt(0)
	v_fmac_f32_e32 v29, v31, v35
	v_fmac_f32_e32 v30, v32, v36
	s_waitcnt vmcnt(2)
	v_fmac_f32_e32 v29, v33, v37
	v_fmac_f32_e32 v30, v34, v38
	ds_read_b128 v[31:34], v18 offset:256
	ds_read_b128 v[35:38], v18 offset:272
	s_waitcnt lgkmcnt(1)
	v_fmac_f32_e32 v29, v41, v31
	v_fmac_f32_e32 v30, v42, v32
	global_load_dwordx2 v[31:32], v[9:10], off offset:512
	global_load_dwordx2 v[41:42], v[9:10], off offset:1024
	;; [unrolled: 1-line block ×4, first 2 shown]
	s_waitcnt vmcnt(3)
	v_fmac_f32_e32 v29, v31, v33
	v_fmac_f32_e32 v30, v32, v34
	s_waitcnt vmcnt(2) lgkmcnt(0)
	v_fmac_f32_e32 v29, v41, v35
	v_fmac_f32_e32 v30, v42, v36
	s_waitcnt vmcnt(1)
	v_fmac_f32_e32 v29, v45, v37
	v_fmac_f32_e32 v30, v46, v38
	ds_read_b128 v[31:34], v18 offset:288
	ds_read_b128 v[35:38], v18 offset:304
	s_waitcnt vmcnt(0) lgkmcnt(1)
	v_fmac_f32_e32 v29, v47, v31
	v_fmac_f32_e32 v30, v48, v32
	global_load_dwordx2 v[31:32], v[9:10], off offset:2560
	global_load_dwordx2 v[41:42], v[9:10], off offset:3072
	s_nop 0
	global_load_dwordx2 v[9:10], v[9:10], off offset:3584
	s_nop 0
	global_load_dwordx2 v[45:46], v[7:8], off offset:-4096
	s_waitcnt vmcnt(3)
	v_fmac_f32_e32 v29, v31, v33
	v_fmac_f32_e32 v30, v32, v34
	s_waitcnt vmcnt(2) lgkmcnt(0)
	v_fmac_f32_e32 v29, v41, v35
	v_fmac_f32_e32 v30, v42, v36
	s_waitcnt vmcnt(1)
	v_fmac_f32_e32 v29, v9, v37
	v_fmac_f32_e32 v30, v10, v38
	ds_read_b128 v[31:34], v18 offset:320
	ds_read_b128 v[35:38], v18 offset:336
	s_waitcnt vmcnt(0) lgkmcnt(1)
	v_fmac_f32_e32 v29, v45, v31
	v_fmac_f32_e32 v30, v46, v32
	v_fmac_f32_e32 v29, v39, v33
	v_fmac_f32_e32 v30, v40, v34
	s_waitcnt lgkmcnt(0)
	v_fmac_f32_e32 v29, v43, v35
	v_fmac_f32_e32 v30, v44, v36
	global_load_dwordx2 v[9:10], v[11:12], off offset:1536
	global_load_dwordx2 v[39:40], v[11:12], off offset:2048
	;; [unrolled: 1-line block ×4, first 2 shown]
	s_waitcnt vmcnt(3)
	v_fmac_f32_e32 v29, v9, v37
	v_fmac_f32_e32 v30, v10, v38
	ds_read_b128 v[31:34], v18 offset:352
	ds_read_b128 v[35:38], v18 offset:368
	global_load_dwordx2 v[11:12], v[11:12], off offset:3584
	s_waitcnt vmcnt(3) lgkmcnt(1)
	v_fmac_f32_e32 v29, v39, v31
	v_fmac_f32_e32 v30, v40, v32
	s_waitcnt vmcnt(2)
	v_fmac_f32_e32 v29, v41, v33
	v_fmac_f32_e32 v30, v42, v34
	s_waitcnt vmcnt(1) lgkmcnt(0)
	v_fmac_f32_e32 v29, v43, v35
	v_fmac_f32_e32 v30, v44, v36
	global_load_dwordx2 v[39:40], v[5:6], off
	global_load_dwordx2 v[41:42], v[5:6], off offset:512
	global_load_dwordx2 v[9:10], v[5:6], off offset:1024
	s_waitcnt vmcnt(3)
	v_fmac_f32_e32 v29, v11, v37
	v_fmac_f32_e32 v30, v12, v38
	global_load_dwordx2 v[11:12], v[7:8], off
	global_load_dwordx2 v[43:44], v[7:8], off offset:512
	global_load_dwordx2 v[45:46], v[7:8], off offset:1024
	;; [unrolled: 1-line block ×3, first 2 shown]
	ds_read_b128 v[31:34], v18 offset:384
	ds_read_b128 v[35:38], v18 offset:400
	s_waitcnt vmcnt(3) lgkmcnt(1)
	v_fmac_f32_e32 v29, v11, v31
	v_fmac_f32_e32 v30, v12, v32
	s_waitcnt vmcnt(2)
	v_fmac_f32_e32 v29, v43, v33
	v_fmac_f32_e32 v30, v44, v34
	s_waitcnt vmcnt(1) lgkmcnt(0)
	v_fmac_f32_e32 v29, v45, v35
	v_fmac_f32_e32 v30, v46, v36
	global_load_dwordx2 v[11:12], v[7:8], off offset:2048
	global_load_dwordx2 v[43:44], v[7:8], off offset:2560
	;; [unrolled: 1-line block ×3, first 2 shown]
	s_nop 0
	global_load_dwordx2 v[7:8], v[7:8], off offset:3584
	s_waitcnt vmcnt(4)
	v_fmac_f32_e32 v29, v47, v37
	v_fmac_f32_e32 v30, v48, v38
	ds_read_b128 v[31:34], v18 offset:416
	ds_read_b128 v[35:38], v18 offset:432
	s_waitcnt vmcnt(3) lgkmcnt(1)
	v_fmac_f32_e32 v29, v11, v31
	v_fmac_f32_e32 v30, v12, v32
	s_waitcnt vmcnt(2)
	v_fmac_f32_e32 v29, v43, v33
	v_fmac_f32_e32 v30, v44, v34
	s_waitcnt vmcnt(1) lgkmcnt(0)
	v_fmac_f32_e32 v29, v45, v35
	v_fmac_f32_e32 v30, v46, v36
	s_waitcnt vmcnt(0)
	v_fmac_f32_e32 v29, v7, v37
	v_fmac_f32_e32 v30, v8, v38
	ds_read_b128 v[31:34], v18 offset:448
	ds_read_b128 v[35:38], v18 offset:464
	s_waitcnt lgkmcnt(1)
	v_fmac_f32_e32 v29, v39, v31
	v_fmac_f32_e32 v30, v40, v32
	global_load_dwordx2 v[7:8], v[5:6], off offset:1536
	global_load_dwordx2 v[31:32], v[5:6], off offset:2048
	v_fmac_f32_e32 v29, v41, v33
	v_fmac_f32_e32 v30, v42, v34
	s_waitcnt lgkmcnt(0)
	v_fmac_f32_e32 v29, v9, v35
	v_fmac_f32_e32 v30, v10, v36
	global_load_dwordx2 v[33:34], v[5:6], off offset:2560
	global_load_dwordx2 v[35:36], v[5:6], off offset:3072
	s_waitcnt vmcnt(3)
	v_fmac_f32_e32 v29, v7, v37
	v_fmac_f32_e32 v30, v8, v38
	ds_read_b128 v[5:8], v18 offset:480
	ds_read_b128 v[9:12], v18 offset:496
	s_waitcnt vmcnt(2) lgkmcnt(1)
	v_fmac_f32_e32 v29, v31, v5
	v_fmac_f32_e32 v30, v32, v6
	s_waitcnt vmcnt(1)
	v_fmac_f32_e32 v29, v33, v7
	v_fmac_f32_e32 v30, v34, v8
	s_waitcnt vmcnt(0) lgkmcnt(0)
	v_fmac_f32_e32 v29, v35, v9
	v_fmac_f32_e32 v30, v36, v10
	v_cndmask_b32_e64 v5, v25, v26, s[4:5]
	v_fmac_f32_e32 v29, v3, v11
	v_fmac_f32_e32 v30, v4, v12
	v_lshlrev_b32_e32 v5, 2, v5
	v_add_f32_e32 v3, v29, v30
	ds_bpermute_b32 v4, v5, v3
	s_and_saveexec_b64 s[38:39], vcc
	s_cbranch_execz .LBB44_11
; %bb.19:                               ;   in Loop: Header=BB44_13 Depth=1
	v_add_u32_e32 v5, v22, v21
	v_cvt_f32_i32_e32 v5, v5
	s_waitcnt lgkmcnt(0)
	v_add_f32_e32 v3, v3, v4
	v_add_u32_e32 v6, v15, v21
	v_cmp_gt_i32_e64 s[4:5], s33, v6
	v_mul_f32_e32 v4, s42, v5
	v_cndmask_b32_e64 v4, 0, v4, s[2:3]
	v_fmac_f32_e32 v4, s31, v3
	v_cndmask_b32_e64 v3, 0, v4, s[4:5]
	ds_write_b32 v23, v3
	v_max_f32_e32 v3, v20, v20
	v_max_f32_e32 v3, v3, v4
	v_cndmask_b32_e64 v20, v20, v3, s[4:5]
	s_branch .LBB44_11
.LBB44_20:
	s_or_b64 exec, exec, s[36:37]
.LBB44_21:
	s_or_b64 exec, exec, s[34:35]
	v_mbcnt_hi_u32_b32 v1, -1, v14
	v_and_b32_e32 v7, 64, v1
	v_add_u32_e32 v8, 64, v7
	v_xor_b32_e32 v2, 32, v1
	v_cmp_lt_i32_e32 vcc, v2, v8
	v_cndmask_b32_e32 v2, v1, v2, vcc
	v_lshlrev_b32_e32 v2, 2, v2
	ds_bpermute_b32 v3, v2, v20
	v_xor_b32_e32 v5, 16, v1
	s_waitcnt lgkmcnt(1)
	v_max_f32_e32 v4, v20, v20
	v_cmp_lt_i32_e32 vcc, v5, v8
	v_xor_b32_e32 v6, 8, v1
	s_waitcnt lgkmcnt(0)
	v_max_f32_e32 v3, v3, v3
	v_max_f32_e32 v4, v4, v3
	v_cndmask_b32_e32 v3, v1, v5, vcc
	v_lshlrev_b32_e32 v3, 2, v3
	ds_bpermute_b32 v5, v3, v4
	v_cmp_lt_i32_e32 vcc, v6, v8
	v_xor_b32_e32 v9, 4, v1
	s_waitcnt lgkmcnt(0)
	v_max_f32_e32 v5, v5, v5
	v_max_f32_e32 v5, v4, v5
	v_cndmask_b32_e32 v4, v1, v6, vcc
	v_lshlrev_b32_e32 v4, 2, v4
	ds_bpermute_b32 v6, v4, v5
	v_cmp_lt_i32_e32 vcc, v9, v8
	s_waitcnt lgkmcnt(0)
	v_max_f32_e32 v6, v6, v6
	v_max_f32_e32 v5, v5, v6
	v_cndmask_b32_e32 v6, v1, v9, vcc
	v_lshlrev_b32_e32 v6, 2, v6
	buffer_store_dword v6, off, s[52:55], 0 offset:464 ; 4-byte Folded Spill
	ds_bpermute_b32 v6, v6, v5
	v_xor_b32_e32 v9, 2, v1
	v_cmp_lt_i32_e32 vcc, v9, v8
	s_waitcnt lgkmcnt(0)
	v_max_f32_e32 v6, v6, v6
	v_max_f32_e32 v6, v5, v6
	v_cndmask_b32_e32 v5, v1, v9, vcc
	v_lshlrev_b32_e32 v5, 2, v5
	buffer_store_dword v5, off, s[52:55], 0 offset:468 ; 4-byte Folded Spill
	ds_bpermute_b32 v9, v5, v6
	buffer_load_dword v5, off, s[52:55], 0 offset:440 ; 4-byte Folded Reload
	s_waitcnt vmcnt(0)
	v_and_b32_e32 v5, 63, v5
	buffer_store_dword v5, off, s[52:55], 0 offset:472 ; 4-byte Folded Spill
	v_cmp_eq_u32_e32 vcc, 0, v5
	buffer_load_dword v5, off, s[52:55], 0  ; 4-byte Folded Reload
	s_waitcnt vmcnt(0)
	v_lshlrev_b32_e32 v5, 2, v5
	s_and_saveexec_b64 s[2:3], vcc
	s_cbranch_execz .LBB44_23
; %bb.22:
	s_waitcnt lgkmcnt(0)
	v_max_f32_e32 v9, v9, v9
	v_max_f32_e32 v6, v6, v6
	;; [unrolled: 1-line block ×3, first 2 shown]
	ds_write_b32 v5, v6 offset:1024
.LBB44_23:
	s_or_b64 exec, exec, s[2:3]
	s_waitcnt lgkmcnt(0)
	s_barrier
	buffer_load_dword v6, off, s[52:55], 0 offset:472 ; 4-byte Folded Reload
	v_mov_b32_e32 v9, 0xff7fffff
	s_waitcnt vmcnt(0)
	v_cmp_gt_u32_e64 s[2:3], 2, v6
	v_lshlrev_b32_e32 v6, 2, v6
	s_and_saveexec_b64 s[4:5], s[2:3]
; %bb.24:
	ds_read_b32 v9, v6 offset:1024
; %bb.25:
	s_or_b64 exec, exec, s[4:5]
	v_xor_b32_e32 v10, 1, v1
	v_cmp_lt_i32_e64 s[4:5], v10, v8
	v_cndmask_b32_e64 v8, v1, v10, s[4:5]
	v_lshlrev_b32_e32 v8, 2, v8
	buffer_store_dword v8, off, s[52:55], 0 offset:460 ; 4-byte Folded Spill
	s_waitcnt lgkmcnt(0)
	ds_bpermute_b32 v8, v8, v9
	v_max_f32_e32 v9, v9, v9
	v_lshlrev_b32_e32 v7, 2, v7
	s_lshl_b32 s4, s16, 5
	s_min_i32 s15, s4, s33
	s_waitcnt lgkmcnt(0)
	v_max_f32_e32 v8, v8, v8
	v_max_f32_e32 v8, v9, v8
	ds_bpermute_b32 v8, v7, v8
	buffer_load_dword v7, off, s[52:55], 0 offset:440 ; 4-byte Folded Reload
	s_waitcnt vmcnt(0)
	v_cmp_gt_i32_e64 s[4:5], s15, v7
	v_mov_b32_e32 v7, 0
	s_and_saveexec_b64 s[30:31], s[4:5]
	s_cbranch_execz .LBB44_29
; %bb.26:
	buffer_load_dword v10, off, s[52:55], 0 offset:440 ; 4-byte Folded Reload
	v_mov_b32_e32 v7, 0x410
	s_mov_b64 s[34:35], 0
	s_waitcnt vmcnt(0)
	v_lshl_add_u32 v9, v10, 2, v7
	v_mov_b32_e32 v7, 0
.LBB44_27:                              ; =>This Inner Loop Header: Depth=1
	ds_read_b32 v11, v9
	v_add_u32_e32 v10, 0x80, v10
	v_cmp_le_i32_e64 s[6:7], s15, v10
	s_or_b64 s[34:35], s[6:7], s[34:35]
	s_waitcnt lgkmcnt(0)
	v_sub_f32_e32 v11, v11, v8
	v_mul_f32_e32 v11, 0x3fb8aa3b, v11
	v_exp_f32_e32 v11, v11
	ds_write_b32 v9, v11
	v_add_f32_e32 v7, v7, v11
	v_add_u32_e32 v9, 0x200, v9
	s_andn2_b64 exec, exec, s[34:35]
	s_cbranch_execnz .LBB44_27
; %bb.28:
	s_or_b64 exec, exec, s[34:35]
.LBB44_29:
	s_or_b64 exec, exec, s[30:31]
	ds_bpermute_b32 v2, v2, v7
	s_waitcnt lgkmcnt(0)
	v_add_f32_e32 v2, v7, v2
	ds_bpermute_b32 v3, v3, v2
	s_waitcnt lgkmcnt(0)
	v_add_f32_e32 v2, v2, v3
	;; [unrolled: 3-line block ×3, first 2 shown]
	buffer_load_dword v3, off, s[52:55], 0 offset:464 ; 4-byte Folded Reload
	s_waitcnt vmcnt(0)
	ds_bpermute_b32 v3, v3, v2
	s_waitcnt lgkmcnt(0)
	v_add_f32_e32 v2, v2, v3
	buffer_load_dword v3, off, s[52:55], 0 offset:468 ; 4-byte Folded Reload
	s_waitcnt vmcnt(0)
	ds_bpermute_b32 v3, v3, v2
	s_waitcnt lgkmcnt(0)
	v_add_f32_e32 v2, v2, v3
	;; [unrolled: 5-line block ×3, first 2 shown]
	s_and_saveexec_b64 s[6:7], vcc
; %bb.30:
	ds_write_b32 v5, v2 offset:1032
; %bb.31:
	s_or_b64 exec, exec, s[6:7]
	s_waitcnt lgkmcnt(0)
	s_barrier
	s_and_saveexec_b64 s[6:7], s[2:3]
; %bb.32:
	ds_read_b32 v2, v6 offset:1032
; %bb.33:
	s_or_b64 exec, exec, s[6:7]
	buffer_load_dword v3, off, s[52:55], 0 offset:460 ; 4-byte Folded Reload
	v_lshlrev_b32_e32 v1, 2, v1
	v_and_b32_e32 v1, 0x100, v1
	s_waitcnt vmcnt(0) lgkmcnt(0)
	ds_bpermute_b32 v3, v3, v2
	s_waitcnt lgkmcnt(0)
	v_add_f32_e32 v2, v2, v3
	ds_bpermute_b32 v1, v1, v2
	s_and_saveexec_b64 s[2:3], s[4:5]
	s_cbranch_execz .LBB44_36
; %bb.34:
	s_waitcnt lgkmcnt(0)
	v_add_f32_e32 v2, 0x358637bd, v1
	v_div_scale_f32 v1, s[4:5], v2, v2, 1.0
	v_div_scale_f32 v3, vcc, 1.0, v2, 1.0
	s_mov_b64 s[4:5], 0
	v_rcp_f32_e32 v4, v1
	v_fma_f32 v5, -v1, v4, 1.0
	v_fmac_f32_e32 v4, v5, v4
	v_mul_f32_e32 v5, v3, v4
	v_fma_f32 v6, -v1, v5, v3
	v_fmac_f32_e32 v5, v6, v4
	v_fma_f32 v1, -v1, v5, v3
	v_div_fmas_f32 v3, v1, v4, v5
	buffer_load_dword v4, off, s[52:55], 0 offset:440 ; 4-byte Folded Reload
	v_mov_b32_e32 v1, 0x410
	v_div_fixup_f32 v2, v3, v2, 1.0
	s_waitcnt vmcnt(0)
	v_lshl_add_u32 v1, v4, 2, v1
	v_mov_b32_e32 v3, v4
.LBB44_35:                              ; =>This Inner Loop Header: Depth=1
	ds_read_b32 v4, v1
	v_add_u32_e32 v3, 0x80, v3
	v_cmp_le_i32_e32 vcc, s15, v3
	s_or_b64 s[4:5], vcc, s[4:5]
	s_waitcnt lgkmcnt(0)
	v_mul_f32_e32 v4, v2, v4
	ds_write_b32 v1, v4
	v_add_u32_e32 v1, 0x200, v1
	s_andn2_b64 exec, exec, s[4:5]
	s_cbranch_execnz .LBB44_35
.LBB44_36:
	s_or_b64 exec, exec, s[2:3]
	s_waitcnt lgkmcnt(0)
	v_mov_b32_e32 v1, 0
	s_barrier
	buffer_store_dword v1, off, s[52:55], 0 offset:400 ; 4-byte Folded Spill
	buffer_load_dword v1, off, s[52:55], 0 offset:440 ; 4-byte Folded Reload
	v_mov_b32_e32 v2, 0
	v_mov_b32_e32 v3, 0
	;; [unrolled: 1-line block ×7, first 2 shown]
	s_waitcnt vmcnt(0)
	v_and_b32_e32 v1, 7, v1
	buffer_store_dword v1, off, s[52:55], 0 offset:476 ; 4-byte Folded Spill
	v_mov_b32_e32 v1, 0
	buffer_store_dword v1, off, s[52:55], 0 offset:404 ; 4-byte Folded Spill
	v_mov_b32_e32 v1, 0
	;; [unrolled: 2-line block ×24, first 2 shown]
	buffer_store_dword v1, off, s[52:55], 0 offset:308 ; 4-byte Folded Spill
	s_and_saveexec_b64 s[2:3], s[0:1]
	s_cbranch_execz .LBB44_106
; %bb.37:
	s_ashr_i32 s15, s14, 31
	s_sub_i32 s17, s12, s17
	s_lshl_b64 s[0:1], s[14:15], 2
	s_add_u32 s14, s28, s0
	s_addc_u32 s15, s29, s1
	s_abs_i32 s18, s18
	v_cvt_f32_u32_e32 v1, s18
	s_sub_i32 s0, 0, s18
	s_add_i32 s29, s16, -1
	v_and_b32_e32 v5, 60, v13
	v_rcp_iflag_f32_e32 v1, v1
	v_and_b32_e32 v2, 28, v0
	buffer_store_dword v2, off, s[52:55], 0 offset:444 ; 4-byte Folded Spill
	v_and_b32_e32 v2, 0xfc, v0
	v_mul_f32_e32 v1, 0x4f7ffffe, v1
	v_cvt_u32_f32_e32 v1, v1
	v_or_b32_e32 v3, 0xf00, v0
	v_or_b32_e32 v0, 0x1f00, v0
	v_lshlrev_b32_e32 v0, 2, v0
	v_mul_lo_u32 v4, s0, v1
	s_lshl_b64 s[0:1], s[26:27], 2
	s_add_u32 s0, s24, s0
	s_addc_u32 s1, s25, s1
	v_mul_hi_u32 v4, v1, v4
	v_mov_b32_e32 v6, s1
	s_mov_b32 s28, s13
	v_mov_b32_e32 v38, 0
	v_add_u32_e32 v1, v1, v4
	v_add_co_u32_e32 v4, vcc, s0, v5
	v_addc_co_u32_e32 v5, vcc, 0, v6, vcc
	buffer_store_dword v1, off, s[52:55], 0 offset:416 ; 4-byte Folded Spill
	buffer_store_dword v4, off, s[52:55], 0 offset:4 ; 4-byte Folded Spill
	s_nop 0
	buffer_store_dword v5, off, s[52:55], 0 offset:8 ; 4-byte Folded Spill
	buffer_load_dword v1, off, s[52:55], 0 offset:476 ; 4-byte Folded Reload
	s_mov_b64 s[4:5], 0
	buffer_load_dword v4, off, s[52:55], 0  ; 4-byte Folded Reload
	v_mov_b32_e32 v5, 0
	buffer_store_dword v0, off, s[52:55], 0 offset:456 ; 4-byte Folded Spill
	v_mov_b32_e32 v0, 0
	buffer_store_dword v0, off, s[52:55], 0 offset:308 ; 4-byte Folded Spill
	;; [unrolled: 2-line block ×26, first 2 shown]
	v_mov_b32_e32 v0, 0
	v_mov_b32_e32 v18, 0
	;; [unrolled: 1-line block ×4, first 2 shown]
	buffer_store_dword v0, off, s[52:55], 0 offset:404 ; 4-byte Folded Spill
	v_mov_b32_e32 v0, 0
	buffer_store_dword v0, off, s[52:55], 0 offset:400 ; 4-byte Folded Spill
	s_waitcnt vmcnt(29)
	v_lshlrev_b32_e32 v1, 4, v1
	s_waitcnt vmcnt(28)
	v_lshl_or_b32 v1, v4, 7, v1
	v_add_u32_e32 v1, 0x410, v1
	buffer_store_dword v1, off, s[52:55], 0 offset:12 ; 4-byte Folded Spill
	v_lshlrev_b32_e32 v1, 2, v2
	buffer_store_dword v1, off, s[52:55], 0 offset:448 ; 4-byte Folded Spill
	v_lshlrev_b32_e32 v1, 2, v3
	buffer_store_dword v1, off, s[52:55], 0 offset:452 ; 4-byte Folded Spill
	s_branch .LBB44_40
.LBB44_38:                              ;   in Loop: Header=BB44_40 Depth=1
	s_or_b64 exec, exec, s[12:13]
	s_waitcnt lgkmcnt(0)
	v_mul_f32_e32 v0, v1, v17
	v_fmac_f32_e32 v0, v2, v18
	v_fmac_f32_e32 v0, v3, v19
	;; [unrolled: 1-line block ×3, first 2 shown]
	buffer_load_dword v17, off, s[52:55], 0 offset:292 ; 4-byte Folded Reload
	buffer_load_dword v18, off, s[52:55], 0 offset:296 ; 4-byte Folded Reload
	;; [unrolled: 1-line block ×4, first 2 shown]
	v_mul_f32_e32 v13, v1, v13
	v_fmac_f32_e32 v13, v2, v14
	v_fmac_f32_e32 v13, v3, v15
	v_fmac_f32_e32 v13, v4, v16
	v_mul_f32_e32 v16, v1, v21
	v_fmac_f32_e32 v16, v2, v22
	v_fmac_f32_e32 v16, v3, v23
	v_fmac_f32_e32 v16, v4, v24
	;; [unrolled: 4-line block ×5, first 2 shown]
	v_mul_f32_e32 v12, v1, v33
	v_mul_f32_e32 v5, v1, v5
	v_fmac_f32_e32 v5, v2, v6
	v_fmac_f32_e32 v5, v3, v7
	v_fmac_f32_e32 v5, v4, v8
	v_mul_f32_e32 v6, v1, v57
	v_fmac_f32_e32 v6, v2, v58
	v_fmac_f32_e32 v6, v3, v59
	v_fmac_f32_e32 v6, v4, v60
	v_mul_f32_e32 v7, v1, v53
	v_fmac_f32_e32 v7, v2, v54
	v_fmac_f32_e32 v7, v3, v55
	v_fmac_f32_e32 v7, v4, v56
	v_mul_f32_e32 v8, v1, v45
	v_fmac_f32_e32 v8, v2, v46
	v_fmac_f32_e32 v8, v3, v47
	v_fmac_f32_e32 v8, v4, v48
	v_mul_f32_e32 v10, v1, v41
	v_fmac_f32_e32 v10, v2, v42
	v_fmac_f32_e32 v10, v3, v43
	v_fmac_f32_e32 v10, v4, v44
	v_mul_f32_e32 v11, v1, v37
	v_fmac_f32_e32 v11, v2, v38
	v_fmac_f32_e32 v11, v3, v39
	v_fmac_f32_e32 v11, v4, v40
	v_fmac_f32_e32 v12, v2, v34
	v_fmac_f32_e32 v12, v3, v35
	;; [unrolled: 1-line block ×3, first 2 shown]
	s_waitcnt vmcnt(3)
	v_mul_f32_e32 v17, v1, v17
	s_waitcnt vmcnt(2)
	v_fmac_f32_e32 v17, v2, v18
	s_waitcnt vmcnt(1)
	v_fmac_f32_e32 v17, v3, v19
	s_waitcnt vmcnt(0)
	v_fmac_f32_e32 v17, v4, v20
	buffer_load_dword v18, off, s[52:55], 0 offset:276 ; 4-byte Folded Reload
	buffer_load_dword v19, off, s[52:55], 0 offset:280 ; 4-byte Folded Reload
	buffer_load_dword v20, off, s[52:55], 0 offset:284 ; 4-byte Folded Reload
	buffer_load_dword v21, off, s[52:55], 0 offset:288 ; 4-byte Folded Reload
	s_waitcnt vmcnt(3)
	v_mul_f32_e32 v18, v1, v18
	s_waitcnt vmcnt(2)
	v_fmac_f32_e32 v18, v2, v19
	s_waitcnt vmcnt(1)
	v_fmac_f32_e32 v18, v3, v20
	s_waitcnt vmcnt(0)
	v_fmac_f32_e32 v18, v4, v21
	buffer_load_dword v19, off, s[52:55], 0 offset:260 ; 4-byte Folded Reload
	buffer_load_dword v20, off, s[52:55], 0 offset:264 ; 4-byte Folded Reload
	buffer_load_dword v21, off, s[52:55], 0 offset:268 ; 4-byte Folded Reload
	buffer_load_dword v22, off, s[52:55], 0 offset:272 ; 4-byte Folded Reload
	s_waitcnt vmcnt(3)
	v_mul_f32_e32 v19, v1, v19
	s_waitcnt vmcnt(2)
	v_fmac_f32_e32 v19, v2, v20
	s_waitcnt vmcnt(1)
	v_fmac_f32_e32 v19, v3, v21
	s_waitcnt vmcnt(0)
	v_fmac_f32_e32 v19, v4, v22
	buffer_load_dword v20, off, s[52:55], 0 offset:244 ; 4-byte Folded Reload
	buffer_load_dword v21, off, s[52:55], 0 offset:248 ; 4-byte Folded Reload
	buffer_load_dword v22, off, s[52:55], 0 offset:252 ; 4-byte Folded Reload
	buffer_load_dword v23, off, s[52:55], 0 offset:256 ; 4-byte Folded Reload
	s_waitcnt vmcnt(3)
	v_mul_f32_e32 v20, v1, v20
	s_waitcnt vmcnt(2)
	v_fmac_f32_e32 v20, v2, v21
	s_waitcnt vmcnt(1)
	v_fmac_f32_e32 v20, v3, v22
	s_waitcnt vmcnt(0)
	v_fmac_f32_e32 v20, v4, v23
	buffer_load_dword v21, off, s[52:55], 0 offset:228 ; 4-byte Folded Reload
	buffer_load_dword v22, off, s[52:55], 0 offset:232 ; 4-byte Folded Reload
	buffer_load_dword v23, off, s[52:55], 0 offset:236 ; 4-byte Folded Reload
	buffer_load_dword v24, off, s[52:55], 0 offset:240 ; 4-byte Folded Reload
	s_waitcnt vmcnt(3)
	v_mul_f32_e32 v21, v1, v21
	s_waitcnt vmcnt(2)
	v_fmac_f32_e32 v21, v2, v22
	s_waitcnt vmcnt(1)
	v_fmac_f32_e32 v21, v3, v23
	s_waitcnt vmcnt(0)
	v_fmac_f32_e32 v21, v4, v24
	buffer_load_dword v22, off, s[52:55], 0 offset:212 ; 4-byte Folded Reload
	buffer_load_dword v23, off, s[52:55], 0 offset:216 ; 4-byte Folded Reload
	buffer_load_dword v24, off, s[52:55], 0 offset:220 ; 4-byte Folded Reload
	buffer_load_dword v25, off, s[52:55], 0 offset:224 ; 4-byte Folded Reload
	s_waitcnt vmcnt(3)
	v_mul_f32_e32 v22, v1, v22
	s_waitcnt vmcnt(2)
	v_fmac_f32_e32 v22, v2, v23
	s_waitcnt vmcnt(1)
	v_fmac_f32_e32 v22, v3, v24
	s_waitcnt vmcnt(0)
	v_fmac_f32_e32 v22, v4, v25
	buffer_load_dword v23, off, s[52:55], 0 offset:196 ; 4-byte Folded Reload
	buffer_load_dword v24, off, s[52:55], 0 offset:200 ; 4-byte Folded Reload
	buffer_load_dword v25, off, s[52:55], 0 offset:204 ; 4-byte Folded Reload
	buffer_load_dword v26, off, s[52:55], 0 offset:208 ; 4-byte Folded Reload
	s_waitcnt vmcnt(3)
	v_mul_f32_e32 v23, v1, v23
	s_waitcnt vmcnt(2)
	v_fmac_f32_e32 v23, v2, v24
	s_waitcnt vmcnt(1)
	v_fmac_f32_e32 v23, v3, v25
	s_waitcnt vmcnt(0)
	v_fmac_f32_e32 v23, v4, v26
	buffer_load_dword v24, off, s[52:55], 0 offset:180 ; 4-byte Folded Reload
	buffer_load_dword v25, off, s[52:55], 0 offset:184 ; 4-byte Folded Reload
	buffer_load_dword v26, off, s[52:55], 0 offset:188 ; 4-byte Folded Reload
	buffer_load_dword v27, off, s[52:55], 0 offset:192 ; 4-byte Folded Reload
	s_waitcnt vmcnt(3)
	v_mul_f32_e32 v24, v1, v24
	s_waitcnt vmcnt(2)
	v_fmac_f32_e32 v24, v2, v25
	s_waitcnt vmcnt(1)
	v_fmac_f32_e32 v24, v3, v26
	s_waitcnt vmcnt(0)
	v_fmac_f32_e32 v24, v4, v27
	buffer_load_dword v25, off, s[52:55], 0 offset:164 ; 4-byte Folded Reload
	buffer_load_dword v26, off, s[52:55], 0 offset:168 ; 4-byte Folded Reload
	buffer_load_dword v27, off, s[52:55], 0 offset:172 ; 4-byte Folded Reload
	buffer_load_dword v28, off, s[52:55], 0 offset:176 ; 4-byte Folded Reload
	s_waitcnt vmcnt(3)
	v_mul_f32_e32 v25, v1, v25
	s_waitcnt vmcnt(2)
	v_fmac_f32_e32 v25, v2, v26
	s_waitcnt vmcnt(1)
	v_fmac_f32_e32 v25, v3, v27
	s_waitcnt vmcnt(0)
	v_fmac_f32_e32 v25, v4, v28
	buffer_load_dword v26, off, s[52:55], 0 offset:148 ; 4-byte Folded Reload
	buffer_load_dword v27, off, s[52:55], 0 offset:152 ; 4-byte Folded Reload
	buffer_load_dword v28, off, s[52:55], 0 offset:156 ; 4-byte Folded Reload
	buffer_load_dword v29, off, s[52:55], 0 offset:160 ; 4-byte Folded Reload
	s_waitcnt vmcnt(3)
	v_mul_f32_e32 v26, v1, v26
	s_waitcnt vmcnt(2)
	v_fmac_f32_e32 v26, v2, v27
	s_waitcnt vmcnt(1)
	v_fmac_f32_e32 v26, v3, v28
	s_waitcnt vmcnt(0)
	v_fmac_f32_e32 v26, v4, v29
	buffer_load_dword v27, off, s[52:55], 0 offset:132 ; 4-byte Folded Reload
	buffer_load_dword v28, off, s[52:55], 0 offset:136 ; 4-byte Folded Reload
	buffer_load_dword v29, off, s[52:55], 0 offset:140 ; 4-byte Folded Reload
	buffer_load_dword v30, off, s[52:55], 0 offset:144 ; 4-byte Folded Reload
	s_waitcnt vmcnt(3)
	v_mul_f32_e32 v27, v1, v27
	s_waitcnt vmcnt(2)
	v_fmac_f32_e32 v27, v2, v28
	s_waitcnt vmcnt(1)
	v_fmac_f32_e32 v27, v3, v29
	s_waitcnt vmcnt(0)
	v_fmac_f32_e32 v27, v4, v30
	buffer_load_dword v28, off, s[52:55], 0 offset:116 ; 4-byte Folded Reload
	buffer_load_dword v29, off, s[52:55], 0 offset:120 ; 4-byte Folded Reload
	buffer_load_dword v30, off, s[52:55], 0 offset:124 ; 4-byte Folded Reload
	buffer_load_dword v31, off, s[52:55], 0 offset:128 ; 4-byte Folded Reload
	s_waitcnt vmcnt(3)
	v_mul_f32_e32 v28, v1, v28
	s_waitcnt vmcnt(2)
	v_fmac_f32_e32 v28, v2, v29
	s_waitcnt vmcnt(1)
	v_fmac_f32_e32 v28, v3, v30
	s_waitcnt vmcnt(0)
	v_fmac_f32_e32 v28, v4, v31
	buffer_load_dword v29, off, s[52:55], 0 offset:100 ; 4-byte Folded Reload
	buffer_load_dword v30, off, s[52:55], 0 offset:104 ; 4-byte Folded Reload
	buffer_load_dword v31, off, s[52:55], 0 offset:108 ; 4-byte Folded Reload
	buffer_load_dword v32, off, s[52:55], 0 offset:112 ; 4-byte Folded Reload
	s_waitcnt vmcnt(3)
	v_mul_f32_e32 v29, v1, v29
	s_waitcnt vmcnt(2)
	v_fmac_f32_e32 v29, v2, v30
	s_waitcnt vmcnt(1)
	v_fmac_f32_e32 v29, v3, v31
	s_waitcnt vmcnt(0)
	v_fmac_f32_e32 v29, v4, v32
	buffer_load_dword v30, off, s[52:55], 0 offset:84 ; 4-byte Folded Reload
	buffer_load_dword v31, off, s[52:55], 0 offset:88 ; 4-byte Folded Reload
	buffer_load_dword v32, off, s[52:55], 0 offset:92 ; 4-byte Folded Reload
	buffer_load_dword v33, off, s[52:55], 0 offset:96 ; 4-byte Folded Reload
	s_waitcnt vmcnt(3)
	v_mul_f32_e32 v30, v1, v30
	s_waitcnt vmcnt(2)
	v_fmac_f32_e32 v30, v2, v31
	buffer_load_dword v31, off, s[52:55], 0 offset:308 ; 4-byte Folded Reload
	s_waitcnt vmcnt(2)
	v_fmac_f32_e32 v30, v3, v32
	s_waitcnt vmcnt(1)
	v_fmac_f32_e32 v30, v4, v33
	s_waitcnt vmcnt(0)
	v_add_f32_e32 v31, v31, v0
	buffer_load_dword v0, off, s[52:55], 0 offset:312 ; 4-byte Folded Reload
	s_waitcnt vmcnt(0)
	v_add_f32_e32 v0, v0, v13
	buffer_store_dword v0, off, s[52:55], 0 offset:312 ; 4-byte Folded Spill
	buffer_load_dword v0, off, s[52:55], 0 offset:316 ; 4-byte Folded Reload
	s_waitcnt vmcnt(0)
	v_add_f32_e32 v0, v0, v9
	buffer_store_dword v0, off, s[52:55], 0 offset:316 ; 4-byte Folded Spill
	buffer_load_dword v0, off, s[52:55], 0 offset:320 ; 4-byte Folded Reload
	s_waitcnt vmcnt(0)
	v_add_f32_e32 v0, v0, v5
	buffer_store_dword v0, off, s[52:55], 0 offset:320 ; 4-byte Folded Spill
	buffer_load_dword v0, off, s[52:55], 0 offset:324 ; 4-byte Folded Reload
	s_nop 0
	buffer_load_dword v5, off, s[52:55], 0 offset:424 ; 4-byte Folded Reload
	s_waitcnt vmcnt(1)
	v_add_f32_e32 v0, v0, v6
	buffer_store_dword v0, off, s[52:55], 0 offset:324 ; 4-byte Folded Spill
	buffer_load_dword v0, off, s[52:55], 0 offset:328 ; 4-byte Folded Reload
	s_waitcnt vmcnt(2)
	v_add_f32_e32 v5, v5, v17
	buffer_load_dword v6, off, s[52:55], 0 offset:432 ; 4-byte Folded Reload
	buffer_load_dword v17, off, s[52:55], 0 offset:436 ; 4-byte Folded Reload
	s_waitcnt vmcnt(2)
	v_add_f32_e32 v0, v0, v7
	buffer_store_dword v0, off, s[52:55], 0 offset:328 ; 4-byte Folded Spill
	buffer_load_dword v0, off, s[52:55], 0 offset:332 ; 4-byte Folded Reload
	s_waitcnt vmcnt(3)
	v_add_f32_e32 v6, v6, v19
	buffer_store_dword v31, off, s[52:55], 0 offset:308 ; 4-byte Folded Spill
	s_waitcnt vmcnt(3)
	v_add_f32_e32 v17, v17, v20
	s_waitcnt vmcnt(1)
	v_add_f32_e32 v0, v0, v8
	buffer_store_dword v0, off, s[52:55], 0 offset:332 ; 4-byte Folded Spill
	buffer_load_dword v0, off, s[52:55], 0 offset:336 ; 4-byte Folded Reload
	s_waitcnt vmcnt(0)
	v_add_f32_e32 v0, v0, v10
	buffer_store_dword v0, off, s[52:55], 0 offset:336 ; 4-byte Folded Spill
	buffer_load_dword v0, off, s[52:55], 0 offset:340 ; 4-byte Folded Reload
	;; [unrolled: 4-line block ×7, first 2 shown]
	s_waitcnt vmcnt(0)
	v_add_f32_e32 v18, v0, v18
	buffer_load_dword v0, off, s[52:55], 0 offset:360 ; 4-byte Folded Reload
	s_waitcnt vmcnt(0)
	v_add_f32_e32 v0, v0, v21
	buffer_store_dword v0, off, s[52:55], 0 offset:360 ; 4-byte Folded Spill
	buffer_load_dword v0, off, s[52:55], 0 offset:364 ; 4-byte Folded Reload
	s_waitcnt vmcnt(0)
	v_add_f32_e32 v0, v0, v22
	buffer_store_dword v0, off, s[52:55], 0 offset:364 ; 4-byte Folded Spill
	;; [unrolled: 4-line block ×10, first 2 shown]
	buffer_load_dword v7, off, s[52:55], 0 offset:68 ; 4-byte Folded Reload
	buffer_load_dword v8, off, s[52:55], 0 offset:72 ; 4-byte Folded Reload
	;; [unrolled: 1-line block ×4, first 2 shown]
	s_waitcnt vmcnt(3)
	v_mul_f32_e32 v0, v1, v7
	buffer_load_dword v7, off, s[52:55], 0 offset:408 ; 4-byte Folded Reload
	s_waitcnt vmcnt(3)
	v_fmac_f32_e32 v0, v2, v8
	s_waitcnt vmcnt(2)
	v_fmac_f32_e32 v0, v3, v9
	s_waitcnt vmcnt(1)
	v_fmac_f32_e32 v0, v4, v10
	s_waitcnt vmcnt(0)
	v_add_f32_e32 v7, v7, v0
	buffer_store_dword v7, off, s[52:55], 0 offset:408 ; 4-byte Folded Spill
	buffer_load_dword v7, off, s[52:55], 0 offset:52 ; 4-byte Folded Reload
	s_nop 0
	buffer_load_dword v8, off, s[52:55], 0 offset:56 ; 4-byte Folded Reload
	buffer_load_dword v9, off, s[52:55], 0 offset:60 ; 4-byte Folded Reload
	buffer_load_dword v10, off, s[52:55], 0 offset:64 ; 4-byte Folded Reload
	s_waitcnt vmcnt(3)
	v_mul_f32_e32 v0, v1, v7
	buffer_load_dword v7, off, s[52:55], 0 offset:412 ; 4-byte Folded Reload
	s_waitcnt vmcnt(3)
	v_fmac_f32_e32 v0, v2, v8
	s_waitcnt vmcnt(2)
	v_fmac_f32_e32 v0, v3, v9
	s_waitcnt vmcnt(1)
	v_fmac_f32_e32 v0, v4, v10
	s_waitcnt vmcnt(0)
	v_add_f32_e32 v7, v7, v0
	buffer_store_dword v7, off, s[52:55], 0 offset:412 ; 4-byte Folded Spill
	buffer_load_dword v7, off, s[52:55], 0 offset:36 ; 4-byte Folded Reload
	s_nop 0
	buffer_load_dword v8, off, s[52:55], 0 offset:40 ; 4-byte Folded Reload
	buffer_load_dword v9, off, s[52:55], 0 offset:44 ; 4-byte Folded Reload
	buffer_load_dword v10, off, s[52:55], 0 offset:48 ; 4-byte Folded Reload
	s_waitcnt vmcnt(3)
	v_mul_f32_e32 v0, v1, v7
	buffer_load_dword v7, off, s[52:55], 0 offset:404 ; 4-byte Folded Reload
	s_waitcnt vmcnt(3)
	v_fmac_f32_e32 v0, v2, v8
	s_waitcnt vmcnt(2)
	v_fmac_f32_e32 v0, v3, v9
	s_waitcnt vmcnt(1)
	v_fmac_f32_e32 v0, v4, v10
	s_waitcnt vmcnt(0)
	v_add_f32_e32 v7, v7, v0
	buffer_store_dword v7, off, s[52:55], 0 offset:404 ; 4-byte Folded Spill
	buffer_load_dword v7, off, s[52:55], 0 offset:20 ; 4-byte Folded Reload
	s_nop 0
	buffer_load_dword v8, off, s[52:55], 0 offset:24 ; 4-byte Folded Reload
	buffer_load_dword v9, off, s[52:55], 0 offset:28 ; 4-byte Folded Reload
	buffer_load_dword v10, off, s[52:55], 0 offset:32 ; 4-byte Folded Reload
	buffer_load_dword v38, off, s[52:55], 0 offset:420 ; 4-byte Folded Reload
	s_waitcnt vmcnt(4)
	v_mul_f32_e32 v0, v1, v7
	buffer_load_dword v7, off, s[52:55], 0 offset:400 ; 4-byte Folded Reload
	s_waitcnt vmcnt(4)
	v_fmac_f32_e32 v0, v2, v8
	s_waitcnt vmcnt(3)
	v_fmac_f32_e32 v0, v3, v9
	;; [unrolled: 2-line block ×3, first 2 shown]
	s_waitcnt vmcnt(0)
	v_add_f32_e32 v7, v7, v0
	v_mul_f32_e32 v0, v1, v49
	v_fmac_f32_e32 v0, v2, v50
	v_fmac_f32_e32 v0, v3, v51
	;; [unrolled: 1-line block ×3, first 2 shown]
	v_add_f32_e32 v38, v38, v0
	buffer_store_dword v7, off, s[52:55], 0 offset:400 ; 4-byte Folded Spill
.LBB44_39:                              ;   in Loop: Header=BB44_40 Depth=1
	s_or_b64 exec, exec, s[6:7]
	buffer_load_dword v0, off, s[52:55], 0  ; 4-byte Folded Reload
	buffer_load_dword v1, off, s[52:55], 0 offset:4 ; 4-byte Folded Reload
	buffer_load_dword v2, off, s[52:55], 0 offset:8 ; 4-byte Folded Reload
	s_waitcnt vmcnt(1)
	v_add_co_u32_e32 v1, vcc, 8, v1
	s_waitcnt vmcnt(0)
	v_addc_co_u32_e32 v2, vcc, 0, v2, vcc
	v_add_u32_e32 v0, 2, v0
	buffer_store_dword v1, off, s[52:55], 0 offset:4 ; 4-byte Folded Spill
	s_nop 0
	buffer_store_dword v2, off, s[52:55], 0 offset:8 ; 4-byte Folded Spill
	buffer_load_dword v49, off, s[52:55], 0 offset:16 ; 4-byte Folded Reload
	v_cmp_le_i32_e32 vcc, s16, v0
	buffer_store_dword v0, off, s[52:55], 0 ; 4-byte Folded Spill
	buffer_load_dword v0, off, s[52:55], 0 offset:12 ; 4-byte Folded Reload
	s_or_b64 s[4:5], vcc, s[4:5]
	s_waitcnt vmcnt(2)
	v_add_u32_e32 v49, 64, v49
	s_waitcnt vmcnt(0)
	v_add_u32_e32 v0, 0x100, v0
	buffer_store_dword v0, off, s[52:55], 0 offset:12 ; 4-byte Folded Spill
	s_andn2_b64 exec, exec, s[4:5]
	s_cbranch_execz .LBB44_105
.LBB44_40:                              ; =>This Inner Loop Header: Depth=1
	buffer_load_dword v3, off, s[52:55], 0 offset:416 ; 4-byte Folded Reload
	v_mul_hi_u32 v0, v49, s40
	buffer_store_dword v49, off, s[52:55], 0 offset:16 ; 4-byte Folded Spill
	v_mul_lo_u32 v1, v0, s21
	v_add_u32_e32 v2, 1, v0
	v_sub_u32_e32 v1, v49, v1
	v_cmp_le_u32_e32 vcc, s21, v1
	v_cndmask_b32_e32 v0, v0, v2, vcc
	v_subrev_u32_e32 v2, s21, v1
	v_cndmask_b32_e32 v1, v1, v2, vcc
	v_add_u32_e32 v2, 1, v0
	v_cmp_le_u32_e32 vcc, s21, v1
	v_cndmask_b32_e32 v0, v0, v2, vcc
	v_xor_b32_e32 v0, s19, v0
	v_subrev_u32_e32 v0, s19, v0
	v_add_u32_e32 v1, s41, v0
	v_sub_u32_e32 v2, 0, v1
	v_max_i32_e32 v2, v1, v2
	v_ashrrev_i32_e32 v1, 31, v1
	v_cmp_lt_i32_e64 s[0:1], s17, v0
	s_waitcnt vmcnt(1)
	v_mul_hi_u32 v3, v2, v3
	v_mul_lo_u32 v3, v3, s18
	v_sub_u32_e32 v2, v2, v3
	v_subrev_u32_e32 v3, s18, v2
	v_cmp_le_u32_e32 vcc, s18, v2
	v_cndmask_b32_e32 v2, v2, v3, vcc
	v_subrev_u32_e32 v3, s18, v2
	v_cmp_le_u32_e32 vcc, s18, v2
	v_cndmask_b32_e32 v2, v2, v3, vcc
	v_xor_b32_e32 v2, v2, v1
	v_sub_u32_e32 v1, v2, v1
	v_cmp_eq_u32_e32 vcc, 0, v1
	s_or_b64 s[0:1], vcc, s[0:1]
	s_and_saveexec_b64 s[6:7], s[0:1]
	s_cbranch_execz .LBB44_39
; %bb.41:                               ;   in Loop: Header=BB44_40 Depth=1
	buffer_store_dword v17, off, s[52:55], 0 offset:436 ; 4-byte Folded Spill
	buffer_store_dword v6, off, s[52:55], 0 offset:432 ; 4-byte Folded Spill
	buffer_store_dword v18, off, s[52:55], 0 offset:428 ; 4-byte Folded Spill
	buffer_store_dword v5, off, s[52:55], 0 offset:424 ; 4-byte Folded Spill
	buffer_store_dword v38, off, s[52:55], 0 offset:420 ; 4-byte Folded Spill
	buffer_load_dword v0, off, s[52:55], 0 offset:4 ; 4-byte Folded Reload
	buffer_load_dword v1, off, s[52:55], 0 offset:8 ; 4-byte Folded Reload
	v_mov_b32_e32 v2, s15
	s_waitcnt vmcnt(0)
	global_load_dword v0, v[0:1], off
	s_waitcnt vmcnt(0)
	v_mad_i64_i32 v[0:1], s[0:1], v0, s28, 0
	v_lshlrev_b64 v[0:1], 2, v[0:1]
	v_add_co_u32_e32 v49, vcc, s14, v0
	buffer_load_dword v0, off, s[52:55], 0 offset:448 ; 4-byte Folded Reload
	v_addc_co_u32_e32 v50, vcc, v2, v1, vcc
	s_waitcnt vmcnt(0)
	v_add_co_u32_e32 v17, vcc, v49, v0
	v_addc_co_u32_e32 v18, vcc, 0, v50, vcc
	global_load_dwordx4 v[0:3], v[17:18], off
	s_waitcnt vmcnt(0)
	buffer_store_dword v0, off, s[52:55], 0 offset:20 ; 4-byte Folded Spill
	s_nop 0
	buffer_store_dword v1, off, s[52:55], 0 offset:24 ; 4-byte Folded Spill
	buffer_store_dword v2, off, s[52:55], 0 offset:28 ; 4-byte Folded Spill
	;; [unrolled: 1-line block ×3, first 2 shown]
	buffer_load_dword v0, off, s[52:55], 0 offset:16 ; 4-byte Folded Reload
	s_nop 0
	buffer_load_dword v1, off, s[52:55], 0 offset:444 ; 4-byte Folded Reload
	s_waitcnt vmcnt(0)
	v_add_u32_e32 v5, v1, v0
	buffer_load_dword v0, off, s[52:55], 0 offset:12 ; 4-byte Folded Reload
	v_add_u32_e32 v61, 1, v5
	v_add_u32_e32 v63, 2, v5
	v_mov_b32_e32 v62, v5
	s_waitcnt vmcnt(0)
	ds_read_b128 v[1:4], v0
	buffer_load_dword v0, off, s[52:55], 0  ; 4-byte Folded Reload
	s_waitcnt vmcnt(0)
	v_cmp_eq_u32_e64 s[0:1], s29, v0
	v_add_u32_e32 v0, 3, v5
	s_and_saveexec_b64 s[12:13], s[0:1]
	s_cbranch_execz .LBB44_43
; %bb.42:                               ;   in Loop: Header=BB44_40 Depth=1
	buffer_load_dword v5, off, s[52:55], 0 offset:20 ; 4-byte Folded Reload
	buffer_load_dword v6, off, s[52:55], 0 offset:24 ; 4-byte Folded Reload
	buffer_load_dword v7, off, s[52:55], 0 offset:28 ; 4-byte Folded Reload
	buffer_load_dword v8, off, s[52:55], 0 offset:32 ; 4-byte Folded Reload
	v_cmp_gt_i32_e32 vcc, s33, v62
	s_waitcnt vmcnt(3)
	v_cndmask_b32_e32 v5, 0, v5, vcc
	v_cmp_gt_i32_e32 vcc, s33, v61
	s_waitcnt vmcnt(2)
	v_cndmask_b32_e32 v6, 0, v6, vcc
	v_cmp_gt_i32_e32 vcc, s33, v63
	s_waitcnt vmcnt(1)
	v_cndmask_b32_e32 v7, 0, v7, vcc
	v_cmp_gt_i32_e32 vcc, s33, v0
	s_waitcnt vmcnt(0)
	v_cndmask_b32_e32 v8, 0, v8, vcc
	buffer_store_dword v5, off, s[52:55], 0 offset:20 ; 4-byte Folded Spill
	s_nop 0
	buffer_store_dword v6, off, s[52:55], 0 offset:24 ; 4-byte Folded Spill
	buffer_store_dword v7, off, s[52:55], 0 offset:28 ; 4-byte Folded Spill
	buffer_store_dword v8, off, s[52:55], 0 offset:32 ; 4-byte Folded Spill
.LBB44_43:                              ;   in Loop: Header=BB44_40 Depth=1
	s_or_b64 exec, exec, s[12:13]
	global_load_dwordx4 v[5:8], v[17:18], off offset:1024
	s_waitcnt vmcnt(0)
	buffer_store_dword v5, off, s[52:55], 0 offset:36 ; 4-byte Folded Spill
	s_nop 0
	buffer_store_dword v6, off, s[52:55], 0 offset:40 ; 4-byte Folded Spill
	buffer_store_dword v7, off, s[52:55], 0 offset:44 ; 4-byte Folded Spill
	buffer_store_dword v8, off, s[52:55], 0 offset:48 ; 4-byte Folded Spill
	s_and_saveexec_b64 s[12:13], s[0:1]
	s_cbranch_execz .LBB44_45
; %bb.44:                               ;   in Loop: Header=BB44_40 Depth=1
	buffer_load_dword v5, off, s[52:55], 0 offset:36 ; 4-byte Folded Reload
	buffer_load_dword v6, off, s[52:55], 0 offset:40 ; 4-byte Folded Reload
	buffer_load_dword v7, off, s[52:55], 0 offset:44 ; 4-byte Folded Reload
	buffer_load_dword v8, off, s[52:55], 0 offset:48 ; 4-byte Folded Reload
	v_cmp_gt_i32_e32 vcc, s33, v62
	s_waitcnt vmcnt(3)
	v_cndmask_b32_e32 v5, 0, v5, vcc
	v_cmp_gt_i32_e32 vcc, s33, v61
	s_waitcnt vmcnt(2)
	v_cndmask_b32_e32 v6, 0, v6, vcc
	v_cmp_gt_i32_e32 vcc, s33, v63
	s_waitcnt vmcnt(1)
	v_cndmask_b32_e32 v7, 0, v7, vcc
	v_cmp_gt_i32_e32 vcc, s33, v0
	s_waitcnt vmcnt(0)
	v_cndmask_b32_e32 v8, 0, v8, vcc
	buffer_store_dword v5, off, s[52:55], 0 offset:36 ; 4-byte Folded Spill
	s_nop 0
	buffer_store_dword v6, off, s[52:55], 0 offset:40 ; 4-byte Folded Spill
	buffer_store_dword v7, off, s[52:55], 0 offset:44 ; 4-byte Folded Spill
	buffer_store_dword v8, off, s[52:55], 0 offset:48 ; 4-byte Folded Spill
.LBB44_45:                              ;   in Loop: Header=BB44_40 Depth=1
	s_or_b64 exec, exec, s[12:13]
	global_load_dwordx4 v[5:8], v[17:18], off offset:2048
	s_waitcnt vmcnt(0)
	buffer_store_dword v5, off, s[52:55], 0 offset:52 ; 4-byte Folded Spill
	s_nop 0
	buffer_store_dword v6, off, s[52:55], 0 offset:56 ; 4-byte Folded Spill
	buffer_store_dword v7, off, s[52:55], 0 offset:60 ; 4-byte Folded Spill
	buffer_store_dword v8, off, s[52:55], 0 offset:64 ; 4-byte Folded Spill
	;; [unrolled: 33-line block ×3, first 2 shown]
	s_and_saveexec_b64 s[12:13], s[0:1]
	s_cbranch_execz .LBB44_49
; %bb.48:                               ;   in Loop: Header=BB44_40 Depth=1
	buffer_load_dword v5, off, s[52:55], 0 offset:68 ; 4-byte Folded Reload
	buffer_load_dword v6, off, s[52:55], 0 offset:72 ; 4-byte Folded Reload
	;; [unrolled: 1-line block ×4, first 2 shown]
	v_cmp_gt_i32_e32 vcc, s33, v62
	s_waitcnt vmcnt(3)
	v_cndmask_b32_e32 v5, 0, v5, vcc
	v_cmp_gt_i32_e32 vcc, s33, v61
	s_waitcnt vmcnt(2)
	v_cndmask_b32_e32 v6, 0, v6, vcc
	;; [unrolled: 3-line block ×4, first 2 shown]
	buffer_store_dword v5, off, s[52:55], 0 offset:68 ; 4-byte Folded Spill
	s_nop 0
	buffer_store_dword v6, off, s[52:55], 0 offset:72 ; 4-byte Folded Spill
	buffer_store_dword v7, off, s[52:55], 0 offset:76 ; 4-byte Folded Spill
	;; [unrolled: 1-line block ×3, first 2 shown]
.LBB44_49:                              ;   in Loop: Header=BB44_40 Depth=1
	s_or_b64 exec, exec, s[12:13]
	v_add_co_u32_e32 v5, vcc, 0x1000, v17
	v_addc_co_u32_e32 v6, vcc, 0, v18, vcc
	global_load_dwordx4 v[5:8], v[5:6], off
	s_waitcnt vmcnt(0)
	buffer_store_dword v5, off, s[52:55], 0 offset:84 ; 4-byte Folded Spill
	s_nop 0
	buffer_store_dword v6, off, s[52:55], 0 offset:88 ; 4-byte Folded Spill
	buffer_store_dword v7, off, s[52:55], 0 offset:92 ; 4-byte Folded Spill
	buffer_store_dword v8, off, s[52:55], 0 offset:96 ; 4-byte Folded Spill
	s_and_saveexec_b64 s[12:13], s[0:1]
	s_cbranch_execz .LBB44_51
; %bb.50:                               ;   in Loop: Header=BB44_40 Depth=1
	buffer_load_dword v5, off, s[52:55], 0 offset:84 ; 4-byte Folded Reload
	buffer_load_dword v6, off, s[52:55], 0 offset:88 ; 4-byte Folded Reload
	buffer_load_dword v7, off, s[52:55], 0 offset:92 ; 4-byte Folded Reload
	buffer_load_dword v8, off, s[52:55], 0 offset:96 ; 4-byte Folded Reload
	v_cmp_gt_i32_e32 vcc, s33, v62
	s_waitcnt vmcnt(3)
	v_cndmask_b32_e32 v5, 0, v5, vcc
	v_cmp_gt_i32_e32 vcc, s33, v61
	s_waitcnt vmcnt(2)
	v_cndmask_b32_e32 v6, 0, v6, vcc
	v_cmp_gt_i32_e32 vcc, s33, v63
	s_waitcnt vmcnt(1)
	v_cndmask_b32_e32 v7, 0, v7, vcc
	v_cmp_gt_i32_e32 vcc, s33, v0
	s_waitcnt vmcnt(0)
	v_cndmask_b32_e32 v8, 0, v8, vcc
	buffer_store_dword v5, off, s[52:55], 0 offset:84 ; 4-byte Folded Spill
	s_nop 0
	buffer_store_dword v6, off, s[52:55], 0 offset:88 ; 4-byte Folded Spill
	buffer_store_dword v7, off, s[52:55], 0 offset:92 ; 4-byte Folded Spill
	buffer_store_dword v8, off, s[52:55], 0 offset:96 ; 4-byte Folded Spill
.LBB44_51:                              ;   in Loop: Header=BB44_40 Depth=1
	s_or_b64 exec, exec, s[12:13]
	v_add_co_u32_e32 v5, vcc, 0x1000, v17
	v_addc_co_u32_e32 v6, vcc, 0, v18, vcc
	global_load_dwordx4 v[5:8], v[5:6], off offset:1024
	s_waitcnt vmcnt(0)
	buffer_store_dword v5, off, s[52:55], 0 offset:100 ; 4-byte Folded Spill
	s_nop 0
	buffer_store_dword v6, off, s[52:55], 0 offset:104 ; 4-byte Folded Spill
	buffer_store_dword v7, off, s[52:55], 0 offset:108 ; 4-byte Folded Spill
	buffer_store_dword v8, off, s[52:55], 0 offset:112 ; 4-byte Folded Spill
	s_and_saveexec_b64 s[12:13], s[0:1]
	s_cbranch_execz .LBB44_53
; %bb.52:                               ;   in Loop: Header=BB44_40 Depth=1
	buffer_load_dword v5, off, s[52:55], 0 offset:100 ; 4-byte Folded Reload
	buffer_load_dword v6, off, s[52:55], 0 offset:104 ; 4-byte Folded Reload
	buffer_load_dword v7, off, s[52:55], 0 offset:108 ; 4-byte Folded Reload
	buffer_load_dword v8, off, s[52:55], 0 offset:112 ; 4-byte Folded Reload
	v_cmp_gt_i32_e32 vcc, s33, v62
	s_waitcnt vmcnt(3)
	v_cndmask_b32_e32 v5, 0, v5, vcc
	v_cmp_gt_i32_e32 vcc, s33, v61
	s_waitcnt vmcnt(2)
	v_cndmask_b32_e32 v6, 0, v6, vcc
	v_cmp_gt_i32_e32 vcc, s33, v63
	s_waitcnt vmcnt(1)
	v_cndmask_b32_e32 v7, 0, v7, vcc
	v_cmp_gt_i32_e32 vcc, s33, v0
	s_waitcnt vmcnt(0)
	v_cndmask_b32_e32 v8, 0, v8, vcc
	buffer_store_dword v5, off, s[52:55], 0 offset:100 ; 4-byte Folded Spill
	s_nop 0
	buffer_store_dword v6, off, s[52:55], 0 offset:104 ; 4-byte Folded Spill
	buffer_store_dword v7, off, s[52:55], 0 offset:108 ; 4-byte Folded Spill
	buffer_store_dword v8, off, s[52:55], 0 offset:112 ; 4-byte Folded Spill
.LBB44_53:                              ;   in Loop: Header=BB44_40 Depth=1
	s_or_b64 exec, exec, s[12:13]
	v_add_co_u32_e32 v5, vcc, 0x1000, v17
	v_addc_co_u32_e32 v6, vcc, 0, v18, vcc
	global_load_dwordx4 v[5:8], v[5:6], off offset:2048
	;; [unrolled: 35-line block ×3, first 2 shown]
	s_waitcnt vmcnt(0)
	buffer_store_dword v5, off, s[52:55], 0 offset:132 ; 4-byte Folded Spill
	s_nop 0
	buffer_store_dword v6, off, s[52:55], 0 offset:136 ; 4-byte Folded Spill
	buffer_store_dword v7, off, s[52:55], 0 offset:140 ; 4-byte Folded Spill
	;; [unrolled: 1-line block ×3, first 2 shown]
	s_and_saveexec_b64 s[12:13], s[0:1]
	s_cbranch_execz .LBB44_57
; %bb.56:                               ;   in Loop: Header=BB44_40 Depth=1
	buffer_load_dword v5, off, s[52:55], 0 offset:132 ; 4-byte Folded Reload
	buffer_load_dword v6, off, s[52:55], 0 offset:136 ; 4-byte Folded Reload
	;; [unrolled: 1-line block ×4, first 2 shown]
	v_cmp_gt_i32_e32 vcc, s33, v62
	s_waitcnt vmcnt(3)
	v_cndmask_b32_e32 v5, 0, v5, vcc
	v_cmp_gt_i32_e32 vcc, s33, v61
	s_waitcnt vmcnt(2)
	v_cndmask_b32_e32 v6, 0, v6, vcc
	;; [unrolled: 3-line block ×4, first 2 shown]
	buffer_store_dword v5, off, s[52:55], 0 offset:132 ; 4-byte Folded Spill
	s_nop 0
	buffer_store_dword v6, off, s[52:55], 0 offset:136 ; 4-byte Folded Spill
	buffer_store_dword v7, off, s[52:55], 0 offset:140 ; 4-byte Folded Spill
	;; [unrolled: 1-line block ×3, first 2 shown]
.LBB44_57:                              ;   in Loop: Header=BB44_40 Depth=1
	s_or_b64 exec, exec, s[12:13]
	v_add_co_u32_e32 v5, vcc, 0x2000, v17
	v_addc_co_u32_e32 v6, vcc, 0, v18, vcc
	global_load_dwordx4 v[5:8], v[5:6], off
	s_waitcnt vmcnt(0)
	buffer_store_dword v5, off, s[52:55], 0 offset:148 ; 4-byte Folded Spill
	s_nop 0
	buffer_store_dword v6, off, s[52:55], 0 offset:152 ; 4-byte Folded Spill
	buffer_store_dword v7, off, s[52:55], 0 offset:156 ; 4-byte Folded Spill
	buffer_store_dword v8, off, s[52:55], 0 offset:160 ; 4-byte Folded Spill
	s_and_saveexec_b64 s[12:13], s[0:1]
	s_cbranch_execz .LBB44_59
; %bb.58:                               ;   in Loop: Header=BB44_40 Depth=1
	buffer_load_dword v5, off, s[52:55], 0 offset:148 ; 4-byte Folded Reload
	buffer_load_dword v6, off, s[52:55], 0 offset:152 ; 4-byte Folded Reload
	buffer_load_dword v7, off, s[52:55], 0 offset:156 ; 4-byte Folded Reload
	buffer_load_dword v8, off, s[52:55], 0 offset:160 ; 4-byte Folded Reload
	v_cmp_gt_i32_e32 vcc, s33, v62
	s_waitcnt vmcnt(3)
	v_cndmask_b32_e32 v5, 0, v5, vcc
	v_cmp_gt_i32_e32 vcc, s33, v61
	s_waitcnt vmcnt(2)
	v_cndmask_b32_e32 v6, 0, v6, vcc
	v_cmp_gt_i32_e32 vcc, s33, v63
	s_waitcnt vmcnt(1)
	v_cndmask_b32_e32 v7, 0, v7, vcc
	v_cmp_gt_i32_e32 vcc, s33, v0
	s_waitcnt vmcnt(0)
	v_cndmask_b32_e32 v8, 0, v8, vcc
	buffer_store_dword v5, off, s[52:55], 0 offset:148 ; 4-byte Folded Spill
	s_nop 0
	buffer_store_dword v6, off, s[52:55], 0 offset:152 ; 4-byte Folded Spill
	buffer_store_dword v7, off, s[52:55], 0 offset:156 ; 4-byte Folded Spill
	buffer_store_dword v8, off, s[52:55], 0 offset:160 ; 4-byte Folded Spill
.LBB44_59:                              ;   in Loop: Header=BB44_40 Depth=1
	s_or_b64 exec, exec, s[12:13]
	v_add_co_u32_e32 v5, vcc, 0x2000, v17
	v_addc_co_u32_e32 v6, vcc, 0, v18, vcc
	global_load_dwordx4 v[5:8], v[5:6], off offset:1024
	s_waitcnt vmcnt(0)
	buffer_store_dword v5, off, s[52:55], 0 offset:164 ; 4-byte Folded Spill
	s_nop 0
	buffer_store_dword v6, off, s[52:55], 0 offset:168 ; 4-byte Folded Spill
	buffer_store_dword v7, off, s[52:55], 0 offset:172 ; 4-byte Folded Spill
	buffer_store_dword v8, off, s[52:55], 0 offset:176 ; 4-byte Folded Spill
	s_and_saveexec_b64 s[12:13], s[0:1]
	s_cbranch_execz .LBB44_61
; %bb.60:                               ;   in Loop: Header=BB44_40 Depth=1
	buffer_load_dword v5, off, s[52:55], 0 offset:164 ; 4-byte Folded Reload
	buffer_load_dword v6, off, s[52:55], 0 offset:168 ; 4-byte Folded Reload
	buffer_load_dword v7, off, s[52:55], 0 offset:172 ; 4-byte Folded Reload
	buffer_load_dword v8, off, s[52:55], 0 offset:176 ; 4-byte Folded Reload
	v_cmp_gt_i32_e32 vcc, s33, v62
	s_waitcnt vmcnt(3)
	v_cndmask_b32_e32 v5, 0, v5, vcc
	v_cmp_gt_i32_e32 vcc, s33, v61
	s_waitcnt vmcnt(2)
	v_cndmask_b32_e32 v6, 0, v6, vcc
	v_cmp_gt_i32_e32 vcc, s33, v63
	s_waitcnt vmcnt(1)
	v_cndmask_b32_e32 v7, 0, v7, vcc
	v_cmp_gt_i32_e32 vcc, s33, v0
	s_waitcnt vmcnt(0)
	v_cndmask_b32_e32 v8, 0, v8, vcc
	buffer_store_dword v5, off, s[52:55], 0 offset:164 ; 4-byte Folded Spill
	s_nop 0
	buffer_store_dword v6, off, s[52:55], 0 offset:168 ; 4-byte Folded Spill
	buffer_store_dword v7, off, s[52:55], 0 offset:172 ; 4-byte Folded Spill
	buffer_store_dword v8, off, s[52:55], 0 offset:176 ; 4-byte Folded Spill
.LBB44_61:                              ;   in Loop: Header=BB44_40 Depth=1
	s_or_b64 exec, exec, s[12:13]
	v_add_co_u32_e32 v5, vcc, 0x2000, v17
	v_addc_co_u32_e32 v6, vcc, 0, v18, vcc
	global_load_dwordx4 v[5:8], v[5:6], off offset:2048
	;; [unrolled: 35-line block ×3, first 2 shown]
	s_waitcnt vmcnt(0)
	buffer_store_dword v5, off, s[52:55], 0 offset:196 ; 4-byte Folded Spill
	s_nop 0
	buffer_store_dword v6, off, s[52:55], 0 offset:200 ; 4-byte Folded Spill
	buffer_store_dword v7, off, s[52:55], 0 offset:204 ; 4-byte Folded Spill
	;; [unrolled: 1-line block ×3, first 2 shown]
	s_and_saveexec_b64 s[12:13], s[0:1]
	s_cbranch_execz .LBB44_65
; %bb.64:                               ;   in Loop: Header=BB44_40 Depth=1
	buffer_load_dword v5, off, s[52:55], 0 offset:196 ; 4-byte Folded Reload
	buffer_load_dword v6, off, s[52:55], 0 offset:200 ; 4-byte Folded Reload
	;; [unrolled: 1-line block ×4, first 2 shown]
	v_cmp_gt_i32_e32 vcc, s33, v62
	s_waitcnt vmcnt(3)
	v_cndmask_b32_e32 v5, 0, v5, vcc
	v_cmp_gt_i32_e32 vcc, s33, v61
	s_waitcnt vmcnt(2)
	v_cndmask_b32_e32 v6, 0, v6, vcc
	;; [unrolled: 3-line block ×4, first 2 shown]
	buffer_store_dword v5, off, s[52:55], 0 offset:196 ; 4-byte Folded Spill
	s_nop 0
	buffer_store_dword v6, off, s[52:55], 0 offset:200 ; 4-byte Folded Spill
	buffer_store_dword v7, off, s[52:55], 0 offset:204 ; 4-byte Folded Spill
	;; [unrolled: 1-line block ×3, first 2 shown]
.LBB44_65:                              ;   in Loop: Header=BB44_40 Depth=1
	s_or_b64 exec, exec, s[12:13]
	v_add_co_u32_e32 v5, vcc, 0x3000, v17
	v_addc_co_u32_e32 v6, vcc, 0, v18, vcc
	global_load_dwordx4 v[5:8], v[5:6], off
	s_waitcnt vmcnt(0)
	buffer_store_dword v5, off, s[52:55], 0 offset:212 ; 4-byte Folded Spill
	s_nop 0
	buffer_store_dword v6, off, s[52:55], 0 offset:216 ; 4-byte Folded Spill
	buffer_store_dword v7, off, s[52:55], 0 offset:220 ; 4-byte Folded Spill
	;; [unrolled: 1-line block ×3, first 2 shown]
	s_and_saveexec_b64 s[12:13], s[0:1]
	s_cbranch_execz .LBB44_67
; %bb.66:                               ;   in Loop: Header=BB44_40 Depth=1
	buffer_load_dword v5, off, s[52:55], 0 offset:212 ; 4-byte Folded Reload
	buffer_load_dword v6, off, s[52:55], 0 offset:216 ; 4-byte Folded Reload
	;; [unrolled: 1-line block ×4, first 2 shown]
	v_cmp_gt_i32_e32 vcc, s33, v62
	s_waitcnt vmcnt(3)
	v_cndmask_b32_e32 v5, 0, v5, vcc
	v_cmp_gt_i32_e32 vcc, s33, v61
	s_waitcnt vmcnt(2)
	v_cndmask_b32_e32 v6, 0, v6, vcc
	;; [unrolled: 3-line block ×4, first 2 shown]
	buffer_store_dword v5, off, s[52:55], 0 offset:212 ; 4-byte Folded Spill
	s_nop 0
	buffer_store_dword v6, off, s[52:55], 0 offset:216 ; 4-byte Folded Spill
	buffer_store_dword v7, off, s[52:55], 0 offset:220 ; 4-byte Folded Spill
	;; [unrolled: 1-line block ×3, first 2 shown]
.LBB44_67:                              ;   in Loop: Header=BB44_40 Depth=1
	s_or_b64 exec, exec, s[12:13]
	v_add_co_u32_e32 v5, vcc, 0x3000, v17
	v_addc_co_u32_e32 v6, vcc, 0, v18, vcc
	global_load_dwordx4 v[5:8], v[5:6], off offset:1024
	s_waitcnt vmcnt(0)
	buffer_store_dword v5, off, s[52:55], 0 offset:228 ; 4-byte Folded Spill
	s_nop 0
	buffer_store_dword v6, off, s[52:55], 0 offset:232 ; 4-byte Folded Spill
	buffer_store_dword v7, off, s[52:55], 0 offset:236 ; 4-byte Folded Spill
	;; [unrolled: 1-line block ×3, first 2 shown]
	s_and_saveexec_b64 s[12:13], s[0:1]
	s_cbranch_execz .LBB44_69
; %bb.68:                               ;   in Loop: Header=BB44_40 Depth=1
	buffer_load_dword v5, off, s[52:55], 0 offset:228 ; 4-byte Folded Reload
	buffer_load_dword v6, off, s[52:55], 0 offset:232 ; 4-byte Folded Reload
	;; [unrolled: 1-line block ×4, first 2 shown]
	v_cmp_gt_i32_e32 vcc, s33, v62
	s_waitcnt vmcnt(3)
	v_cndmask_b32_e32 v5, 0, v5, vcc
	v_cmp_gt_i32_e32 vcc, s33, v61
	s_waitcnt vmcnt(2)
	v_cndmask_b32_e32 v6, 0, v6, vcc
	;; [unrolled: 3-line block ×4, first 2 shown]
	buffer_store_dword v5, off, s[52:55], 0 offset:228 ; 4-byte Folded Spill
	s_nop 0
	buffer_store_dword v6, off, s[52:55], 0 offset:232 ; 4-byte Folded Spill
	buffer_store_dword v7, off, s[52:55], 0 offset:236 ; 4-byte Folded Spill
	;; [unrolled: 1-line block ×3, first 2 shown]
.LBB44_69:                              ;   in Loop: Header=BB44_40 Depth=1
	s_or_b64 exec, exec, s[12:13]
	v_add_co_u32_e32 v5, vcc, 0x3000, v17
	v_addc_co_u32_e32 v6, vcc, 0, v18, vcc
	global_load_dwordx4 v[5:8], v[5:6], off offset:2048
	s_waitcnt vmcnt(0)
	buffer_store_dword v5, off, s[52:55], 0 offset:244 ; 4-byte Folded Spill
	s_nop 0
	buffer_store_dword v6, off, s[52:55], 0 offset:248 ; 4-byte Folded Spill
	buffer_store_dword v7, off, s[52:55], 0 offset:252 ; 4-byte Folded Spill
	;; [unrolled: 1-line block ×3, first 2 shown]
	s_and_saveexec_b64 s[12:13], s[0:1]
	s_cbranch_execz .LBB44_71
; %bb.70:                               ;   in Loop: Header=BB44_40 Depth=1
	buffer_load_dword v5, off, s[52:55], 0 offset:244 ; 4-byte Folded Reload
	buffer_load_dword v6, off, s[52:55], 0 offset:248 ; 4-byte Folded Reload
	;; [unrolled: 1-line block ×4, first 2 shown]
	v_cmp_gt_i32_e32 vcc, s33, v62
	s_waitcnt vmcnt(3)
	v_cndmask_b32_e32 v5, 0, v5, vcc
	v_cmp_gt_i32_e32 vcc, s33, v61
	s_waitcnt vmcnt(2)
	v_cndmask_b32_e32 v6, 0, v6, vcc
	;; [unrolled: 3-line block ×4, first 2 shown]
	buffer_store_dword v5, off, s[52:55], 0 offset:244 ; 4-byte Folded Spill
	s_nop 0
	buffer_store_dword v6, off, s[52:55], 0 offset:248 ; 4-byte Folded Spill
	buffer_store_dword v7, off, s[52:55], 0 offset:252 ; 4-byte Folded Spill
	;; [unrolled: 1-line block ×3, first 2 shown]
.LBB44_71:                              ;   in Loop: Header=BB44_40 Depth=1
	s_or_b64 exec, exec, s[12:13]
	buffer_load_dword v5, off, s[52:55], 0 offset:452 ; 4-byte Folded Reload
	s_waitcnt vmcnt(0)
	v_add_co_u32_e32 v5, vcc, v49, v5
	v_addc_co_u32_e32 v6, vcc, 0, v50, vcc
	global_load_dwordx4 v[5:8], v[5:6], off
	s_waitcnt vmcnt(0)
	buffer_store_dword v5, off, s[52:55], 0 offset:260 ; 4-byte Folded Spill
	s_nop 0
	buffer_store_dword v6, off, s[52:55], 0 offset:264 ; 4-byte Folded Spill
	buffer_store_dword v7, off, s[52:55], 0 offset:268 ; 4-byte Folded Spill
	;; [unrolled: 1-line block ×3, first 2 shown]
	s_and_saveexec_b64 s[12:13], s[0:1]
	s_cbranch_execz .LBB44_73
; %bb.72:                               ;   in Loop: Header=BB44_40 Depth=1
	buffer_load_dword v5, off, s[52:55], 0 offset:260 ; 4-byte Folded Reload
	buffer_load_dword v6, off, s[52:55], 0 offset:264 ; 4-byte Folded Reload
	;; [unrolled: 1-line block ×4, first 2 shown]
	v_cmp_gt_i32_e32 vcc, s33, v62
	s_waitcnt vmcnt(3)
	v_cndmask_b32_e32 v5, 0, v5, vcc
	v_cmp_gt_i32_e32 vcc, s33, v61
	s_waitcnt vmcnt(2)
	v_cndmask_b32_e32 v6, 0, v6, vcc
	;; [unrolled: 3-line block ×4, first 2 shown]
	buffer_store_dword v5, off, s[52:55], 0 offset:260 ; 4-byte Folded Spill
	s_nop 0
	buffer_store_dword v6, off, s[52:55], 0 offset:264 ; 4-byte Folded Spill
	buffer_store_dword v7, off, s[52:55], 0 offset:268 ; 4-byte Folded Spill
	;; [unrolled: 1-line block ×3, first 2 shown]
.LBB44_73:                              ;   in Loop: Header=BB44_40 Depth=1
	s_or_b64 exec, exec, s[12:13]
	v_add_co_u32_e32 v5, vcc, 0x4000, v17
	v_addc_co_u32_e32 v6, vcc, 0, v18, vcc
	global_load_dwordx4 v[5:8], v[5:6], off
	s_waitcnt vmcnt(0)
	buffer_store_dword v5, off, s[52:55], 0 offset:276 ; 4-byte Folded Spill
	s_nop 0
	buffer_store_dword v6, off, s[52:55], 0 offset:280 ; 4-byte Folded Spill
	buffer_store_dword v7, off, s[52:55], 0 offset:284 ; 4-byte Folded Spill
	;; [unrolled: 1-line block ×3, first 2 shown]
	s_and_saveexec_b64 s[12:13], s[0:1]
	s_cbranch_execz .LBB44_75
; %bb.74:                               ;   in Loop: Header=BB44_40 Depth=1
	buffer_load_dword v5, off, s[52:55], 0 offset:276 ; 4-byte Folded Reload
	buffer_load_dword v6, off, s[52:55], 0 offset:280 ; 4-byte Folded Reload
	;; [unrolled: 1-line block ×4, first 2 shown]
	v_cmp_gt_i32_e32 vcc, s33, v62
	s_waitcnt vmcnt(3)
	v_cndmask_b32_e32 v5, 0, v5, vcc
	v_cmp_gt_i32_e32 vcc, s33, v61
	s_waitcnt vmcnt(2)
	v_cndmask_b32_e32 v6, 0, v6, vcc
	;; [unrolled: 3-line block ×4, first 2 shown]
	buffer_store_dword v5, off, s[52:55], 0 offset:276 ; 4-byte Folded Spill
	s_nop 0
	buffer_store_dword v6, off, s[52:55], 0 offset:280 ; 4-byte Folded Spill
	buffer_store_dword v7, off, s[52:55], 0 offset:284 ; 4-byte Folded Spill
	;; [unrolled: 1-line block ×3, first 2 shown]
.LBB44_75:                              ;   in Loop: Header=BB44_40 Depth=1
	s_or_b64 exec, exec, s[12:13]
	v_add_co_u32_e32 v5, vcc, 0x4000, v17
	v_addc_co_u32_e32 v6, vcc, 0, v18, vcc
	global_load_dwordx4 v[5:8], v[5:6], off offset:1024
	s_waitcnt vmcnt(0)
	buffer_store_dword v5, off, s[52:55], 0 offset:292 ; 4-byte Folded Spill
	s_nop 0
	buffer_store_dword v6, off, s[52:55], 0 offset:296 ; 4-byte Folded Spill
	buffer_store_dword v7, off, s[52:55], 0 offset:300 ; 4-byte Folded Spill
	;; [unrolled: 1-line block ×3, first 2 shown]
	s_and_saveexec_b64 s[12:13], s[0:1]
	s_cbranch_execz .LBB44_77
; %bb.76:                               ;   in Loop: Header=BB44_40 Depth=1
	buffer_load_dword v5, off, s[52:55], 0 offset:292 ; 4-byte Folded Reload
	buffer_load_dword v6, off, s[52:55], 0 offset:296 ; 4-byte Folded Reload
	;; [unrolled: 1-line block ×4, first 2 shown]
	v_cmp_gt_i32_e32 vcc, s33, v62
	s_waitcnt vmcnt(3)
	v_cndmask_b32_e32 v5, 0, v5, vcc
	v_cmp_gt_i32_e32 vcc, s33, v61
	s_waitcnt vmcnt(2)
	v_cndmask_b32_e32 v6, 0, v6, vcc
	;; [unrolled: 3-line block ×4, first 2 shown]
	buffer_store_dword v5, off, s[52:55], 0 offset:292 ; 4-byte Folded Spill
	s_nop 0
	buffer_store_dword v6, off, s[52:55], 0 offset:296 ; 4-byte Folded Spill
	buffer_store_dword v7, off, s[52:55], 0 offset:300 ; 4-byte Folded Spill
	;; [unrolled: 1-line block ×3, first 2 shown]
.LBB44_77:                              ;   in Loop: Header=BB44_40 Depth=1
	s_or_b64 exec, exec, s[12:13]
	v_add_co_u32_e32 v5, vcc, 0x4000, v17
	v_addc_co_u32_e32 v6, vcc, 0, v18, vcc
	global_load_dwordx4 v[21:24], v[5:6], off offset:2048
	s_and_saveexec_b64 s[12:13], s[0:1]
	s_cbranch_execz .LBB44_79
; %bb.78:                               ;   in Loop: Header=BB44_40 Depth=1
	v_cmp_gt_i32_e32 vcc, s33, v62
	s_waitcnt vmcnt(0)
	v_cndmask_b32_e32 v21, 0, v21, vcc
	v_cmp_gt_i32_e32 vcc, s33, v61
	v_cndmask_b32_e32 v22, 0, v22, vcc
	v_cmp_gt_i32_e32 vcc, s33, v63
	;; [unrolled: 2-line block ×3, first 2 shown]
	v_cndmask_b32_e32 v24, 0, v24, vcc
.LBB44_79:                              ;   in Loop: Header=BB44_40 Depth=1
	s_or_b64 exec, exec, s[12:13]
	v_add_co_u32_e32 v5, vcc, 0x4000, v17
	v_addc_co_u32_e32 v6, vcc, 0, v18, vcc
	global_load_dwordx4 v[25:28], v[5:6], off offset:3072
	s_and_saveexec_b64 s[12:13], s[0:1]
	s_cbranch_execz .LBB44_81
; %bb.80:                               ;   in Loop: Header=BB44_40 Depth=1
	v_cmp_gt_i32_e32 vcc, s33, v62
	s_waitcnt vmcnt(0)
	v_cndmask_b32_e32 v25, 0, v25, vcc
	v_cmp_gt_i32_e32 vcc, s33, v61
	v_cndmask_b32_e32 v26, 0, v26, vcc
	v_cmp_gt_i32_e32 vcc, s33, v63
	;; [unrolled: 2-line block ×3, first 2 shown]
	v_cndmask_b32_e32 v28, 0, v28, vcc
.LBB44_81:                              ;   in Loop: Header=BB44_40 Depth=1
	s_or_b64 exec, exec, s[12:13]
	v_add_co_u32_e32 v5, vcc, 0x5000, v17
	v_addc_co_u32_e32 v6, vcc, 0, v18, vcc
	global_load_dwordx4 v[29:32], v[5:6], off
	s_and_saveexec_b64 s[12:13], s[0:1]
	s_cbranch_execz .LBB44_83
; %bb.82:                               ;   in Loop: Header=BB44_40 Depth=1
	v_cmp_gt_i32_e32 vcc, s33, v62
	s_waitcnt vmcnt(0)
	v_cndmask_b32_e32 v29, 0, v29, vcc
	v_cmp_gt_i32_e32 vcc, s33, v61
	v_cndmask_b32_e32 v30, 0, v30, vcc
	v_cmp_gt_i32_e32 vcc, s33, v63
	v_cndmask_b32_e32 v31, 0, v31, vcc
	v_cmp_gt_i32_e32 vcc, s33, v0
	v_cndmask_b32_e32 v32, 0, v32, vcc
.LBB44_83:                              ;   in Loop: Header=BB44_40 Depth=1
	s_or_b64 exec, exec, s[12:13]
	v_add_co_u32_e32 v5, vcc, 0x5000, v17
	v_addc_co_u32_e32 v6, vcc, 0, v18, vcc
	global_load_dwordx4 v[33:36], v[5:6], off offset:1024
	s_and_saveexec_b64 s[12:13], s[0:1]
	s_cbranch_execz .LBB44_85
; %bb.84:                               ;   in Loop: Header=BB44_40 Depth=1
	v_cmp_gt_i32_e32 vcc, s33, v62
	s_waitcnt vmcnt(0)
	v_cndmask_b32_e32 v33, 0, v33, vcc
	v_cmp_gt_i32_e32 vcc, s33, v61
	v_cndmask_b32_e32 v34, 0, v34, vcc
	v_cmp_gt_i32_e32 vcc, s33, v63
	v_cndmask_b32_e32 v35, 0, v35, vcc
	v_cmp_gt_i32_e32 vcc, s33, v0
	v_cndmask_b32_e32 v36, 0, v36, vcc
.LBB44_85:                              ;   in Loop: Header=BB44_40 Depth=1
	s_or_b64 exec, exec, s[12:13]
	v_add_co_u32_e32 v5, vcc, 0x5000, v17
	v_addc_co_u32_e32 v6, vcc, 0, v18, vcc
	global_load_dwordx4 v[37:40], v[5:6], off offset:2048
	;; [unrolled: 17-line block ×3, first 2 shown]
	s_and_saveexec_b64 s[12:13], s[0:1]
	s_cbranch_execz .LBB44_89
; %bb.88:                               ;   in Loop: Header=BB44_40 Depth=1
	v_cmp_gt_i32_e32 vcc, s33, v62
	s_waitcnt vmcnt(0)
	v_cndmask_b32_e32 v41, 0, v41, vcc
	v_cmp_gt_i32_e32 vcc, s33, v61
	v_cndmask_b32_e32 v42, 0, v42, vcc
	v_cmp_gt_i32_e32 vcc, s33, v63
	;; [unrolled: 2-line block ×3, first 2 shown]
	v_cndmask_b32_e32 v44, 0, v44, vcc
.LBB44_89:                              ;   in Loop: Header=BB44_40 Depth=1
	s_or_b64 exec, exec, s[12:13]
	v_add_co_u32_e32 v5, vcc, 0x6000, v17
	v_addc_co_u32_e32 v6, vcc, 0, v18, vcc
	global_load_dwordx4 v[45:48], v[5:6], off
	s_and_saveexec_b64 s[12:13], s[0:1]
	s_cbranch_execz .LBB44_91
; %bb.90:                               ;   in Loop: Header=BB44_40 Depth=1
	v_cmp_gt_i32_e32 vcc, s33, v62
	s_waitcnt vmcnt(0)
	v_cndmask_b32_e32 v45, 0, v45, vcc
	v_cmp_gt_i32_e32 vcc, s33, v61
	v_cndmask_b32_e32 v46, 0, v46, vcc
	v_cmp_gt_i32_e32 vcc, s33, v63
	v_cndmask_b32_e32 v47, 0, v47, vcc
	v_cmp_gt_i32_e32 vcc, s33, v0
	v_cndmask_b32_e32 v48, 0, v48, vcc
.LBB44_91:                              ;   in Loop: Header=BB44_40 Depth=1
	s_or_b64 exec, exec, s[12:13]
	v_add_co_u32_e32 v5, vcc, 0x6000, v17
	v_addc_co_u32_e32 v6, vcc, 0, v18, vcc
	global_load_dwordx4 v[53:56], v[5:6], off offset:1024
	s_and_saveexec_b64 s[12:13], s[0:1]
	s_cbranch_execz .LBB44_93
; %bb.92:                               ;   in Loop: Header=BB44_40 Depth=1
	v_cmp_gt_i32_e32 vcc, s33, v62
	s_waitcnt vmcnt(0)
	v_cndmask_b32_e32 v53, 0, v53, vcc
	v_cmp_gt_i32_e32 vcc, s33, v61
	v_cndmask_b32_e32 v54, 0, v54, vcc
	v_cmp_gt_i32_e32 vcc, s33, v63
	v_cndmask_b32_e32 v55, 0, v55, vcc
	v_cmp_gt_i32_e32 vcc, s33, v0
	v_cndmask_b32_e32 v56, 0, v56, vcc
.LBB44_93:                              ;   in Loop: Header=BB44_40 Depth=1
	s_or_b64 exec, exec, s[12:13]
	v_add_co_u32_e32 v5, vcc, 0x6000, v17
	v_addc_co_u32_e32 v6, vcc, 0, v18, vcc
	global_load_dwordx4 v[57:60], v[5:6], off offset:2048
	;; [unrolled: 17-line block ×3, first 2 shown]
	s_and_saveexec_b64 s[12:13], s[0:1]
	s_cbranch_execz .LBB44_97
; %bb.96:                               ;   in Loop: Header=BB44_40 Depth=1
	v_cmp_gt_i32_e32 vcc, s33, v62
	s_waitcnt vmcnt(0)
	v_cndmask_b32_e32 v5, 0, v5, vcc
	v_cmp_gt_i32_e32 vcc, s33, v61
	v_cndmask_b32_e32 v6, 0, v6, vcc
	v_cmp_gt_i32_e32 vcc, s33, v63
	;; [unrolled: 2-line block ×3, first 2 shown]
	v_cndmask_b32_e32 v8, 0, v8, vcc
.LBB44_97:                              ;   in Loop: Header=BB44_40 Depth=1
	s_or_b64 exec, exec, s[12:13]
	v_add_co_u32_e32 v9, vcc, 0x7000, v17
	v_addc_co_u32_e32 v10, vcc, 0, v18, vcc
	global_load_dwordx4 v[9:12], v[9:10], off
	s_and_saveexec_b64 s[12:13], s[0:1]
	s_cbranch_execz .LBB44_99
; %bb.98:                               ;   in Loop: Header=BB44_40 Depth=1
	v_cmp_gt_i32_e32 vcc, s33, v62
	s_waitcnt vmcnt(0)
	v_cndmask_b32_e32 v9, 0, v9, vcc
	v_cmp_gt_i32_e32 vcc, s33, v61
	v_cndmask_b32_e32 v10, 0, v10, vcc
	v_cmp_gt_i32_e32 vcc, s33, v63
	;; [unrolled: 2-line block ×3, first 2 shown]
	v_cndmask_b32_e32 v12, 0, v12, vcc
.LBB44_99:                              ;   in Loop: Header=BB44_40 Depth=1
	s_or_b64 exec, exec, s[12:13]
	v_add_co_u32_e32 v13, vcc, 0x7000, v17
	v_addc_co_u32_e32 v14, vcc, 0, v18, vcc
	global_load_dwordx4 v[13:16], v[13:14], off offset:1024
	s_and_saveexec_b64 s[12:13], s[0:1]
	s_cbranch_execz .LBB44_101
; %bb.100:                              ;   in Loop: Header=BB44_40 Depth=1
	v_cmp_gt_i32_e32 vcc, s33, v62
	s_waitcnt vmcnt(0)
	v_cndmask_b32_e32 v13, 0, v13, vcc
	v_cmp_gt_i32_e32 vcc, s33, v61
	v_cndmask_b32_e32 v14, 0, v14, vcc
	v_cmp_gt_i32_e32 vcc, s33, v63
	;; [unrolled: 2-line block ×3, first 2 shown]
	v_cndmask_b32_e32 v16, 0, v16, vcc
.LBB44_101:                             ;   in Loop: Header=BB44_40 Depth=1
	s_or_b64 exec, exec, s[12:13]
	v_add_co_u32_e32 v17, vcc, 0x7000, v17
	v_addc_co_u32_e32 v18, vcc, 0, v18, vcc
	global_load_dwordx4 v[17:20], v[17:18], off offset:2048
	s_and_saveexec_b64 s[12:13], s[0:1]
	s_cbranch_execz .LBB44_103
; %bb.102:                              ;   in Loop: Header=BB44_40 Depth=1
	v_cmp_gt_i32_e32 vcc, s33, v62
	s_waitcnt vmcnt(0)
	v_cndmask_b32_e32 v17, 0, v17, vcc
	v_cmp_gt_i32_e32 vcc, s33, v61
	v_cndmask_b32_e32 v18, 0, v18, vcc
	v_cmp_gt_i32_e32 vcc, s33, v63
	;; [unrolled: 2-line block ×3, first 2 shown]
	v_cndmask_b32_e32 v20, 0, v20, vcc
.LBB44_103:                             ;   in Loop: Header=BB44_40 Depth=1
	s_or_b64 exec, exec, s[12:13]
	buffer_load_dword v51, off, s[52:55], 0 offset:456 ; 4-byte Folded Reload
	s_waitcnt vmcnt(0)
	v_add_co_u32_e32 v49, vcc, v49, v51
	v_addc_co_u32_e32 v50, vcc, 0, v50, vcc
	global_load_dwordx4 v[49:52], v[49:50], off
	s_and_saveexec_b64 s[12:13], s[0:1]
	s_cbranch_execz .LBB44_38
; %bb.104:                              ;   in Loop: Header=BB44_40 Depth=1
	v_cmp_gt_i32_e32 vcc, s33, v62
	s_waitcnt vmcnt(0)
	v_cndmask_b32_e32 v49, 0, v49, vcc
	v_cmp_gt_i32_e32 vcc, s33, v61
	v_cndmask_b32_e32 v50, 0, v50, vcc
	v_cmp_gt_i32_e32 vcc, s33, v63
	;; [unrolled: 2-line block ×3, first 2 shown]
	v_cndmask_b32_e32 v52, 0, v52, vcc
	s_branch .LBB44_38
.LBB44_105:
	s_or_b64 exec, exec, s[4:5]
	buffer_load_dword v3, off, s[52:55], 0 offset:408 ; 4-byte Folded Reload
	buffer_load_dword v2, off, s[52:55], 0 offset:412 ; 4-byte Folded Reload
.LBB44_106:
	s_or_b64 exec, exec, s[2:3]
	buffer_load_dword v33, off, s[52:55], 0 offset:464 ; 4-byte Folded Reload
	buffer_load_dword v4, off, s[52:55], 0 offset:400 ; 4-byte Folded Reload
	v_mov_b32_e32 v19, v6
	buffer_load_dword v6, off, s[52:55], 0 offset:404 ; 4-byte Folded Reload
	buffer_load_dword v36, off, s[52:55], 0 offset:468 ; 4-byte Folded Reload
	;; [unrolled: 1-line block ×9, first 2 shown]
	s_waitcnt vmcnt(12)
	v_mov_b32_e32 v9, v3
	v_mov_b32_e32 v21, v5
	s_waitcnt vmcnt(11)
	v_mov_b32_e32 v5, v2
	v_mov_b32_e32 v22, v18
	buffer_load_dword v23, off, s[52:55], 0 offset:356 ; 4-byte Folded Reload
	buffer_load_dword v24, off, s[52:55], 0 offset:348 ; 4-byte Folded Reload
	;; [unrolled: 1-line block ×9, first 2 shown]
	s_waitcnt vmcnt(19)
	ds_bpermute_b32 v3, v33, v3
	s_waitcnt vmcnt(18)
	ds_bpermute_b32 v0, v33, v4
	ds_bpermute_b32 v2, v33, v2
	;; [unrolled: 1-line block ×3, first 2 shown]
	s_waitcnt lgkmcnt(3)
	v_add_f32_e32 v3, v9, v3
	buffer_load_dword v9, off, s[52:55], 0 offset:392 ; 4-byte Folded Reload
	s_waitcnt vmcnt(18)
	ds_bpermute_b32 v1, v33, v6
	s_waitcnt lgkmcnt(3)
	v_add_f32_e32 v0, v4, v0
	s_waitcnt vmcnt(17)
	ds_bpermute_b32 v4, v36, v0
	s_waitcnt lgkmcnt(3)
	v_add_f32_e32 v2, v5, v2
	;; [unrolled: 4-line block ×3, first 2 shown]
	ds_bpermute_b32 v5, v36, v1
	s_waitcnt lgkmcnt(2)
	v_add_f32_e32 v0, v0, v4
	ds_bpermute_b32 v6, v36, v2
	s_waitcnt vmcnt(11)
	ds_bpermute_b32 v4, v37, v0
	s_waitcnt lgkmcnt(2)
	v_add_f32_e32 v1, v1, v5
	ds_bpermute_b32 v5, v37, v1
	s_waitcnt lgkmcnt(2)
	v_add_f32_e32 v2, v2, v6
	s_waitcnt lgkmcnt(1)
	v_add_f32_e32 v0, v0, v4
	ds_bpermute_b32 v4, v36, v3
	ds_bpermute_b32 v6, v37, v2
	s_waitcnt lgkmcnt(2)
	v_add_f32_e32 v1, v1, v5
	v_add_f32_e32 v5, v8, v7
	ds_bpermute_b32 v7, v36, v5
	s_waitcnt lgkmcnt(2)
	v_add_f32_e32 v3, v3, v4
	s_waitcnt lgkmcnt(1)
	v_add_f32_e32 v2, v2, v6
	ds_bpermute_b32 v6, v37, v3
	s_waitcnt lgkmcnt(1)
	v_add_f32_e32 v5, v5, v7
	s_waitcnt vmcnt(10)
	ds_bpermute_b32 v7, v33, v11
	ds_bpermute_b32 v8, v37, v5
	s_waitcnt lgkmcnt(2)
	v_add_f32_e32 v3, v3, v6
	s_waitcnt lgkmcnt(1)
	v_add_f32_e32 v6, v11, v7
	buffer_load_dword v11, off, s[52:55], 0 offset:384 ; 4-byte Folded Reload
	ds_bpermute_b32 v7, v36, v6
	s_waitcnt lgkmcnt(0)
	v_add_f32_e32 v6, v6, v7
	ds_bpermute_b32 v7, v33, v12
	s_waitcnt lgkmcnt(0)
	v_add_f32_e32 v7, v12, v7
	ds_bpermute_b32 v12, v33, v15
	s_waitcnt vmcnt(1)
	ds_bpermute_b32 v4, v33, v9
	s_waitcnt lgkmcnt(0)
	v_add_f32_e32 v9, v9, v4
	v_add_f32_e32 v4, v5, v8
	ds_bpermute_b32 v10, v36, v9
	s_waitcnt lgkmcnt(0)
	v_add_f32_e32 v5, v9, v10
	ds_bpermute_b32 v9, v37, v5
	ds_bpermute_b32 v10, v37, v6
	s_waitcnt lgkmcnt(1)
	v_add_f32_e32 v5, v5, v9
	ds_bpermute_b32 v9, v36, v7
	s_waitcnt lgkmcnt(1)
	v_add_f32_e32 v6, v6, v10
	;; [unrolled: 3-line block ×4, first 2 shown]
	ds_bpermute_b32 v14, v36, v10
	s_waitcnt vmcnt(0)
	ds_bpermute_b32 v8, v33, v11
	s_waitcnt lgkmcnt(0)
	v_add_f32_e32 v8, v11, v8
	ds_bpermute_b32 v11, v36, v8
	s_waitcnt lgkmcnt(0)
	v_add_f32_e32 v8, v8, v11
	ds_bpermute_b32 v11, v37, v8
	s_waitcnt lgkmcnt(0)
	v_add_f32_e32 v7, v8, v11
	v_add_f32_e32 v11, v15, v12
	ds_bpermute_b32 v12, v36, v11
	buffer_load_dword v15, off, s[52:55], 0 offset:368 ; 4-byte Folded Reload
	v_add_f32_e32 v8, v9, v13
	v_add_f32_e32 v9, v10, v14
	ds_bpermute_b32 v13, v37, v9
	s_waitcnt lgkmcnt(1)
	v_add_f32_e32 v11, v11, v12
	ds_bpermute_b32 v12, v33, v20
	ds_bpermute_b32 v14, v37, v11
	s_waitcnt lgkmcnt(2)
	v_add_f32_e32 v9, v9, v13
	s_waitcnt lgkmcnt(1)
	v_add_f32_e32 v12, v20, v12
	buffer_load_dword v20, off, s[52:55], 0 offset:360 ; 4-byte Folded Reload
	ds_bpermute_b32 v13, v36, v12
	s_waitcnt lgkmcnt(0)
	v_add_f32_e32 v12, v12, v13
	ds_bpermute_b32 v13, v33, v17
	s_waitcnt vmcnt(1)
	ds_bpermute_b32 v10, v33, v15
	s_waitcnt lgkmcnt(0)
	v_add_f32_e32 v15, v15, v10
	v_add_f32_e32 v10, v11, v14
	ds_bpermute_b32 v16, v36, v15
	s_waitcnt vmcnt(0)
	ds_bpermute_b32 v14, v33, v20
	s_waitcnt lgkmcnt(1)
	v_add_f32_e32 v11, v15, v16
	ds_bpermute_b32 v15, v37, v11
	ds_bpermute_b32 v16, v37, v12
	s_waitcnt lgkmcnt(2)
	v_add_f32_e32 v14, v20, v14
	v_mov_b32_e32 v20, v17
	ds_bpermute_b32 v17, v36, v14
	v_add_f32_e32 v13, v20, v13
	s_waitcnt lgkmcnt(2)
	v_add_f32_e32 v11, v11, v15
	ds_bpermute_b32 v15, v36, v13
	s_waitcnt lgkmcnt(2)
	v_add_f32_e32 v12, v12, v16
	s_waitcnt lgkmcnt(1)
	v_add_f32_e32 v14, v14, v17
	ds_bpermute_b32 v17, v37, v14
	ds_bpermute_b32 v16, v33, v19
	s_waitcnt lgkmcnt(2)
	v_add_f32_e32 v15, v13, v15
	v_mov_b32_e32 v20, v19
	ds_bpermute_b32 v19, v37, v15
	s_waitcnt lgkmcnt(2)
	v_add_f32_e32 v13, v14, v17
	v_add_f32_e32 v17, v22, v18
	ds_bpermute_b32 v18, v36, v17
	s_waitcnt lgkmcnt(2)
	v_add_f32_e32 v16, v20, v16
	ds_bpermute_b32 v20, v36, v16
	s_waitcnt lgkmcnt(2)
	v_add_f32_e32 v14, v15, v19
	s_waitcnt lgkmcnt(1)
	v_add_f32_e32 v17, v17, v18
	ds_bpermute_b32 v18, v33, v23
	s_waitcnt lgkmcnt(1)
	v_add_f32_e32 v15, v16, v20
	ds_bpermute_b32 v16, v33, v21
	ds_bpermute_b32 v20, v37, v17
	;; [unrolled: 1-line block ×3, first 2 shown]
	s_waitcnt lgkmcnt(3)
	v_add_f32_e32 v18, v23, v18
	buffer_load_dword v23, off, s[52:55], 0 offset:352 ; 4-byte Folded Reload
	s_waitcnt lgkmcnt(2)
	v_add_f32_e32 v21, v21, v16
	s_waitcnt lgkmcnt(1)
	v_add_f32_e32 v16, v17, v20
	ds_bpermute_b32 v22, v36, v21
	s_waitcnt lgkmcnt(1)
	v_add_f32_e32 v15, v15, v19
	ds_bpermute_b32 v19, v36, v18
	;; [unrolled: 3-line block ×4, first 2 shown]
	ds_bpermute_b32 v22, v37, v18
	s_waitcnt lgkmcnt(2)
	v_add_f32_e32 v17, v17, v21
	s_waitcnt lgkmcnt(1)
	v_add_f32_e32 v19, v24, v19
	ds_bpermute_b32 v21, v36, v19
	ds_bpermute_b32 v24, v33, v27
	s_waitcnt lgkmcnt(2)
	v_add_f32_e32 v18, v18, v22
	s_waitcnt lgkmcnt(1)
	v_add_f32_e32 v21, v19, v21
	ds_bpermute_b32 v25, v37, v21
	s_waitcnt vmcnt(0)
	ds_bpermute_b32 v20, v33, v23
	s_waitcnt lgkmcnt(0)
	v_add_f32_e32 v20, v23, v20
	ds_bpermute_b32 v23, v36, v20
	s_waitcnt lgkmcnt(0)
	v_add_f32_e32 v20, v20, v23
	;; [unrolled: 3-line block ×3, first 2 shown]
	v_add_f32_e32 v23, v27, v24
	ds_bpermute_b32 v24, v36, v23
	buffer_load_dword v27, off, s[52:55], 0 offset:336 ; 4-byte Folded Reload
	ds_bpermute_b32 v22, v33, v26
	v_add_f32_e32 v20, v21, v25
	s_waitcnt lgkmcnt(1)
	v_add_f32_e32 v23, v23, v24
	ds_bpermute_b32 v24, v33, v29
	s_waitcnt lgkmcnt(1)
	v_add_f32_e32 v22, v26, v22
	ds_bpermute_b32 v26, v36, v22
	s_waitcnt lgkmcnt(1)
	v_add_f32_e32 v24, v29, v24
	buffer_load_dword v29, off, s[52:55], 0 offset:328 ; 4-byte Folded Reload
	s_waitcnt lgkmcnt(0)
	v_add_f32_e32 v21, v22, v26
	ds_bpermute_b32 v26, v37, v23
	ds_bpermute_b32 v25, v37, v21
	s_waitcnt lgkmcnt(0)
	v_add_f32_e32 v21, v21, v25
	ds_bpermute_b32 v25, v36, v24
	s_waitcnt lgkmcnt(0)
	v_add_f32_e32 v24, v24, v25
	ds_bpermute_b32 v25, v33, v30
	s_waitcnt lgkmcnt(0)
	v_add_f32_e32 v25, v30, v25
	ds_bpermute_b32 v30, v33, v34
	s_waitcnt vmcnt(1)
	ds_bpermute_b32 v22, v33, v27
	s_waitcnt lgkmcnt(0)
	v_add_f32_e32 v27, v27, v22
	v_add_f32_e32 v22, v23, v26
	ds_bpermute_b32 v28, v36, v27
	s_waitcnt vmcnt(0)
	ds_bpermute_b32 v26, v33, v29
	s_waitcnt lgkmcnt(1)
	v_add_f32_e32 v23, v27, v28
	ds_bpermute_b32 v27, v37, v23
	ds_bpermute_b32 v28, v37, v24
	s_waitcnt lgkmcnt(2)
	v_add_f32_e32 v26, v29, v26
	ds_bpermute_b32 v29, v36, v26
	s_waitcnt lgkmcnt(2)
	v_add_f32_e32 v23, v23, v27
	;; [unrolled: 3-line block ×3, first 2 shown]
	s_waitcnt lgkmcnt(1)
	v_add_f32_e32 v26, v26, v29
	ds_bpermute_b32 v29, v37, v26
	s_waitcnt lgkmcnt(1)
	v_add_f32_e32 v27, v25, v27
	ds_bpermute_b32 v31, v37, v27
	s_waitcnt lgkmcnt(1)
	v_add_f32_e32 v25, v26, v29
	v_add_f32_e32 v29, v34, v30
	buffer_load_dword v34, off, s[52:55], 0 offset:312 ; 4-byte Folded Reload
	ds_bpermute_b32 v28, v33, v32
	ds_bpermute_b32 v30, v36, v29
	s_waitcnt lgkmcnt(2)
	v_add_f32_e32 v26, v27, v31
	s_waitcnt vmcnt(0) lgkmcnt(0)
	s_barrier
	v_add_f32_e32 v28, v32, v28
	ds_bpermute_b32 v32, v36, v28
	v_add_f32_e32 v29, v29, v30
	s_waitcnt lgkmcnt(0)
	ds_bpermute_b32 v30, v33, v35
	v_add_f32_e32 v27, v28, v32
	ds_bpermute_b32 v28, v37, v27
	ds_bpermute_b32 v32, v37, v29
	s_waitcnt lgkmcnt(2)
	v_add_f32_e32 v30, v35, v30
	ds_bpermute_b32 v35, v36, v30
	s_waitcnt lgkmcnt(2)
	v_add_f32_e32 v27, v27, v28
	s_waitcnt lgkmcnt(1)
	v_add_f32_e32 v28, v29, v32
	buffer_load_dword v32, off, s[52:55], 0 offset:440 ; 4-byte Folded Reload
	s_waitcnt lgkmcnt(0)
	v_add_f32_e32 v30, v30, v35
	ds_bpermute_b32 v35, v37, v30
	s_waitcnt lgkmcnt(0)
	v_add_f32_e32 v30, v30, v35
	ds_bpermute_b32 v31, v33, v34
	ds_bpermute_b32 v33, v33, v38
	s_waitcnt lgkmcnt(1)
	v_add_f32_e32 v31, v34, v31
	s_waitcnt lgkmcnt(0)
	v_add_f32_e32 v33, v38, v33
	ds_bpermute_b32 v34, v36, v31
	ds_bpermute_b32 v36, v36, v33
	s_waitcnt lgkmcnt(1)
	v_add_f32_e32 v31, v31, v34
	;; [unrolled: 6-line block ×3, first 2 shown]
	s_waitcnt lgkmcnt(0)
	v_add_f32_e32 v31, v33, v36
	s_waitcnt vmcnt(0)
	v_and_b32_e32 v33, 0x3c7, v32
	v_cmp_eq_u32_e32 vcc, 64, v33
	s_and_saveexec_b64 s[0:1], vcc
	s_cbranch_execz .LBB44_108
; %bb.107:
	buffer_load_dword v32, off, s[52:55], 0 offset:472 ; 4-byte Folded Reload
	s_waitcnt vmcnt(0)
	v_lshrrev_b32_e32 v32, 1, v32
	v_add_u32_e32 v32, 0x410, v32
	ds_write2_b32 v32, v0, v1 offset1:8
	ds_write2_b32 v32, v2, v3 offset0:16 offset1:24
	ds_write2_b32 v32, v4, v5 offset0:32 offset1:40
	;; [unrolled: 1-line block ×15, first 2 shown]
.LBB44_108:
	s_or_b64 exec, exec, s[0:1]
	buffer_load_dword v32, off, s[52:55], 0 offset:440 ; 4-byte Folded Reload
	s_waitcnt vmcnt(0) lgkmcnt(0)
	s_barrier
	v_cmp_gt_u32_e32 vcc, 64, v32
	v_lshrrev_b32_e32 v32, 3, v32
	s_and_saveexec_b64 s[0:1], vcc
	s_cbranch_execz .LBB44_143
; %bb.109:
	buffer_load_dword v34, off, s[52:55], 0 offset:476 ; 4-byte Folded Reload
	s_waitcnt vmcnt(0)
	v_cmp_eq_u32_e32 vcc, 0, v34
	v_mov_b32_e32 v34, 0x410
	v_lshl_add_u32 v34, v32, 2, v34
	s_and_saveexec_b64 s[2:3], vcc
	s_cbranch_execnz .LBB44_146
; %bb.110:
	s_or_b64 exec, exec, s[2:3]
	s_and_saveexec_b64 s[2:3], vcc
	s_cbranch_execnz .LBB44_147
.LBB44_111:
	s_or_b64 exec, exec, s[2:3]
	s_and_saveexec_b64 s[2:3], vcc
	s_cbranch_execnz .LBB44_148
.LBB44_112:
	s_or_b64 exec, exec, s[2:3]
	s_and_saveexec_b64 s[2:3], vcc
	s_cbranch_execnz .LBB44_149
.LBB44_113:
	s_or_b64 exec, exec, s[2:3]
	s_and_saveexec_b64 s[2:3], vcc
	s_cbranch_execnz .LBB44_150
.LBB44_114:
	s_or_b64 exec, exec, s[2:3]
	s_and_saveexec_b64 s[2:3], vcc
	s_cbranch_execnz .LBB44_151
.LBB44_115:
	s_or_b64 exec, exec, s[2:3]
	s_and_saveexec_b64 s[2:3], vcc
	s_cbranch_execnz .LBB44_152
.LBB44_116:
	s_or_b64 exec, exec, s[2:3]
	s_and_saveexec_b64 s[2:3], vcc
	s_cbranch_execnz .LBB44_153
.LBB44_117:
	s_or_b64 exec, exec, s[2:3]
	s_and_saveexec_b64 s[2:3], vcc
	s_cbranch_execnz .LBB44_154
.LBB44_118:
	s_or_b64 exec, exec, s[2:3]
	s_and_saveexec_b64 s[2:3], vcc
	s_cbranch_execnz .LBB44_155
.LBB44_119:
	s_or_b64 exec, exec, s[2:3]
	s_and_saveexec_b64 s[2:3], vcc
	s_cbranch_execnz .LBB44_156
.LBB44_120:
	s_or_b64 exec, exec, s[2:3]
	s_and_saveexec_b64 s[2:3], vcc
	s_cbranch_execnz .LBB44_157
.LBB44_121:
	s_or_b64 exec, exec, s[2:3]
	s_and_saveexec_b64 s[2:3], vcc
	s_cbranch_execnz .LBB44_158
.LBB44_122:
	s_or_b64 exec, exec, s[2:3]
	s_and_saveexec_b64 s[2:3], vcc
	s_cbranch_execnz .LBB44_159
.LBB44_123:
	s_or_b64 exec, exec, s[2:3]
	s_and_saveexec_b64 s[2:3], vcc
	s_cbranch_execnz .LBB44_160
.LBB44_124:
	s_or_b64 exec, exec, s[2:3]
	s_and_saveexec_b64 s[2:3], vcc
	s_cbranch_execnz .LBB44_161
.LBB44_125:
	s_or_b64 exec, exec, s[2:3]
	s_and_saveexec_b64 s[2:3], vcc
	s_cbranch_execnz .LBB44_162
.LBB44_126:
	s_or_b64 exec, exec, s[2:3]
	s_and_saveexec_b64 s[2:3], vcc
	s_cbranch_execnz .LBB44_163
.LBB44_127:
	s_or_b64 exec, exec, s[2:3]
	s_and_saveexec_b64 s[2:3], vcc
	s_cbranch_execnz .LBB44_164
.LBB44_128:
	s_or_b64 exec, exec, s[2:3]
	s_and_saveexec_b64 s[2:3], vcc
	s_cbranch_execnz .LBB44_165
.LBB44_129:
	s_or_b64 exec, exec, s[2:3]
	s_and_saveexec_b64 s[2:3], vcc
	s_cbranch_execnz .LBB44_166
.LBB44_130:
	s_or_b64 exec, exec, s[2:3]
	s_and_saveexec_b64 s[2:3], vcc
	s_cbranch_execnz .LBB44_167
.LBB44_131:
	s_or_b64 exec, exec, s[2:3]
	s_and_saveexec_b64 s[2:3], vcc
	s_cbranch_execnz .LBB44_168
.LBB44_132:
	s_or_b64 exec, exec, s[2:3]
	s_and_saveexec_b64 s[2:3], vcc
	s_cbranch_execnz .LBB44_169
.LBB44_133:
	s_or_b64 exec, exec, s[2:3]
	s_and_saveexec_b64 s[2:3], vcc
	s_cbranch_execnz .LBB44_170
.LBB44_134:
	s_or_b64 exec, exec, s[2:3]
	s_and_saveexec_b64 s[2:3], vcc
	s_cbranch_execnz .LBB44_171
.LBB44_135:
	s_or_b64 exec, exec, s[2:3]
	s_and_saveexec_b64 s[2:3], vcc
	s_cbranch_execnz .LBB44_172
.LBB44_136:
	s_or_b64 exec, exec, s[2:3]
	s_and_saveexec_b64 s[2:3], vcc
	s_cbranch_execnz .LBB44_173
.LBB44_137:
	s_or_b64 exec, exec, s[2:3]
	s_and_saveexec_b64 s[2:3], vcc
	s_cbranch_execnz .LBB44_174
.LBB44_138:
	s_or_b64 exec, exec, s[2:3]
	s_and_saveexec_b64 s[2:3], vcc
	s_cbranch_execnz .LBB44_175
.LBB44_139:
	s_or_b64 exec, exec, s[2:3]
	s_and_saveexec_b64 s[2:3], vcc
	s_cbranch_execnz .LBB44_176
.LBB44_140:
	s_or_b64 exec, exec, s[2:3]
	s_and_saveexec_b64 s[2:3], vcc
	s_cbranch_execz .LBB44_142
.LBB44_141:
	ds_read_b32 v34, v34 offset:992
	s_waitcnt lgkmcnt(0)
	v_add_f32_e32 v31, v31, v34
.LBB44_142:
	s_or_b64 exec, exec, s[2:3]
.LBB44_143:
	s_or_b64 exec, exec, s[0:1]
	v_cmp_eq_u32_e32 vcc, 0, v33
	s_barrier
	s_and_saveexec_b64 s[0:1], vcc
	s_cbranch_execz .LBB44_145
; %bb.144:
	s_mul_i32 s0, s10, s11
	s_mul_i32 s0, s0, s9
	s_lshl_b32 s0, s0, 8
	s_ashr_i32 s1, s0, 31
	s_lshl_b64 s[0:1], s[0:1], 2
	s_add_u32 s2, s22, s0
	s_mul_i32 s0, s11, s20
	s_addc_u32 s3, s23, s1
	s_ashr_i32 s1, s0, 31
	s_lshl_b64 s[0:1], s[0:1], 2
	s_add_u32 s2, s2, s0
	s_addc_u32 s3, s3, s1
	s_lshl_b32 s0, s8, 8
	s_ashr_i32 s1, s0, 31
	s_lshl_b64 s[0:1], s[0:1], 2
	s_add_u32 s0, s2, s0
	s_addc_u32 s1, s3, s1
	v_lshlrev_b32_e32 v32, 2, v32
	global_store_dword v32, v0, s[0:1]
	global_store_dword v32, v1, s[0:1] offset:32
	global_store_dword v32, v2, s[0:1] offset:64
	;; [unrolled: 1-line block ×31, first 2 shown]
.LBB44_145:
	s_endpgm
.LBB44_146:
	ds_read_b32 v35, v34
	s_waitcnt lgkmcnt(0)
	v_add_f32_e32 v0, v0, v35
	s_or_b64 exec, exec, s[2:3]
	s_and_saveexec_b64 s[2:3], vcc
	s_cbranch_execz .LBB44_111
.LBB44_147:
	ds_read_b32 v35, v34 offset:32
	s_waitcnt lgkmcnt(0)
	v_add_f32_e32 v1, v1, v35
	s_or_b64 exec, exec, s[2:3]
	s_and_saveexec_b64 s[2:3], vcc
	s_cbranch_execz .LBB44_112
.LBB44_148:
	ds_read_b32 v35, v34 offset:64
	s_waitcnt lgkmcnt(0)
	v_add_f32_e32 v2, v2, v35
	s_or_b64 exec, exec, s[2:3]
	s_and_saveexec_b64 s[2:3], vcc
	s_cbranch_execz .LBB44_113
.LBB44_149:
	ds_read_b32 v35, v34 offset:96
	s_waitcnt lgkmcnt(0)
	v_add_f32_e32 v3, v3, v35
	s_or_b64 exec, exec, s[2:3]
	s_and_saveexec_b64 s[2:3], vcc
	s_cbranch_execz .LBB44_114
.LBB44_150:
	ds_read_b32 v35, v34 offset:128
	s_waitcnt lgkmcnt(0)
	v_add_f32_e32 v4, v4, v35
	s_or_b64 exec, exec, s[2:3]
	s_and_saveexec_b64 s[2:3], vcc
	s_cbranch_execz .LBB44_115
.LBB44_151:
	ds_read_b32 v35, v34 offset:160
	s_waitcnt lgkmcnt(0)
	v_add_f32_e32 v5, v5, v35
	s_or_b64 exec, exec, s[2:3]
	s_and_saveexec_b64 s[2:3], vcc
	s_cbranch_execz .LBB44_116
.LBB44_152:
	ds_read_b32 v35, v34 offset:192
	s_waitcnt lgkmcnt(0)
	v_add_f32_e32 v6, v6, v35
	s_or_b64 exec, exec, s[2:3]
	s_and_saveexec_b64 s[2:3], vcc
	s_cbranch_execz .LBB44_117
.LBB44_153:
	ds_read_b32 v35, v34 offset:224
	s_waitcnt lgkmcnt(0)
	v_add_f32_e32 v7, v7, v35
	s_or_b64 exec, exec, s[2:3]
	s_and_saveexec_b64 s[2:3], vcc
	s_cbranch_execz .LBB44_118
.LBB44_154:
	ds_read_b32 v35, v34 offset:256
	s_waitcnt lgkmcnt(0)
	v_add_f32_e32 v8, v8, v35
	s_or_b64 exec, exec, s[2:3]
	s_and_saveexec_b64 s[2:3], vcc
	s_cbranch_execz .LBB44_119
.LBB44_155:
	ds_read_b32 v35, v34 offset:288
	s_waitcnt lgkmcnt(0)
	v_add_f32_e32 v9, v9, v35
	s_or_b64 exec, exec, s[2:3]
	s_and_saveexec_b64 s[2:3], vcc
	s_cbranch_execz .LBB44_120
.LBB44_156:
	ds_read_b32 v35, v34 offset:320
	s_waitcnt lgkmcnt(0)
	v_add_f32_e32 v10, v10, v35
	s_or_b64 exec, exec, s[2:3]
	s_and_saveexec_b64 s[2:3], vcc
	s_cbranch_execz .LBB44_121
.LBB44_157:
	ds_read_b32 v35, v34 offset:352
	s_waitcnt lgkmcnt(0)
	v_add_f32_e32 v11, v11, v35
	s_or_b64 exec, exec, s[2:3]
	s_and_saveexec_b64 s[2:3], vcc
	s_cbranch_execz .LBB44_122
.LBB44_158:
	ds_read_b32 v35, v34 offset:384
	s_waitcnt lgkmcnt(0)
	v_add_f32_e32 v12, v12, v35
	s_or_b64 exec, exec, s[2:3]
	s_and_saveexec_b64 s[2:3], vcc
	s_cbranch_execz .LBB44_123
.LBB44_159:
	ds_read_b32 v35, v34 offset:416
	s_waitcnt lgkmcnt(0)
	v_add_f32_e32 v13, v13, v35
	s_or_b64 exec, exec, s[2:3]
	s_and_saveexec_b64 s[2:3], vcc
	s_cbranch_execz .LBB44_124
.LBB44_160:
	ds_read_b32 v35, v34 offset:448
	s_waitcnt lgkmcnt(0)
	v_add_f32_e32 v14, v14, v35
	s_or_b64 exec, exec, s[2:3]
	s_and_saveexec_b64 s[2:3], vcc
	s_cbranch_execz .LBB44_125
.LBB44_161:
	ds_read_b32 v35, v34 offset:480
	s_waitcnt lgkmcnt(0)
	v_add_f32_e32 v15, v15, v35
	s_or_b64 exec, exec, s[2:3]
	s_and_saveexec_b64 s[2:3], vcc
	s_cbranch_execz .LBB44_126
.LBB44_162:
	ds_read_b32 v35, v34 offset:512
	s_waitcnt lgkmcnt(0)
	v_add_f32_e32 v16, v16, v35
	s_or_b64 exec, exec, s[2:3]
	s_and_saveexec_b64 s[2:3], vcc
	s_cbranch_execz .LBB44_127
.LBB44_163:
	ds_read_b32 v35, v34 offset:544
	s_waitcnt lgkmcnt(0)
	v_add_f32_e32 v17, v17, v35
	s_or_b64 exec, exec, s[2:3]
	s_and_saveexec_b64 s[2:3], vcc
	s_cbranch_execz .LBB44_128
.LBB44_164:
	ds_read_b32 v35, v34 offset:576
	s_waitcnt lgkmcnt(0)
	v_add_f32_e32 v18, v18, v35
	s_or_b64 exec, exec, s[2:3]
	s_and_saveexec_b64 s[2:3], vcc
	s_cbranch_execz .LBB44_129
.LBB44_165:
	ds_read_b32 v35, v34 offset:608
	s_waitcnt lgkmcnt(0)
	v_add_f32_e32 v19, v19, v35
	s_or_b64 exec, exec, s[2:3]
	s_and_saveexec_b64 s[2:3], vcc
	s_cbranch_execz .LBB44_130
.LBB44_166:
	ds_read_b32 v35, v34 offset:640
	s_waitcnt lgkmcnt(0)
	v_add_f32_e32 v20, v20, v35
	s_or_b64 exec, exec, s[2:3]
	s_and_saveexec_b64 s[2:3], vcc
	s_cbranch_execz .LBB44_131
.LBB44_167:
	ds_read_b32 v35, v34 offset:672
	s_waitcnt lgkmcnt(0)
	v_add_f32_e32 v21, v21, v35
	s_or_b64 exec, exec, s[2:3]
	s_and_saveexec_b64 s[2:3], vcc
	s_cbranch_execz .LBB44_132
.LBB44_168:
	ds_read_b32 v35, v34 offset:704
	s_waitcnt lgkmcnt(0)
	v_add_f32_e32 v22, v22, v35
	s_or_b64 exec, exec, s[2:3]
	s_and_saveexec_b64 s[2:3], vcc
	s_cbranch_execz .LBB44_133
.LBB44_169:
	ds_read_b32 v35, v34 offset:736
	s_waitcnt lgkmcnt(0)
	v_add_f32_e32 v23, v23, v35
	s_or_b64 exec, exec, s[2:3]
	s_and_saveexec_b64 s[2:3], vcc
	s_cbranch_execz .LBB44_134
.LBB44_170:
	ds_read_b32 v35, v34 offset:768
	s_waitcnt lgkmcnt(0)
	v_add_f32_e32 v24, v24, v35
	s_or_b64 exec, exec, s[2:3]
	s_and_saveexec_b64 s[2:3], vcc
	s_cbranch_execz .LBB44_135
.LBB44_171:
	ds_read_b32 v35, v34 offset:800
	s_waitcnt lgkmcnt(0)
	v_add_f32_e32 v25, v25, v35
	s_or_b64 exec, exec, s[2:3]
	s_and_saveexec_b64 s[2:3], vcc
	s_cbranch_execz .LBB44_136
.LBB44_172:
	ds_read_b32 v35, v34 offset:832
	s_waitcnt lgkmcnt(0)
	v_add_f32_e32 v26, v26, v35
	s_or_b64 exec, exec, s[2:3]
	s_and_saveexec_b64 s[2:3], vcc
	s_cbranch_execz .LBB44_137
.LBB44_173:
	ds_read_b32 v35, v34 offset:864
	s_waitcnt lgkmcnt(0)
	v_add_f32_e32 v27, v27, v35
	s_or_b64 exec, exec, s[2:3]
	s_and_saveexec_b64 s[2:3], vcc
	s_cbranch_execz .LBB44_138
.LBB44_174:
	ds_read_b32 v35, v34 offset:896
	s_waitcnt lgkmcnt(0)
	v_add_f32_e32 v28, v28, v35
	s_or_b64 exec, exec, s[2:3]
	s_and_saveexec_b64 s[2:3], vcc
	s_cbranch_execz .LBB44_139
.LBB44_175:
	ds_read_b32 v35, v34 offset:928
	s_waitcnt lgkmcnt(0)
	v_add_f32_e32 v29, v29, v35
	s_or_b64 exec, exec, s[2:3]
	s_and_saveexec_b64 s[2:3], vcc
	s_cbranch_execz .LBB44_140
.LBB44_176:
	ds_read_b32 v35, v34 offset:960
	s_waitcnt lgkmcnt(0)
	v_add_f32_e32 v30, v30, v35
	s_or_b64 exec, exec, s[2:3]
	s_and_saveexec_b64 s[2:3], vcc
	s_cbranch_execnz .LBB44_141
	s_branch .LBB44_142
	.section	.rodata,"a",@progbits
	.p2align	6, 0x0
	.amdhsa_kernel _ZN4vllm25paged_attention_v1_kernelIffLi256ELi32ELi128ELNS_18Fp8KVCacheDataTypeE0ELb1EEEvPT_PKS2_PKT0_S8_ifPKiSA_iPKfiiiSC_SC_iiiii
		.amdhsa_group_segment_fixed_size 1040
		.amdhsa_private_segment_fixed_size 484
		.amdhsa_kernarg_size 384
		.amdhsa_user_sgpr_count 6
		.amdhsa_user_sgpr_private_segment_buffer 1
		.amdhsa_user_sgpr_dispatch_ptr 0
		.amdhsa_user_sgpr_queue_ptr 0
		.amdhsa_user_sgpr_kernarg_segment_ptr 1
		.amdhsa_user_sgpr_dispatch_id 0
		.amdhsa_user_sgpr_flat_scratch_init 0
		.amdhsa_user_sgpr_private_segment_size 0
		.amdhsa_uses_dynamic_stack 0
		.amdhsa_system_sgpr_private_segment_wavefront_offset 1
		.amdhsa_system_sgpr_workgroup_id_x 1
		.amdhsa_system_sgpr_workgroup_id_y 1
		.amdhsa_system_sgpr_workgroup_id_z 1
		.amdhsa_system_sgpr_workgroup_info 0
		.amdhsa_system_vgpr_workitem_id 0
		.amdhsa_next_free_vgpr 64
		.amdhsa_next_free_sgpr 56
		.amdhsa_reserve_vcc 1
		.amdhsa_reserve_flat_scratch 0
		.amdhsa_float_round_mode_32 0
		.amdhsa_float_round_mode_16_64 0
		.amdhsa_float_denorm_mode_32 3
		.amdhsa_float_denorm_mode_16_64 3
		.amdhsa_dx10_clamp 1
		.amdhsa_ieee_mode 1
		.amdhsa_fp16_overflow 0
		.amdhsa_exception_fp_ieee_invalid_op 0
		.amdhsa_exception_fp_denorm_src 0
		.amdhsa_exception_fp_ieee_div_zero 0
		.amdhsa_exception_fp_ieee_overflow 0
		.amdhsa_exception_fp_ieee_underflow 0
		.amdhsa_exception_fp_ieee_inexact 0
		.amdhsa_exception_int_div_zero 0
	.end_amdhsa_kernel
	.section	.text._ZN4vllm25paged_attention_v1_kernelIffLi256ELi32ELi128ELNS_18Fp8KVCacheDataTypeE0ELb1EEEvPT_PKS2_PKT0_S8_ifPKiSA_iPKfiiiSC_SC_iiiii,"axG",@progbits,_ZN4vllm25paged_attention_v1_kernelIffLi256ELi32ELi128ELNS_18Fp8KVCacheDataTypeE0ELb1EEEvPT_PKS2_PKT0_S8_ifPKiSA_iPKfiiiSC_SC_iiiii,comdat
.Lfunc_end44:
	.size	_ZN4vllm25paged_attention_v1_kernelIffLi256ELi32ELi128ELNS_18Fp8KVCacheDataTypeE0ELb1EEEvPT_PKS2_PKT0_S8_ifPKiSA_iPKfiiiSC_SC_iiiii, .Lfunc_end44-_ZN4vllm25paged_attention_v1_kernelIffLi256ELi32ELi128ELNS_18Fp8KVCacheDataTypeE0ELb1EEEvPT_PKS2_PKT0_S8_ifPKiSA_iPKfiiiSC_SC_iiiii
                                        ; -- End function
	.set _ZN4vllm25paged_attention_v1_kernelIffLi256ELi32ELi128ELNS_18Fp8KVCacheDataTypeE0ELb1EEEvPT_PKS2_PKT0_S8_ifPKiSA_iPKfiiiSC_SC_iiiii.num_vgpr, 64
	.set _ZN4vllm25paged_attention_v1_kernelIffLi256ELi32ELi128ELNS_18Fp8KVCacheDataTypeE0ELb1EEEvPT_PKS2_PKT0_S8_ifPKiSA_iPKfiiiSC_SC_iiiii.num_agpr, 0
	.set _ZN4vllm25paged_attention_v1_kernelIffLi256ELi32ELi128ELNS_18Fp8KVCacheDataTypeE0ELb1EEEvPT_PKS2_PKT0_S8_ifPKiSA_iPKfiiiSC_SC_iiiii.numbered_sgpr, 56
	.set _ZN4vllm25paged_attention_v1_kernelIffLi256ELi32ELi128ELNS_18Fp8KVCacheDataTypeE0ELb1EEEvPT_PKS2_PKT0_S8_ifPKiSA_iPKfiiiSC_SC_iiiii.num_named_barrier, 0
	.set _ZN4vllm25paged_attention_v1_kernelIffLi256ELi32ELi128ELNS_18Fp8KVCacheDataTypeE0ELb1EEEvPT_PKS2_PKT0_S8_ifPKiSA_iPKfiiiSC_SC_iiiii.private_seg_size, 484
	.set _ZN4vllm25paged_attention_v1_kernelIffLi256ELi32ELi128ELNS_18Fp8KVCacheDataTypeE0ELb1EEEvPT_PKS2_PKT0_S8_ifPKiSA_iPKfiiiSC_SC_iiiii.uses_vcc, 1
	.set _ZN4vllm25paged_attention_v1_kernelIffLi256ELi32ELi128ELNS_18Fp8KVCacheDataTypeE0ELb1EEEvPT_PKS2_PKT0_S8_ifPKiSA_iPKfiiiSC_SC_iiiii.uses_flat_scratch, 0
	.set _ZN4vllm25paged_attention_v1_kernelIffLi256ELi32ELi128ELNS_18Fp8KVCacheDataTypeE0ELb1EEEvPT_PKS2_PKT0_S8_ifPKiSA_iPKfiiiSC_SC_iiiii.has_dyn_sized_stack, 0
	.set _ZN4vllm25paged_attention_v1_kernelIffLi256ELi32ELi128ELNS_18Fp8KVCacheDataTypeE0ELb1EEEvPT_PKS2_PKT0_S8_ifPKiSA_iPKfiiiSC_SC_iiiii.has_recursion, 0
	.set _ZN4vllm25paged_attention_v1_kernelIffLi256ELi32ELi128ELNS_18Fp8KVCacheDataTypeE0ELb1EEEvPT_PKS2_PKT0_S8_ifPKiSA_iPKfiiiSC_SC_iiiii.has_indirect_call, 0
	.section	.AMDGPU.csdata,"",@progbits
; Kernel info:
; codeLenInByte = 15840
; TotalNumSgprs: 60
; NumVgprs: 64
; ScratchSize: 484
; MemoryBound: 0
; FloatMode: 240
; IeeeMode: 1
; LDSByteSize: 1040 bytes/workgroup (compile time only)
; SGPRBlocks: 7
; VGPRBlocks: 15
; NumSGPRsForWavesPerEU: 60
; NumVGPRsForWavesPerEU: 64
; Occupancy: 4
; WaveLimiterHint : 1
; COMPUTE_PGM_RSRC2:SCRATCH_EN: 1
; COMPUTE_PGM_RSRC2:USER_SGPR: 6
; COMPUTE_PGM_RSRC2:TRAP_HANDLER: 0
; COMPUTE_PGM_RSRC2:TGID_X_EN: 1
; COMPUTE_PGM_RSRC2:TGID_Y_EN: 1
; COMPUTE_PGM_RSRC2:TGID_Z_EN: 1
; COMPUTE_PGM_RSRC2:TIDIG_COMP_CNT: 0
	.section	.text._ZN4vllm25paged_attention_v1_kernelIffLi32ELi32ELi128ELNS_18Fp8KVCacheDataTypeE0ELb0EEEvPT_PKS2_PKT0_S8_ifPKiSA_iPKfiiiSC_SC_iiiii,"axG",@progbits,_ZN4vllm25paged_attention_v1_kernelIffLi32ELi32ELi128ELNS_18Fp8KVCacheDataTypeE0ELb0EEEvPT_PKS2_PKT0_S8_ifPKiSA_iPKfiiiSC_SC_iiiii,comdat
	.protected	_ZN4vllm25paged_attention_v1_kernelIffLi32ELi32ELi128ELNS_18Fp8KVCacheDataTypeE0ELb0EEEvPT_PKS2_PKT0_S8_ifPKiSA_iPKfiiiSC_SC_iiiii ; -- Begin function _ZN4vllm25paged_attention_v1_kernelIffLi32ELi32ELi128ELNS_18Fp8KVCacheDataTypeE0ELb0EEEvPT_PKS2_PKT0_S8_ifPKiSA_iPKfiiiSC_SC_iiiii
	.globl	_ZN4vllm25paged_attention_v1_kernelIffLi32ELi32ELi128ELNS_18Fp8KVCacheDataTypeE0ELb0EEEvPT_PKS2_PKT0_S8_ifPKiSA_iPKfiiiSC_SC_iiiii
	.p2align	8
	.type	_ZN4vllm25paged_attention_v1_kernelIffLi32ELi32ELi128ELNS_18Fp8KVCacheDataTypeE0ELb0EEEvPT_PKS2_PKT0_S8_ifPKiSA_iPKfiiiSC_SC_iiiii,@function
_ZN4vllm25paged_attention_v1_kernelIffLi32ELi32ELi128ELNS_18Fp8KVCacheDataTypeE0ELb0EEEvPT_PKS2_PKT0_S8_ifPKiSA_iPKfiiiSC_SC_iiiii: ; @_ZN4vllm25paged_attention_v1_kernelIffLi32ELi32ELi128ELNS_18Fp8KVCacheDataTypeE0ELb0EEEvPT_PKS2_PKT0_S8_ifPKiSA_iPKfiiiSC_SC_iiiii
; %bb.0:
	s_load_dword s9, s[4:5], 0x80
	s_load_dwordx2 s[0:1], s[4:5], 0x30
	s_load_dwordx2 s[26:27], s[4:5], 0x20
	s_mov_b32 s10, s7
	s_ashr_i32 s11, s7, 31
	s_lshl_b64 s[2:3], s[10:11], 2
	s_waitcnt lgkmcnt(0)
	s_add_u32 s0, s0, s2
	s_addc_u32 s1, s1, s3
	s_abs_i32 s2, s26
	v_cvt_f32_u32_e32 v1, s2
	s_sub_i32 s11, 0, s2
	s_abs_i32 s7, s9
	s_xor_b32 s3, s9, s26
	v_rcp_iflag_f32_e32 v1, v1
	s_ashr_i32 s3, s3, 31
	s_mov_b32 s26, 0
	v_mul_f32_e32 v1, 0x4f7ffffe, v1
	v_cvt_u32_f32_e32 v1, v1
	v_readfirstlane_b32 s12, v1
	s_mul_i32 s11, s11, s12
	s_mul_hi_u32 s11, s12, s11
	s_add_i32 s12, s12, s11
	s_mul_hi_u32 s11, s7, s12
	s_mul_i32 s12, s11, s2
	s_sub_i32 s7, s7, s12
	s_add_i32 s12, s11, 1
	s_sub_i32 s13, s7, s2
	s_cmp_ge_u32 s7, s2
	s_cselect_b32 s11, s12, s11
	s_cselect_b32 s7, s13, s7
	s_add_i32 s12, s11, 1
	s_cmp_ge_u32 s7, s2
	s_cselect_b32 s2, s12, s11
	s_xor_b32 s2, s2, s3
	s_sub_i32 s12, s2, s3
	s_abs_i32 s11, s12
	v_cvt_f32_u32_e32 v1, s11
	s_load_dwordx2 s[2:3], s[4:5], 0x40
	s_sub_i32 s7, 0, s11
	s_abs_i32 s18, s6
	v_rcp_iflag_f32_e32 v1, v1
	v_mul_f32_e32 v1, 0x4f7ffffe, v1
	v_cvt_u32_f32_e32 v1, v1
	v_readfirstlane_b32 s13, v1
	s_mul_i32 s7, s7, s13
	s_mul_hi_u32 s7, s13, s7
	s_add_i32 s13, s13, s7
	s_waitcnt lgkmcnt(0)
	s_cmp_eq_u64 s[2:3], 0
	s_mul_hi_u32 s19, s18, s13
	s_cbranch_scc1 .LBB45_2
; %bb.1:
	s_ashr_i32 s7, s6, 31
	s_lshl_b64 s[14:15], s[6:7], 2
	s_add_u32 s2, s2, s14
	s_addc_u32 s3, s3, s15
	s_load_dword s26, s[2:3], 0x0
.LBB45_2:
	s_load_dword s33, s[0:1], 0x0
	s_ashr_i32 s3, s12, 31
	s_load_dwordx4 s[12:15], s[4:5], 0x48
	s_ashr_i32 s2, s6, 31
	v_and_b32_e32 v1, 1, v0
	s_lshl_b32 s16, s6, 5
	v_cmp_gt_u32_e32 vcc, 16, v0
	v_lshlrev_b32_e32 v2, 3, v0
	v_lshlrev_b32_e32 v19, 2, v0
	s_and_saveexec_b64 s[0:1], vcc
	s_cbranch_execz .LBB45_4
; %bb.3:
	s_load_dwordx2 s[6:7], s[4:5], 0x8
	s_waitcnt lgkmcnt(0)
	s_mul_i32 s20, s12, s10
	s_ashr_i32 s21, s20, 31
	s_lshl_b64 s[20:21], s[20:21], 2
	v_and_b32_e32 v5, 0xff8, v19
	s_add_u32 s12, s6, s20
	s_addc_u32 s15, s7, s21
	s_ashr_i32 s17, s16, 31
	s_lshl_b64 s[6:7], s[16:17], 2
	s_add_u32 s6, s12, s6
	s_addc_u32 s7, s15, s7
	global_load_dwordx2 v[3:4], v2, s[6:7]
	v_lshl_add_u32 v5, v1, 6, v5
	s_waitcnt vmcnt(0)
	ds_write_b64 v5, v[3:4]
.LBB45_4:
	s_or_b64 exec, exec, s[0:1]
	s_waitcnt lgkmcnt(0)
	s_add_i32 s1, s33, 31
	s_ashr_i32 s6, s1, 31
	s_lshr_b32 s6, s6, 27
	s_add_i32 s1, s1, s6
	s_ashr_i32 s12, s1, 5
	s_xor_b32 s1, s2, s3
	s_mul_i32 s2, s19, s11
	s_sub_i32 s2, s18, s2
	s_add_i32 s3, s19, 1
	s_sub_i32 s6, s2, s11
	s_load_dwordx2 s[20:21], s[4:5], 0x28
	s_load_dword s0, s[4:5], 0x38
	s_cmp_ge_u32 s2, s11
	s_cselect_b32 s3, s3, s19
	s_cselect_b32 s2, s6, s2
	s_add_i32 s6, s3, 1
	s_cmp_ge_u32 s2, s11
	s_cselect_b32 s2, s6, s3
	v_lshrrev_b32_e32 v23, 6, v0
	s_xor_b32 s2, s2, s1
	s_waitcnt lgkmcnt(0)
	s_mul_i32 s22, s0, s10
	s_sub_i32 s15, s2, s1
	s_ashr_i32 s23, s22, 31
	v_cmp_gt_i32_e64 s[0:1], s12, v23
	v_cmp_le_i32_e32 vcc, s12, v23
	v_mbcnt_lo_u32_b32 v3, -1, 0
	s_barrier
                                        ; implicit-def: $vgpr21
                                        ; implicit-def: $vgpr22
                                        ; implicit-def: $vgpr27
	s_and_saveexec_b64 s[2:3], vcc
	s_xor_b64 s[2:3], exec, s[2:3]
; %bb.5:
	v_mbcnt_hi_u32_b32 v21, -1, v3
	v_and_b32_e32 v22, 64, v21
	v_add_u32_e32 v27, 64, v22
                                        ; implicit-def: $vgpr2
                                        ; implicit-def: $vgpr1
                                        ; implicit-def: $vgpr3
; %bb.6:
	s_or_saveexec_b64 s[6:7], s[2:3]
	s_load_dwordx2 s[18:19], s[4:5], 0x0
	s_load_dwordx2 s[24:25], s[4:5], 0x18
	s_load_dword s11, s[4:5], 0x88
	v_mov_b32_e32 v26, 0xff7fffff
	s_mul_i32 s14, s15, s14
	v_lshrrev_b32_e32 v20, 4, v0
	s_xor_b64 exec, exec, s[6:7]
	s_cbranch_execz .LBB45_12
; %bb.7:
	s_load_dwordx2 s[2:3], s[4:5], 0x10
	s_ashr_i32 s15, s14, 31
	s_lshl_b64 s[4:5], s[14:15], 2
	v_bfe_u32 v4, v0, 1, 5
	v_lshlrev_b32_e32 v6, 4, v4
	s_waitcnt lgkmcnt(0)
	s_add_u32 s2, s2, s4
	s_addc_u32 s3, s3, s5
	v_mov_b32_e32 v7, s3
	v_add_co_u32_e32 v6, vcc, s2, v6
	v_addc_co_u32_e32 v7, vcc, 0, v7, vcc
	v_and_b32_e32 v2, 8, v2
	v_mbcnt_hi_u32_b32 v21, -1, v3
	v_add_co_u32_e32 v24, vcc, v6, v2
	v_and_b32_e32 v22, 64, v21
	v_addc_co_u32_e32 v25, vcc, 0, v7, vcc
	v_xor_b32_e32 v2, 1, v21
	v_add_u32_e32 v27, 64, v22
	v_lshlrev_b32_e32 v5, 2, v4
	v_cmp_lt_i32_e32 vcc, v2, v27
	v_lshlrev_b32_e32 v13, 6, v1
	v_cndmask_b32_e32 v2, v21, v2, vcc
	v_cmp_eq_u32_e32 vcc, 0, v1
	v_lshl_or_b32 v1, v23, 7, v5
	v_lshlrev_b32_e32 v28, 2, v2
	v_lshl_or_b32 v29, v23, 5, v4
	v_add_u32_e32 v30, 0x90, v1
	ds_read_b128 v[1:4], v13
	ds_read_b128 v[5:8], v13 offset:16
	ds_read_b128 v[9:12], v13 offset:32
	;; [unrolled: 1-line block ×3, first 2 shown]
	s_sub_i32 s15, 1, s33
	s_lshl_b64 s[4:5], s[22:23], 2
	s_add_u32 s4, s20, s4
	v_and_b32_e32 v17, 60, v20
	s_addc_u32 s5, s21, s5
	v_mov_b32_e32 v18, s5
	v_add_co_u32_e64 v17, s[4:5], s4, v17
	s_mov_b32 s17, s13
	v_cmp_neq_f32_e64 s[2:3], s26, 0
	v_addc_co_u32_e64 v18, s[4:5], 0, v18, s[4:5]
	v_mov_b32_e32 v26, 0xff7fffff
	s_mov_b64 s[28:29], 0
	v_mov_b32_e32 v31, v23
	s_branch .LBB45_9
.LBB45_8:                               ;   in Loop: Header=BB45_9 Depth=1
	s_or_b64 exec, exec, s[30:31]
	v_add_u32_e32 v31, 2, v31
	v_cmp_le_i32_e64 s[4:5], s12, v31
	s_or_b64 s[28:29], s[4:5], s[28:29]
	v_add_co_u32_e64 v17, s[4:5], 8, v17
	v_add_u32_e32 v29, 64, v29
	v_add_u32_e32 v30, 0x100, v30
	v_addc_co_u32_e64 v18, s[4:5], 0, v18, s[4:5]
	s_andn2_b64 exec, exec, s[28:29]
	s_cbranch_execz .LBB45_11
.LBB45_9:                               ; =>This Inner Loop Header: Depth=1
	global_load_dword v32, v[17:18], off
	s_waitcnt vmcnt(0) lgkmcnt(0)
	v_mad_i64_i32 v[32:33], s[4:5], v32, s17, 0
	v_lshlrev_b64 v[32:33], 2, v[32:33]
	v_add_co_u32_e64 v32, s[4:5], v24, v32
	v_addc_co_u32_e64 v33, s[4:5], v25, v33, s[4:5]
	global_load_dwordx2 v[34:35], v[32:33], off offset:512
	global_load_dwordx2 v[36:37], v[32:33], off offset:1024
	;; [unrolled: 1-line block ×3, first 2 shown]
	global_load_dwordx2 v[40:41], v[32:33], off
	global_load_dwordx2 v[42:43], v[32:33], off offset:2048
	global_load_dwordx2 v[44:45], v[32:33], off offset:2560
	;; [unrolled: 1-line block ×3, first 2 shown]
	s_nop 0
	global_load_dwordx2 v[32:33], v[32:33], off offset:3584
	s_waitcnt vmcnt(7) lgkmcnt(3)
	v_mul_f32_e32 v34, v3, v34
	v_mul_f32_e32 v35, v4, v35
	s_waitcnt vmcnt(4)
	v_fmac_f32_e32 v34, v1, v40
	v_fmac_f32_e32 v35, v2, v41
	s_waitcnt lgkmcnt(2)
	v_fmac_f32_e32 v34, v5, v36
	v_fmac_f32_e32 v35, v6, v37
	;; [unrolled: 1-line block ×4, first 2 shown]
	s_waitcnt vmcnt(3) lgkmcnt(1)
	v_fmac_f32_e32 v34, v9, v42
	v_fmac_f32_e32 v35, v10, v43
	s_waitcnt vmcnt(2)
	v_fmac_f32_e32 v34, v11, v44
	v_fmac_f32_e32 v35, v12, v45
	s_waitcnt vmcnt(1) lgkmcnt(0)
	v_fmac_f32_e32 v34, v13, v46
	v_fmac_f32_e32 v35, v14, v47
	s_waitcnt vmcnt(0)
	v_fmac_f32_e32 v34, v15, v32
	v_fmac_f32_e32 v35, v16, v33
	v_add_f32_e32 v32, v34, v35
	ds_bpermute_b32 v33, v28, v32
	s_and_saveexec_b64 s[30:31], vcc
	s_cbranch_execz .LBB45_8
; %bb.10:                               ;   in Loop: Header=BB45_9 Depth=1
	v_add_u32_e32 v34, s15, v29
	v_cvt_f32_i32_e32 v34, v34
	s_waitcnt lgkmcnt(0)
	v_add_f32_e32 v32, v32, v33
	v_cmp_gt_i32_e64 s[4:5], s33, v29
	v_max_f32_e32 v33, v26, v26
	v_mul_f32_e32 v34, s26, v34
	v_cndmask_b32_e64 v34, 0, v34, s[2:3]
	v_fmac_f32_e32 v34, s27, v32
	v_cndmask_b32_e64 v32, 0, v34, s[4:5]
	ds_write_b32 v30, v32
	v_max_f32_e32 v32, v33, v34
	v_cndmask_b32_e64 v26, v26, v32, s[4:5]
	s_branch .LBB45_8
.LBB45_11:
	s_or_b64 exec, exec, s[28:29]
.LBB45_12:
	s_or_b64 exec, exec, s[6:7]
	v_xor_b32_e32 v1, 32, v21
	v_cmp_lt_i32_e32 vcc, v1, v27
	v_cndmask_b32_e32 v1, v21, v1, vcc
	v_lshlrev_b32_e32 v1, 2, v1
	ds_bpermute_b32 v2, v1, v26
	v_xor_b32_e32 v4, 16, v21
	v_max_f32_e32 v3, v26, v26
	v_cmp_lt_i32_e32 vcc, v4, v27
	v_xor_b32_e32 v5, 8, v21
	s_waitcnt lgkmcnt(0)
	v_max_f32_e32 v2, v2, v2
	v_max_f32_e32 v3, v3, v2
	v_cndmask_b32_e32 v2, v21, v4, vcc
	v_lshlrev_b32_e32 v2, 2, v2
	ds_bpermute_b32 v4, v2, v3
	v_cmp_lt_i32_e32 vcc, v5, v27
	v_xor_b32_e32 v6, 4, v21
	v_and_b32_e32 v24, 63, v0
	s_waitcnt lgkmcnt(0)
	v_max_f32_e32 v4, v4, v4
	v_max_f32_e32 v4, v3, v4
	v_cndmask_b32_e32 v3, v21, v5, vcc
	v_lshlrev_b32_e32 v3, 2, v3
	ds_bpermute_b32 v5, v3, v4
	v_cmp_lt_i32_e32 vcc, v6, v27
	s_waitcnt lgkmcnt(0)
	v_max_f32_e32 v5, v5, v5
	v_max_f32_e32 v4, v4, v5
	v_cndmask_b32_e32 v5, v21, v6, vcc
	v_lshlrev_b32_e32 v26, 2, v5
	ds_bpermute_b32 v5, v26, v4
	v_xor_b32_e32 v6, 2, v21
	v_cmp_lt_i32_e32 vcc, v6, v27
	s_waitcnt lgkmcnt(0)
	v_max_f32_e32 v5, v5, v5
	v_max_f32_e32 v5, v4, v5
	v_cndmask_b32_e32 v4, v21, v6, vcc
	v_lshlrev_b32_e32 v25, 2, v4
	ds_bpermute_b32 v6, v25, v5
	v_cmp_eq_u32_e32 vcc, 0, v24
	v_lshlrev_b32_e32 v4, 2, v23
	s_and_saveexec_b64 s[2:3], vcc
	s_cbranch_execz .LBB45_14
; %bb.13:
	s_waitcnt lgkmcnt(0)
	v_max_f32_e32 v6, v6, v6
	v_max_f32_e32 v5, v5, v5
	;; [unrolled: 1-line block ×3, first 2 shown]
	ds_write_b32 v4, v5 offset:128
.LBB45_14:
	s_or_b64 exec, exec, s[2:3]
	v_cmp_gt_u32_e64 s[2:3], 2, v24
	s_waitcnt lgkmcnt(0)
	v_mov_b32_e32 v6, 0xff7fffff
	v_lshlrev_b32_e32 v5, 2, v24
	s_barrier
	s_and_saveexec_b64 s[4:5], s[2:3]
; %bb.15:
	ds_read_b32 v6, v5 offset:128
; %bb.16:
	s_or_b64 exec, exec, s[4:5]
	v_xor_b32_e32 v7, 1, v21
	v_cmp_lt_i32_e64 s[4:5], v7, v27
	v_cndmask_b32_e64 v7, v21, v7, s[4:5]
	v_lshlrev_b32_e32 v27, 2, v7
	s_waitcnt lgkmcnt(0)
	ds_bpermute_b32 v7, v27, v6
	v_max_f32_e32 v6, v6, v6
	s_lshl_b32 s4, s12, 5
	s_min_i32 s15, s4, s33
	v_cmp_gt_i32_e64 s[4:5], s15, v0
	s_waitcnt lgkmcnt(0)
	v_max_f32_e32 v7, v7, v7
	v_max_f32_e32 v6, v6, v7
	v_lshlrev_b32_e32 v7, 2, v22
	ds_bpermute_b32 v7, v7, v6
	v_mov_b32_e32 v6, 0
	s_and_saveexec_b64 s[26:27], s[4:5]
	s_cbranch_execz .LBB45_20
; %bb.17:
	v_mov_b32_e32 v6, 0x90
	v_lshl_add_u32 v8, v0, 2, v6
	v_mov_b32_e32 v6, 0
	s_mov_b64 s[28:29], 0
	v_mov_b32_e32 v9, v0
.LBB45_18:                              ; =>This Inner Loop Header: Depth=1
	ds_read_b32 v10, v8
	v_add_u32_e32 v9, 0x80, v9
	v_cmp_le_i32_e64 s[6:7], s15, v9
	s_or_b64 s[28:29], s[6:7], s[28:29]
	s_waitcnt lgkmcnt(0)
	v_sub_f32_e32 v10, v10, v7
	v_mul_f32_e32 v10, 0x3fb8aa3b, v10
	v_exp_f32_e32 v10, v10
	ds_write_b32 v8, v10
	v_add_f32_e32 v6, v6, v10
	v_add_u32_e32 v8, 0x200, v8
	s_andn2_b64 exec, exec, s[28:29]
	s_cbranch_execnz .LBB45_18
; %bb.19:
	s_or_b64 exec, exec, s[28:29]
.LBB45_20:
	s_or_b64 exec, exec, s[26:27]
	ds_bpermute_b32 v1, v1, v6
	s_waitcnt lgkmcnt(0)
	v_add_f32_e32 v1, v6, v1
	ds_bpermute_b32 v2, v2, v1
	s_waitcnt lgkmcnt(0)
	v_add_f32_e32 v1, v1, v2
	;; [unrolled: 3-line block ×6, first 2 shown]
	s_and_saveexec_b64 s[6:7], vcc
; %bb.21:
	ds_write_b32 v4, v1 offset:136
; %bb.22:
	s_or_b64 exec, exec, s[6:7]
	s_waitcnt lgkmcnt(0)
	s_barrier
	s_and_saveexec_b64 s[6:7], s[2:3]
; %bb.23:
	ds_read_b32 v1, v5 offset:136
; %bb.24:
	s_or_b64 exec, exec, s[6:7]
	s_waitcnt lgkmcnt(0)
	ds_bpermute_b32 v2, v27, v1
	v_lshlrev_b32_e32 v3, 2, v21
	s_waitcnt lgkmcnt(0)
	v_add_f32_e32 v1, v1, v2
	v_and_b32_e32 v2, 0xffffff00, v3
	ds_bpermute_b32 v1, v2, v1
	s_and_saveexec_b64 s[2:3], s[4:5]
	s_cbranch_execz .LBB45_27
; %bb.25:
	s_waitcnt lgkmcnt(0)
	v_add_f32_e32 v2, 0x358637bd, v1
	v_div_scale_f32 v1, s[4:5], v2, v2, 1.0
	v_div_scale_f32 v3, vcc, 1.0, v2, 1.0
	s_mov_b64 s[4:5], 0
	v_rcp_f32_e32 v4, v1
	v_fma_f32 v5, -v1, v4, 1.0
	v_fmac_f32_e32 v4, v5, v4
	v_mul_f32_e32 v5, v3, v4
	v_fma_f32 v6, -v1, v5, v3
	v_fmac_f32_e32 v5, v6, v4
	v_fma_f32 v1, -v1, v5, v3
	v_div_fmas_f32 v3, v1, v4, v5
	v_mov_b32_e32 v1, 0x90
	v_lshl_add_u32 v1, v0, 2, v1
	v_div_fixup_f32 v2, v3, v2, 1.0
	v_mov_b32_e32 v3, v0
.LBB45_26:                              ; =>This Inner Loop Header: Depth=1
	ds_read_b32 v4, v1
	v_add_u32_e32 v3, 0x80, v3
	v_cmp_le_i32_e32 vcc, s15, v3
	s_or_b64 s[4:5], vcc, s[4:5]
	s_waitcnt lgkmcnt(0)
	v_mul_f32_e32 v4, v2, v4
	ds_write_b32 v1, v4
	v_add_u32_e32 v1, 0x200, v1
	s_andn2_b64 exec, exec, s[4:5]
	s_cbranch_execnz .LBB45_26
.LBB45_27:
	s_or_b64 exec, exec, s[2:3]
	v_mov_b32_e32 v31, 0
	v_and_b32_e32 v28, 7, v0
	v_mov_b32_e32 v32, 0
	v_mov_b32_e32 v30, 0
	;; [unrolled: 1-line block ×3, first 2 shown]
	s_waitcnt lgkmcnt(0)
	s_barrier
	s_and_saveexec_b64 s[2:3], s[0:1]
	s_cbranch_execz .LBB45_39
; %bb.28:
	s_ashr_i32 s15, s14, 31
	s_lshl_b64 s[0:1], s[14:15], 2
	v_lshlrev_b32_e32 v2, 4, v0
	s_add_u32 s0, s24, s0
	v_and_b32_e32 v2, 0x3f0, v2
	v_and_b32_e32 v1, 28, v19
	s_addc_u32 s1, s25, s1
	v_add_co_u32_e32 v33, vcc, s0, v2
	v_lshlrev_b32_e32 v2, 5, v23
	s_add_i32 s14, s12, -1
	v_mov_b32_e32 v3, s1
	v_or3_b32 v35, v2, v1, 3
	v_lshlrev_b32_e32 v1, 4, v28
	s_lshl_b64 s[0:1], s[22:23], 2
	v_lshl_or_b32 v1, v23, 7, v1
	s_add_u32 s0, s20, s0
	v_addc_co_u32_e32 v34, vcc, 0, v3, vcc
	v_add_u32_e32 v36, 0x90, v1
	v_and_b32_e32 v1, 60, v20
	s_addc_u32 s1, s21, s1
	v_mov_b32_e32 v2, s1
	v_add_co_u32_e32 v21, vcc, s0, v1
	v_mov_b32_e32 v29, 0
	v_addc_co_u32_e32 v22, vcc, 0, v2, vcc
	s_mov_b64 s[4:5], 0
	v_mov_b32_e32 v30, 0
	v_mov_b32_e32 v32, 0
	;; [unrolled: 1-line block ×3, first 2 shown]
	s_branch .LBB45_30
.LBB45_29:                              ;   in Loop: Header=BB45_30 Depth=1
	s_or_b64 exec, exec, s[0:1]
	s_waitcnt vmcnt(1) lgkmcnt(0)
	v_mul_f32_e32 v13, v1, v13
	v_mul_f32_e32 v9, v1, v9
	;; [unrolled: 1-line block ×3, first 2 shown]
	s_waitcnt vmcnt(0)
	v_mul_f32_e32 v1, v1, v17
	v_fmac_f32_e32 v13, v2, v14
	v_fmac_f32_e32 v9, v2, v10
	;; [unrolled: 1-line block ×4, first 2 shown]
	v_add_u32_e32 v23, 2, v23
	v_fmac_f32_e32 v13, v3, v15
	v_fmac_f32_e32 v9, v3, v11
	;; [unrolled: 1-line block ×4, first 2 shown]
	v_cmp_le_i32_e32 vcc, s12, v23
	v_fmac_f32_e32 v13, v4, v16
	v_fmac_f32_e32 v9, v4, v12
	;; [unrolled: 1-line block ×4, first 2 shown]
	s_or_b64 s[4:5], vcc, s[4:5]
	v_add_co_u32_e32 v21, vcc, 8, v21
	v_add_f32_e32 v30, v30, v13
	v_add_f32_e32 v32, v32, v9
	;; [unrolled: 1-line block ×4, first 2 shown]
	v_add_u32_e32 v35, 64, v35
	v_add_u32_e32 v36, 0x100, v36
	v_addc_co_u32_e32 v22, vcc, 0, v22, vcc
	s_andn2_b64 exec, exec, s[4:5]
	s_cbranch_execz .LBB45_38
.LBB45_30:                              ; =>This Inner Loop Header: Depth=1
	global_load_dword v1, v[21:22], off
	v_add_u32_e32 v37, -3, v35
	v_add_u32_e32 v39, -2, v35
	;; [unrolled: 1-line block ×3, first 2 shown]
	s_waitcnt vmcnt(0)
	v_mad_i64_i32 v[1:2], s[0:1], v1, s13, 0
	v_lshlrev_b64 v[1:2], 2, v[1:2]
	v_add_co_u32_e32 v17, vcc, v33, v1
	v_addc_co_u32_e32 v18, vcc, v34, v2, vcc
	global_load_dwordx4 v[5:8], v[17:18], off
	ds_read_b128 v[1:4], v36
	v_cmp_eq_u32_e32 vcc, s14, v23
	s_and_saveexec_b64 s[6:7], vcc
	s_cbranch_execnz .LBB45_34
; %bb.31:                               ;   in Loop: Header=BB45_30 Depth=1
	s_or_b64 exec, exec, s[6:7]
	global_load_dwordx4 v[9:12], v[17:18], off offset:1024
	s_and_saveexec_b64 s[6:7], vcc
	s_cbranch_execnz .LBB45_35
.LBB45_32:                              ;   in Loop: Header=BB45_30 Depth=1
	s_or_b64 exec, exec, s[6:7]
	global_load_dwordx4 v[13:16], v[17:18], off offset:2048
	s_and_saveexec_b64 s[6:7], vcc
	s_cbranch_execnz .LBB45_36
.LBB45_33:                              ;   in Loop: Header=BB45_30 Depth=1
	s_or_b64 exec, exec, s[6:7]
	global_load_dwordx4 v[17:20], v[17:18], off offset:3072
	s_and_saveexec_b64 s[0:1], vcc
	s_cbranch_execz .LBB45_29
	s_branch .LBB45_37
.LBB45_34:                              ;   in Loop: Header=BB45_30 Depth=1
	v_cmp_gt_i32_e64 s[0:1], s33, v37
	s_waitcnt vmcnt(0)
	v_cndmask_b32_e64 v5, 0, v5, s[0:1]
	v_cmp_gt_i32_e64 s[0:1], s33, v39
	v_cndmask_b32_e64 v6, 0, v6, s[0:1]
	v_cmp_gt_i32_e64 s[0:1], s33, v38
	;; [unrolled: 2-line block ×3, first 2 shown]
	v_cndmask_b32_e64 v8, 0, v8, s[0:1]
	s_or_b64 exec, exec, s[6:7]
	global_load_dwordx4 v[9:12], v[17:18], off offset:1024
	s_and_saveexec_b64 s[6:7], vcc
	s_cbranch_execz .LBB45_32
.LBB45_35:                              ;   in Loop: Header=BB45_30 Depth=1
	v_cmp_gt_i32_e64 s[0:1], s33, v37
	s_waitcnt vmcnt(0)
	v_cndmask_b32_e64 v9, 0, v9, s[0:1]
	v_cmp_gt_i32_e64 s[0:1], s33, v39
	v_cndmask_b32_e64 v10, 0, v10, s[0:1]
	v_cmp_gt_i32_e64 s[0:1], s33, v38
	;; [unrolled: 2-line block ×3, first 2 shown]
	v_cndmask_b32_e64 v12, 0, v12, s[0:1]
	s_or_b64 exec, exec, s[6:7]
	global_load_dwordx4 v[13:16], v[17:18], off offset:2048
	s_and_saveexec_b64 s[6:7], vcc
	s_cbranch_execz .LBB45_33
.LBB45_36:                              ;   in Loop: Header=BB45_30 Depth=1
	v_cmp_gt_i32_e64 s[0:1], s33, v37
	s_waitcnt vmcnt(0)
	v_cndmask_b32_e64 v13, 0, v13, s[0:1]
	v_cmp_gt_i32_e64 s[0:1], s33, v39
	v_cndmask_b32_e64 v14, 0, v14, s[0:1]
	v_cmp_gt_i32_e64 s[0:1], s33, v38
	;; [unrolled: 2-line block ×3, first 2 shown]
	v_cndmask_b32_e64 v16, 0, v16, s[0:1]
	s_or_b64 exec, exec, s[6:7]
	global_load_dwordx4 v[17:20], v[17:18], off offset:3072
	s_and_saveexec_b64 s[0:1], vcc
	s_cbranch_execz .LBB45_29
.LBB45_37:                              ;   in Loop: Header=BB45_30 Depth=1
	v_cmp_gt_i32_e32 vcc, s33, v37
	s_waitcnt vmcnt(0)
	v_cndmask_b32_e32 v17, 0, v17, vcc
	v_cmp_gt_i32_e32 vcc, s33, v39
	v_cndmask_b32_e32 v18, 0, v18, vcc
	v_cmp_gt_i32_e32 vcc, s33, v38
	;; [unrolled: 2-line block ×3, first 2 shown]
	v_cndmask_b32_e32 v20, 0, v20, vcc
	s_branch .LBB45_29
.LBB45_38:
	s_or_b64 exec, exec, s[4:5]
.LBB45_39:
	s_or_b64 exec, exec, s[2:3]
	ds_bpermute_b32 v1, v26, v31
	ds_bpermute_b32 v2, v26, v32
	;; [unrolled: 1-line block ×4, first 2 shown]
	s_waitcnt lgkmcnt(0)
	v_add_f32_e32 v1, v31, v1
	v_add_f32_e32 v2, v32, v2
	ds_bpermute_b32 v5, v25, v1
	v_add_f32_e32 v3, v30, v3
	v_add_f32_e32 v4, v29, v4
	ds_bpermute_b32 v6, v25, v2
	ds_bpermute_b32 v7, v25, v3
	;; [unrolled: 1-line block ×3, first 2 shown]
	s_waitcnt lgkmcnt(3)
	v_add_f32_e32 v1, v1, v5
	ds_bpermute_b32 v5, v27, v1
	s_waitcnt lgkmcnt(3)
	v_add_f32_e32 v2, v2, v6
	s_waitcnt lgkmcnt(2)
	v_add_f32_e32 v3, v3, v7
	;; [unrolled: 2-line block ×3, first 2 shown]
	ds_bpermute_b32 v6, v27, v2
	ds_bpermute_b32 v7, v27, v3
	;; [unrolled: 1-line block ×3, first 2 shown]
	s_waitcnt lgkmcnt(3)
	v_add_f32_e32 v1, v1, v5
	v_and_b32_e32 v5, 0x3c7, v0
	s_waitcnt lgkmcnt(2)
	v_add_f32_e32 v2, v2, v6
	s_waitcnt lgkmcnt(1)
	v_add_f32_e32 v3, v3, v7
	;; [unrolled: 2-line block ×3, first 2 shown]
	v_cmp_eq_u32_e32 vcc, 64, v5
	s_barrier
	s_and_saveexec_b64 s[0:1], vcc
	s_cbranch_execz .LBB45_41
; %bb.40:
	v_lshrrev_b32_e32 v6, 1, v24
	v_add_u32_e32 v6, 0x90, v6
	ds_write2_b32 v6, v1, v2 offset1:8
	ds_write2_b32 v6, v3, v4 offset0:16 offset1:24
.LBB45_41:
	s_or_b64 exec, exec, s[0:1]
	v_cmp_gt_u32_e32 vcc, 64, v0
	v_lshrrev_b32_e32 v0, 3, v0
	s_waitcnt lgkmcnt(0)
	s_barrier
	s_and_saveexec_b64 s[0:1], vcc
	s_cbranch_execz .LBB45_48
; %bb.42:
	v_mov_b32_e32 v6, 0x90
	v_cmp_eq_u32_e32 vcc, 0, v28
	v_lshl_add_u32 v6, v0, 2, v6
	s_and_saveexec_b64 s[2:3], vcc
	s_cbranch_execnz .LBB45_51
; %bb.43:
	s_or_b64 exec, exec, s[2:3]
	s_and_saveexec_b64 s[2:3], vcc
	s_cbranch_execnz .LBB45_52
.LBB45_44:
	s_or_b64 exec, exec, s[2:3]
	s_and_saveexec_b64 s[2:3], vcc
	s_cbranch_execnz .LBB45_53
.LBB45_45:
	s_or_b64 exec, exec, s[2:3]
	s_and_saveexec_b64 s[2:3], vcc
	s_cbranch_execz .LBB45_47
.LBB45_46:
	ds_read_b32 v6, v6 offset:96
	s_waitcnt lgkmcnt(0)
	v_add_f32_e32 v4, v4, v6
.LBB45_47:
	s_or_b64 exec, exec, s[2:3]
.LBB45_48:
	s_or_b64 exec, exec, s[0:1]
	v_cmp_eq_u32_e32 vcc, 0, v5
	s_barrier
	s_and_saveexec_b64 s[0:1], vcc
	s_cbranch_execz .LBB45_50
; %bb.49:
	s_mul_i32 s0, s10, s11
	s_mul_i32 s0, s0, s9
	s_lshl_b32 s0, s0, 5
	s_ashr_i32 s1, s0, 31
	s_lshl_b64 s[0:1], s[0:1], 2
	s_add_u32 s2, s18, s0
	s_mul_i32 s0, s11, s16
	s_addc_u32 s3, s19, s1
	s_ashr_i32 s1, s0, 31
	s_lshl_b64 s[0:1], s[0:1], 2
	s_add_u32 s2, s2, s0
	s_addc_u32 s3, s3, s1
	s_lshl_b32 s0, s8, 5
	s_ashr_i32 s1, s0, 31
	s_lshl_b64 s[0:1], s[0:1], 2
	s_add_u32 s0, s2, s0
	s_addc_u32 s1, s3, s1
	v_lshlrev_b32_e32 v0, 2, v0
	global_store_dword v0, v1, s[0:1]
	global_store_dword v0, v2, s[0:1] offset:32
	global_store_dword v0, v3, s[0:1] offset:64
	;; [unrolled: 1-line block ×3, first 2 shown]
.LBB45_50:
	s_endpgm
.LBB45_51:
	ds_read_b32 v7, v6
	s_waitcnt lgkmcnt(0)
	v_add_f32_e32 v1, v1, v7
	s_or_b64 exec, exec, s[2:3]
	s_and_saveexec_b64 s[2:3], vcc
	s_cbranch_execz .LBB45_44
.LBB45_52:
	ds_read_b32 v7, v6 offset:32
	s_waitcnt lgkmcnt(0)
	v_add_f32_e32 v2, v2, v7
	s_or_b64 exec, exec, s[2:3]
	s_and_saveexec_b64 s[2:3], vcc
	s_cbranch_execz .LBB45_45
.LBB45_53:
	ds_read_b32 v7, v6 offset:64
	s_waitcnt lgkmcnt(0)
	v_add_f32_e32 v3, v3, v7
	s_or_b64 exec, exec, s[2:3]
	s_and_saveexec_b64 s[2:3], vcc
	s_cbranch_execnz .LBB45_46
	s_branch .LBB45_47
	.section	.rodata,"a",@progbits
	.p2align	6, 0x0
	.amdhsa_kernel _ZN4vllm25paged_attention_v1_kernelIffLi32ELi32ELi128ELNS_18Fp8KVCacheDataTypeE0ELb0EEEvPT_PKS2_PKT0_S8_ifPKiSA_iPKfiiiSC_SC_iiiii
		.amdhsa_group_segment_fixed_size 144
		.amdhsa_private_segment_fixed_size 0
		.amdhsa_kernarg_size 384
		.amdhsa_user_sgpr_count 6
		.amdhsa_user_sgpr_private_segment_buffer 1
		.amdhsa_user_sgpr_dispatch_ptr 0
		.amdhsa_user_sgpr_queue_ptr 0
		.amdhsa_user_sgpr_kernarg_segment_ptr 1
		.amdhsa_user_sgpr_dispatch_id 0
		.amdhsa_user_sgpr_flat_scratch_init 0
		.amdhsa_user_sgpr_private_segment_size 0
		.amdhsa_uses_dynamic_stack 0
		.amdhsa_system_sgpr_private_segment_wavefront_offset 0
		.amdhsa_system_sgpr_workgroup_id_x 1
		.amdhsa_system_sgpr_workgroup_id_y 1
		.amdhsa_system_sgpr_workgroup_id_z 1
		.amdhsa_system_sgpr_workgroup_info 0
		.amdhsa_system_vgpr_workitem_id 0
		.amdhsa_next_free_vgpr 48
		.amdhsa_next_free_sgpr 34
		.amdhsa_reserve_vcc 1
		.amdhsa_reserve_flat_scratch 0
		.amdhsa_float_round_mode_32 0
		.amdhsa_float_round_mode_16_64 0
		.amdhsa_float_denorm_mode_32 3
		.amdhsa_float_denorm_mode_16_64 3
		.amdhsa_dx10_clamp 1
		.amdhsa_ieee_mode 1
		.amdhsa_fp16_overflow 0
		.amdhsa_exception_fp_ieee_invalid_op 0
		.amdhsa_exception_fp_denorm_src 0
		.amdhsa_exception_fp_ieee_div_zero 0
		.amdhsa_exception_fp_ieee_overflow 0
		.amdhsa_exception_fp_ieee_underflow 0
		.amdhsa_exception_fp_ieee_inexact 0
		.amdhsa_exception_int_div_zero 0
	.end_amdhsa_kernel
	.section	.text._ZN4vllm25paged_attention_v1_kernelIffLi32ELi32ELi128ELNS_18Fp8KVCacheDataTypeE0ELb0EEEvPT_PKS2_PKT0_S8_ifPKiSA_iPKfiiiSC_SC_iiiii,"axG",@progbits,_ZN4vllm25paged_attention_v1_kernelIffLi32ELi32ELi128ELNS_18Fp8KVCacheDataTypeE0ELb0EEEvPT_PKS2_PKT0_S8_ifPKiSA_iPKfiiiSC_SC_iiiii,comdat
.Lfunc_end45:
	.size	_ZN4vllm25paged_attention_v1_kernelIffLi32ELi32ELi128ELNS_18Fp8KVCacheDataTypeE0ELb0EEEvPT_PKS2_PKT0_S8_ifPKiSA_iPKfiiiSC_SC_iiiii, .Lfunc_end45-_ZN4vllm25paged_attention_v1_kernelIffLi32ELi32ELi128ELNS_18Fp8KVCacheDataTypeE0ELb0EEEvPT_PKS2_PKT0_S8_ifPKiSA_iPKfiiiSC_SC_iiiii
                                        ; -- End function
	.set _ZN4vllm25paged_attention_v1_kernelIffLi32ELi32ELi128ELNS_18Fp8KVCacheDataTypeE0ELb0EEEvPT_PKS2_PKT0_S8_ifPKiSA_iPKfiiiSC_SC_iiiii.num_vgpr, 48
	.set _ZN4vllm25paged_attention_v1_kernelIffLi32ELi32ELi128ELNS_18Fp8KVCacheDataTypeE0ELb0EEEvPT_PKS2_PKT0_S8_ifPKiSA_iPKfiiiSC_SC_iiiii.num_agpr, 0
	.set _ZN4vllm25paged_attention_v1_kernelIffLi32ELi32ELi128ELNS_18Fp8KVCacheDataTypeE0ELb0EEEvPT_PKS2_PKT0_S8_ifPKiSA_iPKfiiiSC_SC_iiiii.numbered_sgpr, 34
	.set _ZN4vllm25paged_attention_v1_kernelIffLi32ELi32ELi128ELNS_18Fp8KVCacheDataTypeE0ELb0EEEvPT_PKS2_PKT0_S8_ifPKiSA_iPKfiiiSC_SC_iiiii.num_named_barrier, 0
	.set _ZN4vllm25paged_attention_v1_kernelIffLi32ELi32ELi128ELNS_18Fp8KVCacheDataTypeE0ELb0EEEvPT_PKS2_PKT0_S8_ifPKiSA_iPKfiiiSC_SC_iiiii.private_seg_size, 0
	.set _ZN4vllm25paged_attention_v1_kernelIffLi32ELi32ELi128ELNS_18Fp8KVCacheDataTypeE0ELb0EEEvPT_PKS2_PKT0_S8_ifPKiSA_iPKfiiiSC_SC_iiiii.uses_vcc, 1
	.set _ZN4vllm25paged_attention_v1_kernelIffLi32ELi32ELi128ELNS_18Fp8KVCacheDataTypeE0ELb0EEEvPT_PKS2_PKT0_S8_ifPKiSA_iPKfiiiSC_SC_iiiii.uses_flat_scratch, 0
	.set _ZN4vllm25paged_attention_v1_kernelIffLi32ELi32ELi128ELNS_18Fp8KVCacheDataTypeE0ELb0EEEvPT_PKS2_PKT0_S8_ifPKiSA_iPKfiiiSC_SC_iiiii.has_dyn_sized_stack, 0
	.set _ZN4vllm25paged_attention_v1_kernelIffLi32ELi32ELi128ELNS_18Fp8KVCacheDataTypeE0ELb0EEEvPT_PKS2_PKT0_S8_ifPKiSA_iPKfiiiSC_SC_iiiii.has_recursion, 0
	.set _ZN4vllm25paged_attention_v1_kernelIffLi32ELi32ELi128ELNS_18Fp8KVCacheDataTypeE0ELb0EEEvPT_PKS2_PKT0_S8_ifPKiSA_iPKfiiiSC_SC_iiiii.has_indirect_call, 0
	.section	.AMDGPU.csdata,"",@progbits
; Kernel info:
; codeLenInByte = 3336
; TotalNumSgprs: 38
; NumVgprs: 48
; ScratchSize: 0
; MemoryBound: 0
; FloatMode: 240
; IeeeMode: 1
; LDSByteSize: 144 bytes/workgroup (compile time only)
; SGPRBlocks: 4
; VGPRBlocks: 11
; NumSGPRsForWavesPerEU: 38
; NumVGPRsForWavesPerEU: 48
; Occupancy: 5
; WaveLimiterHint : 1
; COMPUTE_PGM_RSRC2:SCRATCH_EN: 0
; COMPUTE_PGM_RSRC2:USER_SGPR: 6
; COMPUTE_PGM_RSRC2:TRAP_HANDLER: 0
; COMPUTE_PGM_RSRC2:TGID_X_EN: 1
; COMPUTE_PGM_RSRC2:TGID_Y_EN: 1
; COMPUTE_PGM_RSRC2:TGID_Z_EN: 1
; COMPUTE_PGM_RSRC2:TIDIG_COMP_CNT: 0
	.section	.text._ZN4vllm25paged_attention_v1_kernelIffLi64ELi32ELi128ELNS_18Fp8KVCacheDataTypeE0ELb0EEEvPT_PKS2_PKT0_S8_ifPKiSA_iPKfiiiSC_SC_iiiii,"axG",@progbits,_ZN4vllm25paged_attention_v1_kernelIffLi64ELi32ELi128ELNS_18Fp8KVCacheDataTypeE0ELb0EEEvPT_PKS2_PKT0_S8_ifPKiSA_iPKfiiiSC_SC_iiiii,comdat
	.protected	_ZN4vllm25paged_attention_v1_kernelIffLi64ELi32ELi128ELNS_18Fp8KVCacheDataTypeE0ELb0EEEvPT_PKS2_PKT0_S8_ifPKiSA_iPKfiiiSC_SC_iiiii ; -- Begin function _ZN4vllm25paged_attention_v1_kernelIffLi64ELi32ELi128ELNS_18Fp8KVCacheDataTypeE0ELb0EEEvPT_PKS2_PKT0_S8_ifPKiSA_iPKfiiiSC_SC_iiiii
	.globl	_ZN4vllm25paged_attention_v1_kernelIffLi64ELi32ELi128ELNS_18Fp8KVCacheDataTypeE0ELb0EEEvPT_PKS2_PKT0_S8_ifPKiSA_iPKfiiiSC_SC_iiiii
	.p2align	8
	.type	_ZN4vllm25paged_attention_v1_kernelIffLi64ELi32ELi128ELNS_18Fp8KVCacheDataTypeE0ELb0EEEvPT_PKS2_PKT0_S8_ifPKiSA_iPKfiiiSC_SC_iiiii,@function
_ZN4vllm25paged_attention_v1_kernelIffLi64ELi32ELi128ELNS_18Fp8KVCacheDataTypeE0ELb0EEEvPT_PKS2_PKT0_S8_ifPKiSA_iPKfiiiSC_SC_iiiii: ; @_ZN4vllm25paged_attention_v1_kernelIffLi64ELi32ELi128ELNS_18Fp8KVCacheDataTypeE0ELb0EEEvPT_PKS2_PKT0_S8_ifPKiSA_iPKfiiiSC_SC_iiiii
; %bb.0:
	s_load_dword s9, s[4:5], 0x80
	s_load_dwordx2 s[0:1], s[4:5], 0x30
	s_load_dwordx2 s[26:27], s[4:5], 0x20
	s_mov_b32 s10, s7
	s_ashr_i32 s11, s7, 31
	s_lshl_b64 s[2:3], s[10:11], 2
	s_waitcnt lgkmcnt(0)
	s_add_u32 s0, s0, s2
	s_addc_u32 s1, s1, s3
	s_abs_i32 s2, s26
	v_cvt_f32_u32_e32 v1, s2
	s_sub_i32 s11, 0, s2
	s_abs_i32 s7, s9
	s_xor_b32 s3, s9, s26
	v_rcp_iflag_f32_e32 v1, v1
	s_ashr_i32 s3, s3, 31
	s_mov_b32 s26, 0
	v_mul_f32_e32 v1, 0x4f7ffffe, v1
	v_cvt_u32_f32_e32 v1, v1
	v_readfirstlane_b32 s12, v1
	s_mul_i32 s11, s11, s12
	s_mul_hi_u32 s11, s12, s11
	s_add_i32 s12, s12, s11
	s_mul_hi_u32 s11, s7, s12
	s_mul_i32 s12, s11, s2
	s_sub_i32 s7, s7, s12
	s_add_i32 s12, s11, 1
	s_sub_i32 s13, s7, s2
	s_cmp_ge_u32 s7, s2
	s_cselect_b32 s11, s12, s11
	s_cselect_b32 s7, s13, s7
	s_add_i32 s12, s11, 1
	s_cmp_ge_u32 s7, s2
	s_cselect_b32 s2, s12, s11
	s_xor_b32 s2, s2, s3
	s_sub_i32 s12, s2, s3
	s_abs_i32 s11, s12
	v_cvt_f32_u32_e32 v1, s11
	s_load_dwordx2 s[2:3], s[4:5], 0x40
	s_sub_i32 s7, 0, s11
	s_abs_i32 s18, s6
	v_rcp_iflag_f32_e32 v1, v1
	v_mul_f32_e32 v1, 0x4f7ffffe, v1
	v_cvt_u32_f32_e32 v1, v1
	v_readfirstlane_b32 s13, v1
	s_mul_i32 s7, s7, s13
	s_mul_hi_u32 s7, s13, s7
	s_add_i32 s13, s13, s7
	s_waitcnt lgkmcnt(0)
	s_cmp_eq_u64 s[2:3], 0
	s_mul_hi_u32 s19, s18, s13
	s_cbranch_scc1 .LBB46_2
; %bb.1:
	s_ashr_i32 s7, s6, 31
	s_lshl_b64 s[14:15], s[6:7], 2
	s_add_u32 s2, s2, s14
	s_addc_u32 s3, s3, s15
	s_load_dword s26, s[2:3], 0x0
.LBB46_2:
	s_load_dword s33, s[0:1], 0x0
	s_ashr_i32 s3, s12, 31
	s_load_dwordx4 s[12:15], s[4:5], 0x48
	s_ashr_i32 s2, s6, 31
	v_and_b32_e32 v1, 1, v0
	s_lshl_b32 s16, s6, 6
	v_cmp_gt_u32_e32 vcc, 32, v0
	v_lshlrev_b32_e32 v2, 3, v0
	v_lshlrev_b32_e32 v35, 2, v0
	s_and_saveexec_b64 s[0:1], vcc
	s_cbranch_execz .LBB46_4
; %bb.3:
	s_load_dwordx2 s[6:7], s[4:5], 0x8
	s_waitcnt lgkmcnt(0)
	s_mul_i32 s20, s12, s10
	s_ashr_i32 s21, s20, 31
	s_lshl_b64 s[20:21], s[20:21], 2
	v_and_b32_e32 v5, 0xff8, v35
	s_add_u32 s12, s6, s20
	s_addc_u32 s15, s7, s21
	s_ashr_i32 s17, s16, 31
	s_lshl_b64 s[6:7], s[16:17], 2
	s_add_u32 s6, s12, s6
	s_addc_u32 s7, s15, s7
	global_load_dwordx2 v[3:4], v2, s[6:7]
	v_lshl_add_u32 v5, v1, 7, v5
	s_waitcnt vmcnt(0)
	ds_write_b64 v5, v[3:4]
.LBB46_4:
	s_or_b64 exec, exec, s[0:1]
	s_waitcnt lgkmcnt(0)
	s_add_i32 s1, s33, 31
	s_ashr_i32 s6, s1, 31
	s_lshr_b32 s6, s6, 27
	s_add_i32 s1, s1, s6
	s_ashr_i32 s12, s1, 5
	s_xor_b32 s1, s2, s3
	s_mul_i32 s2, s19, s11
	s_sub_i32 s2, s18, s2
	s_add_i32 s3, s19, 1
	s_sub_i32 s6, s2, s11
	s_load_dwordx2 s[20:21], s[4:5], 0x28
	s_load_dword s0, s[4:5], 0x38
	s_cmp_ge_u32 s2, s11
	s_cselect_b32 s3, s3, s19
	s_cselect_b32 s2, s6, s2
	s_add_i32 s6, s3, 1
	s_cmp_ge_u32 s2, s11
	s_cselect_b32 s2, s6, s3
	v_lshrrev_b32_e32 v39, 6, v0
	s_xor_b32 s2, s2, s1
	s_waitcnt lgkmcnt(0)
	s_mul_i32 s22, s0, s10
	s_sub_i32 s15, s2, s1
	s_ashr_i32 s23, s22, 31
	v_cmp_gt_i32_e64 s[0:1], s12, v39
	v_cmp_le_i32_e32 vcc, s12, v39
	v_mbcnt_lo_u32_b32 v3, -1, 0
	s_barrier
                                        ; implicit-def: $vgpr37
                                        ; implicit-def: $vgpr38
                                        ; implicit-def: $vgpr43
	s_and_saveexec_b64 s[2:3], vcc
	s_xor_b64 s[2:3], exec, s[2:3]
; %bb.5:
	v_mbcnt_hi_u32_b32 v37, -1, v3
	v_and_b32_e32 v38, 64, v37
	v_add_u32_e32 v43, 64, v38
                                        ; implicit-def: $vgpr2
                                        ; implicit-def: $vgpr1
                                        ; implicit-def: $vgpr3
; %bb.6:
	s_or_saveexec_b64 s[6:7], s[2:3]
	s_load_dwordx2 s[18:19], s[4:5], 0x0
	s_load_dwordx2 s[24:25], s[4:5], 0x18
	s_load_dword s11, s[4:5], 0x88
	v_mov_b32_e32 v42, 0xff7fffff
	s_mul_i32 s14, s15, s14
	v_lshrrev_b32_e32 v36, 4, v0
	s_xor_b64 exec, exec, s[6:7]
	s_cbranch_execz .LBB46_12
; %bb.7:
	s_load_dwordx2 s[2:3], s[4:5], 0x10
	s_ashr_i32 s15, s14, 31
	s_lshl_b64 s[4:5], s[14:15], 2
	v_bfe_u32 v4, v0, 1, 5
	v_lshlrev_b32_e32 v6, 4, v4
	s_waitcnt lgkmcnt(0)
	s_add_u32 s2, s2, s4
	s_addc_u32 s3, s3, s5
	v_mov_b32_e32 v7, s3
	v_add_co_u32_e32 v6, vcc, s2, v6
	v_addc_co_u32_e32 v7, vcc, 0, v7, vcc
	v_and_b32_e32 v2, 8, v2
	v_mbcnt_hi_u32_b32 v37, -1, v3
	v_add_co_u32_e32 v40, vcc, v6, v2
	v_and_b32_e32 v38, 64, v37
	v_addc_co_u32_e32 v41, vcc, 0, v7, vcc
	v_xor_b32_e32 v2, 1, v37
	v_add_u32_e32 v43, 64, v38
	v_lshlrev_b32_e32 v5, 2, v4
	v_cmp_lt_i32_e32 vcc, v2, v43
	s_sub_i32 s15, 1, s33
	s_lshl_b64 s[4:5], s[22:23], 2
	v_lshlrev_b32_e32 v29, 7, v1
	v_cndmask_b32_e32 v2, v37, v2, vcc
	v_cmp_eq_u32_e32 vcc, 0, v1
	v_lshl_or_b32 v1, v39, 7, v5
	s_add_u32 s4, s20, s4
	v_add_u32_e32 v46, 0x110, v1
	v_and_b32_e32 v1, 60, v36
	s_addc_u32 s5, s21, s5
	v_lshlrev_b32_e32 v44, 2, v2
	v_mov_b32_e32 v2, s5
	v_add_co_u32_e64 v33, s[4:5], s4, v1
	v_lshl_or_b32 v45, v39, 5, v4
	v_addc_co_u32_e64 v34, s[4:5], 0, v2, s[4:5]
	ds_read_b128 v[1:4], v29
	ds_read_b128 v[5:8], v29 offset:16
	ds_read_b128 v[9:12], v29 offset:32
	;; [unrolled: 1-line block ×7, first 2 shown]
	s_mov_b32 s17, s13
	v_cmp_neq_f32_e64 s[2:3], s26, 0
	v_mov_b32_e32 v42, 0xff7fffff
	s_mov_b64 s[28:29], 0
	s_movk_i32 s34, 0x1000
	v_mov_b32_e32 v47, v39
	s_branch .LBB46_9
.LBB46_8:                               ;   in Loop: Header=BB46_9 Depth=1
	s_or_b64 exec, exec, s[30:31]
	v_add_u32_e32 v47, 2, v47
	v_cmp_le_i32_e64 s[4:5], s12, v47
	s_or_b64 s[28:29], s[4:5], s[28:29]
	v_add_co_u32_e64 v33, s[4:5], 8, v33
	v_add_u32_e32 v45, 64, v45
	v_add_u32_e32 v46, 0x100, v46
	v_addc_co_u32_e64 v34, s[4:5], 0, v34, s[4:5]
	s_andn2_b64 exec, exec, s[28:29]
	s_cbranch_execz .LBB46_11
.LBB46_9:                               ; =>This Inner Loop Header: Depth=1
	global_load_dword v48, v[33:34], off
	s_waitcnt vmcnt(0) lgkmcnt(0)
	v_mad_i64_i32 v[48:49], s[4:5], v48, s17, 0
	v_lshlrev_b64 v[48:49], 2, v[48:49]
	v_add_co_u32_e64 v48, s[4:5], v40, v48
	v_addc_co_u32_e64 v49, s[4:5], v41, v49, s[4:5]
	global_load_dwordx2 v[50:51], v[48:49], off offset:512
	global_load_dwordx2 v[52:53], v[48:49], off
	global_load_dwordx2 v[54:55], v[48:49], off offset:1024
	global_load_dwordx2 v[56:57], v[48:49], off offset:1536
	;; [unrolled: 1-line block ×3, first 2 shown]
	v_add_co_u32_e64 v58, s[4:5], s34, v48
	v_addc_co_u32_e64 v59, s[4:5], 0, v49, s[4:5]
	s_waitcnt vmcnt(4) lgkmcnt(7)
	v_mul_f32_e32 v62, v3, v50
	v_mul_f32_e32 v63, v4, v51
	global_load_dwordx2 v[50:51], v[48:49], off offset:2560
	s_waitcnt vmcnt(4)
	v_fmac_f32_e32 v62, v1, v52
	v_fmac_f32_e32 v63, v2, v53
	global_load_dwordx2 v[52:53], v[48:49], off offset:3072
	s_waitcnt vmcnt(4) lgkmcnt(6)
	v_fmac_f32_e32 v62, v5, v54
	v_fmac_f32_e32 v63, v6, v55
	global_load_dwordx2 v[54:55], v[58:59], off
	s_waitcnt vmcnt(4)
	v_fmac_f32_e32 v62, v7, v56
	global_load_dwordx2 v[48:49], v[48:49], off offset:3584
	v_fmac_f32_e32 v63, v8, v57
	global_load_dwordx2 v[56:57], v[58:59], off offset:512
	s_waitcnt vmcnt(5) lgkmcnt(5)
	v_fmac_f32_e32 v62, v9, v60
	v_fmac_f32_e32 v63, v10, v61
	global_load_dwordx2 v[60:61], v[58:59], off offset:1024
	s_waitcnt vmcnt(5)
	v_fmac_f32_e32 v62, v11, v50
	v_fmac_f32_e32 v63, v12, v51
	global_load_dwordx2 v[50:51], v[58:59], off offset:1536
	s_waitcnt vmcnt(5) lgkmcnt(4)
	v_fmac_f32_e32 v62, v13, v52
	v_fmac_f32_e32 v63, v14, v53
	global_load_dwordx2 v[52:53], v[58:59], off offset:2048
	s_waitcnt vmcnt(4)
	v_fmac_f32_e32 v62, v15, v48
	v_fmac_f32_e32 v63, v16, v49
	global_load_dwordx2 v[48:49], v[58:59], off offset:2560
	s_waitcnt lgkmcnt(3)
	v_fmac_f32_e32 v62, v17, v54
	v_fmac_f32_e32 v63, v18, v55
	global_load_dwordx2 v[54:55], v[58:59], off offset:3072
	s_nop 0
	global_load_dwordx2 v[58:59], v[58:59], off offset:3584
	s_waitcnt vmcnt(6)
	v_fmac_f32_e32 v62, v19, v56
	v_fmac_f32_e32 v63, v20, v57
	s_waitcnt vmcnt(5) lgkmcnt(2)
	v_fmac_f32_e32 v62, v21, v60
	v_fmac_f32_e32 v63, v22, v61
	s_waitcnt vmcnt(4)
	v_fmac_f32_e32 v62, v23, v50
	v_fmac_f32_e32 v63, v24, v51
	s_waitcnt vmcnt(3) lgkmcnt(1)
	v_fmac_f32_e32 v62, v25, v52
	v_fmac_f32_e32 v63, v26, v53
	;; [unrolled: 6-line block ×3, first 2 shown]
	s_waitcnt vmcnt(0)
	v_fmac_f32_e32 v62, v31, v58
	v_fmac_f32_e32 v63, v32, v59
	v_add_f32_e32 v48, v62, v63
	ds_bpermute_b32 v49, v44, v48
	s_and_saveexec_b64 s[30:31], vcc
	s_cbranch_execz .LBB46_8
; %bb.10:                               ;   in Loop: Header=BB46_9 Depth=1
	v_add_u32_e32 v50, s15, v45
	v_cvt_f32_i32_e32 v50, v50
	s_waitcnt lgkmcnt(0)
	v_add_f32_e32 v48, v48, v49
	v_cmp_gt_i32_e64 s[4:5], s33, v45
	v_max_f32_e32 v49, v42, v42
	v_mul_f32_e32 v50, s26, v50
	v_cndmask_b32_e64 v50, 0, v50, s[2:3]
	v_fmac_f32_e32 v50, s27, v48
	v_cndmask_b32_e64 v48, 0, v50, s[4:5]
	ds_write_b32 v46, v48
	v_max_f32_e32 v48, v49, v50
	v_cndmask_b32_e64 v42, v42, v48, s[4:5]
	s_branch .LBB46_8
.LBB46_11:
	s_or_b64 exec, exec, s[28:29]
.LBB46_12:
	s_or_b64 exec, exec, s[6:7]
	v_xor_b32_e32 v1, 32, v37
	v_cmp_lt_i32_e32 vcc, v1, v43
	v_cndmask_b32_e32 v1, v37, v1, vcc
	v_lshlrev_b32_e32 v1, 2, v1
	ds_bpermute_b32 v2, v1, v42
	v_xor_b32_e32 v4, 16, v37
	v_max_f32_e32 v3, v42, v42
	v_cmp_lt_i32_e32 vcc, v4, v43
	v_xor_b32_e32 v5, 8, v37
	s_waitcnt lgkmcnt(0)
	v_max_f32_e32 v2, v2, v2
	v_max_f32_e32 v3, v3, v2
	v_cndmask_b32_e32 v2, v37, v4, vcc
	v_lshlrev_b32_e32 v2, 2, v2
	ds_bpermute_b32 v4, v2, v3
	v_cmp_lt_i32_e32 vcc, v5, v43
	v_xor_b32_e32 v6, 4, v37
	v_and_b32_e32 v40, 63, v0
	s_waitcnt lgkmcnt(0)
	v_max_f32_e32 v4, v4, v4
	v_max_f32_e32 v4, v3, v4
	v_cndmask_b32_e32 v3, v37, v5, vcc
	v_lshlrev_b32_e32 v3, 2, v3
	ds_bpermute_b32 v5, v3, v4
	v_cmp_lt_i32_e32 vcc, v6, v43
	s_waitcnt lgkmcnt(0)
	v_max_f32_e32 v5, v5, v5
	v_max_f32_e32 v4, v4, v5
	v_cndmask_b32_e32 v5, v37, v6, vcc
	v_lshlrev_b32_e32 v41, 2, v5
	ds_bpermute_b32 v5, v41, v4
	v_xor_b32_e32 v6, 2, v37
	v_cmp_lt_i32_e32 vcc, v6, v43
	s_waitcnt lgkmcnt(0)
	v_max_f32_e32 v5, v5, v5
	v_max_f32_e32 v5, v4, v5
	v_cndmask_b32_e32 v4, v37, v6, vcc
	v_lshlrev_b32_e32 v42, 2, v4
	ds_bpermute_b32 v6, v42, v5
	v_cmp_eq_u32_e32 vcc, 0, v40
	v_lshlrev_b32_e32 v4, 2, v39
	s_and_saveexec_b64 s[2:3], vcc
	s_cbranch_execz .LBB46_14
; %bb.13:
	s_waitcnt lgkmcnt(0)
	v_max_f32_e32 v6, v6, v6
	v_max_f32_e32 v5, v5, v5
	;; [unrolled: 1-line block ×3, first 2 shown]
	ds_write_b32 v4, v5 offset:256
.LBB46_14:
	s_or_b64 exec, exec, s[2:3]
	v_cmp_gt_u32_e64 s[2:3], 2, v40
	s_waitcnt lgkmcnt(0)
	v_mov_b32_e32 v6, 0xff7fffff
	v_lshlrev_b32_e32 v5, 2, v40
	s_barrier
	s_and_saveexec_b64 s[4:5], s[2:3]
; %bb.15:
	ds_read_b32 v6, v5 offset:256
; %bb.16:
	s_or_b64 exec, exec, s[4:5]
	v_xor_b32_e32 v7, 1, v37
	v_cmp_lt_i32_e64 s[4:5], v7, v43
	v_cndmask_b32_e64 v7, v37, v7, s[4:5]
	v_lshlrev_b32_e32 v43, 2, v7
	s_waitcnt lgkmcnt(0)
	ds_bpermute_b32 v7, v43, v6
	v_max_f32_e32 v6, v6, v6
	s_lshl_b32 s4, s12, 5
	s_min_i32 s15, s4, s33
	v_cmp_gt_i32_e64 s[4:5], s15, v0
	s_waitcnt lgkmcnt(0)
	v_max_f32_e32 v7, v7, v7
	v_max_f32_e32 v6, v6, v7
	v_lshlrev_b32_e32 v7, 2, v38
	ds_bpermute_b32 v7, v7, v6
	v_mov_b32_e32 v6, 0
	s_and_saveexec_b64 s[26:27], s[4:5]
	s_cbranch_execz .LBB46_20
; %bb.17:
	v_mov_b32_e32 v6, 0x110
	v_lshl_add_u32 v8, v0, 2, v6
	v_mov_b32_e32 v6, 0
	s_mov_b64 s[28:29], 0
	v_mov_b32_e32 v9, v0
.LBB46_18:                              ; =>This Inner Loop Header: Depth=1
	ds_read_b32 v10, v8
	v_add_u32_e32 v9, 0x80, v9
	v_cmp_le_i32_e64 s[6:7], s15, v9
	s_or_b64 s[28:29], s[6:7], s[28:29]
	s_waitcnt lgkmcnt(0)
	v_sub_f32_e32 v10, v10, v7
	v_mul_f32_e32 v10, 0x3fb8aa3b, v10
	v_exp_f32_e32 v10, v10
	ds_write_b32 v8, v10
	v_add_f32_e32 v6, v6, v10
	v_add_u32_e32 v8, 0x200, v8
	s_andn2_b64 exec, exec, s[28:29]
	s_cbranch_execnz .LBB46_18
; %bb.19:
	s_or_b64 exec, exec, s[28:29]
.LBB46_20:
	s_or_b64 exec, exec, s[26:27]
	ds_bpermute_b32 v1, v1, v6
	s_waitcnt lgkmcnt(0)
	v_add_f32_e32 v1, v6, v1
	ds_bpermute_b32 v2, v2, v1
	s_waitcnt lgkmcnt(0)
	v_add_f32_e32 v1, v1, v2
	;; [unrolled: 3-line block ×6, first 2 shown]
	s_and_saveexec_b64 s[6:7], vcc
; %bb.21:
	ds_write_b32 v4, v1 offset:264
; %bb.22:
	s_or_b64 exec, exec, s[6:7]
	s_waitcnt lgkmcnt(0)
	s_barrier
	s_and_saveexec_b64 s[6:7], s[2:3]
; %bb.23:
	ds_read_b32 v1, v5 offset:264
; %bb.24:
	s_or_b64 exec, exec, s[6:7]
	s_waitcnt lgkmcnt(0)
	ds_bpermute_b32 v2, v43, v1
	v_lshlrev_b32_e32 v3, 2, v37
	s_waitcnt lgkmcnt(0)
	v_add_f32_e32 v1, v1, v2
	v_and_b32_e32 v2, 0xffffff00, v3
	ds_bpermute_b32 v1, v2, v1
	s_and_saveexec_b64 s[2:3], s[4:5]
	s_cbranch_execz .LBB46_27
; %bb.25:
	s_waitcnt lgkmcnt(0)
	v_add_f32_e32 v2, 0x358637bd, v1
	v_div_scale_f32 v1, s[4:5], v2, v2, 1.0
	v_div_scale_f32 v3, vcc, 1.0, v2, 1.0
	s_mov_b64 s[4:5], 0
	v_rcp_f32_e32 v4, v1
	v_fma_f32 v5, -v1, v4, 1.0
	v_fmac_f32_e32 v4, v5, v4
	v_mul_f32_e32 v5, v3, v4
	v_fma_f32 v6, -v1, v5, v3
	v_fmac_f32_e32 v5, v6, v4
	v_fma_f32 v1, -v1, v5, v3
	v_div_fmas_f32 v3, v1, v4, v5
	v_mov_b32_e32 v1, 0x110
	v_lshl_add_u32 v1, v0, 2, v1
	v_div_fixup_f32 v2, v3, v2, 1.0
	v_mov_b32_e32 v3, v0
.LBB46_26:                              ; =>This Inner Loop Header: Depth=1
	ds_read_b32 v4, v1
	v_add_u32_e32 v3, 0x80, v3
	v_cmp_le_i32_e32 vcc, s15, v3
	s_or_b64 s[4:5], vcc, s[4:5]
	s_waitcnt lgkmcnt(0)
	v_mul_f32_e32 v4, v2, v4
	ds_write_b32 v1, v4
	v_add_u32_e32 v1, 0x200, v1
	s_andn2_b64 exec, exec, s[4:5]
	s_cbranch_execnz .LBB46_26
.LBB46_27:
	s_or_b64 exec, exec, s[2:3]
	v_mov_b32_e32 v51, 0
	v_and_b32_e32 v44, 7, v0
	v_mov_b32_e32 v52, 0
	v_mov_b32_e32 v50, 0
	;; [unrolled: 1-line block ×7, first 2 shown]
	s_waitcnt lgkmcnt(0)
	s_barrier
	s_and_saveexec_b64 s[2:3], s[0:1]
	s_cbranch_execz .LBB46_47
; %bb.28:
	s_ashr_i32 s15, s14, 31
	s_lshl_b64 s[0:1], s[14:15], 2
	v_lshlrev_b32_e32 v2, 4, v0
	s_add_u32 s0, s24, s0
	v_and_b32_e32 v2, 0x3f0, v2
	v_and_b32_e32 v1, 28, v35
	s_addc_u32 s1, s25, s1
	v_add_co_u32_e32 v53, vcc, s0, v2
	v_lshlrev_b32_e32 v2, 5, v39
	s_add_i32 s14, s12, -1
	v_mov_b32_e32 v3, s1
	v_or3_b32 v55, v2, v1, 3
	v_lshlrev_b32_e32 v1, 4, v44
	s_lshl_b64 s[0:1], s[22:23], 2
	v_lshl_or_b32 v1, v39, 7, v1
	s_add_u32 s0, s20, s0
	v_addc_co_u32_e32 v54, vcc, 0, v3, vcc
	v_add_u32_e32 v56, 0x110, v1
	v_and_b32_e32 v1, 60, v36
	s_addc_u32 s1, s21, s1
	v_mov_b32_e32 v2, s1
	v_add_co_u32_e32 v37, vcc, s0, v1
	v_mov_b32_e32 v45, 0
	v_addc_co_u32_e32 v38, vcc, 0, v2, vcc
	s_mov_b64 s[4:5], 0
	v_mov_b32_e32 v46, 0
	v_mov_b32_e32 v47, 0
	;; [unrolled: 1-line block ×7, first 2 shown]
	s_branch .LBB46_30
.LBB46_29:                              ;   in Loop: Header=BB46_30 Depth=1
	s_or_b64 exec, exec, s[6:7]
	s_waitcnt vmcnt(1) lgkmcnt(0)
	v_mul_f32_e32 v33, v1, v33
	v_mul_f32_e32 v25, v1, v25
	;; [unrolled: 1-line block ×7, first 2 shown]
	s_waitcnt vmcnt(0)
	v_mul_f32_e32 v1, v1, v29
	v_fmac_f32_e32 v33, v2, v34
	v_fmac_f32_e32 v25, v2, v26
	;; [unrolled: 1-line block ×8, first 2 shown]
	v_add_u32_e32 v39, 2, v39
	v_fmac_f32_e32 v33, v3, v35
	v_fmac_f32_e32 v25, v3, v27
	;; [unrolled: 1-line block ×8, first 2 shown]
	v_cmp_le_i32_e32 vcc, s12, v39
	v_fmac_f32_e32 v33, v4, v36
	v_fmac_f32_e32 v25, v4, v28
	v_fmac_f32_e32 v21, v4, v24
	v_fmac_f32_e32 v17, v4, v20
	v_fmac_f32_e32 v13, v4, v16
	v_fmac_f32_e32 v9, v4, v12
	v_fmac_f32_e32 v5, v4, v8
	v_fmac_f32_e32 v1, v4, v32
	s_or_b64 s[4:5], vcc, s[4:5]
	v_add_co_u32_e32 v37, vcc, 8, v37
	v_add_f32_e32 v46, v46, v33
	v_add_f32_e32 v47, v47, v25
	;; [unrolled: 1-line block ×8, first 2 shown]
	v_add_u32_e32 v55, 64, v55
	v_add_u32_e32 v56, 0x100, v56
	v_addc_co_u32_e32 v38, vcc, 0, v38, vcc
	s_andn2_b64 exec, exec, s[4:5]
	s_cbranch_execz .LBB46_46
.LBB46_30:                              ; =>This Inner Loop Header: Depth=1
	global_load_dword v1, v[37:38], off
	v_add_u32_e32 v57, -3, v55
	v_add_u32_e32 v59, -2, v55
	;; [unrolled: 1-line block ×3, first 2 shown]
	s_waitcnt vmcnt(0)
	v_mad_i64_i32 v[1:2], s[0:1], v1, s13, 0
	v_cmp_eq_u32_e64 s[0:1], s14, v39
	v_lshlrev_b64 v[1:2], 2, v[1:2]
	v_add_co_u32_e32 v29, vcc, v53, v1
	v_addc_co_u32_e32 v30, vcc, v54, v2, vcc
	global_load_dwordx4 v[5:8], v[29:30], off
	ds_read_b128 v[1:4], v56
	s_and_saveexec_b64 s[6:7], s[0:1]
	s_cbranch_execnz .LBB46_43
; %bb.31:                               ;   in Loop: Header=BB46_30 Depth=1
	s_or_b64 exec, exec, s[6:7]
	global_load_dwordx4 v[9:12], v[29:30], off offset:1024
	s_and_saveexec_b64 s[6:7], s[0:1]
	s_cbranch_execnz .LBB46_44
.LBB46_32:                              ;   in Loop: Header=BB46_30 Depth=1
	s_or_b64 exec, exec, s[6:7]
	global_load_dwordx4 v[13:16], v[29:30], off offset:2048
	s_and_saveexec_b64 s[6:7], s[0:1]
	s_cbranch_execnz .LBB46_45
.LBB46_33:                              ;   in Loop: Header=BB46_30 Depth=1
	s_or_b64 exec, exec, s[6:7]
	global_load_dwordx4 v[17:20], v[29:30], off offset:3072
	s_and_saveexec_b64 s[6:7], s[0:1]
	s_cbranch_execz .LBB46_35
.LBB46_34:                              ;   in Loop: Header=BB46_30 Depth=1
	v_cmp_gt_i32_e32 vcc, s33, v57
	s_waitcnt vmcnt(0)
	v_cndmask_b32_e32 v17, 0, v17, vcc
	v_cmp_gt_i32_e32 vcc, s33, v59
	v_cndmask_b32_e32 v18, 0, v18, vcc
	v_cmp_gt_i32_e32 vcc, s33, v58
	;; [unrolled: 2-line block ×3, first 2 shown]
	v_cndmask_b32_e32 v20, 0, v20, vcc
.LBB46_35:                              ;   in Loop: Header=BB46_30 Depth=1
	s_or_b64 exec, exec, s[6:7]
	v_add_co_u32_e32 v21, vcc, 0x1000, v29
	v_addc_co_u32_e32 v22, vcc, 0, v30, vcc
	global_load_dwordx4 v[21:24], v[21:22], off
	s_and_saveexec_b64 s[6:7], s[0:1]
	s_cbranch_execz .LBB46_37
; %bb.36:                               ;   in Loop: Header=BB46_30 Depth=1
	v_cmp_gt_i32_e32 vcc, s33, v57
	s_waitcnt vmcnt(0)
	v_cndmask_b32_e32 v21, 0, v21, vcc
	v_cmp_gt_i32_e32 vcc, s33, v59
	v_cndmask_b32_e32 v22, 0, v22, vcc
	v_cmp_gt_i32_e32 vcc, s33, v58
	v_cndmask_b32_e32 v23, 0, v23, vcc
	v_cmp_gt_i32_e32 vcc, s33, v55
	v_cndmask_b32_e32 v24, 0, v24, vcc
.LBB46_37:                              ;   in Loop: Header=BB46_30 Depth=1
	s_or_b64 exec, exec, s[6:7]
	v_add_co_u32_e32 v25, vcc, 0x1000, v29
	v_addc_co_u32_e32 v26, vcc, 0, v30, vcc
	global_load_dwordx4 v[25:28], v[25:26], off offset:1024
	s_and_saveexec_b64 s[6:7], s[0:1]
	s_cbranch_execz .LBB46_39
; %bb.38:                               ;   in Loop: Header=BB46_30 Depth=1
	v_cmp_gt_i32_e32 vcc, s33, v57
	s_waitcnt vmcnt(0)
	v_cndmask_b32_e32 v25, 0, v25, vcc
	v_cmp_gt_i32_e32 vcc, s33, v59
	v_cndmask_b32_e32 v26, 0, v26, vcc
	v_cmp_gt_i32_e32 vcc, s33, v58
	v_cndmask_b32_e32 v27, 0, v27, vcc
	v_cmp_gt_i32_e32 vcc, s33, v55
	v_cndmask_b32_e32 v28, 0, v28, vcc
.LBB46_39:                              ;   in Loop: Header=BB46_30 Depth=1
	s_or_b64 exec, exec, s[6:7]
	v_add_co_u32_e32 v31, vcc, 0x1000, v29
	v_addc_co_u32_e32 v32, vcc, 0, v30, vcc
	global_load_dwordx4 v[33:36], v[31:32], off offset:2048
	;; [unrolled: 17-line block ×3, first 2 shown]
	s_and_saveexec_b64 s[6:7], s[0:1]
	s_cbranch_execz .LBB46_29
; %bb.42:                               ;   in Loop: Header=BB46_30 Depth=1
	v_cmp_gt_i32_e32 vcc, s33, v57
	s_waitcnt vmcnt(0)
	v_cndmask_b32_e32 v29, 0, v29, vcc
	v_cmp_gt_i32_e32 vcc, s33, v59
	v_cndmask_b32_e32 v30, 0, v30, vcc
	v_cmp_gt_i32_e32 vcc, s33, v58
	;; [unrolled: 2-line block ×3, first 2 shown]
	v_cndmask_b32_e32 v32, 0, v32, vcc
	s_branch .LBB46_29
.LBB46_43:                              ;   in Loop: Header=BB46_30 Depth=1
	v_cmp_gt_i32_e32 vcc, s33, v57
	s_waitcnt vmcnt(0)
	v_cndmask_b32_e32 v5, 0, v5, vcc
	v_cmp_gt_i32_e32 vcc, s33, v59
	v_cndmask_b32_e32 v6, 0, v6, vcc
	v_cmp_gt_i32_e32 vcc, s33, v58
	;; [unrolled: 2-line block ×3, first 2 shown]
	v_cndmask_b32_e32 v8, 0, v8, vcc
	s_or_b64 exec, exec, s[6:7]
	global_load_dwordx4 v[9:12], v[29:30], off offset:1024
	s_and_saveexec_b64 s[6:7], s[0:1]
	s_cbranch_execz .LBB46_32
.LBB46_44:                              ;   in Loop: Header=BB46_30 Depth=1
	v_cmp_gt_i32_e32 vcc, s33, v57
	s_waitcnt vmcnt(0)
	v_cndmask_b32_e32 v9, 0, v9, vcc
	v_cmp_gt_i32_e32 vcc, s33, v59
	v_cndmask_b32_e32 v10, 0, v10, vcc
	v_cmp_gt_i32_e32 vcc, s33, v58
	;; [unrolled: 2-line block ×3, first 2 shown]
	v_cndmask_b32_e32 v12, 0, v12, vcc
	s_or_b64 exec, exec, s[6:7]
	global_load_dwordx4 v[13:16], v[29:30], off offset:2048
	s_and_saveexec_b64 s[6:7], s[0:1]
	s_cbranch_execz .LBB46_33
.LBB46_45:                              ;   in Loop: Header=BB46_30 Depth=1
	v_cmp_gt_i32_e32 vcc, s33, v57
	s_waitcnt vmcnt(0)
	v_cndmask_b32_e32 v13, 0, v13, vcc
	v_cmp_gt_i32_e32 vcc, s33, v59
	v_cndmask_b32_e32 v14, 0, v14, vcc
	v_cmp_gt_i32_e32 vcc, s33, v58
	;; [unrolled: 2-line block ×3, first 2 shown]
	v_cndmask_b32_e32 v16, 0, v16, vcc
	s_or_b64 exec, exec, s[6:7]
	global_load_dwordx4 v[17:20], v[29:30], off offset:3072
	s_and_saveexec_b64 s[6:7], s[0:1]
	s_cbranch_execnz .LBB46_34
	s_branch .LBB46_35
.LBB46_46:
	s_or_b64 exec, exec, s[4:5]
.LBB46_47:
	s_or_b64 exec, exec, s[2:3]
	ds_bpermute_b32 v2, v41, v52
	ds_bpermute_b32 v3, v41, v50
	;; [unrolled: 1-line block ×5, first 2 shown]
	s_waitcnt lgkmcnt(4)
	v_add_f32_e32 v2, v52, v2
	ds_bpermute_b32 v6, v42, v2
	s_waitcnt lgkmcnt(4)
	v_add_f32_e32 v3, v50, v3
	ds_bpermute_b32 v7, v42, v3
	;; [unrolled: 3-line block ×6, first 2 shown]
	s_waitcnt lgkmcnt(2)
	v_add_f32_e32 v2, v2, v6
	v_add_f32_e32 v6, v48, v8
	ds_bpermute_b32 v8, v42, v6
	s_waitcnt lgkmcnt(2)
	v_add_f32_e32 v3, v3, v7
	ds_bpermute_b32 v7, v41, v47
	ds_bpermute_b32 v10, v41, v45
	v_add_f32_e32 v4, v49, v4
	s_waitcnt lgkmcnt(2)
	v_add_f32_e32 v6, v6, v8
	ds_bpermute_b32 v8, v41, v46
	v_add_f32_e32 v1, v1, v5
	ds_bpermute_b32 v5, v42, v4
	s_waitcnt lgkmcnt(3)
	v_add_f32_e32 v7, v47, v7
	s_waitcnt lgkmcnt(2)
	v_add_f32_e32 v10, v45, v10
	;; [unrolled: 2-line block ×3, first 2 shown]
	ds_bpermute_b32 v11, v42, v7
	ds_bpermute_b32 v12, v42, v8
	;; [unrolled: 1-line block ×3, first 2 shown]
	s_waitcnt lgkmcnt(3)
	v_add_f32_e32 v4, v4, v5
	ds_bpermute_b32 v5, v43, v4
	ds_bpermute_b32 v9, v43, v6
	s_waitcnt lgkmcnt(4)
	v_add_f32_e32 v7, v7, v11
	s_waitcnt lgkmcnt(3)
	v_add_f32_e32 v8, v8, v12
	;; [unrolled: 2-line block ×3, first 2 shown]
	ds_bpermute_b32 v11, v43, v7
	ds_bpermute_b32 v12, v43, v8
	;; [unrolled: 1-line block ×3, first 2 shown]
	s_waitcnt lgkmcnt(4)
	v_add_f32_e32 v4, v4, v5
	s_waitcnt lgkmcnt(3)
	v_add_f32_e32 v5, v6, v9
	v_and_b32_e32 v9, 0x3c7, v0
	s_waitcnt lgkmcnt(2)
	v_add_f32_e32 v6, v7, v11
	s_waitcnt lgkmcnt(1)
	v_add_f32_e32 v7, v8, v12
	;; [unrolled: 2-line block ×3, first 2 shown]
	v_cmp_eq_u32_e32 vcc, 64, v9
	s_barrier
	s_and_saveexec_b64 s[0:1], vcc
	s_cbranch_execz .LBB46_49
; %bb.48:
	v_lshrrev_b32_e32 v10, 1, v40
	v_add_u32_e32 v10, 0x110, v10
	ds_write2_b32 v10, v1, v2 offset1:8
	ds_write2_b32 v10, v3, v4 offset0:16 offset1:24
	ds_write2_b32 v10, v5, v6 offset0:32 offset1:40
	;; [unrolled: 1-line block ×3, first 2 shown]
.LBB46_49:
	s_or_b64 exec, exec, s[0:1]
	v_cmp_gt_u32_e32 vcc, 64, v0
	v_lshrrev_b32_e32 v0, 3, v0
	s_waitcnt lgkmcnt(0)
	s_barrier
	s_and_saveexec_b64 s[0:1], vcc
	s_cbranch_execz .LBB46_60
; %bb.50:
	v_mov_b32_e32 v10, 0x110
	v_cmp_eq_u32_e32 vcc, 0, v44
	v_lshl_add_u32 v10, v0, 2, v10
	s_and_saveexec_b64 s[2:3], vcc
	s_cbranch_execnz .LBB46_63
; %bb.51:
	s_or_b64 exec, exec, s[2:3]
	s_and_saveexec_b64 s[2:3], vcc
	s_cbranch_execnz .LBB46_64
.LBB46_52:
	s_or_b64 exec, exec, s[2:3]
	s_and_saveexec_b64 s[2:3], vcc
	s_cbranch_execnz .LBB46_65
.LBB46_53:
	s_or_b64 exec, exec, s[2:3]
	s_and_saveexec_b64 s[2:3], vcc
	s_cbranch_execnz .LBB46_66
.LBB46_54:
	s_or_b64 exec, exec, s[2:3]
	s_and_saveexec_b64 s[2:3], vcc
	s_cbranch_execnz .LBB46_67
.LBB46_55:
	s_or_b64 exec, exec, s[2:3]
	s_and_saveexec_b64 s[2:3], vcc
	s_cbranch_execnz .LBB46_68
.LBB46_56:
	s_or_b64 exec, exec, s[2:3]
	s_and_saveexec_b64 s[2:3], vcc
	s_cbranch_execnz .LBB46_69
.LBB46_57:
	s_or_b64 exec, exec, s[2:3]
	s_and_saveexec_b64 s[2:3], vcc
	s_cbranch_execz .LBB46_59
.LBB46_58:
	ds_read_b32 v10, v10 offset:224
	s_waitcnt lgkmcnt(0)
	v_add_f32_e32 v8, v8, v10
.LBB46_59:
	s_or_b64 exec, exec, s[2:3]
.LBB46_60:
	s_or_b64 exec, exec, s[0:1]
	v_cmp_eq_u32_e32 vcc, 0, v9
	s_barrier
	s_and_saveexec_b64 s[0:1], vcc
	s_cbranch_execz .LBB46_62
; %bb.61:
	s_mul_i32 s0, s10, s11
	s_mul_i32 s0, s0, s9
	s_lshl_b32 s0, s0, 6
	s_ashr_i32 s1, s0, 31
	s_lshl_b64 s[0:1], s[0:1], 2
	s_add_u32 s2, s18, s0
	s_mul_i32 s0, s11, s16
	s_addc_u32 s3, s19, s1
	s_ashr_i32 s1, s0, 31
	s_lshl_b64 s[0:1], s[0:1], 2
	s_add_u32 s2, s2, s0
	s_addc_u32 s3, s3, s1
	s_lshl_b32 s0, s8, 6
	s_ashr_i32 s1, s0, 31
	s_lshl_b64 s[0:1], s[0:1], 2
	s_add_u32 s0, s2, s0
	s_addc_u32 s1, s3, s1
	v_lshlrev_b32_e32 v0, 2, v0
	global_store_dword v0, v1, s[0:1]
	global_store_dword v0, v2, s[0:1] offset:32
	global_store_dword v0, v3, s[0:1] offset:64
	;; [unrolled: 1-line block ×7, first 2 shown]
.LBB46_62:
	s_endpgm
.LBB46_63:
	ds_read_b32 v11, v10
	s_waitcnt lgkmcnt(0)
	v_add_f32_e32 v1, v1, v11
	s_or_b64 exec, exec, s[2:3]
	s_and_saveexec_b64 s[2:3], vcc
	s_cbranch_execz .LBB46_52
.LBB46_64:
	ds_read_b32 v11, v10 offset:32
	s_waitcnt lgkmcnt(0)
	v_add_f32_e32 v2, v2, v11
	s_or_b64 exec, exec, s[2:3]
	s_and_saveexec_b64 s[2:3], vcc
	s_cbranch_execz .LBB46_53
.LBB46_65:
	ds_read_b32 v11, v10 offset:64
	s_waitcnt lgkmcnt(0)
	v_add_f32_e32 v3, v3, v11
	s_or_b64 exec, exec, s[2:3]
	s_and_saveexec_b64 s[2:3], vcc
	s_cbranch_execz .LBB46_54
.LBB46_66:
	ds_read_b32 v11, v10 offset:96
	s_waitcnt lgkmcnt(0)
	v_add_f32_e32 v4, v4, v11
	s_or_b64 exec, exec, s[2:3]
	s_and_saveexec_b64 s[2:3], vcc
	s_cbranch_execz .LBB46_55
.LBB46_67:
	ds_read_b32 v11, v10 offset:128
	s_waitcnt lgkmcnt(0)
	v_add_f32_e32 v5, v5, v11
	s_or_b64 exec, exec, s[2:3]
	s_and_saveexec_b64 s[2:3], vcc
	s_cbranch_execz .LBB46_56
.LBB46_68:
	ds_read_b32 v11, v10 offset:160
	s_waitcnt lgkmcnt(0)
	v_add_f32_e32 v6, v6, v11
	s_or_b64 exec, exec, s[2:3]
	s_and_saveexec_b64 s[2:3], vcc
	s_cbranch_execz .LBB46_57
.LBB46_69:
	ds_read_b32 v11, v10 offset:192
	s_waitcnt lgkmcnt(0)
	v_add_f32_e32 v7, v7, v11
	s_or_b64 exec, exec, s[2:3]
	s_and_saveexec_b64 s[2:3], vcc
	s_cbranch_execnz .LBB46_58
	s_branch .LBB46_59
	.section	.rodata,"a",@progbits
	.p2align	6, 0x0
	.amdhsa_kernel _ZN4vllm25paged_attention_v1_kernelIffLi64ELi32ELi128ELNS_18Fp8KVCacheDataTypeE0ELb0EEEvPT_PKS2_PKT0_S8_ifPKiSA_iPKfiiiSC_SC_iiiii
		.amdhsa_group_segment_fixed_size 272
		.amdhsa_private_segment_fixed_size 0
		.amdhsa_kernarg_size 384
		.amdhsa_user_sgpr_count 6
		.amdhsa_user_sgpr_private_segment_buffer 1
		.amdhsa_user_sgpr_dispatch_ptr 0
		.amdhsa_user_sgpr_queue_ptr 0
		.amdhsa_user_sgpr_kernarg_segment_ptr 1
		.amdhsa_user_sgpr_dispatch_id 0
		.amdhsa_user_sgpr_flat_scratch_init 0
		.amdhsa_user_sgpr_private_segment_size 0
		.amdhsa_uses_dynamic_stack 0
		.amdhsa_system_sgpr_private_segment_wavefront_offset 0
		.amdhsa_system_sgpr_workgroup_id_x 1
		.amdhsa_system_sgpr_workgroup_id_y 1
		.amdhsa_system_sgpr_workgroup_id_z 1
		.amdhsa_system_sgpr_workgroup_info 0
		.amdhsa_system_vgpr_workitem_id 0
		.amdhsa_next_free_vgpr 64
		.amdhsa_next_free_sgpr 35
		.amdhsa_reserve_vcc 1
		.amdhsa_reserve_flat_scratch 0
		.amdhsa_float_round_mode_32 0
		.amdhsa_float_round_mode_16_64 0
		.amdhsa_float_denorm_mode_32 3
		.amdhsa_float_denorm_mode_16_64 3
		.amdhsa_dx10_clamp 1
		.amdhsa_ieee_mode 1
		.amdhsa_fp16_overflow 0
		.amdhsa_exception_fp_ieee_invalid_op 0
		.amdhsa_exception_fp_denorm_src 0
		.amdhsa_exception_fp_ieee_div_zero 0
		.amdhsa_exception_fp_ieee_overflow 0
		.amdhsa_exception_fp_ieee_underflow 0
		.amdhsa_exception_fp_ieee_inexact 0
		.amdhsa_exception_int_div_zero 0
	.end_amdhsa_kernel
	.section	.text._ZN4vllm25paged_attention_v1_kernelIffLi64ELi32ELi128ELNS_18Fp8KVCacheDataTypeE0ELb0EEEvPT_PKS2_PKT0_S8_ifPKiSA_iPKfiiiSC_SC_iiiii,"axG",@progbits,_ZN4vllm25paged_attention_v1_kernelIffLi64ELi32ELi128ELNS_18Fp8KVCacheDataTypeE0ELb0EEEvPT_PKS2_PKT0_S8_ifPKiSA_iPKfiiiSC_SC_iiiii,comdat
.Lfunc_end46:
	.size	_ZN4vllm25paged_attention_v1_kernelIffLi64ELi32ELi128ELNS_18Fp8KVCacheDataTypeE0ELb0EEEvPT_PKS2_PKT0_S8_ifPKiSA_iPKfiiiSC_SC_iiiii, .Lfunc_end46-_ZN4vllm25paged_attention_v1_kernelIffLi64ELi32ELi128ELNS_18Fp8KVCacheDataTypeE0ELb0EEEvPT_PKS2_PKT0_S8_ifPKiSA_iPKfiiiSC_SC_iiiii
                                        ; -- End function
	.set _ZN4vllm25paged_attention_v1_kernelIffLi64ELi32ELi128ELNS_18Fp8KVCacheDataTypeE0ELb0EEEvPT_PKS2_PKT0_S8_ifPKiSA_iPKfiiiSC_SC_iiiii.num_vgpr, 64
	.set _ZN4vllm25paged_attention_v1_kernelIffLi64ELi32ELi128ELNS_18Fp8KVCacheDataTypeE0ELb0EEEvPT_PKS2_PKT0_S8_ifPKiSA_iPKfiiiSC_SC_iiiii.num_agpr, 0
	.set _ZN4vllm25paged_attention_v1_kernelIffLi64ELi32ELi128ELNS_18Fp8KVCacheDataTypeE0ELb0EEEvPT_PKS2_PKT0_S8_ifPKiSA_iPKfiiiSC_SC_iiiii.numbered_sgpr, 35
	.set _ZN4vllm25paged_attention_v1_kernelIffLi64ELi32ELi128ELNS_18Fp8KVCacheDataTypeE0ELb0EEEvPT_PKS2_PKT0_S8_ifPKiSA_iPKfiiiSC_SC_iiiii.num_named_barrier, 0
	.set _ZN4vllm25paged_attention_v1_kernelIffLi64ELi32ELi128ELNS_18Fp8KVCacheDataTypeE0ELb0EEEvPT_PKS2_PKT0_S8_ifPKiSA_iPKfiiiSC_SC_iiiii.private_seg_size, 0
	.set _ZN4vllm25paged_attention_v1_kernelIffLi64ELi32ELi128ELNS_18Fp8KVCacheDataTypeE0ELb0EEEvPT_PKS2_PKT0_S8_ifPKiSA_iPKfiiiSC_SC_iiiii.uses_vcc, 1
	.set _ZN4vllm25paged_attention_v1_kernelIffLi64ELi32ELi128ELNS_18Fp8KVCacheDataTypeE0ELb0EEEvPT_PKS2_PKT0_S8_ifPKiSA_iPKfiiiSC_SC_iiiii.uses_flat_scratch, 0
	.set _ZN4vllm25paged_attention_v1_kernelIffLi64ELi32ELi128ELNS_18Fp8KVCacheDataTypeE0ELb0EEEvPT_PKS2_PKT0_S8_ifPKiSA_iPKfiiiSC_SC_iiiii.has_dyn_sized_stack, 0
	.set _ZN4vllm25paged_attention_v1_kernelIffLi64ELi32ELi128ELNS_18Fp8KVCacheDataTypeE0ELb0EEEvPT_PKS2_PKT0_S8_ifPKiSA_iPKfiiiSC_SC_iiiii.has_recursion, 0
	.set _ZN4vllm25paged_attention_v1_kernelIffLi64ELi32ELi128ELNS_18Fp8KVCacheDataTypeE0ELb0EEEvPT_PKS2_PKT0_S8_ifPKiSA_iPKfiiiSC_SC_iiiii.has_indirect_call, 0
	.section	.AMDGPU.csdata,"",@progbits
; Kernel info:
; codeLenInByte = 4244
; TotalNumSgprs: 39
; NumVgprs: 64
; ScratchSize: 0
; MemoryBound: 0
; FloatMode: 240
; IeeeMode: 1
; LDSByteSize: 272 bytes/workgroup (compile time only)
; SGPRBlocks: 4
; VGPRBlocks: 15
; NumSGPRsForWavesPerEU: 39
; NumVGPRsForWavesPerEU: 64
; Occupancy: 4
; WaveLimiterHint : 1
; COMPUTE_PGM_RSRC2:SCRATCH_EN: 0
; COMPUTE_PGM_RSRC2:USER_SGPR: 6
; COMPUTE_PGM_RSRC2:TRAP_HANDLER: 0
; COMPUTE_PGM_RSRC2:TGID_X_EN: 1
; COMPUTE_PGM_RSRC2:TGID_Y_EN: 1
; COMPUTE_PGM_RSRC2:TGID_Z_EN: 1
; COMPUTE_PGM_RSRC2:TIDIG_COMP_CNT: 0
	.section	.text._ZN4vllm25paged_attention_v1_kernelIffLi80ELi32ELi128ELNS_18Fp8KVCacheDataTypeE0ELb0EEEvPT_PKS2_PKT0_S8_ifPKiSA_iPKfiiiSC_SC_iiiii,"axG",@progbits,_ZN4vllm25paged_attention_v1_kernelIffLi80ELi32ELi128ELNS_18Fp8KVCacheDataTypeE0ELb0EEEvPT_PKS2_PKT0_S8_ifPKiSA_iPKfiiiSC_SC_iiiii,comdat
	.protected	_ZN4vllm25paged_attention_v1_kernelIffLi80ELi32ELi128ELNS_18Fp8KVCacheDataTypeE0ELb0EEEvPT_PKS2_PKT0_S8_ifPKiSA_iPKfiiiSC_SC_iiiii ; -- Begin function _ZN4vllm25paged_attention_v1_kernelIffLi80ELi32ELi128ELNS_18Fp8KVCacheDataTypeE0ELb0EEEvPT_PKS2_PKT0_S8_ifPKiSA_iPKfiiiSC_SC_iiiii
	.globl	_ZN4vllm25paged_attention_v1_kernelIffLi80ELi32ELi128ELNS_18Fp8KVCacheDataTypeE0ELb0EEEvPT_PKS2_PKT0_S8_ifPKiSA_iPKfiiiSC_SC_iiiii
	.p2align	8
	.type	_ZN4vllm25paged_attention_v1_kernelIffLi80ELi32ELi128ELNS_18Fp8KVCacheDataTypeE0ELb0EEEvPT_PKS2_PKT0_S8_ifPKiSA_iPKfiiiSC_SC_iiiii,@function
_ZN4vllm25paged_attention_v1_kernelIffLi80ELi32ELi128ELNS_18Fp8KVCacheDataTypeE0ELb0EEEvPT_PKS2_PKT0_S8_ifPKiSA_iPKfiiiSC_SC_iiiii: ; @_ZN4vllm25paged_attention_v1_kernelIffLi80ELi32ELi128ELNS_18Fp8KVCacheDataTypeE0ELb0EEEvPT_PKS2_PKT0_S8_ifPKiSA_iPKfiiiSC_SC_iiiii
; %bb.0:
	s_mov_b64 s[38:39], s[2:3]
	s_mov_b64 s[36:37], s[0:1]
	s_add_u32 s36, s36, s9
	s_load_dword s9, s[4:5], 0x80
	s_load_dwordx2 s[0:1], s[4:5], 0x30
	s_load_dwordx2 s[26:27], s[4:5], 0x20
	s_addc_u32 s37, s37, 0
	s_mov_b32 s10, s7
	s_ashr_i32 s11, s7, 31
	s_lshl_b64 s[2:3], s[10:11], 2
	s_waitcnt lgkmcnt(0)
	s_add_u32 s0, s0, s2
	s_addc_u32 s1, s1, s3
	s_abs_i32 s2, s26
	v_mov_b32_e32 v63, v0
	v_cvt_f32_u32_e32 v0, s2
	s_sub_i32 s11, 0, s2
	s_abs_i32 s7, s9
	s_xor_b32 s3, s9, s26
	v_rcp_iflag_f32_e32 v0, v0
	s_ashr_i32 s3, s3, 31
	s_mov_b32 s26, 0
	v_mul_f32_e32 v0, 0x4f7ffffe, v0
	v_cvt_u32_f32_e32 v0, v0
	v_readfirstlane_b32 s12, v0
	s_mul_i32 s11, s11, s12
	s_mul_hi_u32 s11, s12, s11
	s_add_i32 s12, s12, s11
	s_mul_hi_u32 s11, s7, s12
	s_mul_i32 s12, s11, s2
	s_sub_i32 s7, s7, s12
	s_add_i32 s12, s11, 1
	s_sub_i32 s13, s7, s2
	s_cmp_ge_u32 s7, s2
	s_cselect_b32 s11, s12, s11
	s_cselect_b32 s7, s13, s7
	s_add_i32 s12, s11, 1
	s_cmp_ge_u32 s7, s2
	s_cselect_b32 s2, s12, s11
	s_xor_b32 s2, s2, s3
	s_sub_i32 s12, s2, s3
	s_abs_i32 s11, s12
	v_cvt_f32_u32_e32 v0, s11
	s_load_dwordx2 s[2:3], s[4:5], 0x40
	s_sub_i32 s7, 0, s11
	s_abs_i32 s18, s6
	v_rcp_iflag_f32_e32 v0, v0
	v_mul_f32_e32 v0, 0x4f7ffffe, v0
	v_cvt_u32_f32_e32 v0, v0
	v_readfirstlane_b32 s13, v0
	s_mul_i32 s7, s7, s13
	s_mul_hi_u32 s7, s13, s7
	s_add_i32 s13, s13, s7
	s_waitcnt lgkmcnt(0)
	s_cmp_eq_u64 s[2:3], 0
	s_mul_hi_u32 s19, s18, s13
	s_cbranch_scc1 .LBB47_2
; %bb.1:
	s_ashr_i32 s7, s6, 31
	s_lshl_b64 s[14:15], s[6:7], 2
	s_add_u32 s2, s2, s14
	s_addc_u32 s3, s3, s15
	s_load_dword s26, s[2:3], 0x0
.LBB47_2:
	s_load_dword s33, s[0:1], 0x0
	s_ashr_i32 s3, s12, 31
	s_load_dwordx4 s[12:15], s[4:5], 0x48
	s_ashr_i32 s2, s6, 31
	v_and_b32_e32 v1, 1, v63
	s_mul_i32 s16, s6, 0x50
	v_cmp_gt_u32_e32 vcc, 40, v63
	v_lshlrev_b32_e32 v0, 3, v63
	v_lshlrev_b32_e32 v43, 2, v63
	s_and_saveexec_b64 s[0:1], vcc
	s_cbranch_execz .LBB47_4
; %bb.3:
	s_load_dwordx2 s[6:7], s[4:5], 0x8
	s_waitcnt lgkmcnt(0)
	s_mul_i32 s20, s12, s10
	s_ashr_i32 s21, s20, 31
	s_lshl_b64 s[20:21], s[20:21], 2
	v_and_b32_e32 v4, 0xff8, v43
	s_add_u32 s12, s6, s20
	s_addc_u32 s15, s7, s21
	s_ashr_i32 s17, s16, 31
	s_lshl_b64 s[6:7], s[16:17], 2
	s_add_u32 s6, s12, s6
	s_addc_u32 s7, s15, s7
	global_load_dwordx2 v[2:3], v0, s[6:7]
	s_movk_i32 s6, 0xa0
	v_mad_u32_u24 v4, v1, s6, v4
	s_waitcnt vmcnt(0)
	ds_write_b64 v4, v[2:3]
.LBB47_4:
	s_or_b64 exec, exec, s[0:1]
	s_waitcnt lgkmcnt(0)
	s_add_i32 s1, s33, 31
	s_ashr_i32 s6, s1, 31
	s_lshr_b32 s6, s6, 27
	s_add_i32 s1, s1, s6
	s_ashr_i32 s12, s1, 5
	s_xor_b32 s1, s2, s3
	s_mul_i32 s2, s19, s11
	s_sub_i32 s2, s18, s2
	s_add_i32 s3, s19, 1
	s_sub_i32 s6, s2, s11
	s_load_dwordx2 s[20:21], s[4:5], 0x28
	s_load_dword s0, s[4:5], 0x38
	s_cmp_ge_u32 s2, s11
	s_cselect_b32 s3, s3, s19
	s_cselect_b32 s2, s6, s2
	s_add_i32 s6, s3, 1
	s_cmp_ge_u32 s2, s11
	s_cselect_b32 s2, s6, s3
	v_lshrrev_b32_e32 v47, 6, v63
	s_xor_b32 s2, s2, s1
	s_waitcnt lgkmcnt(0)
	s_mul_i32 s22, s0, s10
	s_sub_i32 s6, s2, s1
	s_ashr_i32 s23, s22, 31
	v_cmp_gt_i32_e64 s[0:1], s12, v47
	v_cmp_le_i32_e32 vcc, s12, v47
	v_mbcnt_lo_u32_b32 v2, -1, 0
	s_barrier
                                        ; implicit-def: $vgpr45
                                        ; implicit-def: $vgpr46
                                        ; implicit-def: $vgpr48
	s_and_saveexec_b64 s[2:3], vcc
	s_xor_b64 s[2:3], exec, s[2:3]
; %bb.5:
	v_mbcnt_hi_u32_b32 v45, -1, v2
	v_and_b32_e32 v46, 64, v45
	v_add_u32_e32 v48, 64, v46
                                        ; implicit-def: $vgpr0
                                        ; implicit-def: $vgpr1
                                        ; implicit-def: $vgpr2
; %bb.6:
	s_or_saveexec_b64 s[28:29], s[2:3]
	s_load_dwordx2 s[18:19], s[4:5], 0x0
	s_load_dwordx2 s[24:25], s[4:5], 0x18
	s_load_dword s11, s[4:5], 0x88
	v_mov_b32_e32 v50, 0xff7fffff
	s_mul_i32 s14, s6, s14
	v_lshrrev_b32_e32 v44, 4, v63
	s_xor_b64 exec, exec, s[28:29]
	s_cbranch_execz .LBB47_12
; %bb.7:
	s_load_dwordx2 s[2:3], s[4:5], 0x10
	s_ashr_i32 s15, s14, 31
	s_lshl_b64 s[4:5], s[14:15], 2
	v_bfe_u32 v3, v63, 1, 5
	v_lshlrev_b32_e32 v5, 4, v3
	s_waitcnt lgkmcnt(0)
	s_add_u32 s2, s2, s4
	s_addc_u32 s3, s3, s5
	v_mov_b32_e32 v6, s3
	v_add_co_u32_e32 v5, vcc, s2, v5
	v_addc_co_u32_e32 v6, vcc, 0, v6, vcc
	v_and_b32_e32 v0, 8, v0
	v_mbcnt_hi_u32_b32 v45, -1, v2
	v_add_co_u32_e32 v0, vcc, v5, v0
	v_and_b32_e32 v46, 64, v45
	v_addc_co_u32_e32 v49, vcc, 0, v6, vcc
	v_xor_b32_e32 v2, 1, v45
	v_add_u32_e32 v48, 64, v46
	v_lshlrev_b32_e32 v4, 2, v3
	v_cmp_lt_i32_e32 vcc, v2, v48
	s_sub_i32 s15, 1, s33
	s_lshl_b64 s[4:5], s[22:23], 2
	v_mul_u32_u24_e32 v37, 0xa0, v1
	v_cndmask_b32_e32 v2, v45, v2, vcc
	v_cmp_eq_u32_e32 vcc, 0, v1
	v_lshl_or_b32 v1, v47, 7, v4
	s_add_u32 s4, s20, s4
	v_add_u32_e32 v53, 0x150, v1
	v_and_b32_e32 v1, 60, v44
	s_addc_u32 s5, s21, s5
	v_lshlrev_b32_e32 v51, 2, v2
	v_mov_b32_e32 v2, s5
	v_add_co_u32_e64 v41, s[4:5], s4, v1
	v_lshl_or_b32 v52, v47, 5, v3
	v_addc_co_u32_e64 v42, s[4:5], 0, v2, s[4:5]
	ds_read_b128 v[1:4], v37
	ds_read_b128 v[5:8], v37 offset:16
	ds_read_b128 v[9:12], v37 offset:32
	;; [unrolled: 1-line block ×9, first 2 shown]
	s_mov_b32 s17, s13
	v_cmp_neq_f32_e64 s[2:3], s26, 0
	v_mov_b32_e32 v50, 0xff7fffff
	s_mov_b64 s[30:31], 0
	s_movk_i32 s34, 0x1000
	s_movk_i32 s35, 0x2000
	v_mov_b32_e32 v54, v47
	s_branch .LBB47_9
.LBB47_8:                               ;   in Loop: Header=BB47_9 Depth=1
	s_or_b64 exec, exec, s[6:7]
	v_add_u32_e32 v54, 2, v54
	v_cmp_le_i32_e64 s[4:5], s12, v54
	s_or_b64 s[30:31], s[4:5], s[30:31]
	v_add_co_u32_e64 v41, s[4:5], 8, v41
	v_add_u32_e32 v52, 64, v52
	v_add_u32_e32 v53, 0x100, v53
	v_addc_co_u32_e64 v42, s[4:5], 0, v42, s[4:5]
	s_andn2_b64 exec, exec, s[30:31]
	s_cbranch_execz .LBB47_11
.LBB47_9:                               ; =>This Inner Loop Header: Depth=1
	global_load_dword v55, v[41:42], off
	s_waitcnt vmcnt(0) lgkmcnt(0)
	v_mad_i64_i32 v[55:56], s[4:5], v55, s17, 0
	v_lshlrev_b64 v[55:56], 2, v[55:56]
	v_add_co_u32_e64 v57, s[4:5], v0, v55
	v_addc_co_u32_e64 v58, s[4:5], v49, v56, s[4:5]
	global_load_dwordx2 v[55:56], v[57:58], off offset:512
	global_load_dwordx2 v[59:60], v[57:58], off
	global_load_dwordx2 v[61:62], v[57:58], off offset:1024
	s_waitcnt vmcnt(2) lgkmcnt(9)
	v_mul_f32_e32 v55, v3, v55
	v_mul_f32_e32 v56, v4, v56
	s_waitcnt vmcnt(1)
	v_fmac_f32_e32 v55, v1, v59
	v_fmac_f32_e32 v56, v2, v60
	global_load_dwordx2 v[59:60], v[57:58], off offset:1536
	s_waitcnt vmcnt(1) lgkmcnt(8)
	v_fmac_f32_e32 v55, v5, v61
	v_fmac_f32_e32 v56, v6, v62
	global_load_dwordx2 v[61:62], v[57:58], off offset:2048
	s_waitcnt vmcnt(1)
	v_fmac_f32_e32 v55, v7, v59
	v_fmac_f32_e32 v56, v8, v60
	global_load_dwordx2 v[59:60], v[57:58], off offset:2560
	s_waitcnt vmcnt(1) lgkmcnt(7)
	v_fmac_f32_e32 v55, v9, v61
	v_fmac_f32_e32 v56, v10, v62
	global_load_dwordx2 v[61:62], v[57:58], off offset:3072
	s_waitcnt vmcnt(1)
	v_fmac_f32_e32 v55, v11, v59
	v_fmac_f32_e32 v56, v12, v60
	v_add_co_u32_e64 v59, s[4:5], s34, v57
	s_waitcnt vmcnt(0) lgkmcnt(6)
	v_fmac_f32_e32 v55, v13, v61
	v_add_co_u32_e64 v61, s[6:7], s35, v57
	v_fmac_f32_e32 v56, v14, v62
	v_addc_co_u32_e64 v60, s[4:5], 0, v58, s[4:5]
	v_addc_co_u32_e64 v62, s[4:5], 0, v58, s[6:7]
	global_load_dwordx2 v[57:58], v[57:58], off offset:3584
	s_waitcnt vmcnt(0)
	v_fmac_f32_e32 v55, v15, v57
	v_fmac_f32_e32 v56, v16, v58
	global_load_dwordx2 v[57:58], v[61:62], off offset:-4096
	s_waitcnt vmcnt(0) lgkmcnt(5)
	v_fmac_f32_e32 v55, v17, v57
	v_fmac_f32_e32 v56, v18, v58
	global_load_dwordx2 v[57:58], v[59:60], off offset:512
	s_waitcnt vmcnt(0)
	v_fmac_f32_e32 v55, v19, v57
	v_fmac_f32_e32 v56, v20, v58
	global_load_dwordx2 v[57:58], v[59:60], off offset:1024
	s_waitcnt vmcnt(0) lgkmcnt(4)
	v_fmac_f32_e32 v55, v21, v57
	v_fmac_f32_e32 v56, v22, v58
	global_load_dwordx2 v[57:58], v[59:60], off offset:1536
	s_waitcnt vmcnt(0)
	v_fmac_f32_e32 v55, v23, v57
	v_fmac_f32_e32 v56, v24, v58
	global_load_dwordx2 v[57:58], v[59:60], off offset:2048
	;; [unrolled: 8-line block ×3, first 2 shown]
	s_nop 0
	global_load_dwordx2 v[59:60], v[59:60], off offset:3584
	s_waitcnt vmcnt(1) lgkmcnt(2)
	v_fmac_f32_e32 v55, v29, v57
	v_fmac_f32_e32 v56, v30, v58
	global_load_dwordx2 v[57:58], v[61:62], off
	s_waitcnt vmcnt(1)
	v_fmac_f32_e32 v55, v31, v59
	v_fmac_f32_e32 v56, v32, v60
	global_load_dwordx2 v[59:60], v[61:62], off offset:512
	s_waitcnt vmcnt(1) lgkmcnt(1)
	v_fmac_f32_e32 v55, v33, v57
	v_fmac_f32_e32 v56, v34, v58
	global_load_dwordx2 v[57:58], v[61:62], off offset:1024
	s_nop 0
	global_load_dwordx2 v[61:62], v[61:62], off offset:1536
	s_waitcnt vmcnt(2)
	v_fmac_f32_e32 v55, v35, v59
	v_fmac_f32_e32 v56, v36, v60
	s_waitcnt vmcnt(1) lgkmcnt(0)
	v_fmac_f32_e32 v55, v37, v57
	v_fmac_f32_e32 v56, v38, v58
	s_waitcnt vmcnt(0)
	v_fmac_f32_e32 v55, v39, v61
	v_fmac_f32_e32 v56, v40, v62
	v_add_f32_e32 v55, v55, v56
	ds_bpermute_b32 v56, v51, v55
	s_and_saveexec_b64 s[6:7], vcc
	s_cbranch_execz .LBB47_8
; %bb.10:                               ;   in Loop: Header=BB47_9 Depth=1
	v_add_u32_e32 v57, s15, v52
	v_cvt_f32_i32_e32 v57, v57
	s_waitcnt lgkmcnt(0)
	v_add_f32_e32 v55, v55, v56
	v_cmp_gt_i32_e64 s[4:5], s33, v52
	v_max_f32_e32 v56, v50, v50
	v_mul_f32_e32 v57, s26, v57
	v_cndmask_b32_e64 v57, 0, v57, s[2:3]
	v_fmac_f32_e32 v57, s27, v55
	v_cndmask_b32_e64 v55, 0, v57, s[4:5]
	ds_write_b32 v53, v55
	v_max_f32_e32 v55, v56, v57
	v_cndmask_b32_e64 v50, v50, v55, s[4:5]
	s_branch .LBB47_8
.LBB47_11:
	s_or_b64 exec, exec, s[30:31]
.LBB47_12:
	s_or_b64 exec, exec, s[28:29]
	v_xor_b32_e32 v0, 32, v45
	v_cmp_lt_i32_e32 vcc, v0, v48
	v_cndmask_b32_e32 v0, v45, v0, vcc
	v_lshlrev_b32_e32 v0, 2, v0
	ds_bpermute_b32 v1, v0, v50
	v_xor_b32_e32 v3, 16, v45
	v_max_f32_e32 v2, v50, v50
	v_cmp_lt_i32_e32 vcc, v3, v48
	v_xor_b32_e32 v4, 8, v45
	s_waitcnt lgkmcnt(0)
	v_max_f32_e32 v1, v1, v1
	v_max_f32_e32 v2, v2, v1
	v_cndmask_b32_e32 v1, v45, v3, vcc
	v_lshlrev_b32_e32 v1, 2, v1
	ds_bpermute_b32 v3, v1, v2
	v_cmp_lt_i32_e32 vcc, v4, v48
	v_xor_b32_e32 v5, 4, v45
	v_and_b32_e32 v16, 63, v63
	s_waitcnt lgkmcnt(0)
	v_max_f32_e32 v3, v3, v3
	v_max_f32_e32 v3, v2, v3
	v_cndmask_b32_e32 v2, v45, v4, vcc
	v_lshlrev_b32_e32 v2, 2, v2
	ds_bpermute_b32 v4, v2, v3
	v_cmp_lt_i32_e32 vcc, v5, v48
	s_waitcnt lgkmcnt(0)
	v_max_f32_e32 v4, v4, v4
	v_max_f32_e32 v3, v3, v4
	v_cndmask_b32_e32 v4, v45, v5, vcc
	v_lshlrev_b32_e32 v11, 2, v4
	ds_bpermute_b32 v4, v11, v3
	v_xor_b32_e32 v5, 2, v45
	v_cmp_lt_i32_e32 vcc, v5, v48
	s_waitcnt lgkmcnt(0)
	v_max_f32_e32 v4, v4, v4
	v_max_f32_e32 v4, v3, v4
	v_cndmask_b32_e32 v3, v45, v5, vcc
	v_lshlrev_b32_e32 v14, 2, v3
	ds_bpermute_b32 v5, v14, v4
	v_cmp_eq_u32_e32 vcc, 0, v16
	v_lshlrev_b32_e32 v3, 2, v47
	s_and_saveexec_b64 s[2:3], vcc
	s_cbranch_execz .LBB47_14
; %bb.13:
	s_waitcnt lgkmcnt(0)
	v_max_f32_e32 v5, v5, v5
	v_max_f32_e32 v4, v4, v4
	;; [unrolled: 1-line block ×3, first 2 shown]
	ds_write_b32 v3, v4 offset:320
.LBB47_14:
	s_or_b64 exec, exec, s[2:3]
	v_cmp_gt_u32_e64 s[2:3], 2, v16
	s_waitcnt lgkmcnt(0)
	v_mov_b32_e32 v5, 0xff7fffff
	v_lshlrev_b32_e32 v4, 2, v16
	s_barrier
	s_and_saveexec_b64 s[4:5], s[2:3]
; %bb.15:
	ds_read_b32 v5, v4 offset:320
; %bb.16:
	s_or_b64 exec, exec, s[4:5]
	v_xor_b32_e32 v6, 1, v45
	v_cmp_lt_i32_e64 s[4:5], v6, v48
	v_cndmask_b32_e64 v6, v45, v6, s[4:5]
	v_lshlrev_b32_e32 v17, 2, v6
	s_waitcnt lgkmcnt(0)
	ds_bpermute_b32 v6, v17, v5
	v_max_f32_e32 v5, v5, v5
	s_lshl_b32 s4, s12, 5
	s_min_i32 s15, s4, s33
	v_cmp_gt_i32_e64 s[4:5], s15, v63
	s_waitcnt lgkmcnt(0)
	v_max_f32_e32 v6, v6, v6
	v_max_f32_e32 v5, v5, v6
	v_lshlrev_b32_e32 v6, 2, v46
	ds_bpermute_b32 v6, v6, v5
	v_mov_b32_e32 v5, 0
	s_and_saveexec_b64 s[26:27], s[4:5]
	s_cbranch_execz .LBB47_20
; %bb.17:
	v_mov_b32_e32 v5, 0x150
	v_lshl_add_u32 v7, v63, 2, v5
	v_mov_b32_e32 v5, 0
	s_mov_b64 s[28:29], 0
	v_mov_b32_e32 v8, v63
.LBB47_18:                              ; =>This Inner Loop Header: Depth=1
	ds_read_b32 v9, v7
	v_add_u32_e32 v8, 0x80, v8
	v_cmp_le_i32_e64 s[6:7], s15, v8
	s_or_b64 s[28:29], s[6:7], s[28:29]
	s_waitcnt lgkmcnt(0)
	v_sub_f32_e32 v9, v9, v6
	v_mul_f32_e32 v9, 0x3fb8aa3b, v9
	v_exp_f32_e32 v9, v9
	ds_write_b32 v7, v9
	v_add_f32_e32 v5, v5, v9
	v_add_u32_e32 v7, 0x200, v7
	s_andn2_b64 exec, exec, s[28:29]
	s_cbranch_execnz .LBB47_18
; %bb.19:
	s_or_b64 exec, exec, s[28:29]
.LBB47_20:
	s_or_b64 exec, exec, s[26:27]
	ds_bpermute_b32 v0, v0, v5
	s_waitcnt lgkmcnt(0)
	v_add_f32_e32 v0, v5, v0
	ds_bpermute_b32 v1, v1, v0
	s_waitcnt lgkmcnt(0)
	v_add_f32_e32 v0, v0, v1
	;; [unrolled: 3-line block ×6, first 2 shown]
	s_and_saveexec_b64 s[6:7], vcc
; %bb.21:
	ds_write_b32 v3, v0 offset:328
; %bb.22:
	s_or_b64 exec, exec, s[6:7]
	s_waitcnt lgkmcnt(0)
	s_barrier
	s_and_saveexec_b64 s[6:7], s[2:3]
; %bb.23:
	ds_read_b32 v0, v4 offset:328
; %bb.24:
	s_or_b64 exec, exec, s[6:7]
	s_waitcnt lgkmcnt(0)
	ds_bpermute_b32 v1, v17, v0
	v_lshlrev_b32_e32 v2, 2, v45
	s_waitcnt lgkmcnt(0)
	v_add_f32_e32 v0, v0, v1
	v_and_b32_e32 v1, 0xffffff00, v2
	ds_bpermute_b32 v0, v1, v0
	s_and_saveexec_b64 s[2:3], s[4:5]
	s_cbranch_execz .LBB47_27
; %bb.25:
	s_waitcnt lgkmcnt(0)
	v_add_f32_e32 v1, 0x358637bd, v0
	v_div_scale_f32 v0, s[4:5], v1, v1, 1.0
	v_div_scale_f32 v2, vcc, 1.0, v1, 1.0
	s_mov_b64 s[4:5], 0
	v_rcp_f32_e32 v3, v0
	v_fma_f32 v4, -v0, v3, 1.0
	v_fmac_f32_e32 v3, v4, v3
	v_mul_f32_e32 v4, v2, v3
	v_fma_f32 v5, -v0, v4, v2
	v_fmac_f32_e32 v4, v5, v3
	v_fma_f32 v0, -v0, v4, v2
	v_div_fmas_f32 v2, v0, v3, v4
	v_mov_b32_e32 v0, 0x150
	v_lshl_add_u32 v0, v63, 2, v0
	v_div_fixup_f32 v1, v2, v1, 1.0
	v_mov_b32_e32 v2, v63
.LBB47_26:                              ; =>This Inner Loop Header: Depth=1
	ds_read_b32 v3, v0
	v_add_u32_e32 v2, 0x80, v2
	v_cmp_le_i32_e32 vcc, s15, v2
	s_or_b64 s[4:5], vcc, s[4:5]
	s_waitcnt lgkmcnt(0)
	v_mul_f32_e32 v3, v1, v3
	ds_write_b32 v0, v3
	v_add_u32_e32 v0, 0x200, v0
	s_andn2_b64 exec, exec, s[4:5]
	s_cbranch_execnz .LBB47_26
.LBB47_27:
	s_or_b64 exec, exec, s[2:3]
	v_mov_b32_e32 v61, 0
	v_and_b32_e32 v18, 7, v63
	v_mov_b32_e32 v62, 0
	v_mov_b32_e32 v60, 0
	;; [unrolled: 1-line block ×9, first 2 shown]
	s_waitcnt lgkmcnt(0)
	s_barrier
	s_and_saveexec_b64 s[2:3], s[0:1]
	s_cbranch_execz .LBB47_51
; %bb.28:
	s_ashr_i32 s15, s14, 31
	s_lshl_b64 s[0:1], s[14:15], 2
	v_lshlrev_b32_e32 v1, 4, v63
	s_add_u32 s0, s24, s0
	v_and_b32_e32 v1, 0x3f0, v1
	buffer_store_dword v17, off, s[36:39], 0 offset:16 ; 4-byte Folded Spill
	buffer_store_dword v14, off, s[36:39], 0 offset:12 ; 4-byte Folded Spill
	;; [unrolled: 1-line block ×4, first 2 shown]
	v_and_b32_e32 v0, 28, v43
	s_addc_u32 s1, s25, s1
	buffer_store_dword v63, off, s[36:39], 0 ; 4-byte Folded Spill
	v_add_co_u32_e32 v63, vcc, s0, v1
	v_lshlrev_b32_e32 v1, 5, v47
	s_add_i32 s14, s12, -1
	v_mov_b32_e32 v2, s1
	v_or3_b32 v52, v1, v0, 3
	v_lshlrev_b32_e32 v0, 4, v18
	s_lshl_b64 s[0:1], s[22:23], 2
	v_lshl_or_b32 v0, v47, 7, v0
	s_add_u32 s0, s20, s0
	v_addc_co_u32_e32 v48, vcc, 0, v2, vcc
	v_add_u32_e32 v49, 0x150, v0
	v_and_b32_e32 v0, 60, v44
	s_addc_u32 s1, s21, s1
	v_mov_b32_e32 v1, s1
	v_add_co_u32_e32 v45, vcc, s0, v0
	v_mov_b32_e32 v53, 0
	v_addc_co_u32_e32 v46, vcc, 0, v1, vcc
	s_mov_b64 s[4:5], 0
	v_mov_b32_e32 v54, 0
	v_mov_b32_e32 v55, 0
	;; [unrolled: 1-line block ×9, first 2 shown]
	buffer_store_dword v18, off, s[36:39], 0 offset:20 ; 4-byte Folded Spill
	s_branch .LBB47_30
.LBB47_29:                              ;   in Loop: Header=BB47_30 Depth=1
	s_or_b64 exec, exec, s[6:7]
	s_waitcnt vmcnt(1) lgkmcnt(0)
	v_mul_f32_e32 v0, v1, v41
	v_fmac_f32_e32 v0, v2, v42
	v_fmac_f32_e32 v0, v3, v43
	v_fmac_f32_e32 v0, v4, v44
	v_add_f32_e32 v54, v54, v0
	v_mul_f32_e32 v0, v1, v33
	v_fmac_f32_e32 v0, v2, v34
	v_fmac_f32_e32 v0, v3, v35
	v_fmac_f32_e32 v0, v4, v36
	v_add_f32_e32 v55, v55, v0
	;; [unrolled: 5-line block ×9, first 2 shown]
	s_waitcnt vmcnt(0)
	v_mul_f32_e32 v0, v1, v37
	v_fmac_f32_e32 v0, v2, v38
	v_add_u32_e32 v47, 2, v47
	v_fmac_f32_e32 v0, v3, v39
	v_cmp_le_i32_e32 vcc, s12, v47
	v_fmac_f32_e32 v0, v4, v40
	s_or_b64 s[4:5], vcc, s[4:5]
	v_add_co_u32_e32 v45, vcc, 8, v45
	v_add_f32_e32 v53, v53, v0
	v_add_u32_e32 v52, 64, v52
	v_add_u32_e32 v49, 0x100, v49
	v_addc_co_u32_e32 v46, vcc, 0, v46, vcc
	s_andn2_b64 exec, exec, s[4:5]
	s_cbranch_execz .LBB47_50
.LBB47_30:                              ; =>This Inner Loop Header: Depth=1
	global_load_dword v0, v[45:46], off
	v_add_u32_e32 v51, -2, v52
	v_add_u32_e32 v50, -1, v52
	s_waitcnt vmcnt(0)
	v_mad_i64_i32 v[0:1], s[0:1], v0, s13, 0
	v_cmp_eq_u32_e64 s[0:1], s14, v47
	v_lshlrev_b64 v[0:1], 2, v[0:1]
	v_add_co_u32_e32 v37, vcc, v63, v0
	v_addc_co_u32_e32 v38, vcc, v48, v1, vcc
	global_load_dwordx4 v[5:8], v[37:38], off
	ds_read_b128 v[1:4], v49
	v_add_u32_e32 v0, -3, v52
	s_and_saveexec_b64 s[6:7], s[0:1]
	s_cbranch_execnz .LBB47_47
; %bb.31:                               ;   in Loop: Header=BB47_30 Depth=1
	s_or_b64 exec, exec, s[6:7]
	global_load_dwordx4 v[9:12], v[37:38], off offset:1024
	s_and_saveexec_b64 s[6:7], s[0:1]
	s_cbranch_execnz .LBB47_48
.LBB47_32:                              ;   in Loop: Header=BB47_30 Depth=1
	s_or_b64 exec, exec, s[6:7]
	global_load_dwordx4 v[13:16], v[37:38], off offset:2048
	s_and_saveexec_b64 s[6:7], s[0:1]
	s_cbranch_execnz .LBB47_49
.LBB47_33:                              ;   in Loop: Header=BB47_30 Depth=1
	s_or_b64 exec, exec, s[6:7]
	global_load_dwordx4 v[17:20], v[37:38], off offset:3072
	s_and_saveexec_b64 s[6:7], s[0:1]
	s_cbranch_execz .LBB47_35
.LBB47_34:                              ;   in Loop: Header=BB47_30 Depth=1
	v_cmp_gt_i32_e32 vcc, s33, v0
	s_waitcnt vmcnt(0)
	v_cndmask_b32_e32 v17, 0, v17, vcc
	v_cmp_gt_i32_e32 vcc, s33, v51
	v_cndmask_b32_e32 v18, 0, v18, vcc
	v_cmp_gt_i32_e32 vcc, s33, v50
	;; [unrolled: 2-line block ×3, first 2 shown]
	v_cndmask_b32_e32 v20, 0, v20, vcc
.LBB47_35:                              ;   in Loop: Header=BB47_30 Depth=1
	s_or_b64 exec, exec, s[6:7]
	v_add_co_u32_e32 v21, vcc, 0x1000, v37
	v_addc_co_u32_e32 v22, vcc, 0, v38, vcc
	global_load_dwordx4 v[21:24], v[21:22], off
	s_and_saveexec_b64 s[6:7], s[0:1]
	s_cbranch_execz .LBB47_37
; %bb.36:                               ;   in Loop: Header=BB47_30 Depth=1
	v_cmp_gt_i32_e32 vcc, s33, v0
	s_waitcnt vmcnt(0)
	v_cndmask_b32_e32 v21, 0, v21, vcc
	v_cmp_gt_i32_e32 vcc, s33, v51
	v_cndmask_b32_e32 v22, 0, v22, vcc
	v_cmp_gt_i32_e32 vcc, s33, v50
	v_cndmask_b32_e32 v23, 0, v23, vcc
	v_cmp_gt_i32_e32 vcc, s33, v52
	v_cndmask_b32_e32 v24, 0, v24, vcc
.LBB47_37:                              ;   in Loop: Header=BB47_30 Depth=1
	s_or_b64 exec, exec, s[6:7]
	v_add_co_u32_e32 v25, vcc, 0x1000, v37
	v_addc_co_u32_e32 v26, vcc, 0, v38, vcc
	global_load_dwordx4 v[25:28], v[25:26], off offset:1024
	s_and_saveexec_b64 s[6:7], s[0:1]
	s_cbranch_execz .LBB47_39
; %bb.38:                               ;   in Loop: Header=BB47_30 Depth=1
	v_cmp_gt_i32_e32 vcc, s33, v0
	s_waitcnt vmcnt(0)
	v_cndmask_b32_e32 v25, 0, v25, vcc
	v_cmp_gt_i32_e32 vcc, s33, v51
	v_cndmask_b32_e32 v26, 0, v26, vcc
	v_cmp_gt_i32_e32 vcc, s33, v50
	v_cndmask_b32_e32 v27, 0, v27, vcc
	v_cmp_gt_i32_e32 vcc, s33, v52
	v_cndmask_b32_e32 v28, 0, v28, vcc
.LBB47_39:                              ;   in Loop: Header=BB47_30 Depth=1
	s_or_b64 exec, exec, s[6:7]
	v_add_co_u32_e32 v29, vcc, 0x1000, v37
	v_addc_co_u32_e32 v30, vcc, 0, v38, vcc
	global_load_dwordx4 v[29:32], v[29:30], off offset:2048
	;; [unrolled: 17-line block ×3, first 2 shown]
	s_and_saveexec_b64 s[6:7], s[0:1]
	s_cbranch_execz .LBB47_43
; %bb.42:                               ;   in Loop: Header=BB47_30 Depth=1
	v_cmp_gt_i32_e32 vcc, s33, v0
	s_waitcnt vmcnt(0)
	v_cndmask_b32_e32 v33, 0, v33, vcc
	v_cmp_gt_i32_e32 vcc, s33, v51
	v_cndmask_b32_e32 v34, 0, v34, vcc
	v_cmp_gt_i32_e32 vcc, s33, v50
	;; [unrolled: 2-line block ×3, first 2 shown]
	v_cndmask_b32_e32 v36, 0, v36, vcc
.LBB47_43:                              ;   in Loop: Header=BB47_30 Depth=1
	s_or_b64 exec, exec, s[6:7]
	v_add_co_u32_e32 v39, vcc, 0x2000, v37
	v_addc_co_u32_e32 v40, vcc, 0, v38, vcc
	global_load_dwordx4 v[41:44], v[39:40], off
	s_and_saveexec_b64 s[6:7], s[0:1]
	s_cbranch_execz .LBB47_45
; %bb.44:                               ;   in Loop: Header=BB47_30 Depth=1
	v_cmp_gt_i32_e32 vcc, s33, v0
	s_waitcnt vmcnt(0)
	v_cndmask_b32_e32 v41, 0, v41, vcc
	v_cmp_gt_i32_e32 vcc, s33, v51
	v_cndmask_b32_e32 v42, 0, v42, vcc
	v_cmp_gt_i32_e32 vcc, s33, v50
	;; [unrolled: 2-line block ×3, first 2 shown]
	v_cndmask_b32_e32 v44, 0, v44, vcc
.LBB47_45:                              ;   in Loop: Header=BB47_30 Depth=1
	s_or_b64 exec, exec, s[6:7]
	v_add_co_u32_e32 v37, vcc, 0x2000, v37
	v_addc_co_u32_e32 v38, vcc, 0, v38, vcc
	global_load_dwordx4 v[37:40], v[37:38], off offset:1024
	s_and_saveexec_b64 s[6:7], s[0:1]
	s_cbranch_execz .LBB47_29
; %bb.46:                               ;   in Loop: Header=BB47_30 Depth=1
	v_cmp_gt_i32_e32 vcc, s33, v0
	s_waitcnt vmcnt(0)
	v_cndmask_b32_e32 v37, 0, v37, vcc
	v_cmp_gt_i32_e32 vcc, s33, v51
	v_cndmask_b32_e32 v38, 0, v38, vcc
	v_cmp_gt_i32_e32 vcc, s33, v50
	;; [unrolled: 2-line block ×3, first 2 shown]
	v_cndmask_b32_e32 v40, 0, v40, vcc
	s_branch .LBB47_29
.LBB47_47:                              ;   in Loop: Header=BB47_30 Depth=1
	v_cmp_gt_i32_e32 vcc, s33, v0
	s_waitcnt vmcnt(0)
	v_cndmask_b32_e32 v5, 0, v5, vcc
	v_cmp_gt_i32_e32 vcc, s33, v51
	v_cndmask_b32_e32 v6, 0, v6, vcc
	v_cmp_gt_i32_e32 vcc, s33, v50
	v_cndmask_b32_e32 v7, 0, v7, vcc
	v_cmp_gt_i32_e32 vcc, s33, v52
	v_cndmask_b32_e32 v8, 0, v8, vcc
	s_or_b64 exec, exec, s[6:7]
	global_load_dwordx4 v[9:12], v[37:38], off offset:1024
	s_and_saveexec_b64 s[6:7], s[0:1]
	s_cbranch_execz .LBB47_32
.LBB47_48:                              ;   in Loop: Header=BB47_30 Depth=1
	v_cmp_gt_i32_e32 vcc, s33, v0
	s_waitcnt vmcnt(0)
	v_cndmask_b32_e32 v9, 0, v9, vcc
	v_cmp_gt_i32_e32 vcc, s33, v51
	v_cndmask_b32_e32 v10, 0, v10, vcc
	v_cmp_gt_i32_e32 vcc, s33, v50
	v_cndmask_b32_e32 v11, 0, v11, vcc
	v_cmp_gt_i32_e32 vcc, s33, v52
	v_cndmask_b32_e32 v12, 0, v12, vcc
	s_or_b64 exec, exec, s[6:7]
	global_load_dwordx4 v[13:16], v[37:38], off offset:2048
	s_and_saveexec_b64 s[6:7], s[0:1]
	s_cbranch_execz .LBB47_33
.LBB47_49:                              ;   in Loop: Header=BB47_30 Depth=1
	v_cmp_gt_i32_e32 vcc, s33, v0
	s_waitcnt vmcnt(0)
	v_cndmask_b32_e32 v13, 0, v13, vcc
	v_cmp_gt_i32_e32 vcc, s33, v51
	v_cndmask_b32_e32 v14, 0, v14, vcc
	v_cmp_gt_i32_e32 vcc, s33, v50
	;; [unrolled: 2-line block ×3, first 2 shown]
	v_cndmask_b32_e32 v16, 0, v16, vcc
	s_or_b64 exec, exec, s[6:7]
	global_load_dwordx4 v[17:20], v[37:38], off offset:3072
	s_and_saveexec_b64 s[6:7], s[0:1]
	s_cbranch_execnz .LBB47_34
	s_branch .LBB47_35
.LBB47_50:
	s_or_b64 exec, exec, s[4:5]
	buffer_load_dword v63, off, s[36:39], 0 ; 4-byte Folded Reload
	buffer_load_dword v16, off, s[36:39], 0 offset:4 ; 4-byte Folded Reload
	buffer_load_dword v11, off, s[36:39], 0 offset:8 ; 4-byte Folded Reload
	;; [unrolled: 1-line block ×5, first 2 shown]
.LBB47_51:
	s_or_b64 exec, exec, s[2:3]
	s_waitcnt vmcnt(3)
	ds_bpermute_b32 v0, v11, v61
	ds_bpermute_b32 v1, v11, v62
	;; [unrolled: 1-line block ×5, first 2 shown]
	s_waitcnt lgkmcnt(4)
	v_add_f32_e32 v0, v61, v0
	s_waitcnt lgkmcnt(3)
	v_add_f32_e32 v1, v62, v1
	s_waitcnt vmcnt(2)
	ds_bpermute_b32 v4, v14, v0
	ds_bpermute_b32 v5, v14, v1
	s_waitcnt lgkmcnt(4)
	v_add_f32_e32 v2, v60, v2
	ds_bpermute_b32 v6, v14, v2
	s_waitcnt lgkmcnt(4)
	v_add_f32_e32 v3, v59, v3
	s_waitcnt lgkmcnt(2)
	v_add_f32_e32 v0, v0, v4
	;; [unrolled: 2-line block ×3, first 2 shown]
	s_waitcnt vmcnt(1)
	ds_bpermute_b32 v4, v17, v0
	ds_bpermute_b32 v5, v17, v1
	s_waitcnt lgkmcnt(2)
	v_add_f32_e32 v2, v2, v6
	ds_bpermute_b32 v6, v17, v2
	s_waitcnt lgkmcnt(0)
	v_add_f32_e32 v0, v0, v4
	ds_bpermute_b32 v4, v14, v3
	v_add_f32_e32 v1, v1, v5
	v_add_f32_e32 v5, v58, v7
	ds_bpermute_b32 v7, v14, v5
	v_add_f32_e32 v2, v2, v6
	s_waitcnt lgkmcnt(1)
	v_add_f32_e32 v3, v3, v4
	ds_bpermute_b32 v4, v11, v57
	ds_bpermute_b32 v6, v17, v3
	s_waitcnt lgkmcnt(2)
	v_add_f32_e32 v5, v5, v7
	ds_bpermute_b32 v7, v11, v56
	ds_bpermute_b32 v8, v17, v5
	s_waitcnt lgkmcnt(3)
	v_add_f32_e32 v9, v57, v4
	s_waitcnt lgkmcnt(2)
	v_add_f32_e32 v3, v3, v6
	ds_bpermute_b32 v10, v14, v9
	s_waitcnt lgkmcnt(2)
	v_add_f32_e32 v6, v56, v7
	ds_bpermute_b32 v7, v14, v6
	s_waitcnt lgkmcnt(2)
	v_add_f32_e32 v4, v5, v8
	s_waitcnt vmcnt(0) lgkmcnt(0)
	s_barrier
	v_add_f32_e32 v5, v9, v10
	ds_bpermute_b32 v9, v11, v55
	v_add_f32_e32 v6, v6, v7
	ds_bpermute_b32 v7, v11, v54
	ds_bpermute_b32 v11, v11, v53
	;; [unrolled: 1-line block ×3, first 2 shown]
	s_waitcnt lgkmcnt(3)
	v_add_f32_e32 v9, v55, v9
	ds_bpermute_b32 v12, v14, v9
	s_waitcnt lgkmcnt(3)
	v_add_f32_e32 v7, v54, v7
	s_waitcnt lgkmcnt(2)
	v_add_f32_e32 v11, v53, v11
	ds_bpermute_b32 v13, v14, v7
	ds_bpermute_b32 v14, v14, v11
	s_waitcnt lgkmcnt(2)
	v_add_f32_e32 v9, v9, v12
	ds_bpermute_b32 v12, v17, v9
	ds_bpermute_b32 v10, v17, v6
	s_waitcnt lgkmcnt(3)
	v_add_f32_e32 v13, v7, v13
	s_waitcnt lgkmcnt(2)
	v_add_f32_e32 v11, v11, v14
	ds_bpermute_b32 v14, v17, v11
	ds_bpermute_b32 v15, v17, v13
	s_waitcnt lgkmcnt(3)
	v_add_f32_e32 v7, v9, v12
	v_add_f32_e32 v5, v5, v8
	s_waitcnt lgkmcnt(2)
	v_add_f32_e32 v6, v6, v10
	s_waitcnt lgkmcnt(1)
	v_add_f32_e32 v9, v11, v14
	v_and_b32_e32 v11, 0x3c7, v63
	s_waitcnt lgkmcnt(0)
	v_add_f32_e32 v8, v13, v15
	v_cmp_eq_u32_e32 vcc, 64, v11
	s_and_saveexec_b64 s[0:1], vcc
	s_cbranch_execz .LBB47_53
; %bb.52:
	v_lshrrev_b32_e32 v10, 1, v16
	v_add_u32_e32 v10, 0x150, v10
	ds_write2_b32 v10, v0, v1 offset1:8
	ds_write2_b32 v10, v2, v3 offset0:16 offset1:24
	ds_write2_b32 v10, v4, v5 offset0:32 offset1:40
	;; [unrolled: 1-line block ×4, first 2 shown]
.LBB47_53:
	s_or_b64 exec, exec, s[0:1]
	v_cmp_gt_u32_e32 vcc, 64, v63
	v_lshrrev_b32_e32 v10, 3, v63
	s_waitcnt lgkmcnt(0)
	s_barrier
	s_and_saveexec_b64 s[0:1], vcc
	s_cbranch_execz .LBB47_66
; %bb.54:
	v_mov_b32_e32 v12, 0x150
	v_cmp_eq_u32_e32 vcc, 0, v18
	v_lshl_add_u32 v12, v10, 2, v12
	s_and_saveexec_b64 s[2:3], vcc
	s_cbranch_execnz .LBB47_69
; %bb.55:
	s_or_b64 exec, exec, s[2:3]
	s_and_saveexec_b64 s[2:3], vcc
	s_cbranch_execnz .LBB47_70
.LBB47_56:
	s_or_b64 exec, exec, s[2:3]
	s_and_saveexec_b64 s[2:3], vcc
	s_cbranch_execnz .LBB47_71
.LBB47_57:
	s_or_b64 exec, exec, s[2:3]
	s_and_saveexec_b64 s[2:3], vcc
	s_cbranch_execnz .LBB47_72
.LBB47_58:
	s_or_b64 exec, exec, s[2:3]
	s_and_saveexec_b64 s[2:3], vcc
	s_cbranch_execnz .LBB47_73
.LBB47_59:
	s_or_b64 exec, exec, s[2:3]
	s_and_saveexec_b64 s[2:3], vcc
	s_cbranch_execnz .LBB47_74
.LBB47_60:
	s_or_b64 exec, exec, s[2:3]
	s_and_saveexec_b64 s[2:3], vcc
	s_cbranch_execnz .LBB47_75
.LBB47_61:
	s_or_b64 exec, exec, s[2:3]
	s_and_saveexec_b64 s[2:3], vcc
	s_cbranch_execnz .LBB47_76
.LBB47_62:
	s_or_b64 exec, exec, s[2:3]
	s_and_saveexec_b64 s[2:3], vcc
	s_cbranch_execnz .LBB47_77
.LBB47_63:
	s_or_b64 exec, exec, s[2:3]
	s_and_saveexec_b64 s[2:3], vcc
	s_cbranch_execz .LBB47_65
.LBB47_64:
	ds_read_b32 v12, v12 offset:288
	s_waitcnt lgkmcnt(0)
	v_add_f32_e32 v9, v9, v12
.LBB47_65:
	s_or_b64 exec, exec, s[2:3]
.LBB47_66:
	s_or_b64 exec, exec, s[0:1]
	v_cmp_eq_u32_e32 vcc, 0, v11
	s_barrier
	s_and_saveexec_b64 s[0:1], vcc
	s_cbranch_execz .LBB47_68
; %bb.67:
	s_mul_i32 s0, s10, s11
	s_mul_i32 s0, s0, s9
	s_mulk_i32 s0, 0x50
	s_ashr_i32 s1, s0, 31
	s_lshl_b64 s[0:1], s[0:1], 2
	s_add_u32 s2, s18, s0
	s_mul_i32 s0, s11, s16
	s_addc_u32 s3, s19, s1
	s_ashr_i32 s1, s0, 31
	s_lshl_b64 s[0:1], s[0:1], 2
	s_add_u32 s2, s2, s0
	s_mul_i32 s0, s8, 0x50
	s_addc_u32 s3, s3, s1
	s_ashr_i32 s1, s0, 31
	s_lshl_b64 s[0:1], s[0:1], 2
	s_add_u32 s0, s2, s0
	s_addc_u32 s1, s3, s1
	v_lshlrev_b32_e32 v10, 2, v10
	global_store_dword v10, v0, s[0:1]
	global_store_dword v10, v1, s[0:1] offset:32
	global_store_dword v10, v2, s[0:1] offset:64
	;; [unrolled: 1-line block ×9, first 2 shown]
.LBB47_68:
	s_endpgm
.LBB47_69:
	ds_read_b32 v13, v12
	s_waitcnt lgkmcnt(0)
	v_add_f32_e32 v0, v0, v13
	s_or_b64 exec, exec, s[2:3]
	s_and_saveexec_b64 s[2:3], vcc
	s_cbranch_execz .LBB47_56
.LBB47_70:
	ds_read_b32 v13, v12 offset:32
	s_waitcnt lgkmcnt(0)
	v_add_f32_e32 v1, v1, v13
	s_or_b64 exec, exec, s[2:3]
	s_and_saveexec_b64 s[2:3], vcc
	s_cbranch_execz .LBB47_57
.LBB47_71:
	ds_read_b32 v13, v12 offset:64
	s_waitcnt lgkmcnt(0)
	v_add_f32_e32 v2, v2, v13
	s_or_b64 exec, exec, s[2:3]
	s_and_saveexec_b64 s[2:3], vcc
	s_cbranch_execz .LBB47_58
.LBB47_72:
	ds_read_b32 v13, v12 offset:96
	s_waitcnt lgkmcnt(0)
	v_add_f32_e32 v3, v3, v13
	s_or_b64 exec, exec, s[2:3]
	s_and_saveexec_b64 s[2:3], vcc
	s_cbranch_execz .LBB47_59
.LBB47_73:
	ds_read_b32 v13, v12 offset:128
	s_waitcnt lgkmcnt(0)
	v_add_f32_e32 v4, v4, v13
	s_or_b64 exec, exec, s[2:3]
	s_and_saveexec_b64 s[2:3], vcc
	s_cbranch_execz .LBB47_60
.LBB47_74:
	ds_read_b32 v13, v12 offset:160
	s_waitcnt lgkmcnt(0)
	v_add_f32_e32 v5, v5, v13
	s_or_b64 exec, exec, s[2:3]
	s_and_saveexec_b64 s[2:3], vcc
	s_cbranch_execz .LBB47_61
.LBB47_75:
	ds_read_b32 v13, v12 offset:192
	s_waitcnt lgkmcnt(0)
	v_add_f32_e32 v6, v6, v13
	s_or_b64 exec, exec, s[2:3]
	s_and_saveexec_b64 s[2:3], vcc
	s_cbranch_execz .LBB47_62
.LBB47_76:
	ds_read_b32 v13, v12 offset:224
	s_waitcnt lgkmcnt(0)
	v_add_f32_e32 v7, v7, v13
	s_or_b64 exec, exec, s[2:3]
	s_and_saveexec_b64 s[2:3], vcc
	s_cbranch_execz .LBB47_63
.LBB47_77:
	ds_read_b32 v13, v12 offset:256
	s_waitcnt lgkmcnt(0)
	v_add_f32_e32 v8, v8, v13
	s_or_b64 exec, exec, s[2:3]
	s_and_saveexec_b64 s[2:3], vcc
	s_cbranch_execnz .LBB47_64
	s_branch .LBB47_65
	.section	.rodata,"a",@progbits
	.p2align	6, 0x0
	.amdhsa_kernel _ZN4vllm25paged_attention_v1_kernelIffLi80ELi32ELi128ELNS_18Fp8KVCacheDataTypeE0ELb0EEEvPT_PKS2_PKT0_S8_ifPKiSA_iPKfiiiSC_SC_iiiii
		.amdhsa_group_segment_fixed_size 336
		.amdhsa_private_segment_fixed_size 28
		.amdhsa_kernarg_size 384
		.amdhsa_user_sgpr_count 6
		.amdhsa_user_sgpr_private_segment_buffer 1
		.amdhsa_user_sgpr_dispatch_ptr 0
		.amdhsa_user_sgpr_queue_ptr 0
		.amdhsa_user_sgpr_kernarg_segment_ptr 1
		.amdhsa_user_sgpr_dispatch_id 0
		.amdhsa_user_sgpr_flat_scratch_init 0
		.amdhsa_user_sgpr_private_segment_size 0
		.amdhsa_uses_dynamic_stack 0
		.amdhsa_system_sgpr_private_segment_wavefront_offset 1
		.amdhsa_system_sgpr_workgroup_id_x 1
		.amdhsa_system_sgpr_workgroup_id_y 1
		.amdhsa_system_sgpr_workgroup_id_z 1
		.amdhsa_system_sgpr_workgroup_info 0
		.amdhsa_system_vgpr_workitem_id 0
		.amdhsa_next_free_vgpr 64
		.amdhsa_next_free_sgpr 40
		.amdhsa_reserve_vcc 1
		.amdhsa_reserve_flat_scratch 0
		.amdhsa_float_round_mode_32 0
		.amdhsa_float_round_mode_16_64 0
		.amdhsa_float_denorm_mode_32 3
		.amdhsa_float_denorm_mode_16_64 3
		.amdhsa_dx10_clamp 1
		.amdhsa_ieee_mode 1
		.amdhsa_fp16_overflow 0
		.amdhsa_exception_fp_ieee_invalid_op 0
		.amdhsa_exception_fp_denorm_src 0
		.amdhsa_exception_fp_ieee_div_zero 0
		.amdhsa_exception_fp_ieee_overflow 0
		.amdhsa_exception_fp_ieee_underflow 0
		.amdhsa_exception_fp_ieee_inexact 0
		.amdhsa_exception_int_div_zero 0
	.end_amdhsa_kernel
	.section	.text._ZN4vllm25paged_attention_v1_kernelIffLi80ELi32ELi128ELNS_18Fp8KVCacheDataTypeE0ELb0EEEvPT_PKS2_PKT0_S8_ifPKiSA_iPKfiiiSC_SC_iiiii,"axG",@progbits,_ZN4vllm25paged_attention_v1_kernelIffLi80ELi32ELi128ELNS_18Fp8KVCacheDataTypeE0ELb0EEEvPT_PKS2_PKT0_S8_ifPKiSA_iPKfiiiSC_SC_iiiii,comdat
.Lfunc_end47:
	.size	_ZN4vllm25paged_attention_v1_kernelIffLi80ELi32ELi128ELNS_18Fp8KVCacheDataTypeE0ELb0EEEvPT_PKS2_PKT0_S8_ifPKiSA_iPKfiiiSC_SC_iiiii, .Lfunc_end47-_ZN4vllm25paged_attention_v1_kernelIffLi80ELi32ELi128ELNS_18Fp8KVCacheDataTypeE0ELb0EEEvPT_PKS2_PKT0_S8_ifPKiSA_iPKfiiiSC_SC_iiiii
                                        ; -- End function
	.set _ZN4vllm25paged_attention_v1_kernelIffLi80ELi32ELi128ELNS_18Fp8KVCacheDataTypeE0ELb0EEEvPT_PKS2_PKT0_S8_ifPKiSA_iPKfiiiSC_SC_iiiii.num_vgpr, 64
	.set _ZN4vllm25paged_attention_v1_kernelIffLi80ELi32ELi128ELNS_18Fp8KVCacheDataTypeE0ELb0EEEvPT_PKS2_PKT0_S8_ifPKiSA_iPKfiiiSC_SC_iiiii.num_agpr, 0
	.set _ZN4vllm25paged_attention_v1_kernelIffLi80ELi32ELi128ELNS_18Fp8KVCacheDataTypeE0ELb0EEEvPT_PKS2_PKT0_S8_ifPKiSA_iPKfiiiSC_SC_iiiii.numbered_sgpr, 40
	.set _ZN4vllm25paged_attention_v1_kernelIffLi80ELi32ELi128ELNS_18Fp8KVCacheDataTypeE0ELb0EEEvPT_PKS2_PKT0_S8_ifPKiSA_iPKfiiiSC_SC_iiiii.num_named_barrier, 0
	.set _ZN4vllm25paged_attention_v1_kernelIffLi80ELi32ELi128ELNS_18Fp8KVCacheDataTypeE0ELb0EEEvPT_PKS2_PKT0_S8_ifPKiSA_iPKfiiiSC_SC_iiiii.private_seg_size, 28
	.set _ZN4vllm25paged_attention_v1_kernelIffLi80ELi32ELi128ELNS_18Fp8KVCacheDataTypeE0ELb0EEEvPT_PKS2_PKT0_S8_ifPKiSA_iPKfiiiSC_SC_iiiii.uses_vcc, 1
	.set _ZN4vllm25paged_attention_v1_kernelIffLi80ELi32ELi128ELNS_18Fp8KVCacheDataTypeE0ELb0EEEvPT_PKS2_PKT0_S8_ifPKiSA_iPKfiiiSC_SC_iiiii.uses_flat_scratch, 0
	.set _ZN4vllm25paged_attention_v1_kernelIffLi80ELi32ELi128ELNS_18Fp8KVCacheDataTypeE0ELb0EEEvPT_PKS2_PKT0_S8_ifPKiSA_iPKfiiiSC_SC_iiiii.has_dyn_sized_stack, 0
	.set _ZN4vllm25paged_attention_v1_kernelIffLi80ELi32ELi128ELNS_18Fp8KVCacheDataTypeE0ELb0EEEvPT_PKS2_PKT0_S8_ifPKiSA_iPKfiiiSC_SC_iiiii.has_recursion, 0
	.set _ZN4vllm25paged_attention_v1_kernelIffLi80ELi32ELi128ELNS_18Fp8KVCacheDataTypeE0ELb0EEEvPT_PKS2_PKT0_S8_ifPKiSA_iPKfiiiSC_SC_iiiii.has_indirect_call, 0
	.section	.AMDGPU.csdata,"",@progbits
; Kernel info:
; codeLenInByte = 4892
; TotalNumSgprs: 44
; NumVgprs: 64
; ScratchSize: 28
; MemoryBound: 0
; FloatMode: 240
; IeeeMode: 1
; LDSByteSize: 336 bytes/workgroup (compile time only)
; SGPRBlocks: 5
; VGPRBlocks: 15
; NumSGPRsForWavesPerEU: 44
; NumVGPRsForWavesPerEU: 64
; Occupancy: 4
; WaveLimiterHint : 1
; COMPUTE_PGM_RSRC2:SCRATCH_EN: 1
; COMPUTE_PGM_RSRC2:USER_SGPR: 6
; COMPUTE_PGM_RSRC2:TRAP_HANDLER: 0
; COMPUTE_PGM_RSRC2:TGID_X_EN: 1
; COMPUTE_PGM_RSRC2:TGID_Y_EN: 1
; COMPUTE_PGM_RSRC2:TGID_Z_EN: 1
; COMPUTE_PGM_RSRC2:TIDIG_COMP_CNT: 0
	.section	.text._ZN4vllm25paged_attention_v1_kernelIffLi96ELi32ELi128ELNS_18Fp8KVCacheDataTypeE0ELb0EEEvPT_PKS2_PKT0_S8_ifPKiSA_iPKfiiiSC_SC_iiiii,"axG",@progbits,_ZN4vllm25paged_attention_v1_kernelIffLi96ELi32ELi128ELNS_18Fp8KVCacheDataTypeE0ELb0EEEvPT_PKS2_PKT0_S8_ifPKiSA_iPKfiiiSC_SC_iiiii,comdat
	.protected	_ZN4vllm25paged_attention_v1_kernelIffLi96ELi32ELi128ELNS_18Fp8KVCacheDataTypeE0ELb0EEEvPT_PKS2_PKT0_S8_ifPKiSA_iPKfiiiSC_SC_iiiii ; -- Begin function _ZN4vllm25paged_attention_v1_kernelIffLi96ELi32ELi128ELNS_18Fp8KVCacheDataTypeE0ELb0EEEvPT_PKS2_PKT0_S8_ifPKiSA_iPKfiiiSC_SC_iiiii
	.globl	_ZN4vllm25paged_attention_v1_kernelIffLi96ELi32ELi128ELNS_18Fp8KVCacheDataTypeE0ELb0EEEvPT_PKS2_PKT0_S8_ifPKiSA_iPKfiiiSC_SC_iiiii
	.p2align	8
	.type	_ZN4vllm25paged_attention_v1_kernelIffLi96ELi32ELi128ELNS_18Fp8KVCacheDataTypeE0ELb0EEEvPT_PKS2_PKT0_S8_ifPKiSA_iPKfiiiSC_SC_iiiii,@function
_ZN4vllm25paged_attention_v1_kernelIffLi96ELi32ELi128ELNS_18Fp8KVCacheDataTypeE0ELb0EEEvPT_PKS2_PKT0_S8_ifPKiSA_iPKfiiiSC_SC_iiiii: ; @_ZN4vllm25paged_attention_v1_kernelIffLi96ELi32ELi128ELNS_18Fp8KVCacheDataTypeE0ELb0EEEvPT_PKS2_PKT0_S8_ifPKiSA_iPKfiiiSC_SC_iiiii
; %bb.0:
	s_mov_b64 s[38:39], s[2:3]
	s_mov_b64 s[36:37], s[0:1]
	s_add_u32 s36, s36, s9
	s_load_dword s9, s[4:5], 0x80
	s_load_dwordx2 s[0:1], s[4:5], 0x30
	s_load_dwordx2 s[26:27], s[4:5], 0x20
	s_addc_u32 s37, s37, 0
	s_mov_b32 s10, s7
	s_ashr_i32 s11, s7, 31
	s_lshl_b64 s[2:3], s[10:11], 2
	s_waitcnt lgkmcnt(0)
	s_add_u32 s0, s0, s2
	s_addc_u32 s1, s1, s3
	s_abs_i32 s2, s26
	v_mov_b32_e32 v18, v0
	v_cvt_f32_u32_e32 v0, s2
	s_sub_i32 s11, 0, s2
	s_abs_i32 s7, s9
	s_xor_b32 s3, s9, s26
	v_rcp_iflag_f32_e32 v0, v0
	s_ashr_i32 s3, s3, 31
	s_mov_b32 s26, 0
	v_mul_f32_e32 v0, 0x4f7ffffe, v0
	v_cvt_u32_f32_e32 v0, v0
	v_readfirstlane_b32 s12, v0
	s_mul_i32 s11, s11, s12
	s_mul_hi_u32 s11, s12, s11
	s_add_i32 s12, s12, s11
	s_mul_hi_u32 s11, s7, s12
	s_mul_i32 s12, s11, s2
	s_sub_i32 s7, s7, s12
	s_add_i32 s12, s11, 1
	s_sub_i32 s13, s7, s2
	s_cmp_ge_u32 s7, s2
	s_cselect_b32 s11, s12, s11
	s_cselect_b32 s7, s13, s7
	s_add_i32 s12, s11, 1
	s_cmp_ge_u32 s7, s2
	s_cselect_b32 s2, s12, s11
	s_xor_b32 s2, s2, s3
	s_sub_i32 s12, s2, s3
	s_abs_i32 s11, s12
	v_cvt_f32_u32_e32 v0, s11
	s_load_dwordx2 s[2:3], s[4:5], 0x40
	s_sub_i32 s7, 0, s11
	s_abs_i32 s18, s6
	v_rcp_iflag_f32_e32 v0, v0
	v_mul_f32_e32 v0, 0x4f7ffffe, v0
	v_cvt_u32_f32_e32 v0, v0
	v_readfirstlane_b32 s13, v0
	s_mul_i32 s7, s7, s13
	s_mul_hi_u32 s7, s13, s7
	s_add_i32 s13, s13, s7
	s_waitcnt lgkmcnt(0)
	s_cmp_eq_u64 s[2:3], 0
	s_mul_hi_u32 s19, s18, s13
	s_cbranch_scc1 .LBB48_2
; %bb.1:
	s_ashr_i32 s7, s6, 31
	s_lshl_b64 s[14:15], s[6:7], 2
	s_add_u32 s2, s2, s14
	s_addc_u32 s3, s3, s15
	s_load_dword s26, s[2:3], 0x0
.LBB48_2:
	s_load_dword s33, s[0:1], 0x0
	s_ashr_i32 s3, s12, 31
	s_load_dwordx4 s[12:15], s[4:5], 0x48
	s_ashr_i32 s2, s6, 31
	v_and_b32_e32 v49, 1, v18
	s_mul_i32 s16, s6, 0x60
	v_cmp_gt_u32_e32 vcc, 48, v18
	v_lshlrev_b32_e32 v1, 3, v18
	v_lshlrev_b32_e32 v10, 2, v18
	s_and_saveexec_b64 s[0:1], vcc
	s_cbranch_execz .LBB48_4
; %bb.3:
	s_load_dwordx2 s[6:7], s[4:5], 0x8
	s_waitcnt lgkmcnt(0)
	s_mul_i32 s20, s12, s10
	s_ashr_i32 s21, s20, 31
	s_lshl_b64 s[20:21], s[20:21], 2
	v_and_b32_e32 v0, 0xff8, v10
	s_add_u32 s12, s6, s20
	s_addc_u32 s15, s7, s21
	s_ashr_i32 s17, s16, 31
	s_lshl_b64 s[6:7], s[16:17], 2
	s_add_u32 s6, s12, s6
	s_addc_u32 s7, s15, s7
	global_load_dwordx2 v[2:3], v1, s[6:7]
	s_movk_i32 s6, 0xc0
	v_mad_u32_u24 v0, v49, s6, v0
	s_waitcnt vmcnt(0)
	ds_write_b64 v0, v[2:3]
.LBB48_4:
	s_or_b64 exec, exec, s[0:1]
	s_waitcnt lgkmcnt(0)
	s_add_i32 s1, s33, 31
	s_ashr_i32 s6, s1, 31
	s_lshr_b32 s6, s6, 27
	s_add_i32 s1, s1, s6
	s_ashr_i32 s12, s1, 5
	s_xor_b32 s1, s2, s3
	s_mul_i32 s2, s19, s11
	s_sub_i32 s2, s18, s2
	s_add_i32 s3, s19, 1
	s_sub_i32 s6, s2, s11
	s_load_dwordx2 s[20:21], s[4:5], 0x28
	s_load_dword s0, s[4:5], 0x38
	s_cmp_ge_u32 s2, s11
	s_cselect_b32 s3, s3, s19
	s_cselect_b32 s2, s6, s2
	s_add_i32 s6, s3, 1
	s_cmp_ge_u32 s2, s11
	s_cselect_b32 s2, s6, s3
	v_lshrrev_b32_e32 v53, 6, v18
	s_xor_b32 s2, s2, s1
	s_waitcnt lgkmcnt(0)
	s_mul_i32 s22, s0, s10
	s_sub_i32 s15, s2, s1
	s_ashr_i32 s23, s22, 31
	v_cmp_gt_i32_e64 s[0:1], s12, v53
	v_cmp_le_i32_e32 vcc, s12, v53
	v_mbcnt_lo_u32_b32 v50, -1, 0
	s_barrier
                                        ; implicit-def: $vgpr11
                                        ; implicit-def: $vgpr7
                                        ; implicit-def: $vgpr8
	s_and_saveexec_b64 s[2:3], vcc
	s_xor_b64 s[2:3], exec, s[2:3]
; %bb.5:
	v_mbcnt_hi_u32_b32 v11, -1, v50
	v_and_b32_e32 v7, 64, v11
	v_add_u32_e32 v8, 64, v7
                                        ; implicit-def: $vgpr1
                                        ; implicit-def: $vgpr49
                                        ; implicit-def: $vgpr50
; %bb.6:
	s_or_saveexec_b64 s[6:7], s[2:3]
	s_load_dwordx2 s[18:19], s[4:5], 0x0
	s_load_dwordx2 s[24:25], s[4:5], 0x18
	s_load_dword s11, s[4:5], 0x88
	v_mov_b32_e32 v59, 0xff7fffff
	s_mul_i32 s14, s15, s14
	v_lshrrev_b32_e32 v54, 4, v18
	buffer_store_dword v18, off, s[36:39], 0 offset:40 ; 4-byte Folded Spill
	s_xor_b64 exec, exec, s[6:7]
	s_cbranch_execz .LBB48_12
; %bb.7:
	s_load_dwordx2 s[2:3], s[4:5], 0x10
	s_ashr_i32 s15, s14, 31
	s_lshl_b64 s[4:5], s[14:15], 2
	v_bfe_u32 v51, v18, 1, 5
	v_lshlrev_b32_e32 v0, 4, v51
	s_waitcnt lgkmcnt(0)
	s_add_u32 s2, s2, s4
	s_addc_u32 s3, s3, s5
	v_add_co_u32_e32 v0, vcc, s2, v0
	v_mov_b32_e32 v2, s3
	v_addc_co_u32_e32 v2, vcc, 0, v2, vcc
	v_and_b32_e32 v1, 8, v1
	v_add_co_u32_e32 v0, vcc, v0, v1
	v_addc_co_u32_e32 v1, vcc, 0, v2, vcc
	buffer_store_dword v10, off, s[36:39], 0 offset:8 ; 4-byte Folded Spill
	buffer_store_dword v1, off, s[36:39], 0 offset:4 ; 4-byte Folded Spill
	v_mul_u32_u24_e32 v45, 0xc0, v49
	ds_read_b128 v[1:4], v45
	ds_read_b128 v[5:8], v45 offset:16
	ds_read_b128 v[9:12], v45 offset:32
	;; [unrolled: 1-line block ×11, first 2 shown]
	v_mbcnt_hi_u32_b32 v55, -1, v50
	v_and_b32_e32 v56, 64, v55
	v_xor_b32_e32 v50, 1, v55
	buffer_store_dword v56, off, s[36:39], 0 offset:20 ; 4-byte Folded Spill
	v_add_u32_e32 v56, 64, v56
	v_lshlrev_b32_e32 v52, 2, v51
	v_cmp_lt_i32_e32 vcc, v50, v56
	s_sub_i32 s15, 1, s33
	s_lshl_b64 s[4:5], s[22:23], 2
	v_cndmask_b32_e32 v50, v55, v50, vcc
	v_cmp_eq_u32_e32 vcc, 0, v49
	v_lshl_or_b32 v49, v53, 7, v52
	s_add_u32 s4, s20, s4
	v_add_u32_e32 v62, 0x190, v49
	v_and_b32_e32 v49, 60, v54
	s_addc_u32 s28, s21, s5
	v_lshlrev_b32_e32 v60, 2, v50
	v_add_co_u32_e64 v49, s[4:5], s4, v49
	v_mov_b32_e32 v50, s28
	s_mov_b32 s17, s13
	v_cmp_neq_f32_e64 s[2:3], s26, 0
	v_lshl_or_b32 v61, v53, 5, v51
	v_addc_co_u32_e64 v50, s[4:5], 0, v50, s[4:5]
	v_mov_b32_e32 v59, 0xff7fffff
	s_mov_b64 s[28:29], 0
	s_movk_i32 s34, 0x1000
	s_movk_i32 s35, 0x2000
	v_mov_b32_e32 v63, v53
	buffer_store_dword v56, off, s[36:39], 0 offset:24 ; 4-byte Folded Spill
	buffer_store_dword v55, off, s[36:39], 0 offset:16 ; 4-byte Folded Spill
	;; [unrolled: 1-line block ×3, first 2 shown]
	buffer_store_dword v53, off, s[36:39], 0 ; 4-byte Folded Spill
	s_branch .LBB48_9
.LBB48_8:                               ;   in Loop: Header=BB48_9 Depth=1
	s_or_b64 exec, exec, s[30:31]
	v_add_u32_e32 v63, 2, v63
	v_cmp_le_i32_e64 s[4:5], s12, v63
	s_or_b64 s[28:29], s[4:5], s[28:29]
	v_add_co_u32_e64 v49, s[4:5], 8, v49
	v_add_u32_e32 v61, 64, v61
	v_add_u32_e32 v62, 0x100, v62
	v_addc_co_u32_e64 v50, s[4:5], 0, v50, s[4:5]
	s_andn2_b64 exec, exec, s[28:29]
	s_cbranch_execz .LBB48_11
.LBB48_9:                               ; =>This Inner Loop Header: Depth=1
	global_load_dword v51, v[49:50], off
	s_waitcnt vmcnt(0) lgkmcnt(0)
	v_mad_i64_i32 v[51:52], s[4:5], v51, s17, 0
	v_lshlrev_b64 v[51:52], 2, v[51:52]
	v_add_co_u32_e64 v55, s[4:5], v0, v51
	buffer_load_dword v51, off, s[36:39], 0 offset:4 ; 4-byte Folded Reload
	s_waitcnt vmcnt(0)
	v_addc_co_u32_e64 v56, s[4:5], v51, v52, s[4:5]
	global_load_dwordx2 v[51:52], v[55:56], off offset:512
	v_add_co_u32_e64 v57, s[4:5], s34, v55
	v_addc_co_u32_e64 v58, s[4:5], 0, v56, s[4:5]
	s_waitcnt vmcnt(0) lgkmcnt(11)
	v_mul_f32_e32 v53, v3, v51
	v_mul_f32_e32 v54, v4, v52
	global_load_dwordx2 v[51:52], v[55:56], off
	s_waitcnt vmcnt(0)
	v_fmac_f32_e32 v53, v1, v51
	v_fmac_f32_e32 v54, v2, v52
	global_load_dwordx2 v[51:52], v[55:56], off offset:1024
	s_waitcnt vmcnt(0) lgkmcnt(10)
	v_fmac_f32_e32 v53, v5, v51
	v_fmac_f32_e32 v54, v6, v52
	global_load_dwordx2 v[51:52], v[55:56], off offset:1536
	s_waitcnt vmcnt(0)
	v_fmac_f32_e32 v53, v7, v51
	v_fmac_f32_e32 v54, v8, v52
	global_load_dwordx2 v[51:52], v[55:56], off offset:2048
	s_waitcnt vmcnt(0) lgkmcnt(9)
	v_fmac_f32_e32 v53, v9, v51
	v_fmac_f32_e32 v54, v10, v52
	global_load_dwordx2 v[51:52], v[55:56], off offset:2560
	s_waitcnt vmcnt(0)
	v_fmac_f32_e32 v53, v11, v51
	v_fmac_f32_e32 v54, v12, v52
	global_load_dwordx2 v[51:52], v[55:56], off offset:3072
	s_waitcnt vmcnt(0) lgkmcnt(8)
	v_fmac_f32_e32 v53, v13, v51
	v_add_co_u32_e64 v51, s[4:5], s35, v55
	v_fmac_f32_e32 v54, v14, v52
	v_addc_co_u32_e64 v52, s[4:5], 0, v56, s[4:5]
	global_load_dwordx2 v[55:56], v[55:56], off offset:3584
	s_waitcnt vmcnt(0)
	v_fmac_f32_e32 v53, v15, v55
	v_fmac_f32_e32 v54, v16, v56
	global_load_dwordx2 v[55:56], v[51:52], off offset:-4096
	s_waitcnt vmcnt(0) lgkmcnt(7)
	v_fmac_f32_e32 v53, v17, v55
	v_fmac_f32_e32 v54, v18, v56
	global_load_dwordx2 v[55:56], v[57:58], off offset:512
	s_waitcnt vmcnt(0)
	v_fmac_f32_e32 v53, v19, v55
	v_fmac_f32_e32 v54, v20, v56
	global_load_dwordx2 v[55:56], v[57:58], off offset:1024
	s_waitcnt vmcnt(0) lgkmcnt(6)
	v_fmac_f32_e32 v53, v21, v55
	v_fmac_f32_e32 v54, v22, v56
	global_load_dwordx2 v[55:56], v[57:58], off offset:1536
	s_waitcnt vmcnt(0)
	v_fmac_f32_e32 v53, v23, v55
	v_fmac_f32_e32 v54, v24, v56
	global_load_dwordx2 v[55:56], v[57:58], off offset:2048
	;; [unrolled: 8-line block ×3, first 2 shown]
	s_waitcnt vmcnt(0) lgkmcnt(4)
	v_fmac_f32_e32 v53, v29, v55
	v_fmac_f32_e32 v54, v30, v56
	global_load_dwordx2 v[55:56], v[57:58], off offset:3584
	s_waitcnt vmcnt(0)
	v_fmac_f32_e32 v53, v31, v55
	v_fmac_f32_e32 v54, v32, v56
	global_load_dwordx2 v[55:56], v[51:52], off
	s_waitcnt vmcnt(0) lgkmcnt(3)
	v_fmac_f32_e32 v53, v33, v55
	v_fmac_f32_e32 v54, v34, v56
	global_load_dwordx2 v[55:56], v[51:52], off offset:512
	s_waitcnt vmcnt(0)
	v_fmac_f32_e32 v53, v35, v55
	v_fmac_f32_e32 v54, v36, v56
	global_load_dwordx2 v[55:56], v[51:52], off offset:1024
	s_waitcnt vmcnt(0) lgkmcnt(2)
	v_fmac_f32_e32 v53, v37, v55
	v_fmac_f32_e32 v54, v38, v56
	global_load_dwordx2 v[55:56], v[51:52], off offset:1536
	s_waitcnt vmcnt(0)
	v_fmac_f32_e32 v53, v39, v55
	v_fmac_f32_e32 v54, v40, v56
	global_load_dwordx2 v[55:56], v[51:52], off offset:2048
	;; [unrolled: 8-line block ×3, first 2 shown]
	s_waitcnt vmcnt(0) lgkmcnt(0)
	v_fmac_f32_e32 v53, v45, v55
	global_load_dwordx2 v[51:52], v[51:52], off offset:3584
	v_fmac_f32_e32 v54, v46, v56
	s_waitcnt vmcnt(0)
	v_fmac_f32_e32 v53, v47, v51
	v_fmac_f32_e32 v54, v48, v52
	v_add_f32_e32 v51, v53, v54
	ds_bpermute_b32 v52, v60, v51
	s_and_saveexec_b64 s[30:31], vcc
	s_cbranch_execz .LBB48_8
; %bb.10:                               ;   in Loop: Header=BB48_9 Depth=1
	v_add_u32_e32 v53, s15, v61
	v_cvt_f32_i32_e32 v53, v53
	s_waitcnt lgkmcnt(0)
	v_add_f32_e32 v51, v51, v52
	v_cmp_gt_i32_e64 s[4:5], s33, v61
	v_max_f32_e32 v52, v59, v59
	v_mul_f32_e32 v53, s26, v53
	v_cndmask_b32_e64 v53, 0, v53, s[2:3]
	v_fmac_f32_e32 v53, s27, v51
	v_cndmask_b32_e64 v51, 0, v53, s[4:5]
	ds_write_b32 v62, v51
	v_max_f32_e32 v51, v52, v53
	v_cndmask_b32_e64 v59, v59, v51, s[4:5]
	s_branch .LBB48_8
.LBB48_11:
	s_or_b64 exec, exec, s[28:29]
	buffer_load_dword v18, off, s[36:39], 0 offset:40 ; 4-byte Folded Reload
	buffer_load_dword v53, off, s[36:39], 0 ; 4-byte Folded Reload
	buffer_load_dword v10, off, s[36:39], 0 offset:8 ; 4-byte Folded Reload
	buffer_load_dword v54, off, s[36:39], 0 offset:12 ; 4-byte Folded Reload
	;; [unrolled: 1-line block ×5, first 2 shown]
.LBB48_12:
	s_or_b64 exec, exec, s[6:7]
	s_waitcnt vmcnt(2)
	v_xor_b32_e32 v0, 32, v11
	s_waitcnt vmcnt(0)
	v_cmp_lt_i32_e32 vcc, v0, v8
	v_cndmask_b32_e32 v0, v11, v0, vcc
	v_lshlrev_b32_e32 v1, 2, v0
	ds_bpermute_b32 v0, v1, v59
	v_xor_b32_e32 v3, 16, v11
	v_max_f32_e32 v2, v59, v59
	v_cmp_lt_i32_e32 vcc, v3, v8
	v_xor_b32_e32 v4, 8, v11
	s_waitcnt lgkmcnt(0)
	v_max_f32_e32 v0, v0, v0
	v_max_f32_e32 v0, v2, v0
	v_cndmask_b32_e32 v2, v11, v3, vcc
	v_lshlrev_b32_e32 v2, 2, v2
	ds_bpermute_b32 v3, v2, v0
	v_cmp_lt_i32_e32 vcc, v4, v8
	v_xor_b32_e32 v5, 4, v11
	v_xor_b32_e32 v6, 2, v11
	v_and_b32_e32 v19, 63, v18
	s_waitcnt lgkmcnt(0)
	v_max_f32_e32 v3, v3, v3
	v_max_f32_e32 v0, v0, v3
	v_cndmask_b32_e32 v3, v11, v4, vcc
	v_lshlrev_b32_e32 v3, 2, v3
	ds_bpermute_b32 v4, v3, v0
	v_cmp_lt_i32_e32 vcc, v5, v8
	s_waitcnt lgkmcnt(0)
	v_max_f32_e32 v4, v4, v4
	v_max_f32_e32 v0, v0, v4
	v_cndmask_b32_e32 v4, v11, v5, vcc
	v_lshlrev_b32_e32 v13, 2, v4
	ds_bpermute_b32 v4, v13, v0
	v_cmp_lt_i32_e32 vcc, v6, v8
	s_waitcnt lgkmcnt(0)
	v_max_f32_e32 v4, v4, v4
	v_max_f32_e32 v5, v0, v4
	v_cndmask_b32_e32 v0, v11, v6, vcc
	v_lshlrev_b32_e32 v16, 2, v0
	ds_bpermute_b32 v6, v16, v5
	v_cmp_eq_u32_e32 vcc, 0, v19
	v_lshlrev_b32_e32 v4, 2, v53
	s_and_saveexec_b64 s[2:3], vcc
	s_cbranch_execz .LBB48_14
; %bb.13:
	s_waitcnt lgkmcnt(0)
	v_max_f32_e32 v0, v6, v6
	v_max_f32_e32 v5, v5, v5
	;; [unrolled: 1-line block ×3, first 2 shown]
	ds_write_b32 v4, v0 offset:384
.LBB48_14:
	s_or_b64 exec, exec, s[2:3]
	v_cmp_gt_u32_e64 s[2:3], 2, v19
	s_waitcnt lgkmcnt(0)
	v_mov_b32_e32 v6, 0xff7fffff
	v_lshlrev_b32_e32 v5, 2, v19
	s_barrier
	s_and_saveexec_b64 s[4:5], s[2:3]
; %bb.15:
	ds_read_b32 v6, v5 offset:384
; %bb.16:
	s_or_b64 exec, exec, s[4:5]
	v_xor_b32_e32 v0, 1, v11
	v_cmp_lt_i32_e64 s[4:5], v0, v8
	v_cndmask_b32_e64 v0, v11, v0, s[4:5]
	v_lshlrev_b32_e32 v20, 2, v0
	s_waitcnt lgkmcnt(0)
	ds_bpermute_b32 v0, v20, v6
	v_max_f32_e32 v6, v6, v6
	s_lshl_b32 s4, s12, 5
	s_min_i32 s15, s4, s33
	v_cmp_gt_i32_e64 s[4:5], s15, v18
	s_waitcnt lgkmcnt(0)
	v_max_f32_e32 v0, v0, v0
	v_max_f32_e32 v0, v6, v0
	v_lshlrev_b32_e32 v6, 2, v7
	ds_bpermute_b32 v7, v6, v0
	v_mov_b32_e32 v6, 0
	s_and_saveexec_b64 s[26:27], s[4:5]
	s_cbranch_execz .LBB48_20
; %bb.17:
	v_mov_b32_e32 v0, 0x190
	v_lshl_add_u32 v8, v18, 2, v0
	v_mov_b32_e32 v6, 0
	s_mov_b64 s[28:29], 0
	v_mov_b32_e32 v9, v18
.LBB48_18:                              ; =>This Inner Loop Header: Depth=1
	ds_read_b32 v0, v8
	v_add_u32_e32 v9, 0x80, v9
	v_cmp_le_i32_e64 s[6:7], s15, v9
	s_or_b64 s[28:29], s[6:7], s[28:29]
	s_waitcnt lgkmcnt(0)
	v_sub_f32_e32 v0, v0, v7
	v_mul_f32_e32 v0, 0x3fb8aa3b, v0
	v_exp_f32_e32 v0, v0
	ds_write_b32 v8, v0
	v_add_f32_e32 v6, v6, v0
	v_add_u32_e32 v8, 0x200, v8
	s_andn2_b64 exec, exec, s[28:29]
	s_cbranch_execnz .LBB48_18
; %bb.19:
	s_or_b64 exec, exec, s[28:29]
.LBB48_20:
	s_or_b64 exec, exec, s[26:27]
	ds_bpermute_b32 v0, v1, v6
	s_waitcnt lgkmcnt(0)
	v_add_f32_e32 v0, v6, v0
	ds_bpermute_b32 v1, v2, v0
	s_waitcnt lgkmcnt(0)
	v_add_f32_e32 v0, v0, v1
	;; [unrolled: 3-line block ×6, first 2 shown]
	s_and_saveexec_b64 s[6:7], vcc
; %bb.21:
	ds_write_b32 v4, v1 offset:392
; %bb.22:
	s_or_b64 exec, exec, s[6:7]
	s_waitcnt lgkmcnt(0)
	s_barrier
	s_and_saveexec_b64 s[6:7], s[2:3]
; %bb.23:
	ds_read_b32 v1, v5 offset:392
; %bb.24:
	s_or_b64 exec, exec, s[6:7]
	s_waitcnt lgkmcnt(0)
	ds_bpermute_b32 v0, v20, v1
	v_lshlrev_b32_e32 v2, 2, v11
	s_waitcnt lgkmcnt(0)
	v_add_f32_e32 v0, v1, v0
	v_and_b32_e32 v1, 0xffffff00, v2
	ds_bpermute_b32 v0, v1, v0
	s_and_saveexec_b64 s[2:3], s[4:5]
	s_cbranch_execz .LBB48_27
; %bb.25:
	s_waitcnt lgkmcnt(0)
	v_add_f32_e32 v1, 0x358637bd, v0
	v_div_scale_f32 v0, s[4:5], v1, v1, 1.0
	v_div_scale_f32 v2, vcc, 1.0, v1, 1.0
	s_mov_b64 s[4:5], 0
	v_rcp_f32_e32 v3, v0
	v_fma_f32 v4, -v0, v3, 1.0
	v_fmac_f32_e32 v3, v4, v3
	v_mul_f32_e32 v4, v2, v3
	v_fma_f32 v5, -v0, v4, v2
	v_fmac_f32_e32 v4, v5, v3
	v_fma_f32 v0, -v0, v4, v2
	v_div_fmas_f32 v2, v0, v3, v4
	v_mov_b32_e32 v0, 0x190
	v_lshl_add_u32 v0, v18, 2, v0
	v_div_fixup_f32 v1, v2, v1, 1.0
	v_mov_b32_e32 v2, v18
.LBB48_26:                              ; =>This Inner Loop Header: Depth=1
	ds_read_b32 v3, v0
	v_add_u32_e32 v2, 0x80, v2
	v_cmp_le_i32_e32 vcc, s15, v2
	s_or_b64 s[4:5], vcc, s[4:5]
	s_waitcnt lgkmcnt(0)
	v_mul_f32_e32 v3, v1, v3
	ds_write_b32 v0, v3
	v_add_u32_e32 v0, 0x200, v0
	s_andn2_b64 exec, exec, s[4:5]
	s_cbranch_execnz .LBB48_26
.LBB48_27:
	s_or_b64 exec, exec, s[2:3]
	v_mov_b32_e32 v5, 0
	v_and_b32_e32 v21, 7, v18
	v_mov_b32_e32 v60, 0
	s_waitcnt lgkmcnt(0)
	v_mov_b32_e32 v0, 0
	v_mov_b32_e32 v62, 0
	;; [unrolled: 1-line block ×10, first 2 shown]
	s_barrier
	s_and_saveexec_b64 s[2:3], s[0:1]
	s_cbranch_execz .LBB48_55
; %bb.28:
	s_ashr_i32 s15, s14, 31
	s_lshl_b64 s[0:1], s[14:15], 2
	s_add_u32 s0, s24, s0
	v_lshlrev_b32_e32 v1, 4, v18
	s_addc_u32 s1, s25, s1
	v_and_b32_e32 v1, 0x3f0, v1
	v_mov_b32_e32 v2, s1
	v_add_co_u32_e32 v1, vcc, s0, v1
	buffer_store_dword v20, off, s[36:39], 0 offset:56 ; 4-byte Folded Spill
	buffer_store_dword v16, off, s[36:39], 0 offset:52 ; 4-byte Folded Spill
	;; [unrolled: 1-line block ×5, first 2 shown]
	v_addc_co_u32_e32 v1, vcc, 0, v2, vcc
	v_and_b32_e32 v0, 28, v10
	buffer_store_dword v1, off, s[36:39], 0 offset:36 ; 4-byte Folded Spill
	v_lshlrev_b32_e32 v1, 5, v53
	v_or3_b32 v63, v1, v0, 3
	v_lshlrev_b32_e32 v0, 4, v21
	s_add_i32 s14, s12, -1
	v_lshl_or_b32 v0, v53, 7, v0
	s_lshl_b64 s[0:1], s[22:23], 2
	v_add_u32_e32 v59, 0x190, v0
	v_and_b32_e32 v0, 60, v54
	s_add_u32 s0, s20, s0
	v_mov_b32_e32 v9, v53
	v_add_co_u32_e32 v53, vcc, s0, v0
	v_mov_b32_e32 v0, 0
	buffer_store_dword v0, off, s[36:39], 0 offset:4 ; 4-byte Folded Spill
	v_mov_b32_e32 v0, 0
	buffer_store_dword v0, off, s[36:39], 0 offset:8 ; 4-byte Folded Spill
	v_mov_b32_e32 v0, 0
	s_addc_u32 s1, s21, s1
	buffer_store_dword v0, off, s[36:39], 0 offset:12 ; 4-byte Folded Spill
	v_mov_b32_e32 v0, 0
	v_mov_b32_e32 v1, s1
	buffer_store_dword v0, off, s[36:39], 0 offset:16 ; 4-byte Folded Spill
	v_mov_b32_e32 v0, 0
	v_mov_b32_e32 v17, 0
	v_addc_co_u32_e32 v54, vcc, 0, v1, vcc
	s_mov_b64 s[4:5], 0
	buffer_store_dword v0, off, s[36:39], 0 offset:20 ; 4-byte Folded Spill
	v_mov_b32_e32 v55, 0
	v_mov_b32_e32 v61, 0
	;; [unrolled: 1-line block ×6, first 2 shown]
	buffer_store_dword v21, off, s[36:39], 0 offset:60 ; 4-byte Folded Spill
	s_branch .LBB48_30
.LBB48_29:                              ;   in Loop: Header=BB48_30 Depth=1
	s_or_b64 exec, exec, s[6:7]
	s_waitcnt vmcnt(3) lgkmcnt(0)
	v_mul_f32_e32 v37, v1, v37
	v_fmac_f32_e32 v37, v2, v38
	buffer_load_dword v38, off, s[36:39], 0 offset:4 ; 4-byte Folded Reload
	s_waitcnt vmcnt(2)
	v_mul_f32_e32 v49, v1, v49
	v_mul_f32_e32 v9, v1, v9
	v_fmac_f32_e32 v49, v2, v50
	v_fmac_f32_e32 v9, v2, v10
	;; [unrolled: 1-line block ×5, first 2 shown]
	v_mul_f32_e32 v33, v1, v33
	v_fmac_f32_e32 v9, v4, v12
	v_mul_f32_e32 v5, v1, v5
	v_fmac_f32_e32 v33, v2, v34
	buffer_load_dword v34, off, s[36:39], 0 offset:16 ; 4-byte Folded Reload
	v_add_f32_e32 v60, v60, v9
	v_fmac_f32_e32 v5, v2, v6
	buffer_load_dword v6, off, s[36:39], 0 offset:28 ; 4-byte Folded Reload
	buffer_load_dword v9, off, s[36:39], 0  ; 4-byte Folded Reload
	v_mul_f32_e32 v45, v1, v45
	v_fmac_f32_e32 v45, v2, v46
	v_mul_f32_e32 v17, v1, v17
	v_fmac_f32_e32 v45, v3, v47
	v_fmac_f32_e32 v17, v2, v18
	;; [unrolled: 1-line block ×3, first 2 shown]
	v_mul_f32_e32 v29, v1, v29
	v_fmac_f32_e32 v17, v3, v19
	v_fmac_f32_e32 v29, v2, v30
	;; [unrolled: 1-line block ×3, first 2 shown]
	v_add_f32_e32 v62, v62, v17
	v_mul_f32_e32 v25, v1, v25
	v_mul_f32_e32 v21, v1, v21
	;; [unrolled: 1-line block ×3, first 2 shown]
	s_waitcnt vmcnt(4)
	v_mul_f32_e32 v1, v1, v41
	v_fmac_f32_e32 v25, v2, v26
	v_fmac_f32_e32 v21, v2, v22
	v_fmac_f32_e32 v13, v2, v14
	v_fmac_f32_e32 v1, v2, v42
	v_fmac_f32_e32 v37, v3, v39
	v_fmac_f32_e32 v33, v3, v35
	v_fmac_f32_e32 v29, v3, v31
	v_fmac_f32_e32 v25, v3, v27
	v_fmac_f32_e32 v21, v3, v23
	v_fmac_f32_e32 v13, v3, v15
	v_fmac_f32_e32 v5, v3, v7
	v_fmac_f32_e32 v1, v3, v43
	v_fmac_f32_e32 v37, v4, v40
	v_fmac_f32_e32 v33, v4, v36
	v_fmac_f32_e32 v29, v4, v32
	v_fmac_f32_e32 v25, v4, v28
	v_fmac_f32_e32 v21, v4, v24
	v_fmac_f32_e32 v13, v4, v16
	v_fmac_f32_e32 v5, v4, v8
	v_fmac_f32_e32 v1, v4, v44
	v_add_f32_e32 v55, v55, v25
	v_add_f32_e32 v61, v61, v21
	;; [unrolled: 1-line block ×3, first 2 shown]
	v_add_u32_e32 v63, 64, v63
	v_add_u32_e32 v59, 0x100, v59
	buffer_load_dword v30, off, s[36:39], 0 offset:20 ; 4-byte Folded Reload
	buffer_load_dword v17, off, s[36:39], 0 offset:24 ; 4-byte Folded Reload
	s_waitcnt vmcnt(5)
	v_add_f32_e32 v38, v38, v49
	buffer_store_dword v38, off, s[36:39], 0 offset:4 ; 4-byte Folded Spill
	buffer_load_dword v38, off, s[36:39], 0 offset:8 ; 4-byte Folded Reload
	s_waitcnt vmcnt(6)
	v_add_f32_e32 v34, v34, v33
	buffer_store_dword v34, off, s[36:39], 0 offset:16 ; 4-byte Folded Spill
	s_waitcnt vmcnt(6)
	v_add_f32_e32 v5, v6, v5
	s_waitcnt vmcnt(5)
	v_add_u32_e32 v9, 2, v9
	v_cmp_le_i32_e32 vcc, s12, v9
	s_or_b64 s[4:5], vcc, s[4:5]
	v_add_co_u32_e32 v53, vcc, 8, v53
	v_addc_co_u32_e32 v54, vcc, 0, v54, vcc
	s_waitcnt vmcnt(4)
	v_add_f32_e32 v30, v30, v29
	buffer_store_dword v30, off, s[36:39], 0 offset:20 ; 4-byte Folded Spill
	s_waitcnt vmcnt(4)
	v_add_f32_e32 v17, v17, v1
	s_waitcnt vmcnt(2)
	v_add_f32_e32 v38, v38, v45
	buffer_store_dword v38, off, s[36:39], 0 offset:8 ; 4-byte Folded Spill
	buffer_load_dword v38, off, s[36:39], 0 offset:12 ; 4-byte Folded Reload
	s_waitcnt vmcnt(0)
	v_add_f32_e32 v38, v38, v37
	buffer_store_dword v38, off, s[36:39], 0 offset:12 ; 4-byte Folded Spill
	s_andn2_b64 exec, exec, s[4:5]
	s_cbranch_execz .LBB48_54
.LBB48_30:                              ; =>This Inner Loop Header: Depth=1
	buffer_store_dword v5, off, s[36:39], 0 offset:28 ; 4-byte Folded Spill
	buffer_store_dword v17, off, s[36:39], 0 offset:24 ; 4-byte Folded Spill
	global_load_dword v1, v[53:54], off
	buffer_load_dword v3, off, s[36:39], 0 offset:32 ; 4-byte Folded Reload
	v_add_u32_e32 v56, -2, v63
	v_add_u32_e32 v58, -1, v63
	buffer_store_dword v9, off, s[36:39], 0 ; 4-byte Folded Spill
	s_waitcnt vmcnt(2)
	v_mad_i64_i32 v[1:2], s[0:1], v1, s13, 0
	v_cmp_eq_u32_e64 s[0:1], s14, v9
	v_lshlrev_b64 v[1:2], 2, v[1:2]
	s_waitcnt vmcnt(1)
	v_add_co_u32_e32 v41, vcc, v3, v1
	buffer_load_dword v1, off, s[36:39], 0 offset:36 ; 4-byte Folded Reload
	s_waitcnt vmcnt(0)
	v_addc_co_u32_e32 v42, vcc, v1, v2, vcc
	global_load_dwordx4 v[5:8], v[41:42], off
	ds_read_b128 v[1:4], v59
	s_and_saveexec_b64 s[6:7], s[0:1]
	s_cbranch_execnz .LBB48_51
; %bb.31:                               ;   in Loop: Header=BB48_30 Depth=1
	s_or_b64 exec, exec, s[6:7]
	global_load_dwordx4 v[9:12], v[41:42], off offset:1024
	s_and_saveexec_b64 s[6:7], s[0:1]
	s_cbranch_execnz .LBB48_52
.LBB48_32:                              ;   in Loop: Header=BB48_30 Depth=1
	s_or_b64 exec, exec, s[6:7]
	global_load_dwordx4 v[13:16], v[41:42], off offset:2048
	s_and_saveexec_b64 s[6:7], s[0:1]
	s_cbranch_execnz .LBB48_53
.LBB48_33:                              ;   in Loop: Header=BB48_30 Depth=1
	s_or_b64 exec, exec, s[6:7]
	global_load_dwordx4 v[17:20], v[41:42], off offset:3072
	s_and_saveexec_b64 s[6:7], s[0:1]
	s_cbranch_execz .LBB48_35
.LBB48_34:                              ;   in Loop: Header=BB48_30 Depth=1
	v_add_u32_e32 v21, -3, v63
	v_cmp_gt_i32_e32 vcc, s33, v21
	s_waitcnt vmcnt(0)
	v_cndmask_b32_e32 v17, 0, v17, vcc
	v_cmp_gt_i32_e32 vcc, s33, v56
	v_cndmask_b32_e32 v18, 0, v18, vcc
	v_cmp_gt_i32_e32 vcc, s33, v58
	;; [unrolled: 2-line block ×3, first 2 shown]
	v_cndmask_b32_e32 v20, 0, v20, vcc
.LBB48_35:                              ;   in Loop: Header=BB48_30 Depth=1
	s_or_b64 exec, exec, s[6:7]
	v_add_co_u32_e32 v21, vcc, 0x1000, v41
	v_addc_co_u32_e32 v22, vcc, 0, v42, vcc
	global_load_dwordx4 v[21:24], v[21:22], off
	s_and_saveexec_b64 s[6:7], s[0:1]
	s_cbranch_execz .LBB48_37
; %bb.36:                               ;   in Loop: Header=BB48_30 Depth=1
	v_add_u32_e32 v25, -3, v63
	v_cmp_gt_i32_e32 vcc, s33, v25
	s_waitcnt vmcnt(0)
	v_cndmask_b32_e32 v21, 0, v21, vcc
	v_cmp_gt_i32_e32 vcc, s33, v56
	v_cndmask_b32_e32 v22, 0, v22, vcc
	v_cmp_gt_i32_e32 vcc, s33, v58
	v_cndmask_b32_e32 v23, 0, v23, vcc
	v_cmp_gt_i32_e32 vcc, s33, v63
	v_cndmask_b32_e32 v24, 0, v24, vcc
.LBB48_37:                              ;   in Loop: Header=BB48_30 Depth=1
	s_or_b64 exec, exec, s[6:7]
	v_add_co_u32_e32 v25, vcc, 0x1000, v41
	v_addc_co_u32_e32 v26, vcc, 0, v42, vcc
	global_load_dwordx4 v[25:28], v[25:26], off offset:1024
	s_and_saveexec_b64 s[6:7], s[0:1]
	s_cbranch_execz .LBB48_39
; %bb.38:                               ;   in Loop: Header=BB48_30 Depth=1
	v_add_u32_e32 v29, -3, v63
	v_cmp_gt_i32_e32 vcc, s33, v29
	s_waitcnt vmcnt(0)
	v_cndmask_b32_e32 v25, 0, v25, vcc
	v_cmp_gt_i32_e32 vcc, s33, v56
	v_cndmask_b32_e32 v26, 0, v26, vcc
	v_cmp_gt_i32_e32 vcc, s33, v58
	v_cndmask_b32_e32 v27, 0, v27, vcc
	v_cmp_gt_i32_e32 vcc, s33, v63
	v_cndmask_b32_e32 v28, 0, v28, vcc
.LBB48_39:                              ;   in Loop: Header=BB48_30 Depth=1
	s_or_b64 exec, exec, s[6:7]
	v_add_co_u32_e32 v29, vcc, 0x1000, v41
	v_addc_co_u32_e32 v30, vcc, 0, v42, vcc
	global_load_dwordx4 v[29:32], v[29:30], off offset:2048
	;; [unrolled: 18-line block ×3, first 2 shown]
	s_and_saveexec_b64 s[6:7], s[0:1]
	s_cbranch_execz .LBB48_43
; %bb.42:                               ;   in Loop: Header=BB48_30 Depth=1
	v_add_u32_e32 v37, -3, v63
	v_cmp_gt_i32_e32 vcc, s33, v37
	s_waitcnt vmcnt(0)
	v_cndmask_b32_e32 v33, 0, v33, vcc
	v_cmp_gt_i32_e32 vcc, s33, v56
	v_cndmask_b32_e32 v34, 0, v34, vcc
	v_cmp_gt_i32_e32 vcc, s33, v58
	;; [unrolled: 2-line block ×3, first 2 shown]
	v_cndmask_b32_e32 v36, 0, v36, vcc
.LBB48_43:                              ;   in Loop: Header=BB48_30 Depth=1
	s_or_b64 exec, exec, s[6:7]
	v_add_co_u32_e32 v37, vcc, 0x2000, v41
	v_addc_co_u32_e32 v38, vcc, 0, v42, vcc
	global_load_dwordx4 v[37:40], v[37:38], off
	s_and_saveexec_b64 s[6:7], s[0:1]
	s_cbranch_execz .LBB48_45
; %bb.44:                               ;   in Loop: Header=BB48_30 Depth=1
	v_add_u32_e32 v43, -3, v63
	v_cmp_gt_i32_e32 vcc, s33, v43
	s_waitcnt vmcnt(0)
	v_cndmask_b32_e32 v37, 0, v37, vcc
	v_cmp_gt_i32_e32 vcc, s33, v56
	v_cndmask_b32_e32 v38, 0, v38, vcc
	v_cmp_gt_i32_e32 vcc, s33, v58
	v_cndmask_b32_e32 v39, 0, v39, vcc
	v_cmp_gt_i32_e32 vcc, s33, v63
	v_cndmask_b32_e32 v40, 0, v40, vcc
.LBB48_45:                              ;   in Loop: Header=BB48_30 Depth=1
	s_or_b64 exec, exec, s[6:7]
	v_add_co_u32_e32 v43, vcc, 0x2000, v41
	v_addc_co_u32_e32 v44, vcc, 0, v42, vcc
	global_load_dwordx4 v[45:48], v[43:44], off offset:1024
	s_and_saveexec_b64 s[6:7], s[0:1]
	s_cbranch_execz .LBB48_47
; %bb.46:                               ;   in Loop: Header=BB48_30 Depth=1
	v_add_u32_e32 v43, -3, v63
	v_cmp_gt_i32_e32 vcc, s33, v43
	s_waitcnt vmcnt(0)
	v_cndmask_b32_e32 v45, 0, v45, vcc
	v_cmp_gt_i32_e32 vcc, s33, v56
	v_cndmask_b32_e32 v46, 0, v46, vcc
	v_cmp_gt_i32_e32 vcc, s33, v58
	v_cndmask_b32_e32 v47, 0, v47, vcc
	v_cmp_gt_i32_e32 vcc, s33, v63
	v_cndmask_b32_e32 v48, 0, v48, vcc
.LBB48_47:                              ;   in Loop: Header=BB48_30 Depth=1
	s_or_b64 exec, exec, s[6:7]
	v_add_co_u32_e32 v43, vcc, 0x2000, v41
	v_addc_co_u32_e32 v44, vcc, 0, v42, vcc
	global_load_dwordx4 v[49:52], v[43:44], off offset:2048
	;; [unrolled: 18-line block ×3, first 2 shown]
	s_and_saveexec_b64 s[6:7], s[0:1]
	s_cbranch_execz .LBB48_29
; %bb.50:                               ;   in Loop: Header=BB48_30 Depth=1
	v_add_u32_e32 v57, -3, v63
	v_cmp_gt_i32_e32 vcc, s33, v57
	s_waitcnt vmcnt(0)
	v_cndmask_b32_e32 v41, 0, v41, vcc
	v_cmp_gt_i32_e32 vcc, s33, v56
	v_cndmask_b32_e32 v42, 0, v42, vcc
	v_cmp_gt_i32_e32 vcc, s33, v58
	;; [unrolled: 2-line block ×3, first 2 shown]
	v_cndmask_b32_e32 v44, 0, v44, vcc
	s_branch .LBB48_29
.LBB48_51:                              ;   in Loop: Header=BB48_30 Depth=1
	v_add_u32_e32 v9, -3, v63
	v_cmp_gt_i32_e32 vcc, s33, v9
	s_waitcnt vmcnt(0)
	v_cndmask_b32_e32 v5, 0, v5, vcc
	v_cmp_gt_i32_e32 vcc, s33, v56
	v_cndmask_b32_e32 v6, 0, v6, vcc
	v_cmp_gt_i32_e32 vcc, s33, v58
	;; [unrolled: 2-line block ×3, first 2 shown]
	v_cndmask_b32_e32 v8, 0, v8, vcc
	s_or_b64 exec, exec, s[6:7]
	global_load_dwordx4 v[9:12], v[41:42], off offset:1024
	s_and_saveexec_b64 s[6:7], s[0:1]
	s_cbranch_execz .LBB48_32
.LBB48_52:                              ;   in Loop: Header=BB48_30 Depth=1
	v_add_u32_e32 v13, -3, v63
	v_cmp_gt_i32_e32 vcc, s33, v13
	s_waitcnt vmcnt(0)
	v_cndmask_b32_e32 v9, 0, v9, vcc
	v_cmp_gt_i32_e32 vcc, s33, v56
	v_cndmask_b32_e32 v10, 0, v10, vcc
	v_cmp_gt_i32_e32 vcc, s33, v58
	v_cndmask_b32_e32 v11, 0, v11, vcc
	v_cmp_gt_i32_e32 vcc, s33, v63
	v_cndmask_b32_e32 v12, 0, v12, vcc
	s_or_b64 exec, exec, s[6:7]
	global_load_dwordx4 v[13:16], v[41:42], off offset:2048
	s_and_saveexec_b64 s[6:7], s[0:1]
	s_cbranch_execz .LBB48_33
.LBB48_53:                              ;   in Loop: Header=BB48_30 Depth=1
	v_add_u32_e32 v17, -3, v63
	v_cmp_gt_i32_e32 vcc, s33, v17
	s_waitcnt vmcnt(0)
	v_cndmask_b32_e32 v13, 0, v13, vcc
	v_cmp_gt_i32_e32 vcc, s33, v56
	v_cndmask_b32_e32 v14, 0, v14, vcc
	v_cmp_gt_i32_e32 vcc, s33, v58
	;; [unrolled: 2-line block ×3, first 2 shown]
	v_cndmask_b32_e32 v16, 0, v16, vcc
	s_or_b64 exec, exec, s[6:7]
	global_load_dwordx4 v[17:20], v[41:42], off offset:3072
	s_and_saveexec_b64 s[6:7], s[0:1]
	s_cbranch_execnz .LBB48_34
	s_branch .LBB48_35
.LBB48_54:
	s_or_b64 exec, exec, s[4:5]
	buffer_load_dword v18, off, s[36:39], 0 offset:40 ; 4-byte Folded Reload
	buffer_load_dword v19, off, s[36:39], 0 offset:44 ; 4-byte Folded Reload
	;; [unrolled: 1-line block ×11, first 2 shown]
.LBB48_55:
	s_or_b64 exec, exec, s[2:3]
	s_waitcnt vmcnt(8)
	ds_bpermute_b32 v1, v13, v5
	ds_bpermute_b32 v2, v13, v60
	;; [unrolled: 1-line block ×5, first 2 shown]
	s_waitcnt lgkmcnt(4)
	v_add_f32_e32 v1, v5, v1
	s_waitcnt lgkmcnt(3)
	v_add_f32_e32 v2, v60, v2
	s_waitcnt vmcnt(7)
	ds_bpermute_b32 v5, v16, v1
	ds_bpermute_b32 v6, v16, v2
	s_waitcnt lgkmcnt(4)
	v_add_f32_e32 v3, v0, v3
	ds_bpermute_b32 v7, v16, v3
	s_waitcnt lgkmcnt(4)
	v_add_f32_e32 v4, v62, v4
	s_waitcnt lgkmcnt(2)
	v_add_f32_e32 v1, v1, v5
	;; [unrolled: 2-line block ×3, first 2 shown]
	s_waitcnt vmcnt(6)
	ds_bpermute_b32 v5, v20, v1
	ds_bpermute_b32 v6, v20, v2
	s_waitcnt lgkmcnt(2)
	v_add_f32_e32 v3, v3, v7
	ds_bpermute_b32 v7, v20, v3
	s_waitcnt lgkmcnt(0)
	v_add_f32_e32 v1, v1, v5
	ds_bpermute_b32 v5, v16, v4
	v_add_f32_e32 v2, v2, v6
	v_add_f32_e32 v6, v61, v8
	ds_bpermute_b32 v8, v16, v6
	v_add_f32_e32 v3, v3, v7
	s_waitcnt lgkmcnt(1)
	v_add_f32_e32 v4, v4, v5
	ds_bpermute_b32 v5, v13, v55
	ds_bpermute_b32 v7, v20, v4
	s_waitcnt lgkmcnt(2)
	v_add_f32_e32 v6, v6, v8
	s_waitcnt vmcnt(0)
	ds_bpermute_b32 v8, v13, v59
	ds_bpermute_b32 v9, v20, v6
	s_waitcnt lgkmcnt(3)
	v_add_f32_e32 v5, v55, v5
	s_waitcnt lgkmcnt(2)
	v_add_f32_e32 v0, v4, v7
	ds_bpermute_b32 v10, v16, v5
	s_waitcnt lgkmcnt(2)
	v_add_f32_e32 v7, v59, v8
	ds_bpermute_b32 v8, v16, v7
	;; [unrolled: 3-line block ×6, first 2 shown]
	ds_bpermute_b32 v12, v16, v11
	s_waitcnt lgkmcnt(3)
	v_add_f32_e32 v5, v5, v9
	s_waitcnt lgkmcnt(2)
	v_add_f32_e32 v8, v14, v8
	ds_bpermute_b32 v9, v16, v8
	s_waitcnt lgkmcnt(2)
	v_add_f32_e32 v6, v7, v10
	s_waitcnt lgkmcnt(1)
	v_add_f32_e32 v7, v11, v12
	ds_bpermute_b32 v11, v13, v22
	ds_bpermute_b32 v10, v20, v7
	s_waitcnt lgkmcnt(2)
	v_add_f32_e32 v8, v8, v9
	ds_bpermute_b32 v9, v13, v15
	ds_bpermute_b32 v13, v13, v17
	;; [unrolled: 4-line block ×3, first 2 shown]
	s_waitcnt lgkmcnt(3)
	v_add_f32_e32 v9, v15, v9
	s_waitcnt lgkmcnt(2)
	v_add_f32_e32 v13, v17, v13
	ds_bpermute_b32 v15, v16, v9
	ds_bpermute_b32 v16, v16, v13
	s_waitcnt lgkmcnt(3)
	v_add_f32_e32 v11, v11, v14
	ds_bpermute_b32 v14, v20, v11
	v_add_f32_e32 v7, v7, v10
	s_waitcnt lgkmcnt(2)
	v_add_f32_e32 v15, v9, v15
	s_waitcnt lgkmcnt(1)
	v_add_f32_e32 v13, v13, v16
	ds_bpermute_b32 v16, v20, v13
	ds_bpermute_b32 v17, v20, v15
	s_waitcnt lgkmcnt(2)
	v_add_f32_e32 v9, v11, v14
	v_add_f32_e32 v8, v8, v12
	s_waitcnt lgkmcnt(0)
	s_barrier
	v_add_f32_e32 v11, v13, v16
	v_and_b32_e32 v13, 0x3c7, v18
	v_add_f32_e32 v10, v15, v17
	v_cmp_eq_u32_e32 vcc, 64, v13
	s_and_saveexec_b64 s[0:1], vcc
	s_cbranch_execz .LBB48_57
; %bb.56:
	v_lshrrev_b32_e32 v12, 1, v19
	v_add_u32_e32 v12, 0x190, v12
	ds_write2_b32 v12, v1, v2 offset1:8
	ds_write2_b32 v12, v3, v0 offset0:16 offset1:24
	ds_write2_b32 v12, v4, v5 offset0:32 offset1:40
	;; [unrolled: 1-line block ×5, first 2 shown]
.LBB48_57:
	s_or_b64 exec, exec, s[0:1]
	v_cmp_gt_u32_e32 vcc, 64, v18
	v_lshrrev_b32_e32 v12, 3, v18
	s_waitcnt lgkmcnt(0)
	s_barrier
	s_and_saveexec_b64 s[0:1], vcc
	s_cbranch_execz .LBB48_72
; %bb.58:
	v_mov_b32_e32 v14, 0x190
	v_cmp_eq_u32_e32 vcc, 0, v21
	v_lshl_add_u32 v14, v12, 2, v14
	s_and_saveexec_b64 s[2:3], vcc
	s_cbranch_execnz .LBB48_75
; %bb.59:
	s_or_b64 exec, exec, s[2:3]
	s_and_saveexec_b64 s[2:3], vcc
	s_cbranch_execnz .LBB48_76
.LBB48_60:
	s_or_b64 exec, exec, s[2:3]
	s_and_saveexec_b64 s[2:3], vcc
	s_cbranch_execnz .LBB48_77
.LBB48_61:
	s_or_b64 exec, exec, s[2:3]
	s_and_saveexec_b64 s[2:3], vcc
	s_cbranch_execnz .LBB48_78
.LBB48_62:
	s_or_b64 exec, exec, s[2:3]
	s_and_saveexec_b64 s[2:3], vcc
	s_cbranch_execnz .LBB48_79
.LBB48_63:
	s_or_b64 exec, exec, s[2:3]
	s_and_saveexec_b64 s[2:3], vcc
	s_cbranch_execnz .LBB48_80
.LBB48_64:
	s_or_b64 exec, exec, s[2:3]
	s_and_saveexec_b64 s[2:3], vcc
	s_cbranch_execnz .LBB48_81
.LBB48_65:
	s_or_b64 exec, exec, s[2:3]
	s_and_saveexec_b64 s[2:3], vcc
	s_cbranch_execnz .LBB48_82
.LBB48_66:
	s_or_b64 exec, exec, s[2:3]
	s_and_saveexec_b64 s[2:3], vcc
	s_cbranch_execnz .LBB48_83
.LBB48_67:
	s_or_b64 exec, exec, s[2:3]
	s_and_saveexec_b64 s[2:3], vcc
	s_cbranch_execnz .LBB48_84
.LBB48_68:
	s_or_b64 exec, exec, s[2:3]
	s_and_saveexec_b64 s[2:3], vcc
	s_cbranch_execnz .LBB48_85
.LBB48_69:
	s_or_b64 exec, exec, s[2:3]
	s_and_saveexec_b64 s[2:3], vcc
	s_cbranch_execz .LBB48_71
.LBB48_70:
	ds_read_b32 v14, v14 offset:352
	s_waitcnt lgkmcnt(0)
	v_add_f32_e32 v11, v11, v14
.LBB48_71:
	s_or_b64 exec, exec, s[2:3]
.LBB48_72:
	s_or_b64 exec, exec, s[0:1]
	v_cmp_eq_u32_e32 vcc, 0, v13
	s_barrier
	s_and_saveexec_b64 s[0:1], vcc
	s_cbranch_execz .LBB48_74
; %bb.73:
	s_mul_i32 s0, s10, s11
	s_mul_i32 s0, s0, s9
	s_mulk_i32 s0, 0x60
	s_ashr_i32 s1, s0, 31
	s_lshl_b64 s[0:1], s[0:1], 2
	s_add_u32 s2, s18, s0
	s_mul_i32 s0, s11, s16
	s_addc_u32 s3, s19, s1
	s_ashr_i32 s1, s0, 31
	s_lshl_b64 s[0:1], s[0:1], 2
	s_add_u32 s2, s2, s0
	s_mul_i32 s0, s8, 0x60
	s_addc_u32 s3, s3, s1
	s_ashr_i32 s1, s0, 31
	s_lshl_b64 s[0:1], s[0:1], 2
	s_add_u32 s0, s2, s0
	s_addc_u32 s1, s3, s1
	v_lshlrev_b32_e32 v12, 2, v12
	global_store_dword v12, v1, s[0:1]
	global_store_dword v12, v2, s[0:1] offset:32
	global_store_dword v12, v3, s[0:1] offset:64
	;; [unrolled: 1-line block ×11, first 2 shown]
.LBB48_74:
	s_endpgm
.LBB48_75:
	ds_read_b32 v15, v14
	s_waitcnt lgkmcnt(0)
	v_add_f32_e32 v1, v1, v15
	s_or_b64 exec, exec, s[2:3]
	s_and_saveexec_b64 s[2:3], vcc
	s_cbranch_execz .LBB48_60
.LBB48_76:
	ds_read_b32 v15, v14 offset:32
	s_waitcnt lgkmcnt(0)
	v_add_f32_e32 v2, v2, v15
	s_or_b64 exec, exec, s[2:3]
	s_and_saveexec_b64 s[2:3], vcc
	s_cbranch_execz .LBB48_61
.LBB48_77:
	ds_read_b32 v15, v14 offset:64
	s_waitcnt lgkmcnt(0)
	v_add_f32_e32 v3, v3, v15
	s_or_b64 exec, exec, s[2:3]
	s_and_saveexec_b64 s[2:3], vcc
	s_cbranch_execz .LBB48_62
.LBB48_78:
	ds_read_b32 v15, v14 offset:96
	s_waitcnt lgkmcnt(0)
	v_add_f32_e32 v0, v0, v15
	s_or_b64 exec, exec, s[2:3]
	s_and_saveexec_b64 s[2:3], vcc
	s_cbranch_execz .LBB48_63
.LBB48_79:
	ds_read_b32 v15, v14 offset:128
	s_waitcnt lgkmcnt(0)
	v_add_f32_e32 v4, v4, v15
	s_or_b64 exec, exec, s[2:3]
	s_and_saveexec_b64 s[2:3], vcc
	s_cbranch_execz .LBB48_64
.LBB48_80:
	ds_read_b32 v15, v14 offset:160
	s_waitcnt lgkmcnt(0)
	v_add_f32_e32 v5, v5, v15
	s_or_b64 exec, exec, s[2:3]
	s_and_saveexec_b64 s[2:3], vcc
	s_cbranch_execz .LBB48_65
.LBB48_81:
	ds_read_b32 v15, v14 offset:192
	s_waitcnt lgkmcnt(0)
	v_add_f32_e32 v6, v6, v15
	s_or_b64 exec, exec, s[2:3]
	s_and_saveexec_b64 s[2:3], vcc
	s_cbranch_execz .LBB48_66
.LBB48_82:
	ds_read_b32 v15, v14 offset:224
	s_waitcnt lgkmcnt(0)
	v_add_f32_e32 v7, v7, v15
	s_or_b64 exec, exec, s[2:3]
	s_and_saveexec_b64 s[2:3], vcc
	s_cbranch_execz .LBB48_67
.LBB48_83:
	ds_read_b32 v15, v14 offset:256
	s_waitcnt lgkmcnt(0)
	v_add_f32_e32 v8, v8, v15
	s_or_b64 exec, exec, s[2:3]
	s_and_saveexec_b64 s[2:3], vcc
	s_cbranch_execz .LBB48_68
.LBB48_84:
	ds_read_b32 v15, v14 offset:288
	s_waitcnt lgkmcnt(0)
	v_add_f32_e32 v9, v9, v15
	s_or_b64 exec, exec, s[2:3]
	s_and_saveexec_b64 s[2:3], vcc
	s_cbranch_execz .LBB48_69
.LBB48_85:
	ds_read_b32 v15, v14 offset:320
	s_waitcnt lgkmcnt(0)
	v_add_f32_e32 v10, v10, v15
	s_or_b64 exec, exec, s[2:3]
	s_and_saveexec_b64 s[2:3], vcc
	s_cbranch_execnz .LBB48_70
	s_branch .LBB48_71
	.section	.rodata,"a",@progbits
	.p2align	6, 0x0
	.amdhsa_kernel _ZN4vllm25paged_attention_v1_kernelIffLi96ELi32ELi128ELNS_18Fp8KVCacheDataTypeE0ELb0EEEvPT_PKS2_PKT0_S8_ifPKiSA_iPKfiiiSC_SC_iiiii
		.amdhsa_group_segment_fixed_size 400
		.amdhsa_private_segment_fixed_size 68
		.amdhsa_kernarg_size 384
		.amdhsa_user_sgpr_count 6
		.amdhsa_user_sgpr_private_segment_buffer 1
		.amdhsa_user_sgpr_dispatch_ptr 0
		.amdhsa_user_sgpr_queue_ptr 0
		.amdhsa_user_sgpr_kernarg_segment_ptr 1
		.amdhsa_user_sgpr_dispatch_id 0
		.amdhsa_user_sgpr_flat_scratch_init 0
		.amdhsa_user_sgpr_private_segment_size 0
		.amdhsa_uses_dynamic_stack 0
		.amdhsa_system_sgpr_private_segment_wavefront_offset 1
		.amdhsa_system_sgpr_workgroup_id_x 1
		.amdhsa_system_sgpr_workgroup_id_y 1
		.amdhsa_system_sgpr_workgroup_id_z 1
		.amdhsa_system_sgpr_workgroup_info 0
		.amdhsa_system_vgpr_workitem_id 0
		.amdhsa_next_free_vgpr 64
		.amdhsa_next_free_sgpr 40
		.amdhsa_reserve_vcc 1
		.amdhsa_reserve_flat_scratch 0
		.amdhsa_float_round_mode_32 0
		.amdhsa_float_round_mode_16_64 0
		.amdhsa_float_denorm_mode_32 3
		.amdhsa_float_denorm_mode_16_64 3
		.amdhsa_dx10_clamp 1
		.amdhsa_ieee_mode 1
		.amdhsa_fp16_overflow 0
		.amdhsa_exception_fp_ieee_invalid_op 0
		.amdhsa_exception_fp_denorm_src 0
		.amdhsa_exception_fp_ieee_div_zero 0
		.amdhsa_exception_fp_ieee_overflow 0
		.amdhsa_exception_fp_ieee_underflow 0
		.amdhsa_exception_fp_ieee_inexact 0
		.amdhsa_exception_int_div_zero 0
	.end_amdhsa_kernel
	.section	.text._ZN4vllm25paged_attention_v1_kernelIffLi96ELi32ELi128ELNS_18Fp8KVCacheDataTypeE0ELb0EEEvPT_PKS2_PKT0_S8_ifPKiSA_iPKfiiiSC_SC_iiiii,"axG",@progbits,_ZN4vllm25paged_attention_v1_kernelIffLi96ELi32ELi128ELNS_18Fp8KVCacheDataTypeE0ELb0EEEvPT_PKS2_PKT0_S8_ifPKiSA_iPKfiiiSC_SC_iiiii,comdat
.Lfunc_end48:
	.size	_ZN4vllm25paged_attention_v1_kernelIffLi96ELi32ELi128ELNS_18Fp8KVCacheDataTypeE0ELb0EEEvPT_PKS2_PKT0_S8_ifPKiSA_iPKfiiiSC_SC_iiiii, .Lfunc_end48-_ZN4vllm25paged_attention_v1_kernelIffLi96ELi32ELi128ELNS_18Fp8KVCacheDataTypeE0ELb0EEEvPT_PKS2_PKT0_S8_ifPKiSA_iPKfiiiSC_SC_iiiii
                                        ; -- End function
	.set _ZN4vllm25paged_attention_v1_kernelIffLi96ELi32ELi128ELNS_18Fp8KVCacheDataTypeE0ELb0EEEvPT_PKS2_PKT0_S8_ifPKiSA_iPKfiiiSC_SC_iiiii.num_vgpr, 64
	.set _ZN4vllm25paged_attention_v1_kernelIffLi96ELi32ELi128ELNS_18Fp8KVCacheDataTypeE0ELb0EEEvPT_PKS2_PKT0_S8_ifPKiSA_iPKfiiiSC_SC_iiiii.num_agpr, 0
	.set _ZN4vllm25paged_attention_v1_kernelIffLi96ELi32ELi128ELNS_18Fp8KVCacheDataTypeE0ELb0EEEvPT_PKS2_PKT0_S8_ifPKiSA_iPKfiiiSC_SC_iiiii.numbered_sgpr, 40
	.set _ZN4vllm25paged_attention_v1_kernelIffLi96ELi32ELi128ELNS_18Fp8KVCacheDataTypeE0ELb0EEEvPT_PKS2_PKT0_S8_ifPKiSA_iPKfiiiSC_SC_iiiii.num_named_barrier, 0
	.set _ZN4vllm25paged_attention_v1_kernelIffLi96ELi32ELi128ELNS_18Fp8KVCacheDataTypeE0ELb0EEEvPT_PKS2_PKT0_S8_ifPKiSA_iPKfiiiSC_SC_iiiii.private_seg_size, 68
	.set _ZN4vllm25paged_attention_v1_kernelIffLi96ELi32ELi128ELNS_18Fp8KVCacheDataTypeE0ELb0EEEvPT_PKS2_PKT0_S8_ifPKiSA_iPKfiiiSC_SC_iiiii.uses_vcc, 1
	.set _ZN4vllm25paged_attention_v1_kernelIffLi96ELi32ELi128ELNS_18Fp8KVCacheDataTypeE0ELb0EEEvPT_PKS2_PKT0_S8_ifPKiSA_iPKfiiiSC_SC_iiiii.uses_flat_scratch, 0
	.set _ZN4vllm25paged_attention_v1_kernelIffLi96ELi32ELi128ELNS_18Fp8KVCacheDataTypeE0ELb0EEEvPT_PKS2_PKT0_S8_ifPKiSA_iPKfiiiSC_SC_iiiii.has_dyn_sized_stack, 0
	.set _ZN4vllm25paged_attention_v1_kernelIffLi96ELi32ELi128ELNS_18Fp8KVCacheDataTypeE0ELb0EEEvPT_PKS2_PKT0_S8_ifPKiSA_iPKfiiiSC_SC_iiiii.has_recursion, 0
	.set _ZN4vllm25paged_attention_v1_kernelIffLi96ELi32ELi128ELNS_18Fp8KVCacheDataTypeE0ELb0EEEvPT_PKS2_PKT0_S8_ifPKiSA_iPKfiiiSC_SC_iiiii.has_indirect_call, 0
	.section	.AMDGPU.csdata,"",@progbits
; Kernel info:
; codeLenInByte = 5836
; TotalNumSgprs: 44
; NumVgprs: 64
; ScratchSize: 68
; MemoryBound: 0
; FloatMode: 240
; IeeeMode: 1
; LDSByteSize: 400 bytes/workgroup (compile time only)
; SGPRBlocks: 5
; VGPRBlocks: 15
; NumSGPRsForWavesPerEU: 44
; NumVGPRsForWavesPerEU: 64
; Occupancy: 4
; WaveLimiterHint : 1
; COMPUTE_PGM_RSRC2:SCRATCH_EN: 1
; COMPUTE_PGM_RSRC2:USER_SGPR: 6
; COMPUTE_PGM_RSRC2:TRAP_HANDLER: 0
; COMPUTE_PGM_RSRC2:TGID_X_EN: 1
; COMPUTE_PGM_RSRC2:TGID_Y_EN: 1
; COMPUTE_PGM_RSRC2:TGID_Z_EN: 1
; COMPUTE_PGM_RSRC2:TIDIG_COMP_CNT: 0
	.section	.text._ZN4vllm25paged_attention_v1_kernelIffLi112ELi32ELi128ELNS_18Fp8KVCacheDataTypeE0ELb0EEEvPT_PKS2_PKT0_S8_ifPKiSA_iPKfiiiSC_SC_iiiii,"axG",@progbits,_ZN4vllm25paged_attention_v1_kernelIffLi112ELi32ELi128ELNS_18Fp8KVCacheDataTypeE0ELb0EEEvPT_PKS2_PKT0_S8_ifPKiSA_iPKfiiiSC_SC_iiiii,comdat
	.protected	_ZN4vllm25paged_attention_v1_kernelIffLi112ELi32ELi128ELNS_18Fp8KVCacheDataTypeE0ELb0EEEvPT_PKS2_PKT0_S8_ifPKiSA_iPKfiiiSC_SC_iiiii ; -- Begin function _ZN4vllm25paged_attention_v1_kernelIffLi112ELi32ELi128ELNS_18Fp8KVCacheDataTypeE0ELb0EEEvPT_PKS2_PKT0_S8_ifPKiSA_iPKfiiiSC_SC_iiiii
	.globl	_ZN4vllm25paged_attention_v1_kernelIffLi112ELi32ELi128ELNS_18Fp8KVCacheDataTypeE0ELb0EEEvPT_PKS2_PKT0_S8_ifPKiSA_iPKfiiiSC_SC_iiiii
	.p2align	8
	.type	_ZN4vllm25paged_attention_v1_kernelIffLi112ELi32ELi128ELNS_18Fp8KVCacheDataTypeE0ELb0EEEvPT_PKS2_PKT0_S8_ifPKiSA_iPKfiiiSC_SC_iiiii,@function
_ZN4vllm25paged_attention_v1_kernelIffLi112ELi32ELi128ELNS_18Fp8KVCacheDataTypeE0ELb0EEEvPT_PKS2_PKT0_S8_ifPKiSA_iPKfiiiSC_SC_iiiii: ; @_ZN4vllm25paged_attention_v1_kernelIffLi112ELi32ELi128ELNS_18Fp8KVCacheDataTypeE0ELb0EEEvPT_PKS2_PKT0_S8_ifPKiSA_iPKfiiiSC_SC_iiiii
; %bb.0:
	s_mov_b64 s[42:43], s[2:3]
	s_mov_b64 s[40:41], s[0:1]
	s_add_u32 s40, s40, s9
	s_load_dword s9, s[4:5], 0x80
	s_load_dwordx2 s[0:1], s[4:5], 0x30
	s_load_dwordx2 s[26:27], s[4:5], 0x20
	s_addc_u32 s41, s41, 0
	s_mov_b32 s10, s7
	s_ashr_i32 s11, s7, 31
	s_lshl_b64 s[2:3], s[10:11], 2
	s_waitcnt lgkmcnt(0)
	s_add_u32 s0, s0, s2
	s_addc_u32 s1, s1, s3
	s_abs_i32 s2, s26
	v_mov_b32_e32 v19, v0
	v_cvt_f32_u32_e32 v0, s2
	s_sub_i32 s11, 0, s2
	s_abs_i32 s7, s9
	s_xor_b32 s3, s9, s26
	v_rcp_iflag_f32_e32 v0, v0
	s_ashr_i32 s3, s3, 31
	s_mov_b32 s26, 0
	v_mul_f32_e32 v0, 0x4f7ffffe, v0
	v_cvt_u32_f32_e32 v0, v0
	v_readfirstlane_b32 s12, v0
	s_mul_i32 s11, s11, s12
	s_mul_hi_u32 s11, s12, s11
	s_add_i32 s12, s12, s11
	s_mul_hi_u32 s11, s7, s12
	s_mul_i32 s12, s11, s2
	s_sub_i32 s7, s7, s12
	s_add_i32 s12, s11, 1
	s_sub_i32 s13, s7, s2
	s_cmp_ge_u32 s7, s2
	s_cselect_b32 s11, s12, s11
	s_cselect_b32 s7, s13, s7
	s_add_i32 s12, s11, 1
	s_cmp_ge_u32 s7, s2
	s_cselect_b32 s2, s12, s11
	s_xor_b32 s2, s2, s3
	s_sub_i32 s12, s2, s3
	s_abs_i32 s11, s12
	v_cvt_f32_u32_e32 v0, s11
	s_load_dwordx2 s[2:3], s[4:5], 0x40
	s_sub_i32 s7, 0, s11
	s_abs_i32 s18, s6
	v_rcp_iflag_f32_e32 v0, v0
	v_mul_f32_e32 v0, 0x4f7ffffe, v0
	v_cvt_u32_f32_e32 v0, v0
	v_readfirstlane_b32 s13, v0
	s_mul_i32 s7, s7, s13
	s_mul_hi_u32 s7, s13, s7
	s_add_i32 s13, s13, s7
	s_waitcnt lgkmcnt(0)
	s_cmp_eq_u64 s[2:3], 0
	s_mul_hi_u32 s19, s18, s13
	s_cbranch_scc1 .LBB49_2
; %bb.1:
	s_ashr_i32 s7, s6, 31
	s_lshl_b64 s[14:15], s[6:7], 2
	s_add_u32 s2, s2, s14
	s_addc_u32 s3, s3, s15
	s_load_dword s26, s[2:3], 0x0
.LBB49_2:
	s_load_dword s33, s[0:1], 0x0
	s_ashr_i32 s3, s12, 31
	s_load_dwordx4 s[12:15], s[4:5], 0x48
	s_ashr_i32 s2, s6, 31
	v_and_b32_e32 v0, 1, v19
	s_mul_i32 s16, s6, 0x70
	v_cmp_gt_u32_e32 vcc, 56, v19
	v_lshlrev_b32_e32 v1, 3, v19
	v_lshlrev_b32_e32 v10, 2, v19
	s_and_saveexec_b64 s[0:1], vcc
	s_cbranch_execz .LBB49_4
; %bb.3:
	s_load_dwordx2 s[6:7], s[4:5], 0x8
	s_waitcnt lgkmcnt(0)
	s_mul_i32 s20, s12, s10
	s_ashr_i32 s21, s20, 31
	s_lshl_b64 s[20:21], s[20:21], 2
	v_and_b32_e32 v4, 0xff8, v10
	s_add_u32 s12, s6, s20
	s_addc_u32 s15, s7, s21
	s_ashr_i32 s17, s16, 31
	s_lshl_b64 s[6:7], s[16:17], 2
	s_add_u32 s6, s12, s6
	s_addc_u32 s7, s15, s7
	global_load_dwordx2 v[2:3], v1, s[6:7]
	s_movk_i32 s6, 0xe0
	v_mad_u32_u24 v4, v0, s6, v4
	s_waitcnt vmcnt(0)
	ds_write_b64 v4, v[2:3]
.LBB49_4:
	s_or_b64 exec, exec, s[0:1]
	s_waitcnt lgkmcnt(0)
	s_add_i32 s1, s33, 31
	s_ashr_i32 s6, s1, 31
	s_lshr_b32 s6, s6, 27
	s_add_i32 s1, s1, s6
	s_ashr_i32 s12, s1, 5
	s_xor_b32 s1, s2, s3
	s_mul_i32 s2, s19, s11
	s_sub_i32 s2, s18, s2
	s_add_i32 s3, s19, 1
	s_sub_i32 s6, s2, s11
	s_load_dwordx2 s[20:21], s[4:5], 0x28
	s_load_dword s0, s[4:5], 0x38
	s_cmp_ge_u32 s2, s11
	s_cselect_b32 s3, s3, s19
	s_cselect_b32 s2, s6, s2
	s_add_i32 s6, s3, 1
	s_cmp_ge_u32 s2, s11
	s_cselect_b32 s2, s6, s3
	v_lshrrev_b32_e32 v59, 6, v19
	s_xor_b32 s2, s2, s1
	s_waitcnt lgkmcnt(0)
	s_mul_i32 s22, s0, s10
	s_sub_i32 s15, s2, s1
	s_ashr_i32 s23, s22, 31
	v_cmp_gt_i32_e64 s[0:1], s12, v59
	v_cmp_le_i32_e32 vcc, s12, v59
	v_mbcnt_lo_u32_b32 v2, -1, 0
	s_barrier
                                        ; implicit-def: $vgpr11
                                        ; implicit-def: $vgpr7
                                        ; implicit-def: $vgpr8
	s_and_saveexec_b64 s[2:3], vcc
	s_xor_b64 s[2:3], exec, s[2:3]
; %bb.5:
	v_mbcnt_hi_u32_b32 v11, -1, v2
	v_and_b32_e32 v7, 64, v11
	v_add_u32_e32 v8, 64, v7
                                        ; implicit-def: $vgpr1
                                        ; implicit-def: $vgpr0
                                        ; implicit-def: $vgpr2
; %bb.6:
	s_or_saveexec_b64 s[6:7], s[2:3]
	s_load_dwordx2 s[18:19], s[4:5], 0x0
	s_load_dwordx2 s[24:25], s[4:5], 0x18
	s_load_dword s11, s[4:5], 0x88
	v_mov_b32_e32 v3, 0xff7fffff
	s_mul_i32 s14, s15, s14
	v_lshrrev_b32_e32 v57, 4, v19
	buffer_store_dword v19, off, s[40:43], 0 offset:108 ; 4-byte Folded Spill
	s_xor_b64 exec, exec, s[6:7]
	s_cbranch_execz .LBB49_12
; %bb.7:
	s_load_dwordx2 s[2:3], s[4:5], 0x10
	s_ashr_i32 s15, s14, 31
	s_lshl_b64 s[4:5], s[14:15], 2
	v_bfe_u32 v3, v19, 1, 5
	v_lshlrev_b32_e32 v5, 4, v3
	s_waitcnt lgkmcnt(0)
	s_add_u32 s2, s2, s4
	s_addc_u32 s3, s3, s5
	v_add_co_u32_e32 v5, vcc, s2, v5
	v_mov_b32_e32 v6, s3
	v_addc_co_u32_e32 v6, vcc, 0, v6, vcc
	v_and_b32_e32 v1, 8, v1
	v_add_co_u32_e32 v1, vcc, v5, v1
	buffer_store_dword v1, off, s[40:43], 0 offset:20 ; 4-byte Folded Spill
	v_addc_co_u32_e32 v1, vcc, 0, v6, vcc
	buffer_store_dword v1, off, s[40:43], 0 offset:24 ; 4-byte Folded Spill
	v_mul_u32_u24_e32 v1, 0xe0, v0
	ds_read_b128 v[5:8], v1
	buffer_store_dword v10, off, s[40:43], 0 offset:64 ; 4-byte Folded Spill
	s_waitcnt lgkmcnt(0)
	buffer_store_dword v5, off, s[40:43], 0 offset:28 ; 4-byte Folded Spill
	s_nop 0
	buffer_store_dword v6, off, s[40:43], 0 offset:32 ; 4-byte Folded Spill
	buffer_store_dword v7, off, s[40:43], 0 offset:36 ; 4-byte Folded Spill
	buffer_store_dword v8, off, s[40:43], 0 offset:40 ; 4-byte Folded Spill
	ds_read_b128 v[5:8], v1 offset:16
	s_waitcnt lgkmcnt(0)
	buffer_store_dword v5, off, s[40:43], 0 offset:44 ; 4-byte Folded Spill
	s_nop 0
	buffer_store_dword v6, off, s[40:43], 0 offset:48 ; 4-byte Folded Spill
	buffer_store_dword v7, off, s[40:43], 0 offset:52 ; 4-byte Folded Spill
	;; [unrolled: 1-line block ×3, first 2 shown]
	ds_read_b128 v[9:12], v1 offset:32
	ds_read_b128 v[13:16], v1 offset:48
	;; [unrolled: 1-line block ×11, first 2 shown]
	v_mbcnt_hi_u32_b32 v5, -1, v2
	v_and_b32_e32 v6, 64, v5
	v_xor_b32_e32 v2, 1, v5
	buffer_store_dword v6, off, s[40:43], 0 offset:76 ; 4-byte Folded Spill
	v_add_u32_e32 v6, 64, v6
	v_lshlrev_b32_e32 v4, 2, v3
	v_cmp_lt_i32_e32 vcc, v2, v6
	s_sub_i32 s15, 1, s33
	s_lshl_b64 s[4:5], s[22:23], 2
	v_cndmask_b32_e32 v2, v5, v2, vcc
	v_cmp_eq_u32_e32 vcc, 0, v0
	ds_read_b128 v[53:56], v1 offset:208
	v_lshl_or_b32 v0, v59, 7, v4
	s_add_u32 s4, s20, s4
	v_add_u32_e32 v63, 0x1d0, v0
	v_and_b32_e32 v0, 60, v57
	s_addc_u32 s28, s21, s5
	buffer_store_dword v57, off, s[40:43], 0 offset:68 ; 4-byte Folded Spill
	v_add_co_u32_e64 v57, s[4:5], s4, v0
	v_mov_b32_e32 v0, s28
	v_addc_co_u32_e64 v58, s[4:5], 0, v0, s[4:5]
	v_mov_b32_e32 v0, 0xff7fffff
	s_mov_b32 s17, s13
	v_lshlrev_b32_e32 v2, 2, v2
	v_cmp_neq_f32_e64 s[2:3], s26, 0
	v_lshl_or_b32 v62, v59, 5, v3
	buffer_store_dword v0, off, s[40:43], 0 ; 4-byte Folded Spill
	s_mov_b64 s[28:29], 0
	s_movk_i32 s34, 0x1000
	s_movk_i32 s35, 0x2000
	;; [unrolled: 1-line block ×3, first 2 shown]
	v_mov_b32_e32 v0, v59
	buffer_store_dword v6, off, s[40:43], 0 offset:80 ; 4-byte Folded Spill
	buffer_store_dword v5, off, s[40:43], 0 offset:72 ; 4-byte Folded Spill
	buffer_store_dword v2, off, s[40:43], 0 offset:60 ; 4-byte Folded Spill
	buffer_store_dword v59, off, s[40:43], 0 offset:16 ; 4-byte Folded Spill
	s_branch .LBB49_9
.LBB49_8:                               ;   in Loop: Header=BB49_9 Depth=1
	s_or_b64 exec, exec, s[30:31]
	v_add_u32_e32 v0, 2, v0
	v_cmp_le_i32_e64 s[4:5], s12, v0
	s_or_b64 s[28:29], s[4:5], s[28:29]
	v_add_co_u32_e64 v57, s[4:5], 8, v57
	v_add_u32_e32 v62, 64, v62
	v_add_u32_e32 v63, 0x100, v63
	v_addc_co_u32_e64 v58, s[4:5], 0, v58, s[4:5]
	s_andn2_b64 exec, exec, s[28:29]
	s_cbranch_execz .LBB49_11
.LBB49_9:                               ; =>This Inner Loop Header: Depth=1
	global_load_dword v1, v[57:58], off
	buffer_load_dword v3, off, s[40:43], 0 offset:20 ; 4-byte Folded Reload
	s_waitcnt vmcnt(1) lgkmcnt(0)
	v_mad_i64_i32 v[1:2], s[4:5], v1, s17, 0
	v_lshlrev_b64 v[1:2], 2, v[1:2]
	s_waitcnt vmcnt(0)
	v_add_co_u32_e64 v3, s[4:5], v3, v1
	buffer_load_dword v1, off, s[40:43], 0 offset:24 ; 4-byte Folded Reload
	s_waitcnt vmcnt(0)
	v_addc_co_u32_e64 v4, s[4:5], v1, v2, s[4:5]
	global_load_dwordx2 v[1:2], v[3:4], off offset:512
	buffer_load_dword v5, off, s[40:43], 0 offset:28 ; 4-byte Folded Reload
	buffer_load_dword v6, off, s[40:43], 0 offset:32 ; 4-byte Folded Reload
	;; [unrolled: 1-line block ×4, first 2 shown]
	global_load_dwordx2 v[59:60], v[3:4], off
	s_waitcnt vmcnt(2)
	v_mul_f32_e32 v61, v7, v1
	s_waitcnt vmcnt(1)
	v_mul_f32_e32 v1, v8, v2
	s_waitcnt vmcnt(0)
	v_fmac_f32_e32 v61, v5, v59
	v_fmac_f32_e32 v1, v6, v60
	global_load_dwordx2 v[59:60], v[3:4], off offset:1024
	buffer_load_dword v5, off, s[40:43], 0 offset:44 ; 4-byte Folded Reload
	buffer_load_dword v6, off, s[40:43], 0 offset:48 ; 4-byte Folded Reload
	;; [unrolled: 1-line block ×4, first 2 shown]
	s_waitcnt vmcnt(3)
	v_fmac_f32_e32 v61, v5, v59
	s_waitcnt vmcnt(2)
	v_fmac_f32_e32 v1, v6, v60
	global_load_dwordx2 v[59:60], v[3:4], off offset:1536
	v_add_co_u32_e64 v5, s[4:5], s34, v3
	v_addc_co_u32_e64 v6, s[4:5], 0, v4, s[4:5]
	s_waitcnt vmcnt(0)
	v_fmac_f32_e32 v61, v7, v59
	v_fmac_f32_e32 v1, v8, v60
	global_load_dwordx2 v[59:60], v[3:4], off offset:2048
	v_add_co_u32_e64 v7, s[4:5], s35, v3
	v_addc_co_u32_e64 v8, s[4:5], 0, v4, s[4:5]
	s_waitcnt vmcnt(0) lgkmcnt(11)
	v_fmac_f32_e32 v61, v9, v59
	v_fmac_f32_e32 v1, v10, v60
	global_load_dwordx2 v[59:60], v[3:4], off offset:2560
	s_waitcnt vmcnt(0)
	v_fmac_f32_e32 v61, v11, v59
	v_fmac_f32_e32 v1, v12, v60
	global_load_dwordx2 v[59:60], v[3:4], off offset:3072
	s_waitcnt vmcnt(0) lgkmcnt(10)
	v_fmac_f32_e32 v61, v13, v59
	v_add_co_u32_e64 v59, s[4:5], s36, v3
	global_load_dwordx2 v[2:3], v[3:4], off offset:3584
	v_fmac_f32_e32 v1, v14, v60
	v_addc_co_u32_e64 v60, s[4:5], 0, v4, s[4:5]
	s_waitcnt vmcnt(0)
	v_fmac_f32_e32 v61, v15, v2
	v_fmac_f32_e32 v1, v16, v3
	global_load_dwordx2 v[2:3], v[7:8], off offset:-4096
	s_waitcnt vmcnt(0) lgkmcnt(9)
	v_fmac_f32_e32 v61, v17, v2
	v_fmac_f32_e32 v1, v18, v3
	global_load_dwordx2 v[2:3], v[5:6], off offset:512
	s_waitcnt vmcnt(0)
	v_fmac_f32_e32 v61, v19, v2
	v_fmac_f32_e32 v1, v20, v3
	global_load_dwordx2 v[2:3], v[5:6], off offset:1024
	s_waitcnt vmcnt(0) lgkmcnt(8)
	v_fmac_f32_e32 v61, v21, v2
	v_fmac_f32_e32 v1, v22, v3
	global_load_dwordx2 v[2:3], v[5:6], off offset:1536
	s_waitcnt vmcnt(0)
	v_fmac_f32_e32 v61, v23, v2
	v_fmac_f32_e32 v1, v24, v3
	global_load_dwordx2 v[2:3], v[5:6], off offset:2048
	;; [unrolled: 8-line block ×3, first 2 shown]
	s_waitcnt vmcnt(0) lgkmcnt(6)
	v_fmac_f32_e32 v61, v29, v2
	v_fmac_f32_e32 v1, v30, v3
	global_load_dwordx2 v[2:3], v[5:6], off offset:3584
	s_waitcnt vmcnt(0)
	v_fmac_f32_e32 v61, v31, v2
	v_fmac_f32_e32 v1, v32, v3
	global_load_dwordx2 v[2:3], v[7:8], off
	s_waitcnt vmcnt(0) lgkmcnt(5)
	v_fmac_f32_e32 v61, v33, v2
	v_fmac_f32_e32 v1, v34, v3
	global_load_dwordx2 v[2:3], v[7:8], off offset:512
	s_waitcnt vmcnt(0)
	v_fmac_f32_e32 v61, v35, v2
	v_fmac_f32_e32 v1, v36, v3
	global_load_dwordx2 v[2:3], v[7:8], off offset:1024
	s_waitcnt vmcnt(0) lgkmcnt(4)
	v_fmac_f32_e32 v61, v37, v2
	v_fmac_f32_e32 v1, v38, v3
	global_load_dwordx2 v[2:3], v[7:8], off offset:1536
	s_waitcnt vmcnt(0)
	v_fmac_f32_e32 v61, v39, v2
	v_fmac_f32_e32 v1, v40, v3
	global_load_dwordx2 v[2:3], v[7:8], off offset:2048
	;; [unrolled: 8-line block ×3, first 2 shown]
	s_waitcnt vmcnt(0) lgkmcnt(2)
	v_fmac_f32_e32 v61, v45, v2
	v_fmac_f32_e32 v1, v46, v3
	global_load_dwordx2 v[2:3], v[7:8], off offset:3584
	s_waitcnt vmcnt(0)
	v_fmac_f32_e32 v61, v47, v2
	v_fmac_f32_e32 v1, v48, v3
	global_load_dwordx2 v[2:3], v[59:60], off
	s_waitcnt vmcnt(0) lgkmcnt(1)
	v_fmac_f32_e32 v61, v49, v2
	v_fmac_f32_e32 v1, v50, v3
	global_load_dwordx2 v[2:3], v[59:60], off offset:512
	s_waitcnt vmcnt(0)
	v_fmac_f32_e32 v61, v51, v2
	v_fmac_f32_e32 v1, v52, v3
	global_load_dwordx2 v[2:3], v[59:60], off offset:1024
	s_waitcnt vmcnt(0) lgkmcnt(0)
	v_fmac_f32_e32 v61, v53, v2
	v_fmac_f32_e32 v1, v54, v3
	global_load_dwordx2 v[2:3], v[59:60], off offset:1536
	s_waitcnt vmcnt(0)
	v_fmac_f32_e32 v61, v55, v2
	buffer_load_dword v2, off, s[40:43], 0 offset:60 ; 4-byte Folded Reload
	v_fmac_f32_e32 v1, v56, v3
	v_add_f32_e32 v1, v61, v1
	s_waitcnt vmcnt(0)
	ds_bpermute_b32 v2, v2, v1
	s_and_saveexec_b64 s[30:31], vcc
	s_cbranch_execz .LBB49_8
; %bb.10:                               ;   in Loop: Header=BB49_9 Depth=1
	buffer_load_dword v4, off, s[40:43], 0  ; 4-byte Folded Reload
	v_add_u32_e32 v3, s15, v62
	v_cvt_f32_i32_e32 v3, v3
	s_waitcnt lgkmcnt(0)
	v_add_f32_e32 v1, v1, v2
	v_cmp_gt_i32_e64 s[4:5], s33, v62
	v_mul_f32_e32 v3, s26, v3
	v_cndmask_b32_e64 v3, 0, v3, s[2:3]
	v_fmac_f32_e32 v3, s27, v1
	v_cndmask_b32_e64 v1, 0, v3, s[4:5]
	ds_write_b32 v63, v1
	s_waitcnt vmcnt(0)
	v_max_f32_e32 v2, v4, v4
	v_max_f32_e32 v1, v2, v3
	v_cndmask_b32_e64 v4, v4, v1, s[4:5]
	buffer_store_dword v4, off, s[40:43], 0 ; 4-byte Folded Spill
	s_branch .LBB49_8
.LBB49_11:
	s_or_b64 exec, exec, s[28:29]
	buffer_load_dword v19, off, s[40:43], 0 offset:108 ; 4-byte Folded Reload
	buffer_load_dword v59, off, s[40:43], 0 offset:16 ; 4-byte Folded Reload
	;; [unrolled: 1-line block ×7, first 2 shown]
	buffer_load_dword v3, off, s[40:43], 0  ; 4-byte Folded Reload
.LBB49_12:
	s_or_b64 exec, exec, s[6:7]
	s_waitcnt vmcnt(3)
	v_xor_b32_e32 v0, 32, v11
	s_waitcnt vmcnt(1)
	v_cmp_lt_i32_e32 vcc, v0, v8
	v_cndmask_b32_e32 v0, v11, v0, vcc
	v_lshlrev_b32_e32 v0, 2, v0
	s_waitcnt vmcnt(0)
	ds_bpermute_b32 v1, v0, v3
	s_waitcnt lgkmcnt(0)
	v_max_f32_e32 v2, v3, v3
	v_xor_b32_e32 v3, 16, v11
	v_cmp_lt_i32_e32 vcc, v3, v8
	v_xor_b32_e32 v4, 8, v11
	v_max_f32_e32 v1, v1, v1
	v_max_f32_e32 v2, v2, v1
	v_cndmask_b32_e32 v1, v11, v3, vcc
	v_lshlrev_b32_e32 v1, 2, v1
	ds_bpermute_b32 v3, v1, v2
	v_cmp_lt_i32_e32 vcc, v4, v8
	v_xor_b32_e32 v5, 4, v11
	v_and_b32_e32 v20, 63, v19
	s_waitcnt lgkmcnt(0)
	v_max_f32_e32 v3, v3, v3
	v_max_f32_e32 v3, v2, v3
	v_cndmask_b32_e32 v2, v11, v4, vcc
	v_lshlrev_b32_e32 v2, 2, v2
	ds_bpermute_b32 v4, v2, v3
	v_cmp_lt_i32_e32 vcc, v5, v8
	s_waitcnt lgkmcnt(0)
	v_max_f32_e32 v4, v4, v4
	v_max_f32_e32 v3, v3, v4
	v_cndmask_b32_e32 v4, v11, v5, vcc
	v_lshlrev_b32_e32 v15, 2, v4
	ds_bpermute_b32 v4, v15, v3
	v_xor_b32_e32 v5, 2, v11
	v_cmp_lt_i32_e32 vcc, v5, v8
	s_waitcnt lgkmcnt(0)
	v_max_f32_e32 v4, v4, v4
	v_max_f32_e32 v4, v3, v4
	v_cndmask_b32_e32 v3, v11, v5, vcc
	v_lshlrev_b32_e32 v18, 2, v3
	ds_bpermute_b32 v5, v18, v4
	v_cmp_eq_u32_e32 vcc, 0, v20
	v_lshlrev_b32_e32 v3, 2, v59
	s_and_saveexec_b64 s[2:3], vcc
	s_cbranch_execz .LBB49_14
; %bb.13:
	s_waitcnt lgkmcnt(0)
	v_max_f32_e32 v5, v5, v5
	v_max_f32_e32 v4, v4, v4
	;; [unrolled: 1-line block ×3, first 2 shown]
	ds_write_b32 v3, v4 offset:448
.LBB49_14:
	s_or_b64 exec, exec, s[2:3]
	v_cmp_gt_u32_e64 s[2:3], 2, v20
	s_waitcnt lgkmcnt(0)
	v_mov_b32_e32 v5, 0xff7fffff
	v_lshlrev_b32_e32 v4, 2, v20
	s_barrier
	s_and_saveexec_b64 s[4:5], s[2:3]
; %bb.15:
	ds_read_b32 v5, v4 offset:448
; %bb.16:
	s_or_b64 exec, exec, s[4:5]
	v_xor_b32_e32 v6, 1, v11
	v_cmp_lt_i32_e64 s[4:5], v6, v8
	v_cndmask_b32_e64 v6, v11, v6, s[4:5]
	v_lshlrev_b32_e32 v21, 2, v6
	s_waitcnt lgkmcnt(0)
	ds_bpermute_b32 v6, v21, v5
	v_max_f32_e32 v5, v5, v5
	s_lshl_b32 s4, s12, 5
	s_min_i32 s15, s4, s33
	v_cmp_gt_i32_e64 s[4:5], s15, v19
	s_waitcnt lgkmcnt(0)
	v_max_f32_e32 v6, v6, v6
	v_max_f32_e32 v5, v5, v6
	v_lshlrev_b32_e32 v6, 2, v7
	ds_bpermute_b32 v6, v6, v5
	v_mov_b32_e32 v5, 0
	s_and_saveexec_b64 s[26:27], s[4:5]
	s_cbranch_execz .LBB49_20
; %bb.17:
	v_mov_b32_e32 v5, 0x1d0
	v_lshl_add_u32 v7, v19, 2, v5
	v_mov_b32_e32 v5, 0
	s_mov_b64 s[28:29], 0
	v_mov_b32_e32 v8, v19
.LBB49_18:                              ; =>This Inner Loop Header: Depth=1
	ds_read_b32 v9, v7
	v_add_u32_e32 v8, 0x80, v8
	v_cmp_le_i32_e64 s[6:7], s15, v8
	s_or_b64 s[28:29], s[6:7], s[28:29]
	s_waitcnt lgkmcnt(0)
	v_sub_f32_e32 v9, v9, v6
	v_mul_f32_e32 v9, 0x3fb8aa3b, v9
	v_exp_f32_e32 v9, v9
	ds_write_b32 v7, v9
	v_add_f32_e32 v5, v5, v9
	v_add_u32_e32 v7, 0x200, v7
	s_andn2_b64 exec, exec, s[28:29]
	s_cbranch_execnz .LBB49_18
; %bb.19:
	s_or_b64 exec, exec, s[28:29]
.LBB49_20:
	s_or_b64 exec, exec, s[26:27]
	ds_bpermute_b32 v0, v0, v5
	s_waitcnt lgkmcnt(0)
	v_add_f32_e32 v0, v5, v0
	ds_bpermute_b32 v1, v1, v0
	s_waitcnt lgkmcnt(0)
	v_add_f32_e32 v0, v0, v1
	;; [unrolled: 3-line block ×6, first 2 shown]
	s_and_saveexec_b64 s[6:7], vcc
; %bb.21:
	ds_write_b32 v3, v0 offset:456
; %bb.22:
	s_or_b64 exec, exec, s[6:7]
	s_waitcnt lgkmcnt(0)
	s_barrier
	s_and_saveexec_b64 s[6:7], s[2:3]
; %bb.23:
	ds_read_b32 v0, v4 offset:456
; %bb.24:
	s_or_b64 exec, exec, s[6:7]
	s_waitcnt lgkmcnt(0)
	ds_bpermute_b32 v1, v21, v0
	v_lshlrev_b32_e32 v2, 2, v11
	s_waitcnt lgkmcnt(0)
	v_add_f32_e32 v0, v0, v1
	v_and_b32_e32 v1, 0xffffff00, v2
	ds_bpermute_b32 v0, v1, v0
	s_and_saveexec_b64 s[2:3], s[4:5]
	s_cbranch_execz .LBB49_27
; %bb.25:
	s_waitcnt lgkmcnt(0)
	v_add_f32_e32 v1, 0x358637bd, v0
	v_div_scale_f32 v0, s[4:5], v1, v1, 1.0
	v_div_scale_f32 v2, vcc, 1.0, v1, 1.0
	s_mov_b64 s[4:5], 0
	v_rcp_f32_e32 v3, v0
	v_fma_f32 v4, -v0, v3, 1.0
	v_fmac_f32_e32 v3, v4, v3
	v_mul_f32_e32 v4, v2, v3
	v_fma_f32 v5, -v0, v4, v2
	v_fmac_f32_e32 v4, v5, v3
	v_fma_f32 v0, -v0, v4, v2
	v_div_fmas_f32 v2, v0, v3, v4
	v_mov_b32_e32 v0, 0x1d0
	v_lshl_add_u32 v0, v19, 2, v0
	v_div_fixup_f32 v1, v2, v1, 1.0
	v_mov_b32_e32 v2, v19
.LBB49_26:                              ; =>This Inner Loop Header: Depth=1
	ds_read_b32 v3, v0
	v_add_u32_e32 v2, 0x80, v2
	v_cmp_le_i32_e32 vcc, s15, v2
	s_or_b64 s[4:5], vcc, s[4:5]
	s_waitcnt lgkmcnt(0)
	v_mul_f32_e32 v3, v1, v3
	ds_write_b32 v0, v3
	v_add_u32_e32 v0, 0x200, v0
	s_andn2_b64 exec, exec, s[4:5]
	s_cbranch_execnz .LBB49_26
.LBB49_27:
	s_or_b64 exec, exec, s[2:3]
	v_mov_b32_e32 v6, 0
	v_and_b32_e32 v22, 7, v19
	v_mov_b32_e32 v4, 0
	v_mov_b32_e32 v5, 0
	;; [unrolled: 1-line block ×13, first 2 shown]
	s_waitcnt lgkmcnt(0)
	s_barrier
	s_and_saveexec_b64 s[2:3], s[0:1]
	s_cbranch_execz .LBB49_59
; %bb.28:
	s_ashr_i32 s15, s14, 31
	s_lshl_b64 s[0:1], s[14:15], 2
	s_add_u32 s0, s24, s0
	v_lshlrev_b32_e32 v1, 4, v19
	s_addc_u32 s1, s25, s1
	v_and_b32_e32 v1, 0x3f0, v1
	v_mov_b32_e32 v2, s1
	v_add_co_u32_e32 v1, vcc, s0, v1
	buffer_store_dword v21, off, s[40:43], 0 offset:124 ; 4-byte Folded Spill
	buffer_store_dword v18, off, s[40:43], 0 offset:120 ; 4-byte Folded Spill
	;; [unrolled: 1-line block ×5, first 2 shown]
	v_addc_co_u32_e32 v1, vcc, 0, v2, vcc
	v_and_b32_e32 v0, 28, v10
	buffer_store_dword v1, off, s[40:43], 0 offset:104 ; 4-byte Folded Spill
	v_lshlrev_b32_e32 v1, 5, v59
	v_or3_b32 v0, v1, v0, 3
	v_lshlrev_b32_e32 v1, 4, v22
	s_add_i32 s14, s12, -1
	v_lshl_or_b32 v1, v59, 7, v1
	s_lshl_b64 s[0:1], s[22:23], 2
	v_add_u32_e32 v63, 0x1d0, v1
	v_and_b32_e32 v1, 60, v57
	s_add_u32 s0, s20, s0
	v_add_co_u32_e32 v61, vcc, s0, v1
	v_mov_b32_e32 v1, 0
	buffer_store_dword v1, off, s[40:43], 0 offset:20 ; 4-byte Folded Spill
	v_mov_b32_e32 v1, 0
	buffer_store_dword v1, off, s[40:43], 0 offset:24 ; 4-byte Folded Spill
	;; [unrolled: 2-line block ×8, first 2 shown]
	v_mov_b32_e32 v1, 0
	s_addc_u32 s1, s21, s1
	buffer_store_dword v1, off, s[40:43], 0 offset:76 ; 4-byte Folded Spill
	v_mov_b32_e32 v1, 0
	v_mov_b32_e32 v2, s1
	buffer_store_dword v1, off, s[40:43], 0 offset:80 ; 4-byte Folded Spill
	v_mov_b32_e32 v1, 0
	v_mov_b32_e32 v23, 0
	v_addc_co_u32_e32 v62, vcc, 0, v2, vcc
	s_mov_b64 s[4:5], 0
	buffer_store_dword v1, off, s[40:43], 0 offset:84 ; 4-byte Folded Spill
	v_mov_b32_e32 v1, 0
	v_mov_b32_e32 v6, 0
	buffer_store_dword v22, off, s[40:43], 0 offset:128 ; 4-byte Folded Spill
	buffer_store_dword v1, off, s[40:43], 0 offset:88 ; 4-byte Folded Spill
	s_branch .LBB49_30
.LBB49_29:                              ;   in Loop: Header=BB49_30 Depth=1
	s_or_b64 exec, exec, s[6:7]
	s_waitcnt vmcnt(5) lgkmcnt(0)
	v_mul_f32_e32 v37, v1, v37
	v_fmac_f32_e32 v37, v2, v38
	buffer_load_dword v38, off, s[40:43], 0 offset:20 ; 4-byte Folded Reload
	s_waitcnt vmcnt(2)
	v_mul_f32_e32 v57, v1, v57
	v_fmac_f32_e32 v57, v2, v58
	v_fmac_f32_e32 v57, v3, v59
	;; [unrolled: 1-line block ×3, first 2 shown]
	v_mul_f32_e32 v33, v1, v33
	v_fmac_f32_e32 v33, v2, v34
	buffer_load_dword v34, off, s[40:43], 0 offset:64 ; 4-byte Folded Reload
	v_mul_f32_e32 v53, v1, v53
	v_fmac_f32_e32 v53, v2, v54
	v_fmac_f32_e32 v53, v3, v55
	;; [unrolled: 1-line block ×3, first 2 shown]
	v_mul_f32_e32 v29, v1, v29
	v_fmac_f32_e32 v29, v2, v30
	v_mul_f32_e32 v45, v1, v45
	v_fmac_f32_e32 v45, v2, v46
	v_fmac_f32_e32 v45, v3, v47
	;; [unrolled: 1-line block ×3, first 2 shown]
	v_mul_f32_e32 v25, v1, v25
	v_fmac_f32_e32 v25, v2, v26
	v_mul_f32_e32 v41, v1, v41
	v_fmac_f32_e32 v41, v2, v42
	v_fmac_f32_e32 v41, v3, v43
	;; [unrolled: 1-line block ×11, first 2 shown]
	v_mul_f32_e32 v17, v1, v17
	v_mul_f32_e32 v13, v1, v13
	v_mul_f32_e32 v9, v1, v9
	v_mul_f32_e32 v5, v1, v5
	v_fmac_f32_e32 v17, v2, v18
	v_fmac_f32_e32 v13, v2, v14
	;; [unrolled: 1-line block ×12, first 2 shown]
	v_add_u32_e32 v0, 64, v0
	v_add_u32_e32 v63, 0x100, v63
	buffer_load_dword v30, off, s[40:43], 0 offset:68 ; 4-byte Folded Reload
	buffer_load_dword v26, off, s[40:43], 0 offset:72 ; 4-byte Folded Reload
	s_waitcnt vmcnt(3)
	v_add_f32_e32 v38, v38, v57
	buffer_store_dword v38, off, s[40:43], 0 offset:20 ; 4-byte Folded Spill
	buffer_load_dword v38, off, s[40:43], 0 offset:24 ; 4-byte Folded Reload
	s_waitcnt vmcnt(4)
	v_add_f32_e32 v34, v34, v33
	buffer_store_dword v34, off, s[40:43], 0 offset:64 ; 4-byte Folded Spill
	s_waitcnt vmcnt(4)
	v_add_f32_e32 v30, v30, v29
	buffer_store_dword v30, off, s[40:43], 0 offset:68 ; 4-byte Folded Spill
	s_waitcnt vmcnt(4)
	v_add_f32_e32 v26, v26, v25
	buffer_store_dword v26, off, s[40:43], 0 offset:72 ; 4-byte Folded Spill
	s_waitcnt vmcnt(3)
	v_add_f32_e32 v38, v38, v53
	buffer_store_dword v38, off, s[40:43], 0 offset:24 ; 4-byte Folded Spill
	buffer_load_dword v38, off, s[40:43], 0 offset:28 ; 4-byte Folded Reload
	s_waitcnt vmcnt(0)
	v_add_f32_e32 v38, v38, v45
	buffer_store_dword v38, off, s[40:43], 0 offset:28 ; 4-byte Folded Spill
	buffer_load_dword v38, off, s[40:43], 0 offset:44 ; 4-byte Folded Reload
	s_waitcnt vmcnt(0)
	v_add_f32_e32 v38, v38, v41
	buffer_store_dword v38, off, s[40:43], 0 offset:44 ; 4-byte Folded Spill
	;; [unrolled: 4-line block ×3, first 2 shown]
	buffer_load_dword v21, off, s[40:43], 0 ; 4-byte Folded Reload
	buffer_load_dword v22, off, s[40:43], 0 offset:4 ; 4-byte Folded Reload
	buffer_load_dword v23, off, s[40:43], 0 offset:8 ; 4-byte Folded Reload
	buffer_load_dword v24, off, s[40:43], 0 offset:12 ; 4-byte Folded Reload
	buffer_load_dword v6, off, s[40:43], 0 offset:96 ; 4-byte Folded Reload
	buffer_load_dword v18, off, s[40:43], 0 offset:80 ; 4-byte Folded Reload
	buffer_load_dword v14, off, s[40:43], 0 offset:84 ; 4-byte Folded Reload
	buffer_load_dword v10, off, s[40:43], 0 offset:88 ; 4-byte Folded Reload
	s_waitcnt vmcnt(7)
	v_mul_f32_e32 v21, v1, v21
	s_waitcnt vmcnt(6)
	v_fmac_f32_e32 v21, v2, v22
	s_waitcnt vmcnt(5)
	v_fmac_f32_e32 v21, v3, v23
	buffer_load_dword v22, off, s[40:43], 0 offset:76 ; 4-byte Folded Reload
	buffer_load_dword v23, off, s[40:43], 0 offset:92 ; 4-byte Folded Reload
	;; [unrolled: 1-line block ×3, first 2 shown]
	v_mul_f32_e32 v1, v1, v49
	v_fmac_f32_e32 v1, v2, v50
	v_fmac_f32_e32 v1, v3, v51
	s_waitcnt vmcnt(7)
	v_fmac_f32_e32 v21, v4, v24
	v_fmac_f32_e32 v1, v4, v52
	s_waitcnt vmcnt(6)
	v_add_f32_e32 v6, v6, v5
	s_waitcnt vmcnt(5)
	v_add_f32_e32 v18, v18, v17
	;; [unrolled: 2-line block ×4, first 2 shown]
	buffer_store_dword v18, off, s[40:43], 0 offset:80 ; 4-byte Folded Spill
	buffer_store_dword v14, off, s[40:43], 0 offset:84 ; 4-byte Folded Spill
	;; [unrolled: 1-line block ×3, first 2 shown]
	s_waitcnt vmcnt(5)
	v_add_f32_e32 v22, v22, v21
	s_waitcnt vmcnt(4)
	v_add_f32_e32 v23, v23, v1
	s_waitcnt vmcnt(3)
	v_add_u32_e32 v59, 2, v59
	v_cmp_le_i32_e32 vcc, s12, v59
	s_or_b64 s[4:5], vcc, s[4:5]
	v_add_co_u32_e32 v61, vcc, 8, v61
	v_addc_co_u32_e32 v62, vcc, 0, v62, vcc
	buffer_store_dword v22, off, s[40:43], 0 offset:76 ; 4-byte Folded Spill
	s_andn2_b64 exec, exec, s[4:5]
	s_cbranch_execz .LBB49_58
.LBB49_30:                              ; =>This Inner Loop Header: Depth=1
	buffer_store_dword v6, off, s[40:43], 0 offset:96 ; 4-byte Folded Spill
	buffer_store_dword v23, off, s[40:43], 0 offset:92 ; 4-byte Folded Spill
	global_load_dword v1, v[61:62], off
	buffer_load_dword v3, off, s[40:43], 0 offset:100 ; 4-byte Folded Reload
	v_add_u32_e32 v24, -2, v0
	v_add_u32_e32 v23, -1, v0
	buffer_store_dword v59, off, s[40:43], 0 offset:16 ; 4-byte Folded Spill
	s_waitcnt vmcnt(2)
	v_mad_i64_i32 v[1:2], s[0:1], v1, s13, 0
	v_cmp_eq_u32_e64 s[0:1], s14, v59
	v_lshlrev_b64 v[1:2], 2, v[1:2]
	s_waitcnt vmcnt(1)
	v_add_co_u32_e32 v49, vcc, v3, v1
	buffer_load_dword v1, off, s[40:43], 0 offset:104 ; 4-byte Folded Reload
	s_waitcnt vmcnt(0)
	v_addc_co_u32_e32 v50, vcc, v1, v2, vcc
	global_load_dwordx4 v[5:8], v[49:50], off
	ds_read_b128 v[1:4], v63
	s_and_saveexec_b64 s[6:7], s[0:1]
	s_cbranch_execnz .LBB49_55
; %bb.31:                               ;   in Loop: Header=BB49_30 Depth=1
	s_or_b64 exec, exec, s[6:7]
	global_load_dwordx4 v[9:12], v[49:50], off offset:1024
	s_and_saveexec_b64 s[6:7], s[0:1]
	s_cbranch_execnz .LBB49_56
.LBB49_32:                              ;   in Loop: Header=BB49_30 Depth=1
	s_or_b64 exec, exec, s[6:7]
	global_load_dwordx4 v[13:16], v[49:50], off offset:2048
	s_and_saveexec_b64 s[6:7], s[0:1]
	s_cbranch_execnz .LBB49_57
.LBB49_33:                              ;   in Loop: Header=BB49_30 Depth=1
	s_or_b64 exec, exec, s[6:7]
	global_load_dwordx4 v[17:20], v[49:50], off offset:3072
	s_and_saveexec_b64 s[6:7], s[0:1]
	s_cbranch_execz .LBB49_35
.LBB49_34:                              ;   in Loop: Header=BB49_30 Depth=1
	v_add_u32_e32 v21, -3, v0
	v_cmp_gt_i32_e32 vcc, s33, v21
	s_waitcnt vmcnt(0)
	v_cndmask_b32_e32 v17, 0, v17, vcc
	v_cmp_gt_i32_e32 vcc, s33, v24
	v_cndmask_b32_e32 v18, 0, v18, vcc
	v_cmp_gt_i32_e32 vcc, s33, v23
	;; [unrolled: 2-line block ×3, first 2 shown]
	v_cndmask_b32_e32 v20, 0, v20, vcc
.LBB49_35:                              ;   in Loop: Header=BB49_30 Depth=1
	s_or_b64 exec, exec, s[6:7]
	v_add_co_u32_e32 v21, vcc, 0x1000, v49
	v_addc_co_u32_e32 v22, vcc, 0, v50, vcc
	global_load_dwordx4 v[25:28], v[21:22], off
	s_waitcnt vmcnt(0)
	buffer_store_dword v25, off, s[40:43], 0 ; 4-byte Folded Spill
	s_nop 0
	buffer_store_dword v26, off, s[40:43], 0 offset:4 ; 4-byte Folded Spill
	buffer_store_dword v27, off, s[40:43], 0 offset:8 ; 4-byte Folded Spill
	;; [unrolled: 1-line block ×3, first 2 shown]
	s_and_saveexec_b64 s[6:7], s[0:1]
	s_cbranch_execz .LBB49_37
; %bb.36:                               ;   in Loop: Header=BB49_30 Depth=1
	v_add_u32_e32 v25, -3, v0
	v_cmp_gt_i32_e32 vcc, s33, v25
	buffer_load_dword v25, off, s[40:43], 0 ; 4-byte Folded Reload
	buffer_load_dword v26, off, s[40:43], 0 offset:4 ; 4-byte Folded Reload
	buffer_load_dword v27, off, s[40:43], 0 offset:8 ; 4-byte Folded Reload
	;; [unrolled: 1-line block ×3, first 2 shown]
	s_waitcnt vmcnt(3)
	v_cndmask_b32_e32 v25, 0, v25, vcc
	v_cmp_gt_i32_e32 vcc, s33, v24
	s_waitcnt vmcnt(2)
	v_cndmask_b32_e32 v26, 0, v26, vcc
	v_cmp_gt_i32_e32 vcc, s33, v23
	;; [unrolled: 3-line block ×3, first 2 shown]
	s_waitcnt vmcnt(0)
	v_cndmask_b32_e32 v28, 0, v28, vcc
	buffer_store_dword v25, off, s[40:43], 0 ; 4-byte Folded Spill
	s_nop 0
	buffer_store_dword v26, off, s[40:43], 0 offset:4 ; 4-byte Folded Spill
	buffer_store_dword v27, off, s[40:43], 0 offset:8 ; 4-byte Folded Spill
	;; [unrolled: 1-line block ×3, first 2 shown]
.LBB49_37:                              ;   in Loop: Header=BB49_30 Depth=1
	s_or_b64 exec, exec, s[6:7]
	v_add_co_u32_e32 v25, vcc, 0x1000, v49
	v_addc_co_u32_e32 v26, vcc, 0, v50, vcc
	global_load_dwordx4 v[25:28], v[25:26], off offset:1024
	s_and_saveexec_b64 s[6:7], s[0:1]
	s_cbranch_execz .LBB49_39
; %bb.38:                               ;   in Loop: Header=BB49_30 Depth=1
	v_add_u32_e32 v29, -3, v0
	v_cmp_gt_i32_e32 vcc, s33, v29
	s_waitcnt vmcnt(0)
	v_cndmask_b32_e32 v25, 0, v25, vcc
	v_cmp_gt_i32_e32 vcc, s33, v24
	v_cndmask_b32_e32 v26, 0, v26, vcc
	v_cmp_gt_i32_e32 vcc, s33, v23
	v_cndmask_b32_e32 v27, 0, v27, vcc
	v_cmp_gt_i32_e32 vcc, s33, v0
	v_cndmask_b32_e32 v28, 0, v28, vcc
.LBB49_39:                              ;   in Loop: Header=BB49_30 Depth=1
	s_or_b64 exec, exec, s[6:7]
	v_add_co_u32_e32 v29, vcc, 0x1000, v49
	v_addc_co_u32_e32 v30, vcc, 0, v50, vcc
	global_load_dwordx4 v[29:32], v[29:30], off offset:2048
	s_and_saveexec_b64 s[6:7], s[0:1]
	s_cbranch_execz .LBB49_41
; %bb.40:                               ;   in Loop: Header=BB49_30 Depth=1
	v_add_u32_e32 v33, -3, v0
	v_cmp_gt_i32_e32 vcc, s33, v33
	s_waitcnt vmcnt(0)
	v_cndmask_b32_e32 v29, 0, v29, vcc
	v_cmp_gt_i32_e32 vcc, s33, v24
	v_cndmask_b32_e32 v30, 0, v30, vcc
	v_cmp_gt_i32_e32 vcc, s33, v23
	v_cndmask_b32_e32 v31, 0, v31, vcc
	v_cmp_gt_i32_e32 vcc, s33, v0
	v_cndmask_b32_e32 v32, 0, v32, vcc
.LBB49_41:                              ;   in Loop: Header=BB49_30 Depth=1
	;; [unrolled: 18-line block ×3, first 2 shown]
	s_or_b64 exec, exec, s[6:7]
	v_add_co_u32_e32 v37, vcc, 0x2000, v49
	v_addc_co_u32_e32 v38, vcc, 0, v50, vcc
	global_load_dwordx4 v[37:40], v[37:38], off
	s_and_saveexec_b64 s[6:7], s[0:1]
	s_cbranch_execz .LBB49_45
; %bb.44:                               ;   in Loop: Header=BB49_30 Depth=1
	v_add_u32_e32 v41, -3, v0
	v_cmp_gt_i32_e32 vcc, s33, v41
	s_waitcnt vmcnt(0)
	v_cndmask_b32_e32 v37, 0, v37, vcc
	v_cmp_gt_i32_e32 vcc, s33, v24
	v_cndmask_b32_e32 v38, 0, v38, vcc
	v_cmp_gt_i32_e32 vcc, s33, v23
	v_cndmask_b32_e32 v39, 0, v39, vcc
	v_cmp_gt_i32_e32 vcc, s33, v0
	v_cndmask_b32_e32 v40, 0, v40, vcc
.LBB49_45:                              ;   in Loop: Header=BB49_30 Depth=1
	s_or_b64 exec, exec, s[6:7]
	v_add_co_u32_e32 v41, vcc, 0x2000, v49
	v_addc_co_u32_e32 v42, vcc, 0, v50, vcc
	global_load_dwordx4 v[41:44], v[41:42], off offset:1024
	s_and_saveexec_b64 s[6:7], s[0:1]
	s_cbranch_execz .LBB49_47
; %bb.46:                               ;   in Loop: Header=BB49_30 Depth=1
	v_add_u32_e32 v45, -3, v0
	v_cmp_gt_i32_e32 vcc, s33, v45
	s_waitcnt vmcnt(0)
	v_cndmask_b32_e32 v41, 0, v41, vcc
	v_cmp_gt_i32_e32 vcc, s33, v24
	v_cndmask_b32_e32 v42, 0, v42, vcc
	v_cmp_gt_i32_e32 vcc, s33, v23
	v_cndmask_b32_e32 v43, 0, v43, vcc
	v_cmp_gt_i32_e32 vcc, s33, v0
	v_cndmask_b32_e32 v44, 0, v44, vcc
.LBB49_47:                              ;   in Loop: Header=BB49_30 Depth=1
	s_or_b64 exec, exec, s[6:7]
	v_add_co_u32_e32 v45, vcc, 0x2000, v49
	v_addc_co_u32_e32 v46, vcc, 0, v50, vcc
	global_load_dwordx4 v[45:48], v[45:46], off offset:2048
	s_and_saveexec_b64 s[6:7], s[0:1]
	s_cbranch_execz .LBB49_49
; %bb.48:                               ;   in Loop: Header=BB49_30 Depth=1
	v_add_u32_e32 v51, -3, v0
	v_cmp_gt_i32_e32 vcc, s33, v51
	s_waitcnt vmcnt(0)
	v_cndmask_b32_e32 v45, 0, v45, vcc
	v_cmp_gt_i32_e32 vcc, s33, v24
	v_cndmask_b32_e32 v46, 0, v46, vcc
	v_cmp_gt_i32_e32 vcc, s33, v23
	v_cndmask_b32_e32 v47, 0, v47, vcc
	v_cmp_gt_i32_e32 vcc, s33, v0
	v_cndmask_b32_e32 v48, 0, v48, vcc
.LBB49_49:                              ;   in Loop: Header=BB49_30 Depth=1
	s_or_b64 exec, exec, s[6:7]
	v_add_co_u32_e32 v51, vcc, 0x2000, v49
	v_addc_co_u32_e32 v52, vcc, 0, v50, vcc
	global_load_dwordx4 v[53:56], v[51:52], off offset:3072
	s_and_saveexec_b64 s[6:7], s[0:1]
	s_cbranch_execz .LBB49_51
; %bb.50:                               ;   in Loop: Header=BB49_30 Depth=1
	v_add_u32_e32 v51, -3, v0
	v_cmp_gt_i32_e32 vcc, s33, v51
	s_waitcnt vmcnt(0)
	v_cndmask_b32_e32 v53, 0, v53, vcc
	v_cmp_gt_i32_e32 vcc, s33, v24
	v_cndmask_b32_e32 v54, 0, v54, vcc
	v_cmp_gt_i32_e32 vcc, s33, v23
	;; [unrolled: 2-line block ×3, first 2 shown]
	v_cndmask_b32_e32 v56, 0, v56, vcc
.LBB49_51:                              ;   in Loop: Header=BB49_30 Depth=1
	s_or_b64 exec, exec, s[6:7]
	v_add_co_u32_e32 v51, vcc, 0x3000, v49
	v_addc_co_u32_e32 v52, vcc, 0, v50, vcc
	global_load_dwordx4 v[57:60], v[51:52], off
	s_and_saveexec_b64 s[6:7], s[0:1]
	s_cbranch_execz .LBB49_53
; %bb.52:                               ;   in Loop: Header=BB49_30 Depth=1
	v_add_u32_e32 v51, -3, v0
	v_cmp_gt_i32_e32 vcc, s33, v51
	s_waitcnt vmcnt(0)
	v_cndmask_b32_e32 v57, 0, v57, vcc
	v_cmp_gt_i32_e32 vcc, s33, v24
	v_cndmask_b32_e32 v58, 0, v58, vcc
	v_cmp_gt_i32_e32 vcc, s33, v23
	;; [unrolled: 2-line block ×3, first 2 shown]
	v_cndmask_b32_e32 v60, 0, v60, vcc
.LBB49_53:                              ;   in Loop: Header=BB49_30 Depth=1
	s_or_b64 exec, exec, s[6:7]
	v_add_co_u32_e32 v49, vcc, 0x3000, v49
	v_addc_co_u32_e32 v50, vcc, 0, v50, vcc
	global_load_dwordx4 v[49:52], v[49:50], off offset:1024
	s_and_saveexec_b64 s[6:7], s[0:1]
	s_cbranch_execz .LBB49_29
; %bb.54:                               ;   in Loop: Header=BB49_30 Depth=1
	v_mov_b32_e32 v21, v20
	v_mov_b32_e32 v20, v19
	;; [unrolled: 1-line block ×17, first 2 shown]
	v_add_u32_e32 v63, -3, v0
	v_cmp_gt_i32_e32 vcc, s33, v63
	v_mov_b32_e32 v63, v5
	v_mov_b32_e32 v5, v6
	v_mov_b32_e32 v6, v7
	v_mov_b32_e32 v7, v8
	v_mov_b32_e32 v8, v9
	v_mov_b32_e32 v9, v10
	s_waitcnt vmcnt(0)
	v_cndmask_b32_e32 v49, 0, v49, vcc
	v_cmp_gt_i32_e32 vcc, s33, v24
	v_mov_b32_e32 v10, v11
	v_mov_b32_e32 v11, v12
	;; [unrolled: 1-line block ×4, first 2 shown]
	v_cndmask_b32_e32 v50, 0, v50, vcc
	v_cmp_gt_i32_e32 vcc, s33, v23
	v_mov_b32_e32 v14, v15
	v_mov_b32_e32 v15, v16
	;; [unrolled: 1-line block ×4, first 2 shown]
	v_cndmask_b32_e32 v51, 0, v51, vcc
	v_cmp_gt_i32_e32 vcc, s33, v0
	v_mov_b32_e32 v18, v19
	v_mov_b32_e32 v19, v20
	v_mov_b32_e32 v20, v21
	v_cndmask_b32_e32 v52, 0, v52, vcc
	s_branch .LBB49_29
.LBB49_55:                              ;   in Loop: Header=BB49_30 Depth=1
	v_add_u32_e32 v9, -3, v0
	v_cmp_gt_i32_e32 vcc, s33, v9
	s_waitcnt vmcnt(0)
	v_cndmask_b32_e32 v5, 0, v5, vcc
	v_cmp_gt_i32_e32 vcc, s33, v24
	v_cndmask_b32_e32 v6, 0, v6, vcc
	v_cmp_gt_i32_e32 vcc, s33, v23
	;; [unrolled: 2-line block ×3, first 2 shown]
	v_cndmask_b32_e32 v8, 0, v8, vcc
	s_or_b64 exec, exec, s[6:7]
	global_load_dwordx4 v[9:12], v[49:50], off offset:1024
	s_and_saveexec_b64 s[6:7], s[0:1]
	s_cbranch_execz .LBB49_32
.LBB49_56:                              ;   in Loop: Header=BB49_30 Depth=1
	v_add_u32_e32 v13, -3, v0
	v_cmp_gt_i32_e32 vcc, s33, v13
	s_waitcnt vmcnt(0)
	v_cndmask_b32_e32 v9, 0, v9, vcc
	v_cmp_gt_i32_e32 vcc, s33, v24
	v_cndmask_b32_e32 v10, 0, v10, vcc
	v_cmp_gt_i32_e32 vcc, s33, v23
	;; [unrolled: 2-line block ×3, first 2 shown]
	v_cndmask_b32_e32 v12, 0, v12, vcc
	s_or_b64 exec, exec, s[6:7]
	global_load_dwordx4 v[13:16], v[49:50], off offset:2048
	s_and_saveexec_b64 s[6:7], s[0:1]
	s_cbranch_execz .LBB49_33
.LBB49_57:                              ;   in Loop: Header=BB49_30 Depth=1
	v_add_u32_e32 v17, -3, v0
	v_cmp_gt_i32_e32 vcc, s33, v17
	s_waitcnt vmcnt(0)
	v_cndmask_b32_e32 v13, 0, v13, vcc
	v_cmp_gt_i32_e32 vcc, s33, v24
	v_cndmask_b32_e32 v14, 0, v14, vcc
	v_cmp_gt_i32_e32 vcc, s33, v23
	;; [unrolled: 2-line block ×3, first 2 shown]
	v_cndmask_b32_e32 v16, 0, v16, vcc
	s_or_b64 exec, exec, s[6:7]
	global_load_dwordx4 v[17:20], v[49:50], off offset:3072
	s_and_saveexec_b64 s[6:7], s[0:1]
	s_cbranch_execnz .LBB49_34
	s_branch .LBB49_35
.LBB49_58:
	s_or_b64 exec, exec, s[4:5]
	buffer_load_dword v19, off, s[40:43], 0 offset:108 ; 4-byte Folded Reload
	buffer_load_dword v20, off, s[40:43], 0 offset:112 ; 4-byte Folded Reload
	;; [unrolled: 1-line block ×18, first 2 shown]
.LBB49_59:
	s_or_b64 exec, exec, s[2:3]
	s_waitcnt vmcnt(0)
	ds_bpermute_b32 v1, v15, v4
	ds_bpermute_b32 v0, v15, v6
	ds_bpermute_b32 v2, v15, v5
	ds_bpermute_b32 v3, v15, v25
	ds_bpermute_b32 v7, v15, v8
	s_waitcnt lgkmcnt(4)
	v_add_f32_e32 v1, v4, v1
	s_waitcnt lgkmcnt(3)
	v_add_f32_e32 v0, v6, v0
	;; [unrolled: 2-line block ×3, first 2 shown]
	ds_bpermute_b32 v5, v18, v1
	ds_bpermute_b32 v4, v18, v0
	;; [unrolled: 1-line block ×3, first 2 shown]
	s_waitcnt lgkmcnt(4)
	v_add_f32_e32 v3, v25, v3
	s_waitcnt lgkmcnt(0)
	v_add_f32_e32 v1, v1, v5
	v_add_f32_e32 v0, v0, v4
	ds_bpermute_b32 v5, v21, v1
	ds_bpermute_b32 v4, v21, v0
	v_add_f32_e32 v2, v2, v6
	ds_bpermute_b32 v6, v21, v2
	s_waitcnt lgkmcnt(0)
	s_barrier
	v_add_f32_e32 v1, v1, v5
	v_add_f32_e32 v5, v8, v7
	v_add_f32_e32 v0, v0, v4
	ds_bpermute_b32 v4, v18, v3
	ds_bpermute_b32 v7, v18, v5
	v_add_f32_e32 v2, v2, v6
	s_waitcnt lgkmcnt(0)
	v_add_f32_e32 v3, v3, v4
	v_add_f32_e32 v5, v5, v7
	ds_bpermute_b32 v4, v15, v9
	ds_bpermute_b32 v6, v21, v3
	;; [unrolled: 1-line block ×4, first 2 shown]
	s_waitcnt lgkmcnt(3)
	v_add_f32_e32 v9, v9, v4
	s_waitcnt lgkmcnt(2)
	v_add_f32_e32 v3, v3, v6
	;; [unrolled: 2-line block ×4, first 2 shown]
	ds_bpermute_b32 v8, v15, v11
	ds_bpermute_b32 v10, v18, v9
	;; [unrolled: 1-line block ×3, first 2 shown]
	s_waitcnt lgkmcnt(2)
	v_add_f32_e32 v8, v11, v8
	s_waitcnt lgkmcnt(1)
	v_add_f32_e32 v5, v9, v10
	;; [unrolled: 2-line block ×3, first 2 shown]
	ds_bpermute_b32 v7, v15, v12
	ds_bpermute_b32 v11, v18, v8
	ds_bpermute_b32 v9, v21, v5
	ds_bpermute_b32 v10, v21, v6
	s_waitcnt lgkmcnt(3)
	v_add_f32_e32 v7, v12, v7
	s_waitcnt lgkmcnt(2)
	v_add_f32_e32 v8, v8, v11
	;; [unrolled: 2-line block ×3, first 2 shown]
	ds_bpermute_b32 v9, v18, v7
	ds_bpermute_b32 v11, v21, v8
	;; [unrolled: 1-line block ×3, first 2 shown]
	s_waitcnt lgkmcnt(3)
	v_add_f32_e32 v6, v6, v10
	ds_bpermute_b32 v10, v15, v14
	s_waitcnt lgkmcnt(3)
	v_add_f32_e32 v9, v7, v9
	s_waitcnt lgkmcnt(2)
	v_add_f32_e32 v7, v8, v11
	;; [unrolled: 2-line block ×3, first 2 shown]
	ds_bpermute_b32 v13, v21, v9
	ds_bpermute_b32 v12, v18, v11
	s_waitcnt lgkmcnt(2)
	v_add_f32_e32 v10, v14, v10
	ds_bpermute_b32 v14, v18, v10
	s_waitcnt lgkmcnt(2)
	v_add_f32_e32 v8, v9, v13
	;; [unrolled: 3-line block ×3, first 2 shown]
	ds_bpermute_b32 v12, v15, v17
	ds_bpermute_b32 v15, v15, v23
	s_waitcnt lgkmcnt(3)
	v_add_f32_e32 v9, v10, v14
	s_waitcnt lgkmcnt(2)
	v_add_f32_e32 v13, v16, v13
	ds_bpermute_b32 v16, v18, v13
	s_waitcnt lgkmcnt(2)
	v_add_f32_e32 v12, v17, v12
	s_waitcnt lgkmcnt(1)
	v_add_f32_e32 v15, v23, v15
	ds_bpermute_b32 v17, v18, v12
	ds_bpermute_b32 v18, v18, v15
	s_waitcnt lgkmcnt(2)
	v_add_f32_e32 v13, v13, v16
	ds_bpermute_b32 v10, v21, v9
	ds_bpermute_b32 v14, v21, v11
	;; [unrolled: 1-line block ×3, first 2 shown]
	s_waitcnt lgkmcnt(3)
	v_add_f32_e32 v15, v15, v18
	v_add_f32_e32 v12, v12, v17
	ds_bpermute_b32 v18, v21, v15
	ds_bpermute_b32 v17, v21, v12
	s_waitcnt lgkmcnt(4)
	v_add_f32_e32 v9, v9, v10
	s_waitcnt lgkmcnt(3)
	v_add_f32_e32 v10, v11, v14
	;; [unrolled: 2-line block ×4, first 2 shown]
	v_and_b32_e32 v15, 0x3c7, v19
	s_waitcnt lgkmcnt(0)
	v_add_f32_e32 v12, v12, v17
	v_cmp_eq_u32_e32 vcc, 64, v15
	s_and_saveexec_b64 s[0:1], vcc
	s_cbranch_execz .LBB49_61
; %bb.60:
	v_lshrrev_b32_e32 v14, 1, v20
	v_add_u32_e32 v14, 0x1d0, v14
	ds_write2_b32 v14, v0, v1 offset1:8
	ds_write2_b32 v14, v2, v3 offset0:16 offset1:24
	ds_write2_b32 v14, v4, v5 offset0:32 offset1:40
	;; [unrolled: 1-line block ×6, first 2 shown]
.LBB49_61:
	s_or_b64 exec, exec, s[0:1]
	v_cmp_gt_u32_e32 vcc, 64, v19
	v_lshrrev_b32_e32 v14, 3, v19
	s_waitcnt lgkmcnt(0)
	s_barrier
	s_and_saveexec_b64 s[0:1], vcc
	s_cbranch_execz .LBB49_78
; %bb.62:
	v_mov_b32_e32 v16, 0x1d0
	v_cmp_eq_u32_e32 vcc, 0, v22
	v_lshl_add_u32 v16, v14, 2, v16
	s_and_saveexec_b64 s[2:3], vcc
	s_cbranch_execnz .LBB49_81
; %bb.63:
	s_or_b64 exec, exec, s[2:3]
	s_and_saveexec_b64 s[2:3], vcc
	s_cbranch_execnz .LBB49_82
.LBB49_64:
	s_or_b64 exec, exec, s[2:3]
	s_and_saveexec_b64 s[2:3], vcc
	s_cbranch_execnz .LBB49_83
.LBB49_65:
	s_or_b64 exec, exec, s[2:3]
	s_and_saveexec_b64 s[2:3], vcc
	s_cbranch_execnz .LBB49_84
.LBB49_66:
	s_or_b64 exec, exec, s[2:3]
	s_and_saveexec_b64 s[2:3], vcc
	s_cbranch_execnz .LBB49_85
.LBB49_67:
	s_or_b64 exec, exec, s[2:3]
	s_and_saveexec_b64 s[2:3], vcc
	s_cbranch_execnz .LBB49_86
.LBB49_68:
	s_or_b64 exec, exec, s[2:3]
	s_and_saveexec_b64 s[2:3], vcc
	s_cbranch_execnz .LBB49_87
.LBB49_69:
	s_or_b64 exec, exec, s[2:3]
	s_and_saveexec_b64 s[2:3], vcc
	s_cbranch_execnz .LBB49_88
.LBB49_70:
	s_or_b64 exec, exec, s[2:3]
	s_and_saveexec_b64 s[2:3], vcc
	s_cbranch_execnz .LBB49_89
.LBB49_71:
	s_or_b64 exec, exec, s[2:3]
	s_and_saveexec_b64 s[2:3], vcc
	s_cbranch_execnz .LBB49_90
.LBB49_72:
	s_or_b64 exec, exec, s[2:3]
	s_and_saveexec_b64 s[2:3], vcc
	s_cbranch_execnz .LBB49_91
.LBB49_73:
	s_or_b64 exec, exec, s[2:3]
	s_and_saveexec_b64 s[2:3], vcc
	s_cbranch_execnz .LBB49_92
.LBB49_74:
	s_or_b64 exec, exec, s[2:3]
	s_and_saveexec_b64 s[2:3], vcc
	s_cbranch_execnz .LBB49_93
.LBB49_75:
	s_or_b64 exec, exec, s[2:3]
	s_and_saveexec_b64 s[2:3], vcc
	s_cbranch_execz .LBB49_77
.LBB49_76:
	ds_read_b32 v16, v16 offset:416
	s_waitcnt lgkmcnt(0)
	v_add_f32_e32 v13, v13, v16
.LBB49_77:
	s_or_b64 exec, exec, s[2:3]
.LBB49_78:
	s_or_b64 exec, exec, s[0:1]
	v_cmp_eq_u32_e32 vcc, 0, v15
	s_barrier
	s_and_saveexec_b64 s[0:1], vcc
	s_cbranch_execz .LBB49_80
; %bb.79:
	s_mul_i32 s0, s10, s11
	s_mul_i32 s0, s0, s9
	s_mulk_i32 s0, 0x70
	s_ashr_i32 s1, s0, 31
	s_lshl_b64 s[0:1], s[0:1], 2
	s_add_u32 s2, s18, s0
	s_mul_i32 s0, s11, s16
	s_addc_u32 s3, s19, s1
	s_ashr_i32 s1, s0, 31
	s_lshl_b64 s[0:1], s[0:1], 2
	s_add_u32 s2, s2, s0
	s_mul_i32 s0, s8, 0x70
	s_addc_u32 s3, s3, s1
	s_ashr_i32 s1, s0, 31
	s_lshl_b64 s[0:1], s[0:1], 2
	s_add_u32 s0, s2, s0
	s_addc_u32 s1, s3, s1
	v_lshlrev_b32_e32 v14, 2, v14
	global_store_dword v14, v0, s[0:1]
	global_store_dword v14, v1, s[0:1] offset:32
	global_store_dword v14, v2, s[0:1] offset:64
	;; [unrolled: 1-line block ×13, first 2 shown]
.LBB49_80:
	s_endpgm
.LBB49_81:
	ds_read_b32 v17, v16
	s_waitcnt lgkmcnt(0)
	v_add_f32_e32 v0, v0, v17
	s_or_b64 exec, exec, s[2:3]
	s_and_saveexec_b64 s[2:3], vcc
	s_cbranch_execz .LBB49_64
.LBB49_82:
	ds_read_b32 v17, v16 offset:32
	s_waitcnt lgkmcnt(0)
	v_add_f32_e32 v1, v1, v17
	s_or_b64 exec, exec, s[2:3]
	s_and_saveexec_b64 s[2:3], vcc
	s_cbranch_execz .LBB49_65
.LBB49_83:
	ds_read_b32 v17, v16 offset:64
	s_waitcnt lgkmcnt(0)
	v_add_f32_e32 v2, v2, v17
	s_or_b64 exec, exec, s[2:3]
	s_and_saveexec_b64 s[2:3], vcc
	s_cbranch_execz .LBB49_66
.LBB49_84:
	ds_read_b32 v17, v16 offset:96
	s_waitcnt lgkmcnt(0)
	v_add_f32_e32 v3, v3, v17
	s_or_b64 exec, exec, s[2:3]
	s_and_saveexec_b64 s[2:3], vcc
	s_cbranch_execz .LBB49_67
.LBB49_85:
	ds_read_b32 v17, v16 offset:128
	s_waitcnt lgkmcnt(0)
	v_add_f32_e32 v4, v4, v17
	s_or_b64 exec, exec, s[2:3]
	s_and_saveexec_b64 s[2:3], vcc
	s_cbranch_execz .LBB49_68
.LBB49_86:
	ds_read_b32 v17, v16 offset:160
	s_waitcnt lgkmcnt(0)
	v_add_f32_e32 v5, v5, v17
	s_or_b64 exec, exec, s[2:3]
	s_and_saveexec_b64 s[2:3], vcc
	s_cbranch_execz .LBB49_69
.LBB49_87:
	ds_read_b32 v17, v16 offset:192
	s_waitcnt lgkmcnt(0)
	v_add_f32_e32 v6, v6, v17
	s_or_b64 exec, exec, s[2:3]
	s_and_saveexec_b64 s[2:3], vcc
	s_cbranch_execz .LBB49_70
.LBB49_88:
	ds_read_b32 v17, v16 offset:224
	s_waitcnt lgkmcnt(0)
	v_add_f32_e32 v7, v7, v17
	s_or_b64 exec, exec, s[2:3]
	s_and_saveexec_b64 s[2:3], vcc
	s_cbranch_execz .LBB49_71
.LBB49_89:
	ds_read_b32 v17, v16 offset:256
	s_waitcnt lgkmcnt(0)
	v_add_f32_e32 v8, v8, v17
	s_or_b64 exec, exec, s[2:3]
	s_and_saveexec_b64 s[2:3], vcc
	s_cbranch_execz .LBB49_72
.LBB49_90:
	ds_read_b32 v17, v16 offset:288
	s_waitcnt lgkmcnt(0)
	v_add_f32_e32 v9, v9, v17
	s_or_b64 exec, exec, s[2:3]
	s_and_saveexec_b64 s[2:3], vcc
	s_cbranch_execz .LBB49_73
.LBB49_91:
	ds_read_b32 v17, v16 offset:320
	s_waitcnt lgkmcnt(0)
	v_add_f32_e32 v10, v10, v17
	s_or_b64 exec, exec, s[2:3]
	s_and_saveexec_b64 s[2:3], vcc
	s_cbranch_execz .LBB49_74
.LBB49_92:
	ds_read_b32 v17, v16 offset:352
	s_waitcnt lgkmcnt(0)
	v_add_f32_e32 v11, v11, v17
	s_or_b64 exec, exec, s[2:3]
	s_and_saveexec_b64 s[2:3], vcc
	s_cbranch_execz .LBB49_75
.LBB49_93:
	ds_read_b32 v17, v16 offset:384
	s_waitcnt lgkmcnt(0)
	v_add_f32_e32 v12, v12, v17
	s_or_b64 exec, exec, s[2:3]
	s_and_saveexec_b64 s[2:3], vcc
	s_cbranch_execnz .LBB49_76
	s_branch .LBB49_77
	.section	.rodata,"a",@progbits
	.p2align	6, 0x0
	.amdhsa_kernel _ZN4vllm25paged_attention_v1_kernelIffLi112ELi32ELi128ELNS_18Fp8KVCacheDataTypeE0ELb0EEEvPT_PKS2_PKT0_S8_ifPKiSA_iPKfiiiSC_SC_iiiii
		.amdhsa_group_segment_fixed_size 464
		.amdhsa_private_segment_fixed_size 136
		.amdhsa_kernarg_size 384
		.amdhsa_user_sgpr_count 6
		.amdhsa_user_sgpr_private_segment_buffer 1
		.amdhsa_user_sgpr_dispatch_ptr 0
		.amdhsa_user_sgpr_queue_ptr 0
		.amdhsa_user_sgpr_kernarg_segment_ptr 1
		.amdhsa_user_sgpr_dispatch_id 0
		.amdhsa_user_sgpr_flat_scratch_init 0
		.amdhsa_user_sgpr_private_segment_size 0
		.amdhsa_uses_dynamic_stack 0
		.amdhsa_system_sgpr_private_segment_wavefront_offset 1
		.amdhsa_system_sgpr_workgroup_id_x 1
		.amdhsa_system_sgpr_workgroup_id_y 1
		.amdhsa_system_sgpr_workgroup_id_z 1
		.amdhsa_system_sgpr_workgroup_info 0
		.amdhsa_system_vgpr_workitem_id 0
		.amdhsa_next_free_vgpr 64
		.amdhsa_next_free_sgpr 44
		.amdhsa_reserve_vcc 1
		.amdhsa_reserve_flat_scratch 0
		.amdhsa_float_round_mode_32 0
		.amdhsa_float_round_mode_16_64 0
		.amdhsa_float_denorm_mode_32 3
		.amdhsa_float_denorm_mode_16_64 3
		.amdhsa_dx10_clamp 1
		.amdhsa_ieee_mode 1
		.amdhsa_fp16_overflow 0
		.amdhsa_exception_fp_ieee_invalid_op 0
		.amdhsa_exception_fp_denorm_src 0
		.amdhsa_exception_fp_ieee_div_zero 0
		.amdhsa_exception_fp_ieee_overflow 0
		.amdhsa_exception_fp_ieee_underflow 0
		.amdhsa_exception_fp_ieee_inexact 0
		.amdhsa_exception_int_div_zero 0
	.end_amdhsa_kernel
	.section	.text._ZN4vllm25paged_attention_v1_kernelIffLi112ELi32ELi128ELNS_18Fp8KVCacheDataTypeE0ELb0EEEvPT_PKS2_PKT0_S8_ifPKiSA_iPKfiiiSC_SC_iiiii,"axG",@progbits,_ZN4vllm25paged_attention_v1_kernelIffLi112ELi32ELi128ELNS_18Fp8KVCacheDataTypeE0ELb0EEEvPT_PKS2_PKT0_S8_ifPKiSA_iPKfiiiSC_SC_iiiii,comdat
.Lfunc_end49:
	.size	_ZN4vllm25paged_attention_v1_kernelIffLi112ELi32ELi128ELNS_18Fp8KVCacheDataTypeE0ELb0EEEvPT_PKS2_PKT0_S8_ifPKiSA_iPKfiiiSC_SC_iiiii, .Lfunc_end49-_ZN4vllm25paged_attention_v1_kernelIffLi112ELi32ELi128ELNS_18Fp8KVCacheDataTypeE0ELb0EEEvPT_PKS2_PKT0_S8_ifPKiSA_iPKfiiiSC_SC_iiiii
                                        ; -- End function
	.set _ZN4vllm25paged_attention_v1_kernelIffLi112ELi32ELi128ELNS_18Fp8KVCacheDataTypeE0ELb0EEEvPT_PKS2_PKT0_S8_ifPKiSA_iPKfiiiSC_SC_iiiii.num_vgpr, 64
	.set _ZN4vllm25paged_attention_v1_kernelIffLi112ELi32ELi128ELNS_18Fp8KVCacheDataTypeE0ELb0EEEvPT_PKS2_PKT0_S8_ifPKiSA_iPKfiiiSC_SC_iiiii.num_agpr, 0
	.set _ZN4vllm25paged_attention_v1_kernelIffLi112ELi32ELi128ELNS_18Fp8KVCacheDataTypeE0ELb0EEEvPT_PKS2_PKT0_S8_ifPKiSA_iPKfiiiSC_SC_iiiii.numbered_sgpr, 44
	.set _ZN4vllm25paged_attention_v1_kernelIffLi112ELi32ELi128ELNS_18Fp8KVCacheDataTypeE0ELb0EEEvPT_PKS2_PKT0_S8_ifPKiSA_iPKfiiiSC_SC_iiiii.num_named_barrier, 0
	.set _ZN4vllm25paged_attention_v1_kernelIffLi112ELi32ELi128ELNS_18Fp8KVCacheDataTypeE0ELb0EEEvPT_PKS2_PKT0_S8_ifPKiSA_iPKfiiiSC_SC_iiiii.private_seg_size, 136
	.set _ZN4vllm25paged_attention_v1_kernelIffLi112ELi32ELi128ELNS_18Fp8KVCacheDataTypeE0ELb0EEEvPT_PKS2_PKT0_S8_ifPKiSA_iPKfiiiSC_SC_iiiii.uses_vcc, 1
	.set _ZN4vllm25paged_attention_v1_kernelIffLi112ELi32ELi128ELNS_18Fp8KVCacheDataTypeE0ELb0EEEvPT_PKS2_PKT0_S8_ifPKiSA_iPKfiiiSC_SC_iiiii.uses_flat_scratch, 0
	.set _ZN4vllm25paged_attention_v1_kernelIffLi112ELi32ELi128ELNS_18Fp8KVCacheDataTypeE0ELb0EEEvPT_PKS2_PKT0_S8_ifPKiSA_iPKfiiiSC_SC_iiiii.has_dyn_sized_stack, 0
	.set _ZN4vllm25paged_attention_v1_kernelIffLi112ELi32ELi128ELNS_18Fp8KVCacheDataTypeE0ELb0EEEvPT_PKS2_PKT0_S8_ifPKiSA_iPKfiiiSC_SC_iiiii.has_recursion, 0
	.set _ZN4vllm25paged_attention_v1_kernelIffLi112ELi32ELi128ELNS_18Fp8KVCacheDataTypeE0ELb0EEEvPT_PKS2_PKT0_S8_ifPKiSA_iPKfiiiSC_SC_iiiii.has_indirect_call, 0
	.section	.AMDGPU.csdata,"",@progbits
; Kernel info:
; codeLenInByte = 7116
; TotalNumSgprs: 48
; NumVgprs: 64
; ScratchSize: 136
; MemoryBound: 0
; FloatMode: 240
; IeeeMode: 1
; LDSByteSize: 464 bytes/workgroup (compile time only)
; SGPRBlocks: 5
; VGPRBlocks: 15
; NumSGPRsForWavesPerEU: 48
; NumVGPRsForWavesPerEU: 64
; Occupancy: 4
; WaveLimiterHint : 1
; COMPUTE_PGM_RSRC2:SCRATCH_EN: 1
; COMPUTE_PGM_RSRC2:USER_SGPR: 6
; COMPUTE_PGM_RSRC2:TRAP_HANDLER: 0
; COMPUTE_PGM_RSRC2:TGID_X_EN: 1
; COMPUTE_PGM_RSRC2:TGID_Y_EN: 1
; COMPUTE_PGM_RSRC2:TGID_Z_EN: 1
; COMPUTE_PGM_RSRC2:TIDIG_COMP_CNT: 0
	.section	.text._ZN4vllm25paged_attention_v1_kernelIffLi120ELi32ELi128ELNS_18Fp8KVCacheDataTypeE0ELb0EEEvPT_PKS2_PKT0_S8_ifPKiSA_iPKfiiiSC_SC_iiiii,"axG",@progbits,_ZN4vllm25paged_attention_v1_kernelIffLi120ELi32ELi128ELNS_18Fp8KVCacheDataTypeE0ELb0EEEvPT_PKS2_PKT0_S8_ifPKiSA_iPKfiiiSC_SC_iiiii,comdat
	.protected	_ZN4vllm25paged_attention_v1_kernelIffLi120ELi32ELi128ELNS_18Fp8KVCacheDataTypeE0ELb0EEEvPT_PKS2_PKT0_S8_ifPKiSA_iPKfiiiSC_SC_iiiii ; -- Begin function _ZN4vllm25paged_attention_v1_kernelIffLi120ELi32ELi128ELNS_18Fp8KVCacheDataTypeE0ELb0EEEvPT_PKS2_PKT0_S8_ifPKiSA_iPKfiiiSC_SC_iiiii
	.globl	_ZN4vllm25paged_attention_v1_kernelIffLi120ELi32ELi128ELNS_18Fp8KVCacheDataTypeE0ELb0EEEvPT_PKS2_PKT0_S8_ifPKiSA_iPKfiiiSC_SC_iiiii
	.p2align	8
	.type	_ZN4vllm25paged_attention_v1_kernelIffLi120ELi32ELi128ELNS_18Fp8KVCacheDataTypeE0ELb0EEEvPT_PKS2_PKT0_S8_ifPKiSA_iPKfiiiSC_SC_iiiii,@function
_ZN4vllm25paged_attention_v1_kernelIffLi120ELi32ELi128ELNS_18Fp8KVCacheDataTypeE0ELb0EEEvPT_PKS2_PKT0_S8_ifPKiSA_iPKfiiiSC_SC_iiiii: ; @_ZN4vllm25paged_attention_v1_kernelIffLi120ELi32ELi128ELNS_18Fp8KVCacheDataTypeE0ELb0EEEvPT_PKS2_PKT0_S8_ifPKiSA_iPKfiiiSC_SC_iiiii
; %bb.0:
	s_mov_b64 s[42:43], s[2:3]
	s_mov_b64 s[40:41], s[0:1]
	s_add_u32 s40, s40, s9
	s_load_dword s9, s[4:5], 0x80
	s_load_dwordx2 s[0:1], s[4:5], 0x30
	s_load_dwordx2 s[26:27], s[4:5], 0x20
	s_addc_u32 s41, s41, 0
	s_mov_b32 s10, s7
	s_ashr_i32 s11, s7, 31
	s_lshl_b64 s[2:3], s[10:11], 2
	s_waitcnt lgkmcnt(0)
	s_add_u32 s0, s0, s2
	s_addc_u32 s1, s1, s3
	s_abs_i32 s2, s26
	v_mov_b32_e32 v21, v0
	v_cvt_f32_u32_e32 v0, s2
	s_sub_i32 s11, 0, s2
	s_abs_i32 s7, s9
	s_xor_b32 s3, s9, s26
	v_rcp_iflag_f32_e32 v0, v0
	s_ashr_i32 s3, s3, 31
	s_mov_b32 s26, 0
	v_mul_f32_e32 v0, 0x4f7ffffe, v0
	v_cvt_u32_f32_e32 v0, v0
	v_readfirstlane_b32 s12, v0
	s_mul_i32 s11, s11, s12
	s_mul_hi_u32 s11, s12, s11
	s_add_i32 s12, s12, s11
	s_mul_hi_u32 s11, s7, s12
	s_mul_i32 s12, s11, s2
	s_sub_i32 s7, s7, s12
	s_add_i32 s12, s11, 1
	s_sub_i32 s13, s7, s2
	s_cmp_ge_u32 s7, s2
	s_cselect_b32 s11, s12, s11
	s_cselect_b32 s7, s13, s7
	s_add_i32 s12, s11, 1
	s_cmp_ge_u32 s7, s2
	s_cselect_b32 s2, s12, s11
	s_xor_b32 s2, s2, s3
	s_sub_i32 s12, s2, s3
	s_abs_i32 s11, s12
	v_cvt_f32_u32_e32 v0, s11
	s_load_dwordx2 s[2:3], s[4:5], 0x40
	s_sub_i32 s7, 0, s11
	s_abs_i32 s18, s6
	v_rcp_iflag_f32_e32 v0, v0
	v_mul_f32_e32 v0, 0x4f7ffffe, v0
	v_cvt_u32_f32_e32 v0, v0
	v_readfirstlane_b32 s13, v0
	s_mul_i32 s7, s7, s13
	s_mul_hi_u32 s7, s13, s7
	s_add_i32 s13, s13, s7
	s_waitcnt lgkmcnt(0)
	s_cmp_eq_u64 s[2:3], 0
	s_mul_hi_u32 s19, s18, s13
	s_cbranch_scc1 .LBB50_2
; %bb.1:
	s_ashr_i32 s7, s6, 31
	s_lshl_b64 s[14:15], s[6:7], 2
	s_add_u32 s2, s2, s14
	s_addc_u32 s3, s3, s15
	s_load_dword s26, s[2:3], 0x0
.LBB50_2:
	s_load_dword s33, s[0:1], 0x0
	s_ashr_i32 s3, s12, 31
	s_load_dwordx4 s[12:15], s[4:5], 0x48
	s_ashr_i32 s2, s6, 31
	v_and_b32_e32 v0, 1, v21
	s_mul_i32 s16, s6, 0x78
	v_cmp_gt_u32_e32 vcc, 60, v21
	v_lshlrev_b32_e32 v1, 3, v21
	v_lshlrev_b32_e32 v11, 2, v21
	s_and_saveexec_b64 s[0:1], vcc
	s_cbranch_execz .LBB50_4
; %bb.3:
	s_load_dwordx2 s[6:7], s[4:5], 0x8
	s_waitcnt lgkmcnt(0)
	s_mul_i32 s20, s12, s10
	s_ashr_i32 s21, s20, 31
	s_lshl_b64 s[20:21], s[20:21], 2
	v_and_b32_e32 v4, 0xff8, v11
	s_add_u32 s12, s6, s20
	s_addc_u32 s15, s7, s21
	s_ashr_i32 s17, s16, 31
	s_lshl_b64 s[6:7], s[16:17], 2
	s_add_u32 s6, s12, s6
	s_addc_u32 s7, s15, s7
	global_load_dwordx2 v[2:3], v1, s[6:7]
	s_movk_i32 s6, 0xf0
	v_mad_u32_u24 v4, v0, s6, v4
	s_waitcnt vmcnt(0)
	ds_write_b64 v4, v[2:3]
.LBB50_4:
	s_or_b64 exec, exec, s[0:1]
	s_waitcnt lgkmcnt(0)
	s_add_i32 s1, s33, 31
	s_ashr_i32 s6, s1, 31
	s_lshr_b32 s6, s6, 27
	s_add_i32 s1, s1, s6
	s_ashr_i32 s12, s1, 5
	s_xor_b32 s1, s2, s3
	s_mul_i32 s2, s19, s11
	s_sub_i32 s2, s18, s2
	s_add_i32 s3, s19, 1
	s_sub_i32 s6, s2, s11
	s_load_dwordx2 s[20:21], s[4:5], 0x28
	s_load_dword s0, s[4:5], 0x38
	s_cmp_ge_u32 s2, s11
	s_cselect_b32 s3, s3, s19
	s_cselect_b32 s2, s6, s2
	s_add_i32 s6, s3, 1
	s_cmp_ge_u32 s2, s11
	s_cselect_b32 s2, s6, s3
	v_lshrrev_b32_e32 v10, 6, v21
	s_xor_b32 s2, s2, s1
	s_waitcnt lgkmcnt(0)
	s_mul_i32 s22, s0, s10
	s_sub_i32 s15, s2, s1
	s_ashr_i32 s23, s22, 31
	v_cmp_gt_i32_e64 s[0:1], s12, v10
	v_cmp_le_i32_e32 vcc, s12, v10
	v_mbcnt_lo_u32_b32 v2, -1, 0
	s_barrier
                                        ; implicit-def: $vgpr12
                                        ; implicit-def: $vgpr7
                                        ; implicit-def: $vgpr8
	s_and_saveexec_b64 s[2:3], vcc
	s_xor_b64 s[2:3], exec, s[2:3]
; %bb.5:
	v_mbcnt_hi_u32_b32 v12, -1, v2
	v_and_b32_e32 v7, 64, v12
	v_add_u32_e32 v8, 64, v7
                                        ; implicit-def: $vgpr1
                                        ; implicit-def: $vgpr0
                                        ; implicit-def: $vgpr2
; %bb.6:
	s_or_saveexec_b64 s[6:7], s[2:3]
	s_load_dwordx2 s[18:19], s[4:5], 0x0
	s_load_dwordx2 s[24:25], s[4:5], 0x18
	s_load_dword s11, s[4:5], 0x88
	v_mov_b32_e32 v3, 0xff7fffff
	s_mul_i32 s14, s15, s14
	v_lshrrev_b32_e32 v61, 4, v21
	buffer_store_dword v21, off, s[40:43], 0 offset:140 ; 4-byte Folded Spill
	s_xor_b64 exec, exec, s[6:7]
	s_cbranch_execz .LBB50_12
; %bb.7:
	s_load_dwordx2 s[2:3], s[4:5], 0x10
	s_ashr_i32 s15, s14, 31
	s_lshl_b64 s[4:5], s[14:15], 2
	v_bfe_u32 v3, v21, 1, 5
	v_lshlrev_b32_e32 v4, 4, v3
	s_waitcnt lgkmcnt(0)
	s_add_u32 s2, s2, s4
	s_addc_u32 s3, s3, s5
	v_add_co_u32_e32 v4, vcc, s2, v4
	v_mov_b32_e32 v6, s3
	v_addc_co_u32_e32 v6, vcc, 0, v6, vcc
	v_and_b32_e32 v1, 8, v1
	v_add_co_u32_e32 v1, vcc, v4, v1
	buffer_store_dword v1, off, s[40:43], 0 offset:16 ; 4-byte Folded Spill
	v_addc_co_u32_e32 v1, vcc, 0, v6, vcc
	buffer_store_dword v1, off, s[40:43], 0 offset:32 ; 4-byte Folded Spill
	v_mul_u32_u24_e32 v1, 0xf0, v0
	ds_read_b128 v[6:9], v1
	buffer_store_dword v11, off, s[40:43], 0 offset:88 ; 4-byte Folded Spill
	s_waitcnt lgkmcnt(0)
	buffer_store_dword v6, off, s[40:43], 0 offset:36 ; 4-byte Folded Spill
	s_nop 0
	buffer_store_dword v7, off, s[40:43], 0 offset:40 ; 4-byte Folded Spill
	buffer_store_dword v8, off, s[40:43], 0 offset:44 ; 4-byte Folded Spill
	buffer_store_dword v9, off, s[40:43], 0 offset:48 ; 4-byte Folded Spill
	ds_read_b128 v[6:9], v1 offset:16
	s_waitcnt lgkmcnt(0)
	buffer_store_dword v6, off, s[40:43], 0 offset:52 ; 4-byte Folded Spill
	s_nop 0
	buffer_store_dword v7, off, s[40:43], 0 offset:56 ; 4-byte Folded Spill
	buffer_store_dword v8, off, s[40:43], 0 offset:60 ; 4-byte Folded Spill
	buffer_store_dword v9, off, s[40:43], 0 offset:64 ; 4-byte Folded Spill
	ds_read_b128 v[6:9], v1 offset:32
	;; [unrolled: 7-line block ×3, first 2 shown]
	ds_read_b128 v[17:20], v1 offset:64
	ds_read_b128 v[21:24], v1 offset:80
	;; [unrolled: 1-line block ×9, first 2 shown]
	v_mbcnt_hi_u32_b32 v4, -1, v2
	v_and_b32_e32 v6, 64, v4
	v_xor_b32_e32 v2, 1, v4
	buffer_store_dword v6, off, s[40:43], 0 offset:100 ; 4-byte Folded Spill
	v_add_u32_e32 v6, 64, v6
	v_cmp_lt_i32_e32 vcc, v2, v6
	v_cndmask_b32_e32 v2, v4, v2, vcc
	v_lshlrev_b32_e32 v2, 2, v2
	v_lshlrev_b32_e32 v5, 2, v3
	buffer_store_dword v6, off, s[40:43], 0 offset:104 ; 4-byte Folded Spill
	buffer_store_dword v4, off, s[40:43], 0 offset:96 ; 4-byte Folded Spill
	;; [unrolled: 1-line block ×3, first 2 shown]
	v_mov_b32_e32 v2, v10
	s_sub_i32 s15, 1, s33
	s_lshl_b64 s[4:5], s[22:23], 2
	v_cmp_eq_u32_e32 vcc, 0, v0
	ds_read_b128 v[53:56], v1 offset:208
	ds_read_b128 v[57:60], v1 offset:224
	v_lshl_or_b32 v0, v2, 7, v5
	s_add_u32 s4, s20, s4
	v_add_u32_e32 v63, 0x1f0, v0
	v_and_b32_e32 v0, 60, v61
	s_addc_u32 s28, s21, s5
	buffer_store_dword v61, off, s[40:43], 0 offset:92 ; 4-byte Folded Spill
	v_add_co_u32_e64 v61, s[4:5], s4, v0
	v_mov_b32_e32 v0, s28
	v_addc_co_u32_e64 v62, s[4:5], 0, v0, s[4:5]
	v_mov_b32_e32 v0, 0xff7fffff
	s_mov_b32 s17, s13
	v_cmp_neq_f32_e64 s[2:3], s26, 0
	v_lshl_or_b32 v4, v2, 5, v3
	buffer_store_dword v0, off, s[40:43], 0 ; 4-byte Folded Spill
	s_mov_b64 s[28:29], 0
	s_movk_i32 s34, 0x1000
	s_movk_i32 s35, 0x2000
	;; [unrolled: 1-line block ×3, first 2 shown]
	v_mov_b32_e32 v12, v10
	v_mov_b32_e32 v0, v10
	s_branch .LBB50_9
.LBB50_8:                               ;   in Loop: Header=BB50_9 Depth=1
	s_or_b64 exec, exec, s[30:31]
	v_add_u32_e32 v0, 2, v0
	v_cmp_le_i32_e64 s[4:5], s12, v0
	s_or_b64 s[28:29], s[4:5], s[28:29]
	v_add_co_u32_e64 v61, s[4:5], 8, v61
	v_add_u32_e32 v4, 64, v4
	v_add_u32_e32 v63, 0x100, v63
	v_addc_co_u32_e64 v62, s[4:5], 0, v62, s[4:5]
	s_andn2_b64 exec, exec, s[28:29]
	s_cbranch_execz .LBB50_11
.LBB50_9:                               ; =>This Inner Loop Header: Depth=1
	global_load_dword v1, v[61:62], off
	buffer_load_dword v3, off, s[40:43], 0 offset:16 ; 4-byte Folded Reload
	s_waitcnt vmcnt(1) lgkmcnt(0)
	v_mad_i64_i32 v[1:2], s[4:5], v1, s17, 0
	v_lshlrev_b64 v[1:2], 2, v[1:2]
	s_waitcnt vmcnt(0)
	v_add_co_u32_e64 v6, s[4:5], v3, v1
	buffer_load_dword v1, off, s[40:43], 0 offset:32 ; 4-byte Folded Reload
	s_waitcnt vmcnt(0)
	v_addc_co_u32_e64 v7, s[4:5], v1, v2, s[4:5]
	global_load_dwordx2 v[1:2], v[6:7], off offset:512
	buffer_load_dword v8, off, s[40:43], 0 offset:36 ; 4-byte Folded Reload
	buffer_load_dword v9, off, s[40:43], 0 offset:40 ; 4-byte Folded Reload
	;; [unrolled: 1-line block ×4, first 2 shown]
	s_waitcnt vmcnt(1)
	v_mul_f32_e32 v3, v10, v1
	s_waitcnt vmcnt(0)
	v_mul_f32_e32 v5, v11, v2
	global_load_dwordx2 v[1:2], v[6:7], off
	s_waitcnt vmcnt(0)
	v_fmac_f32_e32 v3, v8, v1
	v_fmac_f32_e32 v5, v9, v2
	global_load_dwordx2 v[1:2], v[6:7], off offset:1024
	buffer_load_dword v8, off, s[40:43], 0 offset:52 ; 4-byte Folded Reload
	buffer_load_dword v9, off, s[40:43], 0 offset:56 ; 4-byte Folded Reload
	;; [unrolled: 1-line block ×4, first 2 shown]
	s_waitcnt vmcnt(3)
	v_fmac_f32_e32 v3, v8, v1
	s_waitcnt vmcnt(2)
	v_fmac_f32_e32 v5, v9, v2
	global_load_dwordx2 v[1:2], v[6:7], off offset:1536
	s_waitcnt vmcnt(0)
	v_fmac_f32_e32 v3, v10, v1
	v_fmac_f32_e32 v5, v11, v2
	global_load_dwordx2 v[1:2], v[6:7], off offset:2048
	buffer_load_dword v8, off, s[40:43], 0 offset:68 ; 4-byte Folded Reload
	buffer_load_dword v9, off, s[40:43], 0 offset:72 ; 4-byte Folded Reload
	;; [unrolled: 1-line block ×4, first 2 shown]
	s_waitcnt vmcnt(3)
	v_fmac_f32_e32 v3, v8, v1
	s_waitcnt vmcnt(2)
	v_fmac_f32_e32 v5, v9, v2
	global_load_dwordx2 v[1:2], v[6:7], off offset:2560
	v_add_co_u32_e64 v8, s[4:5], s34, v6
	v_addc_co_u32_e64 v9, s[4:5], 0, v7, s[4:5]
	s_waitcnt vmcnt(0)
	v_fmac_f32_e32 v3, v10, v1
	v_fmac_f32_e32 v5, v11, v2
	global_load_dwordx2 v[1:2], v[6:7], off offset:3072
	v_add_co_u32_e64 v10, s[4:5], s35, v6
	v_addc_co_u32_e64 v11, s[4:5], 0, v7, s[4:5]
	s_waitcnt vmcnt(0) lgkmcnt(11)
	v_fmac_f32_e32 v3, v13, v1
	v_add_co_u32_e64 v1, s[4:5], s36, v6
	v_fmac_f32_e32 v5, v14, v2
	v_addc_co_u32_e64 v2, s[4:5], 0, v7, s[4:5]
	global_load_dwordx2 v[6:7], v[6:7], off offset:3584
	s_waitcnt vmcnt(0)
	v_fmac_f32_e32 v3, v15, v6
	v_fmac_f32_e32 v5, v16, v7
	global_load_dwordx2 v[6:7], v[10:11], off offset:-4096
	s_waitcnt vmcnt(0) lgkmcnt(10)
	v_fmac_f32_e32 v3, v17, v6
	v_fmac_f32_e32 v5, v18, v7
	global_load_dwordx2 v[6:7], v[8:9], off offset:512
	s_waitcnt vmcnt(0)
	v_fmac_f32_e32 v3, v19, v6
	v_fmac_f32_e32 v5, v20, v7
	global_load_dwordx2 v[6:7], v[8:9], off offset:1024
	s_waitcnt vmcnt(0) lgkmcnt(9)
	v_fmac_f32_e32 v3, v21, v6
	v_fmac_f32_e32 v5, v22, v7
	global_load_dwordx2 v[6:7], v[8:9], off offset:1536
	s_waitcnt vmcnt(0)
	v_fmac_f32_e32 v3, v23, v6
	v_fmac_f32_e32 v5, v24, v7
	global_load_dwordx2 v[6:7], v[8:9], off offset:2048
	;; [unrolled: 8-line block ×3, first 2 shown]
	s_waitcnt vmcnt(0) lgkmcnt(7)
	v_fmac_f32_e32 v3, v29, v6
	v_fmac_f32_e32 v5, v30, v7
	global_load_dwordx2 v[6:7], v[8:9], off offset:3584
	s_waitcnt vmcnt(0)
	v_fmac_f32_e32 v3, v31, v6
	v_fmac_f32_e32 v5, v32, v7
	global_load_dwordx2 v[6:7], v[10:11], off
	s_waitcnt vmcnt(0) lgkmcnt(6)
	v_fmac_f32_e32 v3, v33, v6
	v_fmac_f32_e32 v5, v34, v7
	global_load_dwordx2 v[6:7], v[10:11], off offset:512
	s_waitcnt vmcnt(0)
	v_fmac_f32_e32 v3, v35, v6
	v_fmac_f32_e32 v5, v36, v7
	global_load_dwordx2 v[6:7], v[10:11], off offset:1024
	s_waitcnt vmcnt(0) lgkmcnt(5)
	v_fmac_f32_e32 v3, v37, v6
	v_fmac_f32_e32 v5, v38, v7
	global_load_dwordx2 v[6:7], v[10:11], off offset:1536
	s_waitcnt vmcnt(0)
	v_fmac_f32_e32 v3, v39, v6
	v_fmac_f32_e32 v5, v40, v7
	global_load_dwordx2 v[6:7], v[10:11], off offset:2048
	;; [unrolled: 8-line block ×3, first 2 shown]
	s_waitcnt vmcnt(0) lgkmcnt(3)
	v_fmac_f32_e32 v3, v45, v6
	v_fmac_f32_e32 v5, v46, v7
	global_load_dwordx2 v[6:7], v[10:11], off offset:3584
	s_waitcnt vmcnt(0)
	v_fmac_f32_e32 v3, v47, v6
	v_fmac_f32_e32 v5, v48, v7
	global_load_dwordx2 v[6:7], v[1:2], off
	s_waitcnt vmcnt(0) lgkmcnt(2)
	v_fmac_f32_e32 v3, v49, v6
	v_fmac_f32_e32 v5, v50, v7
	global_load_dwordx2 v[6:7], v[1:2], off offset:512
	s_waitcnt vmcnt(0)
	v_fmac_f32_e32 v3, v51, v6
	v_fmac_f32_e32 v5, v52, v7
	global_load_dwordx2 v[6:7], v[1:2], off offset:1024
	s_waitcnt vmcnt(0) lgkmcnt(1)
	v_fmac_f32_e32 v3, v53, v6
	v_fmac_f32_e32 v5, v54, v7
	global_load_dwordx2 v[6:7], v[1:2], off offset:1536
	s_waitcnt vmcnt(0)
	v_fmac_f32_e32 v3, v55, v6
	v_fmac_f32_e32 v5, v56, v7
	global_load_dwordx2 v[6:7], v[1:2], off offset:2048
	s_waitcnt vmcnt(0) lgkmcnt(0)
	v_fmac_f32_e32 v5, v58, v7
	global_load_dwordx2 v[1:2], v[1:2], off offset:2560
	v_fmac_f32_e32 v3, v57, v6
	s_waitcnt vmcnt(0)
	v_fmac_f32_e32 v5, v60, v2
	buffer_load_dword v2, off, s[40:43], 0 offset:84 ; 4-byte Folded Reload
	v_fmac_f32_e32 v3, v59, v1
	v_add_f32_e32 v1, v3, v5
	s_waitcnt vmcnt(0)
	ds_bpermute_b32 v2, v2, v1
	s_and_saveexec_b64 s[30:31], vcc
	s_cbranch_execz .LBB50_8
; %bb.10:                               ;   in Loop: Header=BB50_9 Depth=1
	buffer_load_dword v5, off, s[40:43], 0  ; 4-byte Folded Reload
	v_add_u32_e32 v3, s15, v4
	v_cvt_f32_i32_e32 v3, v3
	s_waitcnt lgkmcnt(0)
	v_add_f32_e32 v1, v1, v2
	v_cmp_gt_i32_e64 s[4:5], s33, v4
	v_mul_f32_e32 v3, s26, v3
	v_cndmask_b32_e64 v3, 0, v3, s[2:3]
	v_fmac_f32_e32 v3, s27, v1
	v_cndmask_b32_e64 v1, 0, v3, s[4:5]
	ds_write_b32 v63, v1
	s_waitcnt vmcnt(0)
	v_max_f32_e32 v2, v5, v5
	v_max_f32_e32 v1, v2, v3
	v_cndmask_b32_e64 v5, v5, v1, s[4:5]
	buffer_store_dword v5, off, s[40:43], 0 ; 4-byte Folded Spill
	s_branch .LBB50_8
.LBB50_11:
	s_or_b64 exec, exec, s[28:29]
	buffer_load_dword v21, off, s[40:43], 0 offset:140 ; 4-byte Folded Reload
	v_mov_b32_e32 v10, v12
	buffer_load_dword v11, off, s[40:43], 0 offset:88 ; 4-byte Folded Reload
	buffer_load_dword v61, off, s[40:43], 0 offset:92 ; 4-byte Folded Reload
	;; [unrolled: 1-line block ×5, first 2 shown]
	buffer_load_dword v3, off, s[40:43], 0  ; 4-byte Folded Reload
.LBB50_12:
	s_or_b64 exec, exec, s[6:7]
	s_waitcnt vmcnt(3)
	v_xor_b32_e32 v0, 32, v12
	s_waitcnt vmcnt(1)
	v_cmp_lt_i32_e32 vcc, v0, v8
	v_cndmask_b32_e32 v0, v12, v0, vcc
	v_lshlrev_b32_e32 v0, 2, v0
	s_waitcnt vmcnt(0)
	ds_bpermute_b32 v1, v0, v3
	s_waitcnt lgkmcnt(0)
	v_max_f32_e32 v2, v3, v3
	v_xor_b32_e32 v3, 16, v12
	v_cmp_lt_i32_e32 vcc, v3, v8
	v_xor_b32_e32 v4, 8, v12
	v_max_f32_e32 v1, v1, v1
	v_max_f32_e32 v2, v2, v1
	v_cndmask_b32_e32 v1, v12, v3, vcc
	v_lshlrev_b32_e32 v1, 2, v1
	ds_bpermute_b32 v3, v1, v2
	v_cmp_lt_i32_e32 vcc, v4, v8
	v_xor_b32_e32 v5, 4, v12
	v_and_b32_e32 v22, 63, v21
	s_waitcnt lgkmcnt(0)
	v_max_f32_e32 v3, v3, v3
	v_max_f32_e32 v3, v2, v3
	v_cndmask_b32_e32 v2, v12, v4, vcc
	v_lshlrev_b32_e32 v2, 2, v2
	ds_bpermute_b32 v4, v2, v3
	v_cmp_lt_i32_e32 vcc, v5, v8
	s_waitcnt lgkmcnt(0)
	v_max_f32_e32 v4, v4, v4
	v_max_f32_e32 v3, v3, v4
	v_cndmask_b32_e32 v4, v12, v5, vcc
	v_lshlrev_b32_e32 v16, 2, v4
	ds_bpermute_b32 v4, v16, v3
	v_xor_b32_e32 v5, 2, v12
	v_cmp_lt_i32_e32 vcc, v5, v8
	s_waitcnt lgkmcnt(0)
	v_max_f32_e32 v4, v4, v4
	v_max_f32_e32 v4, v3, v4
	v_cndmask_b32_e32 v3, v12, v5, vcc
	v_lshlrev_b32_e32 v19, 2, v3
	ds_bpermute_b32 v5, v19, v4
	v_cmp_eq_u32_e32 vcc, 0, v22
	v_lshlrev_b32_e32 v3, 2, v10
	s_and_saveexec_b64 s[2:3], vcc
	s_cbranch_execz .LBB50_14
; %bb.13:
	s_waitcnt lgkmcnt(0)
	v_max_f32_e32 v5, v5, v5
	v_max_f32_e32 v4, v4, v4
	v_max_f32_e32 v4, v4, v5
	ds_write_b32 v3, v4 offset:480
.LBB50_14:
	s_or_b64 exec, exec, s[2:3]
	v_cmp_gt_u32_e64 s[2:3], 2, v22
	s_waitcnt lgkmcnt(0)
	v_mov_b32_e32 v5, 0xff7fffff
	v_lshlrev_b32_e32 v4, 2, v22
	s_barrier
	s_and_saveexec_b64 s[4:5], s[2:3]
; %bb.15:
	ds_read_b32 v5, v4 offset:480
; %bb.16:
	s_or_b64 exec, exec, s[4:5]
	v_xor_b32_e32 v6, 1, v12
	v_cmp_lt_i32_e64 s[4:5], v6, v8
	v_cndmask_b32_e64 v6, v12, v6, s[4:5]
	v_lshlrev_b32_e32 v23, 2, v6
	s_waitcnt lgkmcnt(0)
	ds_bpermute_b32 v6, v23, v5
	v_max_f32_e32 v5, v5, v5
	s_lshl_b32 s4, s12, 5
	s_min_i32 s15, s4, s33
	v_cmp_gt_i32_e64 s[4:5], s15, v21
	s_waitcnt lgkmcnt(0)
	v_max_f32_e32 v6, v6, v6
	v_max_f32_e32 v5, v5, v6
	v_lshlrev_b32_e32 v6, 2, v7
	ds_bpermute_b32 v6, v6, v5
	v_mov_b32_e32 v5, 0
	s_and_saveexec_b64 s[26:27], s[4:5]
	s_cbranch_execz .LBB50_20
; %bb.17:
	v_mov_b32_e32 v5, 0x1f0
	v_lshl_add_u32 v7, v21, 2, v5
	v_mov_b32_e32 v5, 0
	s_mov_b64 s[28:29], 0
	v_mov_b32_e32 v8, v21
.LBB50_18:                              ; =>This Inner Loop Header: Depth=1
	ds_read_b32 v9, v7
	v_add_u32_e32 v8, 0x80, v8
	v_cmp_le_i32_e64 s[6:7], s15, v8
	s_or_b64 s[28:29], s[6:7], s[28:29]
	s_waitcnt lgkmcnt(0)
	v_sub_f32_e32 v9, v9, v6
	v_mul_f32_e32 v9, 0x3fb8aa3b, v9
	v_exp_f32_e32 v9, v9
	ds_write_b32 v7, v9
	v_add_f32_e32 v5, v5, v9
	v_add_u32_e32 v7, 0x200, v7
	s_andn2_b64 exec, exec, s[28:29]
	s_cbranch_execnz .LBB50_18
; %bb.19:
	s_or_b64 exec, exec, s[28:29]
.LBB50_20:
	s_or_b64 exec, exec, s[26:27]
	ds_bpermute_b32 v0, v0, v5
	s_waitcnt lgkmcnt(0)
	v_add_f32_e32 v0, v5, v0
	ds_bpermute_b32 v1, v1, v0
	s_waitcnt lgkmcnt(0)
	v_add_f32_e32 v0, v0, v1
	;; [unrolled: 3-line block ×6, first 2 shown]
	s_and_saveexec_b64 s[6:7], vcc
; %bb.21:
	ds_write_b32 v3, v0 offset:488
; %bb.22:
	s_or_b64 exec, exec, s[6:7]
	s_waitcnt lgkmcnt(0)
	s_barrier
	s_and_saveexec_b64 s[6:7], s[2:3]
; %bb.23:
	ds_read_b32 v0, v4 offset:488
; %bb.24:
	s_or_b64 exec, exec, s[6:7]
	s_waitcnt lgkmcnt(0)
	ds_bpermute_b32 v1, v23, v0
	v_lshlrev_b32_e32 v2, 2, v12
	s_waitcnt lgkmcnt(0)
	v_add_f32_e32 v0, v0, v1
	v_and_b32_e32 v1, 0xffffff00, v2
	ds_bpermute_b32 v0, v1, v0
	s_and_saveexec_b64 s[2:3], s[4:5]
	s_cbranch_execz .LBB50_27
; %bb.25:
	s_waitcnt lgkmcnt(0)
	v_add_f32_e32 v1, 0x358637bd, v0
	v_div_scale_f32 v0, s[4:5], v1, v1, 1.0
	v_div_scale_f32 v2, vcc, 1.0, v1, 1.0
	s_mov_b64 s[4:5], 0
	v_rcp_f32_e32 v3, v0
	v_fma_f32 v4, -v0, v3, 1.0
	v_fmac_f32_e32 v3, v4, v3
	v_mul_f32_e32 v4, v2, v3
	v_fma_f32 v5, -v0, v4, v2
	v_fmac_f32_e32 v4, v5, v3
	v_fma_f32 v0, -v0, v4, v2
	v_div_fmas_f32 v2, v0, v3, v4
	v_mov_b32_e32 v0, 0x1f0
	v_lshl_add_u32 v0, v21, 2, v0
	v_div_fixup_f32 v1, v2, v1, 1.0
	v_mov_b32_e32 v2, v21
.LBB50_26:                              ; =>This Inner Loop Header: Depth=1
	ds_read_b32 v3, v0
	v_add_u32_e32 v2, 0x80, v2
	v_cmp_le_i32_e32 vcc, s15, v2
	s_or_b64 s[4:5], vcc, s[4:5]
	s_waitcnt lgkmcnt(0)
	v_mul_f32_e32 v3, v1, v3
	ds_write_b32 v0, v3
	v_add_u32_e32 v0, 0x200, v0
	s_andn2_b64 exec, exec, s[4:5]
	s_cbranch_execnz .LBB50_26
.LBB50_27:
	s_or_b64 exec, exec, s[2:3]
	v_mov_b32_e32 v3, 0
	v_and_b32_e32 v24, 7, v21
	v_mov_b32_e32 v4, 0
	v_mov_b32_e32 v6, 0
	;; [unrolled: 1-line block ×14, first 2 shown]
	s_waitcnt lgkmcnt(0)
	s_barrier
	s_and_saveexec_b64 s[2:3], s[0:1]
	s_cbranch_execz .LBB50_61
; %bb.28:
	s_ashr_i32 s15, s14, 31
	s_lshl_b64 s[0:1], s[14:15], 2
	s_add_u32 s0, s24, s0
	v_lshlrev_b32_e32 v1, 4, v21
	s_addc_u32 s1, s25, s1
	v_and_b32_e32 v1, 0x3f0, v1
	v_mov_b32_e32 v2, s1
	v_add_co_u32_e32 v1, vcc, s0, v1
	buffer_store_dword v23, off, s[40:43], 0 offset:156 ; 4-byte Folded Spill
	buffer_store_dword v19, off, s[40:43], 0 offset:152 ; 4-byte Folded Spill
	;; [unrolled: 1-line block ×5, first 2 shown]
	v_addc_co_u32_e32 v1, vcc, 0, v2, vcc
	v_and_b32_e32 v0, 28, v11
	s_add_i32 s14, s12, -1
	buffer_store_dword v1, off, s[40:43], 0 offset:136 ; 4-byte Folded Spill
	v_lshlrev_b32_e32 v1, 5, v10
	s_lshl_b64 s[0:1], s[22:23], 2
	v_or3_b32 v63, v1, v0, 3
	v_and_b32_e32 v1, 60, v61
	s_add_u32 s0, s20, s0
	v_add_co_u32_e32 v61, vcc, s0, v1
	v_mov_b32_e32 v1, 0
	buffer_store_dword v1, off, s[40:43], 0 offset:32 ; 4-byte Folded Spill
	v_mov_b32_e32 v1, 0
	buffer_store_dword v1, off, s[40:43], 0 offset:36 ; 4-byte Folded Spill
	v_mov_b32_e32 v1, 0
	buffer_store_dword v1, off, s[40:43], 0 offset:52 ; 4-byte Folded Spill
	v_mov_b32_e32 v1, 0
	buffer_store_dword v1, off, s[40:43], 0 offset:68 ; 4-byte Folded Spill
	v_mov_b32_e32 v1, 0
	buffer_store_dword v1, off, s[40:43], 0 offset:84 ; 4-byte Folded Spill
	v_mov_b32_e32 v1, 0
	buffer_store_dword v1, off, s[40:43], 0 offset:88 ; 4-byte Folded Spill
	v_mov_b32_e32 v1, 0
	buffer_store_dword v1, off, s[40:43], 0 offset:92 ; 4-byte Folded Spill
	v_mov_b32_e32 v1, 0
	buffer_store_dword v1, off, s[40:43], 0 offset:96 ; 4-byte Folded Spill
	v_mov_b32_e32 v1, 0
	buffer_store_dword v1, off, s[40:43], 0 offset:100 ; 4-byte Folded Spill
	v_mov_b32_e32 v1, 0
	buffer_store_dword v1, off, s[40:43], 0 offset:104 ; 4-byte Folded Spill
	v_mov_b32_e32 v1, 0
	v_lshlrev_b32_e32 v0, 4, v24
	s_addc_u32 s1, s21, s1
	buffer_store_dword v1, off, s[40:43], 0 offset:108 ; 4-byte Folded Spill
	v_mov_b32_e32 v1, 0
	v_lshl_or_b32 v0, v10, 7, v0
	v_mov_b32_e32 v2, s1
	buffer_store_dword v1, off, s[40:43], 0 offset:112 ; 4-byte Folded Spill
	v_mov_b32_e32 v1, 0
	v_mov_b32_e32 v20, 0
	v_add_u32_e32 v0, 0x1f0, v0
	v_addc_co_u32_e32 v62, vcc, 0, v2, vcc
	s_mov_b64 s[4:5], 0
	buffer_store_dword v1, off, s[40:43], 0 offset:120 ; 4-byte Folded Spill
	v_mov_b32_e32 v1, 0
	buffer_store_dword v24, off, s[40:43], 0 offset:160 ; 4-byte Folded Spill
	buffer_store_dword v1, off, s[40:43], 0 offset:116 ; 4-byte Folded Spill
	s_branch .LBB50_30
.LBB50_29:                              ;   in Loop: Header=BB50_30 Depth=1
	s_or_b64 exec, exec, s[6:7]
	s_waitcnt vmcnt(7) lgkmcnt(0)
	v_mul_f32_e32 v33, v1, v33
	v_fmac_f32_e32 v33, v2, v34
	buffer_load_dword v34, off, s[40:43], 0 offset:32 ; 4-byte Folded Reload
	s_waitcnt vmcnt(2)
	v_mul_f32_e32 v5, v1, v5
	v_fmac_f32_e32 v5, v2, v6
	v_fmac_f32_e32 v5, v3, v7
	v_fmac_f32_e32 v5, v4, v8
	v_mul_f32_e32 v6, v1, v57
	v_fmac_f32_e32 v6, v2, v58
	v_fmac_f32_e32 v6, v3, v59
	v_fmac_f32_e32 v6, v4, v60
	v_mul_f32_e32 v7, v1, v49
	v_fmac_f32_e32 v7, v2, v50
	v_fmac_f32_e32 v7, v3, v51
	v_fmac_f32_e32 v7, v4, v52
	v_mul_f32_e32 v8, v1, v45
	v_fmac_f32_e32 v8, v2, v46
	v_fmac_f32_e32 v8, v3, v47
	v_fmac_f32_e32 v8, v4, v48
	v_mul_f32_e32 v41, v1, v41
	v_fmac_f32_e32 v41, v2, v42
	v_fmac_f32_e32 v41, v3, v43
	v_fmac_f32_e32 v41, v4, v44
	v_mul_f32_e32 v37, v1, v37
	v_fmac_f32_e32 v37, v2, v38
	v_fmac_f32_e32 v37, v3, v39
	v_fmac_f32_e32 v37, v4, v40
	v_fmac_f32_e32 v33, v3, v35
	v_fmac_f32_e32 v33, v4, v36
	v_add_u32_e32 v63, 64, v63
	v_add_u32_e32 v0, 0x100, v0
	s_waitcnt vmcnt(0)
	v_add_f32_e32 v34, v34, v5
	buffer_load_dword v5, off, s[40:43], 0 offset:36 ; 4-byte Folded Reload
	s_waitcnt vmcnt(0)
	v_add_f32_e32 v5, v5, v6
	buffer_store_dword v5, off, s[40:43], 0 offset:36 ; 4-byte Folded Spill
	buffer_load_dword v5, off, s[40:43], 0 offset:52 ; 4-byte Folded Reload
	s_nop 0
	buffer_load_dword v6, off, s[40:43], 0 offset:96 ; 4-byte Folded Reload
	s_waitcnt vmcnt(1)
	v_add_f32_e32 v5, v5, v7
	buffer_store_dword v5, off, s[40:43], 0 offset:52 ; 4-byte Folded Spill
	buffer_load_dword v5, off, s[40:43], 0 offset:68 ; 4-byte Folded Reload
	s_waitcnt vmcnt(0)
	v_add_f32_e32 v5, v5, v8
	buffer_store_dword v5, off, s[40:43], 0 offset:68 ; 4-byte Folded Spill
	;; [unrolled: 4-line block ×5, first 2 shown]
	v_mul_f32_e32 v5, v1, v29
	v_fmac_f32_e32 v5, v2, v30
	v_fmac_f32_e32 v5, v3, v31
	;; [unrolled: 1-line block ×3, first 2 shown]
	v_add_f32_e32 v6, v6, v5
	buffer_store_dword v6, off, s[40:43], 0 offset:96 ; 4-byte Folded Spill
	buffer_load_dword v6, off, s[40:43], 0 offset:100 ; 4-byte Folded Reload
	v_mul_f32_e32 v5, v1, v25
	v_fmac_f32_e32 v5, v2, v26
	v_fmac_f32_e32 v5, v3, v27
	;; [unrolled: 1-line block ×3, first 2 shown]
	buffer_store_dword v34, off, s[40:43], 0 offset:32 ; 4-byte Folded Spill
	s_waitcnt vmcnt(1)
	v_add_f32_e32 v6, v6, v5
	buffer_store_dword v6, off, s[40:43], 0 offset:100 ; 4-byte Folded Spill
	buffer_load_dword v5, off, s[40:43], 0 offset:16 ; 4-byte Folded Reload
	s_nop 0
	buffer_load_dword v6, off, s[40:43], 0 offset:20 ; 4-byte Folded Reload
	buffer_load_dword v7, off, s[40:43], 0 offset:24 ; 4-byte Folded Reload
	;; [unrolled: 1-line block ×3, first 2 shown]
	s_waitcnt vmcnt(3)
	v_mul_f32_e32 v5, v1, v5
	s_waitcnt vmcnt(2)
	v_fmac_f32_e32 v5, v2, v6
	buffer_load_dword v6, off, s[40:43], 0 offset:104 ; 4-byte Folded Reload
	s_waitcnt vmcnt(2)
	v_fmac_f32_e32 v5, v3, v7
	s_waitcnt vmcnt(1)
	v_fmac_f32_e32 v5, v4, v8
	s_waitcnt vmcnt(0)
	v_add_f32_e32 v6, v6, v5
	buffer_store_dword v6, off, s[40:43], 0 offset:104 ; 4-byte Folded Spill
	buffer_load_dword v6, off, s[40:43], 0 offset:108 ; 4-byte Folded Reload
	v_mul_f32_e32 v5, v1, v17
	v_fmac_f32_e32 v5, v2, v18
	v_fmac_f32_e32 v5, v3, v19
	v_fmac_f32_e32 v5, v4, v20
	s_waitcnt vmcnt(0)
	v_add_f32_e32 v6, v6, v5
	buffer_store_dword v6, off, s[40:43], 0 offset:108 ; 4-byte Folded Spill
	buffer_load_dword v6, off, s[40:43], 0 offset:112 ; 4-byte Folded Reload
	v_mul_f32_e32 v5, v1, v13
	v_fmac_f32_e32 v5, v2, v14
	v_fmac_f32_e32 v5, v3, v15
	;; [unrolled: 8-line block ×3, first 2 shown]
	v_fmac_f32_e32 v5, v4, v12
	s_waitcnt vmcnt(0)
	v_add_f32_e32 v6, v6, v5
	buffer_store_dword v6, off, s[40:43], 0 offset:120 ; 4-byte Folded Spill
	buffer_load_dword v5, off, s[40:43], 0  ; 4-byte Folded Reload
	s_nop 0
	buffer_load_dword v6, off, s[40:43], 0 offset:4 ; 4-byte Folded Reload
	buffer_load_dword v7, off, s[40:43], 0 offset:8 ; 4-byte Folded Reload
	;; [unrolled: 1-line block ×5, first 2 shown]
	s_waitcnt vmcnt(5)
	v_mul_f32_e32 v5, v1, v5
	s_waitcnt vmcnt(4)
	v_fmac_f32_e32 v5, v2, v6
	buffer_load_dword v6, off, s[40:43], 0 offset:116 ; 4-byte Folded Reload
	v_mul_f32_e32 v1, v1, v53
	v_fmac_f32_e32 v1, v2, v54
	s_waitcnt vmcnt(4)
	v_fmac_f32_e32 v5, v3, v7
	v_fmac_f32_e32 v1, v3, v55
	s_waitcnt vmcnt(3)
	v_fmac_f32_e32 v5, v4, v8
	v_fmac_f32_e32 v1, v4, v56
	s_waitcnt vmcnt(2)
	v_add_f32_e32 v20, v20, v1
	s_waitcnt vmcnt(1)
	v_add_u32_e32 v10, 2, v10
	v_cmp_le_i32_e32 vcc, s12, v10
	s_or_b64 s[4:5], vcc, s[4:5]
	v_add_co_u32_e32 v61, vcc, 8, v61
	v_addc_co_u32_e32 v62, vcc, 0, v62, vcc
	s_waitcnt vmcnt(0)
	v_add_f32_e32 v6, v6, v5
	buffer_store_dword v6, off, s[40:43], 0 offset:116 ; 4-byte Folded Spill
	s_andn2_b64 exec, exec, s[4:5]
	s_cbranch_execz .LBB50_60
.LBB50_30:                              ; =>This Inner Loop Header: Depth=1
	global_load_dword v1, v[61:62], off
	buffer_load_dword v3, off, s[40:43], 0 offset:132 ; 4-byte Folded Reload
	v_add_u32_e32 v23, -2, v63
	buffer_store_dword v20, off, s[40:43], 0 offset:128 ; 4-byte Folded Spill
	v_add_u32_e32 v22, -1, v63
	s_waitcnt vmcnt(2)
	v_mad_i64_i32 v[1:2], s[0:1], v1, s13, 0
	v_cmp_eq_u32_e64 s[0:1], s14, v10
	v_lshlrev_b64 v[1:2], 2, v[1:2]
	s_waitcnt vmcnt(1)
	v_add_co_u32_e32 v53, vcc, v3, v1
	buffer_load_dword v1, off, s[40:43], 0 offset:136 ; 4-byte Folded Reload
	s_waitcnt vmcnt(0)
	v_addc_co_u32_e32 v54, vcc, v1, v2, vcc
	global_load_dwordx4 v[1:4], v[53:54], off
	s_waitcnt vmcnt(0)
	buffer_store_dword v1, off, s[40:43], 0 ; 4-byte Folded Spill
	s_nop 0
	buffer_store_dword v2, off, s[40:43], 0 offset:4 ; 4-byte Folded Spill
	buffer_store_dword v3, off, s[40:43], 0 offset:8 ; 4-byte Folded Spill
	;; [unrolled: 1-line block ×3, first 2 shown]
	ds_read_b128 v[1:4], v0
	buffer_store_dword v10, off, s[40:43], 0 offset:124 ; 4-byte Folded Spill
	s_and_saveexec_b64 s[6:7], s[0:1]
	s_cbranch_execnz .LBB50_57
; %bb.31:                               ;   in Loop: Header=BB50_30 Depth=1
	s_or_b64 exec, exec, s[6:7]
	global_load_dwordx4 v[9:12], v[53:54], off offset:1024
	s_and_saveexec_b64 s[6:7], s[0:1]
	s_cbranch_execnz .LBB50_58
.LBB50_32:                              ;   in Loop: Header=BB50_30 Depth=1
	s_or_b64 exec, exec, s[6:7]
	global_load_dwordx4 v[13:16], v[53:54], off offset:2048
	s_and_saveexec_b64 s[6:7], s[0:1]
	s_cbranch_execnz .LBB50_59
.LBB50_33:                              ;   in Loop: Header=BB50_30 Depth=1
	s_or_b64 exec, exec, s[6:7]
	global_load_dwordx4 v[17:20], v[53:54], off offset:3072
	s_and_saveexec_b64 s[6:7], s[0:1]
	s_cbranch_execz .LBB50_35
.LBB50_34:                              ;   in Loop: Header=BB50_30 Depth=1
	v_add_u32_e32 v5, -3, v63
	v_cmp_gt_i32_e32 vcc, s33, v5
	s_waitcnt vmcnt(0)
	v_cndmask_b32_e32 v17, 0, v17, vcc
	v_cmp_gt_i32_e32 vcc, s33, v23
	v_cndmask_b32_e32 v18, 0, v18, vcc
	v_cmp_gt_i32_e32 vcc, s33, v22
	;; [unrolled: 2-line block ×3, first 2 shown]
	v_cndmask_b32_e32 v20, 0, v20, vcc
.LBB50_35:                              ;   in Loop: Header=BB50_30 Depth=1
	s_or_b64 exec, exec, s[6:7]
	v_add_co_u32_e32 v5, vcc, 0x1000, v53
	v_addc_co_u32_e32 v6, vcc, 0, v54, vcc
	global_load_dwordx4 v[5:8], v[5:6], off
	s_waitcnt vmcnt(0)
	buffer_store_dword v5, off, s[40:43], 0 offset:16 ; 4-byte Folded Spill
	s_nop 0
	buffer_store_dword v6, off, s[40:43], 0 offset:20 ; 4-byte Folded Spill
	buffer_store_dword v7, off, s[40:43], 0 offset:24 ; 4-byte Folded Spill
	;; [unrolled: 1-line block ×3, first 2 shown]
	s_and_saveexec_b64 s[6:7], s[0:1]
	s_cbranch_execz .LBB50_37
; %bb.36:                               ;   in Loop: Header=BB50_30 Depth=1
	v_add_u32_e32 v5, -3, v63
	v_cmp_gt_i32_e32 vcc, s33, v5
	buffer_load_dword v5, off, s[40:43], 0 offset:16 ; 4-byte Folded Reload
	buffer_load_dword v6, off, s[40:43], 0 offset:20 ; 4-byte Folded Reload
	;; [unrolled: 1-line block ×4, first 2 shown]
	s_waitcnt vmcnt(3)
	v_cndmask_b32_e32 v5, 0, v5, vcc
	v_cmp_gt_i32_e32 vcc, s33, v23
	s_waitcnt vmcnt(2)
	v_cndmask_b32_e32 v6, 0, v6, vcc
	v_cmp_gt_i32_e32 vcc, s33, v22
	;; [unrolled: 3-line block ×3, first 2 shown]
	s_waitcnt vmcnt(0)
	v_cndmask_b32_e32 v8, 0, v8, vcc
	buffer_store_dword v5, off, s[40:43], 0 offset:16 ; 4-byte Folded Spill
	s_nop 0
	buffer_store_dword v6, off, s[40:43], 0 offset:20 ; 4-byte Folded Spill
	buffer_store_dword v7, off, s[40:43], 0 offset:24 ; 4-byte Folded Spill
	;; [unrolled: 1-line block ×3, first 2 shown]
.LBB50_37:                              ;   in Loop: Header=BB50_30 Depth=1
	s_or_b64 exec, exec, s[6:7]
	v_add_co_u32_e32 v5, vcc, 0x1000, v53
	v_addc_co_u32_e32 v6, vcc, 0, v54, vcc
	global_load_dwordx4 v[25:28], v[5:6], off offset:1024
	s_and_saveexec_b64 s[6:7], s[0:1]
	s_cbranch_execz .LBB50_39
; %bb.38:                               ;   in Loop: Header=BB50_30 Depth=1
	v_add_u32_e32 v5, -3, v63
	v_cmp_gt_i32_e32 vcc, s33, v5
	s_waitcnt vmcnt(0)
	v_cndmask_b32_e32 v25, 0, v25, vcc
	v_cmp_gt_i32_e32 vcc, s33, v23
	v_cndmask_b32_e32 v26, 0, v26, vcc
	v_cmp_gt_i32_e32 vcc, s33, v22
	v_cndmask_b32_e32 v27, 0, v27, vcc
	v_cmp_gt_i32_e32 vcc, s33, v63
	v_cndmask_b32_e32 v28, 0, v28, vcc
.LBB50_39:                              ;   in Loop: Header=BB50_30 Depth=1
	s_or_b64 exec, exec, s[6:7]
	v_add_co_u32_e32 v5, vcc, 0x1000, v53
	v_addc_co_u32_e32 v6, vcc, 0, v54, vcc
	global_load_dwordx4 v[29:32], v[5:6], off offset:2048
	s_and_saveexec_b64 s[6:7], s[0:1]
	s_cbranch_execz .LBB50_41
; %bb.40:                               ;   in Loop: Header=BB50_30 Depth=1
	v_add_u32_e32 v5, -3, v63
	v_cmp_gt_i32_e32 vcc, s33, v5
	s_waitcnt vmcnt(0)
	v_cndmask_b32_e32 v29, 0, v29, vcc
	v_cmp_gt_i32_e32 vcc, s33, v23
	v_cndmask_b32_e32 v30, 0, v30, vcc
	v_cmp_gt_i32_e32 vcc, s33, v22
	v_cndmask_b32_e32 v31, 0, v31, vcc
	v_cmp_gt_i32_e32 vcc, s33, v63
	v_cndmask_b32_e32 v32, 0, v32, vcc
.LBB50_41:                              ;   in Loop: Header=BB50_30 Depth=1
	;; [unrolled: 18-line block ×3, first 2 shown]
	s_or_b64 exec, exec, s[6:7]
	v_add_co_u32_e32 v5, vcc, 0x2000, v53
	v_addc_co_u32_e32 v6, vcc, 0, v54, vcc
	global_load_dwordx4 v[37:40], v[5:6], off
	s_and_saveexec_b64 s[6:7], s[0:1]
	s_cbranch_execz .LBB50_45
; %bb.44:                               ;   in Loop: Header=BB50_30 Depth=1
	v_add_u32_e32 v5, -3, v63
	v_cmp_gt_i32_e32 vcc, s33, v5
	s_waitcnt vmcnt(0)
	v_cndmask_b32_e32 v37, 0, v37, vcc
	v_cmp_gt_i32_e32 vcc, s33, v23
	v_cndmask_b32_e32 v38, 0, v38, vcc
	v_cmp_gt_i32_e32 vcc, s33, v22
	v_cndmask_b32_e32 v39, 0, v39, vcc
	v_cmp_gt_i32_e32 vcc, s33, v63
	v_cndmask_b32_e32 v40, 0, v40, vcc
.LBB50_45:                              ;   in Loop: Header=BB50_30 Depth=1
	s_or_b64 exec, exec, s[6:7]
	v_add_co_u32_e32 v5, vcc, 0x2000, v53
	v_addc_co_u32_e32 v6, vcc, 0, v54, vcc
	global_load_dwordx4 v[41:44], v[5:6], off offset:1024
	s_and_saveexec_b64 s[6:7], s[0:1]
	s_cbranch_execz .LBB50_47
; %bb.46:                               ;   in Loop: Header=BB50_30 Depth=1
	v_add_u32_e32 v5, -3, v63
	v_cmp_gt_i32_e32 vcc, s33, v5
	s_waitcnt vmcnt(0)
	v_cndmask_b32_e32 v41, 0, v41, vcc
	v_cmp_gt_i32_e32 vcc, s33, v23
	v_cndmask_b32_e32 v42, 0, v42, vcc
	v_cmp_gt_i32_e32 vcc, s33, v22
	v_cndmask_b32_e32 v43, 0, v43, vcc
	v_cmp_gt_i32_e32 vcc, s33, v63
	v_cndmask_b32_e32 v44, 0, v44, vcc
.LBB50_47:                              ;   in Loop: Header=BB50_30 Depth=1
	s_or_b64 exec, exec, s[6:7]
	v_add_co_u32_e32 v5, vcc, 0x2000, v53
	v_addc_co_u32_e32 v6, vcc, 0, v54, vcc
	global_load_dwordx4 v[45:48], v[5:6], off offset:2048
	;; [unrolled: 18-line block ×3, first 2 shown]
	s_and_saveexec_b64 s[6:7], s[0:1]
	s_cbranch_execz .LBB50_51
; %bb.50:                               ;   in Loop: Header=BB50_30 Depth=1
	v_add_u32_e32 v5, -3, v63
	v_cmp_gt_i32_e32 vcc, s33, v5
	s_waitcnt vmcnt(0)
	v_cndmask_b32_e32 v49, 0, v49, vcc
	v_cmp_gt_i32_e32 vcc, s33, v23
	v_cndmask_b32_e32 v50, 0, v50, vcc
	v_cmp_gt_i32_e32 vcc, s33, v22
	;; [unrolled: 2-line block ×3, first 2 shown]
	v_cndmask_b32_e32 v52, 0, v52, vcc
.LBB50_51:                              ;   in Loop: Header=BB50_30 Depth=1
	s_or_b64 exec, exec, s[6:7]
	v_add_co_u32_e32 v5, vcc, 0x3000, v53
	v_addc_co_u32_e32 v6, vcc, 0, v54, vcc
	global_load_dwordx4 v[57:60], v[5:6], off
	s_and_saveexec_b64 s[6:7], s[0:1]
	s_cbranch_execz .LBB50_53
; %bb.52:                               ;   in Loop: Header=BB50_30 Depth=1
	v_add_u32_e32 v5, -3, v63
	v_cmp_gt_i32_e32 vcc, s33, v5
	s_waitcnt vmcnt(0)
	v_cndmask_b32_e32 v57, 0, v57, vcc
	v_cmp_gt_i32_e32 vcc, s33, v23
	v_cndmask_b32_e32 v58, 0, v58, vcc
	v_cmp_gt_i32_e32 vcc, s33, v22
	;; [unrolled: 2-line block ×3, first 2 shown]
	v_cndmask_b32_e32 v60, 0, v60, vcc
.LBB50_53:                              ;   in Loop: Header=BB50_30 Depth=1
	s_or_b64 exec, exec, s[6:7]
	v_add_co_u32_e32 v5, vcc, 0x3000, v53
	v_addc_co_u32_e32 v6, vcc, 0, v54, vcc
	global_load_dwordx4 v[5:8], v[5:6], off offset:1024
	s_and_saveexec_b64 s[6:7], s[0:1]
	s_cbranch_execz .LBB50_55
; %bb.54:                               ;   in Loop: Header=BB50_30 Depth=1
	v_add_u32_e32 v55, -3, v63
	v_cmp_gt_i32_e32 vcc, s33, v55
	s_waitcnt vmcnt(0)
	v_cndmask_b32_e32 v5, 0, v5, vcc
	v_cmp_gt_i32_e32 vcc, s33, v23
	v_cndmask_b32_e32 v6, 0, v6, vcc
	v_cmp_gt_i32_e32 vcc, s33, v22
	;; [unrolled: 2-line block ×3, first 2 shown]
	v_cndmask_b32_e32 v8, 0, v8, vcc
.LBB50_55:                              ;   in Loop: Header=BB50_30 Depth=1
	s_or_b64 exec, exec, s[6:7]
	v_add_co_u32_e32 v53, vcc, 0x3000, v53
	v_addc_co_u32_e32 v54, vcc, 0, v54, vcc
	global_load_dwordx4 v[53:56], v[53:54], off offset:2048
	s_and_saveexec_b64 s[6:7], s[0:1]
	s_cbranch_execz .LBB50_29
; %bb.56:                               ;   in Loop: Header=BB50_30 Depth=1
	v_mov_b32_e32 v21, v20
	v_mov_b32_e32 v20, v19
	;; [unrolled: 1-line block ×13, first 2 shown]
	v_add_u32_e32 v0, -3, v63
	v_cmp_gt_i32_e32 vcc, s33, v0
	v_mov_b32_e32 v0, v9
	v_mov_b32_e32 v9, v10
	s_waitcnt vmcnt(0)
	v_cndmask_b32_e32 v53, 0, v53, vcc
	v_cmp_gt_i32_e32 vcc, s33, v23
	v_mov_b32_e32 v10, v11
	v_mov_b32_e32 v11, v12
	;; [unrolled: 1-line block ×4, first 2 shown]
	v_cndmask_b32_e32 v54, 0, v54, vcc
	v_cmp_gt_i32_e32 vcc, s33, v22
	v_mov_b32_e32 v14, v15
	v_mov_b32_e32 v15, v16
	v_mov_b32_e32 v16, v17
	v_mov_b32_e32 v17, v18
	v_cndmask_b32_e32 v55, 0, v55, vcc
	v_cmp_gt_i32_e32 vcc, s33, v63
	v_mov_b32_e32 v18, v19
	v_mov_b32_e32 v19, v20
	;; [unrolled: 1-line block ×3, first 2 shown]
	v_cndmask_b32_e32 v56, 0, v56, vcc
	s_branch .LBB50_29
.LBB50_57:                              ;   in Loop: Header=BB50_30 Depth=1
	v_add_u32_e32 v5, -3, v63
	v_cmp_gt_i32_e32 vcc, s33, v5
	buffer_load_dword v5, off, s[40:43], 0  ; 4-byte Folded Reload
	buffer_load_dword v6, off, s[40:43], 0 offset:4 ; 4-byte Folded Reload
	buffer_load_dword v7, off, s[40:43], 0 offset:8 ; 4-byte Folded Reload
	;; [unrolled: 1-line block ×3, first 2 shown]
	s_waitcnt vmcnt(3)
	v_cndmask_b32_e32 v5, 0, v5, vcc
	v_cmp_gt_i32_e32 vcc, s33, v23
	s_waitcnt vmcnt(2)
	v_cndmask_b32_e32 v6, 0, v6, vcc
	v_cmp_gt_i32_e32 vcc, s33, v22
	;; [unrolled: 3-line block ×3, first 2 shown]
	s_waitcnt vmcnt(0)
	v_cndmask_b32_e32 v8, 0, v8, vcc
	buffer_store_dword v5, off, s[40:43], 0 ; 4-byte Folded Spill
	s_nop 0
	buffer_store_dword v6, off, s[40:43], 0 offset:4 ; 4-byte Folded Spill
	buffer_store_dword v7, off, s[40:43], 0 offset:8 ; 4-byte Folded Spill
	;; [unrolled: 1-line block ×3, first 2 shown]
	s_or_b64 exec, exec, s[6:7]
	global_load_dwordx4 v[9:12], v[53:54], off offset:1024
	s_and_saveexec_b64 s[6:7], s[0:1]
	s_cbranch_execz .LBB50_32
.LBB50_58:                              ;   in Loop: Header=BB50_30 Depth=1
	v_add_u32_e32 v5, -3, v63
	v_cmp_gt_i32_e32 vcc, s33, v5
	s_waitcnt vmcnt(0)
	v_cndmask_b32_e32 v9, 0, v9, vcc
	v_cmp_gt_i32_e32 vcc, s33, v23
	v_cndmask_b32_e32 v10, 0, v10, vcc
	v_cmp_gt_i32_e32 vcc, s33, v22
	;; [unrolled: 2-line block ×3, first 2 shown]
	v_cndmask_b32_e32 v12, 0, v12, vcc
	s_or_b64 exec, exec, s[6:7]
	global_load_dwordx4 v[13:16], v[53:54], off offset:2048
	s_and_saveexec_b64 s[6:7], s[0:1]
	s_cbranch_execz .LBB50_33
.LBB50_59:                              ;   in Loop: Header=BB50_30 Depth=1
	v_add_u32_e32 v5, -3, v63
	v_cmp_gt_i32_e32 vcc, s33, v5
	s_waitcnt vmcnt(0)
	v_cndmask_b32_e32 v13, 0, v13, vcc
	v_cmp_gt_i32_e32 vcc, s33, v23
	v_cndmask_b32_e32 v14, 0, v14, vcc
	v_cmp_gt_i32_e32 vcc, s33, v22
	;; [unrolled: 2-line block ×3, first 2 shown]
	v_cndmask_b32_e32 v16, 0, v16, vcc
	s_or_b64 exec, exec, s[6:7]
	global_load_dwordx4 v[17:20], v[53:54], off offset:3072
	s_and_saveexec_b64 s[6:7], s[0:1]
	s_cbranch_execnz .LBB50_34
	s_branch .LBB50_35
.LBB50_60:
	s_or_b64 exec, exec, s[4:5]
	buffer_load_dword v21, off, s[40:43], 0 offset:140 ; 4-byte Folded Reload
	buffer_load_dword v22, off, s[40:43], 0 offset:144 ; 4-byte Folded Reload
	;; [unrolled: 1-line block ×20, first 2 shown]
.LBB50_61:
	s_or_b64 exec, exec, s[2:3]
	s_waitcnt vmcnt(1)
	ds_bpermute_b32 v0, v16, v3
	s_waitcnt vmcnt(0)
	ds_bpermute_b32 v1, v16, v4
	ds_bpermute_b32 v2, v16, v6
	;; [unrolled: 1-line block ×3, first 2 shown]
	s_waitcnt lgkmcnt(0)
	v_add_f32_e32 v0, v3, v0
	ds_bpermute_b32 v3, v19, v0
	v_add_f32_e32 v1, v4, v1
	ds_bpermute_b32 v4, v19, v1
	v_add_f32_e32 v2, v6, v2
	v_add_f32_e32 v5, v7, v5
	s_waitcnt lgkmcnt(1)
	v_add_f32_e32 v0, v0, v3
	ds_bpermute_b32 v3, v23, v0
	s_waitcnt lgkmcnt(1)
	v_add_f32_e32 v1, v1, v4
	ds_bpermute_b32 v6, v19, v2
	ds_bpermute_b32 v7, v19, v5
	;; [unrolled: 1-line block ×3, first 2 shown]
	s_waitcnt lgkmcnt(3)
	v_add_f32_e32 v0, v0, v3
	ds_bpermute_b32 v3, v16, v8
	s_waitcnt lgkmcnt(3)
	v_add_f32_e32 v2, v2, v6
	s_waitcnt lgkmcnt(2)
	v_add_f32_e32 v5, v5, v7
	;; [unrolled: 2-line block ×3, first 2 shown]
	ds_bpermute_b32 v4, v23, v2
	s_waitcnt lgkmcnt(1)
	v_add_f32_e32 v8, v8, v3
	ds_bpermute_b32 v6, v16, v27
	ds_bpermute_b32 v7, v23, v5
	;; [unrolled: 1-line block ×3, first 2 shown]
	s_waitcnt lgkmcnt(3)
	v_add_f32_e32 v2, v2, v4
	s_waitcnt lgkmcnt(0)
	s_barrier
	v_add_f32_e32 v4, v27, v6
	v_add_f32_e32 v3, v5, v7
	;; [unrolled: 1-line block ×3, first 2 shown]
	ds_bpermute_b32 v6, v19, v4
	ds_bpermute_b32 v7, v16, v26
	;; [unrolled: 1-line block ×4, first 2 shown]
	s_waitcnt lgkmcnt(0)
	v_add_f32_e32 v6, v4, v6
	v_add_f32_e32 v7, v26, v7
	;; [unrolled: 1-line block ×4, first 2 shown]
	ds_bpermute_b32 v10, v23, v6
	ds_bpermute_b32 v11, v19, v7
	;; [unrolled: 1-line block ×3, first 2 shown]
	s_waitcnt lgkmcnt(2)
	v_add_f32_e32 v5, v6, v10
	s_waitcnt lgkmcnt(1)
	v_add_f32_e32 v6, v7, v11
	ds_bpermute_b32 v7, v16, v12
	s_waitcnt lgkmcnt(1)
	v_add_f32_e32 v8, v8, v9
	ds_bpermute_b32 v9, v16, v25
	ds_bpermute_b32 v10, v23, v6
	;; [unrolled: 1-line block ×3, first 2 shown]
	s_waitcnt lgkmcnt(3)
	v_add_f32_e32 v12, v12, v7
	ds_bpermute_b32 v13, v19, v12
	s_waitcnt lgkmcnt(3)
	v_add_f32_e32 v9, v25, v9
	s_waitcnt lgkmcnt(2)
	v_add_f32_e32 v6, v6, v10
	ds_bpermute_b32 v10, v19, v9
	s_waitcnt lgkmcnt(2)
	v_add_f32_e32 v7, v8, v11
	s_waitcnt lgkmcnt(1)
	v_add_f32_e32 v8, v12, v13
	ds_bpermute_b32 v11, v16, v14
	ds_bpermute_b32 v12, v23, v8
	s_waitcnt lgkmcnt(2)
	v_add_f32_e32 v9, v9, v10
	ds_bpermute_b32 v10, v16, v15
	ds_bpermute_b32 v13, v23, v9
	s_waitcnt lgkmcnt(3)
	v_add_f32_e32 v11, v14, v11
	ds_bpermute_b32 v14, v19, v11
	s_waitcnt lgkmcnt(3)
	v_add_f32_e32 v8, v8, v12
	s_waitcnt lgkmcnt(2)
	v_add_f32_e32 v10, v15, v10
	ds_bpermute_b32 v12, v19, v10
	s_waitcnt lgkmcnt(2)
	v_add_f32_e32 v9, v9, v13
	s_waitcnt lgkmcnt(1)
	v_add_f32_e32 v11, v11, v14
	ds_bpermute_b32 v14, v16, v17
	ds_bpermute_b32 v13, v23, v11
	s_waitcnt lgkmcnt(2)
	v_add_f32_e32 v12, v10, v12
	ds_bpermute_b32 v10, v16, v18
	ds_bpermute_b32 v16, v16, v20
	;; [unrolled: 4-line block ×3, first 2 shown]
	s_waitcnt lgkmcnt(3)
	v_add_f32_e32 v10, v18, v10
	s_waitcnt lgkmcnt(2)
	v_add_f32_e32 v16, v20, v16
	ds_bpermute_b32 v18, v19, v10
	ds_bpermute_b32 v19, v19, v16
	s_waitcnt lgkmcnt(3)
	v_add_f32_e32 v14, v14, v17
	ds_bpermute_b32 v17, v23, v14
	s_waitcnt lgkmcnt(2)
	v_add_f32_e32 v18, v10, v18
	s_waitcnt lgkmcnt(1)
	v_add_f32_e32 v16, v16, v19
	ds_bpermute_b32 v19, v23, v16
	ds_bpermute_b32 v20, v23, v18
	v_add_f32_e32 v10, v11, v13
	v_add_f32_e32 v11, v12, v15
	s_waitcnt lgkmcnt(2)
	v_add_f32_e32 v12, v14, v17
	s_waitcnt lgkmcnt(1)
	v_add_f32_e32 v14, v16, v19
	v_and_b32_e32 v16, 0x3c7, v21
	s_waitcnt lgkmcnt(0)
	v_add_f32_e32 v13, v18, v20
	v_cmp_eq_u32_e32 vcc, 64, v16
	s_and_saveexec_b64 s[0:1], vcc
	s_cbranch_execz .LBB50_63
; %bb.62:
	v_lshrrev_b32_e32 v15, 1, v22
	v_add_u32_e32 v15, 0x1f0, v15
	ds_write2_b32 v15, v0, v1 offset1:8
	ds_write2_b32 v15, v2, v3 offset0:16 offset1:24
	ds_write2_b32 v15, v4, v5 offset0:32 offset1:40
	ds_write2_b32 v15, v6, v7 offset0:48 offset1:56
	ds_write2_b32 v15, v8, v9 offset0:64 offset1:72
	ds_write2_b32 v15, v10, v11 offset0:80 offset1:88
	ds_write2_b32 v15, v12, v13 offset0:96 offset1:104
	ds_write_b32 v15, v14 offset:448
.LBB50_63:
	s_or_b64 exec, exec, s[0:1]
	v_cmp_gt_u32_e32 vcc, 64, v21
	v_lshrrev_b32_e32 v15, 3, v21
	s_waitcnt lgkmcnt(0)
	s_barrier
	s_and_saveexec_b64 s[0:1], vcc
	s_cbranch_execz .LBB50_81
; %bb.64:
	v_mov_b32_e32 v17, 0x1f0
	v_cmp_eq_u32_e32 vcc, 0, v24
	v_lshl_add_u32 v17, v15, 2, v17
	s_and_saveexec_b64 s[2:3], vcc
	s_cbranch_execnz .LBB50_84
; %bb.65:
	s_or_b64 exec, exec, s[2:3]
	s_and_saveexec_b64 s[2:3], vcc
	s_cbranch_execnz .LBB50_85
.LBB50_66:
	s_or_b64 exec, exec, s[2:3]
	s_and_saveexec_b64 s[2:3], vcc
	s_cbranch_execnz .LBB50_86
.LBB50_67:
	s_or_b64 exec, exec, s[2:3]
	s_and_saveexec_b64 s[2:3], vcc
	s_cbranch_execnz .LBB50_87
.LBB50_68:
	s_or_b64 exec, exec, s[2:3]
	s_and_saveexec_b64 s[2:3], vcc
	s_cbranch_execnz .LBB50_88
.LBB50_69:
	s_or_b64 exec, exec, s[2:3]
	s_and_saveexec_b64 s[2:3], vcc
	s_cbranch_execnz .LBB50_89
.LBB50_70:
	s_or_b64 exec, exec, s[2:3]
	s_and_saveexec_b64 s[2:3], vcc
	s_cbranch_execnz .LBB50_90
.LBB50_71:
	s_or_b64 exec, exec, s[2:3]
	s_and_saveexec_b64 s[2:3], vcc
	s_cbranch_execnz .LBB50_91
.LBB50_72:
	s_or_b64 exec, exec, s[2:3]
	s_and_saveexec_b64 s[2:3], vcc
	s_cbranch_execnz .LBB50_92
.LBB50_73:
	s_or_b64 exec, exec, s[2:3]
	s_and_saveexec_b64 s[2:3], vcc
	s_cbranch_execnz .LBB50_93
.LBB50_74:
	s_or_b64 exec, exec, s[2:3]
	s_and_saveexec_b64 s[2:3], vcc
	s_cbranch_execnz .LBB50_94
.LBB50_75:
	s_or_b64 exec, exec, s[2:3]
	s_and_saveexec_b64 s[2:3], vcc
	s_cbranch_execnz .LBB50_95
.LBB50_76:
	s_or_b64 exec, exec, s[2:3]
	s_and_saveexec_b64 s[2:3], vcc
	s_cbranch_execnz .LBB50_96
.LBB50_77:
	s_or_b64 exec, exec, s[2:3]
	s_and_saveexec_b64 s[2:3], vcc
	s_cbranch_execnz .LBB50_97
.LBB50_78:
	s_or_b64 exec, exec, s[2:3]
	s_and_saveexec_b64 s[2:3], vcc
	s_cbranch_execz .LBB50_80
.LBB50_79:
	ds_read_b32 v17, v17 offset:448
	s_waitcnt lgkmcnt(0)
	v_add_f32_e32 v14, v14, v17
.LBB50_80:
	s_or_b64 exec, exec, s[2:3]
.LBB50_81:
	s_or_b64 exec, exec, s[0:1]
	v_cmp_eq_u32_e32 vcc, 0, v16
	s_barrier
	s_and_saveexec_b64 s[0:1], vcc
	s_cbranch_execz .LBB50_83
; %bb.82:
	s_mul_i32 s0, s10, s11
	s_mul_i32 s0, s0, s9
	s_mulk_i32 s0, 0x78
	s_ashr_i32 s1, s0, 31
	s_lshl_b64 s[0:1], s[0:1], 2
	s_add_u32 s2, s18, s0
	s_mul_i32 s0, s11, s16
	s_addc_u32 s3, s19, s1
	s_ashr_i32 s1, s0, 31
	s_lshl_b64 s[0:1], s[0:1], 2
	s_add_u32 s2, s2, s0
	s_mul_i32 s0, s8, 0x78
	s_addc_u32 s3, s3, s1
	s_ashr_i32 s1, s0, 31
	s_lshl_b64 s[0:1], s[0:1], 2
	s_add_u32 s0, s2, s0
	s_addc_u32 s1, s3, s1
	v_lshlrev_b32_e32 v15, 2, v15
	global_store_dword v15, v0, s[0:1]
	global_store_dword v15, v1, s[0:1] offset:32
	global_store_dword v15, v2, s[0:1] offset:64
	;; [unrolled: 1-line block ×14, first 2 shown]
.LBB50_83:
	s_endpgm
.LBB50_84:
	ds_read_b32 v18, v17
	s_waitcnt lgkmcnt(0)
	v_add_f32_e32 v0, v0, v18
	s_or_b64 exec, exec, s[2:3]
	s_and_saveexec_b64 s[2:3], vcc
	s_cbranch_execz .LBB50_66
.LBB50_85:
	ds_read_b32 v18, v17 offset:32
	s_waitcnt lgkmcnt(0)
	v_add_f32_e32 v1, v1, v18
	s_or_b64 exec, exec, s[2:3]
	s_and_saveexec_b64 s[2:3], vcc
	s_cbranch_execz .LBB50_67
.LBB50_86:
	ds_read_b32 v18, v17 offset:64
	s_waitcnt lgkmcnt(0)
	v_add_f32_e32 v2, v2, v18
	s_or_b64 exec, exec, s[2:3]
	s_and_saveexec_b64 s[2:3], vcc
	s_cbranch_execz .LBB50_68
.LBB50_87:
	ds_read_b32 v18, v17 offset:96
	s_waitcnt lgkmcnt(0)
	v_add_f32_e32 v3, v3, v18
	s_or_b64 exec, exec, s[2:3]
	s_and_saveexec_b64 s[2:3], vcc
	s_cbranch_execz .LBB50_69
.LBB50_88:
	ds_read_b32 v18, v17 offset:128
	s_waitcnt lgkmcnt(0)
	v_add_f32_e32 v4, v4, v18
	s_or_b64 exec, exec, s[2:3]
	s_and_saveexec_b64 s[2:3], vcc
	s_cbranch_execz .LBB50_70
.LBB50_89:
	ds_read_b32 v18, v17 offset:160
	s_waitcnt lgkmcnt(0)
	v_add_f32_e32 v5, v5, v18
	s_or_b64 exec, exec, s[2:3]
	s_and_saveexec_b64 s[2:3], vcc
	s_cbranch_execz .LBB50_71
.LBB50_90:
	ds_read_b32 v18, v17 offset:192
	s_waitcnt lgkmcnt(0)
	v_add_f32_e32 v6, v6, v18
	s_or_b64 exec, exec, s[2:3]
	s_and_saveexec_b64 s[2:3], vcc
	s_cbranch_execz .LBB50_72
.LBB50_91:
	ds_read_b32 v18, v17 offset:224
	s_waitcnt lgkmcnt(0)
	v_add_f32_e32 v7, v7, v18
	s_or_b64 exec, exec, s[2:3]
	s_and_saveexec_b64 s[2:3], vcc
	s_cbranch_execz .LBB50_73
.LBB50_92:
	ds_read_b32 v18, v17 offset:256
	s_waitcnt lgkmcnt(0)
	v_add_f32_e32 v8, v8, v18
	s_or_b64 exec, exec, s[2:3]
	s_and_saveexec_b64 s[2:3], vcc
	s_cbranch_execz .LBB50_74
.LBB50_93:
	ds_read_b32 v18, v17 offset:288
	s_waitcnt lgkmcnt(0)
	v_add_f32_e32 v9, v9, v18
	s_or_b64 exec, exec, s[2:3]
	s_and_saveexec_b64 s[2:3], vcc
	s_cbranch_execz .LBB50_75
.LBB50_94:
	ds_read_b32 v18, v17 offset:320
	s_waitcnt lgkmcnt(0)
	v_add_f32_e32 v10, v10, v18
	s_or_b64 exec, exec, s[2:3]
	s_and_saveexec_b64 s[2:3], vcc
	s_cbranch_execz .LBB50_76
.LBB50_95:
	ds_read_b32 v18, v17 offset:352
	s_waitcnt lgkmcnt(0)
	v_add_f32_e32 v11, v11, v18
	s_or_b64 exec, exec, s[2:3]
	s_and_saveexec_b64 s[2:3], vcc
	s_cbranch_execz .LBB50_77
.LBB50_96:
	ds_read_b32 v18, v17 offset:384
	s_waitcnt lgkmcnt(0)
	v_add_f32_e32 v12, v12, v18
	s_or_b64 exec, exec, s[2:3]
	s_and_saveexec_b64 s[2:3], vcc
	s_cbranch_execz .LBB50_78
.LBB50_97:
	ds_read_b32 v18, v17 offset:416
	s_waitcnt lgkmcnt(0)
	v_add_f32_e32 v13, v13, v18
	s_or_b64 exec, exec, s[2:3]
	s_and_saveexec_b64 s[2:3], vcc
	s_cbranch_execnz .LBB50_79
	s_branch .LBB50_80
	.section	.rodata,"a",@progbits
	.p2align	6, 0x0
	.amdhsa_kernel _ZN4vllm25paged_attention_v1_kernelIffLi120ELi32ELi128ELNS_18Fp8KVCacheDataTypeE0ELb0EEEvPT_PKS2_PKT0_S8_ifPKiSA_iPKfiiiSC_SC_iiiii
		.amdhsa_group_segment_fixed_size 496
		.amdhsa_private_segment_fixed_size 168
		.amdhsa_kernarg_size 384
		.amdhsa_user_sgpr_count 6
		.amdhsa_user_sgpr_private_segment_buffer 1
		.amdhsa_user_sgpr_dispatch_ptr 0
		.amdhsa_user_sgpr_queue_ptr 0
		.amdhsa_user_sgpr_kernarg_segment_ptr 1
		.amdhsa_user_sgpr_dispatch_id 0
		.amdhsa_user_sgpr_flat_scratch_init 0
		.amdhsa_user_sgpr_private_segment_size 0
		.amdhsa_uses_dynamic_stack 0
		.amdhsa_system_sgpr_private_segment_wavefront_offset 1
		.amdhsa_system_sgpr_workgroup_id_x 1
		.amdhsa_system_sgpr_workgroup_id_y 1
		.amdhsa_system_sgpr_workgroup_id_z 1
		.amdhsa_system_sgpr_workgroup_info 0
		.amdhsa_system_vgpr_workitem_id 0
		.amdhsa_next_free_vgpr 64
		.amdhsa_next_free_sgpr 44
		.amdhsa_reserve_vcc 1
		.amdhsa_reserve_flat_scratch 0
		.amdhsa_float_round_mode_32 0
		.amdhsa_float_round_mode_16_64 0
		.amdhsa_float_denorm_mode_32 3
		.amdhsa_float_denorm_mode_16_64 3
		.amdhsa_dx10_clamp 1
		.amdhsa_ieee_mode 1
		.amdhsa_fp16_overflow 0
		.amdhsa_exception_fp_ieee_invalid_op 0
		.amdhsa_exception_fp_denorm_src 0
		.amdhsa_exception_fp_ieee_div_zero 0
		.amdhsa_exception_fp_ieee_overflow 0
		.amdhsa_exception_fp_ieee_underflow 0
		.amdhsa_exception_fp_ieee_inexact 0
		.amdhsa_exception_int_div_zero 0
	.end_amdhsa_kernel
	.section	.text._ZN4vllm25paged_attention_v1_kernelIffLi120ELi32ELi128ELNS_18Fp8KVCacheDataTypeE0ELb0EEEvPT_PKS2_PKT0_S8_ifPKiSA_iPKfiiiSC_SC_iiiii,"axG",@progbits,_ZN4vllm25paged_attention_v1_kernelIffLi120ELi32ELi128ELNS_18Fp8KVCacheDataTypeE0ELb0EEEvPT_PKS2_PKT0_S8_ifPKiSA_iPKfiiiSC_SC_iiiii,comdat
.Lfunc_end50:
	.size	_ZN4vllm25paged_attention_v1_kernelIffLi120ELi32ELi128ELNS_18Fp8KVCacheDataTypeE0ELb0EEEvPT_PKS2_PKT0_S8_ifPKiSA_iPKfiiiSC_SC_iiiii, .Lfunc_end50-_ZN4vllm25paged_attention_v1_kernelIffLi120ELi32ELi128ELNS_18Fp8KVCacheDataTypeE0ELb0EEEvPT_PKS2_PKT0_S8_ifPKiSA_iPKfiiiSC_SC_iiiii
                                        ; -- End function
	.set _ZN4vllm25paged_attention_v1_kernelIffLi120ELi32ELi128ELNS_18Fp8KVCacheDataTypeE0ELb0EEEvPT_PKS2_PKT0_S8_ifPKiSA_iPKfiiiSC_SC_iiiii.num_vgpr, 64
	.set _ZN4vllm25paged_attention_v1_kernelIffLi120ELi32ELi128ELNS_18Fp8KVCacheDataTypeE0ELb0EEEvPT_PKS2_PKT0_S8_ifPKiSA_iPKfiiiSC_SC_iiiii.num_agpr, 0
	.set _ZN4vllm25paged_attention_v1_kernelIffLi120ELi32ELi128ELNS_18Fp8KVCacheDataTypeE0ELb0EEEvPT_PKS2_PKT0_S8_ifPKiSA_iPKfiiiSC_SC_iiiii.numbered_sgpr, 44
	.set _ZN4vllm25paged_attention_v1_kernelIffLi120ELi32ELi128ELNS_18Fp8KVCacheDataTypeE0ELb0EEEvPT_PKS2_PKT0_S8_ifPKiSA_iPKfiiiSC_SC_iiiii.num_named_barrier, 0
	.set _ZN4vllm25paged_attention_v1_kernelIffLi120ELi32ELi128ELNS_18Fp8KVCacheDataTypeE0ELb0EEEvPT_PKS2_PKT0_S8_ifPKiSA_iPKfiiiSC_SC_iiiii.private_seg_size, 168
	.set _ZN4vllm25paged_attention_v1_kernelIffLi120ELi32ELi128ELNS_18Fp8KVCacheDataTypeE0ELb0EEEvPT_PKS2_PKT0_S8_ifPKiSA_iPKfiiiSC_SC_iiiii.uses_vcc, 1
	.set _ZN4vllm25paged_attention_v1_kernelIffLi120ELi32ELi128ELNS_18Fp8KVCacheDataTypeE0ELb0EEEvPT_PKS2_PKT0_S8_ifPKiSA_iPKfiiiSC_SC_iiiii.uses_flat_scratch, 0
	.set _ZN4vllm25paged_attention_v1_kernelIffLi120ELi32ELi128ELNS_18Fp8KVCacheDataTypeE0ELb0EEEvPT_PKS2_PKT0_S8_ifPKiSA_iPKfiiiSC_SC_iiiii.has_dyn_sized_stack, 0
	.set _ZN4vllm25paged_attention_v1_kernelIffLi120ELi32ELi128ELNS_18Fp8KVCacheDataTypeE0ELb0EEEvPT_PKS2_PKT0_S8_ifPKiSA_iPKfiiiSC_SC_iiiii.has_recursion, 0
	.set _ZN4vllm25paged_attention_v1_kernelIffLi120ELi32ELi128ELNS_18Fp8KVCacheDataTypeE0ELb0EEEvPT_PKS2_PKT0_S8_ifPKiSA_iPKfiiiSC_SC_iiiii.has_indirect_call, 0
	.section	.AMDGPU.csdata,"",@progbits
; Kernel info:
; codeLenInByte = 7628
; TotalNumSgprs: 48
; NumVgprs: 64
; ScratchSize: 168
; MemoryBound: 0
; FloatMode: 240
; IeeeMode: 1
; LDSByteSize: 496 bytes/workgroup (compile time only)
; SGPRBlocks: 5
; VGPRBlocks: 15
; NumSGPRsForWavesPerEU: 48
; NumVGPRsForWavesPerEU: 64
; Occupancy: 4
; WaveLimiterHint : 1
; COMPUTE_PGM_RSRC2:SCRATCH_EN: 1
; COMPUTE_PGM_RSRC2:USER_SGPR: 6
; COMPUTE_PGM_RSRC2:TRAP_HANDLER: 0
; COMPUTE_PGM_RSRC2:TGID_X_EN: 1
; COMPUTE_PGM_RSRC2:TGID_Y_EN: 1
; COMPUTE_PGM_RSRC2:TGID_Z_EN: 1
; COMPUTE_PGM_RSRC2:TIDIG_COMP_CNT: 0
	.section	.text._ZN4vllm25paged_attention_v1_kernelIffLi128ELi32ELi128ELNS_18Fp8KVCacheDataTypeE0ELb0EEEvPT_PKS2_PKT0_S8_ifPKiSA_iPKfiiiSC_SC_iiiii,"axG",@progbits,_ZN4vllm25paged_attention_v1_kernelIffLi128ELi32ELi128ELNS_18Fp8KVCacheDataTypeE0ELb0EEEvPT_PKS2_PKT0_S8_ifPKiSA_iPKfiiiSC_SC_iiiii,comdat
	.protected	_ZN4vllm25paged_attention_v1_kernelIffLi128ELi32ELi128ELNS_18Fp8KVCacheDataTypeE0ELb0EEEvPT_PKS2_PKT0_S8_ifPKiSA_iPKfiiiSC_SC_iiiii ; -- Begin function _ZN4vllm25paged_attention_v1_kernelIffLi128ELi32ELi128ELNS_18Fp8KVCacheDataTypeE0ELb0EEEvPT_PKS2_PKT0_S8_ifPKiSA_iPKfiiiSC_SC_iiiii
	.globl	_ZN4vllm25paged_attention_v1_kernelIffLi128ELi32ELi128ELNS_18Fp8KVCacheDataTypeE0ELb0EEEvPT_PKS2_PKT0_S8_ifPKiSA_iPKfiiiSC_SC_iiiii
	.p2align	8
	.type	_ZN4vllm25paged_attention_v1_kernelIffLi128ELi32ELi128ELNS_18Fp8KVCacheDataTypeE0ELb0EEEvPT_PKS2_PKT0_S8_ifPKiSA_iPKfiiiSC_SC_iiiii,@function
_ZN4vllm25paged_attention_v1_kernelIffLi128ELi32ELi128ELNS_18Fp8KVCacheDataTypeE0ELb0EEEvPT_PKS2_PKT0_S8_ifPKiSA_iPKfiiiSC_SC_iiiii: ; @_ZN4vllm25paged_attention_v1_kernelIffLi128ELi32ELi128ELNS_18Fp8KVCacheDataTypeE0ELb0EEEvPT_PKS2_PKT0_S8_ifPKiSA_iPKfiiiSC_SC_iiiii
; %bb.0:
	s_mov_b64 s[42:43], s[2:3]
	s_mov_b64 s[40:41], s[0:1]
	s_add_u32 s40, s40, s9
	s_load_dword s9, s[4:5], 0x80
	s_load_dwordx2 s[0:1], s[4:5], 0x30
	s_load_dwordx2 s[10:11], s[4:5], 0x20
	s_addc_u32 s41, s41, 0
	s_mov_b32 s16, s7
	s_ashr_i32 s17, s7, 31
	s_lshl_b64 s[2:3], s[16:17], 2
	s_waitcnt lgkmcnt(0)
	s_add_u32 s0, s0, s2
	s_addc_u32 s1, s1, s3
	s_abs_i32 s2, s10
	v_mov_b32_e32 v22, v0
	v_cvt_f32_u32_e32 v0, s2
	s_xor_b32 s3, s9, s10
	s_sub_i32 s10, 0, s2
	s_abs_i32 s7, s9
	v_rcp_iflag_f32_e32 v0, v0
	s_ashr_i32 s3, s3, 31
	v_mul_f32_e32 v0, 0x4f7ffffe, v0
	v_cvt_u32_f32_e32 v0, v0
	v_readfirstlane_b32 s12, v0
	s_mul_i32 s10, s10, s12
	s_mul_hi_u32 s10, s12, s10
	s_add_i32 s12, s12, s10
	s_mul_hi_u32 s10, s7, s12
	s_mul_i32 s12, s10, s2
	s_sub_i32 s7, s7, s12
	s_add_i32 s12, s10, 1
	s_sub_i32 s13, s7, s2
	s_cmp_ge_u32 s7, s2
	s_cselect_b32 s10, s12, s10
	s_cselect_b32 s7, s13, s7
	s_add_i32 s12, s10, 1
	s_cmp_ge_u32 s7, s2
	s_cselect_b32 s2, s12, s10
	s_xor_b32 s2, s2, s3
	s_sub_i32 s12, s2, s3
	s_abs_i32 s20, s12
	v_cvt_f32_u32_e32 v0, s20
	s_load_dwordx2 s[2:3], s[4:5], 0x40
	s_sub_i32 s7, 0, s20
	s_abs_i32 s21, s6
	v_rcp_iflag_f32_e32 v0, v0
	s_mov_b32 s10, 0
	v_mul_f32_e32 v0, 0x4f7ffffe, v0
	v_cvt_u32_f32_e32 v0, v0
	v_readfirstlane_b32 s13, v0
	s_mul_i32 s7, s7, s13
	s_mul_hi_u32 s7, s13, s7
	s_add_i32 s13, s13, s7
	s_waitcnt lgkmcnt(0)
	s_cmp_eq_u64 s[2:3], 0
	s_mul_hi_u32 s24, s21, s13
	s_cbranch_scc1 .LBB51_2
; %bb.1:
	s_ashr_i32 s7, s6, 31
	s_lshl_b64 s[14:15], s[6:7], 2
	s_add_u32 s2, s2, s14
	s_addc_u32 s3, s3, s15
	s_load_dword s10, s[2:3], 0x0
.LBB51_2:
	s_load_dword s17, s[0:1], 0x0
	s_ashr_i32 s25, s12, 31
	s_load_dwordx4 s[12:15], s[4:5], 0x48
	s_ashr_i32 s7, s6, 31
	v_and_b32_e32 v0, 1, v22
	s_lshl_b32 s18, s6, 7
	v_cmp_gt_u32_e64 s[0:1], 64, v22
	v_lshlrev_b32_e32 v1, 3, v22
	v_lshlrev_b32_e32 v11, 2, v22
	s_and_saveexec_b64 s[2:3], s[0:1]
	s_cbranch_execz .LBB51_4
; %bb.3:
	s_load_dwordx2 s[22:23], s[4:5], 0x8
	s_waitcnt lgkmcnt(0)
	s_mul_i32 s26, s12, s16
	s_ashr_i32 s27, s26, 31
	s_lshl_b64 s[26:27], s[26:27], 2
	v_and_b32_e32 v4, 0xff8, v11
	s_add_u32 s6, s22, s26
	s_addc_u32 s12, s23, s27
	s_ashr_i32 s19, s18, 31
	s_lshl_b64 s[22:23], s[18:19], 2
	s_add_u32 s22, s6, s22
	s_addc_u32 s23, s12, s23
	global_load_dwordx2 v[2:3], v1, s[22:23]
	v_lshl_add_u32 v4, v0, 8, v4
	s_waitcnt vmcnt(0)
	ds_write_b64 v4, v[2:3]
.LBB51_4:
	s_or_b64 exec, exec, s[2:3]
	s_waitcnt lgkmcnt(0)
	s_add_i32 s3, s17, 31
	s_ashr_i32 s6, s3, 31
	s_lshr_b32 s6, s6, 27
	s_add_i32 s3, s3, s6
	s_mul_i32 s6, s24, s20
	s_sub_i32 s6, s21, s6
	s_ashr_i32 s19, s3, 5
	s_xor_b32 s3, s7, s25
	s_add_i32 s7, s24, 1
	s_sub_i32 s12, s6, s20
	s_load_dwordx2 s[22:23], s[4:5], 0x28
	s_load_dword s2, s[4:5], 0x38
	s_cmp_ge_u32 s6, s20
	s_cselect_b32 s7, s7, s24
	s_cselect_b32 s6, s12, s6
	s_add_i32 s12, s7, 1
	s_cmp_ge_u32 s6, s20
	s_cselect_b32 s6, s12, s7
	v_lshrrev_b32_e32 v10, 6, v22
	s_xor_b32 s6, s6, s3
	s_waitcnt lgkmcnt(0)
	s_mul_i32 s24, s2, s16
	s_sub_i32 s15, s6, s3
	s_ashr_i32 s25, s24, 31
	v_cmp_gt_i32_e64 s[2:3], s19, v10
	v_cmp_le_i32_e32 vcc, s19, v10
	v_mbcnt_lo_u32_b32 v2, -1, 0
	s_barrier
                                        ; implicit-def: $vgpr12
                                        ; implicit-def: $vgpr7
                                        ; implicit-def: $vgpr8
	s_and_saveexec_b64 s[6:7], vcc
	s_xor_b64 s[6:7], exec, s[6:7]
; %bb.5:
	v_mbcnt_hi_u32_b32 v12, -1, v2
	v_and_b32_e32 v7, 64, v12
	v_add_u32_e32 v8, 64, v7
                                        ; implicit-def: $vgpr1
                                        ; implicit-def: $vgpr0
                                        ; implicit-def: $vgpr2
; %bb.6:
	s_or_saveexec_b64 s[28:29], s[6:7]
	s_load_dwordx2 s[20:21], s[4:5], 0x0
	s_load_dwordx2 s[26:27], s[4:5], 0x18
	s_load_dword s12, s[4:5], 0x88
	v_mov_b32_e32 v20, 0xff7fffff
	s_mul_i32 s14, s15, s14
	v_lshrrev_b32_e32 v61, 4, v22
	buffer_store_dword v22, off, s[40:43], 0 offset:176 ; 4-byte Folded Spill
	s_xor_b64 exec, exec, s[28:29]
	s_cbranch_execz .LBB51_12
; %bb.7:
	s_load_dwordx2 s[4:5], s[4:5], 0x10
	s_ashr_i32 s15, s14, 31
	s_lshl_b64 s[6:7], s[14:15], 2
	v_bfe_u32 v5, v22, 1, 5
	v_lshlrev_b32_e32 v3, 4, v5
	s_waitcnt lgkmcnt(0)
	s_add_u32 s4, s4, s6
	s_addc_u32 s5, s5, s7
	v_add_co_u32_e32 v3, vcc, s4, v3
	v_mov_b32_e32 v4, s5
	v_addc_co_u32_e32 v4, vcc, 0, v4, vcc
	v_and_b32_e32 v1, 8, v1
	v_add_co_u32_e32 v1, vcc, v3, v1
	buffer_store_dword v1, off, s[40:43], 0 ; 4-byte Folded Spill
	v_addc_co_u32_e32 v1, vcc, 0, v4, vcc
	buffer_store_dword v1, off, s[40:43], 0 offset:16 ; 4-byte Folded Spill
	v_lshlrev_b32_e32 v1, 8, v0
	buffer_store_dword v11, off, s[40:43], 0 offset:120 ; 4-byte Folded Spill
	ds_read_b128 v[11:14], v1
	s_waitcnt lgkmcnt(0)
	buffer_store_dword v11, off, s[40:43], 0 offset:32 ; 4-byte Folded Spill
	s_nop 0
	buffer_store_dword v12, off, s[40:43], 0 offset:36 ; 4-byte Folded Spill
	buffer_store_dword v13, off, s[40:43], 0 offset:40 ; 4-byte Folded Spill
	buffer_store_dword v14, off, s[40:43], 0 offset:44 ; 4-byte Folded Spill
	ds_read_b128 v[11:14], v1 offset:16
	s_waitcnt lgkmcnt(0)
	buffer_store_dword v11, off, s[40:43], 0 offset:52 ; 4-byte Folded Spill
	s_nop 0
	buffer_store_dword v12, off, s[40:43], 0 offset:56 ; 4-byte Folded Spill
	buffer_store_dword v13, off, s[40:43], 0 offset:60 ; 4-byte Folded Spill
	buffer_store_dword v14, off, s[40:43], 0 offset:64 ; 4-byte Folded Spill
	ds_read_b128 v[11:14], v1 offset:32
	;; [unrolled: 7-line block ×4, first 2 shown]
	v_mbcnt_hi_u32_b32 v3, -1, v2
	s_waitcnt lgkmcnt(0)
	buffer_store_dword v11, off, s[40:43], 0 offset:100 ; 4-byte Folded Spill
	s_nop 0
	buffer_store_dword v12, off, s[40:43], 0 offset:104 ; 4-byte Folded Spill
	buffer_store_dword v13, off, s[40:43], 0 offset:108 ; 4-byte Folded Spill
	;; [unrolled: 1-line block ×3, first 2 shown]
	v_and_b32_e32 v4, 64, v3
	ds_read_b128 v[21:24], v1 offset:80
	ds_read_b128 v[25:28], v1 offset:96
	;; [unrolled: 1-line block ×8, first 2 shown]
	v_xor_b32_e32 v2, 1, v3
	buffer_store_dword v4, off, s[40:43], 0 offset:132 ; 4-byte Folded Spill
	v_add_u32_e32 v4, 64, v4
	v_cmp_lt_i32_e32 vcc, v2, v4
	v_cndmask_b32_e32 v2, v3, v2, vcc
	v_lshlrev_b32_e32 v2, 2, v2
	buffer_store_dword v4, off, s[40:43], 0 offset:136 ; 4-byte Folded Spill
	buffer_store_dword v3, off, s[40:43], 0 offset:128 ; 4-byte Folded Spill
	;; [unrolled: 1-line block ×3, first 2 shown]
	ds_read_b128 v[53:56], v1 offset:208
	ds_read_b128 v[57:60], v1 offset:224
	;; [unrolled: 1-line block ×3, first 2 shown]
	v_lshlrev_b32_e32 v6, 2, v5
	s_sub_i32 s15, 1, s17
	s_lshl_b64 s[6:7], s[24:25], 2
	v_cmp_eq_u32_e32 vcc, 0, v0
	v_lshl_or_b32 v0, v10, 7, v6
	s_add_u32 s6, s22, s6
	v_add_u32_e32 v63, 0x210, v0
	v_and_b32_e32 v0, 60, v61
	s_addc_u32 s30, s23, s7
	buffer_store_dword v61, off, s[40:43], 0 offset:124 ; 4-byte Folded Spill
	v_add_co_u32_e64 v61, s[6:7], s6, v0
	v_mov_b32_e32 v0, s30
	s_mov_b32 s33, s13
	v_cmp_neq_f32_e64 s[4:5], s10, 0
	v_lshl_or_b32 v7, v10, 5, v5
	v_addc_co_u32_e64 v62, s[6:7], 0, v0, s[6:7]
	v_mov_b32_e32 v20, 0xff7fffff
	s_mov_b64 s[30:31], 0
	s_movk_i32 s36, 0x1000
	s_movk_i32 s37, 0x2000
	;; [unrolled: 1-line block ×3, first 2 shown]
	v_mov_b32_e32 v0, v10
	buffer_store_dword v10, off, s[40:43], 0 offset:48 ; 4-byte Folded Spill
	s_branch .LBB51_9
.LBB51_8:                               ;   in Loop: Header=BB51_9 Depth=1
	s_or_b64 exec, exec, s[34:35]
	v_add_u32_e32 v0, 2, v0
	v_cmp_le_i32_e64 s[6:7], s19, v0
	s_or_b64 s[30:31], s[6:7], s[30:31]
	v_add_co_u32_e64 v61, s[6:7], 8, v61
	v_add_u32_e32 v7, 64, v7
	v_add_u32_e32 v63, 0x100, v63
	v_addc_co_u32_e64 v62, s[6:7], 0, v62, s[6:7]
	s_andn2_b64 exec, exec, s[30:31]
	s_cbranch_execz .LBB51_11
.LBB51_9:                               ; =>This Inner Loop Header: Depth=1
	global_load_dword v5, v[61:62], off
	buffer_load_dword v8, off, s[40:43], 0  ; 4-byte Folded Reload
	s_waitcnt vmcnt(1) lgkmcnt(0)
	v_mad_i64_i32 v[5:6], s[6:7], v5, s33, 0
	v_lshlrev_b64 v[5:6], 2, v[5:6]
	s_waitcnt vmcnt(0)
	v_add_co_u32_e64 v10, s[6:7], v8, v5
	buffer_load_dword v5, off, s[40:43], 0 offset:16 ; 4-byte Folded Reload
	s_waitcnt vmcnt(0)
	v_addc_co_u32_e64 v11, s[6:7], v5, v6, s[6:7]
	global_load_dwordx2 v[5:6], v[10:11], off offset:512
	buffer_load_dword v12, off, s[40:43], 0 offset:32 ; 4-byte Folded Reload
	buffer_load_dword v13, off, s[40:43], 0 offset:36 ; 4-byte Folded Reload
	;; [unrolled: 1-line block ×4, first 2 shown]
	s_waitcnt vmcnt(1)
	v_mul_f32_e32 v8, v14, v5
	s_waitcnt vmcnt(0)
	v_mul_f32_e32 v9, v15, v6
	global_load_dwordx2 v[5:6], v[10:11], off
	s_waitcnt vmcnt(0)
	v_fmac_f32_e32 v8, v12, v5
	v_fmac_f32_e32 v9, v13, v6
	global_load_dwordx2 v[5:6], v[10:11], off offset:1024
	buffer_load_dword v12, off, s[40:43], 0 offset:52 ; 4-byte Folded Reload
	buffer_load_dword v13, off, s[40:43], 0 offset:56 ; 4-byte Folded Reload
	;; [unrolled: 1-line block ×4, first 2 shown]
	s_waitcnt vmcnt(3)
	v_fmac_f32_e32 v8, v12, v5
	s_waitcnt vmcnt(2)
	v_fmac_f32_e32 v9, v13, v6
	global_load_dwordx2 v[5:6], v[10:11], off offset:1536
	s_waitcnt vmcnt(0)
	v_fmac_f32_e32 v8, v14, v5
	v_fmac_f32_e32 v9, v15, v6
	global_load_dwordx2 v[5:6], v[10:11], off offset:2048
	buffer_load_dword v12, off, s[40:43], 0 offset:68 ; 4-byte Folded Reload
	buffer_load_dword v13, off, s[40:43], 0 offset:72 ; 4-byte Folded Reload
	;; [unrolled: 1-line block ×4, first 2 shown]
	s_waitcnt vmcnt(3)
	v_fmac_f32_e32 v8, v12, v5
	s_waitcnt vmcnt(2)
	v_fmac_f32_e32 v9, v13, v6
	global_load_dwordx2 v[5:6], v[10:11], off offset:2560
	v_add_co_u32_e64 v12, s[6:7], s36, v10
	v_addc_co_u32_e64 v13, s[6:7], 0, v11, s[6:7]
	s_waitcnt vmcnt(0)
	v_fmac_f32_e32 v8, v14, v5
	v_fmac_f32_e32 v9, v15, v6
	global_load_dwordx2 v[5:6], v[10:11], off offset:3072
	buffer_load_dword v16, off, s[40:43], 0 offset:84 ; 4-byte Folded Reload
	buffer_load_dword v17, off, s[40:43], 0 offset:88 ; 4-byte Folded Reload
	;; [unrolled: 1-line block ×4, first 2 shown]
	v_add_co_u32_e64 v14, s[6:7], s37, v10
	v_addc_co_u32_e64 v15, s[6:7], 0, v11, s[6:7]
	s_waitcnt vmcnt(3)
	v_fmac_f32_e32 v8, v16, v5
	v_add_co_u32_e64 v5, s[6:7], s38, v10
	s_waitcnt vmcnt(2)
	v_fmac_f32_e32 v9, v17, v6
	v_addc_co_u32_e64 v6, s[6:7], 0, v11, s[6:7]
	global_load_dwordx2 v[10:11], v[10:11], off offset:3584
	s_waitcnt vmcnt(0)
	v_fmac_f32_e32 v8, v18, v10
	v_fmac_f32_e32 v9, v19, v11
	global_load_dwordx2 v[10:11], v[14:15], off offset:-4096
	buffer_load_dword v16, off, s[40:43], 0 offset:100 ; 4-byte Folded Reload
	buffer_load_dword v17, off, s[40:43], 0 offset:104 ; 4-byte Folded Reload
	;; [unrolled: 1-line block ×4, first 2 shown]
	s_waitcnt vmcnt(3)
	v_fmac_f32_e32 v8, v16, v10
	s_waitcnt vmcnt(2)
	v_fmac_f32_e32 v9, v17, v11
	global_load_dwordx2 v[10:11], v[12:13], off offset:512
	s_waitcnt vmcnt(0)
	v_fmac_f32_e32 v8, v18, v10
	v_fmac_f32_e32 v9, v19, v11
	global_load_dwordx2 v[10:11], v[12:13], off offset:1024
	s_waitcnt vmcnt(0) lgkmcnt(10)
	v_fmac_f32_e32 v8, v21, v10
	v_fmac_f32_e32 v9, v22, v11
	global_load_dwordx2 v[10:11], v[12:13], off offset:1536
	s_waitcnt vmcnt(0)
	v_fmac_f32_e32 v8, v23, v10
	v_fmac_f32_e32 v9, v24, v11
	global_load_dwordx2 v[10:11], v[12:13], off offset:2048
	s_waitcnt vmcnt(0) lgkmcnt(9)
	v_fmac_f32_e32 v8, v25, v10
	;; [unrolled: 8-line block ×3, first 2 shown]
	v_fmac_f32_e32 v9, v30, v11
	global_load_dwordx2 v[10:11], v[12:13], off offset:3584
	s_waitcnt vmcnt(0)
	v_fmac_f32_e32 v8, v31, v10
	v_fmac_f32_e32 v9, v32, v11
	global_load_dwordx2 v[10:11], v[14:15], off
	s_waitcnt vmcnt(0) lgkmcnt(7)
	v_fmac_f32_e32 v8, v33, v10
	v_fmac_f32_e32 v9, v34, v11
	global_load_dwordx2 v[10:11], v[14:15], off offset:512
	s_waitcnt vmcnt(0)
	v_fmac_f32_e32 v8, v35, v10
	v_fmac_f32_e32 v9, v36, v11
	global_load_dwordx2 v[10:11], v[14:15], off offset:1024
	s_waitcnt vmcnt(0) lgkmcnt(6)
	v_fmac_f32_e32 v8, v37, v10
	v_fmac_f32_e32 v9, v38, v11
	global_load_dwordx2 v[10:11], v[14:15], off offset:1536
	s_waitcnt vmcnt(0)
	v_fmac_f32_e32 v8, v39, v10
	v_fmac_f32_e32 v9, v40, v11
	global_load_dwordx2 v[10:11], v[14:15], off offset:2048
	;; [unrolled: 8-line block ×3, first 2 shown]
	s_waitcnt vmcnt(0) lgkmcnt(4)
	v_fmac_f32_e32 v8, v45, v10
	v_fmac_f32_e32 v9, v46, v11
	global_load_dwordx2 v[10:11], v[14:15], off offset:3584
	s_waitcnt vmcnt(0)
	v_fmac_f32_e32 v8, v47, v10
	v_fmac_f32_e32 v9, v48, v11
	global_load_dwordx2 v[10:11], v[5:6], off
	s_waitcnt vmcnt(0) lgkmcnt(3)
	v_fmac_f32_e32 v8, v49, v10
	v_fmac_f32_e32 v9, v50, v11
	global_load_dwordx2 v[10:11], v[5:6], off offset:512
	s_waitcnt vmcnt(0)
	v_fmac_f32_e32 v8, v51, v10
	v_fmac_f32_e32 v9, v52, v11
	global_load_dwordx2 v[10:11], v[5:6], off offset:1024
	s_waitcnt vmcnt(0) lgkmcnt(2)
	v_fmac_f32_e32 v8, v53, v10
	v_fmac_f32_e32 v9, v54, v11
	global_load_dwordx2 v[10:11], v[5:6], off offset:1536
	s_waitcnt vmcnt(0)
	v_fmac_f32_e32 v8, v55, v10
	v_fmac_f32_e32 v9, v56, v11
	global_load_dwordx2 v[10:11], v[5:6], off offset:2048
	s_waitcnt vmcnt(0) lgkmcnt(1)
	v_fmac_f32_e32 v8, v57, v10
	v_fmac_f32_e32 v9, v58, v11
	global_load_dwordx2 v[10:11], v[5:6], off offset:2560
	s_waitcnt vmcnt(0)
	v_fmac_f32_e32 v8, v59, v10
	v_fmac_f32_e32 v9, v60, v11
	global_load_dwordx2 v[10:11], v[5:6], off offset:3072
	s_waitcnt vmcnt(0) lgkmcnt(0)
	v_fmac_f32_e32 v9, v2, v11
	global_load_dwordx2 v[5:6], v[5:6], off offset:3584
	v_fmac_f32_e32 v8, v1, v10
	s_waitcnt vmcnt(0)
	v_fmac_f32_e32 v9, v4, v6
	buffer_load_dword v6, off, s[40:43], 0 offset:116 ; 4-byte Folded Reload
	v_fmac_f32_e32 v8, v3, v5
	v_add_f32_e32 v5, v8, v9
	s_waitcnt vmcnt(0)
	ds_bpermute_b32 v6, v6, v5
	s_and_saveexec_b64 s[34:35], vcc
	s_cbranch_execz .LBB51_8
; %bb.10:                               ;   in Loop: Header=BB51_9 Depth=1
	v_add_u32_e32 v8, s15, v7
	v_cvt_f32_i32_e32 v8, v8
	s_waitcnt lgkmcnt(0)
	v_add_f32_e32 v5, v5, v6
	v_cmp_gt_i32_e64 s[6:7], s17, v7
	v_max_f32_e32 v6, v20, v20
	v_mul_f32_e32 v8, s10, v8
	v_cndmask_b32_e64 v8, 0, v8, s[4:5]
	v_fmac_f32_e32 v8, s11, v5
	v_cndmask_b32_e64 v5, 0, v8, s[6:7]
	ds_write_b32 v63, v5
	v_max_f32_e32 v5, v6, v8
	v_cndmask_b32_e64 v20, v20, v5, s[6:7]
	s_branch .LBB51_8
.LBB51_11:
	s_or_b64 exec, exec, s[30:31]
	buffer_load_dword v22, off, s[40:43], 0 offset:176 ; 4-byte Folded Reload
	buffer_load_dword v10, off, s[40:43], 0 offset:48 ; 4-byte Folded Reload
	;; [unrolled: 1-line block ×7, first 2 shown]
.LBB51_12:
	s_or_b64 exec, exec, s[28:29]
	s_waitcnt vmcnt(2)
	v_xor_b32_e32 v0, 32, v12
	s_waitcnt vmcnt(0)
	v_cmp_lt_i32_e32 vcc, v0, v8
	v_cndmask_b32_e32 v0, v12, v0, vcc
	v_lshlrev_b32_e32 v0, 2, v0
	ds_bpermute_b32 v1, v0, v20
	v_xor_b32_e32 v3, 16, v12
	v_max_f32_e32 v2, v20, v20
	v_cmp_lt_i32_e32 vcc, v3, v8
	v_xor_b32_e32 v4, 8, v12
	s_waitcnt lgkmcnt(0)
	v_max_f32_e32 v1, v1, v1
	v_max_f32_e32 v2, v2, v1
	v_cndmask_b32_e32 v1, v12, v3, vcc
	v_lshlrev_b32_e32 v1, 2, v1
	ds_bpermute_b32 v3, v1, v2
	v_cmp_lt_i32_e32 vcc, v4, v8
	v_xor_b32_e32 v5, 4, v12
	v_and_b32_e32 v23, 63, v22
	s_waitcnt lgkmcnt(0)
	v_max_f32_e32 v3, v3, v3
	v_max_f32_e32 v3, v2, v3
	v_cndmask_b32_e32 v2, v12, v4, vcc
	v_lshlrev_b32_e32 v2, 2, v2
	ds_bpermute_b32 v4, v2, v3
	v_cmp_lt_i32_e32 vcc, v5, v8
	s_waitcnt lgkmcnt(0)
	v_max_f32_e32 v4, v4, v4
	v_max_f32_e32 v3, v3, v4
	v_cndmask_b32_e32 v4, v12, v5, vcc
	v_lshlrev_b32_e32 v17, 2, v4
	ds_bpermute_b32 v4, v17, v3
	v_xor_b32_e32 v5, 2, v12
	v_cmp_lt_i32_e32 vcc, v5, v8
	s_waitcnt lgkmcnt(0)
	v_max_f32_e32 v4, v4, v4
	v_max_f32_e32 v4, v3, v4
	v_cndmask_b32_e32 v3, v12, v5, vcc
	v_lshlrev_b32_e32 v20, 2, v3
	ds_bpermute_b32 v5, v20, v4
	v_cmp_eq_u32_e32 vcc, 0, v23
	v_lshlrev_b32_e32 v3, 2, v10
	s_and_saveexec_b64 s[4:5], vcc
	s_cbranch_execz .LBB51_14
; %bb.13:
	s_waitcnt lgkmcnt(0)
	v_max_f32_e32 v5, v5, v5
	v_max_f32_e32 v4, v4, v4
	;; [unrolled: 1-line block ×3, first 2 shown]
	ds_write_b32 v3, v4 offset:512
.LBB51_14:
	s_or_b64 exec, exec, s[4:5]
	v_cmp_gt_u32_e64 s[4:5], 2, v23
	s_waitcnt lgkmcnt(0)
	v_mov_b32_e32 v5, 0xff7fffff
	v_lshlrev_b32_e32 v4, 2, v23
	s_barrier
	s_and_saveexec_b64 s[6:7], s[4:5]
; %bb.15:
	ds_read_b32 v5, v4 offset:512
; %bb.16:
	s_or_b64 exec, exec, s[6:7]
	v_xor_b32_e32 v6, 1, v12
	v_cmp_lt_i32_e64 s[6:7], v6, v8
	v_cndmask_b32_e64 v6, v12, v6, s[6:7]
	v_lshlrev_b32_e32 v24, 2, v6
	s_waitcnt lgkmcnt(0)
	ds_bpermute_b32 v6, v24, v5
	v_max_f32_e32 v5, v5, v5
	s_lshl_b32 s6, s19, 5
	s_min_i32 s15, s6, s17
	v_cmp_gt_i32_e64 s[6:7], s15, v22
	s_waitcnt lgkmcnt(0)
	v_max_f32_e32 v6, v6, v6
	v_max_f32_e32 v5, v5, v6
	v_lshlrev_b32_e32 v6, 2, v7
	ds_bpermute_b32 v6, v6, v5
	v_mov_b32_e32 v5, 0
	s_and_saveexec_b64 s[28:29], s[6:7]
	s_cbranch_execz .LBB51_20
; %bb.17:
	v_mov_b32_e32 v5, 0x210
	v_lshl_add_u32 v7, v22, 2, v5
	v_mov_b32_e32 v5, 0
	s_mov_b64 s[30:31], 0
	v_mov_b32_e32 v8, v22
.LBB51_18:                              ; =>This Inner Loop Header: Depth=1
	ds_read_b32 v9, v7
	v_add_u32_e32 v8, 0x80, v8
	v_cmp_le_i32_e64 s[10:11], s15, v8
	s_or_b64 s[30:31], s[10:11], s[30:31]
	s_waitcnt lgkmcnt(0)
	v_sub_f32_e32 v9, v9, v6
	v_mul_f32_e32 v9, 0x3fb8aa3b, v9
	v_exp_f32_e32 v9, v9
	ds_write_b32 v7, v9
	v_add_f32_e32 v5, v5, v9
	v_add_u32_e32 v7, 0x200, v7
	s_andn2_b64 exec, exec, s[30:31]
	s_cbranch_execnz .LBB51_18
; %bb.19:
	s_or_b64 exec, exec, s[30:31]
.LBB51_20:
	s_or_b64 exec, exec, s[28:29]
	ds_bpermute_b32 v0, v0, v5
	s_waitcnt lgkmcnt(0)
	v_add_f32_e32 v0, v5, v0
	ds_bpermute_b32 v1, v1, v0
	s_waitcnt lgkmcnt(0)
	v_add_f32_e32 v0, v0, v1
	;; [unrolled: 3-line block ×6, first 2 shown]
	s_and_saveexec_b64 s[10:11], vcc
; %bb.21:
	ds_write_b32 v3, v0 offset:520
; %bb.22:
	s_or_b64 exec, exec, s[10:11]
	s_waitcnt lgkmcnt(0)
	s_barrier
	s_and_saveexec_b64 s[10:11], s[4:5]
; %bb.23:
	ds_read_b32 v0, v4 offset:520
; %bb.24:
	s_or_b64 exec, exec, s[10:11]
	s_waitcnt lgkmcnt(0)
	ds_bpermute_b32 v1, v24, v0
	v_lshlrev_b32_e32 v2, 2, v12
	s_waitcnt lgkmcnt(0)
	v_add_f32_e32 v0, v0, v1
	v_and_b32_e32 v1, 0xffffff00, v2
	ds_bpermute_b32 v0, v1, v0
	s_and_saveexec_b64 s[4:5], s[6:7]
	s_cbranch_execz .LBB51_27
; %bb.25:
	s_waitcnt lgkmcnt(0)
	v_add_f32_e32 v1, 0x358637bd, v0
	v_div_scale_f32 v0, s[6:7], v1, v1, 1.0
	v_div_scale_f32 v2, vcc, 1.0, v1, 1.0
	s_mov_b64 s[6:7], 0
	v_rcp_f32_e32 v3, v0
	v_fma_f32 v4, -v0, v3, 1.0
	v_fmac_f32_e32 v3, v4, v3
	v_mul_f32_e32 v4, v2, v3
	v_fma_f32 v5, -v0, v4, v2
	v_fmac_f32_e32 v4, v5, v3
	v_fma_f32 v0, -v0, v4, v2
	v_div_fmas_f32 v2, v0, v3, v4
	v_mov_b32_e32 v0, 0x210
	v_lshl_add_u32 v0, v22, 2, v0
	v_div_fixup_f32 v1, v2, v1, 1.0
	v_mov_b32_e32 v2, v22
.LBB51_26:                              ; =>This Inner Loop Header: Depth=1
	ds_read_b32 v3, v0
	v_add_u32_e32 v2, 0x80, v2
	v_cmp_le_i32_e32 vcc, s15, v2
	s_or_b64 s[6:7], vcc, s[6:7]
	s_waitcnt lgkmcnt(0)
	v_mul_f32_e32 v3, v1, v3
	ds_write_b32 v0, v3
	v_add_u32_e32 v0, 0x200, v0
	s_andn2_b64 exec, exec, s[6:7]
	s_cbranch_execnz .LBB51_26
.LBB51_27:
	s_or_b64 exec, exec, s[4:5]
	v_mov_b32_e32 v4, 0
	v_and_b32_e32 v25, 7, v22
	v_mov_b32_e32 v6, 0
	v_mov_b32_e32 v5, 0
	;; [unrolled: 1-line block ×15, first 2 shown]
	s_waitcnt lgkmcnt(0)
	s_barrier
	s_and_saveexec_b64 s[4:5], s[2:3]
	s_cbranch_execz .LBB51_63
; %bb.28:
	v_and_b32_e32 v1, 0xfc, v11
	v_or_b32_e32 v2, 0xf00, v11
	v_lshlrev_b32_e32 v1, 2, v1
	buffer_store_dword v24, off, s[40:43], 0 offset:192 ; 4-byte Folded Spill
	buffer_store_dword v20, off, s[40:43], 0 offset:188 ; 4-byte Folded Spill
	;; [unrolled: 1-line block ×5, first 2 shown]
	v_lshlrev_b32_e32 v1, 2, v2
	buffer_store_dword v1, off, s[40:43], 0 offset:172 ; 4-byte Folded Spill
	v_mov_b32_e32 v1, 0
	buffer_store_dword v1, off, s[40:43], 0 offset:52 ; 4-byte Folded Spill
	v_mov_b32_e32 v1, 0
	buffer_store_dword v1, off, s[40:43], 0 offset:68 ; 4-byte Folded Spill
	v_mov_b32_e32 v1, 0
	buffer_store_dword v1, off, s[40:43], 0 offset:84 ; 4-byte Folded Spill
	v_mov_b32_e32 v1, 0
	buffer_store_dword v1, off, s[40:43], 0 offset:100 ; 4-byte Folded Spill
	v_mov_b32_e32 v1, 0
	buffer_store_dword v1, off, s[40:43], 0 offset:116 ; 4-byte Folded Spill
	v_mov_b32_e32 v1, 0
	s_ashr_i32 s15, s14, 31
	buffer_store_dword v1, off, s[40:43], 0 offset:120 ; 4-byte Folded Spill
	v_mov_b32_e32 v1, 0
	s_lshl_b64 s[2:3], s[14:15], 2
	buffer_store_dword v1, off, s[40:43], 0 offset:124 ; 4-byte Folded Spill
	v_mov_b32_e32 v1, 0
	v_and_b32_e32 v0, 28, v11
	s_add_u32 s14, s26, s2
	v_lshlrev_b32_e32 v3, 5, v10
	buffer_store_dword v1, off, s[40:43], 0 offset:128 ; 4-byte Folded Spill
	v_mov_b32_e32 v1, 0
	s_addc_u32 s10, s27, s3
	s_add_i32 s15, s19, -1
	v_or3_b32 v0, v3, v0, 3
	v_lshlrev_b32_e32 v3, 4, v25
	s_lshl_b64 s[2:3], s[24:25], 2
	buffer_store_dword v1, off, s[40:43], 0 offset:132 ; 4-byte Folded Spill
	v_mov_b32_e32 v1, 0
	v_lshl_or_b32 v3, v10, 7, v3
	s_add_u32 s2, s22, s2
	buffer_store_dword v1, off, s[40:43], 0 offset:136 ; 4-byte Folded Spill
	v_mov_b32_e32 v1, 0
	v_add_u32_e32 v63, 0x210, v3
	v_and_b32_e32 v3, 60, v61
	s_addc_u32 s3, s23, s3
	buffer_store_dword v1, off, s[40:43], 0 offset:140 ; 4-byte Folded Spill
	v_mov_b32_e32 v1, 0
	v_mov_b32_e32 v4, s3
	v_add_co_u32_e32 v61, vcc, s2, v3
	buffer_store_dword v1, off, s[40:43], 0 offset:144 ; 4-byte Folded Spill
	v_mov_b32_e32 v1, 0
	v_mov_b32_e32 v21, 0
	v_addc_co_u32_e32 v62, vcc, 0, v4, vcc
	s_mov_b64 s[6:7], 0
	v_mov_b32_e32 v3, s10
	v_mov_b32_e32 v9, 0
	buffer_store_dword v1, off, s[40:43], 0 offset:152 ; 4-byte Folded Spill
	v_mov_b32_e32 v1, 0
	buffer_store_dword v25, off, s[40:43], 0 offset:196 ; 4-byte Folded Spill
	buffer_store_dword v3, off, s[40:43], 0 offset:164 ; 4-byte Folded Spill
	;; [unrolled: 1-line block ×3, first 2 shown]
	s_branch .LBB51_30
.LBB51_29:                              ;   in Loop: Header=BB51_30 Depth=1
	s_or_b64 exec, exec, s[10:11]
	s_waitcnt lgkmcnt(0)
	v_mul_f32_e32 v9, v1, v9
	v_fmac_f32_e32 v9, v2, v10
	v_fmac_f32_e32 v9, v3, v11
	;; [unrolled: 1-line block ×3, first 2 shown]
	v_mul_f32_e32 v12, v1, v33
	buffer_load_dword v33, off, s[40:43], 0 offset:52 ; 4-byte Folded Reload
	v_mul_f32_e32 v5, v1, v5
	v_fmac_f32_e32 v5, v2, v6
	v_fmac_f32_e32 v5, v3, v7
	v_fmac_f32_e32 v5, v4, v8
	v_mul_f32_e32 v6, v1, v57
	v_fmac_f32_e32 v6, v2, v58
	v_fmac_f32_e32 v6, v3, v59
	v_fmac_f32_e32 v6, v4, v60
	;; [unrolled: 4-line block ×6, first 2 shown]
	v_fmac_f32_e32 v12, v2, v34
	v_fmac_f32_e32 v12, v3, v35
	v_fmac_f32_e32 v12, v4, v36
	v_add_u32_e32 v0, 64, v0
	v_add_u32_e32 v63, 0x100, v63
	s_waitcnt vmcnt(0)
	v_add_f32_e32 v33, v33, v9
	buffer_load_dword v9, off, s[40:43], 0 offset:68 ; 4-byte Folded Reload
	s_waitcnt vmcnt(0)
	v_add_f32_e32 v9, v9, v5
	buffer_load_dword v5, off, s[40:43], 0 offset:84 ; 4-byte Folded Reload
	s_nop 0
	buffer_store_dword v9, off, s[40:43], 0 offset:68 ; 4-byte Folded Spill
	buffer_load_dword v9, off, s[40:43], 0 offset:160 ; 4-byte Folded Reload
	s_waitcnt vmcnt(2)
	v_add_f32_e32 v5, v5, v6
	buffer_store_dword v5, off, s[40:43], 0 offset:84 ; 4-byte Folded Spill
	buffer_load_dword v5, off, s[40:43], 0 offset:100 ; 4-byte Folded Reload
	s_nop 0
	buffer_load_dword v6, off, s[40:43], 0 offset:132 ; 4-byte Folded Reload
	s_waitcnt vmcnt(1)
	v_add_f32_e32 v5, v5, v7
	buffer_store_dword v5, off, s[40:43], 0 offset:100 ; 4-byte Folded Spill
	buffer_load_dword v5, off, s[40:43], 0 offset:116 ; 4-byte Folded Reload
	s_waitcnt vmcnt(0)
	v_add_f32_e32 v5, v5, v8
	buffer_store_dword v5, off, s[40:43], 0 offset:116 ; 4-byte Folded Spill
	;; [unrolled: 4-line block ×5, first 2 shown]
	v_mul_f32_e32 v5, v1, v29
	v_fmac_f32_e32 v5, v2, v30
	v_fmac_f32_e32 v5, v3, v31
	;; [unrolled: 1-line block ×3, first 2 shown]
	v_add_f32_e32 v9, v9, v5
	v_mul_f32_e32 v5, v1, v25
	v_fmac_f32_e32 v5, v2, v26
	v_fmac_f32_e32 v5, v3, v27
	v_fmac_f32_e32 v5, v4, v28
	v_add_f32_e32 v6, v6, v5
	buffer_store_dword v33, off, s[40:43], 0 offset:52 ; 4-byte Folded Spill
	buffer_store_dword v6, off, s[40:43], 0 offset:132 ; 4-byte Folded Spill
	buffer_load_dword v5, off, s[40:43], 0 offset:32 ; 4-byte Folded Reload
	s_nop 0
	buffer_load_dword v6, off, s[40:43], 0 offset:36 ; 4-byte Folded Reload
	buffer_load_dword v7, off, s[40:43], 0 offset:40 ; 4-byte Folded Reload
	;; [unrolled: 1-line block ×3, first 2 shown]
	s_waitcnt vmcnt(3)
	v_mul_f32_e32 v5, v1, v5
	s_waitcnt vmcnt(2)
	v_fmac_f32_e32 v5, v2, v6
	buffer_load_dword v6, off, s[40:43], 0 offset:136 ; 4-byte Folded Reload
	s_waitcnt vmcnt(2)
	v_fmac_f32_e32 v5, v3, v7
	s_waitcnt vmcnt(1)
	v_fmac_f32_e32 v5, v4, v8
	s_waitcnt vmcnt(0)
	v_add_f32_e32 v6, v6, v5
	buffer_store_dword v6, off, s[40:43], 0 offset:136 ; 4-byte Folded Spill
	buffer_load_dword v6, off, s[40:43], 0 offset:140 ; 4-byte Folded Reload
	v_mul_f32_e32 v5, v1, v17
	v_fmac_f32_e32 v5, v2, v18
	v_fmac_f32_e32 v5, v3, v19
	;; [unrolled: 1-line block ×3, first 2 shown]
	s_waitcnt vmcnt(0)
	v_add_f32_e32 v6, v6, v5
	buffer_store_dword v6, off, s[40:43], 0 offset:140 ; 4-byte Folded Spill
	buffer_load_dword v6, off, s[40:43], 0 offset:144 ; 4-byte Folded Reload
	v_mul_f32_e32 v5, v1, v13
	v_fmac_f32_e32 v5, v2, v14
	v_fmac_f32_e32 v5, v3, v15
	;; [unrolled: 1-line block ×3, first 2 shown]
	s_waitcnt vmcnt(0)
	v_add_f32_e32 v6, v6, v5
	buffer_store_dword v6, off, s[40:43], 0 offset:144 ; 4-byte Folded Spill
	buffer_load_dword v5, off, s[40:43], 0 offset:16 ; 4-byte Folded Reload
	s_nop 0
	buffer_load_dword v6, off, s[40:43], 0 offset:20 ; 4-byte Folded Reload
	buffer_load_dword v7, off, s[40:43], 0 offset:24 ; 4-byte Folded Reload
	;; [unrolled: 1-line block ×3, first 2 shown]
	s_waitcnt vmcnt(3)
	v_mul_f32_e32 v5, v1, v5
	s_waitcnt vmcnt(2)
	v_fmac_f32_e32 v5, v2, v6
	buffer_load_dword v6, off, s[40:43], 0 offset:152 ; 4-byte Folded Reload
	s_waitcnt vmcnt(2)
	v_fmac_f32_e32 v5, v3, v7
	s_waitcnt vmcnt(1)
	v_fmac_f32_e32 v5, v4, v8
	s_waitcnt vmcnt(0)
	v_add_f32_e32 v6, v6, v5
	buffer_store_dword v6, off, s[40:43], 0 offset:152 ; 4-byte Folded Spill
	buffer_load_dword v5, off, s[40:43], 0  ; 4-byte Folded Reload
	s_nop 0
	buffer_load_dword v6, off, s[40:43], 0 offset:4 ; 4-byte Folded Reload
	buffer_load_dword v7, off, s[40:43], 0 offset:8 ; 4-byte Folded Reload
	;; [unrolled: 1-line block ×5, first 2 shown]
	s_waitcnt vmcnt(5)
	v_mul_f32_e32 v5, v1, v5
	s_waitcnt vmcnt(4)
	v_fmac_f32_e32 v5, v2, v6
	buffer_load_dword v6, off, s[40:43], 0 offset:148 ; 4-byte Folded Reload
	v_mul_f32_e32 v1, v1, v53
	v_fmac_f32_e32 v1, v2, v54
	s_waitcnt vmcnt(4)
	v_fmac_f32_e32 v5, v3, v7
	v_fmac_f32_e32 v1, v3, v55
	s_waitcnt vmcnt(3)
	v_fmac_f32_e32 v5, v4, v8
	v_fmac_f32_e32 v1, v4, v56
	s_waitcnt vmcnt(1)
	v_add_u32_e32 v10, 2, v10
	v_add_f32_e32 v21, v21, v1
	v_cmp_le_i32_e32 vcc, s19, v10
	s_or_b64 s[6:7], vcc, s[6:7]
	v_add_co_u32_e32 v61, vcc, 8, v61
	v_addc_co_u32_e32 v62, vcc, 0, v62, vcc
	s_waitcnt vmcnt(0)
	v_add_f32_e32 v6, v6, v5
	buffer_store_dword v6, off, s[40:43], 0 offset:148 ; 4-byte Folded Spill
	s_andn2_b64 exec, exec, s[6:7]
	s_cbranch_execz .LBB51_62
.LBB51_30:                              ; =>This Inner Loop Header: Depth=1
	buffer_store_dword v9, off, s[40:43], 0 offset:160 ; 4-byte Folded Spill
	buffer_store_dword v21, off, s[40:43], 0 offset:156 ; 4-byte Folded Spill
	global_load_dword v1, v[61:62], off
	v_mov_b32_e32 v5, v10
	v_add_u32_e32 v23, -2, v0
	v_add_u32_e32 v22, -1, v0
	s_waitcnt vmcnt(0)
	v_mad_i64_i32 v[1:2], s[2:3], v1, s13, 0
	v_cmp_eq_u32_e64 s[2:3], s15, v5
	v_lshlrev_b64 v[1:2], 2, v[1:2]
	v_add_co_u32_e32 v53, vcc, s14, v1
	buffer_load_dword v1, off, s[40:43], 0 offset:164 ; 4-byte Folded Reload
	s_waitcnt vmcnt(0)
	v_addc_co_u32_e32 v54, vcc, v1, v2, vcc
	buffer_load_dword v1, off, s[40:43], 0 offset:168 ; 4-byte Folded Reload
	s_waitcnt vmcnt(0)
	v_add_co_u32_e32 v9, vcc, v53, v1
	v_addc_co_u32_e32 v10, vcc, 0, v54, vcc
	global_load_dwordx4 v[1:4], v[9:10], off
	s_waitcnt vmcnt(0)
	buffer_store_dword v1, off, s[40:43], 0 ; 4-byte Folded Spill
	s_nop 0
	buffer_store_dword v2, off, s[40:43], 0 offset:4 ; 4-byte Folded Spill
	buffer_store_dword v3, off, s[40:43], 0 offset:8 ; 4-byte Folded Spill
	buffer_store_dword v4, off, s[40:43], 0 offset:12 ; 4-byte Folded Spill
	ds_read_b128 v[1:4], v63
	buffer_store_dword v5, off, s[40:43], 0 offset:48 ; 4-byte Folded Spill
	s_and_saveexec_b64 s[10:11], s[2:3]
	s_cbranch_execz .LBB51_32
; %bb.31:                               ;   in Loop: Header=BB51_30 Depth=1
	v_add_u32_e32 v5, -3, v0
	v_cmp_gt_i32_e32 vcc, s17, v5
	buffer_load_dword v5, off, s[40:43], 0  ; 4-byte Folded Reload
	buffer_load_dword v6, off, s[40:43], 0 offset:4 ; 4-byte Folded Reload
	buffer_load_dword v7, off, s[40:43], 0 offset:8 ; 4-byte Folded Reload
	;; [unrolled: 1-line block ×3, first 2 shown]
	s_waitcnt vmcnt(3)
	v_cndmask_b32_e32 v5, 0, v5, vcc
	v_cmp_gt_i32_e32 vcc, s17, v23
	s_waitcnt vmcnt(2)
	v_cndmask_b32_e32 v6, 0, v6, vcc
	v_cmp_gt_i32_e32 vcc, s17, v22
	;; [unrolled: 3-line block ×3, first 2 shown]
	s_waitcnt vmcnt(0)
	v_cndmask_b32_e32 v8, 0, v8, vcc
	buffer_store_dword v5, off, s[40:43], 0 ; 4-byte Folded Spill
	s_nop 0
	buffer_store_dword v6, off, s[40:43], 0 offset:4 ; 4-byte Folded Spill
	buffer_store_dword v7, off, s[40:43], 0 offset:8 ; 4-byte Folded Spill
	;; [unrolled: 1-line block ×3, first 2 shown]
.LBB51_32:                              ;   in Loop: Header=BB51_30 Depth=1
	s_or_b64 exec, exec, s[10:11]
	global_load_dwordx4 v[5:8], v[9:10], off offset:1024
	s_waitcnt vmcnt(0)
	buffer_store_dword v5, off, s[40:43], 0 offset:16 ; 4-byte Folded Spill
	s_nop 0
	buffer_store_dword v6, off, s[40:43], 0 offset:20 ; 4-byte Folded Spill
	buffer_store_dword v7, off, s[40:43], 0 offset:24 ; 4-byte Folded Spill
	;; [unrolled: 1-line block ×3, first 2 shown]
	s_and_saveexec_b64 s[10:11], s[2:3]
	s_cbranch_execnz .LBB51_60
; %bb.33:                               ;   in Loop: Header=BB51_30 Depth=1
	s_or_b64 exec, exec, s[10:11]
	global_load_dwordx4 v[13:16], v[9:10], off offset:2048
	s_and_saveexec_b64 s[10:11], s[2:3]
	s_cbranch_execnz .LBB51_61
.LBB51_34:                              ;   in Loop: Header=BB51_30 Depth=1
	s_or_b64 exec, exec, s[10:11]
	global_load_dwordx4 v[17:20], v[9:10], off offset:3072
	s_and_saveexec_b64 s[10:11], s[2:3]
	s_cbranch_execz .LBB51_36
.LBB51_35:                              ;   in Loop: Header=BB51_30 Depth=1
	v_add_u32_e32 v5, -3, v0
	v_cmp_gt_i32_e32 vcc, s17, v5
	s_waitcnt vmcnt(0)
	v_cndmask_b32_e32 v17, 0, v17, vcc
	v_cmp_gt_i32_e32 vcc, s17, v23
	v_cndmask_b32_e32 v18, 0, v18, vcc
	v_cmp_gt_i32_e32 vcc, s17, v22
	;; [unrolled: 2-line block ×3, first 2 shown]
	v_cndmask_b32_e32 v20, 0, v20, vcc
.LBB51_36:                              ;   in Loop: Header=BB51_30 Depth=1
	s_or_b64 exec, exec, s[10:11]
	v_add_co_u32_e32 v5, vcc, 0x1000, v9
	v_addc_co_u32_e32 v6, vcc, 0, v10, vcc
	global_load_dwordx4 v[5:8], v[5:6], off
	s_waitcnt vmcnt(0)
	buffer_store_dword v5, off, s[40:43], 0 offset:32 ; 4-byte Folded Spill
	s_nop 0
	buffer_store_dword v6, off, s[40:43], 0 offset:36 ; 4-byte Folded Spill
	buffer_store_dword v7, off, s[40:43], 0 offset:40 ; 4-byte Folded Spill
	;; [unrolled: 1-line block ×3, first 2 shown]
	s_and_saveexec_b64 s[10:11], s[2:3]
	s_cbranch_execz .LBB51_38
; %bb.37:                               ;   in Loop: Header=BB51_30 Depth=1
	v_add_u32_e32 v5, -3, v0
	v_cmp_gt_i32_e32 vcc, s17, v5
	buffer_load_dword v5, off, s[40:43], 0 offset:32 ; 4-byte Folded Reload
	buffer_load_dword v6, off, s[40:43], 0 offset:36 ; 4-byte Folded Reload
	;; [unrolled: 1-line block ×4, first 2 shown]
	s_waitcnt vmcnt(3)
	v_cndmask_b32_e32 v5, 0, v5, vcc
	v_cmp_gt_i32_e32 vcc, s17, v23
	s_waitcnt vmcnt(2)
	v_cndmask_b32_e32 v6, 0, v6, vcc
	v_cmp_gt_i32_e32 vcc, s17, v22
	;; [unrolled: 3-line block ×3, first 2 shown]
	s_waitcnt vmcnt(0)
	v_cndmask_b32_e32 v8, 0, v8, vcc
	buffer_store_dword v5, off, s[40:43], 0 offset:32 ; 4-byte Folded Spill
	s_nop 0
	buffer_store_dword v6, off, s[40:43], 0 offset:36 ; 4-byte Folded Spill
	buffer_store_dword v7, off, s[40:43], 0 offset:40 ; 4-byte Folded Spill
	;; [unrolled: 1-line block ×3, first 2 shown]
.LBB51_38:                              ;   in Loop: Header=BB51_30 Depth=1
	s_or_b64 exec, exec, s[10:11]
	v_add_co_u32_e32 v5, vcc, 0x1000, v9
	v_addc_co_u32_e32 v6, vcc, 0, v10, vcc
	global_load_dwordx4 v[25:28], v[5:6], off offset:1024
	s_and_saveexec_b64 s[10:11], s[2:3]
	s_cbranch_execz .LBB51_40
; %bb.39:                               ;   in Loop: Header=BB51_30 Depth=1
	v_add_u32_e32 v5, -3, v0
	v_cmp_gt_i32_e32 vcc, s17, v5
	s_waitcnt vmcnt(0)
	v_cndmask_b32_e32 v25, 0, v25, vcc
	v_cmp_gt_i32_e32 vcc, s17, v23
	v_cndmask_b32_e32 v26, 0, v26, vcc
	v_cmp_gt_i32_e32 vcc, s17, v22
	v_cndmask_b32_e32 v27, 0, v27, vcc
	v_cmp_gt_i32_e32 vcc, s17, v0
	v_cndmask_b32_e32 v28, 0, v28, vcc
.LBB51_40:                              ;   in Loop: Header=BB51_30 Depth=1
	s_or_b64 exec, exec, s[10:11]
	v_add_co_u32_e32 v5, vcc, 0x1000, v9
	v_addc_co_u32_e32 v6, vcc, 0, v10, vcc
	global_load_dwordx4 v[29:32], v[5:6], off offset:2048
	s_and_saveexec_b64 s[10:11], s[2:3]
	s_cbranch_execz .LBB51_42
; %bb.41:                               ;   in Loop: Header=BB51_30 Depth=1
	v_add_u32_e32 v5, -3, v0
	v_cmp_gt_i32_e32 vcc, s17, v5
	s_waitcnt vmcnt(0)
	v_cndmask_b32_e32 v29, 0, v29, vcc
	v_cmp_gt_i32_e32 vcc, s17, v23
	v_cndmask_b32_e32 v30, 0, v30, vcc
	v_cmp_gt_i32_e32 vcc, s17, v22
	v_cndmask_b32_e32 v31, 0, v31, vcc
	v_cmp_gt_i32_e32 vcc, s17, v0
	v_cndmask_b32_e32 v32, 0, v32, vcc
.LBB51_42:                              ;   in Loop: Header=BB51_30 Depth=1
	;; [unrolled: 18-line block ×3, first 2 shown]
	s_or_b64 exec, exec, s[10:11]
	v_add_co_u32_e32 v5, vcc, 0x2000, v9
	v_addc_co_u32_e32 v6, vcc, 0, v10, vcc
	global_load_dwordx4 v[37:40], v[5:6], off
	s_and_saveexec_b64 s[10:11], s[2:3]
	s_cbranch_execz .LBB51_46
; %bb.45:                               ;   in Loop: Header=BB51_30 Depth=1
	v_add_u32_e32 v5, -3, v0
	v_cmp_gt_i32_e32 vcc, s17, v5
	s_waitcnt vmcnt(0)
	v_cndmask_b32_e32 v37, 0, v37, vcc
	v_cmp_gt_i32_e32 vcc, s17, v23
	v_cndmask_b32_e32 v38, 0, v38, vcc
	v_cmp_gt_i32_e32 vcc, s17, v22
	v_cndmask_b32_e32 v39, 0, v39, vcc
	v_cmp_gt_i32_e32 vcc, s17, v0
	v_cndmask_b32_e32 v40, 0, v40, vcc
.LBB51_46:                              ;   in Loop: Header=BB51_30 Depth=1
	s_or_b64 exec, exec, s[10:11]
	v_add_co_u32_e32 v5, vcc, 0x2000, v9
	v_addc_co_u32_e32 v6, vcc, 0, v10, vcc
	global_load_dwordx4 v[41:44], v[5:6], off offset:1024
	s_and_saveexec_b64 s[10:11], s[2:3]
	s_cbranch_execz .LBB51_48
; %bb.47:                               ;   in Loop: Header=BB51_30 Depth=1
	v_add_u32_e32 v5, -3, v0
	v_cmp_gt_i32_e32 vcc, s17, v5
	s_waitcnt vmcnt(0)
	v_cndmask_b32_e32 v41, 0, v41, vcc
	v_cmp_gt_i32_e32 vcc, s17, v23
	v_cndmask_b32_e32 v42, 0, v42, vcc
	v_cmp_gt_i32_e32 vcc, s17, v22
	v_cndmask_b32_e32 v43, 0, v43, vcc
	v_cmp_gt_i32_e32 vcc, s17, v0
	v_cndmask_b32_e32 v44, 0, v44, vcc
.LBB51_48:                              ;   in Loop: Header=BB51_30 Depth=1
	s_or_b64 exec, exec, s[10:11]
	v_add_co_u32_e32 v5, vcc, 0x2000, v9
	v_addc_co_u32_e32 v6, vcc, 0, v10, vcc
	global_load_dwordx4 v[45:48], v[5:6], off offset:2048
	;; [unrolled: 18-line block ×3, first 2 shown]
	s_and_saveexec_b64 s[10:11], s[2:3]
	s_cbranch_execz .LBB51_52
; %bb.51:                               ;   in Loop: Header=BB51_30 Depth=1
	v_add_u32_e32 v5, -3, v0
	v_cmp_gt_i32_e32 vcc, s17, v5
	s_waitcnt vmcnt(0)
	v_cndmask_b32_e32 v49, 0, v49, vcc
	v_cmp_gt_i32_e32 vcc, s17, v23
	v_cndmask_b32_e32 v50, 0, v50, vcc
	v_cmp_gt_i32_e32 vcc, s17, v22
	v_cndmask_b32_e32 v51, 0, v51, vcc
	v_cmp_gt_i32_e32 vcc, s17, v0
	v_cndmask_b32_e32 v52, 0, v52, vcc
.LBB51_52:                              ;   in Loop: Header=BB51_30 Depth=1
	s_or_b64 exec, exec, s[10:11]
	v_add_co_u32_e32 v5, vcc, 0x3000, v9
	v_addc_co_u32_e32 v6, vcc, 0, v10, vcc
	global_load_dwordx4 v[57:60], v[5:6], off
	s_and_saveexec_b64 s[10:11], s[2:3]
	s_cbranch_execz .LBB51_54
; %bb.53:                               ;   in Loop: Header=BB51_30 Depth=1
	v_add_u32_e32 v5, -3, v0
	v_cmp_gt_i32_e32 vcc, s17, v5
	s_waitcnt vmcnt(0)
	v_cndmask_b32_e32 v57, 0, v57, vcc
	v_cmp_gt_i32_e32 vcc, s17, v23
	v_cndmask_b32_e32 v58, 0, v58, vcc
	v_cmp_gt_i32_e32 vcc, s17, v22
	;; [unrolled: 2-line block ×3, first 2 shown]
	v_cndmask_b32_e32 v60, 0, v60, vcc
.LBB51_54:                              ;   in Loop: Header=BB51_30 Depth=1
	s_or_b64 exec, exec, s[10:11]
	v_add_co_u32_e32 v5, vcc, 0x3000, v9
	v_addc_co_u32_e32 v6, vcc, 0, v10, vcc
	global_load_dwordx4 v[5:8], v[5:6], off offset:1024
	s_and_saveexec_b64 s[10:11], s[2:3]
	s_cbranch_execz .LBB51_56
; %bb.55:                               ;   in Loop: Header=BB51_30 Depth=1
	v_add_u32_e32 v11, -3, v0
	v_cmp_gt_i32_e32 vcc, s17, v11
	s_waitcnt vmcnt(0)
	v_cndmask_b32_e32 v5, 0, v5, vcc
	v_cmp_gt_i32_e32 vcc, s17, v23
	v_cndmask_b32_e32 v6, 0, v6, vcc
	v_cmp_gt_i32_e32 vcc, s17, v22
	;; [unrolled: 2-line block ×3, first 2 shown]
	v_cndmask_b32_e32 v8, 0, v8, vcc
.LBB51_56:                              ;   in Loop: Header=BB51_30 Depth=1
	s_or_b64 exec, exec, s[10:11]
	v_add_co_u32_e32 v9, vcc, 0x3000, v9
	v_addc_co_u32_e32 v10, vcc, 0, v10, vcc
	global_load_dwordx4 v[9:12], v[9:10], off offset:2048
	s_and_saveexec_b64 s[10:11], s[2:3]
	s_cbranch_execz .LBB51_58
; %bb.57:                               ;   in Loop: Header=BB51_30 Depth=1
	v_add_u32_e32 v55, -3, v0
	v_cmp_gt_i32_e32 vcc, s17, v55
	s_waitcnt vmcnt(0)
	v_cndmask_b32_e32 v9, 0, v9, vcc
	v_cmp_gt_i32_e32 vcc, s17, v23
	v_cndmask_b32_e32 v10, 0, v10, vcc
	v_cmp_gt_i32_e32 vcc, s17, v22
	v_cndmask_b32_e32 v11, 0, v11, vcc
	v_cmp_gt_i32_e32 vcc, s17, v0
	v_cndmask_b32_e32 v12, 0, v12, vcc
.LBB51_58:                              ;   in Loop: Header=BB51_30 Depth=1
	s_or_b64 exec, exec, s[10:11]
	buffer_load_dword v55, off, s[40:43], 0 offset:172 ; 4-byte Folded Reload
	s_waitcnt vmcnt(0)
	v_add_co_u32_e32 v53, vcc, v53, v55
	v_addc_co_u32_e32 v54, vcc, 0, v54, vcc
	global_load_dwordx4 v[53:56], v[53:54], off
	s_and_saveexec_b64 s[10:11], s[2:3]
	s_cbranch_execz .LBB51_29
; %bb.59:                               ;   in Loop: Header=BB51_30 Depth=1
	v_mov_b32_e32 v21, v20
	v_mov_b32_e32 v20, v19
	;; [unrolled: 1-line block ×9, first 2 shown]
	v_add_u32_e32 v63, -3, v0
	v_cmp_gt_i32_e32 vcc, s17, v63
	s_waitcnt vmcnt(0)
	v_cndmask_b32_e32 v53, 0, v53, vcc
	v_cmp_gt_i32_e32 vcc, s17, v23
	v_mov_b32_e32 v63, v13
	v_mov_b32_e32 v13, v14
	v_cndmask_b32_e32 v54, 0, v54, vcc
	v_cmp_gt_i32_e32 vcc, s17, v22
	v_mov_b32_e32 v14, v15
	v_mov_b32_e32 v15, v16
	;; [unrolled: 1-line block ×4, first 2 shown]
	v_cndmask_b32_e32 v55, 0, v55, vcc
	v_cmp_gt_i32_e32 vcc, s17, v0
	v_mov_b32_e32 v18, v19
	v_mov_b32_e32 v19, v20
	;; [unrolled: 1-line block ×3, first 2 shown]
	v_cndmask_b32_e32 v56, 0, v56, vcc
	s_branch .LBB51_29
.LBB51_60:                              ;   in Loop: Header=BB51_30 Depth=1
	v_add_u32_e32 v5, -3, v0
	v_cmp_gt_i32_e32 vcc, s17, v5
	buffer_load_dword v5, off, s[40:43], 0 offset:16 ; 4-byte Folded Reload
	buffer_load_dword v6, off, s[40:43], 0 offset:20 ; 4-byte Folded Reload
	;; [unrolled: 1-line block ×4, first 2 shown]
	s_waitcnt vmcnt(3)
	v_cndmask_b32_e32 v5, 0, v5, vcc
	v_cmp_gt_i32_e32 vcc, s17, v23
	s_waitcnt vmcnt(2)
	v_cndmask_b32_e32 v6, 0, v6, vcc
	v_cmp_gt_i32_e32 vcc, s17, v22
	;; [unrolled: 3-line block ×3, first 2 shown]
	s_waitcnt vmcnt(0)
	v_cndmask_b32_e32 v8, 0, v8, vcc
	buffer_store_dword v5, off, s[40:43], 0 offset:16 ; 4-byte Folded Spill
	s_nop 0
	buffer_store_dword v6, off, s[40:43], 0 offset:20 ; 4-byte Folded Spill
	buffer_store_dword v7, off, s[40:43], 0 offset:24 ; 4-byte Folded Spill
	;; [unrolled: 1-line block ×3, first 2 shown]
	s_or_b64 exec, exec, s[10:11]
	global_load_dwordx4 v[13:16], v[9:10], off offset:2048
	s_and_saveexec_b64 s[10:11], s[2:3]
	s_cbranch_execz .LBB51_34
.LBB51_61:                              ;   in Loop: Header=BB51_30 Depth=1
	v_add_u32_e32 v5, -3, v0
	v_cmp_gt_i32_e32 vcc, s17, v5
	s_waitcnt vmcnt(0)
	v_cndmask_b32_e32 v13, 0, v13, vcc
	v_cmp_gt_i32_e32 vcc, s17, v23
	v_cndmask_b32_e32 v14, 0, v14, vcc
	v_cmp_gt_i32_e32 vcc, s17, v22
	v_cndmask_b32_e32 v15, 0, v15, vcc
	v_cmp_gt_i32_e32 vcc, s17, v0
	v_cndmask_b32_e32 v16, 0, v16, vcc
	s_or_b64 exec, exec, s[10:11]
	global_load_dwordx4 v[17:20], v[9:10], off offset:3072
	s_and_saveexec_b64 s[10:11], s[2:3]
	s_cbranch_execnz .LBB51_35
	s_branch .LBB51_36
.LBB51_62:
	s_or_b64 exec, exec, s[6:7]
	buffer_load_dword v22, off, s[40:43], 0 offset:176 ; 4-byte Folded Reload
	buffer_load_dword v23, off, s[40:43], 0 offset:180 ; 4-byte Folded Reload
	;; [unrolled: 1-line block ×20, first 2 shown]
.LBB51_63:
	s_or_b64 exec, exec, s[4:5]
	s_waitcnt vmcnt(0)
	ds_bpermute_b32 v1, v17, v6
	ds_bpermute_b32 v0, v17, v4
	;; [unrolled: 1-line block ×5, first 2 shown]
	s_waitcnt lgkmcnt(4)
	v_add_f32_e32 v1, v6, v1
	s_waitcnt lgkmcnt(3)
	v_add_f32_e32 v0, v4, v0
	;; [unrolled: 2-line block ×3, first 2 shown]
	ds_bpermute_b32 v5, v20, v1
	ds_bpermute_b32 v4, v20, v0
	;; [unrolled: 1-line block ×3, first 2 shown]
	s_waitcnt lgkmcnt(4)
	v_add_f32_e32 v3, v28, v3
	v_mov_b32_e32 v11, v9
	s_waitcnt lgkmcnt(2)
	v_add_f32_e32 v1, v1, v5
	s_waitcnt lgkmcnt(1)
	v_add_f32_e32 v0, v0, v4
	ds_bpermute_b32 v5, v24, v1
	ds_bpermute_b32 v4, v24, v0
	s_waitcnt lgkmcnt(2)
	v_add_f32_e32 v2, v2, v6
	ds_bpermute_b32 v6, v24, v2
	s_waitcnt lgkmcnt(0)
	v_add_f32_e32 v1, v1, v5
	v_add_f32_e32 v5, v8, v7
	;; [unrolled: 1-line block ×3, first 2 shown]
	ds_bpermute_b32 v4, v20, v3
	ds_bpermute_b32 v7, v20, v5
	v_add_f32_e32 v2, v2, v6
	s_waitcnt lgkmcnt(0)
	s_barrier
	v_add_f32_e32 v3, v3, v4
	v_add_f32_e32 v5, v5, v7
	ds_bpermute_b32 v4, v17, v27
	ds_bpermute_b32 v6, v24, v3
	;; [unrolled: 1-line block ×4, first 2 shown]
	s_waitcnt lgkmcnt(3)
	v_add_f32_e32 v9, v27, v4
	s_waitcnt lgkmcnt(2)
	v_add_f32_e32 v3, v3, v6
	;; [unrolled: 2-line block ×4, first 2 shown]
	ds_bpermute_b32 v8, v17, v13
	ds_bpermute_b32 v10, v20, v9
	;; [unrolled: 1-line block ×3, first 2 shown]
	s_waitcnt lgkmcnt(2)
	v_add_f32_e32 v8, v13, v8
	s_waitcnt lgkmcnt(1)
	v_add_f32_e32 v5, v9, v10
	s_waitcnt lgkmcnt(0)
	v_add_f32_e32 v6, v6, v7
	ds_bpermute_b32 v7, v17, v12
	ds_bpermute_b32 v11, v20, v8
	;; [unrolled: 1-line block ×4, first 2 shown]
	s_waitcnt lgkmcnt(3)
	v_add_f32_e32 v7, v12, v7
	s_waitcnt lgkmcnt(2)
	v_add_f32_e32 v8, v8, v11
	;; [unrolled: 2-line block ×3, first 2 shown]
	ds_bpermute_b32 v9, v20, v7
	s_waitcnt lgkmcnt(1)
	v_add_f32_e32 v6, v6, v10
	ds_bpermute_b32 v10, v17, v14
	ds_bpermute_b32 v11, v24, v8
	;; [unrolled: 1-line block ×3, first 2 shown]
	s_waitcnt lgkmcnt(3)
	v_add_f32_e32 v9, v7, v9
	ds_bpermute_b32 v13, v24, v9
	s_waitcnt lgkmcnt(3)
	v_add_f32_e32 v10, v14, v10
	s_waitcnt lgkmcnt(2)
	v_add_f32_e32 v7, v8, v11
	;; [unrolled: 2-line block ×3, first 2 shown]
	ds_bpermute_b32 v14, v20, v10
	ds_bpermute_b32 v12, v20, v11
	s_waitcnt lgkmcnt(2)
	v_add_f32_e32 v8, v9, v13
	s_waitcnt lgkmcnt(1)
	v_add_f32_e32 v9, v10, v14
	ds_bpermute_b32 v10, v17, v15
	s_waitcnt lgkmcnt(1)
	v_add_f32_e32 v11, v11, v12
	ds_bpermute_b32 v12, v17, v26
	ds_bpermute_b32 v13, v24, v9
	;; [unrolled: 1-line block ×3, first 2 shown]
	s_waitcnt lgkmcnt(3)
	v_add_f32_e32 v15, v15, v10
	ds_bpermute_b32 v16, v20, v15
	s_waitcnt lgkmcnt(3)
	v_add_f32_e32 v12, v26, v12
	s_waitcnt lgkmcnt(2)
	v_add_f32_e32 v9, v9, v13
	ds_bpermute_b32 v13, v20, v12
	s_waitcnt lgkmcnt(2)
	v_add_f32_e32 v10, v11, v14
	s_waitcnt lgkmcnt(1)
	v_add_f32_e32 v11, v15, v16
	ds_bpermute_b32 v15, v17, v18
	ds_bpermute_b32 v14, v24, v11
	s_waitcnt lgkmcnt(2)
	v_add_f32_e32 v12, v12, v13
	ds_bpermute_b32 v13, v17, v19
	ds_bpermute_b32 v17, v17, v21
	;; [unrolled: 4-line block ×3, first 2 shown]
	s_waitcnt lgkmcnt(3)
	v_add_f32_e32 v13, v19, v13
	s_waitcnt lgkmcnt(2)
	v_add_f32_e32 v17, v21, v17
	ds_bpermute_b32 v19, v20, v13
	ds_bpermute_b32 v20, v20, v17
	s_waitcnt lgkmcnt(3)
	v_add_f32_e32 v15, v15, v18
	ds_bpermute_b32 v18, v24, v15
	v_add_f32_e32 v11, v11, v14
	s_waitcnt lgkmcnt(2)
	v_add_f32_e32 v19, v13, v19
	s_waitcnt lgkmcnt(1)
	v_add_f32_e32 v17, v17, v20
	ds_bpermute_b32 v20, v24, v17
	ds_bpermute_b32 v21, v24, v19
	s_waitcnt lgkmcnt(2)
	v_add_f32_e32 v13, v15, v18
	v_add_f32_e32 v12, v12, v16
	s_waitcnt lgkmcnt(1)
	v_add_f32_e32 v15, v17, v20
	v_and_b32_e32 v17, 0x3c7, v22
	s_waitcnt lgkmcnt(0)
	v_add_f32_e32 v14, v19, v21
	v_cmp_eq_u32_e32 vcc, 64, v17
	s_and_saveexec_b64 s[2:3], vcc
	s_cbranch_execz .LBB51_65
; %bb.64:
	v_lshrrev_b32_e32 v16, 1, v23
	v_add_u32_e32 v16, 0x210, v16
	ds_write2_b32 v16, v0, v1 offset1:8
	ds_write2_b32 v16, v2, v3 offset0:16 offset1:24
	ds_write2_b32 v16, v4, v5 offset0:32 offset1:40
	;; [unrolled: 1-line block ×7, first 2 shown]
.LBB51_65:
	s_or_b64 exec, exec, s[2:3]
	v_lshrrev_b32_e32 v16, 3, v22
	s_waitcnt lgkmcnt(0)
	s_barrier
	s_and_saveexec_b64 s[2:3], s[0:1]
	s_cbranch_execz .LBB51_84
; %bb.66:
	v_mov_b32_e32 v18, 0x210
	v_cmp_eq_u32_e32 vcc, 0, v25
	v_lshl_add_u32 v18, v16, 2, v18
	s_and_saveexec_b64 s[0:1], vcc
	s_cbranch_execnz .LBB51_87
; %bb.67:
	s_or_b64 exec, exec, s[0:1]
	s_and_saveexec_b64 s[0:1], vcc
	s_cbranch_execnz .LBB51_88
.LBB51_68:
	s_or_b64 exec, exec, s[0:1]
	s_and_saveexec_b64 s[0:1], vcc
	s_cbranch_execnz .LBB51_89
.LBB51_69:
	s_or_b64 exec, exec, s[0:1]
	s_and_saveexec_b64 s[0:1], vcc
	s_cbranch_execnz .LBB51_90
.LBB51_70:
	s_or_b64 exec, exec, s[0:1]
	s_and_saveexec_b64 s[0:1], vcc
	s_cbranch_execnz .LBB51_91
.LBB51_71:
	s_or_b64 exec, exec, s[0:1]
	s_and_saveexec_b64 s[0:1], vcc
	s_cbranch_execnz .LBB51_92
.LBB51_72:
	s_or_b64 exec, exec, s[0:1]
	s_and_saveexec_b64 s[0:1], vcc
	s_cbranch_execnz .LBB51_93
.LBB51_73:
	s_or_b64 exec, exec, s[0:1]
	s_and_saveexec_b64 s[0:1], vcc
	s_cbranch_execnz .LBB51_94
.LBB51_74:
	s_or_b64 exec, exec, s[0:1]
	s_and_saveexec_b64 s[0:1], vcc
	s_cbranch_execnz .LBB51_95
.LBB51_75:
	s_or_b64 exec, exec, s[0:1]
	s_and_saveexec_b64 s[0:1], vcc
	s_cbranch_execnz .LBB51_96
.LBB51_76:
	s_or_b64 exec, exec, s[0:1]
	s_and_saveexec_b64 s[0:1], vcc
	s_cbranch_execnz .LBB51_97
.LBB51_77:
	s_or_b64 exec, exec, s[0:1]
	s_and_saveexec_b64 s[0:1], vcc
	s_cbranch_execnz .LBB51_98
.LBB51_78:
	s_or_b64 exec, exec, s[0:1]
	s_and_saveexec_b64 s[0:1], vcc
	s_cbranch_execnz .LBB51_99
.LBB51_79:
	s_or_b64 exec, exec, s[0:1]
	s_and_saveexec_b64 s[0:1], vcc
	s_cbranch_execnz .LBB51_100
.LBB51_80:
	s_or_b64 exec, exec, s[0:1]
	s_and_saveexec_b64 s[0:1], vcc
	s_cbranch_execnz .LBB51_101
.LBB51_81:
	s_or_b64 exec, exec, s[0:1]
	s_and_saveexec_b64 s[0:1], vcc
	s_cbranch_execz .LBB51_83
.LBB51_82:
	ds_read_b32 v18, v18 offset:480
	s_waitcnt lgkmcnt(0)
	v_add_f32_e32 v15, v15, v18
.LBB51_83:
	s_or_b64 exec, exec, s[0:1]
.LBB51_84:
	s_or_b64 exec, exec, s[2:3]
	v_cmp_eq_u32_e32 vcc, 0, v17
	s_barrier
	s_and_saveexec_b64 s[0:1], vcc
	s_cbranch_execz .LBB51_86
; %bb.85:
	s_mul_i32 s0, s16, s12
	s_mul_i32 s0, s0, s9
	s_lshl_b32 s0, s0, 7
	s_ashr_i32 s1, s0, 31
	s_lshl_b64 s[0:1], s[0:1], 2
	s_add_u32 s2, s20, s0
	s_mul_i32 s0, s12, s18
	s_addc_u32 s3, s21, s1
	s_ashr_i32 s1, s0, 31
	s_lshl_b64 s[0:1], s[0:1], 2
	s_add_u32 s2, s2, s0
	s_addc_u32 s3, s3, s1
	s_lshl_b32 s0, s8, 7
	s_ashr_i32 s1, s0, 31
	s_lshl_b64 s[0:1], s[0:1], 2
	s_add_u32 s0, s2, s0
	s_addc_u32 s1, s3, s1
	v_lshlrev_b32_e32 v16, 2, v16
	global_store_dword v16, v0, s[0:1]
	global_store_dword v16, v1, s[0:1] offset:32
	global_store_dword v16, v2, s[0:1] offset:64
	global_store_dword v16, v3, s[0:1] offset:96
	global_store_dword v16, v4, s[0:1] offset:128
	global_store_dword v16, v5, s[0:1] offset:160
	global_store_dword v16, v6, s[0:1] offset:192
	global_store_dword v16, v7, s[0:1] offset:224
	global_store_dword v16, v8, s[0:1] offset:256
	global_store_dword v16, v9, s[0:1] offset:288
	global_store_dword v16, v10, s[0:1] offset:320
	global_store_dword v16, v11, s[0:1] offset:352
	global_store_dword v16, v12, s[0:1] offset:384
	global_store_dword v16, v13, s[0:1] offset:416
	global_store_dword v16, v14, s[0:1] offset:448
	global_store_dword v16, v15, s[0:1] offset:480
.LBB51_86:
	s_endpgm
.LBB51_87:
	ds_read_b32 v19, v18
	s_waitcnt lgkmcnt(0)
	v_add_f32_e32 v0, v0, v19
	s_or_b64 exec, exec, s[0:1]
	s_and_saveexec_b64 s[0:1], vcc
	s_cbranch_execz .LBB51_68
.LBB51_88:
	ds_read_b32 v19, v18 offset:32
	s_waitcnt lgkmcnt(0)
	v_add_f32_e32 v1, v1, v19
	s_or_b64 exec, exec, s[0:1]
	s_and_saveexec_b64 s[0:1], vcc
	s_cbranch_execz .LBB51_69
.LBB51_89:
	ds_read_b32 v19, v18 offset:64
	s_waitcnt lgkmcnt(0)
	v_add_f32_e32 v2, v2, v19
	s_or_b64 exec, exec, s[0:1]
	s_and_saveexec_b64 s[0:1], vcc
	s_cbranch_execz .LBB51_70
.LBB51_90:
	ds_read_b32 v19, v18 offset:96
	s_waitcnt lgkmcnt(0)
	v_add_f32_e32 v3, v3, v19
	s_or_b64 exec, exec, s[0:1]
	s_and_saveexec_b64 s[0:1], vcc
	s_cbranch_execz .LBB51_71
.LBB51_91:
	ds_read_b32 v19, v18 offset:128
	s_waitcnt lgkmcnt(0)
	v_add_f32_e32 v4, v4, v19
	s_or_b64 exec, exec, s[0:1]
	s_and_saveexec_b64 s[0:1], vcc
	s_cbranch_execz .LBB51_72
.LBB51_92:
	ds_read_b32 v19, v18 offset:160
	s_waitcnt lgkmcnt(0)
	v_add_f32_e32 v5, v5, v19
	s_or_b64 exec, exec, s[0:1]
	s_and_saveexec_b64 s[0:1], vcc
	s_cbranch_execz .LBB51_73
.LBB51_93:
	ds_read_b32 v19, v18 offset:192
	s_waitcnt lgkmcnt(0)
	v_add_f32_e32 v6, v6, v19
	s_or_b64 exec, exec, s[0:1]
	s_and_saveexec_b64 s[0:1], vcc
	s_cbranch_execz .LBB51_74
.LBB51_94:
	ds_read_b32 v19, v18 offset:224
	s_waitcnt lgkmcnt(0)
	v_add_f32_e32 v7, v7, v19
	s_or_b64 exec, exec, s[0:1]
	s_and_saveexec_b64 s[0:1], vcc
	s_cbranch_execz .LBB51_75
.LBB51_95:
	ds_read_b32 v19, v18 offset:256
	s_waitcnt lgkmcnt(0)
	v_add_f32_e32 v8, v8, v19
	s_or_b64 exec, exec, s[0:1]
	s_and_saveexec_b64 s[0:1], vcc
	s_cbranch_execz .LBB51_76
.LBB51_96:
	ds_read_b32 v19, v18 offset:288
	s_waitcnt lgkmcnt(0)
	v_add_f32_e32 v9, v9, v19
	s_or_b64 exec, exec, s[0:1]
	s_and_saveexec_b64 s[0:1], vcc
	s_cbranch_execz .LBB51_77
.LBB51_97:
	ds_read_b32 v19, v18 offset:320
	s_waitcnt lgkmcnt(0)
	v_add_f32_e32 v10, v10, v19
	s_or_b64 exec, exec, s[0:1]
	s_and_saveexec_b64 s[0:1], vcc
	s_cbranch_execz .LBB51_78
.LBB51_98:
	ds_read_b32 v19, v18 offset:352
	s_waitcnt lgkmcnt(0)
	v_add_f32_e32 v11, v11, v19
	s_or_b64 exec, exec, s[0:1]
	s_and_saveexec_b64 s[0:1], vcc
	s_cbranch_execz .LBB51_79
.LBB51_99:
	ds_read_b32 v19, v18 offset:384
	s_waitcnt lgkmcnt(0)
	v_add_f32_e32 v12, v12, v19
	s_or_b64 exec, exec, s[0:1]
	s_and_saveexec_b64 s[0:1], vcc
	s_cbranch_execz .LBB51_80
.LBB51_100:
	ds_read_b32 v19, v18 offset:416
	s_waitcnt lgkmcnt(0)
	v_add_f32_e32 v13, v13, v19
	s_or_b64 exec, exec, s[0:1]
	s_and_saveexec_b64 s[0:1], vcc
	s_cbranch_execz .LBB51_81
.LBB51_101:
	ds_read_b32 v19, v18 offset:448
	s_waitcnt lgkmcnt(0)
	v_add_f32_e32 v14, v14, v19
	s_or_b64 exec, exec, s[0:1]
	s_and_saveexec_b64 s[0:1], vcc
	s_cbranch_execnz .LBB51_82
	s_branch .LBB51_83
	.section	.rodata,"a",@progbits
	.p2align	6, 0x0
	.amdhsa_kernel _ZN4vllm25paged_attention_v1_kernelIffLi128ELi32ELi128ELNS_18Fp8KVCacheDataTypeE0ELb0EEEvPT_PKS2_PKT0_S8_ifPKiSA_iPKfiiiSC_SC_iiiii
		.amdhsa_group_segment_fixed_size 528
		.amdhsa_private_segment_fixed_size 204
		.amdhsa_kernarg_size 384
		.amdhsa_user_sgpr_count 6
		.amdhsa_user_sgpr_private_segment_buffer 1
		.amdhsa_user_sgpr_dispatch_ptr 0
		.amdhsa_user_sgpr_queue_ptr 0
		.amdhsa_user_sgpr_kernarg_segment_ptr 1
		.amdhsa_user_sgpr_dispatch_id 0
		.amdhsa_user_sgpr_flat_scratch_init 0
		.amdhsa_user_sgpr_private_segment_size 0
		.amdhsa_uses_dynamic_stack 0
		.amdhsa_system_sgpr_private_segment_wavefront_offset 1
		.amdhsa_system_sgpr_workgroup_id_x 1
		.amdhsa_system_sgpr_workgroup_id_y 1
		.amdhsa_system_sgpr_workgroup_id_z 1
		.amdhsa_system_sgpr_workgroup_info 0
		.amdhsa_system_vgpr_workitem_id 0
		.amdhsa_next_free_vgpr 64
		.amdhsa_next_free_sgpr 44
		.amdhsa_reserve_vcc 1
		.amdhsa_reserve_flat_scratch 0
		.amdhsa_float_round_mode_32 0
		.amdhsa_float_round_mode_16_64 0
		.amdhsa_float_denorm_mode_32 3
		.amdhsa_float_denorm_mode_16_64 3
		.amdhsa_dx10_clamp 1
		.amdhsa_ieee_mode 1
		.amdhsa_fp16_overflow 0
		.amdhsa_exception_fp_ieee_invalid_op 0
		.amdhsa_exception_fp_denorm_src 0
		.amdhsa_exception_fp_ieee_div_zero 0
		.amdhsa_exception_fp_ieee_overflow 0
		.amdhsa_exception_fp_ieee_underflow 0
		.amdhsa_exception_fp_ieee_inexact 0
		.amdhsa_exception_int_div_zero 0
	.end_amdhsa_kernel
	.section	.text._ZN4vllm25paged_attention_v1_kernelIffLi128ELi32ELi128ELNS_18Fp8KVCacheDataTypeE0ELb0EEEvPT_PKS2_PKT0_S8_ifPKiSA_iPKfiiiSC_SC_iiiii,"axG",@progbits,_ZN4vllm25paged_attention_v1_kernelIffLi128ELi32ELi128ELNS_18Fp8KVCacheDataTypeE0ELb0EEEvPT_PKS2_PKT0_S8_ifPKiSA_iPKfiiiSC_SC_iiiii,comdat
.Lfunc_end51:
	.size	_ZN4vllm25paged_attention_v1_kernelIffLi128ELi32ELi128ELNS_18Fp8KVCacheDataTypeE0ELb0EEEvPT_PKS2_PKT0_S8_ifPKiSA_iPKfiiiSC_SC_iiiii, .Lfunc_end51-_ZN4vllm25paged_attention_v1_kernelIffLi128ELi32ELi128ELNS_18Fp8KVCacheDataTypeE0ELb0EEEvPT_PKS2_PKT0_S8_ifPKiSA_iPKfiiiSC_SC_iiiii
                                        ; -- End function
	.set _ZN4vllm25paged_attention_v1_kernelIffLi128ELi32ELi128ELNS_18Fp8KVCacheDataTypeE0ELb0EEEvPT_PKS2_PKT0_S8_ifPKiSA_iPKfiiiSC_SC_iiiii.num_vgpr, 64
	.set _ZN4vllm25paged_attention_v1_kernelIffLi128ELi32ELi128ELNS_18Fp8KVCacheDataTypeE0ELb0EEEvPT_PKS2_PKT0_S8_ifPKiSA_iPKfiiiSC_SC_iiiii.num_agpr, 0
	.set _ZN4vllm25paged_attention_v1_kernelIffLi128ELi32ELi128ELNS_18Fp8KVCacheDataTypeE0ELb0EEEvPT_PKS2_PKT0_S8_ifPKiSA_iPKfiiiSC_SC_iiiii.numbered_sgpr, 44
	.set _ZN4vllm25paged_attention_v1_kernelIffLi128ELi32ELi128ELNS_18Fp8KVCacheDataTypeE0ELb0EEEvPT_PKS2_PKT0_S8_ifPKiSA_iPKfiiiSC_SC_iiiii.num_named_barrier, 0
	.set _ZN4vllm25paged_attention_v1_kernelIffLi128ELi32ELi128ELNS_18Fp8KVCacheDataTypeE0ELb0EEEvPT_PKS2_PKT0_S8_ifPKiSA_iPKfiiiSC_SC_iiiii.private_seg_size, 204
	.set _ZN4vllm25paged_attention_v1_kernelIffLi128ELi32ELi128ELNS_18Fp8KVCacheDataTypeE0ELb0EEEvPT_PKS2_PKT0_S8_ifPKiSA_iPKfiiiSC_SC_iiiii.uses_vcc, 1
	.set _ZN4vllm25paged_attention_v1_kernelIffLi128ELi32ELi128ELNS_18Fp8KVCacheDataTypeE0ELb0EEEvPT_PKS2_PKT0_S8_ifPKiSA_iPKfiiiSC_SC_iiiii.uses_flat_scratch, 0
	.set _ZN4vllm25paged_attention_v1_kernelIffLi128ELi32ELi128ELNS_18Fp8KVCacheDataTypeE0ELb0EEEvPT_PKS2_PKT0_S8_ifPKiSA_iPKfiiiSC_SC_iiiii.has_dyn_sized_stack, 0
	.set _ZN4vllm25paged_attention_v1_kernelIffLi128ELi32ELi128ELNS_18Fp8KVCacheDataTypeE0ELb0EEEvPT_PKS2_PKT0_S8_ifPKiSA_iPKfiiiSC_SC_iiiii.has_recursion, 0
	.set _ZN4vllm25paged_attention_v1_kernelIffLi128ELi32ELi128ELNS_18Fp8KVCacheDataTypeE0ELb0EEEvPT_PKS2_PKT0_S8_ifPKiSA_iPKfiiiSC_SC_iiiii.has_indirect_call, 0
	.section	.AMDGPU.csdata,"",@progbits
; Kernel info:
; codeLenInByte = 8152
; TotalNumSgprs: 48
; NumVgprs: 64
; ScratchSize: 204
; MemoryBound: 0
; FloatMode: 240
; IeeeMode: 1
; LDSByteSize: 528 bytes/workgroup (compile time only)
; SGPRBlocks: 5
; VGPRBlocks: 15
; NumSGPRsForWavesPerEU: 48
; NumVGPRsForWavesPerEU: 64
; Occupancy: 4
; WaveLimiterHint : 1
; COMPUTE_PGM_RSRC2:SCRATCH_EN: 1
; COMPUTE_PGM_RSRC2:USER_SGPR: 6
; COMPUTE_PGM_RSRC2:TRAP_HANDLER: 0
; COMPUTE_PGM_RSRC2:TGID_X_EN: 1
; COMPUTE_PGM_RSRC2:TGID_Y_EN: 1
; COMPUTE_PGM_RSRC2:TGID_Z_EN: 1
; COMPUTE_PGM_RSRC2:TIDIG_COMP_CNT: 0
	.section	.text._ZN4vllm25paged_attention_v1_kernelIffLi192ELi32ELi128ELNS_18Fp8KVCacheDataTypeE0ELb0EEEvPT_PKS2_PKT0_S8_ifPKiSA_iPKfiiiSC_SC_iiiii,"axG",@progbits,_ZN4vllm25paged_attention_v1_kernelIffLi192ELi32ELi128ELNS_18Fp8KVCacheDataTypeE0ELb0EEEvPT_PKS2_PKT0_S8_ifPKiSA_iPKfiiiSC_SC_iiiii,comdat
	.protected	_ZN4vllm25paged_attention_v1_kernelIffLi192ELi32ELi128ELNS_18Fp8KVCacheDataTypeE0ELb0EEEvPT_PKS2_PKT0_S8_ifPKiSA_iPKfiiiSC_SC_iiiii ; -- Begin function _ZN4vllm25paged_attention_v1_kernelIffLi192ELi32ELi128ELNS_18Fp8KVCacheDataTypeE0ELb0EEEvPT_PKS2_PKT0_S8_ifPKiSA_iPKfiiiSC_SC_iiiii
	.globl	_ZN4vllm25paged_attention_v1_kernelIffLi192ELi32ELi128ELNS_18Fp8KVCacheDataTypeE0ELb0EEEvPT_PKS2_PKT0_S8_ifPKiSA_iPKfiiiSC_SC_iiiii
	.p2align	8
	.type	_ZN4vllm25paged_attention_v1_kernelIffLi192ELi32ELi128ELNS_18Fp8KVCacheDataTypeE0ELb0EEEvPT_PKS2_PKT0_S8_ifPKiSA_iPKfiiiSC_SC_iiiii,@function
_ZN4vllm25paged_attention_v1_kernelIffLi192ELi32ELi128ELNS_18Fp8KVCacheDataTypeE0ELb0EEEvPT_PKS2_PKT0_S8_ifPKiSA_iPKfiiiSC_SC_iiiii: ; @_ZN4vllm25paged_attention_v1_kernelIffLi192ELi32ELi128ELNS_18Fp8KVCacheDataTypeE0ELb0EEEvPT_PKS2_PKT0_S8_ifPKiSA_iPKfiiiSC_SC_iiiii
; %bb.0:
	s_mov_b64 s[42:43], s[2:3]
	s_mov_b64 s[40:41], s[0:1]
	s_add_u32 s40, s40, s9
	s_load_dword s9, s[4:5], 0x80
	s_load_dwordx2 s[0:1], s[4:5], 0x30
	s_load_dwordx2 s[26:27], s[4:5], 0x20
	s_addc_u32 s41, s41, 0
	s_mov_b32 s10, s7
	s_ashr_i32 s11, s7, 31
	s_lshl_b64 s[2:3], s[10:11], 2
	s_waitcnt lgkmcnt(0)
	s_add_u32 s0, s0, s2
	s_addc_u32 s1, s1, s3
	s_abs_i32 s2, s26
	v_mov_b32_e32 v30, v0
	v_cvt_f32_u32_e32 v0, s2
	s_sub_i32 s11, 0, s2
	s_abs_i32 s7, s9
	s_xor_b32 s3, s9, s26
	v_rcp_iflag_f32_e32 v0, v0
	s_ashr_i32 s3, s3, 31
	s_mov_b32 s26, 0
	v_mul_f32_e32 v0, 0x4f7ffffe, v0
	v_cvt_u32_f32_e32 v0, v0
	v_readfirstlane_b32 s12, v0
	s_mul_i32 s11, s11, s12
	s_mul_hi_u32 s11, s12, s11
	s_add_i32 s12, s12, s11
	s_mul_hi_u32 s11, s7, s12
	s_mul_i32 s12, s11, s2
	s_sub_i32 s7, s7, s12
	s_add_i32 s12, s11, 1
	s_sub_i32 s13, s7, s2
	s_cmp_ge_u32 s7, s2
	s_cselect_b32 s11, s12, s11
	s_cselect_b32 s7, s13, s7
	s_add_i32 s12, s11, 1
	s_cmp_ge_u32 s7, s2
	s_cselect_b32 s2, s12, s11
	s_xor_b32 s2, s2, s3
	s_sub_i32 s12, s2, s3
	s_abs_i32 s11, s12
	v_cvt_f32_u32_e32 v0, s11
	s_load_dwordx2 s[2:3], s[4:5], 0x40
	s_sub_i32 s7, 0, s11
	s_abs_i32 s18, s6
	v_rcp_iflag_f32_e32 v0, v0
	v_mul_f32_e32 v0, 0x4f7ffffe, v0
	v_cvt_u32_f32_e32 v0, v0
	v_readfirstlane_b32 s13, v0
	s_mul_i32 s7, s7, s13
	s_mul_hi_u32 s7, s13, s7
	s_add_i32 s13, s13, s7
	s_waitcnt lgkmcnt(0)
	s_cmp_eq_u64 s[2:3], 0
	s_mul_hi_u32 s19, s18, s13
	s_cbranch_scc1 .LBB52_2
; %bb.1:
	s_ashr_i32 s7, s6, 31
	s_lshl_b64 s[14:15], s[6:7], 2
	s_add_u32 s2, s2, s14
	s_addc_u32 s3, s3, s15
	s_load_dword s26, s[2:3], 0x0
.LBB52_2:
	s_load_dword s33, s[0:1], 0x0
	s_ashr_i32 s3, s12, 31
	s_load_dwordx4 s[12:15], s[4:5], 0x48
	s_movk_i32 s0, 0x60
	s_ashr_i32 s2, s6, 31
	v_and_b32_e32 v0, 1, v30
	s_mul_i32 s16, s6, 0xc0
	v_cmp_gt_u32_e32 vcc, s0, v30
	v_lshlrev_b32_e32 v1, 3, v30
	v_lshlrev_b32_e32 v35, 2, v30
	s_and_saveexec_b64 s[0:1], vcc
	s_cbranch_execz .LBB52_4
; %bb.3:
	s_load_dwordx2 s[6:7], s[4:5], 0x8
	s_waitcnt lgkmcnt(0)
	s_mul_i32 s20, s12, s10
	s_ashr_i32 s21, s20, 31
	s_lshl_b64 s[20:21], s[20:21], 2
	v_and_b32_e32 v4, 0xff8, v35
	s_add_u32 s12, s6, s20
	s_addc_u32 s15, s7, s21
	s_ashr_i32 s17, s16, 31
	s_lshl_b64 s[6:7], s[16:17], 2
	s_add_u32 s6, s12, s6
	s_addc_u32 s7, s15, s7
	global_load_dwordx2 v[2:3], v1, s[6:7]
	s_movk_i32 s6, 0x180
	v_mad_u32_u24 v4, v0, s6, v4
	s_waitcnt vmcnt(0)
	ds_write_b64 v4, v[2:3]
.LBB52_4:
	s_or_b64 exec, exec, s[0:1]
	s_waitcnt lgkmcnt(0)
	s_add_i32 s1, s33, 31
	s_ashr_i32 s6, s1, 31
	s_lshr_b32 s6, s6, 27
	s_add_i32 s1, s1, s6
	s_ashr_i32 s12, s1, 5
	s_xor_b32 s1, s2, s3
	s_mul_i32 s2, s19, s11
	s_sub_i32 s2, s18, s2
	s_add_i32 s3, s19, 1
	s_sub_i32 s6, s2, s11
	s_load_dwordx2 s[20:21], s[4:5], 0x28
	s_load_dword s0, s[4:5], 0x38
	s_cmp_ge_u32 s2, s11
	s_cselect_b32 s3, s3, s19
	s_cselect_b32 s2, s6, s2
	s_add_i32 s6, s3, 1
	s_cmp_ge_u32 s2, s11
	s_cselect_b32 s2, s6, s3
	v_lshrrev_b32_e32 v52, 6, v30
	s_xor_b32 s2, s2, s1
	s_waitcnt lgkmcnt(0)
	s_mul_i32 s22, s0, s10
	s_sub_i32 s15, s2, s1
	s_ashr_i32 s23, s22, 31
	v_cmp_gt_i32_e64 s[0:1], s12, v52
	v_cmp_le_i32_e32 vcc, s12, v52
	v_mbcnt_lo_u32_b32 v2, -1, 0
	s_barrier
                                        ; implicit-def: $vgpr10
                                        ; implicit-def: $vgpr7
                                        ; implicit-def: $vgpr8
	s_and_saveexec_b64 s[2:3], vcc
	s_xor_b64 s[2:3], exec, s[2:3]
; %bb.5:
	v_mbcnt_hi_u32_b32 v10, -1, v2
	v_and_b32_e32 v7, 64, v10
	v_add_u32_e32 v8, 64, v7
                                        ; implicit-def: $vgpr1
                                        ; implicit-def: $vgpr0
                                        ; implicit-def: $vgpr2
; %bb.6:
	s_or_saveexec_b64 s[6:7], s[2:3]
	s_load_dwordx2 s[18:19], s[4:5], 0x0
	s_load_dwordx2 s[24:25], s[4:5], 0x18
	s_load_dword s11, s[4:5], 0x88
	v_mov_b32_e32 v3, 0xff7fffff
	s_mul_i32 s14, s15, s14
	v_lshrrev_b32_e32 v39, 4, v30
	buffer_store_dword v30, off, s[40:43], 0 offset:364 ; 4-byte Folded Spill
	s_xor_b64 exec, exec, s[6:7]
	s_cbranch_execz .LBB52_12
; %bb.7:
	s_load_dwordx2 s[2:3], s[4:5], 0x10
	s_ashr_i32 s15, s14, 31
	s_lshl_b64 s[4:5], s[14:15], 2
	v_bfe_u32 v37, v30, 1, 5
	v_lshlrev_b32_e32 v3, 4, v37
	s_waitcnt lgkmcnt(0)
	s_add_u32 s2, s2, s4
	s_addc_u32 s3, s3, s5
	v_add_co_u32_e32 v3, vcc, s2, v3
	v_mov_b32_e32 v4, s3
	v_addc_co_u32_e32 v4, vcc, 0, v4, vcc
	v_and_b32_e32 v1, 8, v1
	v_add_co_u32_e32 v1, vcc, v3, v1
	v_mul_u32_u24_e32 v33, 0x180, v0
	buffer_store_dword v1, off, s[40:43], 0 offset:16 ; 4-byte Folded Spill
	v_addc_co_u32_e32 v1, vcc, 0, v4, vcc
	ds_read_b128 v[3:6], v33
	buffer_store_dword v35, off, s[40:43], 0 offset:276 ; 4-byte Folded Spill
	buffer_store_dword v1, off, s[40:43], 0 offset:32 ; 4-byte Folded Spill
	s_waitcnt lgkmcnt(0)
	buffer_store_dword v3, off, s[40:43], 0 offset:48 ; 4-byte Folded Spill
	s_nop 0
	buffer_store_dword v4, off, s[40:43], 0 offset:52 ; 4-byte Folded Spill
	buffer_store_dword v5, off, s[40:43], 0 offset:56 ; 4-byte Folded Spill
	buffer_store_dword v6, off, s[40:43], 0 offset:60 ; 4-byte Folded Spill
	ds_read_b128 v[3:6], v33 offset:16
	s_waitcnt lgkmcnt(0)
	buffer_store_dword v3, off, s[40:43], 0 offset:64 ; 4-byte Folded Spill
	s_nop 0
	buffer_store_dword v4, off, s[40:43], 0 offset:68 ; 4-byte Folded Spill
	buffer_store_dword v5, off, s[40:43], 0 offset:72 ; 4-byte Folded Spill
	buffer_store_dword v6, off, s[40:43], 0 offset:76 ; 4-byte Folded Spill
	ds_read_b128 v[3:6], v33 offset:32
	s_waitcnt lgkmcnt(0)
	buffer_store_dword v3, off, s[40:43], 0 offset:80 ; 4-byte Folded Spill
	s_nop 0
	buffer_store_dword v4, off, s[40:43], 0 offset:84 ; 4-byte Folded Spill
	buffer_store_dword v5, off, s[40:43], 0 offset:88 ; 4-byte Folded Spill
	buffer_store_dword v6, off, s[40:43], 0 offset:92 ; 4-byte Folded Spill
	ds_read_b128 v[3:6], v33 offset:48
	s_waitcnt lgkmcnt(0)
	buffer_store_dword v3, off, s[40:43], 0 offset:96 ; 4-byte Folded Spill
	s_nop 0
	buffer_store_dword v4, off, s[40:43], 0 offset:100 ; 4-byte Folded Spill
	buffer_store_dword v5, off, s[40:43], 0 offset:104 ; 4-byte Folded Spill
	buffer_store_dword v6, off, s[40:43], 0 offset:108 ; 4-byte Folded Spill
	ds_read_b128 v[3:6], v33 offset:64
	s_waitcnt lgkmcnt(0)
	buffer_store_dword v3, off, s[40:43], 0 offset:112 ; 4-byte Folded Spill
	s_nop 0
	buffer_store_dword v4, off, s[40:43], 0 offset:116 ; 4-byte Folded Spill
	buffer_store_dword v5, off, s[40:43], 0 offset:120 ; 4-byte Folded Spill
	buffer_store_dword v6, off, s[40:43], 0 offset:124 ; 4-byte Folded Spill
	ds_read_b128 v[3:6], v33 offset:80
	s_waitcnt lgkmcnt(0)
	buffer_store_dword v3, off, s[40:43], 0 offset:128 ; 4-byte Folded Spill
	s_nop 0
	buffer_store_dword v4, off, s[40:43], 0 offset:132 ; 4-byte Folded Spill
	buffer_store_dword v5, off, s[40:43], 0 offset:136 ; 4-byte Folded Spill
	buffer_store_dword v6, off, s[40:43], 0 offset:140 ; 4-byte Folded Spill
	ds_read_b128 v[3:6], v33 offset:96
	s_waitcnt lgkmcnt(0)
	buffer_store_dword v3, off, s[40:43], 0 offset:144 ; 4-byte Folded Spill
	s_nop 0
	buffer_store_dword v4, off, s[40:43], 0 offset:148 ; 4-byte Folded Spill
	buffer_store_dword v5, off, s[40:43], 0 offset:152 ; 4-byte Folded Spill
	buffer_store_dword v6, off, s[40:43], 0 offset:156 ; 4-byte Folded Spill
	ds_read_b128 v[3:6], v33 offset:112
	s_waitcnt lgkmcnt(0)
	buffer_store_dword v3, off, s[40:43], 0 offset:160 ; 4-byte Folded Spill
	s_nop 0
	buffer_store_dword v4, off, s[40:43], 0 offset:164 ; 4-byte Folded Spill
	buffer_store_dword v5, off, s[40:43], 0 offset:168 ; 4-byte Folded Spill
	buffer_store_dword v6, off, s[40:43], 0 offset:172 ; 4-byte Folded Spill
	ds_read_b128 v[3:6], v33 offset:128
	s_waitcnt lgkmcnt(0)
	buffer_store_dword v3, off, s[40:43], 0 offset:176 ; 4-byte Folded Spill
	s_nop 0
	buffer_store_dword v4, off, s[40:43], 0 offset:180 ; 4-byte Folded Spill
	buffer_store_dword v5, off, s[40:43], 0 offset:184 ; 4-byte Folded Spill
	buffer_store_dword v6, off, s[40:43], 0 offset:188 ; 4-byte Folded Spill
	ds_read_b128 v[3:6], v33 offset:144
	s_waitcnt lgkmcnt(0)
	buffer_store_dword v3, off, s[40:43], 0 offset:192 ; 4-byte Folded Spill
	s_nop 0
	buffer_store_dword v4, off, s[40:43], 0 offset:196 ; 4-byte Folded Spill
	buffer_store_dword v5, off, s[40:43], 0 offset:200 ; 4-byte Folded Spill
	buffer_store_dword v6, off, s[40:43], 0 offset:204 ; 4-byte Folded Spill
	ds_read_b128 v[3:6], v33 offset:160
	s_waitcnt lgkmcnt(0)
	buffer_store_dword v3, off, s[40:43], 0 offset:208 ; 4-byte Folded Spill
	s_nop 0
	buffer_store_dword v4, off, s[40:43], 0 offset:212 ; 4-byte Folded Spill
	buffer_store_dword v5, off, s[40:43], 0 offset:216 ; 4-byte Folded Spill
	buffer_store_dword v6, off, s[40:43], 0 offset:220 ; 4-byte Folded Spill
	ds_read_b128 v[3:6], v33 offset:176
	s_waitcnt lgkmcnt(0)
	buffer_store_dword v3, off, s[40:43], 0 offset:224 ; 4-byte Folded Spill
	s_nop 0
	buffer_store_dword v4, off, s[40:43], 0 offset:228 ; 4-byte Folded Spill
	buffer_store_dword v5, off, s[40:43], 0 offset:232 ; 4-byte Folded Spill
	buffer_store_dword v6, off, s[40:43], 0 offset:236 ; 4-byte Folded Spill
	ds_read_b128 v[3:6], v33 offset:192
	s_waitcnt lgkmcnt(0)
	buffer_store_dword v3, off, s[40:43], 0 offset:240 ; 4-byte Folded Spill
	s_nop 0
	buffer_store_dword v4, off, s[40:43], 0 offset:244 ; 4-byte Folded Spill
	buffer_store_dword v5, off, s[40:43], 0 offset:248 ; 4-byte Folded Spill
	buffer_store_dword v6, off, s[40:43], 0 offset:252 ; 4-byte Folded Spill
	v_mbcnt_hi_u32_b32 v2, -1, v2
	v_and_b32_e32 v3, 64, v2
	v_xor_b32_e32 v1, 1, v2
	buffer_store_dword v3, off, s[40:43], 0 offset:288 ; 4-byte Folded Spill
	v_add_u32_e32 v3, 64, v3
	v_cmp_lt_i32_e32 vcc, v1, v3
	v_cndmask_b32_e32 v1, v2, v1, vcc
	v_lshlrev_b32_e32 v1, 2, v1
	buffer_store_dword v3, off, s[40:43], 0 offset:292 ; 4-byte Folded Spill
	buffer_store_dword v2, off, s[40:43], 0 offset:284 ; 4-byte Folded Spill
	;; [unrolled: 1-line block ×3, first 2 shown]
	v_cmp_eq_u32_e32 vcc, 0, v0
	ds_read_b128 v[0:3], v33 offset:208
	s_waitcnt lgkmcnt(0)
	buffer_store_dword v0, off, s[40:43], 0 offset:260 ; 4-byte Folded Spill
	s_nop 0
	buffer_store_dword v1, off, s[40:43], 0 offset:264 ; 4-byte Folded Spill
	buffer_store_dword v2, off, s[40:43], 0 offset:268 ; 4-byte Folded Spill
	;; [unrolled: 1-line block ×3, first 2 shown]
	ds_read_b128 v[57:60], v33 offset:224
	ds_read_b128 v[1:4], v33 offset:240
	;; [unrolled: 1-line block ×10, first 2 shown]
	v_lshlrev_b32_e32 v38, 2, v37
	v_mov_b32_e32 v45, v52
	s_sub_i32 s15, 1, s33
	s_lshl_b64 s[4:5], s[22:23], 2
	v_lshl_or_b32 v0, v45, 5, v37
	v_lshl_or_b32 v37, v45, 7, v38
	s_add_u32 s4, s20, s4
	v_add_u32_e32 v63, 0x310, v37
	v_and_b32_e32 v37, 60, v39
	s_addc_u32 s28, s21, s5
	v_add_co_u32_e64 v61, s[4:5], s4, v37
	v_mov_b32_e32 v37, s28
	s_mov_b32 s17, s13
	v_cmp_neq_f32_e64 s[2:3], s26, 0
	v_addc_co_u32_e64 v62, s[4:5], 0, v37, s[4:5]
	v_mov_b32_e32 v37, 0xff7fffff
	s_mov_b64 s[28:29], 0
	s_movk_i32 s34, 0x1000
	s_movk_i32 s35, 0x2000
	;; [unrolled: 1-line block ×5, first 2 shown]
	buffer_store_dword v39, off, s[40:43], 0 offset:280 ; 4-byte Folded Spill
	buffer_store_dword v37, off, s[40:43], 0 ; 4-byte Folded Spill
	s_branch .LBB52_9
.LBB52_8:                               ;   in Loop: Header=BB52_9 Depth=1
	s_or_b64 exec, exec, s[30:31]
	v_add_u32_e32 v45, 2, v45
	v_cmp_le_i32_e64 s[4:5], s12, v45
	s_or_b64 s[28:29], s[4:5], s[28:29]
	v_add_co_u32_e64 v61, s[4:5], 8, v61
	v_add_u32_e32 v0, 64, v0
	v_add_u32_e32 v63, 0x100, v63
	v_addc_co_u32_e64 v62, s[4:5], 0, v62, s[4:5]
	s_andn2_b64 exec, exec, s[28:29]
	s_cbranch_execz .LBB52_11
.LBB52_9:                               ; =>This Inner Loop Header: Depth=1
	global_load_dword v37, v[61:62], off
	buffer_load_dword v39, off, s[40:43], 0 offset:16 ; 4-byte Folded Reload
	s_waitcnt vmcnt(1) lgkmcnt(0)
	v_mad_i64_i32 v[37:38], s[4:5], v37, s17, 0
	v_lshlrev_b64 v[37:38], 2, v[37:38]
	s_waitcnt vmcnt(0)
	v_add_co_u32_e64 v41, s[4:5], v39, v37
	buffer_load_dword v37, off, s[40:43], 0 offset:32 ; 4-byte Folded Reload
	s_waitcnt vmcnt(0)
	v_addc_co_u32_e64 v42, s[4:5], v37, v38, s[4:5]
	global_load_dwordx2 v[37:38], v[41:42], off offset:512
	buffer_load_dword v48, off, s[40:43], 0 offset:48 ; 4-byte Folded Reload
	buffer_load_dword v49, off, s[40:43], 0 offset:52 ; 4-byte Folded Reload
	buffer_load_dword v50, off, s[40:43], 0 offset:56 ; 4-byte Folded Reload
	buffer_load_dword v51, off, s[40:43], 0 offset:60 ; 4-byte Folded Reload
	s_waitcnt vmcnt(1)
	v_mul_f32_e32 v46, v50, v37
	s_waitcnt vmcnt(0)
	v_mul_f32_e32 v47, v51, v38
	global_load_dwordx2 v[37:38], v[41:42], off
	s_waitcnt vmcnt(0)
	v_fmac_f32_e32 v46, v48, v37
	v_fmac_f32_e32 v47, v49, v38
	global_load_dwordx2 v[37:38], v[41:42], off offset:1024
	buffer_load_dword v48, off, s[40:43], 0 offset:64 ; 4-byte Folded Reload
	buffer_load_dword v49, off, s[40:43], 0 offset:68 ; 4-byte Folded Reload
	buffer_load_dword v50, off, s[40:43], 0 offset:72 ; 4-byte Folded Reload
	buffer_load_dword v51, off, s[40:43], 0 offset:76 ; 4-byte Folded Reload
	s_waitcnt vmcnt(3)
	v_fmac_f32_e32 v46, v48, v37
	s_waitcnt vmcnt(2)
	v_fmac_f32_e32 v47, v49, v38
	global_load_dwordx2 v[37:38], v[41:42], off offset:1536
	s_waitcnt vmcnt(0)
	v_fmac_f32_e32 v46, v50, v37
	v_fmac_f32_e32 v47, v51, v38
	global_load_dwordx2 v[37:38], v[41:42], off offset:2048
	buffer_load_dword v48, off, s[40:43], 0 offset:80 ; 4-byte Folded Reload
	buffer_load_dword v49, off, s[40:43], 0 offset:84 ; 4-byte Folded Reload
	;; [unrolled: 1-line block ×4, first 2 shown]
	s_waitcnt vmcnt(3)
	v_fmac_f32_e32 v46, v48, v37
	s_waitcnt vmcnt(2)
	v_fmac_f32_e32 v47, v49, v38
	global_load_dwordx2 v[37:38], v[41:42], off offset:2560
	v_add_co_u32_e64 v48, s[4:5], s34, v41
	v_addc_co_u32_e64 v49, s[4:5], 0, v42, s[4:5]
	s_waitcnt vmcnt(0)
	v_fmac_f32_e32 v46, v50, v37
	v_fmac_f32_e32 v47, v51, v38
	global_load_dwordx2 v[37:38], v[41:42], off offset:3072
	buffer_load_dword v53, off, s[40:43], 0 offset:96 ; 4-byte Folded Reload
	buffer_load_dword v54, off, s[40:43], 0 offset:100 ; 4-byte Folded Reload
	;; [unrolled: 1-line block ×4, first 2 shown]
	v_add_co_u32_e64 v50, s[4:5], s35, v41
	v_addc_co_u32_e64 v51, s[4:5], 0, v42, s[4:5]
	v_add_co_u32_e64 v43, s[4:5], s36, v41
	v_addc_co_u32_e64 v44, s[4:5], 0, v42, s[4:5]
	;; [unrolled: 2-line block ×3, first 2 shown]
	s_waitcnt vmcnt(3)
	v_fmac_f32_e32 v46, v53, v37
	v_add_co_u32_e64 v37, s[4:5], s38, v41
	s_waitcnt vmcnt(2)
	v_fmac_f32_e32 v47, v54, v38
	v_addc_co_u32_e64 v38, s[4:5], 0, v42, s[4:5]
	global_load_dwordx2 v[41:42], v[41:42], off offset:3584
	s_waitcnt vmcnt(0)
	v_fmac_f32_e32 v46, v55, v41
	v_fmac_f32_e32 v47, v56, v42
	global_load_dwordx2 v[41:42], v[50:51], off offset:-4096
	buffer_load_dword v53, off, s[40:43], 0 offset:112 ; 4-byte Folded Reload
	buffer_load_dword v54, off, s[40:43], 0 offset:116 ; 4-byte Folded Reload
	buffer_load_dword v55, off, s[40:43], 0 offset:120 ; 4-byte Folded Reload
	buffer_load_dword v56, off, s[40:43], 0 offset:124 ; 4-byte Folded Reload
	s_waitcnt vmcnt(3)
	v_fmac_f32_e32 v46, v53, v41
	s_waitcnt vmcnt(2)
	v_fmac_f32_e32 v47, v54, v42
	global_load_dwordx2 v[41:42], v[48:49], off offset:512
	s_waitcnt vmcnt(0)
	v_fmac_f32_e32 v46, v55, v41
	v_fmac_f32_e32 v47, v56, v42
	global_load_dwordx2 v[41:42], v[48:49], off offset:1024
	buffer_load_dword v53, off, s[40:43], 0 offset:128 ; 4-byte Folded Reload
	buffer_load_dword v54, off, s[40:43], 0 offset:132 ; 4-byte Folded Reload
	buffer_load_dword v55, off, s[40:43], 0 offset:136 ; 4-byte Folded Reload
	buffer_load_dword v56, off, s[40:43], 0 offset:140 ; 4-byte Folded Reload
	s_waitcnt vmcnt(3)
	v_fmac_f32_e32 v46, v53, v41
	s_waitcnt vmcnt(2)
	v_fmac_f32_e32 v47, v54, v42
	global_load_dwordx2 v[41:42], v[48:49], off offset:1536
	s_waitcnt vmcnt(0)
	v_fmac_f32_e32 v46, v55, v41
	v_fmac_f32_e32 v47, v56, v42
	global_load_dwordx2 v[41:42], v[48:49], off offset:2048
	;; [unrolled: 13-line block ×3, first 2 shown]
	buffer_load_dword v53, off, s[40:43], 0 offset:160 ; 4-byte Folded Reload
	buffer_load_dword v54, off, s[40:43], 0 offset:164 ; 4-byte Folded Reload
	;; [unrolled: 1-line block ×4, first 2 shown]
	s_waitcnt vmcnt(3)
	v_fmac_f32_e32 v46, v53, v41
	s_waitcnt vmcnt(2)
	v_fmac_f32_e32 v47, v54, v42
	global_load_dwordx2 v[41:42], v[48:49], off offset:3584
	s_waitcnt vmcnt(0)
	v_fmac_f32_e32 v46, v55, v41
	v_fmac_f32_e32 v47, v56, v42
	global_load_dwordx2 v[41:42], v[50:51], off
	buffer_load_dword v53, off, s[40:43], 0 offset:176 ; 4-byte Folded Reload
	buffer_load_dword v54, off, s[40:43], 0 offset:180 ; 4-byte Folded Reload
	buffer_load_dword v55, off, s[40:43], 0 offset:184 ; 4-byte Folded Reload
	buffer_load_dword v56, off, s[40:43], 0 offset:188 ; 4-byte Folded Reload
	s_waitcnt vmcnt(3)
	v_fmac_f32_e32 v46, v53, v41
	s_waitcnt vmcnt(2)
	v_fmac_f32_e32 v47, v54, v42
	global_load_dwordx2 v[41:42], v[50:51], off offset:512
	s_waitcnt vmcnt(0)
	v_fmac_f32_e32 v46, v55, v41
	v_fmac_f32_e32 v47, v56, v42
	global_load_dwordx2 v[41:42], v[50:51], off offset:1024
	buffer_load_dword v53, off, s[40:43], 0 offset:192 ; 4-byte Folded Reload
	buffer_load_dword v54, off, s[40:43], 0 offset:196 ; 4-byte Folded Reload
	buffer_load_dword v55, off, s[40:43], 0 offset:200 ; 4-byte Folded Reload
	buffer_load_dword v56, off, s[40:43], 0 offset:204 ; 4-byte Folded Reload
	s_waitcnt vmcnt(3)
	v_fmac_f32_e32 v46, v53, v41
	s_waitcnt vmcnt(2)
	v_fmac_f32_e32 v47, v54, v42
	global_load_dwordx2 v[41:42], v[50:51], off offset:1536
	s_waitcnt vmcnt(0)
	v_fmac_f32_e32 v46, v55, v41
	v_fmac_f32_e32 v47, v56, v42
	global_load_dwordx2 v[41:42], v[50:51], off offset:2048
	;; [unrolled: 13-line block ×3, first 2 shown]
	buffer_load_dword v53, off, s[40:43], 0 offset:224 ; 4-byte Folded Reload
	buffer_load_dword v54, off, s[40:43], 0 offset:228 ; 4-byte Folded Reload
	;; [unrolled: 1-line block ×4, first 2 shown]
	s_waitcnt vmcnt(3)
	v_fmac_f32_e32 v46, v53, v41
	s_waitcnt vmcnt(2)
	v_fmac_f32_e32 v47, v54, v42
	global_load_dwordx2 v[41:42], v[50:51], off offset:3584
	s_waitcnt vmcnt(0)
	v_fmac_f32_e32 v46, v55, v41
	v_fmac_f32_e32 v47, v56, v42
	global_load_dwordx2 v[41:42], v[39:40], off offset:-4096
	buffer_load_dword v48, off, s[40:43], 0 offset:240 ; 4-byte Folded Reload
	buffer_load_dword v49, off, s[40:43], 0 offset:244 ; 4-byte Folded Reload
	;; [unrolled: 1-line block ×4, first 2 shown]
	s_waitcnt vmcnt(3)
	v_fmac_f32_e32 v46, v48, v41
	s_waitcnt vmcnt(2)
	v_fmac_f32_e32 v47, v49, v42
	global_load_dwordx2 v[41:42], v[43:44], off offset:512
	s_waitcnt vmcnt(0)
	v_fmac_f32_e32 v46, v50, v41
	v_fmac_f32_e32 v47, v51, v42
	global_load_dwordx2 v[41:42], v[43:44], off offset:1024
	buffer_load_dword v48, off, s[40:43], 0 offset:260 ; 4-byte Folded Reload
	buffer_load_dword v49, off, s[40:43], 0 offset:264 ; 4-byte Folded Reload
	;; [unrolled: 1-line block ×4, first 2 shown]
	s_waitcnt vmcnt(3)
	v_fmac_f32_e32 v46, v48, v41
	s_waitcnt vmcnt(2)
	v_fmac_f32_e32 v47, v49, v42
	global_load_dwordx2 v[41:42], v[43:44], off offset:1536
	s_waitcnt vmcnt(0)
	v_fmac_f32_e32 v46, v50, v41
	v_fmac_f32_e32 v47, v51, v42
	global_load_dwordx2 v[41:42], v[43:44], off offset:2048
	s_waitcnt vmcnt(0) lgkmcnt(9)
	v_fmac_f32_e32 v46, v57, v41
	v_fmac_f32_e32 v47, v58, v42
	global_load_dwordx2 v[41:42], v[43:44], off offset:2560
	s_waitcnt vmcnt(0)
	v_fmac_f32_e32 v46, v59, v41
	v_fmac_f32_e32 v47, v60, v42
	global_load_dwordx2 v[41:42], v[43:44], off offset:3072
	s_waitcnt vmcnt(0) lgkmcnt(8)
	v_fmac_f32_e32 v46, v1, v41
	v_fmac_f32_e32 v47, v2, v42
	global_load_dwordx2 v[41:42], v[43:44], off offset:3584
	s_waitcnt vmcnt(0)
	v_fmac_f32_e32 v46, v3, v41
	v_fmac_f32_e32 v47, v4, v42
	global_load_dwordx2 v[41:42], v[39:40], off
	s_waitcnt vmcnt(0) lgkmcnt(7)
	v_fmac_f32_e32 v46, v5, v41
	v_fmac_f32_e32 v47, v6, v42
	global_load_dwordx2 v[41:42], v[39:40], off offset:512
	s_waitcnt vmcnt(0)
	v_fmac_f32_e32 v46, v7, v41
	v_fmac_f32_e32 v47, v8, v42
	global_load_dwordx2 v[41:42], v[39:40], off offset:1024
	s_waitcnt vmcnt(0) lgkmcnt(6)
	v_fmac_f32_e32 v46, v9, v41
	v_fmac_f32_e32 v47, v10, v42
	global_load_dwordx2 v[41:42], v[39:40], off offset:1536
	s_waitcnt vmcnt(0)
	v_fmac_f32_e32 v46, v11, v41
	v_fmac_f32_e32 v47, v12, v42
	global_load_dwordx2 v[41:42], v[39:40], off offset:2048
	;; [unrolled: 8-line block ×3, first 2 shown]
	s_waitcnt vmcnt(0) lgkmcnt(4)
	v_fmac_f32_e32 v46, v17, v41
	global_load_dwordx2 v[39:40], v[39:40], off offset:3584
	v_fmac_f32_e32 v47, v18, v42
	s_waitcnt vmcnt(0)
	v_fmac_f32_e32 v46, v19, v39
	v_fmac_f32_e32 v47, v20, v40
	global_load_dwordx2 v[39:40], v[37:38], off
	s_waitcnt vmcnt(0) lgkmcnt(3)
	v_fmac_f32_e32 v46, v21, v39
	v_fmac_f32_e32 v47, v22, v40
	global_load_dwordx2 v[39:40], v[37:38], off offset:512
	s_waitcnt vmcnt(0)
	v_fmac_f32_e32 v46, v23, v39
	v_fmac_f32_e32 v47, v24, v40
	global_load_dwordx2 v[39:40], v[37:38], off offset:1024
	s_waitcnt vmcnt(0) lgkmcnt(2)
	v_fmac_f32_e32 v46, v25, v39
	v_fmac_f32_e32 v47, v26, v40
	global_load_dwordx2 v[39:40], v[37:38], off offset:1536
	s_waitcnt vmcnt(0)
	v_fmac_f32_e32 v46, v27, v39
	v_fmac_f32_e32 v47, v28, v40
	global_load_dwordx2 v[39:40], v[37:38], off offset:2048
	;; [unrolled: 8-line block ×3, first 2 shown]
	s_waitcnt vmcnt(0) lgkmcnt(0)
	v_fmac_f32_e32 v47, v34, v40
	global_load_dwordx2 v[37:38], v[37:38], off offset:3584
	v_fmac_f32_e32 v46, v33, v39
	s_waitcnt vmcnt(0)
	v_fmac_f32_e32 v47, v36, v38
	buffer_load_dword v38, off, s[40:43], 0 offset:256 ; 4-byte Folded Reload
	v_fmac_f32_e32 v46, v35, v37
	v_add_f32_e32 v37, v46, v47
	s_waitcnt vmcnt(0)
	ds_bpermute_b32 v38, v38, v37
	s_and_saveexec_b64 s[30:31], vcc
	s_cbranch_execz .LBB52_8
; %bb.10:                               ;   in Loop: Header=BB52_9 Depth=1
	buffer_load_dword v40, off, s[40:43], 0 ; 4-byte Folded Reload
	v_add_u32_e32 v39, s15, v0
	v_cvt_f32_i32_e32 v39, v39
	s_waitcnt lgkmcnt(0)
	v_add_f32_e32 v37, v37, v38
	v_cmp_gt_i32_e64 s[4:5], s33, v0
	v_mul_f32_e32 v39, s26, v39
	v_cndmask_b32_e64 v39, 0, v39, s[2:3]
	v_fmac_f32_e32 v39, s27, v37
	v_cndmask_b32_e64 v37, 0, v39, s[4:5]
	ds_write_b32 v63, v37
	s_waitcnt vmcnt(0)
	v_max_f32_e32 v38, v40, v40
	v_max_f32_e32 v37, v38, v39
	v_cndmask_b32_e64 v40, v40, v37, s[4:5]
	buffer_store_dword v40, off, s[40:43], 0 ; 4-byte Folded Spill
	s_branch .LBB52_8
.LBB52_11:
	s_or_b64 exec, exec, s[28:29]
	buffer_load_dword v30, off, s[40:43], 0 offset:364 ; 4-byte Folded Reload
	buffer_load_dword v35, off, s[40:43], 0 offset:276 ; 4-byte Folded Reload
	;; [unrolled: 1-line block ×6, first 2 shown]
	buffer_load_dword v3, off, s[40:43], 0  ; 4-byte Folded Reload
.LBB52_12:
	s_or_b64 exec, exec, s[6:7]
	s_waitcnt vmcnt(3)
	v_xor_b32_e32 v0, 32, v10
	s_waitcnt vmcnt(1)
	v_cmp_lt_i32_e32 vcc, v0, v8
	v_cndmask_b32_e32 v0, v10, v0, vcc
	v_lshlrev_b32_e32 v0, 2, v0
	s_waitcnt vmcnt(0)
	ds_bpermute_b32 v1, v0, v3
	v_max_f32_e32 v2, v3, v3
	v_xor_b32_e32 v3, 16, v10
	v_cmp_lt_i32_e32 vcc, v3, v8
	v_xor_b32_e32 v4, 8, v10
	s_waitcnt lgkmcnt(0)
	v_max_f32_e32 v1, v1, v1
	v_max_f32_e32 v2, v2, v1
	v_cndmask_b32_e32 v1, v10, v3, vcc
	v_lshlrev_b32_e32 v1, 2, v1
	ds_bpermute_b32 v3, v1, v2
	v_cmp_lt_i32_e32 vcc, v4, v8
	v_xor_b32_e32 v5, 4, v10
	v_and_b32_e32 v31, 63, v30
	s_waitcnt lgkmcnt(0)
	v_max_f32_e32 v3, v3, v3
	v_max_f32_e32 v3, v2, v3
	v_cndmask_b32_e32 v2, v10, v4, vcc
	v_lshlrev_b32_e32 v2, 2, v2
	ds_bpermute_b32 v4, v2, v3
	v_cmp_lt_i32_e32 vcc, v5, v8
	s_waitcnt lgkmcnt(0)
	v_max_f32_e32 v4, v4, v4
	v_max_f32_e32 v3, v3, v4
	v_cndmask_b32_e32 v4, v10, v5, vcc
	v_lshlrev_b32_e32 v25, 2, v4
	ds_bpermute_b32 v4, v25, v3
	v_xor_b32_e32 v5, 2, v10
	v_cmp_lt_i32_e32 vcc, v5, v8
	s_waitcnt lgkmcnt(0)
	v_max_f32_e32 v4, v4, v4
	v_max_f32_e32 v4, v3, v4
	v_cndmask_b32_e32 v3, v10, v5, vcc
	v_lshlrev_b32_e32 v28, 2, v3
	ds_bpermute_b32 v5, v28, v4
	v_cmp_eq_u32_e32 vcc, 0, v31
	v_lshlrev_b32_e32 v3, 2, v52
	s_and_saveexec_b64 s[2:3], vcc
	s_cbranch_execz .LBB52_14
; %bb.13:
	s_waitcnt lgkmcnt(0)
	v_max_f32_e32 v5, v5, v5
	v_max_f32_e32 v4, v4, v4
	;; [unrolled: 1-line block ×3, first 2 shown]
	ds_write_b32 v3, v4 offset:768
.LBB52_14:
	s_or_b64 exec, exec, s[2:3]
	v_cmp_gt_u32_e64 s[2:3], 2, v31
	s_waitcnt lgkmcnt(0)
	v_mov_b32_e32 v5, 0xff7fffff
	v_lshlrev_b32_e32 v4, 2, v31
	s_barrier
	s_and_saveexec_b64 s[4:5], s[2:3]
; %bb.15:
	ds_read_b32 v5, v4 offset:768
; %bb.16:
	s_or_b64 exec, exec, s[4:5]
	v_xor_b32_e32 v6, 1, v10
	v_cmp_lt_i32_e64 s[4:5], v6, v8
	v_cndmask_b32_e64 v6, v10, v6, s[4:5]
	v_lshlrev_b32_e32 v32, 2, v6
	s_waitcnt lgkmcnt(0)
	ds_bpermute_b32 v6, v32, v5
	v_max_f32_e32 v5, v5, v5
	s_lshl_b32 s4, s12, 5
	s_min_i32 s15, s4, s33
	v_cmp_gt_i32_e64 s[4:5], s15, v30
	s_waitcnt lgkmcnt(0)
	v_max_f32_e32 v6, v6, v6
	v_max_f32_e32 v5, v5, v6
	v_lshlrev_b32_e32 v6, 2, v7
	ds_bpermute_b32 v6, v6, v5
	v_mov_b32_e32 v5, 0
	s_and_saveexec_b64 s[26:27], s[4:5]
	s_cbranch_execz .LBB52_20
; %bb.17:
	v_mov_b32_e32 v5, 0x310
	v_lshl_add_u32 v7, v30, 2, v5
	v_mov_b32_e32 v5, 0
	s_mov_b64 s[28:29], 0
	v_mov_b32_e32 v8, v30
.LBB52_18:                              ; =>This Inner Loop Header: Depth=1
	ds_read_b32 v9, v7
	v_add_u32_e32 v8, 0x80, v8
	v_cmp_le_i32_e64 s[6:7], s15, v8
	s_or_b64 s[28:29], s[6:7], s[28:29]
	s_waitcnt lgkmcnt(0)
	v_sub_f32_e32 v9, v9, v6
	v_mul_f32_e32 v9, 0x3fb8aa3b, v9
	v_exp_f32_e32 v9, v9
	ds_write_b32 v7, v9
	v_add_f32_e32 v5, v5, v9
	v_add_u32_e32 v7, 0x200, v7
	s_andn2_b64 exec, exec, s[28:29]
	s_cbranch_execnz .LBB52_18
; %bb.19:
	s_or_b64 exec, exec, s[28:29]
.LBB52_20:
	s_or_b64 exec, exec, s[26:27]
	ds_bpermute_b32 v0, v0, v5
	s_waitcnt lgkmcnt(0)
	v_add_f32_e32 v0, v5, v0
	ds_bpermute_b32 v1, v1, v0
	s_waitcnt lgkmcnt(0)
	v_add_f32_e32 v0, v0, v1
	;; [unrolled: 3-line block ×6, first 2 shown]
	s_and_saveexec_b64 s[6:7], vcc
; %bb.21:
	ds_write_b32 v3, v0 offset:776
; %bb.22:
	s_or_b64 exec, exec, s[6:7]
	s_waitcnt lgkmcnt(0)
	s_barrier
	s_and_saveexec_b64 s[6:7], s[2:3]
; %bb.23:
	ds_read_b32 v0, v4 offset:776
; %bb.24:
	s_or_b64 exec, exec, s[6:7]
	s_waitcnt lgkmcnt(0)
	ds_bpermute_b32 v1, v32, v0
	v_lshlrev_b32_e32 v2, 2, v10
	s_waitcnt lgkmcnt(0)
	v_add_f32_e32 v0, v0, v1
	v_and_b32_e32 v1, 0xffffff00, v2
	ds_bpermute_b32 v0, v1, v0
	s_and_saveexec_b64 s[2:3], s[4:5]
	s_cbranch_execz .LBB52_27
; %bb.25:
	s_waitcnt lgkmcnt(0)
	v_add_f32_e32 v1, 0x358637bd, v0
	v_div_scale_f32 v0, s[4:5], v1, v1, 1.0
	v_div_scale_f32 v2, vcc, 1.0, v1, 1.0
	s_mov_b64 s[4:5], 0
	v_rcp_f32_e32 v3, v0
	v_fma_f32 v4, -v0, v3, 1.0
	v_fmac_f32_e32 v3, v4, v3
	v_mul_f32_e32 v4, v2, v3
	v_fma_f32 v5, -v0, v4, v2
	v_fmac_f32_e32 v4, v5, v3
	v_fma_f32 v0, -v0, v4, v2
	v_div_fmas_f32 v2, v0, v3, v4
	v_mov_b32_e32 v0, 0x310
	v_lshl_add_u32 v0, v30, 2, v0
	v_div_fixup_f32 v1, v2, v1, 1.0
	v_mov_b32_e32 v2, v30
.LBB52_26:                              ; =>This Inner Loop Header: Depth=1
	ds_read_b32 v3, v0
	v_add_u32_e32 v2, 0x80, v2
	v_cmp_le_i32_e32 vcc, s15, v2
	s_or_b64 s[4:5], vcc, s[4:5]
	s_waitcnt lgkmcnt(0)
	v_mul_f32_e32 v3, v1, v3
	ds_write_b32 v0, v3
	v_add_u32_e32 v0, 0x200, v0
	s_andn2_b64 exec, exec, s[4:5]
	s_cbranch_execnz .LBB52_26
.LBB52_27:
	s_or_b64 exec, exec, s[2:3]
	v_mov_b32_e32 v4, 0
	v_and_b32_e32 v33, 7, v30
	v_mov_b32_e32 v6, 0
	v_mov_b32_e32 v5, 0
	;; [unrolled: 1-line block ×23, first 2 shown]
	s_waitcnt lgkmcnt(0)
	s_barrier
	s_and_saveexec_b64 s[2:3], s[0:1]
	s_cbranch_execz .LBB52_79
; %bb.28:
	v_and_b32_e32 v1, 0xfc, v35
	v_mov_b32_e32 v2, 0
	buffer_store_dword v32, off, s[40:43], 0 offset:380 ; 4-byte Folded Spill
	buffer_store_dword v28, off, s[40:43], 0 offset:376 ; 4-byte Folded Spill
	buffer_store_dword v25, off, s[40:43], 0 offset:372 ; 4-byte Folded Spill
	buffer_store_dword v31, off, s[40:43], 0 offset:368 ; 4-byte Folded Spill
	buffer_store_dword v2, off, s[40:43], 0 offset:176 ; 4-byte Folded Spill
	v_or_b32_e32 v2, 0xf00, v35
	v_lshlrev_b32_e32 v1, 2, v1
	buffer_store_dword v1, off, s[40:43], 0 offset:356 ; 4-byte Folded Spill
	v_lshlrev_b32_e32 v1, 2, v2
	buffer_store_dword v1, off, s[40:43], 0 offset:360 ; 4-byte Folded Spill
	v_mov_b32_e32 v1, 0
	buffer_store_dword v1, off, s[40:43], 0 offset:192 ; 4-byte Folded Spill
	v_mov_b32_e32 v1, 0
	;; [unrolled: 2-line block ×13, first 2 shown]
	s_ashr_i32 s15, s14, 31
	buffer_store_dword v1, off, s[40:43], 0 offset:300 ; 4-byte Folded Spill
	v_mov_b32_e32 v1, 0
	s_lshl_b64 s[0:1], s[14:15], 2
	buffer_store_dword v1, off, s[40:43], 0 offset:304 ; 4-byte Folded Spill
	v_mov_b32_e32 v1, 0
	v_and_b32_e32 v0, 28, v35
	s_add_u32 s14, s24, s0
	v_lshlrev_b32_e32 v3, 5, v52
	buffer_store_dword v1, off, s[40:43], 0 offset:308 ; 4-byte Folded Spill
	v_mov_b32_e32 v1, 0
	s_addc_u32 s6, s25, s1
	s_add_i32 s15, s12, -1
	v_or3_b32 v0, v3, v0, 3
	v_lshlrev_b32_e32 v3, 4, v33
	s_lshl_b64 s[0:1], s[22:23], 2
	buffer_store_dword v1, off, s[40:43], 0 offset:312 ; 4-byte Folded Spill
	v_mov_b32_e32 v1, 0
	v_lshl_or_b32 v3, v52, 7, v3
	s_add_u32 s0, s20, s0
	buffer_store_dword v1, off, s[40:43], 0 offset:316 ; 4-byte Folded Spill
	v_mov_b32_e32 v1, 0
	v_add_u32_e32 v5, 0x310, v3
	v_and_b32_e32 v3, 60, v39
	s_addc_u32 s1, s21, s1
	buffer_store_dword v1, off, s[40:43], 0 offset:320 ; 4-byte Folded Spill
	v_mov_b32_e32 v1, 0
	v_mov_b32_e32 v4, s1
	v_add_co_u32_e32 v61, vcc, s0, v3
	buffer_store_dword v1, off, s[40:43], 0 offset:324 ; 4-byte Folded Spill
	v_mov_b32_e32 v1, 0
	v_mov_b32_e32 v3, v5
	v_addc_co_u32_e32 v62, vcc, 0, v4, vcc
	s_mov_b64 s[4:5], 0
	v_mov_b32_e32 v4, s6
	v_mov_b32_e32 v9, 0
	;; [unrolled: 1-line block ×3, first 2 shown]
	buffer_store_dword v1, off, s[40:43], 0 offset:332 ; 4-byte Folded Spill
	v_mov_b32_e32 v1, 0
	buffer_store_dword v33, off, s[40:43], 0 offset:384 ; 4-byte Folded Spill
	buffer_store_dword v4, off, s[40:43], 0 offset:352 ; 4-byte Folded Spill
	;; [unrolled: 1-line block ×3, first 2 shown]
	s_branch .LBB52_30
.LBB52_29:                              ;   in Loop: Header=BB52_30 Depth=1
	s_or_b64 exec, exec, s[6:7]
	s_waitcnt vmcnt(1) lgkmcnt(0)
	v_mul_f32_e32 v41, v1, v41
	v_fmac_f32_e32 v41, v2, v42
	v_fmac_f32_e32 v41, v3, v43
	;; [unrolled: 1-line block ×3, first 2 shown]
	buffer_load_dword v42, off, s[40:43], 0 offset:160 ; 4-byte Folded Reload
	buffer_load_dword v43, off, s[40:43], 0 offset:164 ; 4-byte Folded Reload
	;; [unrolled: 1-line block ×4, first 2 shown]
	v_mul_f32_e32 v9, v1, v9
	v_fmac_f32_e32 v9, v2, v10
	v_fmac_f32_e32 v9, v3, v11
	;; [unrolled: 1-line block ×3, first 2 shown]
	v_mul_f32_e32 v13, v1, v13
	v_fmac_f32_e32 v13, v2, v14
	v_fmac_f32_e32 v13, v3, v15
	v_mul_f32_e32 v17, v1, v17
	v_fmac_f32_e32 v17, v2, v18
	v_mul_f32_e32 v37, v1, v37
	v_fmac_f32_e32 v37, v2, v38
	v_fmac_f32_e32 v37, v3, v39
	v_fmac_f32_e32 v37, v4, v40
	v_mul_f32_e32 v33, v1, v33
	v_fmac_f32_e32 v33, v2, v34
	v_fmac_f32_e32 v33, v3, v35
	;; [unrolled: 4-line block ×4, first 2 shown]
	v_fmac_f32_e32 v25, v4, v28
	v_fmac_f32_e32 v17, v3, v19
	v_fmac_f32_e32 v17, v4, v20
	v_fmac_f32_e32 v13, v4, v16
	v_mul_f32_e32 v5, v1, v5
	v_fmac_f32_e32 v5, v2, v6
	v_fmac_f32_e32 v5, v3, v7
	v_fmac_f32_e32 v5, v4, v8
	v_mul_f32_e32 v6, v1, v57
	v_fmac_f32_e32 v6, v2, v58
	v_fmac_f32_e32 v6, v3, v59
	v_fmac_f32_e32 v6, v4, v60
	;; [unrolled: 4-line block ×4, first 2 shown]
	v_add_u32_e32 v0, 64, v0
	s_waitcnt vmcnt(3)
	v_mul_f32_e32 v10, v1, v42
	s_waitcnt vmcnt(2)
	v_fmac_f32_e32 v10, v2, v43
	s_waitcnt vmcnt(1)
	v_fmac_f32_e32 v10, v3, v44
	s_waitcnt vmcnt(0)
	v_fmac_f32_e32 v10, v4, v45
	buffer_load_dword v42, off, s[40:43], 0 offset:144 ; 4-byte Folded Reload
	buffer_load_dword v43, off, s[40:43], 0 offset:148 ; 4-byte Folded Reload
	buffer_load_dword v44, off, s[40:43], 0 offset:152 ; 4-byte Folded Reload
	buffer_load_dword v45, off, s[40:43], 0 offset:156 ; 4-byte Folded Reload
	s_waitcnt vmcnt(3)
	v_mul_f32_e32 v11, v1, v42
	s_waitcnt vmcnt(2)
	v_fmac_f32_e32 v11, v2, v43
	s_waitcnt vmcnt(1)
	v_fmac_f32_e32 v11, v3, v44
	s_waitcnt vmcnt(0)
	v_fmac_f32_e32 v11, v4, v45
	buffer_load_dword v42, off, s[40:43], 0 offset:128 ; 4-byte Folded Reload
	buffer_load_dword v43, off, s[40:43], 0 offset:132 ; 4-byte Folded Reload
	buffer_load_dword v44, off, s[40:43], 0 offset:136 ; 4-byte Folded Reload
	buffer_load_dword v45, off, s[40:43], 0 offset:140 ; 4-byte Folded Reload
	;; [unrolled: 12-line block ×5, first 2 shown]
	buffer_load_dword v18, off, s[40:43], 0 offset:192 ; 4-byte Folded Reload
	s_waitcnt vmcnt(4)
	v_mul_f32_e32 v16, v1, v42
	s_waitcnt vmcnt(3)
	v_fmac_f32_e32 v16, v2, v43
	s_waitcnt vmcnt(2)
	v_fmac_f32_e32 v16, v3, v44
	;; [unrolled: 2-line block ×3, first 2 shown]
	s_waitcnt vmcnt(0)
	v_add_f32_e32 v18, v18, v41
	buffer_store_dword v18, off, s[40:43], 0 offset:192 ; 4-byte Folded Spill
	buffer_load_dword v18, off, s[40:43], 0 offset:208 ; 4-byte Folded Reload
	s_waitcnt vmcnt(0)
	v_add_f32_e32 v18, v18, v37
	buffer_store_dword v18, off, s[40:43], 0 offset:208 ; 4-byte Folded Spill
	buffer_load_dword v18, off, s[40:43], 0 offset:224 ; 4-byte Folded Reload
	;; [unrolled: 4-line block ×5, first 2 shown]
	s_waitcnt vmcnt(0)
	v_add_f32_e32 v18, v18, v17
	buffer_load_dword v17, off, s[40:43], 0 offset:276 ; 4-byte Folded Reload
	s_waitcnt vmcnt(0)
	v_add_f32_e32 v17, v17, v13
	buffer_load_dword v13, off, s[40:43], 0 offset:280 ; 4-byte Folded Reload
	;; [unrolled: 3-line block ×4, first 2 shown]
	s_nop 0
	buffer_store_dword v9, off, s[40:43], 0 offset:284 ; 4-byte Folded Spill
	buffer_load_dword v9, off, s[40:43], 0 offset:340 ; 4-byte Folded Reload
	s_waitcnt vmcnt(2)
	v_add_f32_e32 v5, v5, v6
	buffer_store_dword v5, off, s[40:43], 0 offset:288 ; 4-byte Folded Spill
	buffer_load_dword v5, off, s[40:43], 0 offset:292 ; 4-byte Folded Reload
	s_waitcnt vmcnt(2)
	v_add_f32_e32 v9, v9, v15
	buffer_store_dword v18, off, s[40:43], 0 offset:260 ; 4-byte Folded Spill
	buffer_store_dword v17, off, s[40:43], 0 offset:276 ; 4-byte Folded Spill
	;; [unrolled: 1-line block ×3, first 2 shown]
	s_waitcnt vmcnt(3)
	v_add_f32_e32 v5, v5, v7
	buffer_store_dword v5, off, s[40:43], 0 offset:292 ; 4-byte Folded Spill
	buffer_load_dword v5, off, s[40:43], 0 offset:296 ; 4-byte Folded Reload
	s_waitcnt vmcnt(0)
	v_add_f32_e32 v5, v5, v8
	buffer_store_dword v5, off, s[40:43], 0 offset:296 ; 4-byte Folded Spill
	buffer_load_dword v5, off, s[40:43], 0 offset:300 ; 4-byte Folded Reload
	;; [unrolled: 4-line block ×3, first 2 shown]
	s_nop 0
	buffer_load_dword v10, off, s[40:43], 0 offset:344 ; 4-byte Folded Reload
	s_waitcnt vmcnt(1)
	v_add_f32_e32 v5, v5, v11
	buffer_store_dword v5, off, s[40:43], 0 offset:304 ; 4-byte Folded Spill
	buffer_load_dword v5, off, s[40:43], 0 offset:308 ; 4-byte Folded Reload
	s_waitcnt vmcnt(2)
	v_add_f32_e32 v10, v10, v16
	s_waitcnt vmcnt(0)
	v_add_f32_e32 v5, v5, v12
	buffer_store_dword v5, off, s[40:43], 0 offset:308 ; 4-byte Folded Spill
	buffer_load_dword v5, off, s[40:43], 0 offset:312 ; 4-byte Folded Reload
	s_waitcnt vmcnt(0)
	v_add_f32_e32 v5, v5, v14
	buffer_store_dword v5, off, s[40:43], 0 offset:312 ; 4-byte Folded Spill
	buffer_load_dword v5, off, s[40:43], 0 offset:64 ; 4-byte Folded Reload
	s_nop 0
	buffer_load_dword v6, off, s[40:43], 0 offset:68 ; 4-byte Folded Reload
	buffer_load_dword v7, off, s[40:43], 0 offset:72 ; 4-byte Folded Reload
	buffer_load_dword v8, off, s[40:43], 0 offset:76 ; 4-byte Folded Reload
	s_waitcnt vmcnt(3)
	v_mul_f32_e32 v5, v1, v5
	s_waitcnt vmcnt(2)
	v_fmac_f32_e32 v5, v2, v6
	buffer_load_dword v6, off, s[40:43], 0 offset:316 ; 4-byte Folded Reload
	s_waitcnt vmcnt(2)
	v_fmac_f32_e32 v5, v3, v7
	s_waitcnt vmcnt(1)
	v_fmac_f32_e32 v5, v4, v8
	s_waitcnt vmcnt(0)
	v_add_f32_e32 v6, v6, v5
	buffer_store_dword v6, off, s[40:43], 0 offset:316 ; 4-byte Folded Spill
	buffer_load_dword v5, off, s[40:43], 0 offset:48 ; 4-byte Folded Reload
	s_nop 0
	buffer_load_dword v6, off, s[40:43], 0 offset:52 ; 4-byte Folded Reload
	buffer_load_dword v7, off, s[40:43], 0 offset:56 ; 4-byte Folded Reload
	buffer_load_dword v8, off, s[40:43], 0 offset:60 ; 4-byte Folded Reload
	s_waitcnt vmcnt(3)
	v_mul_f32_e32 v5, v1, v5
	s_waitcnt vmcnt(2)
	v_fmac_f32_e32 v5, v2, v6
	buffer_load_dword v6, off, s[40:43], 0 offset:320 ; 4-byte Folded Reload
	s_waitcnt vmcnt(2)
	v_fmac_f32_e32 v5, v3, v7
	s_waitcnt vmcnt(1)
	v_fmac_f32_e32 v5, v4, v8
	;; [unrolled: 17-line block ×4, first 2 shown]
	s_waitcnt vmcnt(0)
	v_add_f32_e32 v6, v6, v5
	buffer_store_dword v6, off, s[40:43], 0 offset:332 ; 4-byte Folded Spill
	buffer_load_dword v5, off, s[40:43], 0  ; 4-byte Folded Reload
	s_nop 0
	buffer_load_dword v6, off, s[40:43], 0 offset:4 ; 4-byte Folded Reload
	buffer_load_dword v7, off, s[40:43], 0 offset:8 ; 4-byte Folded Reload
	;; [unrolled: 1-line block ×4, first 2 shown]
	s_waitcnt vmcnt(4)
	v_mul_f32_e32 v5, v1, v5
	s_waitcnt vmcnt(3)
	v_fmac_f32_e32 v5, v2, v6
	buffer_load_dword v6, off, s[40:43], 0 offset:328 ; 4-byte Folded Reload
	v_mul_f32_e32 v1, v1, v21
	v_fmac_f32_e32 v1, v2, v22
	s_waitcnt vmcnt(3)
	v_fmac_f32_e32 v5, v3, v7
	v_fmac_f32_e32 v1, v3, v23
	buffer_load_dword v3, off, s[40:43], 0 offset:348 ; 4-byte Folded Reload
	buffer_load_dword v2, off, s[40:43], 0 offset:176 ; 4-byte Folded Reload
	s_waitcnt vmcnt(4)
	v_fmac_f32_e32 v5, v4, v8
	v_fmac_f32_e32 v1, v4, v24
	s_waitcnt vmcnt(3)
	v_add_u32_e32 v52, 2, v52
	v_cmp_le_i32_e32 vcc, s12, v52
	s_or_b64 s[4:5], vcc, s[4:5]
	v_add_co_u32_e32 v61, vcc, 8, v61
	v_addc_co_u32_e32 v62, vcc, 0, v62, vcc
	s_waitcnt vmcnt(2)
	v_add_f32_e32 v6, v6, v5
	buffer_store_dword v6, off, s[40:43], 0 offset:328 ; 4-byte Folded Spill
	s_waitcnt vmcnt(2)
	v_add_u32_e32 v3, 0x100, v3
	s_waitcnt vmcnt(1)
	v_add_f32_e32 v2, v2, v1
	buffer_store_dword v2, off, s[40:43], 0 offset:176 ; 4-byte Folded Spill
	s_andn2_b64 exec, exec, s[4:5]
	s_cbranch_execz .LBB52_78
.LBB52_30:                              ; =>This Inner Loop Header: Depth=1
	buffer_store_dword v10, off, s[40:43], 0 offset:344 ; 4-byte Folded Spill
	buffer_store_dword v9, off, s[40:43], 0 offset:340 ; 4-byte Folded Spill
	global_load_dword v1, v[61:62], off
	v_add_u32_e32 v46, -2, v0
	v_add_u32_e32 v45, -1, v0
	s_waitcnt vmcnt(0)
	v_mad_i64_i32 v[1:2], s[0:1], v1, s13, 0
	v_cmp_eq_u32_e64 s[0:1], s15, v52
	v_lshlrev_b64 v[1:2], 2, v[1:2]
	v_add_co_u32_e32 v9, vcc, s14, v1
	buffer_load_dword v1, off, s[40:43], 0 offset:352 ; 4-byte Folded Reload
	s_waitcnt vmcnt(0)
	v_addc_co_u32_e32 v10, vcc, v1, v2, vcc
	buffer_load_dword v1, off, s[40:43], 0 offset:356 ; 4-byte Folded Reload
	s_waitcnt vmcnt(0)
	v_add_co_u32_e32 v21, vcc, v9, v1
	v_addc_co_u32_e32 v22, vcc, 0, v10, vcc
	global_load_dwordx4 v[4:7], v[21:22], off
	s_waitcnt vmcnt(0)
	buffer_store_dword v4, off, s[40:43], 0 ; 4-byte Folded Spill
	s_nop 0
	buffer_store_dword v5, off, s[40:43], 0 offset:4 ; 4-byte Folded Spill
	buffer_store_dword v6, off, s[40:43], 0 offset:8 ; 4-byte Folded Spill
	;; [unrolled: 1-line block ×4, first 2 shown]
	ds_read_b128 v[1:4], v3
	buffer_store_dword v52, off, s[40:43], 0 offset:336 ; 4-byte Folded Spill
	s_and_saveexec_b64 s[6:7], s[0:1]
	s_cbranch_execz .LBB52_32
; %bb.31:                               ;   in Loop: Header=BB52_30 Depth=1
	v_add_u32_e32 v5, -3, v0
	v_cmp_gt_i32_e32 vcc, s33, v5
	buffer_load_dword v5, off, s[40:43], 0  ; 4-byte Folded Reload
	buffer_load_dword v6, off, s[40:43], 0 offset:4 ; 4-byte Folded Reload
	buffer_load_dword v7, off, s[40:43], 0 offset:8 ; 4-byte Folded Reload
	;; [unrolled: 1-line block ×3, first 2 shown]
	s_waitcnt vmcnt(3)
	v_cndmask_b32_e32 v5, 0, v5, vcc
	v_cmp_gt_i32_e32 vcc, s33, v46
	s_waitcnt vmcnt(2)
	v_cndmask_b32_e32 v6, 0, v6, vcc
	v_cmp_gt_i32_e32 vcc, s33, v45
	;; [unrolled: 3-line block ×3, first 2 shown]
	s_waitcnt vmcnt(0)
	v_cndmask_b32_e32 v8, 0, v8, vcc
	buffer_store_dword v5, off, s[40:43], 0 ; 4-byte Folded Spill
	s_nop 0
	buffer_store_dword v6, off, s[40:43], 0 offset:4 ; 4-byte Folded Spill
	buffer_store_dword v7, off, s[40:43], 0 offset:8 ; 4-byte Folded Spill
	;; [unrolled: 1-line block ×3, first 2 shown]
.LBB52_32:                              ;   in Loop: Header=BB52_30 Depth=1
	s_or_b64 exec, exec, s[6:7]
	global_load_dwordx4 v[5:8], v[21:22], off offset:1024
	s_waitcnt vmcnt(0)
	buffer_store_dword v5, off, s[40:43], 0 offset:16 ; 4-byte Folded Spill
	s_nop 0
	buffer_store_dword v6, off, s[40:43], 0 offset:20 ; 4-byte Folded Spill
	buffer_store_dword v7, off, s[40:43], 0 offset:24 ; 4-byte Folded Spill
	buffer_store_dword v8, off, s[40:43], 0 offset:28 ; 4-byte Folded Spill
	s_and_saveexec_b64 s[6:7], s[0:1]
	s_cbranch_execz .LBB52_34
; %bb.33:                               ;   in Loop: Header=BB52_30 Depth=1
	v_add_u32_e32 v5, -3, v0
	v_cmp_gt_i32_e32 vcc, s33, v5
	buffer_load_dword v5, off, s[40:43], 0 offset:16 ; 4-byte Folded Reload
	buffer_load_dword v6, off, s[40:43], 0 offset:20 ; 4-byte Folded Reload
	buffer_load_dword v7, off, s[40:43], 0 offset:24 ; 4-byte Folded Reload
	buffer_load_dword v8, off, s[40:43], 0 offset:28 ; 4-byte Folded Reload
	s_waitcnt vmcnt(3)
	v_cndmask_b32_e32 v5, 0, v5, vcc
	v_cmp_gt_i32_e32 vcc, s33, v46
	s_waitcnt vmcnt(2)
	v_cndmask_b32_e32 v6, 0, v6, vcc
	v_cmp_gt_i32_e32 vcc, s33, v45
	s_waitcnt vmcnt(1)
	v_cndmask_b32_e32 v7, 0, v7, vcc
	v_cmp_gt_i32_e32 vcc, s33, v0
	s_waitcnt vmcnt(0)
	v_cndmask_b32_e32 v8, 0, v8, vcc
	buffer_store_dword v5, off, s[40:43], 0 offset:16 ; 4-byte Folded Spill
	s_nop 0
	buffer_store_dword v6, off, s[40:43], 0 offset:20 ; 4-byte Folded Spill
	buffer_store_dword v7, off, s[40:43], 0 offset:24 ; 4-byte Folded Spill
	buffer_store_dword v8, off, s[40:43], 0 offset:28 ; 4-byte Folded Spill
.LBB52_34:                              ;   in Loop: Header=BB52_30 Depth=1
	s_or_b64 exec, exec, s[6:7]
	global_load_dwordx4 v[5:8], v[21:22], off offset:2048
	s_waitcnt vmcnt(0)
	buffer_store_dword v5, off, s[40:43], 0 offset:32 ; 4-byte Folded Spill
	s_nop 0
	buffer_store_dword v6, off, s[40:43], 0 offset:36 ; 4-byte Folded Spill
	buffer_store_dword v7, off, s[40:43], 0 offset:40 ; 4-byte Folded Spill
	buffer_store_dword v8, off, s[40:43], 0 offset:44 ; 4-byte Folded Spill
	s_and_saveexec_b64 s[6:7], s[0:1]
	s_cbranch_execz .LBB52_36
; %bb.35:                               ;   in Loop: Header=BB52_30 Depth=1
	v_add_u32_e32 v5, -3, v0
	v_cmp_gt_i32_e32 vcc, s33, v5
	buffer_load_dword v5, off, s[40:43], 0 offset:32 ; 4-byte Folded Reload
	buffer_load_dword v6, off, s[40:43], 0 offset:36 ; 4-byte Folded Reload
	buffer_load_dword v7, off, s[40:43], 0 offset:40 ; 4-byte Folded Reload
	buffer_load_dword v8, off, s[40:43], 0 offset:44 ; 4-byte Folded Reload
	s_waitcnt vmcnt(3)
	v_cndmask_b32_e32 v5, 0, v5, vcc
	v_cmp_gt_i32_e32 vcc, s33, v46
	s_waitcnt vmcnt(2)
	v_cndmask_b32_e32 v6, 0, v6, vcc
	v_cmp_gt_i32_e32 vcc, s33, v45
	s_waitcnt vmcnt(1)
	v_cndmask_b32_e32 v7, 0, v7, vcc
	v_cmp_gt_i32_e32 vcc, s33, v0
	s_waitcnt vmcnt(0)
	v_cndmask_b32_e32 v8, 0, v8, vcc
	buffer_store_dword v5, off, s[40:43], 0 offset:32 ; 4-byte Folded Spill
	s_nop 0
	buffer_store_dword v6, off, s[40:43], 0 offset:36 ; 4-byte Folded Spill
	buffer_store_dword v7, off, s[40:43], 0 offset:40 ; 4-byte Folded Spill
	buffer_store_dword v8, off, s[40:43], 0 offset:44 ; 4-byte Folded Spill
.LBB52_36:                              ;   in Loop: Header=BB52_30 Depth=1
	;; [unrolled: 34-line block ×3, first 2 shown]
	s_or_b64 exec, exec, s[6:7]
	v_add_co_u32_e32 v5, vcc, 0x1000, v21
	v_addc_co_u32_e32 v6, vcc, 0, v22, vcc
	global_load_dwordx4 v[5:8], v[5:6], off
	s_waitcnt vmcnt(0)
	buffer_store_dword v5, off, s[40:43], 0 offset:64 ; 4-byte Folded Spill
	s_nop 0
	buffer_store_dword v6, off, s[40:43], 0 offset:68 ; 4-byte Folded Spill
	buffer_store_dword v7, off, s[40:43], 0 offset:72 ; 4-byte Folded Spill
	buffer_store_dword v8, off, s[40:43], 0 offset:76 ; 4-byte Folded Spill
	s_and_saveexec_b64 s[6:7], s[0:1]
	s_cbranch_execz .LBB52_40
; %bb.39:                               ;   in Loop: Header=BB52_30 Depth=1
	v_add_u32_e32 v5, -3, v0
	v_cmp_gt_i32_e32 vcc, s33, v5
	buffer_load_dword v5, off, s[40:43], 0 offset:64 ; 4-byte Folded Reload
	buffer_load_dword v6, off, s[40:43], 0 offset:68 ; 4-byte Folded Reload
	buffer_load_dword v7, off, s[40:43], 0 offset:72 ; 4-byte Folded Reload
	buffer_load_dword v8, off, s[40:43], 0 offset:76 ; 4-byte Folded Reload
	s_waitcnt vmcnt(3)
	v_cndmask_b32_e32 v5, 0, v5, vcc
	v_cmp_gt_i32_e32 vcc, s33, v46
	s_waitcnt vmcnt(2)
	v_cndmask_b32_e32 v6, 0, v6, vcc
	v_cmp_gt_i32_e32 vcc, s33, v45
	s_waitcnt vmcnt(1)
	v_cndmask_b32_e32 v7, 0, v7, vcc
	v_cmp_gt_i32_e32 vcc, s33, v0
	s_waitcnt vmcnt(0)
	v_cndmask_b32_e32 v8, 0, v8, vcc
	buffer_store_dword v5, off, s[40:43], 0 offset:64 ; 4-byte Folded Spill
	s_nop 0
	buffer_store_dword v6, off, s[40:43], 0 offset:68 ; 4-byte Folded Spill
	buffer_store_dword v7, off, s[40:43], 0 offset:72 ; 4-byte Folded Spill
	buffer_store_dword v8, off, s[40:43], 0 offset:76 ; 4-byte Folded Spill
.LBB52_40:                              ;   in Loop: Header=BB52_30 Depth=1
	s_or_b64 exec, exec, s[6:7]
	v_add_co_u32_e32 v5, vcc, 0x1000, v21
	v_addc_co_u32_e32 v6, vcc, 0, v22, vcc
	global_load_dwordx4 v[5:8], v[5:6], off offset:1024
	s_waitcnt vmcnt(0)
	buffer_store_dword v5, off, s[40:43], 0 offset:80 ; 4-byte Folded Spill
	s_nop 0
	buffer_store_dword v6, off, s[40:43], 0 offset:84 ; 4-byte Folded Spill
	buffer_store_dword v7, off, s[40:43], 0 offset:88 ; 4-byte Folded Spill
	buffer_store_dword v8, off, s[40:43], 0 offset:92 ; 4-byte Folded Spill
	s_and_saveexec_b64 s[6:7], s[0:1]
	s_cbranch_execz .LBB52_42
; %bb.41:                               ;   in Loop: Header=BB52_30 Depth=1
	v_add_u32_e32 v5, -3, v0
	v_cmp_gt_i32_e32 vcc, s33, v5
	buffer_load_dword v5, off, s[40:43], 0 offset:80 ; 4-byte Folded Reload
	buffer_load_dword v6, off, s[40:43], 0 offset:84 ; 4-byte Folded Reload
	buffer_load_dword v7, off, s[40:43], 0 offset:88 ; 4-byte Folded Reload
	buffer_load_dword v8, off, s[40:43], 0 offset:92 ; 4-byte Folded Reload
	s_waitcnt vmcnt(3)
	v_cndmask_b32_e32 v5, 0, v5, vcc
	v_cmp_gt_i32_e32 vcc, s33, v46
	s_waitcnt vmcnt(2)
	v_cndmask_b32_e32 v6, 0, v6, vcc
	v_cmp_gt_i32_e32 vcc, s33, v45
	s_waitcnt vmcnt(1)
	v_cndmask_b32_e32 v7, 0, v7, vcc
	v_cmp_gt_i32_e32 vcc, s33, v0
	s_waitcnt vmcnt(0)
	v_cndmask_b32_e32 v8, 0, v8, vcc
	buffer_store_dword v5, off, s[40:43], 0 offset:80 ; 4-byte Folded Spill
	s_nop 0
	buffer_store_dword v6, off, s[40:43], 0 offset:84 ; 4-byte Folded Spill
	buffer_store_dword v7, off, s[40:43], 0 offset:88 ; 4-byte Folded Spill
	buffer_store_dword v8, off, s[40:43], 0 offset:92 ; 4-byte Folded Spill
.LBB52_42:                              ;   in Loop: Header=BB52_30 Depth=1
	s_or_b64 exec, exec, s[6:7]
	v_add_co_u32_e32 v5, vcc, 0x1000, v21
	v_addc_co_u32_e32 v6, vcc, 0, v22, vcc
	global_load_dwordx4 v[5:8], v[5:6], off offset:2048
	;; [unrolled: 36-line block ×3, first 2 shown]
	s_waitcnt vmcnt(0)
	buffer_store_dword v5, off, s[40:43], 0 offset:112 ; 4-byte Folded Spill
	s_nop 0
	buffer_store_dword v6, off, s[40:43], 0 offset:116 ; 4-byte Folded Spill
	buffer_store_dword v7, off, s[40:43], 0 offset:120 ; 4-byte Folded Spill
	;; [unrolled: 1-line block ×3, first 2 shown]
	s_and_saveexec_b64 s[6:7], s[0:1]
	s_cbranch_execz .LBB52_46
; %bb.45:                               ;   in Loop: Header=BB52_30 Depth=1
	v_add_u32_e32 v5, -3, v0
	v_cmp_gt_i32_e32 vcc, s33, v5
	buffer_load_dword v5, off, s[40:43], 0 offset:112 ; 4-byte Folded Reload
	buffer_load_dword v6, off, s[40:43], 0 offset:116 ; 4-byte Folded Reload
	;; [unrolled: 1-line block ×4, first 2 shown]
	s_waitcnt vmcnt(3)
	v_cndmask_b32_e32 v5, 0, v5, vcc
	v_cmp_gt_i32_e32 vcc, s33, v46
	s_waitcnt vmcnt(2)
	v_cndmask_b32_e32 v6, 0, v6, vcc
	v_cmp_gt_i32_e32 vcc, s33, v45
	;; [unrolled: 3-line block ×3, first 2 shown]
	s_waitcnt vmcnt(0)
	v_cndmask_b32_e32 v8, 0, v8, vcc
	buffer_store_dword v5, off, s[40:43], 0 offset:112 ; 4-byte Folded Spill
	s_nop 0
	buffer_store_dword v6, off, s[40:43], 0 offset:116 ; 4-byte Folded Spill
	buffer_store_dword v7, off, s[40:43], 0 offset:120 ; 4-byte Folded Spill
	;; [unrolled: 1-line block ×3, first 2 shown]
.LBB52_46:                              ;   in Loop: Header=BB52_30 Depth=1
	s_or_b64 exec, exec, s[6:7]
	v_add_co_u32_e32 v5, vcc, 0x2000, v21
	v_addc_co_u32_e32 v6, vcc, 0, v22, vcc
	global_load_dwordx4 v[5:8], v[5:6], off
	s_waitcnt vmcnt(0)
	buffer_store_dword v5, off, s[40:43], 0 offset:128 ; 4-byte Folded Spill
	s_nop 0
	buffer_store_dword v6, off, s[40:43], 0 offset:132 ; 4-byte Folded Spill
	buffer_store_dword v7, off, s[40:43], 0 offset:136 ; 4-byte Folded Spill
	buffer_store_dword v8, off, s[40:43], 0 offset:140 ; 4-byte Folded Spill
	s_and_saveexec_b64 s[6:7], s[0:1]
	s_cbranch_execz .LBB52_48
; %bb.47:                               ;   in Loop: Header=BB52_30 Depth=1
	v_add_u32_e32 v5, -3, v0
	v_cmp_gt_i32_e32 vcc, s33, v5
	buffer_load_dword v5, off, s[40:43], 0 offset:128 ; 4-byte Folded Reload
	buffer_load_dword v6, off, s[40:43], 0 offset:132 ; 4-byte Folded Reload
	buffer_load_dword v7, off, s[40:43], 0 offset:136 ; 4-byte Folded Reload
	buffer_load_dword v8, off, s[40:43], 0 offset:140 ; 4-byte Folded Reload
	s_waitcnt vmcnt(3)
	v_cndmask_b32_e32 v5, 0, v5, vcc
	v_cmp_gt_i32_e32 vcc, s33, v46
	s_waitcnt vmcnt(2)
	v_cndmask_b32_e32 v6, 0, v6, vcc
	v_cmp_gt_i32_e32 vcc, s33, v45
	s_waitcnt vmcnt(1)
	v_cndmask_b32_e32 v7, 0, v7, vcc
	v_cmp_gt_i32_e32 vcc, s33, v0
	s_waitcnt vmcnt(0)
	v_cndmask_b32_e32 v8, 0, v8, vcc
	buffer_store_dword v5, off, s[40:43], 0 offset:128 ; 4-byte Folded Spill
	s_nop 0
	buffer_store_dword v6, off, s[40:43], 0 offset:132 ; 4-byte Folded Spill
	buffer_store_dword v7, off, s[40:43], 0 offset:136 ; 4-byte Folded Spill
	buffer_store_dword v8, off, s[40:43], 0 offset:140 ; 4-byte Folded Spill
.LBB52_48:                              ;   in Loop: Header=BB52_30 Depth=1
	s_or_b64 exec, exec, s[6:7]
	v_add_co_u32_e32 v5, vcc, 0x2000, v21
	v_addc_co_u32_e32 v6, vcc, 0, v22, vcc
	global_load_dwordx4 v[5:8], v[5:6], off offset:1024
	s_waitcnt vmcnt(0)
	buffer_store_dword v5, off, s[40:43], 0 offset:144 ; 4-byte Folded Spill
	s_nop 0
	buffer_store_dword v6, off, s[40:43], 0 offset:148 ; 4-byte Folded Spill
	buffer_store_dword v7, off, s[40:43], 0 offset:152 ; 4-byte Folded Spill
	buffer_store_dword v8, off, s[40:43], 0 offset:156 ; 4-byte Folded Spill
	s_and_saveexec_b64 s[6:7], s[0:1]
	s_cbranch_execz .LBB52_50
; %bb.49:                               ;   in Loop: Header=BB52_30 Depth=1
	v_add_u32_e32 v5, -3, v0
	v_cmp_gt_i32_e32 vcc, s33, v5
	buffer_load_dword v5, off, s[40:43], 0 offset:144 ; 4-byte Folded Reload
	buffer_load_dword v6, off, s[40:43], 0 offset:148 ; 4-byte Folded Reload
	buffer_load_dword v7, off, s[40:43], 0 offset:152 ; 4-byte Folded Reload
	buffer_load_dword v8, off, s[40:43], 0 offset:156 ; 4-byte Folded Reload
	s_waitcnt vmcnt(3)
	v_cndmask_b32_e32 v5, 0, v5, vcc
	v_cmp_gt_i32_e32 vcc, s33, v46
	s_waitcnt vmcnt(2)
	v_cndmask_b32_e32 v6, 0, v6, vcc
	v_cmp_gt_i32_e32 vcc, s33, v45
	s_waitcnt vmcnt(1)
	v_cndmask_b32_e32 v7, 0, v7, vcc
	v_cmp_gt_i32_e32 vcc, s33, v0
	s_waitcnt vmcnt(0)
	v_cndmask_b32_e32 v8, 0, v8, vcc
	buffer_store_dword v5, off, s[40:43], 0 offset:144 ; 4-byte Folded Spill
	s_nop 0
	buffer_store_dword v6, off, s[40:43], 0 offset:148 ; 4-byte Folded Spill
	buffer_store_dword v7, off, s[40:43], 0 offset:152 ; 4-byte Folded Spill
	buffer_store_dword v8, off, s[40:43], 0 offset:156 ; 4-byte Folded Spill
.LBB52_50:                              ;   in Loop: Header=BB52_30 Depth=1
	s_or_b64 exec, exec, s[6:7]
	v_add_co_u32_e32 v5, vcc, 0x2000, v21
	v_addc_co_u32_e32 v6, vcc, 0, v22, vcc
	global_load_dwordx4 v[5:8], v[5:6], off offset:2048
	;; [unrolled: 36-line block ×3, first 2 shown]
	s_and_saveexec_b64 s[6:7], s[0:1]
	s_cbranch_execz .LBB52_54
; %bb.53:                               ;   in Loop: Header=BB52_30 Depth=1
	v_add_u32_e32 v5, -3, v0
	v_cmp_gt_i32_e32 vcc, s33, v5
	s_waitcnt vmcnt(0)
	v_cndmask_b32_e32 v49, 0, v49, vcc
	v_cmp_gt_i32_e32 vcc, s33, v46
	v_cndmask_b32_e32 v50, 0, v50, vcc
	v_cmp_gt_i32_e32 vcc, s33, v45
	;; [unrolled: 2-line block ×3, first 2 shown]
	v_cndmask_b32_e32 v52, 0, v52, vcc
.LBB52_54:                              ;   in Loop: Header=BB52_30 Depth=1
	s_or_b64 exec, exec, s[6:7]
	v_add_co_u32_e32 v5, vcc, 0x3000, v21
	v_addc_co_u32_e32 v6, vcc, 0, v22, vcc
	global_load_dwordx4 v[53:56], v[5:6], off
	s_and_saveexec_b64 s[6:7], s[0:1]
	s_cbranch_execz .LBB52_56
; %bb.55:                               ;   in Loop: Header=BB52_30 Depth=1
	v_add_u32_e32 v5, -3, v0
	v_cmp_gt_i32_e32 vcc, s33, v5
	s_waitcnt vmcnt(0)
	v_cndmask_b32_e32 v53, 0, v53, vcc
	v_cmp_gt_i32_e32 vcc, s33, v46
	v_cndmask_b32_e32 v54, 0, v54, vcc
	v_cmp_gt_i32_e32 vcc, s33, v45
	;; [unrolled: 2-line block ×3, first 2 shown]
	v_cndmask_b32_e32 v56, 0, v56, vcc
.LBB52_56:                              ;   in Loop: Header=BB52_30 Depth=1
	s_or_b64 exec, exec, s[6:7]
	v_add_co_u32_e32 v5, vcc, 0x3000, v21
	v_addc_co_u32_e32 v6, vcc, 0, v22, vcc
	global_load_dwordx4 v[57:60], v[5:6], off offset:1024
	s_and_saveexec_b64 s[6:7], s[0:1]
	s_cbranch_execz .LBB52_58
; %bb.57:                               ;   in Loop: Header=BB52_30 Depth=1
	v_add_u32_e32 v5, -3, v0
	v_cmp_gt_i32_e32 vcc, s33, v5
	s_waitcnt vmcnt(0)
	v_cndmask_b32_e32 v57, 0, v57, vcc
	v_cmp_gt_i32_e32 vcc, s33, v46
	v_cndmask_b32_e32 v58, 0, v58, vcc
	v_cmp_gt_i32_e32 vcc, s33, v45
	;; [unrolled: 2-line block ×3, first 2 shown]
	v_cndmask_b32_e32 v60, 0, v60, vcc
.LBB52_58:                              ;   in Loop: Header=BB52_30 Depth=1
	s_or_b64 exec, exec, s[6:7]
	v_add_co_u32_e32 v5, vcc, 0x3000, v21
	v_addc_co_u32_e32 v6, vcc, 0, v22, vcc
	global_load_dwordx4 v[5:8], v[5:6], off offset:2048
	s_and_saveexec_b64 s[6:7], s[0:1]
	s_cbranch_execz .LBB52_60
; %bb.59:                               ;   in Loop: Header=BB52_30 Depth=1
	v_add_u32_e32 v11, -3, v0
	v_cmp_gt_i32_e32 vcc, s33, v11
	s_waitcnt vmcnt(0)
	v_cndmask_b32_e32 v5, 0, v5, vcc
	v_cmp_gt_i32_e32 vcc, s33, v46
	v_cndmask_b32_e32 v6, 0, v6, vcc
	v_cmp_gt_i32_e32 vcc, s33, v45
	;; [unrolled: 2-line block ×3, first 2 shown]
	v_cndmask_b32_e32 v8, 0, v8, vcc
.LBB52_60:                              ;   in Loop: Header=BB52_30 Depth=1
	s_or_b64 exec, exec, s[6:7]
	buffer_load_dword v11, off, s[40:43], 0 offset:360 ; 4-byte Folded Reload
	s_waitcnt vmcnt(0)
	v_add_co_u32_e32 v9, vcc, v9, v11
	v_addc_co_u32_e32 v10, vcc, 0, v10, vcc
	global_load_dwordx4 v[9:12], v[9:10], off
	s_and_saveexec_b64 s[6:7], s[0:1]
	s_cbranch_execz .LBB52_62
; %bb.61:                               ;   in Loop: Header=BB52_30 Depth=1
	v_add_u32_e32 v13, -3, v0
	v_cmp_gt_i32_e32 vcc, s33, v13
	s_waitcnt vmcnt(0)
	v_cndmask_b32_e32 v9, 0, v9, vcc
	v_cmp_gt_i32_e32 vcc, s33, v46
	v_cndmask_b32_e32 v10, 0, v10, vcc
	v_cmp_gt_i32_e32 vcc, s33, v45
	;; [unrolled: 2-line block ×3, first 2 shown]
	v_cndmask_b32_e32 v12, 0, v12, vcc
.LBB52_62:                              ;   in Loop: Header=BB52_30 Depth=1
	s_or_b64 exec, exec, s[6:7]
	v_add_co_u32_e32 v13, vcc, 0x4000, v21
	v_addc_co_u32_e32 v14, vcc, 0, v22, vcc
	global_load_dwordx4 v[13:16], v[13:14], off
	s_and_saveexec_b64 s[6:7], s[0:1]
	s_cbranch_execz .LBB52_64
; %bb.63:                               ;   in Loop: Header=BB52_30 Depth=1
	v_add_u32_e32 v17, -3, v0
	v_cmp_gt_i32_e32 vcc, s33, v17
	s_waitcnt vmcnt(0)
	v_cndmask_b32_e32 v13, 0, v13, vcc
	v_cmp_gt_i32_e32 vcc, s33, v46
	v_cndmask_b32_e32 v14, 0, v14, vcc
	v_cmp_gt_i32_e32 vcc, s33, v45
	v_cndmask_b32_e32 v15, 0, v15, vcc
	v_cmp_gt_i32_e32 vcc, s33, v0
	v_cndmask_b32_e32 v16, 0, v16, vcc
.LBB52_64:                              ;   in Loop: Header=BB52_30 Depth=1
	s_or_b64 exec, exec, s[6:7]
	v_add_co_u32_e32 v17, vcc, 0x4000, v21
	v_addc_co_u32_e32 v18, vcc, 0, v22, vcc
	global_load_dwordx4 v[17:20], v[17:18], off offset:1024
	s_and_saveexec_b64 s[6:7], s[0:1]
	s_cbranch_execz .LBB52_66
; %bb.65:                               ;   in Loop: Header=BB52_30 Depth=1
	v_add_u32_e32 v23, -3, v0
	v_cmp_gt_i32_e32 vcc, s33, v23
	s_waitcnt vmcnt(0)
	v_cndmask_b32_e32 v17, 0, v17, vcc
	v_cmp_gt_i32_e32 vcc, s33, v46
	v_cndmask_b32_e32 v18, 0, v18, vcc
	v_cmp_gt_i32_e32 vcc, s33, v45
	v_cndmask_b32_e32 v19, 0, v19, vcc
	v_cmp_gt_i32_e32 vcc, s33, v0
	v_cndmask_b32_e32 v20, 0, v20, vcc
.LBB52_66:                              ;   in Loop: Header=BB52_30 Depth=1
	s_or_b64 exec, exec, s[6:7]
	v_add_co_u32_e32 v23, vcc, 0x4000, v21
	v_addc_co_u32_e32 v24, vcc, 0, v22, vcc
	global_load_dwordx4 v[25:28], v[23:24], off offset:2048
	;; [unrolled: 18-line block ×3, first 2 shown]
	s_and_saveexec_b64 s[6:7], s[0:1]
	s_cbranch_execz .LBB52_70
; %bb.69:                               ;   in Loop: Header=BB52_30 Depth=1
	v_add_u32_e32 v23, -3, v0
	v_cmp_gt_i32_e32 vcc, s33, v23
	s_waitcnt vmcnt(0)
	v_cndmask_b32_e32 v29, 0, v29, vcc
	v_cmp_gt_i32_e32 vcc, s33, v46
	v_cndmask_b32_e32 v30, 0, v30, vcc
	v_cmp_gt_i32_e32 vcc, s33, v45
	;; [unrolled: 2-line block ×3, first 2 shown]
	v_cndmask_b32_e32 v32, 0, v32, vcc
.LBB52_70:                              ;   in Loop: Header=BB52_30 Depth=1
	s_or_b64 exec, exec, s[6:7]
	v_add_co_u32_e32 v23, vcc, 0x5000, v21
	v_addc_co_u32_e32 v24, vcc, 0, v22, vcc
	global_load_dwordx4 v[33:36], v[23:24], off
	s_and_saveexec_b64 s[6:7], s[0:1]
	s_cbranch_execz .LBB52_72
; %bb.71:                               ;   in Loop: Header=BB52_30 Depth=1
	v_add_u32_e32 v23, -3, v0
	v_cmp_gt_i32_e32 vcc, s33, v23
	s_waitcnt vmcnt(0)
	v_cndmask_b32_e32 v33, 0, v33, vcc
	v_cmp_gt_i32_e32 vcc, s33, v46
	v_cndmask_b32_e32 v34, 0, v34, vcc
	v_cmp_gt_i32_e32 vcc, s33, v45
	v_cndmask_b32_e32 v35, 0, v35, vcc
	v_cmp_gt_i32_e32 vcc, s33, v0
	v_cndmask_b32_e32 v36, 0, v36, vcc
.LBB52_72:                              ;   in Loop: Header=BB52_30 Depth=1
	s_or_b64 exec, exec, s[6:7]
	v_add_co_u32_e32 v23, vcc, 0x5000, v21
	v_addc_co_u32_e32 v24, vcc, 0, v22, vcc
	global_load_dwordx4 v[37:40], v[23:24], off offset:1024
	s_and_saveexec_b64 s[6:7], s[0:1]
	s_cbranch_execz .LBB52_74
; %bb.73:                               ;   in Loop: Header=BB52_30 Depth=1
	v_add_u32_e32 v23, -3, v0
	v_cmp_gt_i32_e32 vcc, s33, v23
	s_waitcnt vmcnt(0)
	v_cndmask_b32_e32 v37, 0, v37, vcc
	v_cmp_gt_i32_e32 vcc, s33, v46
	v_cndmask_b32_e32 v38, 0, v38, vcc
	v_cmp_gt_i32_e32 vcc, s33, v45
	v_cndmask_b32_e32 v39, 0, v39, vcc
	v_cmp_gt_i32_e32 vcc, s33, v0
	v_cndmask_b32_e32 v40, 0, v40, vcc
.LBB52_74:                              ;   in Loop: Header=BB52_30 Depth=1
	s_or_b64 exec, exec, s[6:7]
	v_add_co_u32_e32 v23, vcc, 0x5000, v21
	v_addc_co_u32_e32 v24, vcc, 0, v22, vcc
	global_load_dwordx4 v[41:44], v[23:24], off offset:2048
	;; [unrolled: 18-line block ×3, first 2 shown]
	s_and_saveexec_b64 s[6:7], s[0:1]
	s_cbranch_execz .LBB52_29
; %bb.77:                               ;   in Loop: Header=BB52_30 Depth=1
	v_add_u32_e32 v63, -3, v0
	v_cmp_gt_i32_e32 vcc, s33, v63
	s_waitcnt vmcnt(0)
	v_cndmask_b32_e32 v21, 0, v21, vcc
	v_cmp_gt_i32_e32 vcc, s33, v46
	v_cndmask_b32_e32 v22, 0, v22, vcc
	v_cmp_gt_i32_e32 vcc, s33, v45
	;; [unrolled: 2-line block ×3, first 2 shown]
	v_cndmask_b32_e32 v24, 0, v24, vcc
	s_branch .LBB52_29
.LBB52_78:
	s_or_b64 exec, exec, s[4:5]
	buffer_load_dword v30, off, s[40:43], 0 offset:364 ; 4-byte Folded Reload
	buffer_load_dword v31, off, s[40:43], 0 offset:368 ; 4-byte Folded Reload
	;; [unrolled: 1-line block ×28, first 2 shown]
.LBB52_79:
	s_or_b64 exec, exec, s[2:3]
	s_waitcnt vmcnt(0)
	ds_bpermute_b32 v1, v25, v6
	ds_bpermute_b32 v0, v25, v4
	;; [unrolled: 1-line block ×5, first 2 shown]
	s_waitcnt lgkmcnt(4)
	v_add_f32_e32 v1, v6, v1
	s_waitcnt lgkmcnt(3)
	v_add_f32_e32 v0, v4, v0
	;; [unrolled: 2-line block ×3, first 2 shown]
	ds_bpermute_b32 v5, v28, v1
	ds_bpermute_b32 v4, v28, v0
	;; [unrolled: 1-line block ×3, first 2 shown]
	s_waitcnt lgkmcnt(4)
	v_add_f32_e32 v3, v13, v3
	v_mov_b32_e32 v13, v9
	s_waitcnt lgkmcnt(2)
	v_add_f32_e32 v1, v1, v5
	s_waitcnt lgkmcnt(1)
	v_add_f32_e32 v0, v0, v4
	ds_bpermute_b32 v5, v32, v1
	ds_bpermute_b32 v4, v32, v0
	s_waitcnt lgkmcnt(2)
	v_add_f32_e32 v2, v2, v6
	ds_bpermute_b32 v6, v32, v2
	s_waitcnt lgkmcnt(0)
	v_add_f32_e32 v1, v1, v5
	v_add_f32_e32 v5, v8, v7
	;; [unrolled: 1-line block ×3, first 2 shown]
	ds_bpermute_b32 v4, v28, v3
	ds_bpermute_b32 v7, v28, v5
	v_add_f32_e32 v2, v2, v6
	s_waitcnt lgkmcnt(0)
	s_barrier
	v_add_f32_e32 v3, v3, v4
	v_add_f32_e32 v5, v5, v7
	ds_bpermute_b32 v4, v25, v10
	ds_bpermute_b32 v6, v32, v3
	;; [unrolled: 1-line block ×4, first 2 shown]
	s_waitcnt lgkmcnt(3)
	v_add_f32_e32 v9, v10, v4
	s_waitcnt lgkmcnt(2)
	v_add_f32_e32 v3, v3, v6
	;; [unrolled: 2-line block ×4, first 2 shown]
	ds_bpermute_b32 v8, v25, v11
	ds_bpermute_b32 v10, v28, v9
	;; [unrolled: 1-line block ×3, first 2 shown]
	s_waitcnt lgkmcnt(2)
	v_add_f32_e32 v8, v11, v8
	s_waitcnt lgkmcnt(1)
	v_add_f32_e32 v5, v9, v10
	;; [unrolled: 2-line block ×3, first 2 shown]
	ds_bpermute_b32 v7, v25, v12
	ds_bpermute_b32 v11, v28, v8
	;; [unrolled: 1-line block ×4, first 2 shown]
	s_waitcnt lgkmcnt(3)
	v_add_f32_e32 v7, v12, v7
	s_waitcnt lgkmcnt(2)
	v_add_f32_e32 v8, v8, v11
	;; [unrolled: 2-line block ×3, first 2 shown]
	ds_bpermute_b32 v9, v28, v7
	ds_bpermute_b32 v11, v32, v8
	;; [unrolled: 1-line block ×3, first 2 shown]
	s_waitcnt lgkmcnt(3)
	v_add_f32_e32 v6, v6, v10
	ds_bpermute_b32 v10, v25, v14
	s_waitcnt lgkmcnt(3)
	v_add_f32_e32 v9, v7, v9
	s_waitcnt lgkmcnt(2)
	v_add_f32_e32 v7, v8, v11
	;; [unrolled: 2-line block ×3, first 2 shown]
	ds_bpermute_b32 v12, v28, v11
	s_waitcnt lgkmcnt(1)
	v_add_f32_e32 v10, v14, v10
	ds_bpermute_b32 v13, v32, v9
	ds_bpermute_b32 v14, v28, v10
	s_waitcnt lgkmcnt(2)
	v_add_f32_e32 v11, v11, v12
	ds_bpermute_b32 v12, v25, v19
	s_waitcnt lgkmcnt(2)
	v_add_f32_e32 v8, v9, v13
	s_waitcnt lgkmcnt(1)
	v_add_f32_e32 v9, v10, v14
	ds_bpermute_b32 v10, v25, v15
	ds_bpermute_b32 v14, v32, v11
	;; [unrolled: 1-line block ×3, first 2 shown]
	s_waitcnt lgkmcnt(3)
	v_add_f32_e32 v12, v19, v12
	s_waitcnt lgkmcnt(2)
	v_add_f32_e32 v15, v15, v10
	;; [unrolled: 2-line block ×3, first 2 shown]
	ds_bpermute_b32 v14, v25, v17
	ds_bpermute_b32 v16, v28, v15
	s_waitcnt lgkmcnt(2)
	v_add_f32_e32 v9, v9, v13
	ds_bpermute_b32 v13, v28, v12
	s_waitcnt lgkmcnt(2)
	v_add_f32_e32 v14, v17, v14
	s_waitcnt lgkmcnt(1)
	v_add_f32_e32 v11, v15, v16
	ds_bpermute_b32 v17, v28, v14
	s_waitcnt lgkmcnt(1)
	v_add_f32_e32 v12, v12, v13
	ds_bpermute_b32 v13, v25, v18
	ds_bpermute_b32 v15, v32, v11
	;; [unrolled: 1-line block ×3, first 2 shown]
	s_waitcnt lgkmcnt(3)
	v_add_f32_e32 v14, v14, v17
	ds_bpermute_b32 v17, v32, v14
	s_waitcnt lgkmcnt(3)
	v_add_f32_e32 v13, v18, v13
	s_waitcnt lgkmcnt(2)
	v_add_f32_e32 v11, v11, v15
	ds_bpermute_b32 v15, v28, v13
	s_waitcnt lgkmcnt(2)
	v_add_f32_e32 v12, v12, v16
	ds_bpermute_b32 v16, v25, v20
	ds_bpermute_b32 v18, v25, v22
	s_waitcnt lgkmcnt(2)
	v_add_f32_e32 v15, v13, v15
	v_add_f32_e32 v13, v14, v17
	s_waitcnt lgkmcnt(1)
	v_add_f32_e32 v16, v20, v16
	s_waitcnt lgkmcnt(0)
	v_add_f32_e32 v17, v22, v18
	ds_bpermute_b32 v19, v32, v15
	ds_bpermute_b32 v20, v28, v16
	;; [unrolled: 1-line block ×3, first 2 shown]
	s_waitcnt lgkmcnt(2)
	v_add_f32_e32 v14, v15, v19
	s_waitcnt lgkmcnt(1)
	v_add_f32_e32 v15, v16, v20
	ds_bpermute_b32 v16, v25, v21
	s_waitcnt lgkmcnt(1)
	v_add_f32_e32 v17, v17, v18
	ds_bpermute_b32 v18, v25, v34
	ds_bpermute_b32 v19, v32, v15
	;; [unrolled: 1-line block ×3, first 2 shown]
	s_waitcnt lgkmcnt(3)
	v_add_f32_e32 v21, v21, v16
	ds_bpermute_b32 v22, v28, v21
	s_waitcnt lgkmcnt(3)
	v_add_f32_e32 v18, v34, v18
	s_waitcnt lgkmcnt(2)
	v_add_f32_e32 v15, v15, v19
	ds_bpermute_b32 v19, v28, v18
	s_waitcnt lgkmcnt(2)
	v_add_f32_e32 v16, v17, v20
	s_waitcnt lgkmcnt(1)
	v_add_f32_e32 v17, v21, v22
	ds_bpermute_b32 v20, v25, v23
	ds_bpermute_b32 v21, v32, v17
	s_waitcnt lgkmcnt(2)
	v_add_f32_e32 v18, v18, v19
	ds_bpermute_b32 v19, v25, v24
	ds_bpermute_b32 v22, v32, v18
	s_waitcnt lgkmcnt(3)
	v_add_f32_e32 v20, v23, v20
	ds_bpermute_b32 v23, v28, v20
	s_waitcnt lgkmcnt(3)
	v_add_f32_e32 v17, v17, v21
	s_waitcnt lgkmcnt(2)
	v_add_f32_e32 v19, v24, v19
	ds_bpermute_b32 v21, v28, v19
	s_waitcnt lgkmcnt(2)
	v_add_f32_e32 v18, v18, v22
	s_waitcnt lgkmcnt(1)
	v_add_f32_e32 v20, v20, v23
	ds_bpermute_b32 v23, v25, v26
	ds_bpermute_b32 v22, v32, v20
	s_waitcnt lgkmcnt(2)
	v_add_f32_e32 v21, v19, v21
	ds_bpermute_b32 v19, v25, v27
	ds_bpermute_b32 v25, v25, v29
	;; [unrolled: 4-line block ×3, first 2 shown]
	s_waitcnt lgkmcnt(3)
	v_add_f32_e32 v19, v27, v19
	s_waitcnt lgkmcnt(2)
	v_add_f32_e32 v25, v29, v25
	ds_bpermute_b32 v27, v28, v19
	ds_bpermute_b32 v28, v28, v25
	s_waitcnt lgkmcnt(3)
	v_add_f32_e32 v23, v23, v26
	ds_bpermute_b32 v26, v32, v23
	s_waitcnt lgkmcnt(2)
	v_add_f32_e32 v27, v19, v27
	s_waitcnt lgkmcnt(1)
	v_add_f32_e32 v25, v25, v28
	ds_bpermute_b32 v28, v32, v25
	ds_bpermute_b32 v29, v32, v27
	v_add_f32_e32 v19, v20, v22
	v_add_f32_e32 v20, v21, v24
	s_waitcnt lgkmcnt(2)
	v_add_f32_e32 v21, v23, v26
	s_waitcnt lgkmcnt(1)
	v_add_f32_e32 v23, v25, v28
	v_and_b32_e32 v25, 0x3c7, v30
	s_waitcnt lgkmcnt(0)
	v_add_f32_e32 v22, v27, v29
	v_cmp_eq_u32_e32 vcc, 64, v25
	s_and_saveexec_b64 s[0:1], vcc
	s_cbranch_execz .LBB52_81
; %bb.80:
	v_lshrrev_b32_e32 v24, 1, v31
	v_add_u32_e32 v24, 0x310, v24
	ds_write2_b32 v24, v0, v1 offset1:8
	ds_write2_b32 v24, v2, v3 offset0:16 offset1:24
	ds_write2_b32 v24, v4, v5 offset0:32 offset1:40
	;; [unrolled: 1-line block ×11, first 2 shown]
.LBB52_81:
	s_or_b64 exec, exec, s[0:1]
	v_cmp_gt_u32_e32 vcc, 64, v30
	v_lshrrev_b32_e32 v24, 3, v30
	s_waitcnt lgkmcnt(0)
	s_barrier
	s_and_saveexec_b64 s[0:1], vcc
	s_cbranch_execz .LBB52_108
; %bb.82:
	v_mov_b32_e32 v26, 0x310
	v_cmp_eq_u32_e32 vcc, 0, v33
	v_lshl_add_u32 v26, v24, 2, v26
	s_and_saveexec_b64 s[2:3], vcc
	s_cbranch_execnz .LBB52_111
; %bb.83:
	s_or_b64 exec, exec, s[2:3]
	s_and_saveexec_b64 s[2:3], vcc
	s_cbranch_execnz .LBB52_112
.LBB52_84:
	s_or_b64 exec, exec, s[2:3]
	s_and_saveexec_b64 s[2:3], vcc
	s_cbranch_execnz .LBB52_113
.LBB52_85:
	s_or_b64 exec, exec, s[2:3]
	s_and_saveexec_b64 s[2:3], vcc
	s_cbranch_execnz .LBB52_114
.LBB52_86:
	s_or_b64 exec, exec, s[2:3]
	s_and_saveexec_b64 s[2:3], vcc
	s_cbranch_execnz .LBB52_115
.LBB52_87:
	s_or_b64 exec, exec, s[2:3]
	s_and_saveexec_b64 s[2:3], vcc
	s_cbranch_execnz .LBB52_116
.LBB52_88:
	s_or_b64 exec, exec, s[2:3]
	s_and_saveexec_b64 s[2:3], vcc
	s_cbranch_execnz .LBB52_117
.LBB52_89:
	s_or_b64 exec, exec, s[2:3]
	s_and_saveexec_b64 s[2:3], vcc
	s_cbranch_execnz .LBB52_118
.LBB52_90:
	s_or_b64 exec, exec, s[2:3]
	s_and_saveexec_b64 s[2:3], vcc
	s_cbranch_execnz .LBB52_119
.LBB52_91:
	s_or_b64 exec, exec, s[2:3]
	s_and_saveexec_b64 s[2:3], vcc
	s_cbranch_execnz .LBB52_120
.LBB52_92:
	s_or_b64 exec, exec, s[2:3]
	s_and_saveexec_b64 s[2:3], vcc
	s_cbranch_execnz .LBB52_121
.LBB52_93:
	s_or_b64 exec, exec, s[2:3]
	s_and_saveexec_b64 s[2:3], vcc
	s_cbranch_execnz .LBB52_122
.LBB52_94:
	s_or_b64 exec, exec, s[2:3]
	s_and_saveexec_b64 s[2:3], vcc
	s_cbranch_execnz .LBB52_123
.LBB52_95:
	s_or_b64 exec, exec, s[2:3]
	s_and_saveexec_b64 s[2:3], vcc
	s_cbranch_execnz .LBB52_124
.LBB52_96:
	s_or_b64 exec, exec, s[2:3]
	s_and_saveexec_b64 s[2:3], vcc
	s_cbranch_execnz .LBB52_125
.LBB52_97:
	s_or_b64 exec, exec, s[2:3]
	s_and_saveexec_b64 s[2:3], vcc
	s_cbranch_execnz .LBB52_126
.LBB52_98:
	s_or_b64 exec, exec, s[2:3]
	s_and_saveexec_b64 s[2:3], vcc
	s_cbranch_execnz .LBB52_127
.LBB52_99:
	s_or_b64 exec, exec, s[2:3]
	s_and_saveexec_b64 s[2:3], vcc
	s_cbranch_execnz .LBB52_128
.LBB52_100:
	s_or_b64 exec, exec, s[2:3]
	s_and_saveexec_b64 s[2:3], vcc
	s_cbranch_execnz .LBB52_129
.LBB52_101:
	s_or_b64 exec, exec, s[2:3]
	s_and_saveexec_b64 s[2:3], vcc
	s_cbranch_execnz .LBB52_130
.LBB52_102:
	s_or_b64 exec, exec, s[2:3]
	s_and_saveexec_b64 s[2:3], vcc
	s_cbranch_execnz .LBB52_131
.LBB52_103:
	s_or_b64 exec, exec, s[2:3]
	s_and_saveexec_b64 s[2:3], vcc
	s_cbranch_execnz .LBB52_132
.LBB52_104:
	s_or_b64 exec, exec, s[2:3]
	s_and_saveexec_b64 s[2:3], vcc
	s_cbranch_execnz .LBB52_133
.LBB52_105:
	s_or_b64 exec, exec, s[2:3]
	s_and_saveexec_b64 s[2:3], vcc
	s_cbranch_execz .LBB52_107
.LBB52_106:
	ds_read_b32 v26, v26 offset:736
	s_waitcnt lgkmcnt(0)
	v_add_f32_e32 v23, v23, v26
.LBB52_107:
	s_or_b64 exec, exec, s[2:3]
.LBB52_108:
	s_or_b64 exec, exec, s[0:1]
	v_cmp_eq_u32_e32 vcc, 0, v25
	s_barrier
	s_and_saveexec_b64 s[0:1], vcc
	s_cbranch_execz .LBB52_110
; %bb.109:
	s_mul_i32 s0, s10, s11
	s_mul_i32 s0, s0, s9
	s_mulk_i32 s0, 0xc0
	s_ashr_i32 s1, s0, 31
	s_lshl_b64 s[0:1], s[0:1], 2
	s_add_u32 s2, s18, s0
	s_mul_i32 s0, s11, s16
	s_addc_u32 s3, s19, s1
	s_ashr_i32 s1, s0, 31
	s_lshl_b64 s[0:1], s[0:1], 2
	s_add_u32 s2, s2, s0
	s_mul_i32 s0, s8, 0xc0
	s_addc_u32 s3, s3, s1
	s_ashr_i32 s1, s0, 31
	s_lshl_b64 s[0:1], s[0:1], 2
	s_add_u32 s0, s2, s0
	s_addc_u32 s1, s3, s1
	v_lshlrev_b32_e32 v24, 2, v24
	global_store_dword v24, v0, s[0:1]
	global_store_dword v24, v1, s[0:1] offset:32
	global_store_dword v24, v2, s[0:1] offset:64
	;; [unrolled: 1-line block ×23, first 2 shown]
.LBB52_110:
	s_endpgm
.LBB52_111:
	ds_read_b32 v27, v26
	s_waitcnt lgkmcnt(0)
	v_add_f32_e32 v0, v0, v27
	s_or_b64 exec, exec, s[2:3]
	s_and_saveexec_b64 s[2:3], vcc
	s_cbranch_execz .LBB52_84
.LBB52_112:
	ds_read_b32 v27, v26 offset:32
	s_waitcnt lgkmcnt(0)
	v_add_f32_e32 v1, v1, v27
	s_or_b64 exec, exec, s[2:3]
	s_and_saveexec_b64 s[2:3], vcc
	s_cbranch_execz .LBB52_85
.LBB52_113:
	ds_read_b32 v27, v26 offset:64
	s_waitcnt lgkmcnt(0)
	v_add_f32_e32 v2, v2, v27
	s_or_b64 exec, exec, s[2:3]
	s_and_saveexec_b64 s[2:3], vcc
	s_cbranch_execz .LBB52_86
.LBB52_114:
	ds_read_b32 v27, v26 offset:96
	s_waitcnt lgkmcnt(0)
	v_add_f32_e32 v3, v3, v27
	s_or_b64 exec, exec, s[2:3]
	s_and_saveexec_b64 s[2:3], vcc
	s_cbranch_execz .LBB52_87
.LBB52_115:
	ds_read_b32 v27, v26 offset:128
	s_waitcnt lgkmcnt(0)
	v_add_f32_e32 v4, v4, v27
	s_or_b64 exec, exec, s[2:3]
	s_and_saveexec_b64 s[2:3], vcc
	s_cbranch_execz .LBB52_88
.LBB52_116:
	ds_read_b32 v27, v26 offset:160
	s_waitcnt lgkmcnt(0)
	v_add_f32_e32 v5, v5, v27
	s_or_b64 exec, exec, s[2:3]
	s_and_saveexec_b64 s[2:3], vcc
	s_cbranch_execz .LBB52_89
.LBB52_117:
	ds_read_b32 v27, v26 offset:192
	s_waitcnt lgkmcnt(0)
	v_add_f32_e32 v6, v6, v27
	s_or_b64 exec, exec, s[2:3]
	s_and_saveexec_b64 s[2:3], vcc
	s_cbranch_execz .LBB52_90
.LBB52_118:
	ds_read_b32 v27, v26 offset:224
	s_waitcnt lgkmcnt(0)
	v_add_f32_e32 v7, v7, v27
	s_or_b64 exec, exec, s[2:3]
	s_and_saveexec_b64 s[2:3], vcc
	s_cbranch_execz .LBB52_91
.LBB52_119:
	ds_read_b32 v27, v26 offset:256
	s_waitcnt lgkmcnt(0)
	v_add_f32_e32 v8, v8, v27
	s_or_b64 exec, exec, s[2:3]
	s_and_saveexec_b64 s[2:3], vcc
	s_cbranch_execz .LBB52_92
.LBB52_120:
	ds_read_b32 v27, v26 offset:288
	s_waitcnt lgkmcnt(0)
	v_add_f32_e32 v9, v9, v27
	s_or_b64 exec, exec, s[2:3]
	s_and_saveexec_b64 s[2:3], vcc
	s_cbranch_execz .LBB52_93
.LBB52_121:
	ds_read_b32 v27, v26 offset:320
	s_waitcnt lgkmcnt(0)
	v_add_f32_e32 v10, v10, v27
	s_or_b64 exec, exec, s[2:3]
	s_and_saveexec_b64 s[2:3], vcc
	s_cbranch_execz .LBB52_94
.LBB52_122:
	ds_read_b32 v27, v26 offset:352
	s_waitcnt lgkmcnt(0)
	v_add_f32_e32 v11, v11, v27
	s_or_b64 exec, exec, s[2:3]
	s_and_saveexec_b64 s[2:3], vcc
	s_cbranch_execz .LBB52_95
.LBB52_123:
	ds_read_b32 v27, v26 offset:384
	s_waitcnt lgkmcnt(0)
	v_add_f32_e32 v12, v12, v27
	s_or_b64 exec, exec, s[2:3]
	s_and_saveexec_b64 s[2:3], vcc
	s_cbranch_execz .LBB52_96
.LBB52_124:
	ds_read_b32 v27, v26 offset:416
	s_waitcnt lgkmcnt(0)
	v_add_f32_e32 v13, v13, v27
	s_or_b64 exec, exec, s[2:3]
	s_and_saveexec_b64 s[2:3], vcc
	s_cbranch_execz .LBB52_97
.LBB52_125:
	ds_read_b32 v27, v26 offset:448
	s_waitcnt lgkmcnt(0)
	v_add_f32_e32 v14, v14, v27
	s_or_b64 exec, exec, s[2:3]
	s_and_saveexec_b64 s[2:3], vcc
	s_cbranch_execz .LBB52_98
.LBB52_126:
	ds_read_b32 v27, v26 offset:480
	s_waitcnt lgkmcnt(0)
	v_add_f32_e32 v15, v15, v27
	s_or_b64 exec, exec, s[2:3]
	s_and_saveexec_b64 s[2:3], vcc
	s_cbranch_execz .LBB52_99
.LBB52_127:
	ds_read_b32 v27, v26 offset:512
	s_waitcnt lgkmcnt(0)
	v_add_f32_e32 v16, v16, v27
	s_or_b64 exec, exec, s[2:3]
	s_and_saveexec_b64 s[2:3], vcc
	s_cbranch_execz .LBB52_100
.LBB52_128:
	ds_read_b32 v27, v26 offset:544
	s_waitcnt lgkmcnt(0)
	v_add_f32_e32 v17, v17, v27
	s_or_b64 exec, exec, s[2:3]
	s_and_saveexec_b64 s[2:3], vcc
	s_cbranch_execz .LBB52_101
.LBB52_129:
	ds_read_b32 v27, v26 offset:576
	s_waitcnt lgkmcnt(0)
	v_add_f32_e32 v18, v18, v27
	s_or_b64 exec, exec, s[2:3]
	s_and_saveexec_b64 s[2:3], vcc
	s_cbranch_execz .LBB52_102
.LBB52_130:
	ds_read_b32 v27, v26 offset:608
	s_waitcnt lgkmcnt(0)
	v_add_f32_e32 v19, v19, v27
	s_or_b64 exec, exec, s[2:3]
	s_and_saveexec_b64 s[2:3], vcc
	s_cbranch_execz .LBB52_103
.LBB52_131:
	ds_read_b32 v27, v26 offset:640
	s_waitcnt lgkmcnt(0)
	v_add_f32_e32 v20, v20, v27
	s_or_b64 exec, exec, s[2:3]
	s_and_saveexec_b64 s[2:3], vcc
	s_cbranch_execz .LBB52_104
.LBB52_132:
	ds_read_b32 v27, v26 offset:672
	s_waitcnt lgkmcnt(0)
	v_add_f32_e32 v21, v21, v27
	s_or_b64 exec, exec, s[2:3]
	s_and_saveexec_b64 s[2:3], vcc
	s_cbranch_execz .LBB52_105
.LBB52_133:
	ds_read_b32 v27, v26 offset:704
	s_waitcnt lgkmcnt(0)
	v_add_f32_e32 v22, v22, v27
	s_or_b64 exec, exec, s[2:3]
	s_and_saveexec_b64 s[2:3], vcc
	s_cbranch_execnz .LBB52_106
	s_branch .LBB52_107
	.section	.rodata,"a",@progbits
	.p2align	6, 0x0
	.amdhsa_kernel _ZN4vllm25paged_attention_v1_kernelIffLi192ELi32ELi128ELNS_18Fp8KVCacheDataTypeE0ELb0EEEvPT_PKS2_PKT0_S8_ifPKiSA_iPKfiiiSC_SC_iiiii
		.amdhsa_group_segment_fixed_size 784
		.amdhsa_private_segment_fixed_size 392
		.amdhsa_kernarg_size 384
		.amdhsa_user_sgpr_count 6
		.amdhsa_user_sgpr_private_segment_buffer 1
		.amdhsa_user_sgpr_dispatch_ptr 0
		.amdhsa_user_sgpr_queue_ptr 0
		.amdhsa_user_sgpr_kernarg_segment_ptr 1
		.amdhsa_user_sgpr_dispatch_id 0
		.amdhsa_user_sgpr_flat_scratch_init 0
		.amdhsa_user_sgpr_private_segment_size 0
		.amdhsa_uses_dynamic_stack 0
		.amdhsa_system_sgpr_private_segment_wavefront_offset 1
		.amdhsa_system_sgpr_workgroup_id_x 1
		.amdhsa_system_sgpr_workgroup_id_y 1
		.amdhsa_system_sgpr_workgroup_id_z 1
		.amdhsa_system_sgpr_workgroup_info 0
		.amdhsa_system_vgpr_workitem_id 0
		.amdhsa_next_free_vgpr 64
		.amdhsa_next_free_sgpr 44
		.amdhsa_reserve_vcc 1
		.amdhsa_reserve_flat_scratch 0
		.amdhsa_float_round_mode_32 0
		.amdhsa_float_round_mode_16_64 0
		.amdhsa_float_denorm_mode_32 3
		.amdhsa_float_denorm_mode_16_64 3
		.amdhsa_dx10_clamp 1
		.amdhsa_ieee_mode 1
		.amdhsa_fp16_overflow 0
		.amdhsa_exception_fp_ieee_invalid_op 0
		.amdhsa_exception_fp_denorm_src 0
		.amdhsa_exception_fp_ieee_div_zero 0
		.amdhsa_exception_fp_ieee_overflow 0
		.amdhsa_exception_fp_ieee_underflow 0
		.amdhsa_exception_fp_ieee_inexact 0
		.amdhsa_exception_int_div_zero 0
	.end_amdhsa_kernel
	.section	.text._ZN4vllm25paged_attention_v1_kernelIffLi192ELi32ELi128ELNS_18Fp8KVCacheDataTypeE0ELb0EEEvPT_PKS2_PKT0_S8_ifPKiSA_iPKfiiiSC_SC_iiiii,"axG",@progbits,_ZN4vllm25paged_attention_v1_kernelIffLi192ELi32ELi128ELNS_18Fp8KVCacheDataTypeE0ELb0EEEvPT_PKS2_PKT0_S8_ifPKiSA_iPKfiiiSC_SC_iiiii,comdat
.Lfunc_end52:
	.size	_ZN4vllm25paged_attention_v1_kernelIffLi192ELi32ELi128ELNS_18Fp8KVCacheDataTypeE0ELb0EEEvPT_PKS2_PKT0_S8_ifPKiSA_iPKfiiiSC_SC_iiiii, .Lfunc_end52-_ZN4vllm25paged_attention_v1_kernelIffLi192ELi32ELi128ELNS_18Fp8KVCacheDataTypeE0ELb0EEEvPT_PKS2_PKT0_S8_ifPKiSA_iPKfiiiSC_SC_iiiii
                                        ; -- End function
	.set _ZN4vllm25paged_attention_v1_kernelIffLi192ELi32ELi128ELNS_18Fp8KVCacheDataTypeE0ELb0EEEvPT_PKS2_PKT0_S8_ifPKiSA_iPKfiiiSC_SC_iiiii.num_vgpr, 64
	.set _ZN4vllm25paged_attention_v1_kernelIffLi192ELi32ELi128ELNS_18Fp8KVCacheDataTypeE0ELb0EEEvPT_PKS2_PKT0_S8_ifPKiSA_iPKfiiiSC_SC_iiiii.num_agpr, 0
	.set _ZN4vllm25paged_attention_v1_kernelIffLi192ELi32ELi128ELNS_18Fp8KVCacheDataTypeE0ELb0EEEvPT_PKS2_PKT0_S8_ifPKiSA_iPKfiiiSC_SC_iiiii.numbered_sgpr, 44
	.set _ZN4vllm25paged_attention_v1_kernelIffLi192ELi32ELi128ELNS_18Fp8KVCacheDataTypeE0ELb0EEEvPT_PKS2_PKT0_S8_ifPKiSA_iPKfiiiSC_SC_iiiii.num_named_barrier, 0
	.set _ZN4vllm25paged_attention_v1_kernelIffLi192ELi32ELi128ELNS_18Fp8KVCacheDataTypeE0ELb0EEEvPT_PKS2_PKT0_S8_ifPKiSA_iPKfiiiSC_SC_iiiii.private_seg_size, 392
	.set _ZN4vllm25paged_attention_v1_kernelIffLi192ELi32ELi128ELNS_18Fp8KVCacheDataTypeE0ELb0EEEvPT_PKS2_PKT0_S8_ifPKiSA_iPKfiiiSC_SC_iiiii.uses_vcc, 1
	.set _ZN4vllm25paged_attention_v1_kernelIffLi192ELi32ELi128ELNS_18Fp8KVCacheDataTypeE0ELb0EEEvPT_PKS2_PKT0_S8_ifPKiSA_iPKfiiiSC_SC_iiiii.uses_flat_scratch, 0
	.set _ZN4vllm25paged_attention_v1_kernelIffLi192ELi32ELi128ELNS_18Fp8KVCacheDataTypeE0ELb0EEEvPT_PKS2_PKT0_S8_ifPKiSA_iPKfiiiSC_SC_iiiii.has_dyn_sized_stack, 0
	.set _ZN4vllm25paged_attention_v1_kernelIffLi192ELi32ELi128ELNS_18Fp8KVCacheDataTypeE0ELb0EEEvPT_PKS2_PKT0_S8_ifPKiSA_iPKfiiiSC_SC_iiiii.has_recursion, 0
	.set _ZN4vllm25paged_attention_v1_kernelIffLi192ELi32ELi128ELNS_18Fp8KVCacheDataTypeE0ELb0EEEvPT_PKS2_PKT0_S8_ifPKiSA_iPKfiiiSC_SC_iiiii.has_indirect_call, 0
	.section	.AMDGPU.csdata,"",@progbits
; Kernel info:
; codeLenInByte = 12456
; TotalNumSgprs: 48
; NumVgprs: 64
; ScratchSize: 392
; MemoryBound: 0
; FloatMode: 240
; IeeeMode: 1
; LDSByteSize: 784 bytes/workgroup (compile time only)
; SGPRBlocks: 5
; VGPRBlocks: 15
; NumSGPRsForWavesPerEU: 48
; NumVGPRsForWavesPerEU: 64
; Occupancy: 4
; WaveLimiterHint : 1
; COMPUTE_PGM_RSRC2:SCRATCH_EN: 1
; COMPUTE_PGM_RSRC2:USER_SGPR: 6
; COMPUTE_PGM_RSRC2:TRAP_HANDLER: 0
; COMPUTE_PGM_RSRC2:TGID_X_EN: 1
; COMPUTE_PGM_RSRC2:TGID_Y_EN: 1
; COMPUTE_PGM_RSRC2:TGID_Z_EN: 1
; COMPUTE_PGM_RSRC2:TIDIG_COMP_CNT: 0
	.section	.text._ZN4vllm25paged_attention_v1_kernelIffLi256ELi32ELi128ELNS_18Fp8KVCacheDataTypeE0ELb0EEEvPT_PKS2_PKT0_S8_ifPKiSA_iPKfiiiSC_SC_iiiii,"axG",@progbits,_ZN4vllm25paged_attention_v1_kernelIffLi256ELi32ELi128ELNS_18Fp8KVCacheDataTypeE0ELb0EEEvPT_PKS2_PKT0_S8_ifPKiSA_iPKfiiiSC_SC_iiiii,comdat
	.protected	_ZN4vllm25paged_attention_v1_kernelIffLi256ELi32ELi128ELNS_18Fp8KVCacheDataTypeE0ELb0EEEvPT_PKS2_PKT0_S8_ifPKiSA_iPKfiiiSC_SC_iiiii ; -- Begin function _ZN4vllm25paged_attention_v1_kernelIffLi256ELi32ELi128ELNS_18Fp8KVCacheDataTypeE0ELb0EEEvPT_PKS2_PKT0_S8_ifPKiSA_iPKfiiiSC_SC_iiiii
	.globl	_ZN4vllm25paged_attention_v1_kernelIffLi256ELi32ELi128ELNS_18Fp8KVCacheDataTypeE0ELb0EEEvPT_PKS2_PKT0_S8_ifPKiSA_iPKfiiiSC_SC_iiiii
	.p2align	8
	.type	_ZN4vllm25paged_attention_v1_kernelIffLi256ELi32ELi128ELNS_18Fp8KVCacheDataTypeE0ELb0EEEvPT_PKS2_PKT0_S8_ifPKiSA_iPKfiiiSC_SC_iiiii,@function
_ZN4vllm25paged_attention_v1_kernelIffLi256ELi32ELi128ELNS_18Fp8KVCacheDataTypeE0ELb0EEEvPT_PKS2_PKT0_S8_ifPKiSA_iPKfiiiSC_SC_iiiii: ; @_ZN4vllm25paged_attention_v1_kernelIffLi256ELi32ELi128ELNS_18Fp8KVCacheDataTypeE0ELb0EEEvPT_PKS2_PKT0_S8_ifPKiSA_iPKfiiiSC_SC_iiiii
; %bb.0:
	s_mov_b64 s[46:47], s[2:3]
	s_mov_b64 s[44:45], s[0:1]
	s_add_u32 s44, s44, s9
	s_load_dword s9, s[4:5], 0x80
	s_load_dwordx2 s[0:1], s[4:5], 0x30
	s_load_dwordx2 s[26:27], s[4:5], 0x20
	s_addc_u32 s45, s45, 0
	s_mov_b32 s10, s7
	s_ashr_i32 s11, s7, 31
	s_lshl_b64 s[2:3], s[10:11], 2
	s_waitcnt lgkmcnt(0)
	s_add_u32 s0, s0, s2
	s_addc_u32 s1, s1, s3
	s_abs_i32 s2, s26
	v_mov_b32_e32 v37, v0
	v_cvt_f32_u32_e32 v0, s2
	s_sub_i32 s11, 0, s2
	s_abs_i32 s7, s9
	s_xor_b32 s3, s9, s26
	v_rcp_iflag_f32_e32 v0, v0
	s_ashr_i32 s3, s3, 31
	s_mov_b32 s26, 0
	v_mul_f32_e32 v0, 0x4f7ffffe, v0
	v_cvt_u32_f32_e32 v0, v0
	v_readfirstlane_b32 s12, v0
	s_mul_i32 s11, s11, s12
	s_mul_hi_u32 s11, s12, s11
	s_add_i32 s12, s12, s11
	s_mul_hi_u32 s11, s7, s12
	s_mul_i32 s12, s11, s2
	s_sub_i32 s7, s7, s12
	s_add_i32 s12, s11, 1
	s_sub_i32 s13, s7, s2
	s_cmp_ge_u32 s7, s2
	s_cselect_b32 s11, s12, s11
	s_cselect_b32 s7, s13, s7
	s_add_i32 s12, s11, 1
	s_cmp_ge_u32 s7, s2
	s_cselect_b32 s2, s12, s11
	s_xor_b32 s2, s2, s3
	s_sub_i32 s12, s2, s3
	s_abs_i32 s11, s12
	v_cvt_f32_u32_e32 v0, s11
	s_load_dwordx2 s[2:3], s[4:5], 0x40
	s_sub_i32 s7, 0, s11
	s_abs_i32 s18, s6
	v_rcp_iflag_f32_e32 v0, v0
	v_mul_f32_e32 v0, 0x4f7ffffe, v0
	v_cvt_u32_f32_e32 v0, v0
	v_readfirstlane_b32 s13, v0
	s_mul_i32 s7, s7, s13
	s_mul_hi_u32 s7, s13, s7
	s_add_i32 s13, s13, s7
	s_waitcnt lgkmcnt(0)
	s_cmp_eq_u64 s[2:3], 0
	s_mul_hi_u32 s19, s18, s13
	s_cbranch_scc1 .LBB53_2
; %bb.1:
	s_ashr_i32 s7, s6, 31
	s_lshl_b64 s[14:15], s[6:7], 2
	s_add_u32 s2, s2, s14
	s_addc_u32 s3, s3, s15
	s_load_dword s26, s[2:3], 0x0
.LBB53_2:
	s_load_dword s33, s[0:1], 0x0
	s_ashr_i32 s3, s12, 31
	s_load_dwordx4 s[12:15], s[4:5], 0x48
	s_movk_i32 s0, 0x80
	s_ashr_i32 s2, s6, 31
	v_and_b32_e32 v0, 1, v37
	s_lshl_b32 s16, s6, 8
	v_cmp_gt_u32_e32 vcc, s0, v37
	v_lshlrev_b32_e32 v1, 3, v37
	v_lshlrev_b32_e32 v44, 2, v37
	s_and_saveexec_b64 s[0:1], vcc
	s_cbranch_execz .LBB53_4
; %bb.3:
	s_load_dwordx2 s[6:7], s[4:5], 0x8
	s_waitcnt lgkmcnt(0)
	s_mul_i32 s20, s12, s10
	s_ashr_i32 s21, s20, 31
	s_lshl_b64 s[20:21], s[20:21], 2
	v_and_b32_e32 v4, 0xff8, v44
	s_add_u32 s12, s6, s20
	s_addc_u32 s15, s7, s21
	s_ashr_i32 s17, s16, 31
	s_lshl_b64 s[6:7], s[16:17], 2
	s_add_u32 s6, s12, s6
	s_addc_u32 s7, s15, s7
	global_load_dwordx2 v[2:3], v1, s[6:7]
	v_lshl_add_u32 v4, v0, 9, v4
	s_waitcnt vmcnt(0)
	ds_write_b64 v4, v[2:3]
.LBB53_4:
	s_or_b64 exec, exec, s[0:1]
	s_waitcnt lgkmcnt(0)
	s_add_i32 s1, s33, 31
	s_ashr_i32 s6, s1, 31
	s_lshr_b32 s6, s6, 27
	s_add_i32 s1, s1, s6
	s_ashr_i32 s12, s1, 5
	s_xor_b32 s1, s2, s3
	s_mul_i32 s2, s19, s11
	s_sub_i32 s2, s18, s2
	s_add_i32 s3, s19, 1
	s_sub_i32 s6, s2, s11
	s_load_dwordx2 s[20:21], s[4:5], 0x28
	s_load_dword s0, s[4:5], 0x38
	s_cmp_ge_u32 s2, s11
	s_cselect_b32 s3, s3, s19
	s_cselect_b32 s2, s6, s2
	s_add_i32 s6, s3, 1
	s_cmp_ge_u32 s2, s11
	s_cselect_b32 s2, s6, s3
	v_lshrrev_b32_e32 v21, 6, v37
	s_xor_b32 s2, s2, s1
	s_waitcnt lgkmcnt(0)
	s_mul_i32 s22, s0, s10
	s_sub_i32 s15, s2, s1
	s_ashr_i32 s23, s22, 31
	v_cmp_gt_i32_e64 s[0:1], s12, v21
	v_cmp_le_i32_e32 vcc, s12, v21
	v_mbcnt_lo_u32_b32 v2, -1, 0
	s_barrier
                                        ; implicit-def: $vgpr10
                                        ; implicit-def: $vgpr7
                                        ; implicit-def: $vgpr8
	s_and_saveexec_b64 s[2:3], vcc
	s_xor_b64 s[2:3], exec, s[2:3]
; %bb.5:
	v_mbcnt_hi_u32_b32 v10, -1, v2
	v_and_b32_e32 v7, 64, v10
	v_add_u32_e32 v8, 64, v7
                                        ; implicit-def: $vgpr1
                                        ; implicit-def: $vgpr0
                                        ; implicit-def: $vgpr2
; %bb.6:
	s_or_saveexec_b64 s[6:7], s[2:3]
	s_load_dwordx2 s[18:19], s[4:5], 0x0
	s_load_dwordx2 s[24:25], s[4:5], 0x18
	s_load_dword s11, s[4:5], 0x88
	v_mov_b32_e32 v32, 0xff7fffff
	s_mul_i32 s14, s15, s14
	v_lshrrev_b32_e32 v61, 4, v37
	buffer_store_dword v37, off, s[44:47], 0 offset:540 ; 4-byte Folded Spill
	s_xor_b64 exec, exec, s[6:7]
	s_cbranch_execz .LBB53_12
; %bb.7:
	s_load_dwordx2 s[2:3], s[4:5], 0x10
	s_ashr_i32 s15, s14, 31
	s_lshl_b64 s[4:5], s[14:15], 2
	v_bfe_u32 v9, v37, 1, 5
	v_lshlrev_b32_e32 v5, 9, v0
	s_waitcnt lgkmcnt(0)
	s_add_u32 s2, s2, s4
	s_addc_u32 s3, s3, s5
	v_lshlrev_b32_e32 v3, 4, v9
	ds_read_b128 v[11:14], v5
	v_add_co_u32_e32 v3, vcc, s2, v3
	v_mov_b32_e32 v4, s3
	v_addc_co_u32_e32 v4, vcc, 0, v4, vcc
	v_and_b32_e32 v1, 8, v1
	v_add_co_u32_e32 v1, vcc, v3, v1
	buffer_store_dword v1, off, s[44:47], 0 ; 4-byte Folded Spill
	v_addc_co_u32_e32 v1, vcc, 0, v4, vcc
	buffer_store_dword v44, off, s[44:47], 0 offset:420 ; 4-byte Folded Spill
	buffer_store_dword v1, off, s[44:47], 0 offset:16 ; 4-byte Folded Spill
	s_waitcnt lgkmcnt(0)
	buffer_store_dword v11, off, s[44:47], 0 offset:32 ; 4-byte Folded Spill
	s_nop 0
	buffer_store_dword v12, off, s[44:47], 0 offset:36 ; 4-byte Folded Spill
	buffer_store_dword v13, off, s[44:47], 0 offset:40 ; 4-byte Folded Spill
	buffer_store_dword v14, off, s[44:47], 0 offset:44 ; 4-byte Folded Spill
	ds_read_b128 v[11:14], v5 offset:16
	s_waitcnt lgkmcnt(0)
	buffer_store_dword v11, off, s[44:47], 0 offset:48 ; 4-byte Folded Spill
	s_nop 0
	buffer_store_dword v12, off, s[44:47], 0 offset:52 ; 4-byte Folded Spill
	buffer_store_dword v13, off, s[44:47], 0 offset:56 ; 4-byte Folded Spill
	buffer_store_dword v14, off, s[44:47], 0 offset:60 ; 4-byte Folded Spill
	ds_read_b128 v[11:14], v5 offset:32
	;; [unrolled: 7-line block ×12, first 2 shown]
	v_mbcnt_hi_u32_b32 v2, -1, v2
	v_and_b32_e32 v3, 64, v2
	s_waitcnt lgkmcnt(0)
	buffer_store_dword v11, off, s[44:47], 0 offset:224 ; 4-byte Folded Spill
	s_nop 0
	buffer_store_dword v12, off, s[44:47], 0 offset:228 ; 4-byte Folded Spill
	buffer_store_dword v13, off, s[44:47], 0 offset:232 ; 4-byte Folded Spill
	;; [unrolled: 1-line block ×3, first 2 shown]
	v_xor_b32_e32 v1, 1, v2
	buffer_store_dword v3, off, s[44:47], 0 offset:432 ; 4-byte Folded Spill
	v_add_u32_e32 v3, 64, v3
	v_cmp_lt_i32_e32 vcc, v1, v3
	v_cndmask_b32_e32 v1, v2, v1, vcc
	v_lshlrev_b32_e32 v1, 2, v1
	buffer_store_dword v3, off, s[44:47], 0 offset:436 ; 4-byte Folded Spill
	buffer_store_dword v2, off, s[44:47], 0 offset:428 ; 4-byte Folded Spill
	;; [unrolled: 1-line block ×3, first 2 shown]
	v_cmp_eq_u32_e32 vcc, 0, v0
	ds_read_b128 v[0:3], v5 offset:208
	s_waitcnt lgkmcnt(0)
	buffer_store_dword v0, off, s[44:47], 0 offset:256 ; 4-byte Folded Spill
	s_nop 0
	buffer_store_dword v1, off, s[44:47], 0 offset:260 ; 4-byte Folded Spill
	buffer_store_dword v2, off, s[44:47], 0 offset:264 ; 4-byte Folded Spill
	buffer_store_dword v3, off, s[44:47], 0 offset:268 ; 4-byte Folded Spill
	ds_read_b128 v[0:3], v5 offset:224
	s_waitcnt lgkmcnt(0)
	buffer_store_dword v0, off, s[44:47], 0 offset:272 ; 4-byte Folded Spill
	s_nop 0
	buffer_store_dword v1, off, s[44:47], 0 offset:276 ; 4-byte Folded Spill
	buffer_store_dword v2, off, s[44:47], 0 offset:280 ; 4-byte Folded Spill
	buffer_store_dword v3, off, s[44:47], 0 offset:284 ; 4-byte Folded Spill
	;; [unrolled: 7-line block ×10, first 2 shown]
	ds_read_b128 v[33:36], v5 offset:368
	ds_read_b128 v[37:40], v5 offset:384
	;; [unrolled: 1-line block ×9, first 2 shown]
	v_lshlrev_b32_e32 v10, 2, v9
	s_sub_i32 s15, 1, s33
	s_lshl_b64 s[4:5], s[22:23], 2
	v_lshl_or_b32 v0, v21, 5, v9
	v_lshl_or_b32 v9, v21, 7, v10
	s_add_u32 s4, s20, s4
	v_add_u32_e32 v63, 0x410, v9
	v_and_b32_e32 v9, 60, v61
	s_addc_u32 s28, s21, s5
	buffer_store_dword v61, off, s[44:47], 0 offset:424 ; 4-byte Folded Spill
	v_add_co_u32_e64 v61, s[4:5], s4, v9
	v_mov_b32_e32 v9, s28
	s_mov_b32 s17, s13
	v_cmp_neq_f32_e64 s[2:3], s26, 0
	v_addc_co_u32_e64 v62, s[4:5], 0, v9, s[4:5]
	v_mov_b32_e32 v32, 0xff7fffff
	s_mov_b64 s[28:29], 0
	s_movk_i32 s34, 0x1000
	s_movk_i32 s35, 0x2000
	;; [unrolled: 1-line block ×7, first 2 shown]
	buffer_store_dword v21, off, s[44:47], 0 offset:304 ; 4-byte Folded Spill
	s_branch .LBB53_9
.LBB53_8:                               ;   in Loop: Header=BB53_9 Depth=1
	s_or_b64 exec, exec, s[30:31]
	v_add_u32_e32 v21, 2, v21
	v_cmp_le_i32_e64 s[4:5], s12, v21
	s_or_b64 s[28:29], s[4:5], s[28:29]
	v_add_co_u32_e64 v61, s[4:5], 8, v61
	v_add_u32_e32 v0, 64, v0
	v_add_u32_e32 v63, 0x100, v63
	v_addc_co_u32_e64 v62, s[4:5], 0, v62, s[4:5]
	s_andn2_b64 exec, exec, s[28:29]
	s_cbranch_execz .LBB53_11
.LBB53_9:                               ; =>This Inner Loop Header: Depth=1
	global_load_dword v9, v[61:62], off
	buffer_load_dword v11, off, s[44:47], 0 ; 4-byte Folded Reload
	s_waitcnt vmcnt(1) lgkmcnt(0)
	v_mad_i64_i32 v[9:10], s[4:5], v9, s17, 0
	v_lshlrev_b64 v[9:10], 2, v[9:10]
	s_waitcnt vmcnt(0)
	v_add_co_u32_e64 v15, s[4:5], v11, v9
	buffer_load_dword v9, off, s[44:47], 0 offset:16 ; 4-byte Folded Reload
	s_waitcnt vmcnt(0)
	v_addc_co_u32_e64 v16, s[4:5], v9, v10, s[4:5]
	global_load_dwordx2 v[9:10], v[15:16], off offset:512
	buffer_load_dword v11, off, s[44:47], 0 offset:32 ; 4-byte Folded Reload
	buffer_load_dword v12, off, s[44:47], 0 offset:36 ; 4-byte Folded Reload
	buffer_load_dword v13, off, s[44:47], 0 offset:40 ; 4-byte Folded Reload
	buffer_load_dword v14, off, s[44:47], 0 offset:44 ; 4-byte Folded Reload
	v_add_co_u32_e64 v24, s[4:5], s34, v15
	v_addc_co_u32_e64 v25, s[4:5], 0, v16, s[4:5]
	v_add_co_u32_e64 v26, s[4:5], s35, v15
	v_addc_co_u32_e64 v27, s[4:5], 0, v16, s[4:5]
	;; [unrolled: 2-line block ×4, first 2 shown]
	s_waitcnt vmcnt(1)
	v_mul_f32_e32 v22, v13, v9
	s_waitcnt vmcnt(0)
	v_mul_f32_e32 v23, v14, v10
	global_load_dwordx2 v[9:10], v[15:16], off
	s_waitcnt vmcnt(0)
	v_fmac_f32_e32 v22, v11, v9
	v_fmac_f32_e32 v23, v12, v10
	global_load_dwordx2 v[9:10], v[15:16], off offset:1024
	buffer_load_dword v11, off, s[44:47], 0 offset:48 ; 4-byte Folded Reload
	buffer_load_dword v12, off, s[44:47], 0 offset:52 ; 4-byte Folded Reload
	;; [unrolled: 1-line block ×4, first 2 shown]
	s_waitcnt vmcnt(3)
	v_fmac_f32_e32 v22, v11, v9
	s_waitcnt vmcnt(2)
	v_fmac_f32_e32 v23, v12, v10
	global_load_dwordx2 v[9:10], v[15:16], off offset:1536
	s_waitcnt vmcnt(0)
	v_fmac_f32_e32 v22, v13, v9
	v_fmac_f32_e32 v23, v14, v10
	global_load_dwordx2 v[9:10], v[15:16], off offset:2048
	buffer_load_dword v11, off, s[44:47], 0 offset:64 ; 4-byte Folded Reload
	buffer_load_dword v12, off, s[44:47], 0 offset:68 ; 4-byte Folded Reload
	;; [unrolled: 1-line block ×4, first 2 shown]
	s_waitcnt vmcnt(3)
	v_fmac_f32_e32 v22, v11, v9
	s_waitcnt vmcnt(2)
	v_fmac_f32_e32 v23, v12, v10
	global_load_dwordx2 v[9:10], v[15:16], off offset:2560
	s_waitcnt vmcnt(0)
	v_fmac_f32_e32 v22, v13, v9
	v_fmac_f32_e32 v23, v14, v10
	global_load_dwordx2 v[9:10], v[15:16], off offset:3072
	buffer_load_dword v28, off, s[44:47], 0 offset:80 ; 4-byte Folded Reload
	buffer_load_dword v29, off, s[44:47], 0 offset:84 ; 4-byte Folded Reload
	buffer_load_dword v30, off, s[44:47], 0 offset:88 ; 4-byte Folded Reload
	buffer_load_dword v31, off, s[44:47], 0 offset:92 ; 4-byte Folded Reload
	v_add_co_u32_e64 v13, s[4:5], s38, v15
	v_addc_co_u32_e64 v14, s[4:5], 0, v16, s[4:5]
	v_add_co_u32_e64 v11, s[4:5], s39, v15
	v_addc_co_u32_e64 v12, s[4:5], 0, v16, s[4:5]
	s_waitcnt vmcnt(3)
	v_fmac_f32_e32 v22, v28, v9
	v_add_co_u32_e64 v9, s[4:5], s40, v15
	s_waitcnt vmcnt(2)
	v_fmac_f32_e32 v23, v29, v10
	v_addc_co_u32_e64 v10, s[4:5], 0, v16, s[4:5]
	global_load_dwordx2 v[15:16], v[15:16], off offset:3584
	s_waitcnt vmcnt(0)
	v_fmac_f32_e32 v22, v30, v15
	v_fmac_f32_e32 v23, v31, v16
	global_load_dwordx2 v[15:16], v[26:27], off offset:-4096
	buffer_load_dword v28, off, s[44:47], 0 offset:96 ; 4-byte Folded Reload
	buffer_load_dword v29, off, s[44:47], 0 offset:100 ; 4-byte Folded Reload
	buffer_load_dword v30, off, s[44:47], 0 offset:104 ; 4-byte Folded Reload
	buffer_load_dword v31, off, s[44:47], 0 offset:108 ; 4-byte Folded Reload
	s_waitcnt vmcnt(3)
	v_fmac_f32_e32 v22, v28, v15
	s_waitcnt vmcnt(2)
	v_fmac_f32_e32 v23, v29, v16
	global_load_dwordx2 v[15:16], v[24:25], off offset:512
	s_waitcnt vmcnt(0)
	v_fmac_f32_e32 v22, v30, v15
	v_fmac_f32_e32 v23, v31, v16
	global_load_dwordx2 v[15:16], v[24:25], off offset:1024
	buffer_load_dword v28, off, s[44:47], 0 offset:112 ; 4-byte Folded Reload
	buffer_load_dword v29, off, s[44:47], 0 offset:116 ; 4-byte Folded Reload
	buffer_load_dword v30, off, s[44:47], 0 offset:120 ; 4-byte Folded Reload
	buffer_load_dword v31, off, s[44:47], 0 offset:124 ; 4-byte Folded Reload
	s_waitcnt vmcnt(3)
	v_fmac_f32_e32 v22, v28, v15
	s_waitcnt vmcnt(2)
	v_fmac_f32_e32 v23, v29, v16
	global_load_dwordx2 v[15:16], v[24:25], off offset:1536
	s_waitcnt vmcnt(0)
	v_fmac_f32_e32 v22, v30, v15
	v_fmac_f32_e32 v23, v31, v16
	global_load_dwordx2 v[15:16], v[24:25], off offset:2048
	;; [unrolled: 13-line block ×3, first 2 shown]
	buffer_load_dword v28, off, s[44:47], 0 offset:144 ; 4-byte Folded Reload
	buffer_load_dword v29, off, s[44:47], 0 offset:148 ; 4-byte Folded Reload
	;; [unrolled: 1-line block ×4, first 2 shown]
	s_waitcnt vmcnt(3)
	v_fmac_f32_e32 v22, v28, v15
	s_waitcnt vmcnt(2)
	v_fmac_f32_e32 v23, v29, v16
	global_load_dwordx2 v[15:16], v[24:25], off offset:3584
	s_waitcnt vmcnt(0)
	v_fmac_f32_e32 v22, v30, v15
	v_fmac_f32_e32 v23, v31, v16
	global_load_dwordx2 v[15:16], v[26:27], off
	buffer_load_dword v28, off, s[44:47], 0 offset:160 ; 4-byte Folded Reload
	buffer_load_dword v29, off, s[44:47], 0 offset:164 ; 4-byte Folded Reload
	buffer_load_dword v30, off, s[44:47], 0 offset:168 ; 4-byte Folded Reload
	buffer_load_dword v31, off, s[44:47], 0 offset:172 ; 4-byte Folded Reload
	s_waitcnt vmcnt(3)
	v_fmac_f32_e32 v22, v28, v15
	s_waitcnt vmcnt(2)
	v_fmac_f32_e32 v23, v29, v16
	global_load_dwordx2 v[15:16], v[26:27], off offset:512
	s_waitcnt vmcnt(0)
	v_fmac_f32_e32 v22, v30, v15
	v_fmac_f32_e32 v23, v31, v16
	global_load_dwordx2 v[15:16], v[26:27], off offset:1024
	buffer_load_dword v28, off, s[44:47], 0 offset:176 ; 4-byte Folded Reload
	buffer_load_dword v29, off, s[44:47], 0 offset:180 ; 4-byte Folded Reload
	buffer_load_dword v30, off, s[44:47], 0 offset:184 ; 4-byte Folded Reload
	buffer_load_dword v31, off, s[44:47], 0 offset:188 ; 4-byte Folded Reload
	s_waitcnt vmcnt(3)
	v_fmac_f32_e32 v22, v28, v15
	s_waitcnt vmcnt(2)
	v_fmac_f32_e32 v23, v29, v16
	global_load_dwordx2 v[15:16], v[26:27], off offset:1536
	s_waitcnt vmcnt(0)
	v_fmac_f32_e32 v22, v30, v15
	v_fmac_f32_e32 v23, v31, v16
	global_load_dwordx2 v[15:16], v[26:27], off offset:2048
	;; [unrolled: 13-line block ×3, first 2 shown]
	buffer_load_dword v28, off, s[44:47], 0 offset:208 ; 4-byte Folded Reload
	buffer_load_dword v29, off, s[44:47], 0 offset:212 ; 4-byte Folded Reload
	;; [unrolled: 1-line block ×4, first 2 shown]
	s_waitcnt vmcnt(3)
	v_fmac_f32_e32 v22, v28, v15
	s_waitcnt vmcnt(2)
	v_fmac_f32_e32 v23, v29, v16
	global_load_dwordx2 v[15:16], v[26:27], off offset:3584
	s_waitcnt vmcnt(0)
	v_fmac_f32_e32 v22, v30, v15
	v_fmac_f32_e32 v23, v31, v16
	global_load_dwordx2 v[15:16], v[17:18], off offset:-4096
	buffer_load_dword v24, off, s[44:47], 0 offset:224 ; 4-byte Folded Reload
	buffer_load_dword v25, off, s[44:47], 0 offset:228 ; 4-byte Folded Reload
	buffer_load_dword v26, off, s[44:47], 0 offset:232 ; 4-byte Folded Reload
	buffer_load_dword v27, off, s[44:47], 0 offset:236 ; 4-byte Folded Reload
	s_waitcnt vmcnt(3)
	v_fmac_f32_e32 v22, v24, v15
	s_waitcnt vmcnt(2)
	v_fmac_f32_e32 v23, v25, v16
	global_load_dwordx2 v[15:16], v[19:20], off offset:512
	s_waitcnt vmcnt(0)
	v_fmac_f32_e32 v22, v26, v15
	v_fmac_f32_e32 v23, v27, v16
	global_load_dwordx2 v[15:16], v[19:20], off offset:1024
	buffer_load_dword v24, off, s[44:47], 0 offset:256 ; 4-byte Folded Reload
	buffer_load_dword v25, off, s[44:47], 0 offset:260 ; 4-byte Folded Reload
	buffer_load_dword v26, off, s[44:47], 0 offset:264 ; 4-byte Folded Reload
	buffer_load_dword v27, off, s[44:47], 0 offset:268 ; 4-byte Folded Reload
	s_waitcnt vmcnt(3)
	v_fmac_f32_e32 v22, v24, v15
	s_waitcnt vmcnt(2)
	v_fmac_f32_e32 v23, v25, v16
	global_load_dwordx2 v[15:16], v[19:20], off offset:1536
	s_waitcnt vmcnt(0)
	v_fmac_f32_e32 v22, v26, v15
	v_fmac_f32_e32 v23, v27, v16
	global_load_dwordx2 v[15:16], v[19:20], off offset:2048
	;; [unrolled: 13-line block ×3, first 2 shown]
	buffer_load_dword v24, off, s[44:47], 0 offset:288 ; 4-byte Folded Reload
	buffer_load_dword v25, off, s[44:47], 0 offset:292 ; 4-byte Folded Reload
	buffer_load_dword v26, off, s[44:47], 0 offset:296 ; 4-byte Folded Reload
	buffer_load_dword v27, off, s[44:47], 0 offset:300 ; 4-byte Folded Reload
	s_waitcnt vmcnt(3)
	v_fmac_f32_e32 v22, v24, v15
	s_waitcnt vmcnt(2)
	v_fmac_f32_e32 v23, v25, v16
	global_load_dwordx2 v[15:16], v[19:20], off offset:3584
	s_waitcnt vmcnt(0)
	v_fmac_f32_e32 v22, v26, v15
	v_fmac_f32_e32 v23, v27, v16
	global_load_dwordx2 v[15:16], v[17:18], off
	buffer_load_dword v24, off, s[44:47], 0 offset:308 ; 4-byte Folded Reload
	buffer_load_dword v25, off, s[44:47], 0 offset:312 ; 4-byte Folded Reload
	buffer_load_dword v26, off, s[44:47], 0 offset:316 ; 4-byte Folded Reload
	buffer_load_dword v27, off, s[44:47], 0 offset:320 ; 4-byte Folded Reload
	s_waitcnt vmcnt(3)
	v_fmac_f32_e32 v22, v24, v15
	s_waitcnt vmcnt(2)
	v_fmac_f32_e32 v23, v25, v16
	global_load_dwordx2 v[15:16], v[17:18], off offset:512
	s_waitcnt vmcnt(0)
	v_fmac_f32_e32 v22, v26, v15
	v_fmac_f32_e32 v23, v27, v16
	global_load_dwordx2 v[15:16], v[17:18], off offset:1024
	buffer_load_dword v24, off, s[44:47], 0 offset:324 ; 4-byte Folded Reload
	buffer_load_dword v25, off, s[44:47], 0 offset:328 ; 4-byte Folded Reload
	buffer_load_dword v26, off, s[44:47], 0 offset:332 ; 4-byte Folded Reload
	buffer_load_dword v27, off, s[44:47], 0 offset:336 ; 4-byte Folded Reload
	s_waitcnt vmcnt(3)
	v_fmac_f32_e32 v22, v24, v15
	s_waitcnt vmcnt(2)
	v_fmac_f32_e32 v23, v25, v16
	global_load_dwordx2 v[15:16], v[17:18], off offset:1536
	s_waitcnt vmcnt(0)
	v_fmac_f32_e32 v22, v26, v15
	v_fmac_f32_e32 v23, v27, v16
	global_load_dwordx2 v[15:16], v[17:18], off offset:2048
	;; [unrolled: 13-line block ×3, first 2 shown]
	buffer_load_dword v24, off, s[44:47], 0 offset:356 ; 4-byte Folded Reload
	buffer_load_dword v25, off, s[44:47], 0 offset:360 ; 4-byte Folded Reload
	buffer_load_dword v26, off, s[44:47], 0 offset:364 ; 4-byte Folded Reload
	buffer_load_dword v27, off, s[44:47], 0 offset:368 ; 4-byte Folded Reload
	s_waitcnt vmcnt(3)
	v_fmac_f32_e32 v22, v24, v15
	s_waitcnt vmcnt(2)
	v_fmac_f32_e32 v23, v25, v16
	global_load_dwordx2 v[15:16], v[17:18], off offset:3584
	s_waitcnt vmcnt(0)
	v_fmac_f32_e32 v22, v26, v15
	v_fmac_f32_e32 v23, v27, v16
	global_load_dwordx2 v[15:16], v[11:12], off offset:-4096
	buffer_load_dword v17, off, s[44:47], 0 offset:372 ; 4-byte Folded Reload
	buffer_load_dword v18, off, s[44:47], 0 offset:376 ; 4-byte Folded Reload
	buffer_load_dword v19, off, s[44:47], 0 offset:380 ; 4-byte Folded Reload
	buffer_load_dword v20, off, s[44:47], 0 offset:384 ; 4-byte Folded Reload
	s_waitcnt vmcnt(3)
	v_fmac_f32_e32 v22, v17, v15
	s_waitcnt vmcnt(2)
	v_fmac_f32_e32 v23, v18, v16
	global_load_dwordx2 v[15:16], v[13:14], off offset:512
	s_waitcnt vmcnt(0)
	v_fmac_f32_e32 v22, v19, v15
	v_fmac_f32_e32 v23, v20, v16
	global_load_dwordx2 v[15:16], v[13:14], off offset:1024
	buffer_load_dword v17, off, s[44:47], 0 offset:388 ; 4-byte Folded Reload
	buffer_load_dword v18, off, s[44:47], 0 offset:392 ; 4-byte Folded Reload
	buffer_load_dword v19, off, s[44:47], 0 offset:396 ; 4-byte Folded Reload
	buffer_load_dword v20, off, s[44:47], 0 offset:400 ; 4-byte Folded Reload
	s_waitcnt vmcnt(3)
	v_fmac_f32_e32 v22, v17, v15
	s_waitcnt vmcnt(2)
	v_fmac_f32_e32 v23, v18, v16
	global_load_dwordx2 v[15:16], v[13:14], off offset:1536
	s_waitcnt vmcnt(0)
	v_fmac_f32_e32 v22, v19, v15
	v_fmac_f32_e32 v23, v20, v16
	global_load_dwordx2 v[15:16], v[13:14], off offset:2048
	buffer_load_dword v17, off, s[44:47], 0 offset:404 ; 4-byte Folded Reload
	buffer_load_dword v18, off, s[44:47], 0 offset:408 ; 4-byte Folded Reload
	buffer_load_dword v19, off, s[44:47], 0 offset:412 ; 4-byte Folded Reload
	buffer_load_dword v20, off, s[44:47], 0 offset:416 ; 4-byte Folded Reload
	s_waitcnt vmcnt(3)
	v_fmac_f32_e32 v22, v17, v15
	s_waitcnt vmcnt(2)
	v_fmac_f32_e32 v23, v18, v16
	global_load_dwordx2 v[15:16], v[13:14], off offset:2560
	s_waitcnt vmcnt(0)
	v_fmac_f32_e32 v22, v19, v15
	v_fmac_f32_e32 v23, v20, v16
	global_load_dwordx2 v[15:16], v[13:14], off offset:3072
	s_waitcnt vmcnt(0) lgkmcnt(8)
	v_fmac_f32_e32 v22, v33, v15
	global_load_dwordx2 v[13:14], v[13:14], off offset:3584
	v_fmac_f32_e32 v23, v34, v16
	s_waitcnt vmcnt(0)
	v_fmac_f32_e32 v22, v35, v13
	v_fmac_f32_e32 v23, v36, v14
	global_load_dwordx2 v[13:14], v[11:12], off
	s_waitcnt vmcnt(0) lgkmcnt(7)
	v_fmac_f32_e32 v22, v37, v13
	v_fmac_f32_e32 v23, v38, v14
	global_load_dwordx2 v[13:14], v[11:12], off offset:512
	s_waitcnt vmcnt(0)
	v_fmac_f32_e32 v22, v39, v13
	v_fmac_f32_e32 v23, v40, v14
	global_load_dwordx2 v[13:14], v[11:12], off offset:1024
	s_waitcnt vmcnt(0) lgkmcnt(6)
	v_fmac_f32_e32 v22, v41, v13
	v_fmac_f32_e32 v23, v42, v14
	global_load_dwordx2 v[13:14], v[11:12], off offset:1536
	s_waitcnt vmcnt(0)
	v_fmac_f32_e32 v22, v43, v13
	v_fmac_f32_e32 v23, v44, v14
	global_load_dwordx2 v[13:14], v[11:12], off offset:2048
	;; [unrolled: 8-line block ×3, first 2 shown]
	s_waitcnt vmcnt(0) lgkmcnt(4)
	v_fmac_f32_e32 v22, v49, v13
	global_load_dwordx2 v[11:12], v[11:12], off offset:3584
	v_fmac_f32_e32 v23, v50, v14
	s_waitcnt vmcnt(0)
	v_fmac_f32_e32 v22, v51, v11
	v_fmac_f32_e32 v23, v52, v12
	global_load_dwordx2 v[11:12], v[9:10], off
	s_waitcnt vmcnt(0) lgkmcnt(3)
	v_fmac_f32_e32 v22, v53, v11
	v_fmac_f32_e32 v23, v54, v12
	global_load_dwordx2 v[11:12], v[9:10], off offset:512
	s_waitcnt vmcnt(0)
	v_fmac_f32_e32 v22, v55, v11
	v_fmac_f32_e32 v23, v56, v12
	global_load_dwordx2 v[11:12], v[9:10], off offset:1024
	s_waitcnt vmcnt(0) lgkmcnt(2)
	v_fmac_f32_e32 v22, v57, v11
	v_fmac_f32_e32 v23, v58, v12
	global_load_dwordx2 v[11:12], v[9:10], off offset:1536
	s_waitcnt vmcnt(0)
	v_fmac_f32_e32 v22, v59, v11
	v_fmac_f32_e32 v23, v60, v12
	global_load_dwordx2 v[11:12], v[9:10], off offset:2048
	;; [unrolled: 8-line block ×3, first 2 shown]
	s_waitcnt vmcnt(0) lgkmcnt(0)
	v_fmac_f32_e32 v23, v6, v12
	global_load_dwordx2 v[9:10], v[9:10], off offset:3584
	v_fmac_f32_e32 v22, v5, v11
	s_waitcnt vmcnt(0)
	v_fmac_f32_e32 v23, v8, v10
	buffer_load_dword v10, off, s[44:47], 0 offset:240 ; 4-byte Folded Reload
	v_fmac_f32_e32 v22, v7, v9
	v_add_f32_e32 v9, v22, v23
	s_waitcnt vmcnt(0)
	ds_bpermute_b32 v10, v10, v9
	s_and_saveexec_b64 s[30:31], vcc
	s_cbranch_execz .LBB53_8
; %bb.10:                               ;   in Loop: Header=BB53_9 Depth=1
	v_add_u32_e32 v11, s15, v0
	v_cvt_f32_i32_e32 v11, v11
	s_waitcnt lgkmcnt(0)
	v_add_f32_e32 v9, v9, v10
	v_cmp_gt_i32_e64 s[4:5], s33, v0
	v_max_f32_e32 v10, v32, v32
	v_mul_f32_e32 v11, s26, v11
	v_cndmask_b32_e64 v11, 0, v11, s[2:3]
	v_fmac_f32_e32 v11, s27, v9
	v_cndmask_b32_e64 v9, 0, v11, s[4:5]
	ds_write_b32 v63, v9
	v_max_f32_e32 v9, v10, v11
	v_cndmask_b32_e64 v32, v32, v9, s[4:5]
	s_branch .LBB53_8
.LBB53_11:
	s_or_b64 exec, exec, s[28:29]
	buffer_load_dword v37, off, s[44:47], 0 offset:540 ; 4-byte Folded Reload
	buffer_load_dword v21, off, s[44:47], 0 offset:304 ; 4-byte Folded Reload
	;; [unrolled: 1-line block ×4, first 2 shown]
	s_waitcnt lgkmcnt(0)
	buffer_load_dword v10, off, s[44:47], 0 offset:428 ; 4-byte Folded Reload
	buffer_load_dword v7, off, s[44:47], 0 offset:432 ; 4-byte Folded Reload
	;; [unrolled: 1-line block ×3, first 2 shown]
.LBB53_12:
	s_or_b64 exec, exec, s[6:7]
	s_waitcnt vmcnt(2)
	v_xor_b32_e32 v0, 32, v10
	s_waitcnt vmcnt(0)
	v_cmp_lt_i32_e32 vcc, v0, v8
	v_cndmask_b32_e32 v0, v10, v0, vcc
	v_lshlrev_b32_e32 v0, 2, v0
	ds_bpermute_b32 v1, v0, v32
	v_xor_b32_e32 v3, 16, v10
	v_max_f32_e32 v2, v32, v32
	v_cmp_lt_i32_e32 vcc, v3, v8
	v_xor_b32_e32 v4, 8, v10
	s_waitcnt lgkmcnt(0)
	v_max_f32_e32 v1, v1, v1
	v_max_f32_e32 v2, v2, v1
	v_cndmask_b32_e32 v1, v10, v3, vcc
	v_lshlrev_b32_e32 v1, 2, v1
	ds_bpermute_b32 v3, v1, v2
	v_cmp_lt_i32_e32 vcc, v4, v8
	v_xor_b32_e32 v5, 4, v10
	v_and_b32_e32 v38, 63, v37
	s_waitcnt lgkmcnt(0)
	v_max_f32_e32 v3, v3, v3
	v_max_f32_e32 v3, v2, v3
	v_cndmask_b32_e32 v2, v10, v4, vcc
	v_lshlrev_b32_e32 v2, 2, v2
	ds_bpermute_b32 v4, v2, v3
	v_cmp_lt_i32_e32 vcc, v5, v8
	s_waitcnt lgkmcnt(0)
	v_max_f32_e32 v4, v4, v4
	v_max_f32_e32 v3, v3, v4
	v_cndmask_b32_e32 v4, v10, v5, vcc
	v_lshlrev_b32_e32 v33, 2, v4
	ds_bpermute_b32 v4, v33, v3
	v_xor_b32_e32 v5, 2, v10
	v_cmp_lt_i32_e32 vcc, v5, v8
	s_waitcnt lgkmcnt(0)
	v_max_f32_e32 v4, v4, v4
	v_max_f32_e32 v4, v3, v4
	v_cndmask_b32_e32 v3, v10, v5, vcc
	v_lshlrev_b32_e32 v36, 2, v3
	ds_bpermute_b32 v5, v36, v4
	v_cmp_eq_u32_e32 vcc, 0, v38
	v_lshlrev_b32_e32 v3, 2, v21
	s_and_saveexec_b64 s[2:3], vcc
	s_cbranch_execz .LBB53_14
; %bb.13:
	s_waitcnt lgkmcnt(0)
	v_max_f32_e32 v5, v5, v5
	v_max_f32_e32 v4, v4, v4
	;; [unrolled: 1-line block ×3, first 2 shown]
	ds_write_b32 v3, v4 offset:1024
.LBB53_14:
	s_or_b64 exec, exec, s[2:3]
	v_cmp_gt_u32_e64 s[2:3], 2, v38
	s_waitcnt lgkmcnt(0)
	v_mov_b32_e32 v5, 0xff7fffff
	v_lshlrev_b32_e32 v4, 2, v38
	s_barrier
	s_and_saveexec_b64 s[4:5], s[2:3]
; %bb.15:
	ds_read_b32 v5, v4 offset:1024
; %bb.16:
	s_or_b64 exec, exec, s[4:5]
	v_xor_b32_e32 v6, 1, v10
	v_cmp_lt_i32_e64 s[4:5], v6, v8
	v_cndmask_b32_e64 v6, v10, v6, s[4:5]
	v_lshlrev_b32_e32 v39, 2, v6
	s_waitcnt lgkmcnt(0)
	ds_bpermute_b32 v6, v39, v5
	v_max_f32_e32 v5, v5, v5
	s_lshl_b32 s4, s12, 5
	s_min_i32 s15, s4, s33
	v_cmp_gt_i32_e64 s[4:5], s15, v37
	s_waitcnt lgkmcnt(0)
	v_max_f32_e32 v6, v6, v6
	v_max_f32_e32 v5, v5, v6
	v_lshlrev_b32_e32 v6, 2, v7
	ds_bpermute_b32 v6, v6, v5
	v_mov_b32_e32 v5, 0
	s_and_saveexec_b64 s[26:27], s[4:5]
	s_cbranch_execz .LBB53_20
; %bb.17:
	v_mov_b32_e32 v5, 0x410
	v_lshl_add_u32 v7, v37, 2, v5
	v_mov_b32_e32 v5, 0
	s_mov_b64 s[28:29], 0
	v_mov_b32_e32 v8, v37
.LBB53_18:                              ; =>This Inner Loop Header: Depth=1
	ds_read_b32 v9, v7
	v_add_u32_e32 v8, 0x80, v8
	v_cmp_le_i32_e64 s[6:7], s15, v8
	s_or_b64 s[28:29], s[6:7], s[28:29]
	s_waitcnt lgkmcnt(0)
	v_sub_f32_e32 v9, v9, v6
	v_mul_f32_e32 v9, 0x3fb8aa3b, v9
	v_exp_f32_e32 v9, v9
	ds_write_b32 v7, v9
	v_add_f32_e32 v5, v5, v9
	v_add_u32_e32 v7, 0x200, v7
	s_andn2_b64 exec, exec, s[28:29]
	s_cbranch_execnz .LBB53_18
; %bb.19:
	s_or_b64 exec, exec, s[28:29]
.LBB53_20:
	s_or_b64 exec, exec, s[26:27]
	ds_bpermute_b32 v0, v0, v5
	s_waitcnt lgkmcnt(0)
	v_add_f32_e32 v0, v5, v0
	ds_bpermute_b32 v1, v1, v0
	s_waitcnt lgkmcnt(0)
	v_add_f32_e32 v0, v0, v1
	;; [unrolled: 3-line block ×6, first 2 shown]
	s_and_saveexec_b64 s[6:7], vcc
; %bb.21:
	ds_write_b32 v3, v0 offset:1032
; %bb.22:
	s_or_b64 exec, exec, s[6:7]
	s_waitcnt lgkmcnt(0)
	s_barrier
	s_and_saveexec_b64 s[6:7], s[2:3]
; %bb.23:
	ds_read_b32 v0, v4 offset:1032
; %bb.24:
	s_or_b64 exec, exec, s[6:7]
	s_waitcnt lgkmcnt(0)
	ds_bpermute_b32 v1, v39, v0
	v_lshlrev_b32_e32 v2, 2, v10
	s_waitcnt lgkmcnt(0)
	v_add_f32_e32 v0, v0, v1
	v_and_b32_e32 v1, 0xffffff00, v2
	ds_bpermute_b32 v0, v1, v0
	s_and_saveexec_b64 s[2:3], s[4:5]
	s_cbranch_execz .LBB53_27
; %bb.25:
	s_waitcnt lgkmcnt(0)
	v_add_f32_e32 v1, 0x358637bd, v0
	v_div_scale_f32 v0, s[4:5], v1, v1, 1.0
	v_div_scale_f32 v2, vcc, 1.0, v1, 1.0
	s_mov_b64 s[4:5], 0
	v_rcp_f32_e32 v3, v0
	v_fma_f32 v4, -v0, v3, 1.0
	v_fmac_f32_e32 v3, v4, v3
	v_mul_f32_e32 v4, v2, v3
	v_fma_f32 v5, -v0, v4, v2
	v_fmac_f32_e32 v4, v5, v3
	v_fma_f32 v0, -v0, v4, v2
	v_div_fmas_f32 v2, v0, v3, v4
	v_mov_b32_e32 v0, 0x410
	v_lshl_add_u32 v0, v37, 2, v0
	v_div_fixup_f32 v1, v2, v1, 1.0
	v_mov_b32_e32 v2, v37
.LBB53_26:                              ; =>This Inner Loop Header: Depth=1
	ds_read_b32 v3, v0
	v_add_u32_e32 v2, 0x80, v2
	v_cmp_le_i32_e32 vcc, s15, v2
	s_or_b64 s[4:5], vcc, s[4:5]
	s_waitcnt lgkmcnt(0)
	v_mul_f32_e32 v3, v1, v3
	ds_write_b32 v0, v3
	v_add_u32_e32 v0, 0x200, v0
	s_andn2_b64 exec, exec, s[4:5]
	s_cbranch_execnz .LBB53_26
.LBB53_27:
	s_or_b64 exec, exec, s[2:3]
	v_mov_b32_e32 v4, 0
	v_and_b32_e32 v40, 7, v37
	v_mov_b32_e32 v6, 0
	v_mov_b32_e32 v5, 0
	;; [unrolled: 1-line block ×31, first 2 shown]
	s_waitcnt lgkmcnt(0)
	s_barrier
	s_and_saveexec_b64 s[2:3], s[0:1]
	s_cbranch_execz .LBB53_95
; %bb.28:
	v_and_b32_e32 v1, 0xfc, v44
	v_or_b32_e32 v2, 0xf00, v44
	v_lshlrev_b32_e32 v1, 2, v1
	buffer_store_dword v39, off, s[44:47], 0 offset:556 ; 4-byte Folded Spill
	buffer_store_dword v36, off, s[44:47], 0 offset:552 ; 4-byte Folded Spill
	;; [unrolled: 1-line block ×4, first 2 shown]
	v_or_b32_e32 v3, 0x1f00, v44
	buffer_store_dword v1, off, s[44:47], 0 offset:528 ; 4-byte Folded Spill
	v_lshlrev_b32_e32 v1, 2, v2
	buffer_store_dword v1, off, s[44:47], 0 offset:532 ; 4-byte Folded Spill
	v_lshlrev_b32_e32 v1, 2, v3
	buffer_store_dword v1, off, s[44:47], 0 offset:536 ; 4-byte Folded Spill
	v_mov_b32_e32 v1, 0
	buffer_store_dword v1, off, s[44:47], 0 offset:308 ; 4-byte Folded Spill
	v_mov_b32_e32 v1, 0
	;; [unrolled: 2-line block ×21, first 2 shown]
	s_ashr_i32 s15, s14, 31
	buffer_store_dword v1, off, s[44:47], 0 offset:472 ; 4-byte Folded Spill
	v_mov_b32_e32 v1, 0
	s_lshl_b64 s[0:1], s[14:15], 2
	buffer_store_dword v1, off, s[44:47], 0 offset:476 ; 4-byte Folded Spill
	v_mov_b32_e32 v1, 0
	v_and_b32_e32 v0, 28, v44
	s_add_u32 s14, s24, s0
	v_lshlrev_b32_e32 v4, 5, v21
	buffer_store_dword v1, off, s[44:47], 0 offset:480 ; 4-byte Folded Spill
	v_mov_b32_e32 v1, 0
	s_addc_u32 s6, s25, s1
	s_add_i32 s15, s12, -1
	v_or3_b32 v0, v4, v0, 3
	v_lshlrev_b32_e32 v4, 4, v40
	s_lshl_b64 s[0:1], s[22:23], 2
	buffer_store_dword v1, off, s[44:47], 0 offset:484 ; 4-byte Folded Spill
	v_mov_b32_e32 v1, 0
	v_lshl_or_b32 v4, v21, 7, v4
	s_add_u32 s0, s20, s0
	buffer_store_dword v1, off, s[44:47], 0 offset:488 ; 4-byte Folded Spill
	v_mov_b32_e32 v1, 0
	v_add_u32_e32 v6, 0x410, v4
	v_and_b32_e32 v4, 60, v61
	s_addc_u32 s1, s21, s1
	buffer_store_dword v1, off, s[44:47], 0 offset:492 ; 4-byte Folded Spill
	v_mov_b32_e32 v1, 0
	v_mov_b32_e32 v5, s1
	v_add_co_u32_e32 v61, vcc, s0, v4
	buffer_store_dword v1, off, s[44:47], 0 offset:496 ; 4-byte Folded Spill
	v_mov_b32_e32 v1, 0
	v_mov_b32_e32 v41, 0
	v_addc_co_u32_e32 v62, vcc, 0, v5, vcc
	s_mov_b64 s[4:5], 0
	v_mov_b32_e32 v4, s6
	v_mov_b32_e32 v3, v6
	;; [unrolled: 1-line block ×4, first 2 shown]
	buffer_store_dword v1, off, s[44:47], 0 offset:504 ; 4-byte Folded Spill
	v_mov_b32_e32 v1, 0
	buffer_store_dword v40, off, s[44:47], 0 offset:560 ; 4-byte Folded Spill
	buffer_store_dword v4, off, s[44:47], 0 offset:524 ; 4-byte Folded Spill
	;; [unrolled: 1-line block ×3, first 2 shown]
	s_branch .LBB53_30
.LBB53_29:                              ;   in Loop: Header=BB53_30 Depth=1
	s_or_b64 exec, exec, s[6:7]
	s_waitcnt lgkmcnt(0)
	v_mul_f32_e32 v17, v1, v17
	v_fmac_f32_e32 v17, v2, v18
	v_fmac_f32_e32 v17, v3, v19
	;; [unrolled: 1-line block ×3, first 2 shown]
	buffer_load_dword v18, off, s[44:47], 0 offset:288 ; 4-byte Folded Reload
	buffer_load_dword v19, off, s[44:47], 0 offset:292 ; 4-byte Folded Reload
	;; [unrolled: 1-line block ×4, first 2 shown]
	v_mul_f32_e32 v13, v1, v13
	v_fmac_f32_e32 v13, v2, v14
	v_fmac_f32_e32 v13, v3, v15
	v_fmac_f32_e32 v13, v4, v16
	v_mul_f32_e32 v15, v1, v25
	v_fmac_f32_e32 v15, v2, v26
	v_fmac_f32_e32 v15, v3, v27
	v_fmac_f32_e32 v15, v4, v28
	;; [unrolled: 4-line block ×4, first 2 shown]
	v_mul_f32_e32 v12, v1, v33
	v_fmac_f32_e32 v12, v2, v34
	v_fmac_f32_e32 v12, v3, v35
	v_mul_f32_e32 v5, v1, v5
	v_fmac_f32_e32 v5, v2, v6
	v_fmac_f32_e32 v5, v3, v7
	v_fmac_f32_e32 v5, v4, v8
	v_mul_f32_e32 v6, v1, v57
	v_fmac_f32_e32 v6, v2, v58
	;; [unrolled: 4-line block ×6, first 2 shown]
	v_fmac_f32_e32 v11, v3, v39
	v_fmac_f32_e32 v11, v4, v40
	;; [unrolled: 1-line block ×3, first 2 shown]
	v_add_u32_e32 v0, 64, v0
	s_waitcnt vmcnt(3)
	v_mul_f32_e32 v16, v1, v18
	s_waitcnt vmcnt(2)
	v_fmac_f32_e32 v16, v2, v19
	s_waitcnt vmcnt(1)
	v_fmac_f32_e32 v16, v3, v20
	s_waitcnt vmcnt(0)
	v_fmac_f32_e32 v16, v4, v21
	buffer_load_dword v18, off, s[44:47], 0 offset:272 ; 4-byte Folded Reload
	buffer_load_dword v19, off, s[44:47], 0 offset:276 ; 4-byte Folded Reload
	buffer_load_dword v20, off, s[44:47], 0 offset:280 ; 4-byte Folded Reload
	buffer_load_dword v21, off, s[44:47], 0 offset:284 ; 4-byte Folded Reload
	s_waitcnt vmcnt(3)
	v_mul_f32_e32 v18, v1, v18
	s_waitcnt vmcnt(2)
	v_fmac_f32_e32 v18, v2, v19
	s_waitcnt vmcnt(1)
	v_fmac_f32_e32 v18, v3, v20
	s_waitcnt vmcnt(0)
	v_fmac_f32_e32 v18, v4, v21
	buffer_load_dword v19, off, s[44:47], 0 offset:256 ; 4-byte Folded Reload
	buffer_load_dword v20, off, s[44:47], 0 offset:260 ; 4-byte Folded Reload
	buffer_load_dword v21, off, s[44:47], 0 offset:264 ; 4-byte Folded Reload
	buffer_load_dword v22, off, s[44:47], 0 offset:268 ; 4-byte Folded Reload
	;; [unrolled: 12-line block ×15, first 2 shown]
	s_waitcnt vmcnt(3)
	v_mul_f32_e32 v32, v1, v32
	s_waitcnt vmcnt(2)
	v_fmac_f32_e32 v32, v2, v33
	buffer_load_dword v33, off, s[44:47], 0 offset:308 ; 4-byte Folded Reload
	s_waitcnt vmcnt(2)
	v_fmac_f32_e32 v32, v3, v34
	s_waitcnt vmcnt(1)
	v_fmac_f32_e32 v32, v4, v35
	s_waitcnt vmcnt(0)
	v_add_f32_e32 v33, v33, v17
	buffer_load_dword v17, off, s[44:47], 0 offset:324 ; 4-byte Folded Reload
	s_waitcnt vmcnt(0)
	v_add_f32_e32 v17, v17, v13
	buffer_load_dword v13, off, s[44:47], 0 offset:340 ; 4-byte Folded Reload
	s_nop 0
	buffer_store_dword v17, off, s[44:47], 0 offset:324 ; 4-byte Folded Spill
	buffer_load_dword v17, off, s[44:47], 0 offset:516 ; 4-byte Folded Reload
	s_waitcnt vmcnt(2)
	v_add_f32_e32 v13, v13, v9
	buffer_load_dword v9, off, s[44:47], 0 offset:356 ; 4-byte Folded Reload
	s_waitcnt vmcnt(1)
	v_add_f32_e32 v17, v17, v21
	buffer_store_dword v33, off, s[44:47], 0 offset:308 ; 4-byte Folded Spill
	buffer_store_dword v13, off, s[44:47], 0 offset:340 ; 4-byte Folded Spill
	s_waitcnt vmcnt(2)
	v_add_f32_e32 v9, v9, v5
	buffer_load_dword v5, off, s[44:47], 0 offset:372 ; 4-byte Folded Reload
	s_waitcnt vmcnt(0)
	v_add_f32_e32 v5, v5, v6
	buffer_store_dword v5, off, s[44:47], 0 offset:372 ; 4-byte Folded Spill
	buffer_load_dword v5, off, s[44:47], 0 offset:388 ; 4-byte Folded Reload
	s_waitcnt vmcnt(0)
	v_add_f32_e32 v5, v5, v7
	buffer_store_dword v5, off, s[44:47], 0 offset:388 ; 4-byte Folded Spill
	;; [unrolled: 4-line block ×10, first 2 shown]
	buffer_load_dword v18, off, s[44:47], 0 offset:512 ; 4-byte Folded Reload
	s_nop 0
	buffer_load_dword v5, off, s[44:47], 0 offset:448 ; 4-byte Folded Reload
	s_waitcnt vmcnt(1)
	v_add_f32_e32 v18, v18, v19
	buffer_store_dword v9, off, s[44:47], 0 offset:356 ; 4-byte Folded Spill
	s_waitcnt vmcnt(1)
	v_add_f32_e32 v5, v5, v20
	buffer_store_dword v5, off, s[44:47], 0 offset:448 ; 4-byte Folded Spill
	buffer_load_dword v5, off, s[44:47], 0 offset:452 ; 4-byte Folded Reload
	s_waitcnt vmcnt(0)
	v_add_f32_e32 v5, v5, v22
	buffer_store_dword v5, off, s[44:47], 0 offset:452 ; 4-byte Folded Spill
	buffer_load_dword v5, off, s[44:47], 0 offset:456 ; 4-byte Folded Reload
	;; [unrolled: 4-line block ×12, first 2 shown]
	s_nop 0
	buffer_load_dword v6, off, s[44:47], 0 offset:36 ; 4-byte Folded Reload
	buffer_load_dword v7, off, s[44:47], 0 offset:40 ; 4-byte Folded Reload
	;; [unrolled: 1-line block ×3, first 2 shown]
	s_waitcnt vmcnt(3)
	v_mul_f32_e32 v5, v1, v5
	s_waitcnt vmcnt(2)
	v_fmac_f32_e32 v5, v2, v6
	buffer_load_dword v6, off, s[44:47], 0 offset:496 ; 4-byte Folded Reload
	s_waitcnt vmcnt(2)
	v_fmac_f32_e32 v5, v3, v7
	s_waitcnt vmcnt(1)
	v_fmac_f32_e32 v5, v4, v8
	s_waitcnt vmcnt(0)
	v_add_f32_e32 v6, v6, v5
	buffer_store_dword v6, off, s[44:47], 0 offset:496 ; 4-byte Folded Spill
	buffer_load_dword v5, off, s[44:47], 0 offset:16 ; 4-byte Folded Reload
	s_nop 0
	buffer_load_dword v6, off, s[44:47], 0 offset:20 ; 4-byte Folded Reload
	buffer_load_dword v7, off, s[44:47], 0 offset:24 ; 4-byte Folded Reload
	;; [unrolled: 1-line block ×3, first 2 shown]
	s_waitcnt vmcnt(3)
	v_mul_f32_e32 v5, v1, v5
	s_waitcnt vmcnt(2)
	v_fmac_f32_e32 v5, v2, v6
	buffer_load_dword v6, off, s[44:47], 0 offset:504 ; 4-byte Folded Reload
	s_waitcnt vmcnt(2)
	v_fmac_f32_e32 v5, v3, v7
	s_waitcnt vmcnt(1)
	v_fmac_f32_e32 v5, v4, v8
	s_waitcnt vmcnt(0)
	v_add_f32_e32 v6, v6, v5
	buffer_store_dword v6, off, s[44:47], 0 offset:504 ; 4-byte Folded Spill
	buffer_load_dword v5, off, s[44:47], 0  ; 4-byte Folded Reload
	s_nop 0
	buffer_load_dword v6, off, s[44:47], 0 offset:4 ; 4-byte Folded Reload
	buffer_load_dword v7, off, s[44:47], 0 offset:8 ; 4-byte Folded Reload
	;; [unrolled: 1-line block ×4, first 2 shown]
	s_waitcnt vmcnt(4)
	v_mul_f32_e32 v5, v1, v5
	v_mul_f32_e32 v1, v1, v45
	s_waitcnt vmcnt(3)
	v_fmac_f32_e32 v5, v2, v6
	v_fmac_f32_e32 v1, v2, v46
	s_waitcnt vmcnt(2)
	v_fmac_f32_e32 v5, v3, v7
	buffer_load_dword v6, off, s[44:47], 0 offset:500 ; 4-byte Folded Reload
	v_fmac_f32_e32 v1, v3, v47
	buffer_load_dword v3, off, s[44:47], 0 offset:520 ; 4-byte Folded Reload
	buffer_load_dword v21, off, s[44:47], 0 offset:304 ; 4-byte Folded Reload
	s_waitcnt vmcnt(4)
	v_fmac_f32_e32 v5, v4, v8
	v_fmac_f32_e32 v1, v4, v48
	s_waitcnt vmcnt(3)
	v_add_f32_e32 v41, v41, v1
	s_waitcnt vmcnt(2)
	v_add_f32_e32 v6, v6, v5
	buffer_store_dword v6, off, s[44:47], 0 offset:500 ; 4-byte Folded Spill
	s_waitcnt vmcnt(2)
	v_add_u32_e32 v3, 0x100, v3
	s_waitcnt vmcnt(1)
	v_add_u32_e32 v21, 2, v21
	v_cmp_le_i32_e32 vcc, s12, v21
	s_or_b64 s[4:5], vcc, s[4:5]
	v_add_co_u32_e32 v61, vcc, 8, v61
	v_addc_co_u32_e32 v62, vcc, 0, v62, vcc
	s_andn2_b64 exec, exec, s[4:5]
	s_cbranch_execz .LBB53_94
.LBB53_30:                              ; =>This Inner Loop Header: Depth=1
	buffer_store_dword v17, off, s[44:47], 0 offset:516 ; 4-byte Folded Spill
	buffer_store_dword v18, off, s[44:47], 0 offset:512 ; 4-byte Folded Spill
	;; [unrolled: 1-line block ×3, first 2 shown]
	global_load_dword v1, v[61:62], off
	v_add_u32_e32 v22, -2, v0
	s_waitcnt vmcnt(0)
	v_mad_i64_i32 v[1:2], s[0:1], v1, s13, 0
	v_cmp_eq_u32_e64 s[0:1], s15, v21
	v_lshlrev_b64 v[1:2], 2, v[1:2]
	v_add_co_u32_e32 v45, vcc, s14, v1
	buffer_load_dword v1, off, s[44:47], 0 offset:524 ; 4-byte Folded Reload
	s_waitcnt vmcnt(0)
	v_addc_co_u32_e32 v46, vcc, v1, v2, vcc
	buffer_load_dword v1, off, s[44:47], 0 offset:528 ; 4-byte Folded Reload
	s_waitcnt vmcnt(0)
	v_add_co_u32_e32 v17, vcc, v45, v1
	v_addc_co_u32_e32 v18, vcc, 0, v46, vcc
	global_load_dwordx4 v[4:7], v[17:18], off
	s_waitcnt vmcnt(0)
	buffer_store_dword v4, off, s[44:47], 0 ; 4-byte Folded Spill
	s_nop 0
	buffer_store_dword v5, off, s[44:47], 0 offset:4 ; 4-byte Folded Spill
	buffer_store_dword v6, off, s[44:47], 0 offset:8 ; 4-byte Folded Spill
	;; [unrolled: 1-line block ×4, first 2 shown]
	ds_read_b128 v[1:4], v3
	buffer_store_dword v21, off, s[44:47], 0 offset:304 ; 4-byte Folded Spill
	v_add_u32_e32 v21, -1, v0
	s_and_saveexec_b64 s[6:7], s[0:1]
	s_cbranch_execz .LBB53_32
; %bb.31:                               ;   in Loop: Header=BB53_30 Depth=1
	v_add_u32_e32 v5, -3, v0
	v_cmp_gt_i32_e32 vcc, s33, v5
	buffer_load_dword v5, off, s[44:47], 0  ; 4-byte Folded Reload
	buffer_load_dword v6, off, s[44:47], 0 offset:4 ; 4-byte Folded Reload
	buffer_load_dword v7, off, s[44:47], 0 offset:8 ; 4-byte Folded Reload
	;; [unrolled: 1-line block ×3, first 2 shown]
	s_waitcnt vmcnt(3)
	v_cndmask_b32_e32 v5, 0, v5, vcc
	v_cmp_gt_i32_e32 vcc, s33, v22
	s_waitcnt vmcnt(2)
	v_cndmask_b32_e32 v6, 0, v6, vcc
	v_cmp_gt_i32_e32 vcc, s33, v21
	;; [unrolled: 3-line block ×3, first 2 shown]
	s_waitcnt vmcnt(0)
	v_cndmask_b32_e32 v8, 0, v8, vcc
	buffer_store_dword v5, off, s[44:47], 0 ; 4-byte Folded Spill
	s_nop 0
	buffer_store_dword v6, off, s[44:47], 0 offset:4 ; 4-byte Folded Spill
	buffer_store_dword v7, off, s[44:47], 0 offset:8 ; 4-byte Folded Spill
	;; [unrolled: 1-line block ×3, first 2 shown]
.LBB53_32:                              ;   in Loop: Header=BB53_30 Depth=1
	s_or_b64 exec, exec, s[6:7]
	global_load_dwordx4 v[5:8], v[17:18], off offset:1024
	s_waitcnt vmcnt(0)
	buffer_store_dword v5, off, s[44:47], 0 offset:16 ; 4-byte Folded Spill
	s_nop 0
	buffer_store_dword v6, off, s[44:47], 0 offset:20 ; 4-byte Folded Spill
	buffer_store_dword v7, off, s[44:47], 0 offset:24 ; 4-byte Folded Spill
	buffer_store_dword v8, off, s[44:47], 0 offset:28 ; 4-byte Folded Spill
	s_and_saveexec_b64 s[6:7], s[0:1]
	s_cbranch_execz .LBB53_34
; %bb.33:                               ;   in Loop: Header=BB53_30 Depth=1
	v_add_u32_e32 v5, -3, v0
	v_cmp_gt_i32_e32 vcc, s33, v5
	buffer_load_dword v5, off, s[44:47], 0 offset:16 ; 4-byte Folded Reload
	buffer_load_dword v6, off, s[44:47], 0 offset:20 ; 4-byte Folded Reload
	buffer_load_dword v7, off, s[44:47], 0 offset:24 ; 4-byte Folded Reload
	buffer_load_dword v8, off, s[44:47], 0 offset:28 ; 4-byte Folded Reload
	s_waitcnt vmcnt(3)
	v_cndmask_b32_e32 v5, 0, v5, vcc
	v_cmp_gt_i32_e32 vcc, s33, v22
	s_waitcnt vmcnt(2)
	v_cndmask_b32_e32 v6, 0, v6, vcc
	v_cmp_gt_i32_e32 vcc, s33, v21
	s_waitcnt vmcnt(1)
	v_cndmask_b32_e32 v7, 0, v7, vcc
	v_cmp_gt_i32_e32 vcc, s33, v0
	s_waitcnt vmcnt(0)
	v_cndmask_b32_e32 v8, 0, v8, vcc
	buffer_store_dword v5, off, s[44:47], 0 offset:16 ; 4-byte Folded Spill
	s_nop 0
	buffer_store_dword v6, off, s[44:47], 0 offset:20 ; 4-byte Folded Spill
	buffer_store_dword v7, off, s[44:47], 0 offset:24 ; 4-byte Folded Spill
	buffer_store_dword v8, off, s[44:47], 0 offset:28 ; 4-byte Folded Spill
.LBB53_34:                              ;   in Loop: Header=BB53_30 Depth=1
	s_or_b64 exec, exec, s[6:7]
	global_load_dwordx4 v[5:8], v[17:18], off offset:2048
	s_waitcnt vmcnt(0)
	buffer_store_dword v5, off, s[44:47], 0 offset:32 ; 4-byte Folded Spill
	s_nop 0
	buffer_store_dword v6, off, s[44:47], 0 offset:36 ; 4-byte Folded Spill
	buffer_store_dword v7, off, s[44:47], 0 offset:40 ; 4-byte Folded Spill
	buffer_store_dword v8, off, s[44:47], 0 offset:44 ; 4-byte Folded Spill
	s_and_saveexec_b64 s[6:7], s[0:1]
	s_cbranch_execz .LBB53_36
; %bb.35:                               ;   in Loop: Header=BB53_30 Depth=1
	v_add_u32_e32 v5, -3, v0
	v_cmp_gt_i32_e32 vcc, s33, v5
	buffer_load_dword v5, off, s[44:47], 0 offset:32 ; 4-byte Folded Reload
	buffer_load_dword v6, off, s[44:47], 0 offset:36 ; 4-byte Folded Reload
	buffer_load_dword v7, off, s[44:47], 0 offset:40 ; 4-byte Folded Reload
	buffer_load_dword v8, off, s[44:47], 0 offset:44 ; 4-byte Folded Reload
	s_waitcnt vmcnt(3)
	v_cndmask_b32_e32 v5, 0, v5, vcc
	v_cmp_gt_i32_e32 vcc, s33, v22
	s_waitcnt vmcnt(2)
	v_cndmask_b32_e32 v6, 0, v6, vcc
	v_cmp_gt_i32_e32 vcc, s33, v21
	s_waitcnt vmcnt(1)
	v_cndmask_b32_e32 v7, 0, v7, vcc
	v_cmp_gt_i32_e32 vcc, s33, v0
	s_waitcnt vmcnt(0)
	v_cndmask_b32_e32 v8, 0, v8, vcc
	buffer_store_dword v5, off, s[44:47], 0 offset:32 ; 4-byte Folded Spill
	s_nop 0
	buffer_store_dword v6, off, s[44:47], 0 offset:36 ; 4-byte Folded Spill
	buffer_store_dword v7, off, s[44:47], 0 offset:40 ; 4-byte Folded Spill
	buffer_store_dword v8, off, s[44:47], 0 offset:44 ; 4-byte Folded Spill
.LBB53_36:                              ;   in Loop: Header=BB53_30 Depth=1
	;; [unrolled: 34-line block ×3, first 2 shown]
	s_or_b64 exec, exec, s[6:7]
	v_add_co_u32_e32 v5, vcc, 0x1000, v17
	v_addc_co_u32_e32 v6, vcc, 0, v18, vcc
	global_load_dwordx4 v[5:8], v[5:6], off
	s_waitcnt vmcnt(0)
	buffer_store_dword v5, off, s[44:47], 0 offset:64 ; 4-byte Folded Spill
	s_nop 0
	buffer_store_dword v6, off, s[44:47], 0 offset:68 ; 4-byte Folded Spill
	buffer_store_dword v7, off, s[44:47], 0 offset:72 ; 4-byte Folded Spill
	buffer_store_dword v8, off, s[44:47], 0 offset:76 ; 4-byte Folded Spill
	s_and_saveexec_b64 s[6:7], s[0:1]
	s_cbranch_execz .LBB53_40
; %bb.39:                               ;   in Loop: Header=BB53_30 Depth=1
	v_add_u32_e32 v5, -3, v0
	v_cmp_gt_i32_e32 vcc, s33, v5
	buffer_load_dword v5, off, s[44:47], 0 offset:64 ; 4-byte Folded Reload
	buffer_load_dword v6, off, s[44:47], 0 offset:68 ; 4-byte Folded Reload
	buffer_load_dword v7, off, s[44:47], 0 offset:72 ; 4-byte Folded Reload
	buffer_load_dword v8, off, s[44:47], 0 offset:76 ; 4-byte Folded Reload
	s_waitcnt vmcnt(3)
	v_cndmask_b32_e32 v5, 0, v5, vcc
	v_cmp_gt_i32_e32 vcc, s33, v22
	s_waitcnt vmcnt(2)
	v_cndmask_b32_e32 v6, 0, v6, vcc
	v_cmp_gt_i32_e32 vcc, s33, v21
	s_waitcnt vmcnt(1)
	v_cndmask_b32_e32 v7, 0, v7, vcc
	v_cmp_gt_i32_e32 vcc, s33, v0
	s_waitcnt vmcnt(0)
	v_cndmask_b32_e32 v8, 0, v8, vcc
	buffer_store_dword v5, off, s[44:47], 0 offset:64 ; 4-byte Folded Spill
	s_nop 0
	buffer_store_dword v6, off, s[44:47], 0 offset:68 ; 4-byte Folded Spill
	buffer_store_dword v7, off, s[44:47], 0 offset:72 ; 4-byte Folded Spill
	buffer_store_dword v8, off, s[44:47], 0 offset:76 ; 4-byte Folded Spill
.LBB53_40:                              ;   in Loop: Header=BB53_30 Depth=1
	s_or_b64 exec, exec, s[6:7]
	v_add_co_u32_e32 v5, vcc, 0x1000, v17
	v_addc_co_u32_e32 v6, vcc, 0, v18, vcc
	global_load_dwordx4 v[5:8], v[5:6], off offset:1024
	s_waitcnt vmcnt(0)
	buffer_store_dword v5, off, s[44:47], 0 offset:80 ; 4-byte Folded Spill
	s_nop 0
	buffer_store_dword v6, off, s[44:47], 0 offset:84 ; 4-byte Folded Spill
	buffer_store_dword v7, off, s[44:47], 0 offset:88 ; 4-byte Folded Spill
	buffer_store_dword v8, off, s[44:47], 0 offset:92 ; 4-byte Folded Spill
	s_and_saveexec_b64 s[6:7], s[0:1]
	s_cbranch_execz .LBB53_42
; %bb.41:                               ;   in Loop: Header=BB53_30 Depth=1
	v_add_u32_e32 v5, -3, v0
	v_cmp_gt_i32_e32 vcc, s33, v5
	buffer_load_dword v5, off, s[44:47], 0 offset:80 ; 4-byte Folded Reload
	buffer_load_dword v6, off, s[44:47], 0 offset:84 ; 4-byte Folded Reload
	buffer_load_dword v7, off, s[44:47], 0 offset:88 ; 4-byte Folded Reload
	buffer_load_dword v8, off, s[44:47], 0 offset:92 ; 4-byte Folded Reload
	s_waitcnt vmcnt(3)
	v_cndmask_b32_e32 v5, 0, v5, vcc
	v_cmp_gt_i32_e32 vcc, s33, v22
	s_waitcnt vmcnt(2)
	v_cndmask_b32_e32 v6, 0, v6, vcc
	v_cmp_gt_i32_e32 vcc, s33, v21
	s_waitcnt vmcnt(1)
	v_cndmask_b32_e32 v7, 0, v7, vcc
	v_cmp_gt_i32_e32 vcc, s33, v0
	s_waitcnt vmcnt(0)
	v_cndmask_b32_e32 v8, 0, v8, vcc
	buffer_store_dword v5, off, s[44:47], 0 offset:80 ; 4-byte Folded Spill
	s_nop 0
	buffer_store_dword v6, off, s[44:47], 0 offset:84 ; 4-byte Folded Spill
	buffer_store_dword v7, off, s[44:47], 0 offset:88 ; 4-byte Folded Spill
	buffer_store_dword v8, off, s[44:47], 0 offset:92 ; 4-byte Folded Spill
.LBB53_42:                              ;   in Loop: Header=BB53_30 Depth=1
	s_or_b64 exec, exec, s[6:7]
	v_add_co_u32_e32 v5, vcc, 0x1000, v17
	v_addc_co_u32_e32 v6, vcc, 0, v18, vcc
	global_load_dwordx4 v[5:8], v[5:6], off offset:2048
	;; [unrolled: 36-line block ×3, first 2 shown]
	s_waitcnt vmcnt(0)
	buffer_store_dword v5, off, s[44:47], 0 offset:112 ; 4-byte Folded Spill
	s_nop 0
	buffer_store_dword v6, off, s[44:47], 0 offset:116 ; 4-byte Folded Spill
	buffer_store_dword v7, off, s[44:47], 0 offset:120 ; 4-byte Folded Spill
	;; [unrolled: 1-line block ×3, first 2 shown]
	s_and_saveexec_b64 s[6:7], s[0:1]
	s_cbranch_execz .LBB53_46
; %bb.45:                               ;   in Loop: Header=BB53_30 Depth=1
	v_add_u32_e32 v5, -3, v0
	v_cmp_gt_i32_e32 vcc, s33, v5
	buffer_load_dword v5, off, s[44:47], 0 offset:112 ; 4-byte Folded Reload
	buffer_load_dword v6, off, s[44:47], 0 offset:116 ; 4-byte Folded Reload
	buffer_load_dword v7, off, s[44:47], 0 offset:120 ; 4-byte Folded Reload
	buffer_load_dword v8, off, s[44:47], 0 offset:124 ; 4-byte Folded Reload
	s_waitcnt vmcnt(3)
	v_cndmask_b32_e32 v5, 0, v5, vcc
	v_cmp_gt_i32_e32 vcc, s33, v22
	s_waitcnt vmcnt(2)
	v_cndmask_b32_e32 v6, 0, v6, vcc
	v_cmp_gt_i32_e32 vcc, s33, v21
	;; [unrolled: 3-line block ×3, first 2 shown]
	s_waitcnt vmcnt(0)
	v_cndmask_b32_e32 v8, 0, v8, vcc
	buffer_store_dword v5, off, s[44:47], 0 offset:112 ; 4-byte Folded Spill
	s_nop 0
	buffer_store_dword v6, off, s[44:47], 0 offset:116 ; 4-byte Folded Spill
	buffer_store_dword v7, off, s[44:47], 0 offset:120 ; 4-byte Folded Spill
	;; [unrolled: 1-line block ×3, first 2 shown]
.LBB53_46:                              ;   in Loop: Header=BB53_30 Depth=1
	s_or_b64 exec, exec, s[6:7]
	v_add_co_u32_e32 v5, vcc, 0x2000, v17
	v_addc_co_u32_e32 v6, vcc, 0, v18, vcc
	global_load_dwordx4 v[5:8], v[5:6], off
	s_waitcnt vmcnt(0)
	buffer_store_dword v5, off, s[44:47], 0 offset:128 ; 4-byte Folded Spill
	s_nop 0
	buffer_store_dword v6, off, s[44:47], 0 offset:132 ; 4-byte Folded Spill
	buffer_store_dword v7, off, s[44:47], 0 offset:136 ; 4-byte Folded Spill
	buffer_store_dword v8, off, s[44:47], 0 offset:140 ; 4-byte Folded Spill
	s_and_saveexec_b64 s[6:7], s[0:1]
	s_cbranch_execz .LBB53_48
; %bb.47:                               ;   in Loop: Header=BB53_30 Depth=1
	v_add_u32_e32 v5, -3, v0
	v_cmp_gt_i32_e32 vcc, s33, v5
	buffer_load_dword v5, off, s[44:47], 0 offset:128 ; 4-byte Folded Reload
	buffer_load_dword v6, off, s[44:47], 0 offset:132 ; 4-byte Folded Reload
	buffer_load_dword v7, off, s[44:47], 0 offset:136 ; 4-byte Folded Reload
	buffer_load_dword v8, off, s[44:47], 0 offset:140 ; 4-byte Folded Reload
	s_waitcnt vmcnt(3)
	v_cndmask_b32_e32 v5, 0, v5, vcc
	v_cmp_gt_i32_e32 vcc, s33, v22
	s_waitcnt vmcnt(2)
	v_cndmask_b32_e32 v6, 0, v6, vcc
	v_cmp_gt_i32_e32 vcc, s33, v21
	s_waitcnt vmcnt(1)
	v_cndmask_b32_e32 v7, 0, v7, vcc
	v_cmp_gt_i32_e32 vcc, s33, v0
	s_waitcnt vmcnt(0)
	v_cndmask_b32_e32 v8, 0, v8, vcc
	buffer_store_dword v5, off, s[44:47], 0 offset:128 ; 4-byte Folded Spill
	s_nop 0
	buffer_store_dword v6, off, s[44:47], 0 offset:132 ; 4-byte Folded Spill
	buffer_store_dword v7, off, s[44:47], 0 offset:136 ; 4-byte Folded Spill
	buffer_store_dword v8, off, s[44:47], 0 offset:140 ; 4-byte Folded Spill
.LBB53_48:                              ;   in Loop: Header=BB53_30 Depth=1
	s_or_b64 exec, exec, s[6:7]
	v_add_co_u32_e32 v5, vcc, 0x2000, v17
	v_addc_co_u32_e32 v6, vcc, 0, v18, vcc
	global_load_dwordx4 v[5:8], v[5:6], off offset:1024
	s_waitcnt vmcnt(0)
	buffer_store_dword v5, off, s[44:47], 0 offset:144 ; 4-byte Folded Spill
	s_nop 0
	buffer_store_dword v6, off, s[44:47], 0 offset:148 ; 4-byte Folded Spill
	buffer_store_dword v7, off, s[44:47], 0 offset:152 ; 4-byte Folded Spill
	buffer_store_dword v8, off, s[44:47], 0 offset:156 ; 4-byte Folded Spill
	s_and_saveexec_b64 s[6:7], s[0:1]
	s_cbranch_execz .LBB53_50
; %bb.49:                               ;   in Loop: Header=BB53_30 Depth=1
	v_add_u32_e32 v5, -3, v0
	v_cmp_gt_i32_e32 vcc, s33, v5
	buffer_load_dword v5, off, s[44:47], 0 offset:144 ; 4-byte Folded Reload
	buffer_load_dword v6, off, s[44:47], 0 offset:148 ; 4-byte Folded Reload
	buffer_load_dword v7, off, s[44:47], 0 offset:152 ; 4-byte Folded Reload
	buffer_load_dword v8, off, s[44:47], 0 offset:156 ; 4-byte Folded Reload
	s_waitcnt vmcnt(3)
	v_cndmask_b32_e32 v5, 0, v5, vcc
	v_cmp_gt_i32_e32 vcc, s33, v22
	s_waitcnt vmcnt(2)
	v_cndmask_b32_e32 v6, 0, v6, vcc
	v_cmp_gt_i32_e32 vcc, s33, v21
	s_waitcnt vmcnt(1)
	v_cndmask_b32_e32 v7, 0, v7, vcc
	v_cmp_gt_i32_e32 vcc, s33, v0
	s_waitcnt vmcnt(0)
	v_cndmask_b32_e32 v8, 0, v8, vcc
	buffer_store_dword v5, off, s[44:47], 0 offset:144 ; 4-byte Folded Spill
	s_nop 0
	buffer_store_dword v6, off, s[44:47], 0 offset:148 ; 4-byte Folded Spill
	buffer_store_dword v7, off, s[44:47], 0 offset:152 ; 4-byte Folded Spill
	buffer_store_dword v8, off, s[44:47], 0 offset:156 ; 4-byte Folded Spill
.LBB53_50:                              ;   in Loop: Header=BB53_30 Depth=1
	s_or_b64 exec, exec, s[6:7]
	v_add_co_u32_e32 v5, vcc, 0x2000, v17
	v_addc_co_u32_e32 v6, vcc, 0, v18, vcc
	global_load_dwordx4 v[5:8], v[5:6], off offset:2048
	;; [unrolled: 36-line block ×3, first 2 shown]
	s_waitcnt vmcnt(0)
	buffer_store_dword v5, off, s[44:47], 0 offset:176 ; 4-byte Folded Spill
	s_nop 0
	buffer_store_dword v6, off, s[44:47], 0 offset:180 ; 4-byte Folded Spill
	buffer_store_dword v7, off, s[44:47], 0 offset:184 ; 4-byte Folded Spill
	;; [unrolled: 1-line block ×3, first 2 shown]
	s_and_saveexec_b64 s[6:7], s[0:1]
	s_cbranch_execz .LBB53_54
; %bb.53:                               ;   in Loop: Header=BB53_30 Depth=1
	v_add_u32_e32 v5, -3, v0
	v_cmp_gt_i32_e32 vcc, s33, v5
	buffer_load_dword v5, off, s[44:47], 0 offset:176 ; 4-byte Folded Reload
	buffer_load_dword v6, off, s[44:47], 0 offset:180 ; 4-byte Folded Reload
	;; [unrolled: 1-line block ×4, first 2 shown]
	s_waitcnt vmcnt(3)
	v_cndmask_b32_e32 v5, 0, v5, vcc
	v_cmp_gt_i32_e32 vcc, s33, v22
	s_waitcnt vmcnt(2)
	v_cndmask_b32_e32 v6, 0, v6, vcc
	v_cmp_gt_i32_e32 vcc, s33, v21
	;; [unrolled: 3-line block ×3, first 2 shown]
	s_waitcnt vmcnt(0)
	v_cndmask_b32_e32 v8, 0, v8, vcc
	buffer_store_dword v5, off, s[44:47], 0 offset:176 ; 4-byte Folded Spill
	s_nop 0
	buffer_store_dword v6, off, s[44:47], 0 offset:180 ; 4-byte Folded Spill
	buffer_store_dword v7, off, s[44:47], 0 offset:184 ; 4-byte Folded Spill
	;; [unrolled: 1-line block ×3, first 2 shown]
.LBB53_54:                              ;   in Loop: Header=BB53_30 Depth=1
	s_or_b64 exec, exec, s[6:7]
	v_add_co_u32_e32 v5, vcc, 0x3000, v17
	v_addc_co_u32_e32 v6, vcc, 0, v18, vcc
	global_load_dwordx4 v[5:8], v[5:6], off
	s_waitcnt vmcnt(0)
	buffer_store_dword v5, off, s[44:47], 0 offset:192 ; 4-byte Folded Spill
	s_nop 0
	buffer_store_dword v6, off, s[44:47], 0 offset:196 ; 4-byte Folded Spill
	buffer_store_dword v7, off, s[44:47], 0 offset:200 ; 4-byte Folded Spill
	;; [unrolled: 1-line block ×3, first 2 shown]
	s_and_saveexec_b64 s[6:7], s[0:1]
	s_cbranch_execz .LBB53_56
; %bb.55:                               ;   in Loop: Header=BB53_30 Depth=1
	v_add_u32_e32 v5, -3, v0
	v_cmp_gt_i32_e32 vcc, s33, v5
	buffer_load_dword v5, off, s[44:47], 0 offset:192 ; 4-byte Folded Reload
	buffer_load_dword v6, off, s[44:47], 0 offset:196 ; 4-byte Folded Reload
	;; [unrolled: 1-line block ×4, first 2 shown]
	s_waitcnt vmcnt(3)
	v_cndmask_b32_e32 v5, 0, v5, vcc
	v_cmp_gt_i32_e32 vcc, s33, v22
	s_waitcnt vmcnt(2)
	v_cndmask_b32_e32 v6, 0, v6, vcc
	v_cmp_gt_i32_e32 vcc, s33, v21
	;; [unrolled: 3-line block ×3, first 2 shown]
	s_waitcnt vmcnt(0)
	v_cndmask_b32_e32 v8, 0, v8, vcc
	buffer_store_dword v5, off, s[44:47], 0 offset:192 ; 4-byte Folded Spill
	s_nop 0
	buffer_store_dword v6, off, s[44:47], 0 offset:196 ; 4-byte Folded Spill
	buffer_store_dword v7, off, s[44:47], 0 offset:200 ; 4-byte Folded Spill
	;; [unrolled: 1-line block ×3, first 2 shown]
.LBB53_56:                              ;   in Loop: Header=BB53_30 Depth=1
	s_or_b64 exec, exec, s[6:7]
	v_add_co_u32_e32 v5, vcc, 0x3000, v17
	v_addc_co_u32_e32 v6, vcc, 0, v18, vcc
	global_load_dwordx4 v[5:8], v[5:6], off offset:1024
	s_waitcnt vmcnt(0)
	buffer_store_dword v5, off, s[44:47], 0 offset:208 ; 4-byte Folded Spill
	s_nop 0
	buffer_store_dword v6, off, s[44:47], 0 offset:212 ; 4-byte Folded Spill
	buffer_store_dword v7, off, s[44:47], 0 offset:216 ; 4-byte Folded Spill
	;; [unrolled: 1-line block ×3, first 2 shown]
	s_and_saveexec_b64 s[6:7], s[0:1]
	s_cbranch_execz .LBB53_58
; %bb.57:                               ;   in Loop: Header=BB53_30 Depth=1
	v_add_u32_e32 v5, -3, v0
	v_cmp_gt_i32_e32 vcc, s33, v5
	buffer_load_dword v5, off, s[44:47], 0 offset:208 ; 4-byte Folded Reload
	buffer_load_dword v6, off, s[44:47], 0 offset:212 ; 4-byte Folded Reload
	;; [unrolled: 1-line block ×4, first 2 shown]
	s_waitcnt vmcnt(3)
	v_cndmask_b32_e32 v5, 0, v5, vcc
	v_cmp_gt_i32_e32 vcc, s33, v22
	s_waitcnt vmcnt(2)
	v_cndmask_b32_e32 v6, 0, v6, vcc
	v_cmp_gt_i32_e32 vcc, s33, v21
	;; [unrolled: 3-line block ×3, first 2 shown]
	s_waitcnt vmcnt(0)
	v_cndmask_b32_e32 v8, 0, v8, vcc
	buffer_store_dword v5, off, s[44:47], 0 offset:208 ; 4-byte Folded Spill
	s_nop 0
	buffer_store_dword v6, off, s[44:47], 0 offset:212 ; 4-byte Folded Spill
	buffer_store_dword v7, off, s[44:47], 0 offset:216 ; 4-byte Folded Spill
	buffer_store_dword v8, off, s[44:47], 0 offset:220 ; 4-byte Folded Spill
.LBB53_58:                              ;   in Loop: Header=BB53_30 Depth=1
	s_or_b64 exec, exec, s[6:7]
	v_add_co_u32_e32 v5, vcc, 0x3000, v17
	v_addc_co_u32_e32 v6, vcc, 0, v18, vcc
	global_load_dwordx4 v[5:8], v[5:6], off offset:2048
	s_waitcnt vmcnt(0)
	buffer_store_dword v5, off, s[44:47], 0 offset:224 ; 4-byte Folded Spill
	s_nop 0
	buffer_store_dword v6, off, s[44:47], 0 offset:228 ; 4-byte Folded Spill
	buffer_store_dword v7, off, s[44:47], 0 offset:232 ; 4-byte Folded Spill
	;; [unrolled: 1-line block ×3, first 2 shown]
	s_and_saveexec_b64 s[6:7], s[0:1]
	s_cbranch_execz .LBB53_60
; %bb.59:                               ;   in Loop: Header=BB53_30 Depth=1
	v_add_u32_e32 v5, -3, v0
	v_cmp_gt_i32_e32 vcc, s33, v5
	buffer_load_dword v5, off, s[44:47], 0 offset:224 ; 4-byte Folded Reload
	buffer_load_dword v6, off, s[44:47], 0 offset:228 ; 4-byte Folded Reload
	;; [unrolled: 1-line block ×4, first 2 shown]
	s_waitcnt vmcnt(3)
	v_cndmask_b32_e32 v5, 0, v5, vcc
	v_cmp_gt_i32_e32 vcc, s33, v22
	s_waitcnt vmcnt(2)
	v_cndmask_b32_e32 v6, 0, v6, vcc
	v_cmp_gt_i32_e32 vcc, s33, v21
	;; [unrolled: 3-line block ×3, first 2 shown]
	s_waitcnt vmcnt(0)
	v_cndmask_b32_e32 v8, 0, v8, vcc
	buffer_store_dword v5, off, s[44:47], 0 offset:224 ; 4-byte Folded Spill
	s_nop 0
	buffer_store_dword v6, off, s[44:47], 0 offset:228 ; 4-byte Folded Spill
	buffer_store_dword v7, off, s[44:47], 0 offset:232 ; 4-byte Folded Spill
	;; [unrolled: 1-line block ×3, first 2 shown]
.LBB53_60:                              ;   in Loop: Header=BB53_30 Depth=1
	s_or_b64 exec, exec, s[6:7]
	buffer_load_dword v5, off, s[44:47], 0 offset:532 ; 4-byte Folded Reload
	s_waitcnt vmcnt(0)
	v_add_co_u32_e32 v5, vcc, v45, v5
	v_addc_co_u32_e32 v6, vcc, 0, v46, vcc
	global_load_dwordx4 v[5:8], v[5:6], off
	s_waitcnt vmcnt(0)
	buffer_store_dword v5, off, s[44:47], 0 offset:240 ; 4-byte Folded Spill
	s_nop 0
	buffer_store_dword v6, off, s[44:47], 0 offset:244 ; 4-byte Folded Spill
	buffer_store_dword v7, off, s[44:47], 0 offset:248 ; 4-byte Folded Spill
	;; [unrolled: 1-line block ×3, first 2 shown]
	s_and_saveexec_b64 s[6:7], s[0:1]
	s_cbranch_execz .LBB53_62
; %bb.61:                               ;   in Loop: Header=BB53_30 Depth=1
	v_add_u32_e32 v5, -3, v0
	v_cmp_gt_i32_e32 vcc, s33, v5
	buffer_load_dword v5, off, s[44:47], 0 offset:240 ; 4-byte Folded Reload
	buffer_load_dword v6, off, s[44:47], 0 offset:244 ; 4-byte Folded Reload
	;; [unrolled: 1-line block ×4, first 2 shown]
	s_waitcnt vmcnt(3)
	v_cndmask_b32_e32 v5, 0, v5, vcc
	v_cmp_gt_i32_e32 vcc, s33, v22
	s_waitcnt vmcnt(2)
	v_cndmask_b32_e32 v6, 0, v6, vcc
	v_cmp_gt_i32_e32 vcc, s33, v21
	;; [unrolled: 3-line block ×3, first 2 shown]
	s_waitcnt vmcnt(0)
	v_cndmask_b32_e32 v8, 0, v8, vcc
	buffer_store_dword v5, off, s[44:47], 0 offset:240 ; 4-byte Folded Spill
	s_nop 0
	buffer_store_dword v6, off, s[44:47], 0 offset:244 ; 4-byte Folded Spill
	buffer_store_dword v7, off, s[44:47], 0 offset:248 ; 4-byte Folded Spill
	;; [unrolled: 1-line block ×3, first 2 shown]
.LBB53_62:                              ;   in Loop: Header=BB53_30 Depth=1
	s_or_b64 exec, exec, s[6:7]
	v_add_co_u32_e32 v5, vcc, 0x4000, v17
	v_addc_co_u32_e32 v6, vcc, 0, v18, vcc
	global_load_dwordx4 v[5:8], v[5:6], off
	s_waitcnt vmcnt(0)
	buffer_store_dword v5, off, s[44:47], 0 offset:256 ; 4-byte Folded Spill
	s_nop 0
	buffer_store_dword v6, off, s[44:47], 0 offset:260 ; 4-byte Folded Spill
	buffer_store_dword v7, off, s[44:47], 0 offset:264 ; 4-byte Folded Spill
	buffer_store_dword v8, off, s[44:47], 0 offset:268 ; 4-byte Folded Spill
	s_and_saveexec_b64 s[6:7], s[0:1]
	s_cbranch_execz .LBB53_64
; %bb.63:                               ;   in Loop: Header=BB53_30 Depth=1
	v_add_u32_e32 v5, -3, v0
	v_cmp_gt_i32_e32 vcc, s33, v5
	buffer_load_dword v5, off, s[44:47], 0 offset:256 ; 4-byte Folded Reload
	buffer_load_dword v6, off, s[44:47], 0 offset:260 ; 4-byte Folded Reload
	buffer_load_dword v7, off, s[44:47], 0 offset:264 ; 4-byte Folded Reload
	buffer_load_dword v8, off, s[44:47], 0 offset:268 ; 4-byte Folded Reload
	s_waitcnt vmcnt(3)
	v_cndmask_b32_e32 v5, 0, v5, vcc
	v_cmp_gt_i32_e32 vcc, s33, v22
	s_waitcnt vmcnt(2)
	v_cndmask_b32_e32 v6, 0, v6, vcc
	v_cmp_gt_i32_e32 vcc, s33, v21
	s_waitcnt vmcnt(1)
	v_cndmask_b32_e32 v7, 0, v7, vcc
	v_cmp_gt_i32_e32 vcc, s33, v0
	s_waitcnt vmcnt(0)
	v_cndmask_b32_e32 v8, 0, v8, vcc
	buffer_store_dword v5, off, s[44:47], 0 offset:256 ; 4-byte Folded Spill
	s_nop 0
	buffer_store_dword v6, off, s[44:47], 0 offset:260 ; 4-byte Folded Spill
	buffer_store_dword v7, off, s[44:47], 0 offset:264 ; 4-byte Folded Spill
	buffer_store_dword v8, off, s[44:47], 0 offset:268 ; 4-byte Folded Spill
.LBB53_64:                              ;   in Loop: Header=BB53_30 Depth=1
	s_or_b64 exec, exec, s[6:7]
	v_add_co_u32_e32 v5, vcc, 0x4000, v17
	v_addc_co_u32_e32 v6, vcc, 0, v18, vcc
	global_load_dwordx4 v[5:8], v[5:6], off offset:1024
	s_waitcnt vmcnt(0)
	buffer_store_dword v5, off, s[44:47], 0 offset:272 ; 4-byte Folded Spill
	s_nop 0
	buffer_store_dword v6, off, s[44:47], 0 offset:276 ; 4-byte Folded Spill
	buffer_store_dword v7, off, s[44:47], 0 offset:280 ; 4-byte Folded Spill
	buffer_store_dword v8, off, s[44:47], 0 offset:284 ; 4-byte Folded Spill
	s_and_saveexec_b64 s[6:7], s[0:1]
	s_cbranch_execz .LBB53_66
; %bb.65:                               ;   in Loop: Header=BB53_30 Depth=1
	v_add_u32_e32 v5, -3, v0
	v_cmp_gt_i32_e32 vcc, s33, v5
	buffer_load_dword v5, off, s[44:47], 0 offset:272 ; 4-byte Folded Reload
	buffer_load_dword v6, off, s[44:47], 0 offset:276 ; 4-byte Folded Reload
	buffer_load_dword v7, off, s[44:47], 0 offset:280 ; 4-byte Folded Reload
	buffer_load_dword v8, off, s[44:47], 0 offset:284 ; 4-byte Folded Reload
	s_waitcnt vmcnt(3)
	v_cndmask_b32_e32 v5, 0, v5, vcc
	v_cmp_gt_i32_e32 vcc, s33, v22
	s_waitcnt vmcnt(2)
	v_cndmask_b32_e32 v6, 0, v6, vcc
	v_cmp_gt_i32_e32 vcc, s33, v21
	s_waitcnt vmcnt(1)
	v_cndmask_b32_e32 v7, 0, v7, vcc
	v_cmp_gt_i32_e32 vcc, s33, v0
	s_waitcnt vmcnt(0)
	v_cndmask_b32_e32 v8, 0, v8, vcc
	buffer_store_dword v5, off, s[44:47], 0 offset:272 ; 4-byte Folded Spill
	s_nop 0
	buffer_store_dword v6, off, s[44:47], 0 offset:276 ; 4-byte Folded Spill
	buffer_store_dword v7, off, s[44:47], 0 offset:280 ; 4-byte Folded Spill
	buffer_store_dword v8, off, s[44:47], 0 offset:284 ; 4-byte Folded Spill
.LBB53_66:                              ;   in Loop: Header=BB53_30 Depth=1
	s_or_b64 exec, exec, s[6:7]
	v_add_co_u32_e32 v5, vcc, 0x4000, v17
	v_addc_co_u32_e32 v6, vcc, 0, v18, vcc
	global_load_dwordx4 v[5:8], v[5:6], off offset:2048
	;; [unrolled: 36-line block ×3, first 2 shown]
	s_and_saveexec_b64 s[6:7], s[0:1]
	s_cbranch_execz .LBB53_70
; %bb.69:                               ;   in Loop: Header=BB53_30 Depth=1
	v_add_u32_e32 v5, -3, v0
	v_cmp_gt_i32_e32 vcc, s33, v5
	s_waitcnt vmcnt(0)
	v_cndmask_b32_e32 v25, 0, v25, vcc
	v_cmp_gt_i32_e32 vcc, s33, v22
	v_cndmask_b32_e32 v26, 0, v26, vcc
	v_cmp_gt_i32_e32 vcc, s33, v21
	;; [unrolled: 2-line block ×3, first 2 shown]
	v_cndmask_b32_e32 v28, 0, v28, vcc
.LBB53_70:                              ;   in Loop: Header=BB53_30 Depth=1
	s_or_b64 exec, exec, s[6:7]
	v_add_co_u32_e32 v5, vcc, 0x5000, v17
	v_addc_co_u32_e32 v6, vcc, 0, v18, vcc
	global_load_dwordx4 v[29:32], v[5:6], off
	s_and_saveexec_b64 s[6:7], s[0:1]
	s_cbranch_execz .LBB53_72
; %bb.71:                               ;   in Loop: Header=BB53_30 Depth=1
	v_add_u32_e32 v5, -3, v0
	v_cmp_gt_i32_e32 vcc, s33, v5
	s_waitcnt vmcnt(0)
	v_cndmask_b32_e32 v29, 0, v29, vcc
	v_cmp_gt_i32_e32 vcc, s33, v22
	v_cndmask_b32_e32 v30, 0, v30, vcc
	v_cmp_gt_i32_e32 vcc, s33, v21
	v_cndmask_b32_e32 v31, 0, v31, vcc
	v_cmp_gt_i32_e32 vcc, s33, v0
	v_cndmask_b32_e32 v32, 0, v32, vcc
.LBB53_72:                              ;   in Loop: Header=BB53_30 Depth=1
	s_or_b64 exec, exec, s[6:7]
	v_add_co_u32_e32 v5, vcc, 0x5000, v17
	v_addc_co_u32_e32 v6, vcc, 0, v18, vcc
	global_load_dwordx4 v[33:36], v[5:6], off offset:1024
	s_and_saveexec_b64 s[6:7], s[0:1]
	s_cbranch_execz .LBB53_74
; %bb.73:                               ;   in Loop: Header=BB53_30 Depth=1
	v_add_u32_e32 v5, -3, v0
	v_cmp_gt_i32_e32 vcc, s33, v5
	s_waitcnt vmcnt(0)
	v_cndmask_b32_e32 v33, 0, v33, vcc
	v_cmp_gt_i32_e32 vcc, s33, v22
	v_cndmask_b32_e32 v34, 0, v34, vcc
	v_cmp_gt_i32_e32 vcc, s33, v21
	v_cndmask_b32_e32 v35, 0, v35, vcc
	v_cmp_gt_i32_e32 vcc, s33, v0
	v_cndmask_b32_e32 v36, 0, v36, vcc
.LBB53_74:                              ;   in Loop: Header=BB53_30 Depth=1
	s_or_b64 exec, exec, s[6:7]
	v_add_co_u32_e32 v5, vcc, 0x5000, v17
	v_addc_co_u32_e32 v6, vcc, 0, v18, vcc
	global_load_dwordx4 v[37:40], v[5:6], off offset:2048
	;; [unrolled: 18-line block ×3, first 2 shown]
	s_and_saveexec_b64 s[6:7], s[0:1]
	s_cbranch_execz .LBB53_78
; %bb.77:                               ;   in Loop: Header=BB53_30 Depth=1
	v_add_u32_e32 v5, -3, v0
	v_cmp_gt_i32_e32 vcc, s33, v5
	s_waitcnt vmcnt(0)
	v_cndmask_b32_e32 v41, 0, v41, vcc
	v_cmp_gt_i32_e32 vcc, s33, v22
	v_cndmask_b32_e32 v42, 0, v42, vcc
	v_cmp_gt_i32_e32 vcc, s33, v21
	;; [unrolled: 2-line block ×3, first 2 shown]
	v_cndmask_b32_e32 v44, 0, v44, vcc
.LBB53_78:                              ;   in Loop: Header=BB53_30 Depth=1
	s_or_b64 exec, exec, s[6:7]
	v_add_co_u32_e32 v5, vcc, 0x6000, v17
	v_addc_co_u32_e32 v6, vcc, 0, v18, vcc
	global_load_dwordx4 v[49:52], v[5:6], off
	s_and_saveexec_b64 s[6:7], s[0:1]
	s_cbranch_execz .LBB53_80
; %bb.79:                               ;   in Loop: Header=BB53_30 Depth=1
	v_add_u32_e32 v5, -3, v0
	v_cmp_gt_i32_e32 vcc, s33, v5
	s_waitcnt vmcnt(0)
	v_cndmask_b32_e32 v49, 0, v49, vcc
	v_cmp_gt_i32_e32 vcc, s33, v22
	v_cndmask_b32_e32 v50, 0, v50, vcc
	v_cmp_gt_i32_e32 vcc, s33, v21
	v_cndmask_b32_e32 v51, 0, v51, vcc
	v_cmp_gt_i32_e32 vcc, s33, v0
	v_cndmask_b32_e32 v52, 0, v52, vcc
.LBB53_80:                              ;   in Loop: Header=BB53_30 Depth=1
	s_or_b64 exec, exec, s[6:7]
	v_add_co_u32_e32 v5, vcc, 0x6000, v17
	v_addc_co_u32_e32 v6, vcc, 0, v18, vcc
	global_load_dwordx4 v[53:56], v[5:6], off offset:1024
	s_and_saveexec_b64 s[6:7], s[0:1]
	s_cbranch_execz .LBB53_82
; %bb.81:                               ;   in Loop: Header=BB53_30 Depth=1
	v_add_u32_e32 v5, -3, v0
	v_cmp_gt_i32_e32 vcc, s33, v5
	s_waitcnt vmcnt(0)
	v_cndmask_b32_e32 v53, 0, v53, vcc
	v_cmp_gt_i32_e32 vcc, s33, v22
	v_cndmask_b32_e32 v54, 0, v54, vcc
	v_cmp_gt_i32_e32 vcc, s33, v21
	v_cndmask_b32_e32 v55, 0, v55, vcc
	v_cmp_gt_i32_e32 vcc, s33, v0
	v_cndmask_b32_e32 v56, 0, v56, vcc
.LBB53_82:                              ;   in Loop: Header=BB53_30 Depth=1
	s_or_b64 exec, exec, s[6:7]
	v_add_co_u32_e32 v5, vcc, 0x6000, v17
	v_addc_co_u32_e32 v6, vcc, 0, v18, vcc
	global_load_dwordx4 v[57:60], v[5:6], off offset:2048
	;; [unrolled: 18-line block ×3, first 2 shown]
	s_and_saveexec_b64 s[6:7], s[0:1]
	s_cbranch_execz .LBB53_86
; %bb.85:                               ;   in Loop: Header=BB53_30 Depth=1
	v_add_u32_e32 v9, -3, v0
	v_cmp_gt_i32_e32 vcc, s33, v9
	s_waitcnt vmcnt(0)
	v_cndmask_b32_e32 v5, 0, v5, vcc
	v_cmp_gt_i32_e32 vcc, s33, v22
	v_cndmask_b32_e32 v6, 0, v6, vcc
	v_cmp_gt_i32_e32 vcc, s33, v21
	;; [unrolled: 2-line block ×3, first 2 shown]
	v_cndmask_b32_e32 v8, 0, v8, vcc
.LBB53_86:                              ;   in Loop: Header=BB53_30 Depth=1
	s_or_b64 exec, exec, s[6:7]
	v_add_co_u32_e32 v9, vcc, 0x7000, v17
	v_addc_co_u32_e32 v10, vcc, 0, v18, vcc
	global_load_dwordx4 v[9:12], v[9:10], off
	s_and_saveexec_b64 s[6:7], s[0:1]
	s_cbranch_execz .LBB53_88
; %bb.87:                               ;   in Loop: Header=BB53_30 Depth=1
	v_add_u32_e32 v13, -3, v0
	v_cmp_gt_i32_e32 vcc, s33, v13
	s_waitcnt vmcnt(0)
	v_cndmask_b32_e32 v9, 0, v9, vcc
	v_cmp_gt_i32_e32 vcc, s33, v22
	v_cndmask_b32_e32 v10, 0, v10, vcc
	v_cmp_gt_i32_e32 vcc, s33, v21
	;; [unrolled: 2-line block ×3, first 2 shown]
	v_cndmask_b32_e32 v12, 0, v12, vcc
.LBB53_88:                              ;   in Loop: Header=BB53_30 Depth=1
	s_or_b64 exec, exec, s[6:7]
	v_add_co_u32_e32 v13, vcc, 0x7000, v17
	v_addc_co_u32_e32 v14, vcc, 0, v18, vcc
	global_load_dwordx4 v[13:16], v[13:14], off offset:1024
	s_and_saveexec_b64 s[6:7], s[0:1]
	s_cbranch_execz .LBB53_90
; %bb.89:                               ;   in Loop: Header=BB53_30 Depth=1
	v_add_u32_e32 v19, -3, v0
	v_cmp_gt_i32_e32 vcc, s33, v19
	s_waitcnt vmcnt(0)
	v_cndmask_b32_e32 v13, 0, v13, vcc
	v_cmp_gt_i32_e32 vcc, s33, v22
	v_cndmask_b32_e32 v14, 0, v14, vcc
	v_cmp_gt_i32_e32 vcc, s33, v21
	;; [unrolled: 2-line block ×3, first 2 shown]
	v_cndmask_b32_e32 v16, 0, v16, vcc
.LBB53_90:                              ;   in Loop: Header=BB53_30 Depth=1
	s_or_b64 exec, exec, s[6:7]
	v_add_co_u32_e32 v17, vcc, 0x7000, v17
	v_addc_co_u32_e32 v18, vcc, 0, v18, vcc
	global_load_dwordx4 v[17:20], v[17:18], off offset:2048
	s_and_saveexec_b64 s[6:7], s[0:1]
	s_cbranch_execz .LBB53_92
; %bb.91:                               ;   in Loop: Header=BB53_30 Depth=1
	v_add_u32_e32 v47, -3, v0
	v_cmp_gt_i32_e32 vcc, s33, v47
	s_waitcnt vmcnt(0)
	v_cndmask_b32_e32 v17, 0, v17, vcc
	v_cmp_gt_i32_e32 vcc, s33, v22
	v_cndmask_b32_e32 v18, 0, v18, vcc
	v_cmp_gt_i32_e32 vcc, s33, v21
	;; [unrolled: 2-line block ×3, first 2 shown]
	v_cndmask_b32_e32 v20, 0, v20, vcc
.LBB53_92:                              ;   in Loop: Header=BB53_30 Depth=1
	s_or_b64 exec, exec, s[6:7]
	buffer_load_dword v47, off, s[44:47], 0 offset:536 ; 4-byte Folded Reload
	s_waitcnt vmcnt(0)
	v_add_co_u32_e32 v45, vcc, v45, v47
	v_addc_co_u32_e32 v46, vcc, 0, v46, vcc
	global_load_dwordx4 v[45:48], v[45:46], off
	s_and_saveexec_b64 s[6:7], s[0:1]
	s_cbranch_execz .LBB53_29
; %bb.93:                               ;   in Loop: Header=BB53_30 Depth=1
	v_add_u32_e32 v63, -3, v0
	v_cmp_gt_i32_e32 vcc, s33, v63
	s_waitcnt vmcnt(0)
	v_cndmask_b32_e32 v45, 0, v45, vcc
	v_cmp_gt_i32_e32 vcc, s33, v22
	v_cndmask_b32_e32 v46, 0, v46, vcc
	v_cmp_gt_i32_e32 vcc, s33, v21
	v_cndmask_b32_e32 v47, 0, v47, vcc
	v_cmp_gt_i32_e32 vcc, s33, v0
	v_cndmask_b32_e32 v48, 0, v48, vcc
	s_branch .LBB53_29
.LBB53_94:
	s_or_b64 exec, exec, s[4:5]
	buffer_load_dword v37, off, s[44:47], 0 offset:540 ; 4-byte Folded Reload
	buffer_load_dword v38, off, s[44:47], 0 offset:544 ; 4-byte Folded Reload
	;; [unrolled: 1-line block ×35, first 2 shown]
.LBB53_95:
	s_or_b64 exec, exec, s[2:3]
	s_waitcnt vmcnt(0)
	ds_bpermute_b32 v1, v33, v6
	ds_bpermute_b32 v0, v33, v4
	;; [unrolled: 1-line block ×5, first 2 shown]
	s_waitcnt lgkmcnt(4)
	v_add_f32_e32 v1, v6, v1
	s_waitcnt lgkmcnt(3)
	v_add_f32_e32 v0, v4, v0
	;; [unrolled: 2-line block ×3, first 2 shown]
	ds_bpermute_b32 v5, v36, v1
	ds_bpermute_b32 v4, v36, v0
	;; [unrolled: 1-line block ×3, first 2 shown]
	s_waitcnt lgkmcnt(4)
	v_add_f32_e32 v3, v10, v3
	v_mov_b32_e32 v21, v18
	s_waitcnt lgkmcnt(2)
	v_add_f32_e32 v1, v1, v5
	s_waitcnt lgkmcnt(1)
	v_add_f32_e32 v0, v0, v4
	ds_bpermute_b32 v5, v39, v1
	ds_bpermute_b32 v4, v39, v0
	s_waitcnt lgkmcnt(2)
	v_add_f32_e32 v2, v2, v6
	ds_bpermute_b32 v6, v39, v2
	ds_bpermute_b32 v18, v33, v18
	s_waitcnt lgkmcnt(3)
	v_add_f32_e32 v1, v1, v5
	v_add_f32_e32 v5, v8, v7
	s_waitcnt lgkmcnt(2)
	v_add_f32_e32 v0, v0, v4
	ds_bpermute_b32 v4, v36, v3
	ds_bpermute_b32 v7, v36, v5
	s_waitcnt lgkmcnt(3)
	v_add_f32_e32 v2, v2, v6
	s_waitcnt lgkmcnt(0)
	s_barrier
	v_add_f32_e32 v3, v3, v4
	v_add_f32_e32 v5, v5, v7
	ds_bpermute_b32 v4, v33, v9
	ds_bpermute_b32 v6, v39, v3
	;; [unrolled: 1-line block ×4, first 2 shown]
	s_waitcnt lgkmcnt(0)
	v_add_f32_e32 v9, v9, v4
	v_add_f32_e32 v3, v3, v6
	;; [unrolled: 1-line block ×4, first 2 shown]
	ds_bpermute_b32 v8, v33, v11
	ds_bpermute_b32 v10, v36, v9
	;; [unrolled: 1-line block ×3, first 2 shown]
	s_waitcnt lgkmcnt(2)
	v_add_f32_e32 v8, v11, v8
	s_waitcnt lgkmcnt(1)
	v_add_f32_e32 v5, v9, v10
	;; [unrolled: 2-line block ×3, first 2 shown]
	ds_bpermute_b32 v7, v33, v12
	ds_bpermute_b32 v11, v36, v8
	;; [unrolled: 1-line block ×4, first 2 shown]
	s_waitcnt lgkmcnt(3)
	v_add_f32_e32 v7, v12, v7
	s_waitcnt lgkmcnt(2)
	v_add_f32_e32 v8, v8, v11
	;; [unrolled: 2-line block ×3, first 2 shown]
	ds_bpermute_b32 v9, v36, v7
	ds_bpermute_b32 v11, v39, v8
	;; [unrolled: 1-line block ×3, first 2 shown]
	s_waitcnt lgkmcnt(3)
	v_add_f32_e32 v6, v6, v10
	ds_bpermute_b32 v10, v33, v14
	s_waitcnt lgkmcnt(3)
	v_add_f32_e32 v9, v7, v9
	s_waitcnt lgkmcnt(2)
	v_add_f32_e32 v7, v8, v11
	;; [unrolled: 2-line block ×3, first 2 shown]
	ds_bpermute_b32 v12, v36, v11
	s_waitcnt lgkmcnt(1)
	v_add_f32_e32 v10, v14, v10
	ds_bpermute_b32 v13, v39, v9
	ds_bpermute_b32 v14, v36, v10
	s_waitcnt lgkmcnt(2)
	v_add_f32_e32 v11, v11, v12
	ds_bpermute_b32 v12, v33, v43
	s_waitcnt lgkmcnt(2)
	v_add_f32_e32 v8, v9, v13
	s_waitcnt lgkmcnt(1)
	v_add_f32_e32 v9, v10, v14
	ds_bpermute_b32 v10, v33, v15
	ds_bpermute_b32 v14, v39, v11
	;; [unrolled: 1-line block ×3, first 2 shown]
	s_waitcnt lgkmcnt(3)
	v_add_f32_e32 v12, v43, v12
	s_waitcnt lgkmcnt(2)
	v_add_f32_e32 v15, v15, v10
	;; [unrolled: 2-line block ×3, first 2 shown]
	ds_bpermute_b32 v14, v33, v19
	ds_bpermute_b32 v16, v36, v15
	s_waitcnt lgkmcnt(2)
	v_add_f32_e32 v9, v9, v13
	ds_bpermute_b32 v13, v36, v12
	s_waitcnt lgkmcnt(2)
	v_add_f32_e32 v14, v19, v14
	s_waitcnt lgkmcnt(1)
	v_add_f32_e32 v11, v15, v16
	v_mov_b32_e32 v19, v17
	s_waitcnt lgkmcnt(0)
	v_add_f32_e32 v12, v12, v13
	ds_bpermute_b32 v13, v33, v17
	ds_bpermute_b32 v17, v36, v14
	;; [unrolled: 1-line block ×4, first 2 shown]
	s_waitcnt lgkmcnt(3)
	v_add_f32_e32 v13, v19, v13
	s_waitcnt lgkmcnt(2)
	v_add_f32_e32 v14, v14, v17
	;; [unrolled: 2-line block ×3, first 2 shown]
	ds_bpermute_b32 v15, v36, v13
	ds_bpermute_b32 v17, v39, v14
	s_waitcnt lgkmcnt(2)
	v_add_f32_e32 v12, v12, v16
	ds_bpermute_b32 v16, v33, v20
	s_waitcnt lgkmcnt(2)
	v_add_f32_e32 v15, v13, v15
	s_waitcnt lgkmcnt(1)
	v_add_f32_e32 v13, v14, v17
	v_add_f32_e32 v17, v21, v18
	s_waitcnt lgkmcnt(0)
	v_add_f32_e32 v16, v20, v16
	ds_bpermute_b32 v18, v36, v17
	ds_bpermute_b32 v19, v39, v15
	;; [unrolled: 1-line block ×3, first 2 shown]
	s_waitcnt lgkmcnt(2)
	v_add_f32_e32 v17, v17, v18
	s_waitcnt lgkmcnt(1)
	v_add_f32_e32 v14, v15, v19
	;; [unrolled: 2-line block ×3, first 2 shown]
	ds_bpermute_b32 v16, v33, v22
	ds_bpermute_b32 v18, v33, v25
	;; [unrolled: 1-line block ×4, first 2 shown]
	s_waitcnt lgkmcnt(3)
	v_add_f32_e32 v21, v22, v16
	s_waitcnt lgkmcnt(2)
	v_add_f32_e32 v18, v25, v18
	;; [unrolled: 2-line block ×3, first 2 shown]
	ds_bpermute_b32 v20, v33, v23
	ds_bpermute_b32 v22, v36, v21
	s_waitcnt lgkmcnt(2)
	v_add_f32_e32 v15, v15, v19
	ds_bpermute_b32 v19, v36, v18
	s_waitcnt lgkmcnt(2)
	v_add_f32_e32 v20, v23, v20
	s_waitcnt lgkmcnt(1)
	v_add_f32_e32 v17, v21, v22
	ds_bpermute_b32 v23, v36, v20
	s_waitcnt lgkmcnt(1)
	v_add_f32_e32 v18, v18, v19
	ds_bpermute_b32 v19, v33, v24
	ds_bpermute_b32 v21, v39, v17
	;; [unrolled: 1-line block ×3, first 2 shown]
	s_waitcnt lgkmcnt(3)
	v_add_f32_e32 v20, v20, v23
	ds_bpermute_b32 v23, v39, v20
	s_waitcnt lgkmcnt(3)
	v_add_f32_e32 v19, v24, v19
	s_waitcnt lgkmcnt(2)
	v_add_f32_e32 v17, v17, v21
	ds_bpermute_b32 v21, v36, v19
	ds_bpermute_b32 v24, v33, v28
	s_waitcnt lgkmcnt(3)
	v_add_f32_e32 v18, v18, v22
	ds_bpermute_b32 v22, v33, v26
	s_waitcnt lgkmcnt(2)
	v_add_f32_e32 v21, v19, v21
	v_add_f32_e32 v19, v20, v23
	s_waitcnt lgkmcnt(1)
	v_add_f32_e32 v23, v28, v24
	s_waitcnt lgkmcnt(0)
	v_add_f32_e32 v22, v26, v22
	ds_bpermute_b32 v24, v36, v23
	ds_bpermute_b32 v25, v39, v21
	;; [unrolled: 1-line block ×3, first 2 shown]
	s_waitcnt lgkmcnt(2)
	v_add_f32_e32 v23, v23, v24
	s_waitcnt lgkmcnt(1)
	v_add_f32_e32 v20, v21, v25
	;; [unrolled: 2-line block ×3, first 2 shown]
	ds_bpermute_b32 v22, v33, v27
	ds_bpermute_b32 v24, v33, v31
	;; [unrolled: 1-line block ×4, first 2 shown]
	s_waitcnt lgkmcnt(3)
	v_add_f32_e32 v27, v27, v22
	s_waitcnt lgkmcnt(2)
	v_add_f32_e32 v24, v31, v24
	;; [unrolled: 2-line block ×3, first 2 shown]
	ds_bpermute_b32 v26, v33, v29
	ds_bpermute_b32 v28, v36, v27
	s_waitcnt lgkmcnt(2)
	v_add_f32_e32 v21, v21, v25
	ds_bpermute_b32 v25, v36, v24
	s_waitcnt lgkmcnt(2)
	v_add_f32_e32 v26, v29, v26
	s_waitcnt lgkmcnt(1)
	v_add_f32_e32 v23, v27, v28
	ds_bpermute_b32 v29, v36, v26
	s_waitcnt lgkmcnt(1)
	v_add_f32_e32 v24, v24, v25
	ds_bpermute_b32 v25, v33, v30
	ds_bpermute_b32 v27, v39, v23
	;; [unrolled: 1-line block ×3, first 2 shown]
	s_waitcnt lgkmcnt(3)
	v_add_f32_e32 v26, v26, v29
	ds_bpermute_b32 v29, v39, v26
	s_waitcnt lgkmcnt(3)
	v_add_f32_e32 v25, v30, v25
	s_waitcnt lgkmcnt(2)
	v_add_f32_e32 v23, v23, v27
	ds_bpermute_b32 v27, v36, v25
	ds_bpermute_b32 v30, v33, v42
	s_waitcnt lgkmcnt(3)
	v_add_f32_e32 v24, v24, v28
	ds_bpermute_b32 v28, v33, v32
	s_waitcnt lgkmcnt(2)
	v_add_f32_e32 v27, v25, v27
	v_add_f32_e32 v25, v26, v29
	s_waitcnt lgkmcnt(1)
	v_add_f32_e32 v29, v42, v30
	ds_bpermute_b32 v31, v39, v27
	ds_bpermute_b32 v30, v36, v29
	s_waitcnt lgkmcnt(2)
	v_add_f32_e32 v28, v32, v28
	ds_bpermute_b32 v32, v36, v28
	s_waitcnt lgkmcnt(2)
	v_add_f32_e32 v26, v27, v31
	;; [unrolled: 3-line block ×3, first 2 shown]
	ds_bpermute_b32 v30, v33, v35
	ds_bpermute_b32 v33, v33, v41
	s_waitcnt lgkmcnt(3)
	v_add_f32_e32 v27, v28, v32
	s_waitcnt lgkmcnt(2)
	v_add_f32_e32 v31, v34, v31
	ds_bpermute_b32 v34, v36, v31
	s_waitcnt lgkmcnt(2)
	v_add_f32_e32 v30, v35, v30
	s_waitcnt lgkmcnt(1)
	v_add_f32_e32 v33, v41, v33
	ds_bpermute_b32 v35, v36, v30
	ds_bpermute_b32 v36, v36, v33
	s_waitcnt lgkmcnt(2)
	v_add_f32_e32 v31, v31, v34
	ds_bpermute_b32 v28, v39, v27
	ds_bpermute_b32 v32, v39, v29
	;; [unrolled: 1-line block ×3, first 2 shown]
	s_waitcnt lgkmcnt(3)
	v_add_f32_e32 v33, v33, v36
	v_add_f32_e32 v30, v30, v35
	ds_bpermute_b32 v36, v39, v33
	ds_bpermute_b32 v35, v39, v30
	s_waitcnt lgkmcnt(4)
	v_add_f32_e32 v27, v27, v28
	s_waitcnt lgkmcnt(3)
	v_add_f32_e32 v28, v29, v32
	;; [unrolled: 2-line block ×4, first 2 shown]
	v_and_b32_e32 v33, 0x3c7, v37
	s_waitcnt lgkmcnt(0)
	v_add_f32_e32 v30, v30, v35
	v_cmp_eq_u32_e32 vcc, 64, v33
	s_and_saveexec_b64 s[0:1], vcc
	s_cbranch_execz .LBB53_97
; %bb.96:
	v_lshrrev_b32_e32 v32, 1, v38
	v_add_u32_e32 v32, 0x410, v32
	ds_write2_b32 v32, v0, v1 offset1:8
	ds_write2_b32 v32, v2, v3 offset0:16 offset1:24
	ds_write2_b32 v32, v4, v5 offset0:32 offset1:40
	;; [unrolled: 1-line block ×15, first 2 shown]
.LBB53_97:
	s_or_b64 exec, exec, s[0:1]
	v_cmp_gt_u32_e32 vcc, 64, v37
	v_lshrrev_b32_e32 v32, 3, v37
	s_waitcnt lgkmcnt(0)
	s_barrier
	s_and_saveexec_b64 s[0:1], vcc
	s_cbranch_execz .LBB53_132
; %bb.98:
	v_mov_b32_e32 v34, 0x410
	v_cmp_eq_u32_e32 vcc, 0, v40
	v_lshl_add_u32 v34, v32, 2, v34
	s_and_saveexec_b64 s[2:3], vcc
	s_cbranch_execnz .LBB53_135
; %bb.99:
	s_or_b64 exec, exec, s[2:3]
	s_and_saveexec_b64 s[2:3], vcc
	s_cbranch_execnz .LBB53_136
.LBB53_100:
	s_or_b64 exec, exec, s[2:3]
	s_and_saveexec_b64 s[2:3], vcc
	s_cbranch_execnz .LBB53_137
.LBB53_101:
	s_or_b64 exec, exec, s[2:3]
	s_and_saveexec_b64 s[2:3], vcc
	s_cbranch_execnz .LBB53_138
.LBB53_102:
	s_or_b64 exec, exec, s[2:3]
	s_and_saveexec_b64 s[2:3], vcc
	s_cbranch_execnz .LBB53_139
.LBB53_103:
	s_or_b64 exec, exec, s[2:3]
	s_and_saveexec_b64 s[2:3], vcc
	s_cbranch_execnz .LBB53_140
.LBB53_104:
	s_or_b64 exec, exec, s[2:3]
	s_and_saveexec_b64 s[2:3], vcc
	s_cbranch_execnz .LBB53_141
.LBB53_105:
	s_or_b64 exec, exec, s[2:3]
	s_and_saveexec_b64 s[2:3], vcc
	s_cbranch_execnz .LBB53_142
.LBB53_106:
	s_or_b64 exec, exec, s[2:3]
	s_and_saveexec_b64 s[2:3], vcc
	s_cbranch_execnz .LBB53_143
.LBB53_107:
	s_or_b64 exec, exec, s[2:3]
	s_and_saveexec_b64 s[2:3], vcc
	s_cbranch_execnz .LBB53_144
.LBB53_108:
	s_or_b64 exec, exec, s[2:3]
	s_and_saveexec_b64 s[2:3], vcc
	s_cbranch_execnz .LBB53_145
.LBB53_109:
	s_or_b64 exec, exec, s[2:3]
	s_and_saveexec_b64 s[2:3], vcc
	s_cbranch_execnz .LBB53_146
.LBB53_110:
	s_or_b64 exec, exec, s[2:3]
	s_and_saveexec_b64 s[2:3], vcc
	s_cbranch_execnz .LBB53_147
.LBB53_111:
	s_or_b64 exec, exec, s[2:3]
	s_and_saveexec_b64 s[2:3], vcc
	s_cbranch_execnz .LBB53_148
.LBB53_112:
	s_or_b64 exec, exec, s[2:3]
	s_and_saveexec_b64 s[2:3], vcc
	s_cbranch_execnz .LBB53_149
.LBB53_113:
	s_or_b64 exec, exec, s[2:3]
	s_and_saveexec_b64 s[2:3], vcc
	s_cbranch_execnz .LBB53_150
.LBB53_114:
	s_or_b64 exec, exec, s[2:3]
	s_and_saveexec_b64 s[2:3], vcc
	s_cbranch_execnz .LBB53_151
.LBB53_115:
	s_or_b64 exec, exec, s[2:3]
	s_and_saveexec_b64 s[2:3], vcc
	s_cbranch_execnz .LBB53_152
.LBB53_116:
	s_or_b64 exec, exec, s[2:3]
	s_and_saveexec_b64 s[2:3], vcc
	s_cbranch_execnz .LBB53_153
.LBB53_117:
	s_or_b64 exec, exec, s[2:3]
	s_and_saveexec_b64 s[2:3], vcc
	s_cbranch_execnz .LBB53_154
.LBB53_118:
	s_or_b64 exec, exec, s[2:3]
	s_and_saveexec_b64 s[2:3], vcc
	s_cbranch_execnz .LBB53_155
.LBB53_119:
	s_or_b64 exec, exec, s[2:3]
	s_and_saveexec_b64 s[2:3], vcc
	s_cbranch_execnz .LBB53_156
.LBB53_120:
	s_or_b64 exec, exec, s[2:3]
	s_and_saveexec_b64 s[2:3], vcc
	s_cbranch_execnz .LBB53_157
.LBB53_121:
	s_or_b64 exec, exec, s[2:3]
	s_and_saveexec_b64 s[2:3], vcc
	s_cbranch_execnz .LBB53_158
.LBB53_122:
	s_or_b64 exec, exec, s[2:3]
	s_and_saveexec_b64 s[2:3], vcc
	s_cbranch_execnz .LBB53_159
.LBB53_123:
	s_or_b64 exec, exec, s[2:3]
	s_and_saveexec_b64 s[2:3], vcc
	s_cbranch_execnz .LBB53_160
.LBB53_124:
	s_or_b64 exec, exec, s[2:3]
	s_and_saveexec_b64 s[2:3], vcc
	s_cbranch_execnz .LBB53_161
.LBB53_125:
	s_or_b64 exec, exec, s[2:3]
	s_and_saveexec_b64 s[2:3], vcc
	s_cbranch_execnz .LBB53_162
.LBB53_126:
	s_or_b64 exec, exec, s[2:3]
	s_and_saveexec_b64 s[2:3], vcc
	s_cbranch_execnz .LBB53_163
.LBB53_127:
	s_or_b64 exec, exec, s[2:3]
	s_and_saveexec_b64 s[2:3], vcc
	s_cbranch_execnz .LBB53_164
.LBB53_128:
	s_or_b64 exec, exec, s[2:3]
	s_and_saveexec_b64 s[2:3], vcc
	s_cbranch_execnz .LBB53_165
.LBB53_129:
	s_or_b64 exec, exec, s[2:3]
	s_and_saveexec_b64 s[2:3], vcc
	s_cbranch_execz .LBB53_131
.LBB53_130:
	ds_read_b32 v34, v34 offset:992
	s_waitcnt lgkmcnt(0)
	v_add_f32_e32 v31, v31, v34
.LBB53_131:
	s_or_b64 exec, exec, s[2:3]
.LBB53_132:
	s_or_b64 exec, exec, s[0:1]
	v_cmp_eq_u32_e32 vcc, 0, v33
	s_barrier
	s_and_saveexec_b64 s[0:1], vcc
	s_cbranch_execz .LBB53_134
; %bb.133:
	s_mul_i32 s0, s10, s11
	s_mul_i32 s0, s0, s9
	s_lshl_b32 s0, s0, 8
	s_ashr_i32 s1, s0, 31
	s_lshl_b64 s[0:1], s[0:1], 2
	s_add_u32 s2, s18, s0
	s_mul_i32 s0, s11, s16
	s_addc_u32 s3, s19, s1
	s_ashr_i32 s1, s0, 31
	s_lshl_b64 s[0:1], s[0:1], 2
	s_add_u32 s2, s2, s0
	s_addc_u32 s3, s3, s1
	s_lshl_b32 s0, s8, 8
	s_ashr_i32 s1, s0, 31
	s_lshl_b64 s[0:1], s[0:1], 2
	s_add_u32 s0, s2, s0
	s_addc_u32 s1, s3, s1
	v_lshlrev_b32_e32 v32, 2, v32
	global_store_dword v32, v0, s[0:1]
	global_store_dword v32, v1, s[0:1] offset:32
	global_store_dword v32, v2, s[0:1] offset:64
	;; [unrolled: 1-line block ×31, first 2 shown]
.LBB53_134:
	s_endpgm
.LBB53_135:
	ds_read_b32 v35, v34
	s_waitcnt lgkmcnt(0)
	v_add_f32_e32 v0, v0, v35
	s_or_b64 exec, exec, s[2:3]
	s_and_saveexec_b64 s[2:3], vcc
	s_cbranch_execz .LBB53_100
.LBB53_136:
	ds_read_b32 v35, v34 offset:32
	s_waitcnt lgkmcnt(0)
	v_add_f32_e32 v1, v1, v35
	s_or_b64 exec, exec, s[2:3]
	s_and_saveexec_b64 s[2:3], vcc
	s_cbranch_execz .LBB53_101
.LBB53_137:
	ds_read_b32 v35, v34 offset:64
	s_waitcnt lgkmcnt(0)
	v_add_f32_e32 v2, v2, v35
	s_or_b64 exec, exec, s[2:3]
	s_and_saveexec_b64 s[2:3], vcc
	s_cbranch_execz .LBB53_102
.LBB53_138:
	ds_read_b32 v35, v34 offset:96
	s_waitcnt lgkmcnt(0)
	v_add_f32_e32 v3, v3, v35
	s_or_b64 exec, exec, s[2:3]
	s_and_saveexec_b64 s[2:3], vcc
	s_cbranch_execz .LBB53_103
.LBB53_139:
	ds_read_b32 v35, v34 offset:128
	s_waitcnt lgkmcnt(0)
	v_add_f32_e32 v4, v4, v35
	s_or_b64 exec, exec, s[2:3]
	s_and_saveexec_b64 s[2:3], vcc
	s_cbranch_execz .LBB53_104
.LBB53_140:
	ds_read_b32 v35, v34 offset:160
	s_waitcnt lgkmcnt(0)
	v_add_f32_e32 v5, v5, v35
	s_or_b64 exec, exec, s[2:3]
	s_and_saveexec_b64 s[2:3], vcc
	s_cbranch_execz .LBB53_105
.LBB53_141:
	ds_read_b32 v35, v34 offset:192
	s_waitcnt lgkmcnt(0)
	v_add_f32_e32 v6, v6, v35
	s_or_b64 exec, exec, s[2:3]
	s_and_saveexec_b64 s[2:3], vcc
	s_cbranch_execz .LBB53_106
.LBB53_142:
	ds_read_b32 v35, v34 offset:224
	s_waitcnt lgkmcnt(0)
	v_add_f32_e32 v7, v7, v35
	s_or_b64 exec, exec, s[2:3]
	s_and_saveexec_b64 s[2:3], vcc
	s_cbranch_execz .LBB53_107
.LBB53_143:
	ds_read_b32 v35, v34 offset:256
	s_waitcnt lgkmcnt(0)
	v_add_f32_e32 v8, v8, v35
	s_or_b64 exec, exec, s[2:3]
	s_and_saveexec_b64 s[2:3], vcc
	s_cbranch_execz .LBB53_108
.LBB53_144:
	ds_read_b32 v35, v34 offset:288
	s_waitcnt lgkmcnt(0)
	v_add_f32_e32 v9, v9, v35
	s_or_b64 exec, exec, s[2:3]
	s_and_saveexec_b64 s[2:3], vcc
	s_cbranch_execz .LBB53_109
.LBB53_145:
	ds_read_b32 v35, v34 offset:320
	s_waitcnt lgkmcnt(0)
	v_add_f32_e32 v10, v10, v35
	s_or_b64 exec, exec, s[2:3]
	s_and_saveexec_b64 s[2:3], vcc
	s_cbranch_execz .LBB53_110
.LBB53_146:
	ds_read_b32 v35, v34 offset:352
	s_waitcnt lgkmcnt(0)
	v_add_f32_e32 v11, v11, v35
	s_or_b64 exec, exec, s[2:3]
	s_and_saveexec_b64 s[2:3], vcc
	s_cbranch_execz .LBB53_111
.LBB53_147:
	ds_read_b32 v35, v34 offset:384
	s_waitcnt lgkmcnt(0)
	v_add_f32_e32 v12, v12, v35
	s_or_b64 exec, exec, s[2:3]
	s_and_saveexec_b64 s[2:3], vcc
	s_cbranch_execz .LBB53_112
.LBB53_148:
	ds_read_b32 v35, v34 offset:416
	s_waitcnt lgkmcnt(0)
	v_add_f32_e32 v13, v13, v35
	s_or_b64 exec, exec, s[2:3]
	s_and_saveexec_b64 s[2:3], vcc
	s_cbranch_execz .LBB53_113
.LBB53_149:
	ds_read_b32 v35, v34 offset:448
	s_waitcnt lgkmcnt(0)
	v_add_f32_e32 v14, v14, v35
	s_or_b64 exec, exec, s[2:3]
	s_and_saveexec_b64 s[2:3], vcc
	s_cbranch_execz .LBB53_114
.LBB53_150:
	ds_read_b32 v35, v34 offset:480
	s_waitcnt lgkmcnt(0)
	v_add_f32_e32 v15, v15, v35
	s_or_b64 exec, exec, s[2:3]
	s_and_saveexec_b64 s[2:3], vcc
	s_cbranch_execz .LBB53_115
.LBB53_151:
	ds_read_b32 v35, v34 offset:512
	s_waitcnt lgkmcnt(0)
	v_add_f32_e32 v16, v16, v35
	s_or_b64 exec, exec, s[2:3]
	s_and_saveexec_b64 s[2:3], vcc
	s_cbranch_execz .LBB53_116
.LBB53_152:
	ds_read_b32 v35, v34 offset:544
	s_waitcnt lgkmcnt(0)
	v_add_f32_e32 v17, v17, v35
	s_or_b64 exec, exec, s[2:3]
	s_and_saveexec_b64 s[2:3], vcc
	s_cbranch_execz .LBB53_117
.LBB53_153:
	ds_read_b32 v35, v34 offset:576
	s_waitcnt lgkmcnt(0)
	v_add_f32_e32 v18, v18, v35
	s_or_b64 exec, exec, s[2:3]
	s_and_saveexec_b64 s[2:3], vcc
	s_cbranch_execz .LBB53_118
.LBB53_154:
	ds_read_b32 v35, v34 offset:608
	s_waitcnt lgkmcnt(0)
	v_add_f32_e32 v19, v19, v35
	s_or_b64 exec, exec, s[2:3]
	s_and_saveexec_b64 s[2:3], vcc
	s_cbranch_execz .LBB53_119
.LBB53_155:
	ds_read_b32 v35, v34 offset:640
	s_waitcnt lgkmcnt(0)
	v_add_f32_e32 v20, v20, v35
	s_or_b64 exec, exec, s[2:3]
	s_and_saveexec_b64 s[2:3], vcc
	s_cbranch_execz .LBB53_120
.LBB53_156:
	ds_read_b32 v35, v34 offset:672
	s_waitcnt lgkmcnt(0)
	v_add_f32_e32 v21, v21, v35
	s_or_b64 exec, exec, s[2:3]
	s_and_saveexec_b64 s[2:3], vcc
	s_cbranch_execz .LBB53_121
.LBB53_157:
	ds_read_b32 v35, v34 offset:704
	s_waitcnt lgkmcnt(0)
	v_add_f32_e32 v22, v22, v35
	s_or_b64 exec, exec, s[2:3]
	s_and_saveexec_b64 s[2:3], vcc
	s_cbranch_execz .LBB53_122
.LBB53_158:
	ds_read_b32 v35, v34 offset:736
	s_waitcnt lgkmcnt(0)
	v_add_f32_e32 v23, v23, v35
	s_or_b64 exec, exec, s[2:3]
	s_and_saveexec_b64 s[2:3], vcc
	s_cbranch_execz .LBB53_123
.LBB53_159:
	ds_read_b32 v35, v34 offset:768
	s_waitcnt lgkmcnt(0)
	v_add_f32_e32 v24, v24, v35
	s_or_b64 exec, exec, s[2:3]
	s_and_saveexec_b64 s[2:3], vcc
	s_cbranch_execz .LBB53_124
.LBB53_160:
	ds_read_b32 v35, v34 offset:800
	s_waitcnt lgkmcnt(0)
	v_add_f32_e32 v25, v25, v35
	s_or_b64 exec, exec, s[2:3]
	s_and_saveexec_b64 s[2:3], vcc
	s_cbranch_execz .LBB53_125
.LBB53_161:
	ds_read_b32 v35, v34 offset:832
	s_waitcnt lgkmcnt(0)
	v_add_f32_e32 v26, v26, v35
	s_or_b64 exec, exec, s[2:3]
	s_and_saveexec_b64 s[2:3], vcc
	s_cbranch_execz .LBB53_126
.LBB53_162:
	ds_read_b32 v35, v34 offset:864
	s_waitcnt lgkmcnt(0)
	v_add_f32_e32 v27, v27, v35
	s_or_b64 exec, exec, s[2:3]
	s_and_saveexec_b64 s[2:3], vcc
	s_cbranch_execz .LBB53_127
.LBB53_163:
	ds_read_b32 v35, v34 offset:896
	s_waitcnt lgkmcnt(0)
	v_add_f32_e32 v28, v28, v35
	s_or_b64 exec, exec, s[2:3]
	s_and_saveexec_b64 s[2:3], vcc
	s_cbranch_execz .LBB53_128
.LBB53_164:
	ds_read_b32 v35, v34 offset:928
	s_waitcnt lgkmcnt(0)
	v_add_f32_e32 v29, v29, v35
	s_or_b64 exec, exec, s[2:3]
	s_and_saveexec_b64 s[2:3], vcc
	s_cbranch_execz .LBB53_129
.LBB53_165:
	ds_read_b32 v35, v34 offset:960
	s_waitcnt lgkmcnt(0)
	v_add_f32_e32 v30, v30, v35
	s_or_b64 exec, exec, s[2:3]
	s_and_saveexec_b64 s[2:3], vcc
	s_cbranch_execnz .LBB53_130
	s_branch .LBB53_131
	.section	.rodata,"a",@progbits
	.p2align	6, 0x0
	.amdhsa_kernel _ZN4vllm25paged_attention_v1_kernelIffLi256ELi32ELi128ELNS_18Fp8KVCacheDataTypeE0ELb0EEEvPT_PKS2_PKT0_S8_ifPKiSA_iPKfiiiSC_SC_iiiii
		.amdhsa_group_segment_fixed_size 1040
		.amdhsa_private_segment_fixed_size 568
		.amdhsa_kernarg_size 384
		.amdhsa_user_sgpr_count 6
		.amdhsa_user_sgpr_private_segment_buffer 1
		.amdhsa_user_sgpr_dispatch_ptr 0
		.amdhsa_user_sgpr_queue_ptr 0
		.amdhsa_user_sgpr_kernarg_segment_ptr 1
		.amdhsa_user_sgpr_dispatch_id 0
		.amdhsa_user_sgpr_flat_scratch_init 0
		.amdhsa_user_sgpr_private_segment_size 0
		.amdhsa_uses_dynamic_stack 0
		.amdhsa_system_sgpr_private_segment_wavefront_offset 1
		.amdhsa_system_sgpr_workgroup_id_x 1
		.amdhsa_system_sgpr_workgroup_id_y 1
		.amdhsa_system_sgpr_workgroup_id_z 1
		.amdhsa_system_sgpr_workgroup_info 0
		.amdhsa_system_vgpr_workitem_id 0
		.amdhsa_next_free_vgpr 64
		.amdhsa_next_free_sgpr 48
		.amdhsa_reserve_vcc 1
		.amdhsa_reserve_flat_scratch 0
		.amdhsa_float_round_mode_32 0
		.amdhsa_float_round_mode_16_64 0
		.amdhsa_float_denorm_mode_32 3
		.amdhsa_float_denorm_mode_16_64 3
		.amdhsa_dx10_clamp 1
		.amdhsa_ieee_mode 1
		.amdhsa_fp16_overflow 0
		.amdhsa_exception_fp_ieee_invalid_op 0
		.amdhsa_exception_fp_denorm_src 0
		.amdhsa_exception_fp_ieee_div_zero 0
		.amdhsa_exception_fp_ieee_overflow 0
		.amdhsa_exception_fp_ieee_underflow 0
		.amdhsa_exception_fp_ieee_inexact 0
		.amdhsa_exception_int_div_zero 0
	.end_amdhsa_kernel
	.section	.text._ZN4vllm25paged_attention_v1_kernelIffLi256ELi32ELi128ELNS_18Fp8KVCacheDataTypeE0ELb0EEEvPT_PKS2_PKT0_S8_ifPKiSA_iPKfiiiSC_SC_iiiii,"axG",@progbits,_ZN4vllm25paged_attention_v1_kernelIffLi256ELi32ELi128ELNS_18Fp8KVCacheDataTypeE0ELb0EEEvPT_PKS2_PKT0_S8_ifPKiSA_iPKfiiiSC_SC_iiiii,comdat
.Lfunc_end53:
	.size	_ZN4vllm25paged_attention_v1_kernelIffLi256ELi32ELi128ELNS_18Fp8KVCacheDataTypeE0ELb0EEEvPT_PKS2_PKT0_S8_ifPKiSA_iPKfiiiSC_SC_iiiii, .Lfunc_end53-_ZN4vllm25paged_attention_v1_kernelIffLi256ELi32ELi128ELNS_18Fp8KVCacheDataTypeE0ELb0EEEvPT_PKS2_PKT0_S8_ifPKiSA_iPKfiiiSC_SC_iiiii
                                        ; -- End function
	.set _ZN4vllm25paged_attention_v1_kernelIffLi256ELi32ELi128ELNS_18Fp8KVCacheDataTypeE0ELb0EEEvPT_PKS2_PKT0_S8_ifPKiSA_iPKfiiiSC_SC_iiiii.num_vgpr, 64
	.set _ZN4vllm25paged_attention_v1_kernelIffLi256ELi32ELi128ELNS_18Fp8KVCacheDataTypeE0ELb0EEEvPT_PKS2_PKT0_S8_ifPKiSA_iPKfiiiSC_SC_iiiii.num_agpr, 0
	.set _ZN4vllm25paged_attention_v1_kernelIffLi256ELi32ELi128ELNS_18Fp8KVCacheDataTypeE0ELb0EEEvPT_PKS2_PKT0_S8_ifPKiSA_iPKfiiiSC_SC_iiiii.numbered_sgpr, 48
	.set _ZN4vllm25paged_attention_v1_kernelIffLi256ELi32ELi128ELNS_18Fp8KVCacheDataTypeE0ELb0EEEvPT_PKS2_PKT0_S8_ifPKiSA_iPKfiiiSC_SC_iiiii.num_named_barrier, 0
	.set _ZN4vllm25paged_attention_v1_kernelIffLi256ELi32ELi128ELNS_18Fp8KVCacheDataTypeE0ELb0EEEvPT_PKS2_PKT0_S8_ifPKiSA_iPKfiiiSC_SC_iiiii.private_seg_size, 568
	.set _ZN4vllm25paged_attention_v1_kernelIffLi256ELi32ELi128ELNS_18Fp8KVCacheDataTypeE0ELb0EEEvPT_PKS2_PKT0_S8_ifPKiSA_iPKfiiiSC_SC_iiiii.uses_vcc, 1
	.set _ZN4vllm25paged_attention_v1_kernelIffLi256ELi32ELi128ELNS_18Fp8KVCacheDataTypeE0ELb0EEEvPT_PKS2_PKT0_S8_ifPKiSA_iPKfiiiSC_SC_iiiii.uses_flat_scratch, 0
	.set _ZN4vllm25paged_attention_v1_kernelIffLi256ELi32ELi128ELNS_18Fp8KVCacheDataTypeE0ELb0EEEvPT_PKS2_PKT0_S8_ifPKiSA_iPKfiiiSC_SC_iiiii.has_dyn_sized_stack, 0
	.set _ZN4vllm25paged_attention_v1_kernelIffLi256ELi32ELi128ELNS_18Fp8KVCacheDataTypeE0ELb0EEEvPT_PKS2_PKT0_S8_ifPKiSA_iPKfiiiSC_SC_iiiii.has_recursion, 0
	.set _ZN4vllm25paged_attention_v1_kernelIffLi256ELi32ELi128ELNS_18Fp8KVCacheDataTypeE0ELb0EEEvPT_PKS2_PKT0_S8_ifPKiSA_iPKfiiiSC_SC_iiiii.has_indirect_call, 0
	.section	.AMDGPU.csdata,"",@progbits
; Kernel info:
; codeLenInByte = 16756
; TotalNumSgprs: 52
; NumVgprs: 64
; ScratchSize: 568
; MemoryBound: 0
; FloatMode: 240
; IeeeMode: 1
; LDSByteSize: 1040 bytes/workgroup (compile time only)
; SGPRBlocks: 6
; VGPRBlocks: 15
; NumSGPRsForWavesPerEU: 52
; NumVGPRsForWavesPerEU: 64
; Occupancy: 4
; WaveLimiterHint : 1
; COMPUTE_PGM_RSRC2:SCRATCH_EN: 1
; COMPUTE_PGM_RSRC2:USER_SGPR: 6
; COMPUTE_PGM_RSRC2:TRAP_HANDLER: 0
; COMPUTE_PGM_RSRC2:TGID_X_EN: 1
; COMPUTE_PGM_RSRC2:TGID_Y_EN: 1
; COMPUTE_PGM_RSRC2:TGID_Z_EN: 1
; COMPUTE_PGM_RSRC2:TIDIG_COMP_CNT: 0
	.section	.text._ZN4vllm25paged_attention_v1_kernelIttLi32ELi8ELi128ELNS_18Fp8KVCacheDataTypeE0ELb1EEEvPT_PKS2_PKT0_S8_ifPKiSA_iPKfiiiSC_SC_iiiii,"axG",@progbits,_ZN4vllm25paged_attention_v1_kernelIttLi32ELi8ELi128ELNS_18Fp8KVCacheDataTypeE0ELb1EEEvPT_PKS2_PKT0_S8_ifPKiSA_iPKfiiiSC_SC_iiiii,comdat
	.protected	_ZN4vllm25paged_attention_v1_kernelIttLi32ELi8ELi128ELNS_18Fp8KVCacheDataTypeE0ELb1EEEvPT_PKS2_PKT0_S8_ifPKiSA_iPKfiiiSC_SC_iiiii ; -- Begin function _ZN4vllm25paged_attention_v1_kernelIttLi32ELi8ELi128ELNS_18Fp8KVCacheDataTypeE0ELb1EEEvPT_PKS2_PKT0_S8_ifPKiSA_iPKfiiiSC_SC_iiiii
	.globl	_ZN4vllm25paged_attention_v1_kernelIttLi32ELi8ELi128ELNS_18Fp8KVCacheDataTypeE0ELb1EEEvPT_PKS2_PKT0_S8_ifPKiSA_iPKfiiiSC_SC_iiiii
	.p2align	8
	.type	_ZN4vllm25paged_attention_v1_kernelIttLi32ELi8ELi128ELNS_18Fp8KVCacheDataTypeE0ELb1EEEvPT_PKS2_PKT0_S8_ifPKiSA_iPKfiiiSC_SC_iiiii,@function
_ZN4vllm25paged_attention_v1_kernelIttLi32ELi8ELi128ELNS_18Fp8KVCacheDataTypeE0ELb1EEEvPT_PKS2_PKT0_S8_ifPKiSA_iPKfiiiSC_SC_iiiii: ; @_ZN4vllm25paged_attention_v1_kernelIttLi32ELi8ELi128ELNS_18Fp8KVCacheDataTypeE0ELb1EEEvPT_PKS2_PKT0_S8_ifPKiSA_iPKfiiiSC_SC_iiiii
; %bb.0:
	s_load_dword s9, s[4:5], 0x80
	s_load_dwordx2 s[0:1], s[4:5], 0x30
	s_load_dwordx2 s[30:31], s[4:5], 0x20
	s_mov_b32 s10, s7
	s_ashr_i32 s11, s7, 31
	s_lshl_b64 s[2:3], s[10:11], 2
	s_waitcnt lgkmcnt(0)
	s_add_u32 s0, s0, s2
	s_addc_u32 s1, s1, s3
	s_abs_i32 s2, s30
	v_cvt_f32_u32_e32 v1, s2
	s_sub_i32 s11, 0, s2
	s_abs_i32 s7, s9
	s_xor_b32 s3, s9, s30
	v_rcp_iflag_f32_e32 v1, v1
	s_ashr_i32 s3, s3, 31
	s_mov_b32 s42, 0
	v_mul_f32_e32 v1, 0x4f7ffffe, v1
	v_cvt_u32_f32_e32 v1, v1
	v_readfirstlane_b32 s12, v1
	s_mul_i32 s11, s11, s12
	s_mul_hi_u32 s11, s12, s11
	s_add_i32 s12, s12, s11
	s_mul_hi_u32 s11, s7, s12
	s_mul_i32 s12, s11, s2
	s_sub_i32 s7, s7, s12
	s_add_i32 s12, s11, 1
	s_sub_i32 s13, s7, s2
	s_cmp_ge_u32 s7, s2
	s_cselect_b32 s11, s12, s11
	s_cselect_b32 s7, s13, s7
	s_add_i32 s12, s11, 1
	s_cmp_ge_u32 s7, s2
	s_cselect_b32 s2, s12, s11
	s_xor_b32 s2, s2, s3
	s_sub_i32 s16, s2, s3
	s_abs_i32 s22, s16
	v_cvt_f32_u32_e32 v1, s22
	s_load_dwordx2 s[2:3], s[4:5], 0x40
	s_sub_i32 s7, 0, s22
	s_abs_i32 s23, s6
	v_rcp_iflag_f32_e32 v1, v1
	v_mul_f32_e32 v1, 0x4f7ffffe, v1
	v_cvt_u32_f32_e32 v1, v1
	v_readfirstlane_b32 s11, v1
	s_mul_i32 s7, s7, s11
	s_mul_hi_u32 s7, s11, s7
	s_add_i32 s11, s11, s7
	s_waitcnt lgkmcnt(0)
	s_cmp_eq_u64 s[2:3], 0
	s_mul_hi_u32 s24, s23, s11
	s_cbranch_scc1 .LBB54_2
; %bb.1:
	s_ashr_i32 s7, s6, 31
	s_lshl_b64 s[12:13], s[6:7], 2
	s_add_u32 s2, s2, s12
	s_addc_u32 s3, s3, s13
	s_load_dword s42, s[2:3], 0x0
.LBB54_2:
	s_load_dword s11, s[0:1], 0x0
	s_load_dwordx4 s[12:15], s[4:5], 0x48
	s_ashr_i32 s2, s6, 31
	s_ashr_i32 s7, s16, 31
	v_and_b32_e32 v1, 7, v0
	s_lshl_b32 s20, s6, 5
	v_cmp_gt_u32_e32 vcc, 32, v0
	s_and_saveexec_b64 s[0:1], vcc
	s_cbranch_execz .LBB54_4
; %bb.3:
	s_load_dwordx2 s[16:17], s[4:5], 0x8
	s_waitcnt lgkmcnt(0)
	s_mul_i32 s18, s12, s10
	s_ashr_i32 s19, s18, 31
	s_lshl_b64 s[18:19], s[18:19], 1
	v_lshlrev_b32_e32 v2, 1, v0
	s_add_u32 s3, s16, s18
	s_addc_u32 s12, s17, s19
	s_ashr_i32 s21, s20, 31
	s_lshl_b64 s[16:17], s[20:21], 1
	s_add_u32 s16, s3, s16
	s_addc_u32 s17, s12, s17
	global_load_ushort v2, v2, s[16:17]
	v_lshrrev_b32_e32 v3, 2, v0
	v_and_b32_e32 v3, 0xfe, v3
	v_lshl_add_u32 v3, v1, 3, v3
	s_waitcnt vmcnt(0)
	ds_write_b16 v3, v2
.LBB54_4:
	s_or_b64 exec, exec, s[0:1]
	s_mul_i32 s1, s24, s22
	s_sub_i32 s1, s23, s1
	s_xor_b32 s0, s2, s7
	s_add_i32 s2, s24, 1
	s_sub_i32 s7, s1, s22
	s_load_dwordx4 s[16:19], s[4:5], 0x68
	s_load_dword s3, s[4:5], 0x78
	s_cmp_ge_u32 s1, s22
	s_cselect_b32 s2, s2, s24
	s_cselect_b32 s1, s7, s1
	s_add_i32 s7, s2, 1
	s_cmp_ge_u32 s1, s22
	s_cselect_b32 s1, s7, s2
	s_waitcnt lgkmcnt(0)
	s_abs_i32 s21, s19
	v_cvt_f32_u32_e32 v2, s21
	s_xor_b32 s1, s1, s0
	s_sub_i32 s2, s1, s0
	s_sub_i32 s0, 0, s21
	v_rcp_iflag_f32_e32 v2, v2
	s_add_i32 s15, s11, -1
	s_abs_i32 s7, s15
	v_mul_f32_e32 v2, 0x4f7ffffe, v2
	v_cvt_u32_f32_e32 v2, v2
	s_barrier
	v_readfirstlane_b32 s33, v2
	s_mul_i32 s0, s0, s33
	s_mul_hi_u32 s0, s33, s0
	s_add_i32 s33, s33, s0
	s_cmp_lt_i32 s3, 0
	s_mul_hi_u32 s12, s7, s33
	s_cbranch_scc0 .LBB54_6
; %bb.5:
	s_mul_i32 s0, s16, s30
	s_add_i32 s0, s2, s0
	s_mul_i32 s0, s0, s3
	s_sub_i32 s40, 1, s0
	s_mov_b64 s[0:1], 0
	s_branch .LBB54_7
.LBB54_6:
	s_mov_b64 s[0:1], -1
                                        ; implicit-def: $sgpr40
.LBB54_7:
	s_load_dwordx2 s[24:25], s[4:5], 0x28
	s_ashr_i32 s15, s15, 31
	s_andn2_b64 vcc, exec, s[0:1]
	s_ashr_i32 s19, s19, 31
	s_cbranch_vccnz .LBB54_9
; %bb.8:
	s_mul_i32 s0, s9, s16
	s_add_i32 s0, s0, s6
	s_mul_i32 s0, s0, s3
	s_add_i32 s40, s0, 1
.LBB54_9:
	s_load_dword s0, s[4:5], 0x38
	s_load_dwordx2 s[22:23], s[4:5], 0x0
	s_load_dwordx2 s[28:29], s[4:5], 0x18
	s_load_dword s16, s[4:5], 0x88
	s_xor_b32 s1, s15, s19
	s_waitcnt lgkmcnt(0)
	s_mul_i32 s26, s0, s10
	s_mul_i32 s0, s12, s21
	s_sub_i32 s0, s7, s0
	s_ashr_i32 s27, s26, 31
	s_add_i32 s3, s12, 1
	s_sub_i32 s6, s0, s21
	s_cmp_ge_u32 s0, s21
	s_cselect_b32 s3, s3, s12
	s_cselect_b32 s0, s6, s0
	s_add_i32 s6, s3, 1
	s_cmp_ge_u32 s0, s21
	s_cselect_b32 s0, s6, s3
	s_xor_b32 s0, s0, s1
	s_sub_i32 s12, s0, s1
	s_add_i32 s0, s11, 7
	s_ashr_i32 s1, s0, 31
	s_lshr_b32 s1, s1, 29
	s_add_i32 s0, s0, s1
	s_ashr_i32 s41, s0, 3
	v_lshrrev_b32_e32 v7, 6, v0
	v_cmp_gt_i32_e64 s[0:1], s41, v7
	v_mov_b32_e32 v10, 0xff7fffff
	s_mul_i32 s14, s2, s14
	v_lshrrev_b32_e32 v3, 4, v0
	v_lshlrev_b32_e32 v8, 3, v7
	v_mbcnt_lo_u32_b32 v4, -1, 0
	s_and_saveexec_b64 s[34:35], s[0:1]
	s_cbranch_execz .LBB54_21
; %bb.10:
	s_load_dwordx2 s[2:3], s[4:5], 0x10
	s_ashr_i32 s15, s14, 31
	s_sub_i32 s30, s12, s17
	s_lshl_b64 s[4:5], s[14:15], 1
	v_bfe_u32 v5, v0, 3, 3
	s_waitcnt lgkmcnt(0)
	s_add_u32 s2, s2, s4
	s_addc_u32 s3, s3, s5
	s_abs_i32 s15, s18
	v_cvt_f32_u32_e32 v2, s15
	v_mov_b32_e32 v10, s3
	s_sub_i32 s3, 0, s15
	v_lshlrev_b32_e32 v9, 4, v5
	v_rcp_iflag_f32_e32 v2, v2
	v_lshlrev_b32_e32 v6, 1, v1
	s_lshl_b64 s[4:5], s[26:27], 2
	s_add_u32 s4, s24, s4
	v_mul_f32_e32 v2, 0x4f7ffffe, v2
	v_cvt_u32_f32_e32 v2, v2
	v_cmp_eq_u32_e32 vcc, 0, v1
	s_addc_u32 s5, s25, s5
	v_mbcnt_hi_u32_b32 v17, -1, v4
	v_mul_lo_u32 v11, s3, v2
	v_add_co_u32_e64 v9, s[2:3], s2, v9
	v_addc_co_u32_e64 v10, s[2:3], 0, v10, s[2:3]
	v_mul_hi_u32 v12, v2, v11
	v_add_co_u32_e64 v6, s[2:3], v9, v6
	v_addc_co_u32_e64 v9, s[2:3], 0, v10, s[2:3]
	v_subrev_u32_e32 v10, s11, v5
	v_add_u32_e32 v14, 1, v10
	v_lshlrev_b32_e32 v10, 2, v5
	v_lshlrev_b32_e32 v11, 3, v1
	v_and_b32_e32 v1, 60, v3
	v_lshl_or_b32 v10, v7, 5, v10
	v_add_u32_e32 v12, v2, v12
	v_mov_b32_e32 v2, s5
	v_add_co_u32_e64 v1, s[4:5], s4, v1
	v_add_u32_e32 v15, 0x50, v10
	v_and_b32_e32 v10, 64, v17
	s_mov_b32 s43, s13
	v_cmp_neq_f32_e64 s[2:3], s42, 0
	v_addc_co_u32_e64 v2, s[4:5], 0, v2, s[4:5]
	v_lshlrev_b32_e32 v13, 3, v7
	v_mov_b32_e32 v16, 0xff7fffff
	s_mov_b64 s[36:37], 0
	v_add_u32_e32 v18, 64, v10
	v_xor_b32_e32 v19, 4, v17
	v_xor_b32_e32 v20, 2, v17
	v_mov_b32_e32 v10, 0xff7fffff
	v_mov_b32_e32 v21, v7
	s_branch .LBB54_13
.LBB54_11:                              ;   in Loop: Header=BB54_13 Depth=1
	s_or_b64 exec, exec, s[38:39]
.LBB54_12:                              ;   in Loop: Header=BB54_13 Depth=1
	s_or_b64 exec, exec, s[6:7]
	v_add_co_u32_e64 v1, s[4:5], 8, v1
	v_add_u32_e32 v21, 2, v21
	v_addc_co_u32_e64 v2, s[4:5], 0, v2, s[4:5]
	v_cmp_le_i32_e64 s[4:5], s41, v21
	v_add_u32_e32 v13, 16, v13
	s_or_b64 s[36:37], s[4:5], s[36:37]
	v_add_u32_e32 v15, 64, v15
	s_andn2_b64 exec, exec, s[36:37]
	s_cbranch_execz .LBB54_20
.LBB54_13:                              ; =>This Inner Loop Header: Depth=1
	v_mul_hi_u32 v22, v13, s33
	s_waitcnt lgkmcnt(0)
	v_mul_lo_u32 v23, v22, s21
	v_add_u32_e32 v24, 1, v22
	v_sub_u32_e32 v23, v13, v23
	v_cmp_le_u32_e64 s[4:5], s21, v23
	v_cndmask_b32_e64 v22, v22, v24, s[4:5]
	v_subrev_u32_e32 v24, s21, v23
	v_cndmask_b32_e64 v23, v23, v24, s[4:5]
	v_add_u32_e32 v24, 1, v22
	v_cmp_le_u32_e64 s[4:5], s21, v23
	v_cndmask_b32_e64 v22, v22, v24, s[4:5]
	v_xor_b32_e32 v22, s19, v22
	v_subrev_u32_e32 v22, s19, v22
	v_add_u32_e32 v23, s40, v22
	v_sub_u32_e32 v24, 0, v23
	v_max_i32_e32 v24, v23, v24
	v_mul_hi_u32 v25, v24, v12
	v_ashrrev_i32_e32 v23, 31, v23
	v_cmp_ge_i32_e64 s[6:7], s30, v22
	v_mul_lo_u32 v25, v25, s15
	v_sub_u32_e32 v24, v24, v25
	v_subrev_u32_e32 v25, s15, v24
	v_cmp_le_u32_e64 s[4:5], s15, v24
	v_cndmask_b32_e64 v24, v24, v25, s[4:5]
	v_subrev_u32_e32 v25, s15, v24
	v_cmp_le_u32_e64 s[4:5], s15, v24
	v_cndmask_b32_e64 v24, v24, v25, s[4:5]
	v_xor_b32_e32 v24, v24, v23
	v_sub_u32_e32 v23, v24, v23
	v_cmp_ne_u32_e64 s[4:5], 0, v23
	s_and_b64 s[4:5], s[4:5], s[6:7]
	s_and_saveexec_b64 s[6:7], s[4:5]
	s_xor_b64 s[4:5], exec, s[6:7]
	s_cbranch_execz .LBB54_17
; %bb.14:                               ;   in Loop: Header=BB54_13 Depth=1
	s_and_saveexec_b64 s[6:7], vcc
; %bb.15:                               ;   in Loop: Header=BB54_13 Depth=1
	ds_write_b32 v15, v16
; %bb.16:                               ;   in Loop: Header=BB54_13 Depth=1
	s_or_b64 exec, exec, s[6:7]
.LBB54_17:                              ;   in Loop: Header=BB54_13 Depth=1
	s_andn2_saveexec_b64 s[6:7], s[4:5]
	s_cbranch_execz .LBB54_12
; %bb.18:                               ;   in Loop: Header=BB54_13 Depth=1
	global_load_dword v22, v[1:2], off
	s_waitcnt vmcnt(0)
	v_mad_i64_i32 v[22:23], s[4:5], v22, s43, 0
	v_lshlrev_b64 v[22:23], 1, v[22:23]
	v_add_co_u32_e64 v22, s[4:5], v6, v22
	v_addc_co_u32_e64 v23, s[4:5], v9, v23, s[4:5]
	global_load_ushort v24, v[22:23], off
	global_load_ushort v25, v[22:23], off offset:128
	global_load_ushort v28, v[22:23], off offset:256
	;; [unrolled: 1-line block ×3, first 2 shown]
	ds_read_u16 v22, v11
	s_waitcnt lgkmcnt(0)
	;;#ASMSTART
	v_cvt_f32_f16 v22, v22;
	;;#ASMEND
	v_cmp_lt_i32_e64 s[4:5], v19, v18
	v_cndmask_b32_e64 v26, v17, v19, s[4:5]
	v_lshlrev_b32_e32 v26, 2, v26
	v_cmp_lt_i32_e64 s[4:5], v20, v18
	s_waitcnt vmcnt(3)
	;;#ASMSTART
	v_cvt_f32_f16 v23, v24;
	;;#ASMEND
	ds_read_u16 v24, v11 offset:2
	s_waitcnt lgkmcnt(0)
	;;#ASMSTART
	v_cvt_f32_f16 v24, v24;
	;;#ASMEND
	s_waitcnt vmcnt(2)
	;;#ASMSTART
	v_cvt_f32_f16 v25, v25;
	;;#ASMEND
	v_mul_f32_e32 v24, v24, v25
	ds_read_u16 v27, v11 offset:4
	v_fmac_f32_e32 v24, v22, v23
	s_waitcnt lgkmcnt(0)
	;;#ASMSTART
	v_cvt_f32_f16 v27, v27;
	;;#ASMEND
	s_waitcnt vmcnt(1)
	;;#ASMSTART
	v_cvt_f32_f16 v28, v28;
	;;#ASMEND
	v_fmac_f32_e32 v24, v27, v28
	ds_read_u16 v30, v11 offset:6
	s_waitcnt lgkmcnt(0)
	;;#ASMSTART
	v_cvt_f32_f16 v22, v30;
	;;#ASMEND
	s_waitcnt vmcnt(0)
	;;#ASMSTART
	v_cvt_f32_f16 v23, v29;
	;;#ASMEND
	v_fmac_f32_e32 v24, v22, v23
	ds_bpermute_b32 v22, v26, v24
	v_cndmask_b32_e64 v23, v17, v20, s[4:5]
	v_lshlrev_b32_e32 v23, 2, v23
	s_waitcnt lgkmcnt(0)
	v_add_f32_e32 v22, v24, v22
	ds_bpermute_b32 v23, v23, v22
	v_xor_b32_e32 v24, 1, v17
	v_cmp_lt_i32_e64 s[4:5], v24, v18
	v_cndmask_b32_e64 v24, v17, v24, s[4:5]
	s_waitcnt lgkmcnt(0)
	v_add_f32_e32 v22, v22, v23
	v_lshlrev_b32_e32 v23, 2, v24
	ds_bpermute_b32 v23, v23, v22
	s_and_saveexec_b64 s[38:39], vcc
	s_cbranch_execz .LBB54_11
; %bb.19:                               ;   in Loop: Header=BB54_13 Depth=1
	v_add_u32_e32 v24, v14, v13
	v_cvt_f32_i32_e32 v24, v24
	s_waitcnt lgkmcnt(0)
	v_add_f32_e32 v22, v22, v23
	v_add_u32_e32 v25, v5, v13
	v_cmp_gt_i32_e64 s[4:5], s11, v25
	v_mul_f32_e32 v23, s42, v24
	v_cndmask_b32_e64 v23, 0, v23, s[2:3]
	v_fmac_f32_e32 v23, s31, v22
	v_cndmask_b32_e64 v22, 0, v23, s[4:5]
	ds_write_b32 v15, v22
	v_max_f32_e32 v22, v10, v10
	v_max_f32_e32 v22, v22, v23
	v_cndmask_b32_e64 v10, v10, v22, s[4:5]
	s_branch .LBB54_11
.LBB54_20:
	s_or_b64 exec, exec, s[36:37]
.LBB54_21:
	s_or_b64 exec, exec, s[34:35]
	v_mbcnt_hi_u32_b32 v1, -1, v4
	v_and_b32_e32 v13, 64, v1
	v_add_u32_e32 v2, 64, v13
	v_xor_b32_e32 v4, 32, v1
	v_cmp_lt_i32_e32 vcc, v4, v2
	v_cndmask_b32_e32 v4, v1, v4, vcc
	v_lshlrev_b32_e32 v5, 2, v4
	ds_bpermute_b32 v4, v5, v10
	v_xor_b32_e32 v9, 16, v1
	v_max_f32_e32 v6, v10, v10
	v_cmp_lt_i32_e32 vcc, v9, v2
	s_waitcnt lgkmcnt(0)
	v_max_f32_e32 v4, v4, v4
	v_max_f32_e32 v4, v6, v4
	v_cndmask_b32_e32 v6, v1, v9, vcc
	v_lshlrev_b32_e32 v10, 2, v6
	ds_bpermute_b32 v6, v10, v4
	v_xor_b32_e32 v9, 8, v1
	v_cmp_lt_i32_e32 vcc, v9, v2
	s_waitcnt lgkmcnt(0)
	v_max_f32_e32 v6, v6, v6
	v_max_f32_e32 v6, v4, v6
	v_cndmask_b32_e32 v4, v1, v9, vcc
	v_lshlrev_b32_e32 v12, 2, v4
	ds_bpermute_b32 v11, v12, v6
	v_and_b32_e32 v9, 63, v0
	v_cmp_eq_u32_e32 vcc, 0, v9
	v_lshlrev_b32_e32 v4, 2, v7
	s_and_saveexec_b64 s[2:3], vcc
	s_cbranch_execz .LBB54_23
; %bb.22:
	s_waitcnt lgkmcnt(0)
	v_max_f32_e32 v11, v11, v11
	v_max_f32_e32 v6, v6, v6
	;; [unrolled: 1-line block ×3, first 2 shown]
	ds_write_b32 v4, v6 offset:64
.LBB54_23:
	s_or_b64 exec, exec, s[2:3]
	v_cmp_gt_u32_e64 s[2:3], 2, v9
	v_mov_b32_e32 v14, 0xff7fffff
	v_lshlrev_b32_e32 v6, 2, v9
	s_waitcnt lgkmcnt(0)
	s_barrier
	s_and_saveexec_b64 s[4:5], s[2:3]
; %bb.24:
	ds_read_b32 v14, v6 offset:64
; %bb.25:
	s_or_b64 exec, exec, s[4:5]
	v_xor_b32_e32 v11, 1, v1
	v_cmp_lt_i32_e64 s[4:5], v11, v2
	v_cndmask_b32_e64 v11, v1, v11, s[4:5]
	v_lshlrev_b32_e32 v11, 2, v11
	s_waitcnt lgkmcnt(0)
	ds_bpermute_b32 v15, v11, v14
	v_max_f32_e32 v14, v14, v14
	v_lshlrev_b32_e32 v13, 2, v13
	s_lshl_b32 s4, s41, 3
	s_min_i32 s15, s4, s11
	s_waitcnt lgkmcnt(0)
	v_max_f32_e32 v15, v15, v15
	v_max_f32_e32 v14, v14, v15
	ds_bpermute_b32 v14, v13, v14
	v_cmp_gt_i32_e64 s[4:5], s15, v0
	v_mov_b32_e32 v13, 0
	s_and_saveexec_b64 s[30:31], s[4:5]
	s_cbranch_execz .LBB54_29
; %bb.26:
	v_mov_b32_e32 v13, 0x50
	v_lshl_add_u32 v15, v0, 2, v13
	v_mov_b32_e32 v13, 0
	s_mov_b64 s[34:35], 0
	v_mov_b32_e32 v16, v0
.LBB54_27:                              ; =>This Inner Loop Header: Depth=1
	ds_read_b32 v17, v15
	v_add_u32_e32 v16, 0x80, v16
	v_cmp_le_i32_e64 s[6:7], s15, v16
	s_or_b64 s[34:35], s[6:7], s[34:35]
	s_waitcnt lgkmcnt(0)
	v_sub_f32_e32 v17, v17, v14
	v_mul_f32_e32 v17, 0x3fb8aa3b, v17
	v_exp_f32_e32 v17, v17
	ds_write_b32 v15, v17
	v_add_f32_e32 v13, v13, v17
	v_add_u32_e32 v15, 0x200, v15
	s_andn2_b64 exec, exec, s[34:35]
	s_cbranch_execnz .LBB54_27
; %bb.28:
	s_or_b64 exec, exec, s[34:35]
.LBB54_29:
	s_or_b64 exec, exec, s[30:31]
	ds_bpermute_b32 v5, v5, v13
	s_waitcnt lgkmcnt(0)
	v_add_f32_e32 v5, v13, v5
	ds_bpermute_b32 v10, v10, v5
	s_waitcnt lgkmcnt(0)
	v_add_f32_e32 v5, v5, v10
	ds_bpermute_b32 v10, v12, v5
	v_xor_b32_e32 v12, 4, v1
	v_cmp_lt_i32_e64 s[6:7], v12, v2
	v_cndmask_b32_e64 v12, v1, v12, s[6:7]
	v_lshlrev_b32_e32 v12, 2, v12
	s_waitcnt lgkmcnt(0)
	v_add_f32_e32 v5, v5, v10
	ds_bpermute_b32 v10, v12, v5
	v_xor_b32_e32 v12, 2, v1
	v_cmp_lt_i32_e64 s[6:7], v12, v2
	v_cndmask_b32_e64 v2, v1, v12, s[6:7]
	v_lshlrev_b32_e32 v2, 2, v2
	s_waitcnt lgkmcnt(0)
	v_add_f32_e32 v5, v5, v10
	ds_bpermute_b32 v2, v2, v5
	s_waitcnt lgkmcnt(0)
	v_add_f32_e32 v2, v5, v2
	ds_bpermute_b32 v5, v11, v2
	s_waitcnt lgkmcnt(0)
	v_add_f32_e32 v2, v2, v5
	s_and_saveexec_b64 s[6:7], vcc
; %bb.30:
	ds_write_b32 v4, v2 offset:72
; %bb.31:
	s_or_b64 exec, exec, s[6:7]
	s_waitcnt lgkmcnt(0)
	s_barrier
	s_and_saveexec_b64 s[6:7], s[2:3]
; %bb.32:
	ds_read_b32 v2, v6 offset:72
; %bb.33:
	s_or_b64 exec, exec, s[6:7]
	s_waitcnt lgkmcnt(0)
	ds_bpermute_b32 v4, v11, v2
	v_lshlrev_b32_e32 v1, 2, v1
	v_and_b32_e32 v1, 0x100, v1
	s_waitcnt lgkmcnt(0)
	v_add_f32_e32 v2, v2, v4
	ds_bpermute_b32 v1, v1, v2
	s_and_saveexec_b64 s[2:3], s[4:5]
	s_cbranch_execz .LBB54_36
; %bb.34:
	s_waitcnt lgkmcnt(0)
	v_add_f32_e32 v2, 0x358637bd, v1
	v_div_scale_f32 v1, s[4:5], v2, v2, 1.0
	v_div_scale_f32 v4, vcc, 1.0, v2, 1.0
	s_mov_b64 s[4:5], 0
	v_rcp_f32_e32 v5, v1
	v_fma_f32 v6, -v1, v5, 1.0
	v_fmac_f32_e32 v5, v6, v5
	v_mul_f32_e32 v6, v4, v5
	v_fma_f32 v10, -v1, v6, v4
	v_fmac_f32_e32 v6, v10, v5
	v_fma_f32 v1, -v1, v6, v4
	v_div_fmas_f32 v4, v1, v5, v6
	v_mov_b32_e32 v1, 0x50
	v_lshl_add_u32 v1, v0, 2, v1
	v_div_fixup_f32 v2, v4, v2, 1.0
	v_mov_b32_e32 v4, v0
.LBB54_35:                              ; =>This Inner Loop Header: Depth=1
	ds_read_b32 v5, v1
	v_add_u32_e32 v4, 0x80, v4
	v_cmp_le_i32_e32 vcc, s15, v4
	s_or_b64 s[4:5], vcc, s[4:5]
	s_waitcnt lgkmcnt(0)
	v_mul_f32_e32 v5, v2, v5
	ds_write_b32 v1, v5
	v_add_u32_e32 v1, 0x200, v1
	s_andn2_b64 exec, exec, s[4:5]
	s_cbranch_execnz .LBB54_35
.LBB54_36:
	s_or_b64 exec, exec, s[2:3]
	v_mov_b32_e32 v10, 0
	s_waitcnt lgkmcnt(0)
	s_barrier
	s_and_saveexec_b64 s[4:5], s[0:1]
	s_cbranch_execz .LBB54_46
; %bb.37:
	s_ashr_i32 s15, s14, 31
	s_sub_i32 s17, s12, s17
	s_lshl_b64 s[0:1], s[14:15], 1
	s_add_u32 s6, s28, s0
	s_addc_u32 s7, s29, s1
	s_abs_i32 s18, s18
	v_cvt_f32_u32_e32 v1, s18
	s_sub_i32 s2, 0, s18
	v_lshlrev_b32_e32 v2, 4, v9
	s_add_i32 s29, s41, -1
	v_rcp_iflag_f32_e32 v1, v1
	v_mov_b32_e32 v5, s7
	v_add_co_u32_e32 v12, vcc, s6, v2
	v_mul_f32_e32 v1, 0x4f7ffffe, v1
	v_cvt_u32_f32_e32 v1, v1
	v_and_b32_e32 v3, 60, v3
	v_addc_co_u32_e32 v13, vcc, 0, v5, vcc
	v_mul_lo_u32 v4, s2, v1
	s_lshl_b64 s[2:3], s[26:27], 2
	s_add_u32 s2, s24, s2
	s_addc_u32 s3, s25, s3
	v_mul_hi_u32 v4, v1, v4
	v_add_co_u32_e32 v5, vcc, s2, v3
	s_mov_b32 s28, s13
	v_add_u32_e32 v14, v1, v4
	v_mov_b32_e32 v1, s3
	v_addc_co_u32_e32 v6, vcc, 0, v1, vcc
	v_mov_b32_e32 v1, 0x50
	v_cmp_gt_u32_e64 s[0:1], 32, v9
	v_mov_b32_e32 v11, 0
	v_lshl_add_u32 v15, v7, 5, v1
	s_mov_b64 s[6:7], 0
	s_mov_b32 s24, 0xffff
	v_mov_b32_e32 v10, 0
	s_branch .LBB54_41
.LBB54_38:                              ;   in Loop: Header=BB54_41 Depth=1
	s_or_b64 exec, exec, s[14:15]
	v_and_b32_e32 v16, 0xffff, v16
	v_lshl_or_b32 v16, v17, 16, v16
	v_and_b32_e32 v17, 0xffff, v18
	v_and_b32_e32 v18, 0xffff, v20
	v_lshlrev_b32_e32 v20, 16, v26
	v_and_or_b32 v1, v1, s24, v20
	v_lshlrev_b32_e32 v20, 16, v25
	v_and_or_b32 v2, v2, s24, v20
	v_lshlrev_b32_e32 v20, 16, v24
	v_lshl_or_b32 v17, v19, 16, v17
	v_and_b32_e32 v19, 0xffff, v22
	v_and_or_b32 v3, v3, s24, v20
	;;#ASMSTART
	v_pk_mul_f16 v1, v16, v1;

	;;#ASMEND
	v_lshl_or_b32 v18, v21, 16, v18
	v_lshl_or_b32 v19, v23, 16, v19
	;;#ASMSTART
	v_pk_mul_f16 v2, v17, v2;

	;;#ASMEND
	;;#ASMSTART
	v_pk_mul_f16 v3, v18, v3;

	;;#ASMEND
	;; [unrolled: 4-line block ×3, first 2 shown]
	;;#ASMSTART
	v_pk_add_f16 v1, v1, v2;

	;;#ASMEND
	;;#ASMSTART
	v_pk_add_f16 v1, v1, v3;

	;;#ASMEND
	;; [unrolled: 4-line block ×3, first 2 shown]
	v_lshrrev_b32_e32 v2, 16, v1
	v_and_b32_e32 v1, 0xffff, v1
	;;#ASMSTART
	v_cvt_f32_f16 v1, v1;
	;;#ASMEND
	;;#ASMSTART
	v_cvt_f32_f16 v2, v2;
	;;#ASMEND
	v_add_f32_e32 v1, v1, v2
	v_add_f32_e32 v10, v10, v1
.LBB54_39:                              ;   in Loop: Header=BB54_41 Depth=1
	s_or_b64 exec, exec, s[12:13]
.LBB54_40:                              ;   in Loop: Header=BB54_41 Depth=1
	s_or_b64 exec, exec, s[2:3]
	v_add_co_u32_e32 v5, vcc, 8, v5
	v_add_u32_e32 v7, 2, v7
	v_addc_co_u32_e32 v6, vcc, 0, v6, vcc
	v_cmp_le_i32_e32 vcc, s41, v7
	v_add_u32_e32 v8, 16, v8
	s_or_b64 s[6:7], vcc, s[6:7]
	v_add_u32_e32 v15, 64, v15
	s_andn2_b64 exec, exec, s[6:7]
	s_cbranch_execz .LBB54_45
.LBB54_41:                              ; =>This Inner Loop Header: Depth=1
	v_mul_hi_u32 v1, v8, s33
	v_mul_lo_u32 v2, v1, s21
	v_add_u32_e32 v3, 1, v1
	v_sub_u32_e32 v2, v8, v2
	v_cmp_le_u32_e32 vcc, s21, v2
	v_cndmask_b32_e32 v1, v1, v3, vcc
	v_subrev_u32_e32 v3, s21, v2
	v_cndmask_b32_e32 v2, v2, v3, vcc
	v_add_u32_e32 v3, 1, v1
	v_cmp_le_u32_e32 vcc, s21, v2
	v_cndmask_b32_e32 v1, v1, v3, vcc
	v_xor_b32_e32 v1, s19, v1
	v_subrev_u32_e32 v1, s19, v1
	v_add_u32_e32 v2, s40, v1
	v_sub_u32_e32 v3, 0, v2
	v_max_i32_e32 v3, v2, v3
	v_mul_hi_u32 v4, v3, v14
	v_ashrrev_i32_e32 v2, 31, v2
	v_cmp_lt_i32_e64 s[2:3], s17, v1
	v_mul_lo_u32 v4, v4, s18
	v_sub_u32_e32 v3, v3, v4
	v_subrev_u32_e32 v4, s18, v3
	v_cmp_le_u32_e32 vcc, s18, v3
	v_cndmask_b32_e32 v3, v3, v4, vcc
	v_subrev_u32_e32 v4, s18, v3
	v_cmp_le_u32_e32 vcc, s18, v3
	v_cndmask_b32_e32 v3, v3, v4, vcc
	v_xor_b32_e32 v3, v3, v2
	v_sub_u32_e32 v2, v3, v2
	v_cmp_eq_u32_e32 vcc, 0, v2
	s_or_b64 s[12:13], vcc, s[2:3]
	s_and_saveexec_b64 s[2:3], s[12:13]
	s_cbranch_execz .LBB54_40
; %bb.42:                               ;   in Loop: Header=BB54_41 Depth=1
	ds_read2_b64 v[1:4], v15 offset1:1
	ds_read2_b64 v[20:23], v15 offset0:2 offset1:3
	s_waitcnt lgkmcnt(1)
	;;#ASMSTART
	v_cvt_f16_f32 v16, v1;

	;;#ASMEND
	;;#ASMSTART
	v_cvt_f16_f32 v17, v2;

	;;#ASMEND
	;; [unrolled: 4-line block ×4, first 2 shown]
	s_waitcnt lgkmcnt(0)
	;;#ASMSTART
	v_cvt_f16_f32 v20, v20;

	;;#ASMEND
	;;#ASMSTART
	v_cvt_f16_f32 v21, v21;

	;;#ASMEND
	;; [unrolled: 4-line block ×4, first 2 shown]
	s_and_saveexec_b64 s[12:13], s[0:1]
	s_cbranch_execz .LBB54_39
; %bb.43:                               ;   in Loop: Header=BB54_41 Depth=1
	global_load_dword v1, v[5:6], off
	s_waitcnt vmcnt(0)
	v_mad_i64_i32 v[1:2], s[14:15], v1, s28, 0
	v_lshlrev_b64 v[1:2], 1, v[1:2]
	v_add_co_u32_e32 v1, vcc, v12, v1
	v_addc_co_u32_e32 v2, vcc, v13, v2, vcc
	global_load_dwordx4 v[1:4], v[1:2], off
	v_cmp_eq_u32_e32 vcc, s29, v7
	s_waitcnt vmcnt(0)
	v_lshrrev_b32_e32 v26, 16, v1
	v_lshrrev_b32_e32 v25, 16, v2
	;; [unrolled: 1-line block ×3, first 2 shown]
	s_and_saveexec_b64 s[14:15], vcc
	s_cbranch_execz .LBB54_38
; %bb.44:                               ;   in Loop: Header=BB54_41 Depth=1
	v_cmp_gt_i32_e32 vcc, s11, v8
	v_add_u32_e32 v27, 1, v8
	v_cndmask_b32_e32 v1, 0, v1, vcc
	v_cmp_gt_i32_e32 vcc, s11, v27
	v_add_u32_e32 v27, 2, v8
	v_cndmask_b32_e32 v26, 0, v26, vcc
	;; [unrolled: 3-line block ×6, first 2 shown]
	v_cmp_gt_i32_e32 vcc, s11, v27
	v_add_u32_e32 v28, 7, v8
	v_cndmask_b32_sdwa v27, v11, v4, vcc dst_sel:DWORD dst_unused:UNUSED_PAD src0_sel:DWORD src1_sel:WORD_0
	v_and_b32_e32 v4, 0xffff0000, v4
	v_cmp_gt_i32_e32 vcc, s11, v28
	v_cndmask_b32_e32 v4, 0, v4, vcc
	v_or_b32_e32 v4, v27, v4
	s_branch .LBB54_38
.LBB54_45:
	s_or_b64 exec, exec, s[6:7]
.LBB54_46:
	s_or_b64 exec, exec, s[4:5]
	v_and_b32_e32 v1, 0x3c0, v0
	v_cmp_eq_u32_e64 s[0:1], 64, v1
	v_cmp_gt_u32_e64 s[2:3], 32, v9
	v_mov_b32_e32 v1, 0x50
	v_cmp_lt_u32_e32 vcc, 31, v9
	v_lshl_add_u32 v1, v9, 2, v1
	s_and_b64 s[2:3], s[0:1], s[2:3]
	s_barrier
	s_and_saveexec_b64 s[0:1], s[2:3]
; %bb.47:
	ds_write_b32 v1, v10
; %bb.48:
	s_or_b64 exec, exec, s[0:1]
	v_cmp_gt_u32_e64 s[0:1], 64, v0
	s_xor_b64 s[2:3], vcc, -1
	s_and_b64 s[2:3], s[0:1], s[2:3]
	s_waitcnt lgkmcnt(0)
	s_barrier
	s_and_saveexec_b64 s[0:1], s[2:3]
	s_cbranch_execz .LBB54_50
; %bb.49:
	ds_read_b32 v1, v1
	s_waitcnt lgkmcnt(0)
	v_add_f32_e32 v10, v10, v1
.LBB54_50:
	s_or_b64 exec, exec, s[0:1]
	v_cmp_gt_u32_e32 vcc, 64, v0
	v_cmp_gt_u32_e64 s[0:1], 32, v9
	s_and_b64 s[0:1], vcc, s[0:1]
	s_barrier
	s_and_saveexec_b64 s[2:3], s[0:1]
	s_cbranch_execz .LBB54_52
; %bb.51:
	s_mul_i32 s0, s10, s16
	s_mul_i32 s0, s0, s9
	s_lshl_b32 s0, s0, 5
	s_ashr_i32 s1, s0, 31
	s_lshl_b64 s[0:1], s[0:1], 1
	s_add_u32 s2, s22, s0
	s_mul_i32 s0, s16, s20
	s_addc_u32 s3, s23, s1
	s_ashr_i32 s1, s0, 31
	s_lshl_b64 s[0:1], s[0:1], 1
	s_add_u32 s2, s2, s0
	s_addc_u32 s3, s3, s1
	s_lshl_b32 s0, s8, 5
	s_ashr_i32 s1, s0, 31
	s_lshl_b64 s[0:1], s[0:1], 1
	s_add_u32 s0, s2, s0
	s_addc_u32 s1, s3, s1
	v_lshlrev_b32_e32 v0, 1, v9
	;;#ASMSTART
	v_cvt_f16_f32 v1, v10;

	;;#ASMEND
	global_store_short v0, v1, s[0:1]
.LBB54_52:
	s_endpgm
	.section	.rodata,"a",@progbits
	.p2align	6, 0x0
	.amdhsa_kernel _ZN4vllm25paged_attention_v1_kernelIttLi32ELi8ELi128ELNS_18Fp8KVCacheDataTypeE0ELb1EEEvPT_PKS2_PKT0_S8_ifPKiSA_iPKfiiiSC_SC_iiiii
		.amdhsa_group_segment_fixed_size 80
		.amdhsa_private_segment_fixed_size 0
		.amdhsa_kernarg_size 384
		.amdhsa_user_sgpr_count 6
		.amdhsa_user_sgpr_private_segment_buffer 1
		.amdhsa_user_sgpr_dispatch_ptr 0
		.amdhsa_user_sgpr_queue_ptr 0
		.amdhsa_user_sgpr_kernarg_segment_ptr 1
		.amdhsa_user_sgpr_dispatch_id 0
		.amdhsa_user_sgpr_flat_scratch_init 0
		.amdhsa_user_sgpr_private_segment_size 0
		.amdhsa_uses_dynamic_stack 0
		.amdhsa_system_sgpr_private_segment_wavefront_offset 0
		.amdhsa_system_sgpr_workgroup_id_x 1
		.amdhsa_system_sgpr_workgroup_id_y 1
		.amdhsa_system_sgpr_workgroup_id_z 1
		.amdhsa_system_sgpr_workgroup_info 0
		.amdhsa_system_vgpr_workitem_id 0
		.amdhsa_next_free_vgpr 31
		.amdhsa_next_free_sgpr 44
		.amdhsa_reserve_vcc 1
		.amdhsa_reserve_flat_scratch 0
		.amdhsa_float_round_mode_32 0
		.amdhsa_float_round_mode_16_64 0
		.amdhsa_float_denorm_mode_32 3
		.amdhsa_float_denorm_mode_16_64 3
		.amdhsa_dx10_clamp 1
		.amdhsa_ieee_mode 1
		.amdhsa_fp16_overflow 0
		.amdhsa_exception_fp_ieee_invalid_op 0
		.amdhsa_exception_fp_denorm_src 0
		.amdhsa_exception_fp_ieee_div_zero 0
		.amdhsa_exception_fp_ieee_overflow 0
		.amdhsa_exception_fp_ieee_underflow 0
		.amdhsa_exception_fp_ieee_inexact 0
		.amdhsa_exception_int_div_zero 0
	.end_amdhsa_kernel
	.section	.text._ZN4vllm25paged_attention_v1_kernelIttLi32ELi8ELi128ELNS_18Fp8KVCacheDataTypeE0ELb1EEEvPT_PKS2_PKT0_S8_ifPKiSA_iPKfiiiSC_SC_iiiii,"axG",@progbits,_ZN4vllm25paged_attention_v1_kernelIttLi32ELi8ELi128ELNS_18Fp8KVCacheDataTypeE0ELb1EEEvPT_PKS2_PKT0_S8_ifPKiSA_iPKfiiiSC_SC_iiiii,comdat
.Lfunc_end54:
	.size	_ZN4vllm25paged_attention_v1_kernelIttLi32ELi8ELi128ELNS_18Fp8KVCacheDataTypeE0ELb1EEEvPT_PKS2_PKT0_S8_ifPKiSA_iPKfiiiSC_SC_iiiii, .Lfunc_end54-_ZN4vllm25paged_attention_v1_kernelIttLi32ELi8ELi128ELNS_18Fp8KVCacheDataTypeE0ELb1EEEvPT_PKS2_PKT0_S8_ifPKiSA_iPKfiiiSC_SC_iiiii
                                        ; -- End function
	.set _ZN4vllm25paged_attention_v1_kernelIttLi32ELi8ELi128ELNS_18Fp8KVCacheDataTypeE0ELb1EEEvPT_PKS2_PKT0_S8_ifPKiSA_iPKfiiiSC_SC_iiiii.num_vgpr, 31
	.set _ZN4vllm25paged_attention_v1_kernelIttLi32ELi8ELi128ELNS_18Fp8KVCacheDataTypeE0ELb1EEEvPT_PKS2_PKT0_S8_ifPKiSA_iPKfiiiSC_SC_iiiii.num_agpr, 0
	.set _ZN4vllm25paged_attention_v1_kernelIttLi32ELi8ELi128ELNS_18Fp8KVCacheDataTypeE0ELb1EEEvPT_PKS2_PKT0_S8_ifPKiSA_iPKfiiiSC_SC_iiiii.numbered_sgpr, 44
	.set _ZN4vllm25paged_attention_v1_kernelIttLi32ELi8ELi128ELNS_18Fp8KVCacheDataTypeE0ELb1EEEvPT_PKS2_PKT0_S8_ifPKiSA_iPKfiiiSC_SC_iiiii.num_named_barrier, 0
	.set _ZN4vllm25paged_attention_v1_kernelIttLi32ELi8ELi128ELNS_18Fp8KVCacheDataTypeE0ELb1EEEvPT_PKS2_PKT0_S8_ifPKiSA_iPKfiiiSC_SC_iiiii.private_seg_size, 0
	.set _ZN4vllm25paged_attention_v1_kernelIttLi32ELi8ELi128ELNS_18Fp8KVCacheDataTypeE0ELb1EEEvPT_PKS2_PKT0_S8_ifPKiSA_iPKfiiiSC_SC_iiiii.uses_vcc, 1
	.set _ZN4vllm25paged_attention_v1_kernelIttLi32ELi8ELi128ELNS_18Fp8KVCacheDataTypeE0ELb1EEEvPT_PKS2_PKT0_S8_ifPKiSA_iPKfiiiSC_SC_iiiii.uses_flat_scratch, 0
	.set _ZN4vllm25paged_attention_v1_kernelIttLi32ELi8ELi128ELNS_18Fp8KVCacheDataTypeE0ELb1EEEvPT_PKS2_PKT0_S8_ifPKiSA_iPKfiiiSC_SC_iiiii.has_dyn_sized_stack, 0
	.set _ZN4vllm25paged_attention_v1_kernelIttLi32ELi8ELi128ELNS_18Fp8KVCacheDataTypeE0ELb1EEEvPT_PKS2_PKT0_S8_ifPKiSA_iPKfiiiSC_SC_iiiii.has_recursion, 0
	.set _ZN4vllm25paged_attention_v1_kernelIttLi32ELi8ELi128ELNS_18Fp8KVCacheDataTypeE0ELb1EEEvPT_PKS2_PKT0_S8_ifPKiSA_iPKfiiiSC_SC_iiiii.has_indirect_call, 0
	.section	.AMDGPU.csdata,"",@progbits
; Kernel info:
; codeLenInByte = 3660
; TotalNumSgprs: 48
; NumVgprs: 31
; ScratchSize: 0
; MemoryBound: 0
; FloatMode: 240
; IeeeMode: 1
; LDSByteSize: 80 bytes/workgroup (compile time only)
; SGPRBlocks: 5
; VGPRBlocks: 7
; NumSGPRsForWavesPerEU: 48
; NumVGPRsForWavesPerEU: 31
; Occupancy: 8
; WaveLimiterHint : 1
; COMPUTE_PGM_RSRC2:SCRATCH_EN: 0
; COMPUTE_PGM_RSRC2:USER_SGPR: 6
; COMPUTE_PGM_RSRC2:TRAP_HANDLER: 0
; COMPUTE_PGM_RSRC2:TGID_X_EN: 1
; COMPUTE_PGM_RSRC2:TGID_Y_EN: 1
; COMPUTE_PGM_RSRC2:TGID_Z_EN: 1
; COMPUTE_PGM_RSRC2:TIDIG_COMP_CNT: 0
	.section	.text._ZN4vllm25paged_attention_v1_kernelIttLi64ELi8ELi128ELNS_18Fp8KVCacheDataTypeE0ELb1EEEvPT_PKS2_PKT0_S8_ifPKiSA_iPKfiiiSC_SC_iiiii,"axG",@progbits,_ZN4vllm25paged_attention_v1_kernelIttLi64ELi8ELi128ELNS_18Fp8KVCacheDataTypeE0ELb1EEEvPT_PKS2_PKT0_S8_ifPKiSA_iPKfiiiSC_SC_iiiii,comdat
	.protected	_ZN4vllm25paged_attention_v1_kernelIttLi64ELi8ELi128ELNS_18Fp8KVCacheDataTypeE0ELb1EEEvPT_PKS2_PKT0_S8_ifPKiSA_iPKfiiiSC_SC_iiiii ; -- Begin function _ZN4vllm25paged_attention_v1_kernelIttLi64ELi8ELi128ELNS_18Fp8KVCacheDataTypeE0ELb1EEEvPT_PKS2_PKT0_S8_ifPKiSA_iPKfiiiSC_SC_iiiii
	.globl	_ZN4vllm25paged_attention_v1_kernelIttLi64ELi8ELi128ELNS_18Fp8KVCacheDataTypeE0ELb1EEEvPT_PKS2_PKT0_S8_ifPKiSA_iPKfiiiSC_SC_iiiii
	.p2align	8
	.type	_ZN4vllm25paged_attention_v1_kernelIttLi64ELi8ELi128ELNS_18Fp8KVCacheDataTypeE0ELb1EEEvPT_PKS2_PKT0_S8_ifPKiSA_iPKfiiiSC_SC_iiiii,@function
_ZN4vllm25paged_attention_v1_kernelIttLi64ELi8ELi128ELNS_18Fp8KVCacheDataTypeE0ELb1EEEvPT_PKS2_PKT0_S8_ifPKiSA_iPKfiiiSC_SC_iiiii: ; @_ZN4vllm25paged_attention_v1_kernelIttLi64ELi8ELi128ELNS_18Fp8KVCacheDataTypeE0ELb1EEEvPT_PKS2_PKT0_S8_ifPKiSA_iPKfiiiSC_SC_iiiii
; %bb.0:
	s_load_dword s9, s[4:5], 0x80
	s_load_dwordx2 s[0:1], s[4:5], 0x30
	s_load_dwordx2 s[34:35], s[4:5], 0x20
	s_mov_b32 s20, s7
	s_ashr_i32 s21, s7, 31
	s_lshl_b64 s[2:3], s[20:21], 2
	s_waitcnt lgkmcnt(0)
	s_add_u32 s0, s0, s2
	s_addc_u32 s1, s1, s3
	s_abs_i32 s2, s34
	v_cvt_f32_u32_e32 v1, s2
	s_sub_i32 s10, 0, s2
	s_abs_i32 s7, s9
	s_xor_b32 s3, s9, s34
	v_rcp_iflag_f32_e32 v1, v1
	s_ashr_i32 s3, s3, 31
	s_mov_b32 s44, 0
	v_mul_f32_e32 v1, 0x4f7ffffe, v1
	v_cvt_u32_f32_e32 v1, v1
	v_readfirstlane_b32 s11, v1
	s_mul_i32 s10, s10, s11
	s_mul_hi_u32 s10, s11, s10
	s_add_i32 s11, s11, s10
	s_mul_hi_u32 s10, s7, s11
	s_mul_i32 s11, s10, s2
	s_sub_i32 s7, s7, s11
	s_add_i32 s11, s10, 1
	s_sub_i32 s12, s7, s2
	s_cmp_ge_u32 s7, s2
	s_cselect_b32 s10, s11, s10
	s_cselect_b32 s7, s12, s7
	s_add_i32 s11, s10, 1
	s_cmp_ge_u32 s7, s2
	s_cselect_b32 s2, s11, s10
	s_xor_b32 s2, s2, s3
	s_sub_i32 s11, s2, s3
	s_abs_i32 s10, s11
	v_cvt_f32_u32_e32 v1, s10
	s_load_dwordx2 s[2:3], s[4:5], 0x40
	s_sub_i32 s7, 0, s10
	s_abs_i32 s24, s6
	v_rcp_iflag_f32_e32 v1, v1
	v_mul_f32_e32 v1, 0x4f7ffffe, v1
	v_cvt_u32_f32_e32 v1, v1
	v_readfirstlane_b32 s12, v1
	s_mul_i32 s7, s7, s12
	s_mul_hi_u32 s7, s12, s7
	s_add_i32 s12, s12, s7
	s_waitcnt lgkmcnt(0)
	s_cmp_eq_u64 s[2:3], 0
	s_mul_hi_u32 s25, s24, s12
	s_cbranch_scc1 .LBB55_2
; %bb.1:
	s_ashr_i32 s7, s6, 31
	s_lshl_b64 s[12:13], s[6:7], 2
	s_add_u32 s2, s2, s12
	s_addc_u32 s3, s3, s13
	s_load_dword s44, s[2:3], 0x0
.LBB55_2:
	s_load_dword s21, s[0:1], 0x0
	s_load_dwordx4 s[12:15], s[4:5], 0x48
	s_ashr_i32 s7, s6, 31
	s_waitcnt lgkmcnt(0)
	s_ashr_i32 s15, s11, 31
	v_and_b32_e32 v1, 7, v0
	s_lshl_b32 s22, s6, 6
	v_cmp_gt_u32_e64 s[0:1], 64, v0
	s_and_saveexec_b64 s[2:3], s[0:1]
	s_cbranch_execz .LBB55_4
; %bb.3:
	s_load_dwordx2 s[16:17], s[4:5], 0x8
	s_mul_i32 s18, s12, s20
	s_ashr_i32 s19, s18, 31
	s_lshl_b64 s[18:19], s[18:19], 1
	v_lshlrev_b32_e32 v2, 1, v0
	s_waitcnt lgkmcnt(0)
	s_add_u32 s11, s16, s18
	s_addc_u32 s12, s17, s19
	s_ashr_i32 s23, s22, 31
	s_lshl_b64 s[16:17], s[22:23], 1
	s_add_u32 s16, s11, s16
	s_addc_u32 s17, s12, s17
	global_load_ushort v2, v2, s[16:17]
	v_lshrrev_b32_e32 v3, 2, v0
	v_and_b32_e32 v3, 0xfe, v3
	v_lshl_add_u32 v3, v1, 4, v3
	s_waitcnt vmcnt(0)
	ds_write_b16 v3, v2
.LBB55_4:
	s_or_b64 exec, exec, s[2:3]
	s_mul_i32 s3, s25, s10
	s_sub_i32 s3, s24, s3
	s_xor_b32 s2, s7, s15
	s_add_i32 s7, s25, 1
	s_sub_i32 s12, s3, s10
	s_load_dwordx4 s[16:19], s[4:5], 0x68
	s_load_dword s11, s[4:5], 0x78
	s_cmp_ge_u32 s3, s10
	s_cselect_b32 s7, s7, s25
	s_cselect_b32 s3, s12, s3
	s_add_i32 s12, s7, 1
	s_cmp_ge_u32 s3, s10
	s_cselect_b32 s3, s12, s7
	s_waitcnt lgkmcnt(0)
	s_abs_i32 s12, s19
	v_cvt_f32_u32_e32 v2, s12
	s_xor_b32 s3, s3, s2
	s_sub_i32 s7, s3, s2
	s_sub_i32 s2, 0, s12
	v_rcp_iflag_f32_e32 v2, v2
	s_add_i32 s24, s21, -1
	s_abs_i32 s10, s24
	v_mul_f32_e32 v2, 0x4f7ffffe, v2
	v_cvt_u32_f32_e32 v2, v2
	s_barrier
	v_readfirstlane_b32 s23, v2
	s_mul_i32 s2, s2, s23
	s_mul_hi_u32 s2, s23, s2
	s_add_i32 s23, s23, s2
	s_cmp_lt_i32 s11, 0
	s_mul_hi_u32 s15, s10, s23
	s_cbranch_scc0 .LBB55_6
; %bb.5:
	s_mul_i32 s2, s16, s34
	s_add_i32 s2, s7, s2
	s_mul_i32 s2, s2, s11
	s_sub_i32 s33, 1, s2
	s_mov_b64 s[2:3], 0
	s_branch .LBB55_7
.LBB55_6:
	s_mov_b64 s[2:3], -1
                                        ; implicit-def: $sgpr33
.LBB55_7:
	s_load_dwordx2 s[26:27], s[4:5], 0x28
	s_ashr_i32 s28, s24, 31
	s_andn2_b64 vcc, exec, s[2:3]
	s_ashr_i32 s19, s19, 31
	s_cbranch_vccnz .LBB55_9
; %bb.8:
	s_mul_i32 s2, s9, s16
	s_add_i32 s2, s2, s6
	s_mul_i32 s2, s2, s11
	s_add_i32 s33, s2, 1
.LBB55_9:
	s_load_dword s2, s[4:5], 0x38
	s_load_dwordx2 s[24:25], s[4:5], 0x0
	s_load_dwordx2 s[30:31], s[4:5], 0x18
	s_load_dword s16, s[4:5], 0x88
	s_xor_b32 s3, s28, s19
	s_waitcnt lgkmcnt(0)
	s_mul_i32 s28, s2, s20
	s_mul_i32 s2, s15, s12
	s_sub_i32 s2, s10, s2
	s_ashr_i32 s29, s28, 31
	s_add_i32 s6, s15, 1
	s_sub_i32 s10, s2, s12
	s_cmp_ge_u32 s2, s12
	s_cselect_b32 s6, s6, s15
	s_cselect_b32 s2, s10, s2
	s_add_i32 s10, s6, 1
	s_cmp_ge_u32 s2, s12
	s_cselect_b32 s2, s10, s6
	s_xor_b32 s2, s2, s3
	s_sub_i32 s43, s2, s3
	s_add_i32 s2, s21, 7
	s_ashr_i32 s3, s2, 31
	s_lshr_b32 s3, s3, 29
	s_add_i32 s2, s2, s3
	s_ashr_i32 s42, s2, 3
	v_lshrrev_b32_e32 v7, 6, v0
	v_cmp_gt_i32_e64 s[2:3], s42, v7
	v_mov_b32_e32 v10, 0xff7fffff
	s_mul_i32 s14, s7, s14
	v_lshrrev_b32_e32 v3, 4, v0
	v_lshlrev_b32_e32 v8, 3, v7
	v_mbcnt_lo_u32_b32 v4, -1, 0
	s_and_saveexec_b64 s[36:37], s[2:3]
	s_cbranch_execz .LBB55_21
; %bb.10:
	s_load_dwordx2 s[4:5], s[4:5], 0x10
	s_ashr_i32 s15, s14, 31
	s_sub_i32 s34, s43, s17
	s_lshl_b64 s[6:7], s[14:15], 1
	v_bfe_u32 v5, v0, 3, 3
	s_waitcnt lgkmcnt(0)
	s_add_u32 s4, s4, s6
	s_addc_u32 s5, s5, s7
	s_abs_i32 s15, s18
	v_cvt_f32_u32_e32 v2, s15
	v_mov_b32_e32 v10, s5
	s_sub_i32 s5, 0, s15
	v_lshlrev_b32_e32 v9, 4, v5
	v_rcp_iflag_f32_e32 v2, v2
	v_lshlrev_b32_e32 v6, 1, v1
	s_lshl_b64 s[6:7], s[28:29], 2
	s_add_u32 s6, s26, s6
	v_mul_f32_e32 v2, 0x4f7ffffe, v2
	v_cvt_u32_f32_e32 v2, v2
	v_cmp_eq_u32_e32 vcc, 0, v1
	s_addc_u32 s7, s27, s7
	v_mbcnt_hi_u32_b32 v17, -1, v4
	v_mul_lo_u32 v11, s5, v2
	v_add_co_u32_e64 v9, s[4:5], s4, v9
	v_addc_co_u32_e64 v10, s[4:5], 0, v10, s[4:5]
	v_mul_hi_u32 v12, v2, v11
	v_add_co_u32_e64 v6, s[4:5], v9, v6
	v_addc_co_u32_e64 v9, s[4:5], 0, v10, s[4:5]
	v_subrev_u32_e32 v10, s21, v5
	v_add_u32_e32 v14, 1, v10
	v_lshlrev_b32_e32 v10, 2, v5
	v_lshlrev_b32_e32 v11, 4, v1
	v_and_b32_e32 v1, 60, v3
	v_lshl_or_b32 v10, v7, 5, v10
	v_add_u32_e32 v12, v2, v12
	v_mov_b32_e32 v2, s7
	v_add_co_u32_e64 v1, s[6:7], s6, v1
	v_add_u32_e32 v15, 0x90, v10
	v_and_b32_e32 v10, 64, v17
	s_mov_b32 s45, s13
	v_cmp_neq_f32_e64 s[4:5], s44, 0
	v_addc_co_u32_e64 v2, s[6:7], 0, v2, s[6:7]
	v_lshlrev_b32_e32 v13, 3, v7
	v_mov_b32_e32 v16, 0xff7fffff
	s_mov_b64 s[38:39], 0
	v_add_u32_e32 v18, 64, v10
	v_xor_b32_e32 v19, 4, v17
	v_xor_b32_e32 v20, 2, v17
	v_mov_b32_e32 v10, 0xff7fffff
	v_mov_b32_e32 v21, v7
	s_branch .LBB55_13
.LBB55_11:                              ;   in Loop: Header=BB55_13 Depth=1
	s_or_b64 exec, exec, s[40:41]
.LBB55_12:                              ;   in Loop: Header=BB55_13 Depth=1
	s_or_b64 exec, exec, s[10:11]
	v_add_co_u32_e64 v1, s[6:7], 8, v1
	v_add_u32_e32 v21, 2, v21
	v_addc_co_u32_e64 v2, s[6:7], 0, v2, s[6:7]
	v_cmp_le_i32_e64 s[6:7], s42, v21
	v_add_u32_e32 v13, 16, v13
	s_or_b64 s[38:39], s[6:7], s[38:39]
	v_add_u32_e32 v15, 64, v15
	s_andn2_b64 exec, exec, s[38:39]
	s_cbranch_execz .LBB55_20
.LBB55_13:                              ; =>This Inner Loop Header: Depth=1
	v_mul_hi_u32 v22, v13, s23
	s_waitcnt lgkmcnt(0)
	v_mul_lo_u32 v23, v22, s12
	v_add_u32_e32 v24, 1, v22
	v_sub_u32_e32 v23, v13, v23
	v_cmp_le_u32_e64 s[6:7], s12, v23
	v_cndmask_b32_e64 v22, v22, v24, s[6:7]
	v_subrev_u32_e32 v24, s12, v23
	v_cndmask_b32_e64 v23, v23, v24, s[6:7]
	v_add_u32_e32 v24, 1, v22
	v_cmp_le_u32_e64 s[6:7], s12, v23
	v_cndmask_b32_e64 v22, v22, v24, s[6:7]
	v_xor_b32_e32 v22, s19, v22
	v_subrev_u32_e32 v22, s19, v22
	v_add_u32_e32 v23, s33, v22
	v_sub_u32_e32 v24, 0, v23
	v_max_i32_e32 v24, v23, v24
	v_mul_hi_u32 v25, v24, v12
	v_ashrrev_i32_e32 v23, 31, v23
	v_cmp_ge_i32_e64 s[10:11], s34, v22
	v_mul_lo_u32 v25, v25, s15
	v_sub_u32_e32 v24, v24, v25
	v_subrev_u32_e32 v25, s15, v24
	v_cmp_le_u32_e64 s[6:7], s15, v24
	v_cndmask_b32_e64 v24, v24, v25, s[6:7]
	v_subrev_u32_e32 v25, s15, v24
	v_cmp_le_u32_e64 s[6:7], s15, v24
	v_cndmask_b32_e64 v24, v24, v25, s[6:7]
	v_xor_b32_e32 v24, v24, v23
	v_sub_u32_e32 v23, v24, v23
	v_cmp_ne_u32_e64 s[6:7], 0, v23
	s_and_b64 s[6:7], s[6:7], s[10:11]
	s_and_saveexec_b64 s[10:11], s[6:7]
	s_xor_b64 s[6:7], exec, s[10:11]
	s_cbranch_execz .LBB55_17
; %bb.14:                               ;   in Loop: Header=BB55_13 Depth=1
	s_and_saveexec_b64 s[10:11], vcc
; %bb.15:                               ;   in Loop: Header=BB55_13 Depth=1
	ds_write_b32 v15, v16
; %bb.16:                               ;   in Loop: Header=BB55_13 Depth=1
	s_or_b64 exec, exec, s[10:11]
.LBB55_17:                              ;   in Loop: Header=BB55_13 Depth=1
	s_andn2_saveexec_b64 s[10:11], s[6:7]
	s_cbranch_execz .LBB55_12
; %bb.18:                               ;   in Loop: Header=BB55_13 Depth=1
	global_load_dword v22, v[1:2], off
	s_waitcnt vmcnt(0)
	v_mad_i64_i32 v[22:23], s[6:7], v22, s45, 0
	v_lshlrev_b64 v[22:23], 1, v[22:23]
	v_add_co_u32_e64 v22, s[6:7], v6, v22
	v_addc_co_u32_e64 v23, s[6:7], v9, v23, s[6:7]
	global_load_ushort v24, v[22:23], off
	global_load_ushort v25, v[22:23], off offset:128
	global_load_ushort v27, v[22:23], off offset:256
	;; [unrolled: 1-line block ×7, first 2 shown]
	ds_read_u16 v22, v11
	s_waitcnt lgkmcnt(0)
	;;#ASMSTART
	v_cvt_f32_f16 v22, v22;
	;;#ASMEND
	v_cmp_lt_i32_e64 s[6:7], v19, v18
	v_cndmask_b32_e64 v32, v17, v19, s[6:7]
	v_lshlrev_b32_e32 v32, 2, v32
	v_cmp_lt_i32_e64 s[6:7], v20, v18
	s_waitcnt vmcnt(7)
	;;#ASMSTART
	v_cvt_f32_f16 v23, v24;
	;;#ASMEND
	ds_read_u16 v24, v11 offset:2
	s_waitcnt lgkmcnt(0)
	;;#ASMSTART
	v_cvt_f32_f16 v24, v24;
	;;#ASMEND
	s_waitcnt vmcnt(6)
	;;#ASMSTART
	v_cvt_f32_f16 v25, v25;
	;;#ASMEND
	v_mul_f32_e32 v24, v24, v25
	ds_read_u16 v26, v11 offset:4
	v_fmac_f32_e32 v24, v22, v23
	s_waitcnt lgkmcnt(0)
	;;#ASMSTART
	v_cvt_f32_f16 v26, v26;
	;;#ASMEND
	s_waitcnt vmcnt(5)
	;;#ASMSTART
	v_cvt_f32_f16 v27, v27;
	;;#ASMEND
	ds_read_u16 v28, v11 offset:6
	v_fmac_f32_e32 v24, v26, v27
	s_waitcnt lgkmcnt(0)
	;;#ASMSTART
	v_cvt_f32_f16 v28, v28;
	;;#ASMEND
	s_waitcnt vmcnt(4)
	;;#ASMSTART
	v_cvt_f32_f16 v29, v29;
	;;#ASMEND
	;; [unrolled: 10-line block ×4, first 2 shown]
	v_fmac_f32_e32 v24, v33, v34
	ds_read_u16 v37, v11 offset:12
	s_waitcnt lgkmcnt(0)
	;;#ASMSTART
	v_cvt_f32_f16 v22, v37;
	;;#ASMEND
	s_waitcnt vmcnt(1)
	;;#ASMSTART
	v_cvt_f32_f16 v23, v35;
	;;#ASMEND
	v_fmac_f32_e32 v24, v22, v23
	ds_read_u16 v25, v11 offset:14
	s_waitcnt lgkmcnt(0)
	;;#ASMSTART
	v_cvt_f32_f16 v22, v25;
	;;#ASMEND
	s_waitcnt vmcnt(0)
	;;#ASMSTART
	v_cvt_f32_f16 v23, v36;
	;;#ASMEND
	v_fmac_f32_e32 v24, v22, v23
	ds_bpermute_b32 v22, v32, v24
	v_cndmask_b32_e64 v23, v17, v20, s[6:7]
	v_lshlrev_b32_e32 v23, 2, v23
	s_waitcnt lgkmcnt(0)
	v_add_f32_e32 v22, v24, v22
	ds_bpermute_b32 v23, v23, v22
	v_xor_b32_e32 v24, 1, v17
	v_cmp_lt_i32_e64 s[6:7], v24, v18
	v_cndmask_b32_e64 v24, v17, v24, s[6:7]
	s_waitcnt lgkmcnt(0)
	v_add_f32_e32 v22, v22, v23
	v_lshlrev_b32_e32 v23, 2, v24
	ds_bpermute_b32 v23, v23, v22
	s_and_saveexec_b64 s[40:41], vcc
	s_cbranch_execz .LBB55_11
; %bb.19:                               ;   in Loop: Header=BB55_13 Depth=1
	v_add_u32_e32 v24, v14, v13
	v_cvt_f32_i32_e32 v24, v24
	s_waitcnt lgkmcnt(0)
	v_add_f32_e32 v22, v22, v23
	v_add_u32_e32 v25, v5, v13
	v_cmp_gt_i32_e64 s[6:7], s21, v25
	v_mul_f32_e32 v23, s44, v24
	v_cndmask_b32_e64 v23, 0, v23, s[4:5]
	v_fmac_f32_e32 v23, s35, v22
	v_cndmask_b32_e64 v22, 0, v23, s[6:7]
	ds_write_b32 v15, v22
	v_max_f32_e32 v22, v10, v10
	v_max_f32_e32 v22, v22, v23
	v_cndmask_b32_e64 v10, v10, v22, s[6:7]
	s_branch .LBB55_11
.LBB55_20:
	s_or_b64 exec, exec, s[38:39]
.LBB55_21:
	s_or_b64 exec, exec, s[36:37]
	v_mbcnt_hi_u32_b32 v1, -1, v4
	v_and_b32_e32 v13, 64, v1
	v_add_u32_e32 v2, 64, v13
	v_xor_b32_e32 v4, 32, v1
	v_cmp_lt_i32_e32 vcc, v4, v2
	v_cndmask_b32_e32 v4, v1, v4, vcc
	v_lshlrev_b32_e32 v5, 2, v4
	ds_bpermute_b32 v4, v5, v10
	v_xor_b32_e32 v9, 16, v1
	v_max_f32_e32 v6, v10, v10
	v_cmp_lt_i32_e32 vcc, v9, v2
	s_waitcnt lgkmcnt(0)
	v_max_f32_e32 v4, v4, v4
	v_max_f32_e32 v4, v6, v4
	v_cndmask_b32_e32 v6, v1, v9, vcc
	v_lshlrev_b32_e32 v10, 2, v6
	ds_bpermute_b32 v6, v10, v4
	v_xor_b32_e32 v9, 8, v1
	v_cmp_lt_i32_e32 vcc, v9, v2
	s_waitcnt lgkmcnt(0)
	v_max_f32_e32 v6, v6, v6
	v_max_f32_e32 v6, v4, v6
	v_cndmask_b32_e32 v4, v1, v9, vcc
	v_lshlrev_b32_e32 v12, 2, v4
	ds_bpermute_b32 v11, v12, v6
	v_and_b32_e32 v9, 63, v0
	v_cmp_eq_u32_e32 vcc, 0, v9
	v_lshlrev_b32_e32 v4, 2, v7
	s_and_saveexec_b64 s[4:5], vcc
	s_cbranch_execz .LBB55_23
; %bb.22:
	s_waitcnt lgkmcnt(0)
	v_max_f32_e32 v11, v11, v11
	v_max_f32_e32 v6, v6, v6
	;; [unrolled: 1-line block ×3, first 2 shown]
	ds_write_b32 v4, v6 offset:128
.LBB55_23:
	s_or_b64 exec, exec, s[4:5]
	v_cmp_gt_u32_e64 s[4:5], 2, v9
	v_mov_b32_e32 v14, 0xff7fffff
	v_lshlrev_b32_e32 v6, 2, v9
	s_waitcnt lgkmcnt(0)
	s_barrier
	s_and_saveexec_b64 s[6:7], s[4:5]
; %bb.24:
	ds_read_b32 v14, v6 offset:128
; %bb.25:
	s_or_b64 exec, exec, s[6:7]
	v_xor_b32_e32 v11, 1, v1
	v_cmp_lt_i32_e64 s[6:7], v11, v2
	v_cndmask_b32_e64 v11, v1, v11, s[6:7]
	v_lshlrev_b32_e32 v11, 2, v11
	s_waitcnt lgkmcnt(0)
	ds_bpermute_b32 v15, v11, v14
	v_max_f32_e32 v14, v14, v14
	v_lshlrev_b32_e32 v13, 2, v13
	s_lshl_b32 s6, s42, 3
	s_min_i32 s15, s6, s21
	s_waitcnt lgkmcnt(0)
	v_max_f32_e32 v15, v15, v15
	v_max_f32_e32 v14, v14, v15
	ds_bpermute_b32 v14, v13, v14
	v_cmp_gt_i32_e64 s[6:7], s15, v0
	v_mov_b32_e32 v13, 0
	s_and_saveexec_b64 s[34:35], s[6:7]
	s_cbranch_execz .LBB55_29
; %bb.26:
	v_mov_b32_e32 v13, 0x90
	v_lshl_add_u32 v15, v0, 2, v13
	v_mov_b32_e32 v13, 0
	s_mov_b64 s[36:37], 0
	v_mov_b32_e32 v16, v0
.LBB55_27:                              ; =>This Inner Loop Header: Depth=1
	ds_read_b32 v17, v15
	v_add_u32_e32 v16, 0x80, v16
	v_cmp_le_i32_e64 s[10:11], s15, v16
	s_or_b64 s[36:37], s[10:11], s[36:37]
	s_waitcnt lgkmcnt(0)
	v_sub_f32_e32 v17, v17, v14
	v_mul_f32_e32 v17, 0x3fb8aa3b, v17
	v_exp_f32_e32 v17, v17
	ds_write_b32 v15, v17
	v_add_f32_e32 v13, v13, v17
	v_add_u32_e32 v15, 0x200, v15
	s_andn2_b64 exec, exec, s[36:37]
	s_cbranch_execnz .LBB55_27
; %bb.28:
	s_or_b64 exec, exec, s[36:37]
.LBB55_29:
	s_or_b64 exec, exec, s[34:35]
	ds_bpermute_b32 v5, v5, v13
	s_waitcnt lgkmcnt(0)
	v_add_f32_e32 v5, v13, v5
	ds_bpermute_b32 v10, v10, v5
	s_waitcnt lgkmcnt(0)
	v_add_f32_e32 v5, v5, v10
	ds_bpermute_b32 v10, v12, v5
	v_xor_b32_e32 v12, 4, v1
	v_cmp_lt_i32_e64 s[10:11], v12, v2
	v_cndmask_b32_e64 v12, v1, v12, s[10:11]
	v_lshlrev_b32_e32 v12, 2, v12
	s_waitcnt lgkmcnt(0)
	v_add_f32_e32 v5, v5, v10
	ds_bpermute_b32 v10, v12, v5
	v_xor_b32_e32 v12, 2, v1
	v_cmp_lt_i32_e64 s[10:11], v12, v2
	v_cndmask_b32_e64 v2, v1, v12, s[10:11]
	v_lshlrev_b32_e32 v2, 2, v2
	s_waitcnt lgkmcnt(0)
	v_add_f32_e32 v5, v5, v10
	ds_bpermute_b32 v2, v2, v5
	s_waitcnt lgkmcnt(0)
	v_add_f32_e32 v2, v5, v2
	ds_bpermute_b32 v5, v11, v2
	s_waitcnt lgkmcnt(0)
	v_add_f32_e32 v2, v2, v5
	s_and_saveexec_b64 s[10:11], vcc
; %bb.30:
	ds_write_b32 v4, v2 offset:136
; %bb.31:
	s_or_b64 exec, exec, s[10:11]
	s_waitcnt lgkmcnt(0)
	s_barrier
	s_and_saveexec_b64 s[10:11], s[4:5]
; %bb.32:
	ds_read_b32 v2, v6 offset:136
; %bb.33:
	s_or_b64 exec, exec, s[10:11]
	s_waitcnt lgkmcnt(0)
	ds_bpermute_b32 v4, v11, v2
	v_lshlrev_b32_e32 v1, 2, v1
	v_and_b32_e32 v1, 0x100, v1
	s_waitcnt lgkmcnt(0)
	v_add_f32_e32 v2, v2, v4
	ds_bpermute_b32 v1, v1, v2
	s_and_saveexec_b64 s[4:5], s[6:7]
	s_cbranch_execz .LBB55_36
; %bb.34:
	s_waitcnt lgkmcnt(0)
	v_add_f32_e32 v2, 0x358637bd, v1
	v_div_scale_f32 v1, s[6:7], v2, v2, 1.0
	v_div_scale_f32 v4, vcc, 1.0, v2, 1.0
	s_mov_b64 s[6:7], 0
	v_rcp_f32_e32 v5, v1
	v_fma_f32 v6, -v1, v5, 1.0
	v_fmac_f32_e32 v5, v6, v5
	v_mul_f32_e32 v6, v4, v5
	v_fma_f32 v10, -v1, v6, v4
	v_fmac_f32_e32 v6, v10, v5
	v_fma_f32 v1, -v1, v6, v4
	v_div_fmas_f32 v4, v1, v5, v6
	v_mov_b32_e32 v1, 0x90
	v_lshl_add_u32 v1, v0, 2, v1
	v_div_fixup_f32 v2, v4, v2, 1.0
	v_mov_b32_e32 v4, v0
.LBB55_35:                              ; =>This Inner Loop Header: Depth=1
	ds_read_b32 v5, v1
	v_add_u32_e32 v4, 0x80, v4
	v_cmp_le_i32_e32 vcc, s15, v4
	s_or_b64 s[6:7], vcc, s[6:7]
	s_waitcnt lgkmcnt(0)
	v_mul_f32_e32 v5, v2, v5
	ds_write_b32 v1, v5
	v_add_u32_e32 v1, 0x200, v1
	s_andn2_b64 exec, exec, s[6:7]
	s_cbranch_execnz .LBB55_35
.LBB55_36:
	s_or_b64 exec, exec, s[4:5]
	v_mov_b32_e32 v10, 0
	s_waitcnt lgkmcnt(0)
	s_barrier
	s_and_saveexec_b64 s[4:5], s[2:3]
	s_cbranch_execz .LBB55_44
; %bb.37:
	s_ashr_i32 s15, s14, 31
	s_sub_i32 s17, s43, s17
	s_lshl_b64 s[2:3], s[14:15], 1
	s_add_u32 s6, s30, s2
	s_addc_u32 s7, s31, s3
	s_abs_i32 s14, s18
	v_cvt_f32_u32_e32 v1, s14
	s_sub_i32 s2, 0, s14
	v_lshlrev_b32_e32 v2, 4, v9
	s_add_i32 s15, s42, -1
	v_rcp_iflag_f32_e32 v1, v1
	v_mov_b32_e32 v5, s7
	v_add_co_u32_e32 v12, vcc, s6, v2
	v_mul_f32_e32 v1, 0x4f7ffffe, v1
	v_cvt_u32_f32_e32 v1, v1
	v_and_b32_e32 v3, 60, v3
	v_addc_co_u32_e32 v13, vcc, 0, v5, vcc
	v_mul_lo_u32 v4, s2, v1
	s_lshl_b64 s[2:3], s[28:29], 2
	s_add_u32 s2, s26, s2
	s_addc_u32 s3, s27, s3
	v_mul_hi_u32 v4, v1, v4
	v_add_co_u32_e32 v5, vcc, s2, v3
	v_mov_b32_e32 v11, 0
	v_add_u32_e32 v14, v1, v4
	v_mov_b32_e32 v1, s3
	v_addc_co_u32_e32 v6, vcc, 0, v1, vcc
	v_mov_b32_e32 v1, 0x90
	v_lshl_add_u32 v15, v7, 5, v1
	s_mov_b64 s[6:7], 0
	s_mov_b32 s18, 0xffff
	v_mov_b32_e32 v10, 0
	s_branch .LBB55_40
.LBB55_38:                              ;   in Loop: Header=BB55_40 Depth=1
	s_or_b64 exec, exec, s[10:11]
	v_and_b32_e32 v16, 0xffff, v16
	v_lshl_or_b32 v16, v17, 16, v16
	v_and_b32_e32 v17, 0xffff, v18
	v_and_b32_e32 v18, 0xffff, v20
	v_lshlrev_b32_e32 v20, 16, v26
	v_and_or_b32 v1, v1, s18, v20
	v_lshlrev_b32_e32 v20, 16, v25
	v_and_or_b32 v2, v2, s18, v20
	v_lshlrev_b32_e32 v20, 16, v24
	v_lshl_or_b32 v17, v19, 16, v17
	v_and_b32_e32 v19, 0xffff, v22
	v_and_or_b32 v3, v3, s18, v20
	;;#ASMSTART
	v_pk_mul_f16 v1, v16, v1;

	;;#ASMEND
	v_lshl_or_b32 v18, v21, 16, v18
	v_lshl_or_b32 v19, v23, 16, v19
	;;#ASMSTART
	v_pk_mul_f16 v2, v17, v2;

	;;#ASMEND
	;;#ASMSTART
	v_pk_mul_f16 v3, v18, v3;

	;;#ASMEND
	;; [unrolled: 4-line block ×3, first 2 shown]
	;;#ASMSTART
	v_pk_add_f16 v1, v1, v2;

	;;#ASMEND
	;;#ASMSTART
	v_pk_add_f16 v1, v1, v3;

	;;#ASMEND
	;; [unrolled: 4-line block ×3, first 2 shown]
	v_lshrrev_b32_e32 v2, 16, v1
	v_and_b32_e32 v1, 0xffff, v1
	;;#ASMSTART
	v_cvt_f32_f16 v1, v1;
	;;#ASMEND
	;;#ASMSTART
	v_cvt_f32_f16 v2, v2;
	;;#ASMEND
	v_add_f32_e32 v1, v1, v2
	v_add_f32_e32 v10, v10, v1
.LBB55_39:                              ;   in Loop: Header=BB55_40 Depth=1
	s_or_b64 exec, exec, s[2:3]
	v_add_co_u32_e32 v5, vcc, 8, v5
	v_add_u32_e32 v7, 2, v7
	v_addc_co_u32_e32 v6, vcc, 0, v6, vcc
	v_cmp_le_i32_e32 vcc, s42, v7
	v_add_u32_e32 v8, 16, v8
	s_or_b64 s[6:7], vcc, s[6:7]
	v_add_u32_e32 v15, 64, v15
	s_andn2_b64 exec, exec, s[6:7]
	s_cbranch_execz .LBB55_43
.LBB55_40:                              ; =>This Inner Loop Header: Depth=1
	v_mul_hi_u32 v1, v8, s23
	v_mul_lo_u32 v2, v1, s12
	v_add_u32_e32 v3, 1, v1
	v_sub_u32_e32 v2, v8, v2
	v_cmp_le_u32_e32 vcc, s12, v2
	v_cndmask_b32_e32 v1, v1, v3, vcc
	v_subrev_u32_e32 v3, s12, v2
	v_cndmask_b32_e32 v2, v2, v3, vcc
	v_add_u32_e32 v3, 1, v1
	v_cmp_le_u32_e32 vcc, s12, v2
	v_cndmask_b32_e32 v1, v1, v3, vcc
	v_xor_b32_e32 v1, s19, v1
	v_subrev_u32_e32 v1, s19, v1
	v_add_u32_e32 v2, s33, v1
	v_sub_u32_e32 v3, 0, v2
	v_max_i32_e32 v3, v2, v3
	v_mul_hi_u32 v4, v3, v14
	v_ashrrev_i32_e32 v2, 31, v2
	v_cmp_lt_i32_e64 s[2:3], s17, v1
	v_mul_lo_u32 v4, v4, s14
	v_sub_u32_e32 v3, v3, v4
	v_subrev_u32_e32 v4, s14, v3
	v_cmp_le_u32_e32 vcc, s14, v3
	v_cndmask_b32_e32 v3, v3, v4, vcc
	v_subrev_u32_e32 v4, s14, v3
	v_cmp_le_u32_e32 vcc, s14, v3
	v_cndmask_b32_e32 v3, v3, v4, vcc
	v_xor_b32_e32 v3, v3, v2
	v_sub_u32_e32 v2, v3, v2
	v_cmp_eq_u32_e32 vcc, 0, v2
	s_or_b64 s[10:11], vcc, s[2:3]
	s_and_saveexec_b64 s[2:3], s[10:11]
	s_cbranch_execz .LBB55_39
; %bb.41:                               ;   in Loop: Header=BB55_40 Depth=1
	global_load_dword v24, v[5:6], off
	ds_read2_b64 v[1:4], v15 offset1:1
	ds_read2_b64 v[20:23], v15 offset0:2 offset1:3
	s_waitcnt lgkmcnt(1)
	;;#ASMSTART
	v_cvt_f16_f32 v16, v1;

	;;#ASMEND
	;;#ASMSTART
	v_cvt_f16_f32 v17, v2;

	;;#ASMEND
	;; [unrolled: 4-line block ×4, first 2 shown]
	s_waitcnt lgkmcnt(0)
	;;#ASMSTART
	v_cvt_f16_f32 v20, v20;

	;;#ASMEND
	;;#ASMSTART
	v_cvt_f16_f32 v21, v21;

	;;#ASMEND
	;; [unrolled: 4-line block ×4, first 2 shown]
	s_waitcnt vmcnt(0)
	v_mad_i64_i32 v[1:2], s[10:11], v24, s13, 0
	v_lshlrev_b64 v[1:2], 1, v[1:2]
	v_add_co_u32_e32 v1, vcc, v12, v1
	v_addc_co_u32_e32 v2, vcc, v13, v2, vcc
	global_load_dwordx4 v[1:4], v[1:2], off
	v_cmp_eq_u32_e32 vcc, s15, v7
	s_waitcnt vmcnt(0)
	v_lshrrev_b32_e32 v26, 16, v1
	v_lshrrev_b32_e32 v25, 16, v2
	;; [unrolled: 1-line block ×3, first 2 shown]
	s_and_saveexec_b64 s[10:11], vcc
	s_cbranch_execz .LBB55_38
; %bb.42:                               ;   in Loop: Header=BB55_40 Depth=1
	v_cmp_gt_i32_e32 vcc, s21, v8
	v_add_u32_e32 v27, 1, v8
	v_cndmask_b32_e32 v1, 0, v1, vcc
	v_cmp_gt_i32_e32 vcc, s21, v27
	v_add_u32_e32 v27, 2, v8
	v_cndmask_b32_e32 v26, 0, v26, vcc
	;; [unrolled: 3-line block ×6, first 2 shown]
	v_cmp_gt_i32_e32 vcc, s21, v27
	v_add_u32_e32 v28, 7, v8
	v_cndmask_b32_sdwa v27, v11, v4, vcc dst_sel:DWORD dst_unused:UNUSED_PAD src0_sel:DWORD src1_sel:WORD_0
	v_and_b32_e32 v4, 0xffff0000, v4
	v_cmp_gt_i32_e32 vcc, s21, v28
	v_cndmask_b32_e32 v4, 0, v4, vcc
	v_or_b32_e32 v4, v27, v4
	s_branch .LBB55_38
.LBB55_43:
	s_or_b64 exec, exec, s[6:7]
.LBB55_44:
	s_or_b64 exec, exec, s[4:5]
	v_and_b32_e32 v0, 0x3c0, v0
	v_cmp_eq_u32_e32 vcc, 64, v0
	v_mov_b32_e32 v0, 0x90
	v_lshl_add_u32 v0, v9, 2, v0
	s_barrier
	s_and_saveexec_b64 s[2:3], vcc
; %bb.45:
	ds_write_b32 v0, v10
; %bb.46:
	s_or_b64 exec, exec, s[2:3]
	s_waitcnt lgkmcnt(0)
	s_barrier
	s_and_saveexec_b64 s[2:3], s[0:1]
	s_cbranch_execz .LBB55_48
; %bb.47:
	ds_read_b32 v0, v0
	s_waitcnt lgkmcnt(0)
	v_add_f32_e32 v10, v10, v0
.LBB55_48:
	s_or_b64 exec, exec, s[2:3]
	s_barrier
	s_and_saveexec_b64 s[2:3], s[0:1]
	s_cbranch_execz .LBB55_50
; %bb.49:
	s_mul_i32 s0, s20, s16
	s_mul_i32 s0, s0, s9
	s_lshl_b32 s0, s0, 6
	s_ashr_i32 s1, s0, 31
	s_lshl_b64 s[0:1], s[0:1], 1
	s_add_u32 s2, s24, s0
	s_mul_i32 s0, s16, s22
	s_addc_u32 s3, s25, s1
	s_ashr_i32 s1, s0, 31
	s_lshl_b64 s[0:1], s[0:1], 1
	s_add_u32 s2, s2, s0
	s_addc_u32 s3, s3, s1
	s_lshl_b32 s0, s8, 6
	s_ashr_i32 s1, s0, 31
	s_lshl_b64 s[0:1], s[0:1], 1
	s_add_u32 s0, s2, s0
	s_addc_u32 s1, s3, s1
	v_lshlrev_b32_e32 v0, 1, v9
	;;#ASMSTART
	v_cvt_f16_f32 v1, v10;

	;;#ASMEND
	global_store_short v0, v1, s[0:1]
.LBB55_50:
	s_endpgm
	.section	.rodata,"a",@progbits
	.p2align	6, 0x0
	.amdhsa_kernel _ZN4vllm25paged_attention_v1_kernelIttLi64ELi8ELi128ELNS_18Fp8KVCacheDataTypeE0ELb1EEEvPT_PKS2_PKT0_S8_ifPKiSA_iPKfiiiSC_SC_iiiii
		.amdhsa_group_segment_fixed_size 144
		.amdhsa_private_segment_fixed_size 0
		.amdhsa_kernarg_size 384
		.amdhsa_user_sgpr_count 6
		.amdhsa_user_sgpr_private_segment_buffer 1
		.amdhsa_user_sgpr_dispatch_ptr 0
		.amdhsa_user_sgpr_queue_ptr 0
		.amdhsa_user_sgpr_kernarg_segment_ptr 1
		.amdhsa_user_sgpr_dispatch_id 0
		.amdhsa_user_sgpr_flat_scratch_init 0
		.amdhsa_user_sgpr_private_segment_size 0
		.amdhsa_uses_dynamic_stack 0
		.amdhsa_system_sgpr_private_segment_wavefront_offset 0
		.amdhsa_system_sgpr_workgroup_id_x 1
		.amdhsa_system_sgpr_workgroup_id_y 1
		.amdhsa_system_sgpr_workgroup_id_z 1
		.amdhsa_system_sgpr_workgroup_info 0
		.amdhsa_system_vgpr_workitem_id 0
		.amdhsa_next_free_vgpr 38
		.amdhsa_next_free_sgpr 46
		.amdhsa_reserve_vcc 1
		.amdhsa_reserve_flat_scratch 0
		.amdhsa_float_round_mode_32 0
		.amdhsa_float_round_mode_16_64 0
		.amdhsa_float_denorm_mode_32 3
		.amdhsa_float_denorm_mode_16_64 3
		.amdhsa_dx10_clamp 1
		.amdhsa_ieee_mode 1
		.amdhsa_fp16_overflow 0
		.amdhsa_exception_fp_ieee_invalid_op 0
		.amdhsa_exception_fp_denorm_src 0
		.amdhsa_exception_fp_ieee_div_zero 0
		.amdhsa_exception_fp_ieee_overflow 0
		.amdhsa_exception_fp_ieee_underflow 0
		.amdhsa_exception_fp_ieee_inexact 0
		.amdhsa_exception_int_div_zero 0
	.end_amdhsa_kernel
	.section	.text._ZN4vllm25paged_attention_v1_kernelIttLi64ELi8ELi128ELNS_18Fp8KVCacheDataTypeE0ELb1EEEvPT_PKS2_PKT0_S8_ifPKiSA_iPKfiiiSC_SC_iiiii,"axG",@progbits,_ZN4vllm25paged_attention_v1_kernelIttLi64ELi8ELi128ELNS_18Fp8KVCacheDataTypeE0ELb1EEEvPT_PKS2_PKT0_S8_ifPKiSA_iPKfiiiSC_SC_iiiii,comdat
.Lfunc_end55:
	.size	_ZN4vllm25paged_attention_v1_kernelIttLi64ELi8ELi128ELNS_18Fp8KVCacheDataTypeE0ELb1EEEvPT_PKS2_PKT0_S8_ifPKiSA_iPKfiiiSC_SC_iiiii, .Lfunc_end55-_ZN4vllm25paged_attention_v1_kernelIttLi64ELi8ELi128ELNS_18Fp8KVCacheDataTypeE0ELb1EEEvPT_PKS2_PKT0_S8_ifPKiSA_iPKfiiiSC_SC_iiiii
                                        ; -- End function
	.set _ZN4vllm25paged_attention_v1_kernelIttLi64ELi8ELi128ELNS_18Fp8KVCacheDataTypeE0ELb1EEEvPT_PKS2_PKT0_S8_ifPKiSA_iPKfiiiSC_SC_iiiii.num_vgpr, 38
	.set _ZN4vllm25paged_attention_v1_kernelIttLi64ELi8ELi128ELNS_18Fp8KVCacheDataTypeE0ELb1EEEvPT_PKS2_PKT0_S8_ifPKiSA_iPKfiiiSC_SC_iiiii.num_agpr, 0
	.set _ZN4vllm25paged_attention_v1_kernelIttLi64ELi8ELi128ELNS_18Fp8KVCacheDataTypeE0ELb1EEEvPT_PKS2_PKT0_S8_ifPKiSA_iPKfiiiSC_SC_iiiii.numbered_sgpr, 46
	.set _ZN4vllm25paged_attention_v1_kernelIttLi64ELi8ELi128ELNS_18Fp8KVCacheDataTypeE0ELb1EEEvPT_PKS2_PKT0_S8_ifPKiSA_iPKfiiiSC_SC_iiiii.num_named_barrier, 0
	.set _ZN4vllm25paged_attention_v1_kernelIttLi64ELi8ELi128ELNS_18Fp8KVCacheDataTypeE0ELb1EEEvPT_PKS2_PKT0_S8_ifPKiSA_iPKfiiiSC_SC_iiiii.private_seg_size, 0
	.set _ZN4vllm25paged_attention_v1_kernelIttLi64ELi8ELi128ELNS_18Fp8KVCacheDataTypeE0ELb1EEEvPT_PKS2_PKT0_S8_ifPKiSA_iPKfiiiSC_SC_iiiii.uses_vcc, 1
	.set _ZN4vllm25paged_attention_v1_kernelIttLi64ELi8ELi128ELNS_18Fp8KVCacheDataTypeE0ELb1EEEvPT_PKS2_PKT0_S8_ifPKiSA_iPKfiiiSC_SC_iiiii.uses_flat_scratch, 0
	.set _ZN4vllm25paged_attention_v1_kernelIttLi64ELi8ELi128ELNS_18Fp8KVCacheDataTypeE0ELb1EEEvPT_PKS2_PKT0_S8_ifPKiSA_iPKfiiiSC_SC_iiiii.has_dyn_sized_stack, 0
	.set _ZN4vllm25paged_attention_v1_kernelIttLi64ELi8ELi128ELNS_18Fp8KVCacheDataTypeE0ELb1EEEvPT_PKS2_PKT0_S8_ifPKiSA_iPKfiiiSC_SC_iiiii.has_recursion, 0
	.set _ZN4vllm25paged_attention_v1_kernelIttLi64ELi8ELi128ELNS_18Fp8KVCacheDataTypeE0ELb1EEEvPT_PKS2_PKT0_S8_ifPKiSA_iPKfiiiSC_SC_iiiii.has_indirect_call, 0
	.section	.AMDGPU.csdata,"",@progbits
; Kernel info:
; codeLenInByte = 3768
; TotalNumSgprs: 50
; NumVgprs: 38
; ScratchSize: 0
; MemoryBound: 0
; FloatMode: 240
; IeeeMode: 1
; LDSByteSize: 144 bytes/workgroup (compile time only)
; SGPRBlocks: 6
; VGPRBlocks: 9
; NumSGPRsForWavesPerEU: 50
; NumVGPRsForWavesPerEU: 38
; Occupancy: 6
; WaveLimiterHint : 1
; COMPUTE_PGM_RSRC2:SCRATCH_EN: 0
; COMPUTE_PGM_RSRC2:USER_SGPR: 6
; COMPUTE_PGM_RSRC2:TRAP_HANDLER: 0
; COMPUTE_PGM_RSRC2:TGID_X_EN: 1
; COMPUTE_PGM_RSRC2:TGID_Y_EN: 1
; COMPUTE_PGM_RSRC2:TGID_Z_EN: 1
; COMPUTE_PGM_RSRC2:TIDIG_COMP_CNT: 0
	.section	.text._ZN4vllm25paged_attention_v1_kernelIttLi80ELi8ELi128ELNS_18Fp8KVCacheDataTypeE0ELb1EEEvPT_PKS2_PKT0_S8_ifPKiSA_iPKfiiiSC_SC_iiiii,"axG",@progbits,_ZN4vllm25paged_attention_v1_kernelIttLi80ELi8ELi128ELNS_18Fp8KVCacheDataTypeE0ELb1EEEvPT_PKS2_PKT0_S8_ifPKiSA_iPKfiiiSC_SC_iiiii,comdat
	.protected	_ZN4vllm25paged_attention_v1_kernelIttLi80ELi8ELi128ELNS_18Fp8KVCacheDataTypeE0ELb1EEEvPT_PKS2_PKT0_S8_ifPKiSA_iPKfiiiSC_SC_iiiii ; -- Begin function _ZN4vllm25paged_attention_v1_kernelIttLi80ELi8ELi128ELNS_18Fp8KVCacheDataTypeE0ELb1EEEvPT_PKS2_PKT0_S8_ifPKiSA_iPKfiiiSC_SC_iiiii
	.globl	_ZN4vllm25paged_attention_v1_kernelIttLi80ELi8ELi128ELNS_18Fp8KVCacheDataTypeE0ELb1EEEvPT_PKS2_PKT0_S8_ifPKiSA_iPKfiiiSC_SC_iiiii
	.p2align	8
	.type	_ZN4vllm25paged_attention_v1_kernelIttLi80ELi8ELi128ELNS_18Fp8KVCacheDataTypeE0ELb1EEEvPT_PKS2_PKT0_S8_ifPKiSA_iPKfiiiSC_SC_iiiii,@function
_ZN4vllm25paged_attention_v1_kernelIttLi80ELi8ELi128ELNS_18Fp8KVCacheDataTypeE0ELb1EEEvPT_PKS2_PKT0_S8_ifPKiSA_iPKfiiiSC_SC_iiiii: ; @_ZN4vllm25paged_attention_v1_kernelIttLi80ELi8ELi128ELNS_18Fp8KVCacheDataTypeE0ELb1EEEvPT_PKS2_PKT0_S8_ifPKiSA_iPKfiiiSC_SC_iiiii
; %bb.0:
	s_load_dword s9, s[4:5], 0x80
	s_load_dwordx2 s[0:1], s[4:5], 0x30
	s_load_dwordx2 s[34:35], s[4:5], 0x20
	s_mov_b32 s20, s7
	s_ashr_i32 s21, s7, 31
	s_lshl_b64 s[2:3], s[20:21], 2
	s_waitcnt lgkmcnt(0)
	s_add_u32 s0, s0, s2
	s_addc_u32 s1, s1, s3
	s_abs_i32 s2, s34
	v_cvt_f32_u32_e32 v1, s2
	s_sub_i32 s10, 0, s2
	s_abs_i32 s7, s9
	s_xor_b32 s3, s9, s34
	v_rcp_iflag_f32_e32 v1, v1
	s_ashr_i32 s3, s3, 31
	s_mov_b32 s45, 0
	v_mul_f32_e32 v1, 0x4f7ffffe, v1
	v_cvt_u32_f32_e32 v1, v1
	v_readfirstlane_b32 s11, v1
	s_mul_i32 s10, s10, s11
	s_mul_hi_u32 s10, s11, s10
	s_add_i32 s11, s11, s10
	s_mul_hi_u32 s10, s7, s11
	s_mul_i32 s11, s10, s2
	s_sub_i32 s7, s7, s11
	s_add_i32 s11, s10, 1
	s_sub_i32 s12, s7, s2
	s_cmp_ge_u32 s7, s2
	s_cselect_b32 s10, s11, s10
	s_cselect_b32 s7, s12, s7
	s_add_i32 s11, s10, 1
	s_cmp_ge_u32 s7, s2
	s_cselect_b32 s2, s11, s10
	s_xor_b32 s2, s2, s3
	s_sub_i32 s11, s2, s3
	s_abs_i32 s10, s11
	v_cvt_f32_u32_e32 v1, s10
	s_load_dwordx2 s[2:3], s[4:5], 0x40
	s_sub_i32 s7, 0, s10
	s_abs_i32 s24, s6
	v_rcp_iflag_f32_e32 v1, v1
	v_mul_f32_e32 v1, 0x4f7ffffe, v1
	v_cvt_u32_f32_e32 v1, v1
	v_readfirstlane_b32 s12, v1
	s_mul_i32 s7, s7, s12
	s_mul_hi_u32 s7, s12, s7
	s_add_i32 s12, s12, s7
	s_waitcnt lgkmcnt(0)
	s_cmp_eq_u64 s[2:3], 0
	s_mul_hi_u32 s25, s24, s12
	s_cbranch_scc1 .LBB56_2
; %bb.1:
	s_ashr_i32 s7, s6, 31
	s_lshl_b64 s[12:13], s[6:7], 2
	s_add_u32 s2, s2, s12
	s_addc_u32 s3, s3, s13
	s_load_dword s45, s[2:3], 0x0
.LBB56_2:
	s_load_dword s21, s[0:1], 0x0
	s_load_dwordx4 s[12:15], s[4:5], 0x48
	s_movk_i32 s0, 0x50
	s_ashr_i32 s7, s6, 31
	s_ashr_i32 s26, s11, 31
	v_and_b32_e32 v1, 7, v0
	s_mul_i32 s22, s6, 0x50
	v_cmp_gt_u32_e64 s[0:1], s0, v0
	v_lshlrev_b32_e32 v7, 1, v0
	s_and_saveexec_b64 s[2:3], s[0:1]
	s_cbranch_execz .LBB56_4
; %bb.3:
	s_load_dwordx2 s[16:17], s[4:5], 0x8
	s_waitcnt lgkmcnt(0)
	s_mul_i32 s18, s12, s20
	s_ashr_i32 s19, s18, 31
	s_lshl_b64 s[18:19], s[18:19], 1
	v_lshrrev_b32_e32 v3, 2, v0
	s_add_u32 s11, s16, s18
	s_addc_u32 s12, s17, s19
	s_ashr_i32 s23, s22, 31
	s_lshl_b64 s[16:17], s[22:23], 1
	s_add_u32 s16, s11, s16
	s_addc_u32 s17, s12, s17
	global_load_ushort v2, v7, s[16:17]
	v_and_b32_e32 v3, 0xfe, v3
	v_mad_u32_u24 v3, v1, 20, v3
	s_waitcnt vmcnt(0)
	ds_write_b16 v3, v2
.LBB56_4:
	s_or_b64 exec, exec, s[2:3]
	s_mul_i32 s3, s25, s10
	s_sub_i32 s3, s24, s3
	s_xor_b32 s2, s7, s26
	s_add_i32 s7, s25, 1
	s_waitcnt lgkmcnt(0)
	s_sub_i32 s12, s3, s10
	s_load_dwordx4 s[16:19], s[4:5], 0x68
	s_load_dword s11, s[4:5], 0x78
	s_cmp_ge_u32 s3, s10
	s_cselect_b32 s7, s7, s25
	s_cselect_b32 s3, s12, s3
	s_add_i32 s12, s7, 1
	s_cmp_ge_u32 s3, s10
	s_cselect_b32 s3, s12, s7
	s_waitcnt lgkmcnt(0)
	s_abs_i32 s23, s19
	v_cvt_f32_u32_e32 v2, s23
	s_xor_b32 s3, s3, s2
	s_sub_i32 s7, s3, s2
	s_sub_i32 s2, 0, s23
	v_rcp_iflag_f32_e32 v2, v2
	s_add_i32 s15, s21, -1
	s_abs_i32 s10, s15
	v_mul_f32_e32 v2, 0x4f7ffffe, v2
	v_cvt_u32_f32_e32 v2, v2
	s_barrier
	v_readfirstlane_b32 s33, v2
	s_mul_i32 s2, s2, s33
	s_mul_hi_u32 s2, s33, s2
	s_add_i32 s33, s33, s2
	s_cmp_lt_i32 s11, 0
	s_mul_hi_u32 s12, s10, s33
	s_cbranch_scc0 .LBB56_6
; %bb.5:
	s_mul_i32 s2, s16, s34
	s_add_i32 s2, s7, s2
	s_mul_i32 s2, s2, s11
	s_sub_i32 s42, 1, s2
	s_mov_b64 s[2:3], 0
	s_branch .LBB56_7
.LBB56_6:
	s_mov_b64 s[2:3], -1
                                        ; implicit-def: $sgpr42
.LBB56_7:
	s_load_dwordx2 s[26:27], s[4:5], 0x28
	s_ashr_i32 s15, s15, 31
	s_andn2_b64 vcc, exec, s[2:3]
	s_ashr_i32 s43, s19, 31
	s_cbranch_vccnz .LBB56_9
; %bb.8:
	s_mul_i32 s2, s9, s16
	s_add_i32 s2, s2, s6
	s_mul_i32 s2, s2, s11
	s_add_i32 s42, s2, 1
.LBB56_9:
	s_load_dword s2, s[4:5], 0x38
	s_load_dwordx2 s[24:25], s[4:5], 0x0
	s_load_dwordx2 s[30:31], s[4:5], 0x18
	s_load_dword s19, s[4:5], 0x88
	s_xor_b32 s3, s15, s43
	s_waitcnt lgkmcnt(0)
	s_mul_i32 s28, s2, s20
	s_mul_i32 s2, s12, s23
	s_sub_i32 s2, s10, s2
	s_ashr_i32 s29, s28, 31
	s_add_i32 s6, s12, 1
	s_sub_i32 s10, s2, s23
	s_cmp_ge_u32 s2, s23
	s_cselect_b32 s6, s6, s12
	s_cselect_b32 s2, s10, s2
	s_add_i32 s10, s6, 1
	s_cmp_ge_u32 s2, s23
	s_cselect_b32 s2, s10, s6
	s_xor_b32 s2, s2, s3
	s_sub_i32 s12, s2, s3
	s_add_i32 s2, s21, 7
	s_ashr_i32 s3, s2, 31
	s_lshr_b32 s3, s3, 29
	s_add_i32 s2, s2, s3
	s_ashr_i32 s44, s2, 3
	v_lshrrev_b32_e32 v8, 6, v0
	v_cmp_gt_i32_e64 s[2:3], s44, v8
	v_mov_b32_e32 v11, 0xff7fffff
	s_mul_i32 s14, s7, s14
	v_lshrrev_b32_e32 v3, 4, v0
	v_lshlrev_b32_e32 v9, 3, v8
	v_mbcnt_lo_u32_b32 v4, -1, 0
	s_and_saveexec_b64 s[36:37], s[2:3]
	s_cbranch_execz .LBB56_21
; %bb.10:
	s_load_dwordx2 s[4:5], s[4:5], 0x10
	s_ashr_i32 s15, s14, 31
	s_sub_i32 s16, s12, s17
	s_lshl_b64 s[6:7], s[14:15], 1
	v_bfe_u32 v5, v0, 3, 3
	s_waitcnt lgkmcnt(0)
	s_add_u32 s4, s4, s6
	s_addc_u32 s5, s5, s7
	s_abs_i32 s15, s18
	v_cvt_f32_u32_e32 v2, s15
	v_mov_b32_e32 v11, s5
	s_sub_i32 s5, 0, s15
	v_lshlrev_b32_e32 v10, 4, v5
	v_rcp_iflag_f32_e32 v2, v2
	v_lshlrev_b32_e32 v6, 1, v1
	s_lshl_b64 s[6:7], s[28:29], 2
	s_add_u32 s6, s26, s6
	v_mul_f32_e32 v2, 0x4f7ffffe, v2
	v_cvt_u32_f32_e32 v2, v2
	v_cmp_eq_u32_e32 vcc, 0, v1
	s_addc_u32 s7, s27, s7
	v_mbcnt_hi_u32_b32 v18, -1, v4
	v_mul_lo_u32 v12, s5, v2
	v_add_co_u32_e64 v10, s[4:5], s4, v10
	v_addc_co_u32_e64 v11, s[4:5], 0, v11, s[4:5]
	v_mul_hi_u32 v13, v2, v12
	v_add_co_u32_e64 v6, s[4:5], v10, v6
	v_addc_co_u32_e64 v10, s[4:5], 0, v11, s[4:5]
	v_subrev_u32_e32 v11, s21, v5
	v_add_u32_e32 v15, 1, v11
	v_lshlrev_b32_e32 v11, 2, v5
	v_mul_u32_u24_e32 v12, 20, v1
	v_and_b32_e32 v1, 60, v3
	v_lshl_or_b32 v11, v8, 5, v11
	v_add_u32_e32 v13, v2, v13
	v_mov_b32_e32 v2, s7
	v_add_co_u32_e64 v1, s[6:7], s6, v1
	v_add_u32_e32 v16, 0xb0, v11
	v_and_b32_e32 v11, 64, v18
	s_mov_b32 s34, s13
	v_cmp_neq_f32_e64 s[4:5], s45, 0
	v_addc_co_u32_e64 v2, s[6:7], 0, v2, s[6:7]
	v_lshlrev_b32_e32 v14, 3, v8
	v_mov_b32_e32 v17, 0xff7fffff
	s_mov_b64 s[38:39], 0
	v_add_u32_e32 v19, 64, v11
	v_xor_b32_e32 v20, 4, v18
	v_xor_b32_e32 v21, 2, v18
	v_mov_b32_e32 v11, 0xff7fffff
	v_mov_b32_e32 v22, v8
	s_branch .LBB56_13
.LBB56_11:                              ;   in Loop: Header=BB56_13 Depth=1
	s_or_b64 exec, exec, s[40:41]
.LBB56_12:                              ;   in Loop: Header=BB56_13 Depth=1
	s_or_b64 exec, exec, s[10:11]
	v_add_co_u32_e64 v1, s[6:7], 8, v1
	v_add_u32_e32 v22, 2, v22
	v_addc_co_u32_e64 v2, s[6:7], 0, v2, s[6:7]
	v_cmp_le_i32_e64 s[6:7], s44, v22
	v_add_u32_e32 v14, 16, v14
	s_or_b64 s[38:39], s[6:7], s[38:39]
	v_add_u32_e32 v16, 64, v16
	s_andn2_b64 exec, exec, s[38:39]
	s_cbranch_execz .LBB56_20
.LBB56_13:                              ; =>This Inner Loop Header: Depth=1
	v_mul_hi_u32 v23, v14, s33
	s_waitcnt lgkmcnt(0)
	v_mul_lo_u32 v24, v23, s23
	v_add_u32_e32 v25, 1, v23
	v_sub_u32_e32 v24, v14, v24
	v_cmp_le_u32_e64 s[6:7], s23, v24
	v_cndmask_b32_e64 v23, v23, v25, s[6:7]
	v_subrev_u32_e32 v25, s23, v24
	v_cndmask_b32_e64 v24, v24, v25, s[6:7]
	v_add_u32_e32 v25, 1, v23
	v_cmp_le_u32_e64 s[6:7], s23, v24
	v_cndmask_b32_e64 v23, v23, v25, s[6:7]
	v_xor_b32_e32 v23, s43, v23
	v_subrev_u32_e32 v23, s43, v23
	v_add_u32_e32 v24, s42, v23
	v_sub_u32_e32 v25, 0, v24
	v_max_i32_e32 v25, v24, v25
	v_mul_hi_u32 v26, v25, v13
	v_ashrrev_i32_e32 v24, 31, v24
	v_cmp_ge_i32_e64 s[10:11], s16, v23
	v_mul_lo_u32 v26, v26, s15
	v_sub_u32_e32 v25, v25, v26
	v_subrev_u32_e32 v26, s15, v25
	v_cmp_le_u32_e64 s[6:7], s15, v25
	v_cndmask_b32_e64 v25, v25, v26, s[6:7]
	v_subrev_u32_e32 v26, s15, v25
	v_cmp_le_u32_e64 s[6:7], s15, v25
	v_cndmask_b32_e64 v25, v25, v26, s[6:7]
	v_xor_b32_e32 v25, v25, v24
	v_sub_u32_e32 v24, v25, v24
	v_cmp_ne_u32_e64 s[6:7], 0, v24
	s_and_b64 s[6:7], s[6:7], s[10:11]
	s_and_saveexec_b64 s[10:11], s[6:7]
	s_xor_b64 s[6:7], exec, s[10:11]
	s_cbranch_execz .LBB56_17
; %bb.14:                               ;   in Loop: Header=BB56_13 Depth=1
	s_and_saveexec_b64 s[10:11], vcc
; %bb.15:                               ;   in Loop: Header=BB56_13 Depth=1
	ds_write_b32 v16, v17
; %bb.16:                               ;   in Loop: Header=BB56_13 Depth=1
	s_or_b64 exec, exec, s[10:11]
.LBB56_17:                              ;   in Loop: Header=BB56_13 Depth=1
	s_andn2_saveexec_b64 s[10:11], s[6:7]
	s_cbranch_execz .LBB56_12
; %bb.18:                               ;   in Loop: Header=BB56_13 Depth=1
	global_load_dword v23, v[1:2], off
	s_waitcnt vmcnt(0)
	v_mad_i64_i32 v[23:24], s[6:7], v23, s34, 0
	v_lshlrev_b64 v[23:24], 1, v[23:24]
	v_add_co_u32_e64 v23, s[6:7], v6, v23
	v_addc_co_u32_e64 v24, s[6:7], v10, v24, s[6:7]
	global_load_ushort v25, v[23:24], off
	global_load_ushort v26, v[23:24], off offset:128
	global_load_ushort v28, v[23:24], off offset:256
	;; [unrolled: 1-line block ×9, first 2 shown]
	ds_read_u16 v23, v12
	s_waitcnt lgkmcnt(0)
	;;#ASMSTART
	v_cvt_f32_f16 v23, v23;
	;;#ASMEND
	v_cmp_lt_i32_e64 s[6:7], v20, v19
	v_cndmask_b32_e64 v37, v18, v20, s[6:7]
	v_lshlrev_b32_e32 v37, 2, v37
	v_cmp_lt_i32_e64 s[6:7], v21, v19
	s_waitcnt vmcnt(9)
	;;#ASMSTART
	v_cvt_f32_f16 v24, v25;
	;;#ASMEND
	ds_read_u16 v25, v12 offset:2
	s_waitcnt lgkmcnt(0)
	;;#ASMSTART
	v_cvt_f32_f16 v25, v25;
	;;#ASMEND
	s_waitcnt vmcnt(8)
	;;#ASMSTART
	v_cvt_f32_f16 v26, v26;
	;;#ASMEND
	v_mul_f32_e32 v25, v25, v26
	ds_read_u16 v27, v12 offset:4
	v_fmac_f32_e32 v25, v23, v24
	s_waitcnt lgkmcnt(0)
	;;#ASMSTART
	v_cvt_f32_f16 v27, v27;
	;;#ASMEND
	s_waitcnt vmcnt(7)
	;;#ASMSTART
	v_cvt_f32_f16 v28, v28;
	;;#ASMEND
	ds_read_u16 v29, v12 offset:6
	v_fmac_f32_e32 v25, v27, v28
	s_waitcnt lgkmcnt(0)
	;;#ASMSTART
	v_cvt_f32_f16 v29, v29;
	;;#ASMEND
	s_waitcnt vmcnt(6)
	;;#ASMSTART
	v_cvt_f32_f16 v30, v30;
	;;#ASMEND
	;; [unrolled: 10-line block ×5, first 2 shown]
	v_fmac_f32_e32 v25, v35, v36
	ds_read_u16 v41, v12 offset:14
	s_waitcnt lgkmcnt(0)
	;;#ASMSTART
	v_cvt_f32_f16 v26, v41;
	;;#ASMEND
	s_waitcnt vmcnt(2)
	;;#ASMSTART
	v_cvt_f32_f16 v38, v38;
	;;#ASMEND
	v_fmac_f32_e32 v25, v26, v38
	ds_read_u16 v41, v12 offset:16
	s_waitcnt lgkmcnt(0)
	;;#ASMSTART
	v_cvt_f32_f16 v23, v41;
	;;#ASMEND
	s_waitcnt vmcnt(1)
	;;#ASMSTART
	v_cvt_f32_f16 v24, v39;
	;;#ASMEND
	;; [unrolled: 10-line block ×3, first 2 shown]
	v_fmac_f32_e32 v25, v23, v24
	ds_bpermute_b32 v23, v37, v25
	v_cndmask_b32_e64 v24, v18, v21, s[6:7]
	v_lshlrev_b32_e32 v24, 2, v24
	s_waitcnt lgkmcnt(0)
	v_add_f32_e32 v23, v25, v23
	ds_bpermute_b32 v24, v24, v23
	v_xor_b32_e32 v25, 1, v18
	v_cmp_lt_i32_e64 s[6:7], v25, v19
	v_cndmask_b32_e64 v25, v18, v25, s[6:7]
	s_waitcnt lgkmcnt(0)
	v_add_f32_e32 v23, v23, v24
	v_lshlrev_b32_e32 v24, 2, v25
	ds_bpermute_b32 v24, v24, v23
	s_and_saveexec_b64 s[40:41], vcc
	s_cbranch_execz .LBB56_11
; %bb.19:                               ;   in Loop: Header=BB56_13 Depth=1
	v_add_u32_e32 v25, v15, v14
	v_cvt_f32_i32_e32 v25, v25
	s_waitcnt lgkmcnt(0)
	v_add_f32_e32 v23, v23, v24
	v_add_u32_e32 v26, v5, v14
	v_cmp_gt_i32_e64 s[6:7], s21, v26
	v_mul_f32_e32 v24, s45, v25
	v_cndmask_b32_e64 v24, 0, v24, s[4:5]
	v_fmac_f32_e32 v24, s35, v23
	v_cndmask_b32_e64 v23, 0, v24, s[6:7]
	ds_write_b32 v16, v23
	v_max_f32_e32 v23, v11, v11
	v_max_f32_e32 v23, v23, v24
	v_cndmask_b32_e64 v11, v11, v23, s[6:7]
	s_branch .LBB56_11
.LBB56_20:
	s_or_b64 exec, exec, s[38:39]
.LBB56_21:
	s_or_b64 exec, exec, s[36:37]
	v_mbcnt_hi_u32_b32 v1, -1, v4
	v_and_b32_e32 v14, 64, v1
	v_add_u32_e32 v2, 64, v14
	v_xor_b32_e32 v4, 32, v1
	v_cmp_lt_i32_e32 vcc, v4, v2
	v_cndmask_b32_e32 v4, v1, v4, vcc
	v_lshlrev_b32_e32 v5, 2, v4
	ds_bpermute_b32 v4, v5, v11
	v_xor_b32_e32 v10, 16, v1
	v_max_f32_e32 v6, v11, v11
	v_cmp_lt_i32_e32 vcc, v10, v2
	s_waitcnt lgkmcnt(0)
	v_max_f32_e32 v4, v4, v4
	v_max_f32_e32 v4, v6, v4
	v_cndmask_b32_e32 v6, v1, v10, vcc
	v_lshlrev_b32_e32 v11, 2, v6
	ds_bpermute_b32 v6, v11, v4
	v_xor_b32_e32 v10, 8, v1
	v_cmp_lt_i32_e32 vcc, v10, v2
	s_waitcnt lgkmcnt(0)
	v_max_f32_e32 v6, v6, v6
	v_max_f32_e32 v6, v4, v6
	v_cndmask_b32_e32 v4, v1, v10, vcc
	v_lshlrev_b32_e32 v13, 2, v4
	ds_bpermute_b32 v12, v13, v6
	v_and_b32_e32 v10, 63, v0
	v_cmp_eq_u32_e32 vcc, 0, v10
	v_lshlrev_b32_e32 v4, 2, v8
	s_and_saveexec_b64 s[4:5], vcc
	s_cbranch_execz .LBB56_23
; %bb.22:
	s_waitcnt lgkmcnt(0)
	v_max_f32_e32 v12, v12, v12
	v_max_f32_e32 v6, v6, v6
	;; [unrolled: 1-line block ×3, first 2 shown]
	ds_write_b32 v4, v6 offset:160
.LBB56_23:
	s_or_b64 exec, exec, s[4:5]
	v_cmp_gt_u32_e64 s[4:5], 2, v10
	v_mov_b32_e32 v15, 0xff7fffff
	v_lshlrev_b32_e32 v6, 2, v10
	s_waitcnt lgkmcnt(0)
	s_barrier
	s_and_saveexec_b64 s[6:7], s[4:5]
; %bb.24:
	ds_read_b32 v15, v6 offset:160
; %bb.25:
	s_or_b64 exec, exec, s[6:7]
	v_xor_b32_e32 v12, 1, v1
	v_cmp_lt_i32_e64 s[6:7], v12, v2
	v_cndmask_b32_e64 v12, v1, v12, s[6:7]
	v_lshlrev_b32_e32 v12, 2, v12
	s_waitcnt lgkmcnt(0)
	ds_bpermute_b32 v16, v12, v15
	v_max_f32_e32 v15, v15, v15
	v_lshlrev_b32_e32 v14, 2, v14
	s_lshl_b32 s6, s44, 3
	s_min_i32 s15, s6, s21
	s_waitcnt lgkmcnt(0)
	v_max_f32_e32 v16, v16, v16
	v_max_f32_e32 v15, v15, v16
	ds_bpermute_b32 v15, v14, v15
	v_cmp_gt_i32_e64 s[6:7], s15, v0
	v_mov_b32_e32 v14, 0
	s_and_saveexec_b64 s[34:35], s[6:7]
	s_cbranch_execz .LBB56_29
; %bb.26:
	v_mov_b32_e32 v14, 0xb0
	v_lshl_add_u32 v16, v0, 2, v14
	v_mov_b32_e32 v14, 0
	s_mov_b64 s[36:37], 0
	v_mov_b32_e32 v17, v0
.LBB56_27:                              ; =>This Inner Loop Header: Depth=1
	ds_read_b32 v18, v16
	v_add_u32_e32 v17, 0x80, v17
	v_cmp_le_i32_e64 s[10:11], s15, v17
	s_or_b64 s[36:37], s[10:11], s[36:37]
	s_waitcnt lgkmcnt(0)
	v_sub_f32_e32 v18, v18, v15
	v_mul_f32_e32 v18, 0x3fb8aa3b, v18
	v_exp_f32_e32 v18, v18
	ds_write_b32 v16, v18
	v_add_f32_e32 v14, v14, v18
	v_add_u32_e32 v16, 0x200, v16
	s_andn2_b64 exec, exec, s[36:37]
	s_cbranch_execnz .LBB56_27
; %bb.28:
	s_or_b64 exec, exec, s[36:37]
.LBB56_29:
	s_or_b64 exec, exec, s[34:35]
	ds_bpermute_b32 v5, v5, v14
	s_waitcnt lgkmcnt(0)
	v_add_f32_e32 v5, v14, v5
	ds_bpermute_b32 v11, v11, v5
	s_waitcnt lgkmcnt(0)
	v_add_f32_e32 v5, v5, v11
	ds_bpermute_b32 v11, v13, v5
	v_xor_b32_e32 v13, 4, v1
	v_cmp_lt_i32_e64 s[10:11], v13, v2
	v_cndmask_b32_e64 v13, v1, v13, s[10:11]
	v_lshlrev_b32_e32 v13, 2, v13
	s_waitcnt lgkmcnt(0)
	v_add_f32_e32 v5, v5, v11
	ds_bpermute_b32 v11, v13, v5
	v_xor_b32_e32 v13, 2, v1
	v_cmp_lt_i32_e64 s[10:11], v13, v2
	v_cndmask_b32_e64 v2, v1, v13, s[10:11]
	v_lshlrev_b32_e32 v2, 2, v2
	s_waitcnt lgkmcnt(0)
	v_add_f32_e32 v5, v5, v11
	ds_bpermute_b32 v2, v2, v5
	s_waitcnt lgkmcnt(0)
	v_add_f32_e32 v2, v5, v2
	ds_bpermute_b32 v5, v12, v2
	s_waitcnt lgkmcnt(0)
	v_add_f32_e32 v2, v2, v5
	s_and_saveexec_b64 s[10:11], vcc
; %bb.30:
	ds_write_b32 v4, v2 offset:168
; %bb.31:
	s_or_b64 exec, exec, s[10:11]
	s_waitcnt lgkmcnt(0)
	s_barrier
	s_and_saveexec_b64 s[10:11], s[4:5]
; %bb.32:
	ds_read_b32 v2, v6 offset:168
; %bb.33:
	s_or_b64 exec, exec, s[10:11]
	s_waitcnt lgkmcnt(0)
	ds_bpermute_b32 v4, v12, v2
	v_lshlrev_b32_e32 v1, 2, v1
	v_and_b32_e32 v1, 0x100, v1
	s_waitcnt lgkmcnt(0)
	v_add_f32_e32 v2, v2, v4
	ds_bpermute_b32 v1, v1, v2
	s_and_saveexec_b64 s[4:5], s[6:7]
	s_cbranch_execz .LBB56_36
; %bb.34:
	s_waitcnt lgkmcnt(0)
	v_add_f32_e32 v2, 0x358637bd, v1
	v_div_scale_f32 v1, s[6:7], v2, v2, 1.0
	v_div_scale_f32 v4, vcc, 1.0, v2, 1.0
	s_mov_b64 s[6:7], 0
	v_rcp_f32_e32 v5, v1
	v_fma_f32 v6, -v1, v5, 1.0
	v_fmac_f32_e32 v5, v6, v5
	v_mul_f32_e32 v6, v4, v5
	v_fma_f32 v11, -v1, v6, v4
	v_fmac_f32_e32 v6, v11, v5
	v_fma_f32 v1, -v1, v6, v4
	v_div_fmas_f32 v4, v1, v5, v6
	v_mov_b32_e32 v1, 0xb0
	v_lshl_add_u32 v1, v0, 2, v1
	v_div_fixup_f32 v2, v4, v2, 1.0
	v_mov_b32_e32 v4, v0
.LBB56_35:                              ; =>This Inner Loop Header: Depth=1
	ds_read_b32 v5, v1
	v_add_u32_e32 v4, 0x80, v4
	v_cmp_le_i32_e32 vcc, s15, v4
	s_or_b64 s[6:7], vcc, s[6:7]
	s_waitcnt lgkmcnt(0)
	v_mul_f32_e32 v5, v2, v5
	ds_write_b32 v1, v5
	v_add_u32_e32 v1, 0x200, v1
	s_andn2_b64 exec, exec, s[6:7]
	s_cbranch_execnz .LBB56_35
.LBB56_36:
	s_or_b64 exec, exec, s[4:5]
	v_mov_b32_e32 v12, 0
	v_mov_b32_e32 v11, 0
	s_waitcnt lgkmcnt(0)
	s_barrier
	s_and_saveexec_b64 s[6:7], s[2:3]
	s_cbranch_execz .LBB56_48
; %bb.37:
	s_ashr_i32 s15, s14, 31
	s_sub_i32 s34, s12, s17
	s_lshl_b64 s[2:3], s[14:15], 1
	s_add_u32 s30, s30, s2
	s_addc_u32 s31, s31, s3
	s_abs_i32 s18, s18
	v_cvt_f32_u32_e32 v1, s18
	s_sub_i32 s3, 0, s18
	s_add_i32 s36, s44, -1
	s_lshl_b64 s[4:5], s[28:29], 2
	v_rcp_iflag_f32_e32 v1, v1
	s_add_u32 s4, s26, s4
	v_and_b32_e32 v3, 60, v3
	s_addc_u32 s5, s27, s5
	v_mul_f32_e32 v1, 0x4f7ffffe, v1
	v_cvt_u32_f32_e32 v1, v1
	v_or_b32_e32 v4, 64, v10
	s_movk_i32 s2, 0x50
	v_lshlrev_b32_e32 v2, 3, v10
	v_mul_lo_u32 v5, s3, v1
	v_cmp_gt_u32_e64 s[2:3], s2, v4
	v_lshlrev_b32_e32 v4, 3, v4
	s_mov_b32 s35, s13
	v_mul_hi_u32 v5, v1, v5
	v_mov_b32_e32 v13, 0
	s_mov_b64 s[10:11], 0
	v_lshlrev_b32_e32 v16, 1, v2
	v_add_u32_e32 v14, v1, v5
	v_mov_b32_e32 v1, s5
	v_add_co_u32_e32 v5, vcc, s4, v3
	v_addc_co_u32_e32 v6, vcc, 0, v1, vcc
	v_mov_b32_e32 v1, 0xb0
	v_lshl_add_u32 v15, v8, 5, v1
	s_mov_b32 s26, 0xffff
	v_lshlrev_b32_e32 v17, 1, v4
	v_mov_b32_e32 v11, 0
	v_mov_b32_e32 v12, 0
	s_branch .LBB56_41
.LBB56_38:                              ;   in Loop: Header=BB56_41 Depth=1
	s_or_b64 exec, exec, s[16:17]
	v_lshlrev_b32_e32 v26, 16, v26
	v_and_or_b32 v1, v1, s26, v26
	v_lshlrev_b32_e32 v25, 16, v25
	v_lshlrev_b32_e32 v24, 16, v24
	v_and_or_b32 v2, v2, s26, v25
	v_and_or_b32 v3, v3, s26, v24
	;;#ASMSTART
	v_pk_mul_f16 v1, v21, v1;

	;;#ASMEND
	;;#ASMSTART
	v_pk_mul_f16 v2, v22, v2;

	;;#ASMEND
	;; [unrolled: 4-line block ×4, first 2 shown]
	;;#ASMSTART
	v_pk_add_f16 v1, v1, v2;

	;;#ASMEND
	;;#ASMSTART
	v_pk_add_f16 v1, v1, v3;

	;;#ASMEND
	;; [unrolled: 4-line block ×3, first 2 shown]
	v_lshrrev_b32_e32 v2, 16, v1
	v_and_b32_e32 v1, 0xffff, v1
	;;#ASMSTART
	v_cvt_f32_f16 v1, v1;
	;;#ASMEND
	;;#ASMSTART
	v_cvt_f32_f16 v2, v2;
	;;#ASMEND
	v_add_f32_e32 v1, v1, v2
	v_add_f32_e32 v11, v11, v1
.LBB56_39:                              ;   in Loop: Header=BB56_41 Depth=1
	s_or_b64 exec, exec, s[14:15]
	v_add_f32_e32 v1, v18, v19
	v_add_f32_e32 v12, v12, v1
.LBB56_40:                              ;   in Loop: Header=BB56_41 Depth=1
	s_or_b64 exec, exec, s[12:13]
	v_add_co_u32_e32 v5, vcc, 8, v5
	v_add_u32_e32 v8, 2, v8
	v_addc_co_u32_e32 v6, vcc, 0, v6, vcc
	v_cmp_le_i32_e32 vcc, s44, v8
	v_add_u32_e32 v9, 16, v9
	s_or_b64 s[10:11], vcc, s[10:11]
	v_add_u32_e32 v15, 64, v15
	s_andn2_b64 exec, exec, s[10:11]
	s_cbranch_execz .LBB56_47
.LBB56_41:                              ; =>This Inner Loop Header: Depth=1
	v_mul_hi_u32 v1, v9, s33
	v_mul_lo_u32 v2, v1, s23
	v_add_u32_e32 v3, 1, v1
	v_sub_u32_e32 v2, v9, v2
	v_cmp_le_u32_e32 vcc, s23, v2
	v_cndmask_b32_e32 v1, v1, v3, vcc
	v_subrev_u32_e32 v3, s23, v2
	v_cndmask_b32_e32 v2, v2, v3, vcc
	v_add_u32_e32 v3, 1, v1
	v_cmp_le_u32_e32 vcc, s23, v2
	v_cndmask_b32_e32 v1, v1, v3, vcc
	v_xor_b32_e32 v1, s43, v1
	v_subrev_u32_e32 v1, s43, v1
	v_add_u32_e32 v2, s42, v1
	v_sub_u32_e32 v3, 0, v2
	v_max_i32_e32 v3, v2, v3
	v_mul_hi_u32 v4, v3, v14
	v_ashrrev_i32_e32 v2, 31, v2
	v_cmp_lt_i32_e64 s[4:5], s34, v1
	v_mul_lo_u32 v4, v4, s18
	v_sub_u32_e32 v3, v3, v4
	v_subrev_u32_e32 v4, s18, v3
	v_cmp_le_u32_e32 vcc, s18, v3
	v_cndmask_b32_e32 v3, v3, v4, vcc
	v_subrev_u32_e32 v4, s18, v3
	v_cmp_le_u32_e32 vcc, s18, v3
	v_cndmask_b32_e32 v3, v3, v4, vcc
	v_xor_b32_e32 v3, v3, v2
	v_sub_u32_e32 v2, v3, v2
	v_cmp_eq_u32_e32 vcc, 0, v2
	s_or_b64 s[4:5], vcc, s[4:5]
	s_and_saveexec_b64 s[12:13], s[4:5]
	s_cbranch_execz .LBB56_40
; %bb.42:                               ;   in Loop: Header=BB56_41 Depth=1
	global_load_dword v21, v[5:6], off
	ds_read2_b64 v[1:4], v15 offset1:1
	ds_read2_b64 v[25:28], v15 offset0:2 offset1:3
	v_mov_b32_e32 v29, s31
	s_waitcnt lgkmcnt(1)
	;;#ASMSTART
	v_cvt_f16_f32 v18, v1;

	;;#ASMEND
	;;#ASMSTART
	v_cvt_f16_f32 v19, v2;

	;;#ASMEND
	;; [unrolled: 4-line block ×4, first 2 shown]
	s_waitcnt lgkmcnt(0)
	;;#ASMSTART
	v_cvt_f16_f32 v23, v25;

	;;#ASMEND
	;;#ASMSTART
	v_cvt_f16_f32 v26, v26;

	;;#ASMEND
	;; [unrolled: 4-line block ×4, first 2 shown]
	s_waitcnt vmcnt(0)
	v_mad_i64_i32 v[1:2], s[4:5], v21, s35, 0
	v_cmp_eq_u32_e64 s[4:5], s36, v8
	v_lshlrev_b64 v[1:2], 1, v[1:2]
	v_add_co_u32_e32 v24, vcc, s30, v1
	v_addc_co_u32_e32 v25, vcc, v29, v2, vcc
	v_add_co_u32_e32 v1, vcc, v24, v16
	v_addc_co_u32_e32 v2, vcc, 0, v25, vcc
	global_load_dwordx4 v[1:4], v[1:2], off
	s_waitcnt vmcnt(0)
	v_lshrrev_b32_e32 v31, 16, v1
	v_lshrrev_b32_e32 v30, 16, v2
	;; [unrolled: 1-line block ×3, first 2 shown]
	s_and_saveexec_b64 s[14:15], s[4:5]
	s_cbranch_execz .LBB56_44
; %bb.43:                               ;   in Loop: Header=BB56_41 Depth=1
	v_cmp_gt_i32_e32 vcc, s21, v9
	v_add_u32_e32 v21, 1, v9
	v_cndmask_b32_e32 v1, 0, v1, vcc
	v_cmp_gt_i32_e32 vcc, s21, v21
	v_add_u32_e32 v21, 2, v9
	v_cndmask_b32_e32 v31, 0, v31, vcc
	;; [unrolled: 3-line block ×6, first 2 shown]
	v_cmp_gt_i32_e32 vcc, s21, v21
	v_add_u32_e32 v32, 7, v9
	v_cndmask_b32_sdwa v21, v13, v4, vcc dst_sel:DWORD dst_unused:UNUSED_PAD src0_sel:DWORD src1_sel:WORD_0
	v_and_b32_e32 v4, 0xffff0000, v4
	v_cmp_gt_i32_e32 vcc, s21, v32
	v_cndmask_b32_e32 v4, 0, v4, vcc
	v_or_b32_e32 v4, v21, v4
.LBB56_44:                              ;   in Loop: Header=BB56_41 Depth=1
	s_or_b64 exec, exec, s[14:15]
	v_and_b32_e32 v18, 0xffff, v18
	v_lshl_or_b32 v21, v19, 16, v18
	v_and_b32_e32 v18, 0xffff, v20
	v_lshl_or_b32 v22, v22, 16, v18
	;; [unrolled: 2-line block ×4, first 2 shown]
	v_lshlrev_b32_e32 v18, 16, v31
	v_and_or_b32 v1, v1, s26, v18
	v_lshlrev_b32_e32 v18, 16, v30
	v_and_or_b32 v2, v2, s26, v18
	;; [unrolled: 2-line block ×3, first 2 shown]
	;;#ASMSTART
	v_pk_mul_f16 v1, v21, v1;

	;;#ASMEND
	;;#ASMSTART
	v_pk_mul_f16 v2, v22, v2;

	;;#ASMEND
	;; [unrolled: 4-line block ×4, first 2 shown]
	;;#ASMSTART
	v_pk_add_f16 v1, v1, v2;

	;;#ASMEND
	;;#ASMSTART
	v_pk_add_f16 v1, v1, v3;

	;;#ASMEND
	;; [unrolled: 4-line block ×3, first 2 shown]
	v_lshrrev_b32_e32 v2, 16, v1
	v_and_b32_e32 v1, 0xffff, v1
	;;#ASMSTART
	v_cvt_f32_f16 v18, v1;
	;;#ASMEND
	;;#ASMSTART
	v_cvt_f32_f16 v19, v2;
	;;#ASMEND
	s_and_saveexec_b64 s[14:15], s[2:3]
	s_cbranch_execz .LBB56_39
; %bb.45:                               ;   in Loop: Header=BB56_41 Depth=1
	v_add_co_u32_e32 v1, vcc, v24, v17
	v_addc_co_u32_e32 v2, vcc, 0, v25, vcc
	global_load_dwordx4 v[1:4], v[1:2], off
	s_waitcnt vmcnt(0)
	v_lshrrev_b32_e32 v26, 16, v1
	v_lshrrev_b32_e32 v25, 16, v2
	;; [unrolled: 1-line block ×3, first 2 shown]
	s_and_saveexec_b64 s[16:17], s[4:5]
	s_cbranch_execz .LBB56_38
; %bb.46:                               ;   in Loop: Header=BB56_41 Depth=1
	v_cmp_gt_i32_e32 vcc, s21, v9
	v_add_u32_e32 v27, 1, v9
	v_cndmask_b32_e32 v1, 0, v1, vcc
	v_cmp_gt_i32_e32 vcc, s21, v27
	v_add_u32_e32 v27, 2, v9
	v_cndmask_b32_e32 v26, 0, v26, vcc
	;; [unrolled: 3-line block ×6, first 2 shown]
	v_cmp_gt_i32_e32 vcc, s21, v27
	v_add_u32_e32 v28, 7, v9
	v_cndmask_b32_sdwa v27, v13, v4, vcc dst_sel:DWORD dst_unused:UNUSED_PAD src0_sel:DWORD src1_sel:WORD_0
	v_and_b32_e32 v4, 0xffff0000, v4
	v_cmp_gt_i32_e32 vcc, s21, v28
	v_cndmask_b32_e32 v4, 0, v4, vcc
	v_or_b32_e32 v4, v27, v4
	s_branch .LBB56_38
.LBB56_47:
	s_or_b64 exec, exec, s[10:11]
.LBB56_48:
	s_or_b64 exec, exec, s[6:7]
	v_and_b32_e32 v1, 0x3c0, v0
	v_cmp_eq_u32_e32 vcc, 64, v1
	s_barrier
	s_and_saveexec_b64 s[2:3], vcc
	s_cbranch_execz .LBB56_51
; %bb.49:
	v_mov_b32_e32 v1, 0xb0
	v_lshl_add_u32 v2, v10, 2, v1
	ds_write_b32 v2, v12
	s_and_b64 exec, exec, s[0:1]
; %bb.50:
	v_lshl_add_u32 v1, v0, 2, v1
	ds_write_b32 v1, v11
.LBB56_51:
	s_or_b64 exec, exec, s[2:3]
	v_cmp_gt_u32_e32 vcc, 64, v0
	v_or_b32_e32 v1, 64, v0
	s_waitcnt lgkmcnt(0)
	s_barrier
	s_and_saveexec_b64 s[2:3], vcc
	s_cbranch_execz .LBB56_55
; %bb.52:
	v_mov_b32_e32 v2, 0xb0
	v_lshl_add_u32 v2, v0, 2, v2
	ds_read_b32 v0, v2
	s_movk_i32 s0, 0x50
	v_cmp_gt_u32_e64 s[0:1], s0, v1
	s_and_saveexec_b64 s[4:5], s[0:1]
	s_cbranch_execz .LBB56_54
; %bb.53:
	ds_read_b32 v2, v2 offset:256
	s_waitcnt lgkmcnt(0)
	v_add_f32_e32 v11, v11, v2
.LBB56_54:
	s_or_b64 exec, exec, s[4:5]
	s_waitcnt lgkmcnt(0)
	v_add_f32_e32 v12, v12, v0
.LBB56_55:
	s_or_b64 exec, exec, s[2:3]
	s_barrier
	s_and_saveexec_b64 s[0:1], vcc
	s_cbranch_execz .LBB56_58
; %bb.56:
	s_mul_i32 s0, s20, s19
	s_mul_i32 s0, s0, s9
	s_mulk_i32 s0, 0x50
	s_ashr_i32 s1, s0, 31
	s_lshl_b64 s[0:1], s[0:1], 1
	s_add_u32 s3, s24, s0
	s_mul_i32 s0, s19, s22
	s_addc_u32 s4, s25, s1
	s_ashr_i32 s1, s0, 31
	s_lshl_b64 s[0:1], s[0:1], 1
	s_add_u32 s3, s3, s0
	s_mul_i32 s0, s8, 0x50
	s_addc_u32 s4, s4, s1
	s_ashr_i32 s1, s0, 31
	s_lshl_b64 s[0:1], s[0:1], 1
	s_movk_i32 s2, 0x50
	s_add_u32 s0, s3, s0
	s_addc_u32 s1, s4, s1
	v_cmp_gt_u32_e32 vcc, s2, v1
	;;#ASMSTART
	v_cvt_f16_f32 v0, v12;

	;;#ASMEND
	global_store_short v7, v0, s[0:1]
	s_and_b64 exec, exec, vcc
	s_cbranch_execz .LBB56_58
; %bb.57:
	v_mov_b32_e32 v1, s1
	v_add_co_u32_e32 v0, vcc, s0, v7
	v_addc_co_u32_e32 v1, vcc, 0, v1, vcc
	;;#ASMSTART
	v_cvt_f16_f32 v2, v11;

	;;#ASMEND
	global_store_short v[0:1], v2, off offset:128
.LBB56_58:
	s_endpgm
	.section	.rodata,"a",@progbits
	.p2align	6, 0x0
	.amdhsa_kernel _ZN4vllm25paged_attention_v1_kernelIttLi80ELi8ELi128ELNS_18Fp8KVCacheDataTypeE0ELb1EEEvPT_PKS2_PKT0_S8_ifPKiSA_iPKfiiiSC_SC_iiiii
		.amdhsa_group_segment_fixed_size 176
		.amdhsa_private_segment_fixed_size 0
		.amdhsa_kernarg_size 384
		.amdhsa_user_sgpr_count 6
		.amdhsa_user_sgpr_private_segment_buffer 1
		.amdhsa_user_sgpr_dispatch_ptr 0
		.amdhsa_user_sgpr_queue_ptr 0
		.amdhsa_user_sgpr_kernarg_segment_ptr 1
		.amdhsa_user_sgpr_dispatch_id 0
		.amdhsa_user_sgpr_flat_scratch_init 0
		.amdhsa_user_sgpr_private_segment_size 0
		.amdhsa_uses_dynamic_stack 0
		.amdhsa_system_sgpr_private_segment_wavefront_offset 0
		.amdhsa_system_sgpr_workgroup_id_x 1
		.amdhsa_system_sgpr_workgroup_id_y 1
		.amdhsa_system_sgpr_workgroup_id_z 1
		.amdhsa_system_sgpr_workgroup_info 0
		.amdhsa_system_vgpr_workitem_id 0
		.amdhsa_next_free_vgpr 42
		.amdhsa_next_free_sgpr 46
		.amdhsa_reserve_vcc 1
		.amdhsa_reserve_flat_scratch 0
		.amdhsa_float_round_mode_32 0
		.amdhsa_float_round_mode_16_64 0
		.amdhsa_float_denorm_mode_32 3
		.amdhsa_float_denorm_mode_16_64 3
		.amdhsa_dx10_clamp 1
		.amdhsa_ieee_mode 1
		.amdhsa_fp16_overflow 0
		.amdhsa_exception_fp_ieee_invalid_op 0
		.amdhsa_exception_fp_denorm_src 0
		.amdhsa_exception_fp_ieee_div_zero 0
		.amdhsa_exception_fp_ieee_overflow 0
		.amdhsa_exception_fp_ieee_underflow 0
		.amdhsa_exception_fp_ieee_inexact 0
		.amdhsa_exception_int_div_zero 0
	.end_amdhsa_kernel
	.section	.text._ZN4vllm25paged_attention_v1_kernelIttLi80ELi8ELi128ELNS_18Fp8KVCacheDataTypeE0ELb1EEEvPT_PKS2_PKT0_S8_ifPKiSA_iPKfiiiSC_SC_iiiii,"axG",@progbits,_ZN4vllm25paged_attention_v1_kernelIttLi80ELi8ELi128ELNS_18Fp8KVCacheDataTypeE0ELb1EEEvPT_PKS2_PKT0_S8_ifPKiSA_iPKfiiiSC_SC_iiiii,comdat
.Lfunc_end56:
	.size	_ZN4vllm25paged_attention_v1_kernelIttLi80ELi8ELi128ELNS_18Fp8KVCacheDataTypeE0ELb1EEEvPT_PKS2_PKT0_S8_ifPKiSA_iPKfiiiSC_SC_iiiii, .Lfunc_end56-_ZN4vllm25paged_attention_v1_kernelIttLi80ELi8ELi128ELNS_18Fp8KVCacheDataTypeE0ELb1EEEvPT_PKS2_PKT0_S8_ifPKiSA_iPKfiiiSC_SC_iiiii
                                        ; -- End function
	.set _ZN4vllm25paged_attention_v1_kernelIttLi80ELi8ELi128ELNS_18Fp8KVCacheDataTypeE0ELb1EEEvPT_PKS2_PKT0_S8_ifPKiSA_iPKfiiiSC_SC_iiiii.num_vgpr, 42
	.set _ZN4vllm25paged_attention_v1_kernelIttLi80ELi8ELi128ELNS_18Fp8KVCacheDataTypeE0ELb1EEEvPT_PKS2_PKT0_S8_ifPKiSA_iPKfiiiSC_SC_iiiii.num_agpr, 0
	.set _ZN4vllm25paged_attention_v1_kernelIttLi80ELi8ELi128ELNS_18Fp8KVCacheDataTypeE0ELb1EEEvPT_PKS2_PKT0_S8_ifPKiSA_iPKfiiiSC_SC_iiiii.numbered_sgpr, 46
	.set _ZN4vllm25paged_attention_v1_kernelIttLi80ELi8ELi128ELNS_18Fp8KVCacheDataTypeE0ELb1EEEvPT_PKS2_PKT0_S8_ifPKiSA_iPKfiiiSC_SC_iiiii.num_named_barrier, 0
	.set _ZN4vllm25paged_attention_v1_kernelIttLi80ELi8ELi128ELNS_18Fp8KVCacheDataTypeE0ELb1EEEvPT_PKS2_PKT0_S8_ifPKiSA_iPKfiiiSC_SC_iiiii.private_seg_size, 0
	.set _ZN4vllm25paged_attention_v1_kernelIttLi80ELi8ELi128ELNS_18Fp8KVCacheDataTypeE0ELb1EEEvPT_PKS2_PKT0_S8_ifPKiSA_iPKfiiiSC_SC_iiiii.uses_vcc, 1
	.set _ZN4vllm25paged_attention_v1_kernelIttLi80ELi8ELi128ELNS_18Fp8KVCacheDataTypeE0ELb1EEEvPT_PKS2_PKT0_S8_ifPKiSA_iPKfiiiSC_SC_iiiii.uses_flat_scratch, 0
	.set _ZN4vllm25paged_attention_v1_kernelIttLi80ELi8ELi128ELNS_18Fp8KVCacheDataTypeE0ELb1EEEvPT_PKS2_PKT0_S8_ifPKiSA_iPKfiiiSC_SC_iiiii.has_dyn_sized_stack, 0
	.set _ZN4vllm25paged_attention_v1_kernelIttLi80ELi8ELi128ELNS_18Fp8KVCacheDataTypeE0ELb1EEEvPT_PKS2_PKT0_S8_ifPKiSA_iPKfiiiSC_SC_iiiii.has_recursion, 0
	.set _ZN4vllm25paged_attention_v1_kernelIttLi80ELi8ELi128ELNS_18Fp8KVCacheDataTypeE0ELb1EEEvPT_PKS2_PKT0_S8_ifPKiSA_iPKfiiiSC_SC_iiiii.has_indirect_call, 0
	.section	.AMDGPU.csdata,"",@progbits
; Kernel info:
; codeLenInByte = 4332
; TotalNumSgprs: 50
; NumVgprs: 42
; ScratchSize: 0
; MemoryBound: 0
; FloatMode: 240
; IeeeMode: 1
; LDSByteSize: 176 bytes/workgroup (compile time only)
; SGPRBlocks: 6
; VGPRBlocks: 10
; NumSGPRsForWavesPerEU: 50
; NumVGPRsForWavesPerEU: 42
; Occupancy: 5
; WaveLimiterHint : 1
; COMPUTE_PGM_RSRC2:SCRATCH_EN: 0
; COMPUTE_PGM_RSRC2:USER_SGPR: 6
; COMPUTE_PGM_RSRC2:TRAP_HANDLER: 0
; COMPUTE_PGM_RSRC2:TGID_X_EN: 1
; COMPUTE_PGM_RSRC2:TGID_Y_EN: 1
; COMPUTE_PGM_RSRC2:TGID_Z_EN: 1
; COMPUTE_PGM_RSRC2:TIDIG_COMP_CNT: 0
	.section	.text._ZN4vllm25paged_attention_v1_kernelIttLi96ELi8ELi128ELNS_18Fp8KVCacheDataTypeE0ELb1EEEvPT_PKS2_PKT0_S8_ifPKiSA_iPKfiiiSC_SC_iiiii,"axG",@progbits,_ZN4vllm25paged_attention_v1_kernelIttLi96ELi8ELi128ELNS_18Fp8KVCacheDataTypeE0ELb1EEEvPT_PKS2_PKT0_S8_ifPKiSA_iPKfiiiSC_SC_iiiii,comdat
	.protected	_ZN4vllm25paged_attention_v1_kernelIttLi96ELi8ELi128ELNS_18Fp8KVCacheDataTypeE0ELb1EEEvPT_PKS2_PKT0_S8_ifPKiSA_iPKfiiiSC_SC_iiiii ; -- Begin function _ZN4vllm25paged_attention_v1_kernelIttLi96ELi8ELi128ELNS_18Fp8KVCacheDataTypeE0ELb1EEEvPT_PKS2_PKT0_S8_ifPKiSA_iPKfiiiSC_SC_iiiii
	.globl	_ZN4vllm25paged_attention_v1_kernelIttLi96ELi8ELi128ELNS_18Fp8KVCacheDataTypeE0ELb1EEEvPT_PKS2_PKT0_S8_ifPKiSA_iPKfiiiSC_SC_iiiii
	.p2align	8
	.type	_ZN4vllm25paged_attention_v1_kernelIttLi96ELi8ELi128ELNS_18Fp8KVCacheDataTypeE0ELb1EEEvPT_PKS2_PKT0_S8_ifPKiSA_iPKfiiiSC_SC_iiiii,@function
_ZN4vllm25paged_attention_v1_kernelIttLi96ELi8ELi128ELNS_18Fp8KVCacheDataTypeE0ELb1EEEvPT_PKS2_PKT0_S8_ifPKiSA_iPKfiiiSC_SC_iiiii: ; @_ZN4vllm25paged_attention_v1_kernelIttLi96ELi8ELi128ELNS_18Fp8KVCacheDataTypeE0ELb1EEEvPT_PKS2_PKT0_S8_ifPKiSA_iPKfiiiSC_SC_iiiii
; %bb.0:
	s_load_dword s9, s[4:5], 0x80
	s_load_dwordx2 s[0:1], s[4:5], 0x30
	s_load_dwordx2 s[34:35], s[4:5], 0x20
	s_mov_b32 s20, s7
	s_ashr_i32 s21, s7, 31
	s_lshl_b64 s[2:3], s[20:21], 2
	s_waitcnt lgkmcnt(0)
	s_add_u32 s0, s0, s2
	s_addc_u32 s1, s1, s3
	s_abs_i32 s2, s34
	v_cvt_f32_u32_e32 v1, s2
	s_sub_i32 s10, 0, s2
	s_abs_i32 s7, s9
	s_xor_b32 s3, s9, s34
	v_rcp_iflag_f32_e32 v1, v1
	s_ashr_i32 s3, s3, 31
	s_mov_b32 s45, 0
	v_mul_f32_e32 v1, 0x4f7ffffe, v1
	v_cvt_u32_f32_e32 v1, v1
	v_readfirstlane_b32 s11, v1
	s_mul_i32 s10, s10, s11
	s_mul_hi_u32 s10, s11, s10
	s_add_i32 s11, s11, s10
	s_mul_hi_u32 s10, s7, s11
	s_mul_i32 s11, s10, s2
	s_sub_i32 s7, s7, s11
	s_add_i32 s11, s10, 1
	s_sub_i32 s12, s7, s2
	s_cmp_ge_u32 s7, s2
	s_cselect_b32 s10, s11, s10
	s_cselect_b32 s7, s12, s7
	s_add_i32 s11, s10, 1
	s_cmp_ge_u32 s7, s2
	s_cselect_b32 s2, s11, s10
	s_xor_b32 s2, s2, s3
	s_sub_i32 s11, s2, s3
	s_abs_i32 s10, s11
	v_cvt_f32_u32_e32 v1, s10
	s_load_dwordx2 s[2:3], s[4:5], 0x40
	s_sub_i32 s7, 0, s10
	s_abs_i32 s24, s6
	v_rcp_iflag_f32_e32 v1, v1
	v_mul_f32_e32 v1, 0x4f7ffffe, v1
	v_cvt_u32_f32_e32 v1, v1
	v_readfirstlane_b32 s12, v1
	s_mul_i32 s7, s7, s12
	s_mul_hi_u32 s7, s12, s7
	s_add_i32 s12, s12, s7
	s_waitcnt lgkmcnt(0)
	s_cmp_eq_u64 s[2:3], 0
	s_mul_hi_u32 s25, s24, s12
	s_cbranch_scc1 .LBB57_2
; %bb.1:
	s_ashr_i32 s7, s6, 31
	s_lshl_b64 s[12:13], s[6:7], 2
	s_add_u32 s2, s2, s12
	s_addc_u32 s3, s3, s13
	s_load_dword s45, s[2:3], 0x0
.LBB57_2:
	s_load_dword s21, s[0:1], 0x0
	s_load_dwordx4 s[12:15], s[4:5], 0x48
	s_movk_i32 s0, 0x60
	s_ashr_i32 s7, s6, 31
	s_ashr_i32 s26, s11, 31
	v_and_b32_e32 v1, 7, v0
	s_mul_i32 s22, s6, 0x60
	v_cmp_gt_u32_e64 s[0:1], s0, v0
	v_lshlrev_b32_e32 v7, 1, v0
	s_and_saveexec_b64 s[2:3], s[0:1]
	s_cbranch_execz .LBB57_4
; %bb.3:
	s_load_dwordx2 s[16:17], s[4:5], 0x8
	s_waitcnt lgkmcnt(0)
	s_mul_i32 s18, s12, s20
	s_ashr_i32 s19, s18, 31
	s_lshl_b64 s[18:19], s[18:19], 1
	v_lshrrev_b32_e32 v3, 2, v0
	s_add_u32 s11, s16, s18
	s_addc_u32 s12, s17, s19
	s_ashr_i32 s23, s22, 31
	s_lshl_b64 s[16:17], s[22:23], 1
	s_add_u32 s16, s11, s16
	s_addc_u32 s17, s12, s17
	global_load_ushort v2, v7, s[16:17]
	v_and_b32_e32 v3, 0xfe, v3
	v_mad_u32_u24 v3, v1, 24, v3
	s_waitcnt vmcnt(0)
	ds_write_b16 v3, v2
.LBB57_4:
	s_or_b64 exec, exec, s[2:3]
	s_mul_i32 s3, s25, s10
	s_sub_i32 s3, s24, s3
	s_xor_b32 s2, s7, s26
	s_add_i32 s7, s25, 1
	s_waitcnt lgkmcnt(0)
	s_sub_i32 s12, s3, s10
	s_load_dwordx4 s[16:19], s[4:5], 0x68
	s_load_dword s11, s[4:5], 0x78
	s_cmp_ge_u32 s3, s10
	s_cselect_b32 s7, s7, s25
	s_cselect_b32 s3, s12, s3
	s_add_i32 s12, s7, 1
	s_cmp_ge_u32 s3, s10
	s_cselect_b32 s3, s12, s7
	s_waitcnt lgkmcnt(0)
	s_abs_i32 s23, s19
	v_cvt_f32_u32_e32 v2, s23
	s_xor_b32 s3, s3, s2
	s_sub_i32 s7, s3, s2
	s_sub_i32 s2, 0, s23
	v_rcp_iflag_f32_e32 v2, v2
	s_add_i32 s15, s21, -1
	s_abs_i32 s10, s15
	v_mul_f32_e32 v2, 0x4f7ffffe, v2
	v_cvt_u32_f32_e32 v2, v2
	s_barrier
	v_readfirstlane_b32 s33, v2
	s_mul_i32 s2, s2, s33
	s_mul_hi_u32 s2, s33, s2
	s_add_i32 s33, s33, s2
	s_cmp_lt_i32 s11, 0
	s_mul_hi_u32 s12, s10, s33
	s_cbranch_scc0 .LBB57_6
; %bb.5:
	s_mul_i32 s2, s16, s34
	s_add_i32 s2, s7, s2
	s_mul_i32 s2, s2, s11
	s_sub_i32 s42, 1, s2
	s_mov_b64 s[2:3], 0
	s_branch .LBB57_7
.LBB57_6:
	s_mov_b64 s[2:3], -1
                                        ; implicit-def: $sgpr42
.LBB57_7:
	s_load_dwordx2 s[26:27], s[4:5], 0x28
	s_ashr_i32 s15, s15, 31
	s_andn2_b64 vcc, exec, s[2:3]
	s_ashr_i32 s43, s19, 31
	s_cbranch_vccnz .LBB57_9
; %bb.8:
	s_mul_i32 s2, s9, s16
	s_add_i32 s2, s2, s6
	s_mul_i32 s2, s2, s11
	s_add_i32 s42, s2, 1
.LBB57_9:
	s_load_dword s2, s[4:5], 0x38
	s_load_dwordx2 s[24:25], s[4:5], 0x0
	s_load_dwordx2 s[30:31], s[4:5], 0x18
	s_load_dword s19, s[4:5], 0x88
	s_xor_b32 s3, s15, s43
	s_waitcnt lgkmcnt(0)
	s_mul_i32 s28, s2, s20
	s_mul_i32 s2, s12, s23
	s_sub_i32 s2, s10, s2
	s_ashr_i32 s29, s28, 31
	s_add_i32 s6, s12, 1
	s_sub_i32 s10, s2, s23
	s_cmp_ge_u32 s2, s23
	s_cselect_b32 s6, s6, s12
	s_cselect_b32 s2, s10, s2
	s_add_i32 s10, s6, 1
	s_cmp_ge_u32 s2, s23
	s_cselect_b32 s2, s10, s6
	s_xor_b32 s2, s2, s3
	s_sub_i32 s12, s2, s3
	s_add_i32 s2, s21, 7
	s_ashr_i32 s3, s2, 31
	s_lshr_b32 s3, s3, 29
	s_add_i32 s2, s2, s3
	s_ashr_i32 s44, s2, 3
	v_lshrrev_b32_e32 v8, 6, v0
	v_cmp_gt_i32_e64 s[2:3], s44, v8
	v_mov_b32_e32 v11, 0xff7fffff
	s_mul_i32 s14, s7, s14
	v_lshrrev_b32_e32 v3, 4, v0
	v_lshlrev_b32_e32 v9, 3, v8
	v_mbcnt_lo_u32_b32 v4, -1, 0
	s_and_saveexec_b64 s[36:37], s[2:3]
	s_cbranch_execz .LBB57_21
; %bb.10:
	s_load_dwordx2 s[4:5], s[4:5], 0x10
	s_ashr_i32 s15, s14, 31
	s_sub_i32 s16, s12, s17
	s_lshl_b64 s[6:7], s[14:15], 1
	v_bfe_u32 v5, v0, 3, 3
	s_waitcnt lgkmcnt(0)
	s_add_u32 s4, s4, s6
	s_addc_u32 s5, s5, s7
	s_abs_i32 s15, s18
	v_cvt_f32_u32_e32 v2, s15
	v_mov_b32_e32 v11, s5
	s_sub_i32 s5, 0, s15
	v_lshlrev_b32_e32 v10, 4, v5
	v_rcp_iflag_f32_e32 v2, v2
	v_lshlrev_b32_e32 v6, 1, v1
	s_lshl_b64 s[6:7], s[28:29], 2
	s_add_u32 s6, s26, s6
	v_mul_f32_e32 v2, 0x4f7ffffe, v2
	v_cvt_u32_f32_e32 v2, v2
	v_cmp_eq_u32_e32 vcc, 0, v1
	s_addc_u32 s7, s27, s7
	v_mbcnt_hi_u32_b32 v18, -1, v4
	v_mul_lo_u32 v12, s5, v2
	v_add_co_u32_e64 v10, s[4:5], s4, v10
	v_addc_co_u32_e64 v11, s[4:5], 0, v11, s[4:5]
	v_mul_hi_u32 v13, v2, v12
	v_add_co_u32_e64 v6, s[4:5], v10, v6
	v_addc_co_u32_e64 v10, s[4:5], 0, v11, s[4:5]
	v_subrev_u32_e32 v11, s21, v5
	v_add_u32_e32 v15, 1, v11
	v_lshlrev_b32_e32 v11, 2, v5
	v_mul_u32_u24_e32 v12, 24, v1
	v_and_b32_e32 v1, 60, v3
	v_lshl_or_b32 v11, v8, 5, v11
	v_add_u32_e32 v13, v2, v13
	v_mov_b32_e32 v2, s7
	v_add_co_u32_e64 v1, s[6:7], s6, v1
	v_add_u32_e32 v16, 0xd0, v11
	v_and_b32_e32 v11, 64, v18
	s_mov_b32 s34, s13
	v_cmp_neq_f32_e64 s[4:5], s45, 0
	v_addc_co_u32_e64 v2, s[6:7], 0, v2, s[6:7]
	v_lshlrev_b32_e32 v14, 3, v8
	v_mov_b32_e32 v17, 0xff7fffff
	s_mov_b64 s[38:39], 0
	v_add_u32_e32 v19, 64, v11
	v_xor_b32_e32 v20, 4, v18
	v_xor_b32_e32 v21, 2, v18
	v_mov_b32_e32 v11, 0xff7fffff
	v_mov_b32_e32 v22, v8
	s_branch .LBB57_13
.LBB57_11:                              ;   in Loop: Header=BB57_13 Depth=1
	s_or_b64 exec, exec, s[40:41]
.LBB57_12:                              ;   in Loop: Header=BB57_13 Depth=1
	s_or_b64 exec, exec, s[10:11]
	v_add_co_u32_e64 v1, s[6:7], 8, v1
	v_add_u32_e32 v22, 2, v22
	v_addc_co_u32_e64 v2, s[6:7], 0, v2, s[6:7]
	v_cmp_le_i32_e64 s[6:7], s44, v22
	v_add_u32_e32 v14, 16, v14
	s_or_b64 s[38:39], s[6:7], s[38:39]
	v_add_u32_e32 v16, 64, v16
	s_andn2_b64 exec, exec, s[38:39]
	s_cbranch_execz .LBB57_20
.LBB57_13:                              ; =>This Inner Loop Header: Depth=1
	v_mul_hi_u32 v23, v14, s33
	s_waitcnt lgkmcnt(0)
	v_mul_lo_u32 v24, v23, s23
	v_add_u32_e32 v25, 1, v23
	v_sub_u32_e32 v24, v14, v24
	v_cmp_le_u32_e64 s[6:7], s23, v24
	v_cndmask_b32_e64 v23, v23, v25, s[6:7]
	v_subrev_u32_e32 v25, s23, v24
	v_cndmask_b32_e64 v24, v24, v25, s[6:7]
	v_add_u32_e32 v25, 1, v23
	v_cmp_le_u32_e64 s[6:7], s23, v24
	v_cndmask_b32_e64 v23, v23, v25, s[6:7]
	v_xor_b32_e32 v23, s43, v23
	v_subrev_u32_e32 v23, s43, v23
	v_add_u32_e32 v24, s42, v23
	v_sub_u32_e32 v25, 0, v24
	v_max_i32_e32 v25, v24, v25
	v_mul_hi_u32 v26, v25, v13
	v_ashrrev_i32_e32 v24, 31, v24
	v_cmp_ge_i32_e64 s[10:11], s16, v23
	v_mul_lo_u32 v26, v26, s15
	v_sub_u32_e32 v25, v25, v26
	v_subrev_u32_e32 v26, s15, v25
	v_cmp_le_u32_e64 s[6:7], s15, v25
	v_cndmask_b32_e64 v25, v25, v26, s[6:7]
	v_subrev_u32_e32 v26, s15, v25
	v_cmp_le_u32_e64 s[6:7], s15, v25
	v_cndmask_b32_e64 v25, v25, v26, s[6:7]
	v_xor_b32_e32 v25, v25, v24
	v_sub_u32_e32 v24, v25, v24
	v_cmp_ne_u32_e64 s[6:7], 0, v24
	s_and_b64 s[6:7], s[6:7], s[10:11]
	s_and_saveexec_b64 s[10:11], s[6:7]
	s_xor_b64 s[6:7], exec, s[10:11]
	s_cbranch_execz .LBB57_17
; %bb.14:                               ;   in Loop: Header=BB57_13 Depth=1
	s_and_saveexec_b64 s[10:11], vcc
; %bb.15:                               ;   in Loop: Header=BB57_13 Depth=1
	ds_write_b32 v16, v17
; %bb.16:                               ;   in Loop: Header=BB57_13 Depth=1
	s_or_b64 exec, exec, s[10:11]
.LBB57_17:                              ;   in Loop: Header=BB57_13 Depth=1
	s_andn2_saveexec_b64 s[10:11], s[6:7]
	s_cbranch_execz .LBB57_12
; %bb.18:                               ;   in Loop: Header=BB57_13 Depth=1
	global_load_dword v23, v[1:2], off
	s_waitcnt vmcnt(0)
	v_mad_i64_i32 v[23:24], s[6:7], v23, s34, 0
	v_lshlrev_b64 v[23:24], 1, v[23:24]
	v_add_co_u32_e64 v23, s[6:7], v6, v23
	v_addc_co_u32_e64 v24, s[6:7], v10, v24, s[6:7]
	global_load_ushort v25, v[23:24], off
	global_load_ushort v26, v[23:24], off offset:128
	global_load_ushort v28, v[23:24], off offset:256
	;; [unrolled: 1-line block ×10, first 2 shown]
	ds_read_u16 v27, v12
	global_load_ushort v44, v[23:24], off offset:1408
	s_waitcnt lgkmcnt(0)
	;;#ASMSTART
	v_cvt_f32_f16 v23, v27;
	;;#ASMEND
	v_cmp_lt_i32_e64 s[6:7], v20, v19
	v_cndmask_b32_e64 v39, v18, v20, s[6:7]
	v_lshlrev_b32_e32 v39, 2, v39
	v_cmp_lt_i32_e64 s[6:7], v21, v19
	s_waitcnt vmcnt(11)
	;;#ASMSTART
	v_cvt_f32_f16 v24, v25;
	;;#ASMEND
	ds_read_u16 v25, v12 offset:2
	s_waitcnt lgkmcnt(0)
	;;#ASMSTART
	v_cvt_f32_f16 v25, v25;
	;;#ASMEND
	s_waitcnt vmcnt(10)
	;;#ASMSTART
	v_cvt_f32_f16 v26, v26;
	;;#ASMEND
	v_mul_f32_e32 v25, v25, v26
	ds_read_u16 v27, v12 offset:4
	v_fmac_f32_e32 v25, v23, v24
	s_waitcnt lgkmcnt(0)
	;;#ASMSTART
	v_cvt_f32_f16 v27, v27;
	;;#ASMEND
	s_waitcnt vmcnt(9)
	;;#ASMSTART
	v_cvt_f32_f16 v28, v28;
	;;#ASMEND
	ds_read_u16 v29, v12 offset:6
	v_fmac_f32_e32 v25, v27, v28
	s_waitcnt lgkmcnt(0)
	;;#ASMSTART
	v_cvt_f32_f16 v29, v29;
	;;#ASMEND
	s_waitcnt vmcnt(8)
	;;#ASMSTART
	v_cvt_f32_f16 v30, v30;
	;;#ASMEND
	;; [unrolled: 10-line block ×7, first 2 shown]
	v_fmac_f32_e32 v25, v40, v41
	ds_read_u16 v45, v12 offset:18
	s_waitcnt lgkmcnt(0)
	;;#ASMSTART
	v_cvt_f32_f16 v23, v45;
	;;#ASMEND
	s_waitcnt vmcnt(2)
	;;#ASMSTART
	v_cvt_f32_f16 v24, v42;
	;;#ASMEND
	ds_read_u16 v26, v12 offset:20
	v_fmac_f32_e32 v25, v23, v24
	s_waitcnt lgkmcnt(0)
	;;#ASMSTART
	v_cvt_f32_f16 v26, v26;
	;;#ASMEND
	s_waitcnt vmcnt(1)
	;;#ASMSTART
	v_cvt_f32_f16 v27, v43;
	;;#ASMEND
	v_fmac_f32_e32 v25, v26, v27
	ds_read_u16 v28, v12 offset:22
	s_waitcnt lgkmcnt(0)
	;;#ASMSTART
	v_cvt_f32_f16 v23, v28;
	;;#ASMEND
	s_waitcnt vmcnt(0)
	;;#ASMSTART
	v_cvt_f32_f16 v24, v44;
	;;#ASMEND
	v_fmac_f32_e32 v25, v23, v24
	ds_bpermute_b32 v23, v39, v25
	v_cndmask_b32_e64 v24, v18, v21, s[6:7]
	v_lshlrev_b32_e32 v24, 2, v24
	s_waitcnt lgkmcnt(0)
	v_add_f32_e32 v23, v25, v23
	ds_bpermute_b32 v24, v24, v23
	v_xor_b32_e32 v25, 1, v18
	v_cmp_lt_i32_e64 s[6:7], v25, v19
	v_cndmask_b32_e64 v25, v18, v25, s[6:7]
	s_waitcnt lgkmcnt(0)
	v_add_f32_e32 v23, v23, v24
	v_lshlrev_b32_e32 v24, 2, v25
	ds_bpermute_b32 v24, v24, v23
	s_and_saveexec_b64 s[40:41], vcc
	s_cbranch_execz .LBB57_11
; %bb.19:                               ;   in Loop: Header=BB57_13 Depth=1
	v_add_u32_e32 v25, v15, v14
	v_cvt_f32_i32_e32 v25, v25
	s_waitcnt lgkmcnt(0)
	v_add_f32_e32 v23, v23, v24
	v_add_u32_e32 v26, v5, v14
	v_cmp_gt_i32_e64 s[6:7], s21, v26
	v_mul_f32_e32 v24, s45, v25
	v_cndmask_b32_e64 v24, 0, v24, s[4:5]
	v_fmac_f32_e32 v24, s35, v23
	v_cndmask_b32_e64 v23, 0, v24, s[6:7]
	ds_write_b32 v16, v23
	v_max_f32_e32 v23, v11, v11
	v_max_f32_e32 v23, v23, v24
	v_cndmask_b32_e64 v11, v11, v23, s[6:7]
	s_branch .LBB57_11
.LBB57_20:
	s_or_b64 exec, exec, s[38:39]
.LBB57_21:
	s_or_b64 exec, exec, s[36:37]
	v_mbcnt_hi_u32_b32 v1, -1, v4
	v_and_b32_e32 v14, 64, v1
	v_add_u32_e32 v2, 64, v14
	v_xor_b32_e32 v4, 32, v1
	v_cmp_lt_i32_e32 vcc, v4, v2
	v_cndmask_b32_e32 v4, v1, v4, vcc
	v_lshlrev_b32_e32 v5, 2, v4
	ds_bpermute_b32 v4, v5, v11
	v_xor_b32_e32 v10, 16, v1
	v_max_f32_e32 v6, v11, v11
	v_cmp_lt_i32_e32 vcc, v10, v2
	s_waitcnt lgkmcnt(0)
	v_max_f32_e32 v4, v4, v4
	v_max_f32_e32 v4, v6, v4
	v_cndmask_b32_e32 v6, v1, v10, vcc
	v_lshlrev_b32_e32 v11, 2, v6
	ds_bpermute_b32 v6, v11, v4
	v_xor_b32_e32 v10, 8, v1
	v_cmp_lt_i32_e32 vcc, v10, v2
	s_waitcnt lgkmcnt(0)
	v_max_f32_e32 v6, v6, v6
	v_max_f32_e32 v6, v4, v6
	v_cndmask_b32_e32 v4, v1, v10, vcc
	v_lshlrev_b32_e32 v13, 2, v4
	ds_bpermute_b32 v12, v13, v6
	v_and_b32_e32 v10, 63, v0
	v_cmp_eq_u32_e32 vcc, 0, v10
	v_lshlrev_b32_e32 v4, 2, v8
	s_and_saveexec_b64 s[4:5], vcc
	s_cbranch_execz .LBB57_23
; %bb.22:
	s_waitcnt lgkmcnt(0)
	v_max_f32_e32 v12, v12, v12
	v_max_f32_e32 v6, v6, v6
	;; [unrolled: 1-line block ×3, first 2 shown]
	ds_write_b32 v4, v6 offset:192
.LBB57_23:
	s_or_b64 exec, exec, s[4:5]
	v_cmp_gt_u32_e64 s[4:5], 2, v10
	v_mov_b32_e32 v15, 0xff7fffff
	v_lshlrev_b32_e32 v6, 2, v10
	s_waitcnt lgkmcnt(0)
	s_barrier
	s_and_saveexec_b64 s[6:7], s[4:5]
; %bb.24:
	ds_read_b32 v15, v6 offset:192
; %bb.25:
	s_or_b64 exec, exec, s[6:7]
	v_xor_b32_e32 v12, 1, v1
	v_cmp_lt_i32_e64 s[6:7], v12, v2
	v_cndmask_b32_e64 v12, v1, v12, s[6:7]
	v_lshlrev_b32_e32 v12, 2, v12
	s_waitcnt lgkmcnt(0)
	ds_bpermute_b32 v16, v12, v15
	v_max_f32_e32 v15, v15, v15
	v_lshlrev_b32_e32 v14, 2, v14
	s_lshl_b32 s6, s44, 3
	s_min_i32 s15, s6, s21
	s_waitcnt lgkmcnt(0)
	v_max_f32_e32 v16, v16, v16
	v_max_f32_e32 v15, v15, v16
	ds_bpermute_b32 v15, v14, v15
	v_cmp_gt_i32_e64 s[6:7], s15, v0
	v_mov_b32_e32 v14, 0
	s_and_saveexec_b64 s[34:35], s[6:7]
	s_cbranch_execz .LBB57_29
; %bb.26:
	v_mov_b32_e32 v14, 0xd0
	v_lshl_add_u32 v16, v0, 2, v14
	v_mov_b32_e32 v14, 0
	s_mov_b64 s[36:37], 0
	v_mov_b32_e32 v17, v0
.LBB57_27:                              ; =>This Inner Loop Header: Depth=1
	ds_read_b32 v18, v16
	v_add_u32_e32 v17, 0x80, v17
	v_cmp_le_i32_e64 s[10:11], s15, v17
	s_or_b64 s[36:37], s[10:11], s[36:37]
	s_waitcnt lgkmcnt(0)
	v_sub_f32_e32 v18, v18, v15
	v_mul_f32_e32 v18, 0x3fb8aa3b, v18
	v_exp_f32_e32 v18, v18
	ds_write_b32 v16, v18
	v_add_f32_e32 v14, v14, v18
	v_add_u32_e32 v16, 0x200, v16
	s_andn2_b64 exec, exec, s[36:37]
	s_cbranch_execnz .LBB57_27
; %bb.28:
	s_or_b64 exec, exec, s[36:37]
.LBB57_29:
	s_or_b64 exec, exec, s[34:35]
	ds_bpermute_b32 v5, v5, v14
	s_waitcnt lgkmcnt(0)
	v_add_f32_e32 v5, v14, v5
	ds_bpermute_b32 v11, v11, v5
	s_waitcnt lgkmcnt(0)
	v_add_f32_e32 v5, v5, v11
	ds_bpermute_b32 v11, v13, v5
	v_xor_b32_e32 v13, 4, v1
	v_cmp_lt_i32_e64 s[10:11], v13, v2
	v_cndmask_b32_e64 v13, v1, v13, s[10:11]
	v_lshlrev_b32_e32 v13, 2, v13
	s_waitcnt lgkmcnt(0)
	v_add_f32_e32 v5, v5, v11
	ds_bpermute_b32 v11, v13, v5
	v_xor_b32_e32 v13, 2, v1
	v_cmp_lt_i32_e64 s[10:11], v13, v2
	v_cndmask_b32_e64 v2, v1, v13, s[10:11]
	v_lshlrev_b32_e32 v2, 2, v2
	s_waitcnt lgkmcnt(0)
	v_add_f32_e32 v5, v5, v11
	ds_bpermute_b32 v2, v2, v5
	s_waitcnt lgkmcnt(0)
	v_add_f32_e32 v2, v5, v2
	ds_bpermute_b32 v5, v12, v2
	s_waitcnt lgkmcnt(0)
	v_add_f32_e32 v2, v2, v5
	s_and_saveexec_b64 s[10:11], vcc
; %bb.30:
	ds_write_b32 v4, v2 offset:200
; %bb.31:
	s_or_b64 exec, exec, s[10:11]
	s_waitcnt lgkmcnt(0)
	s_barrier
	s_and_saveexec_b64 s[10:11], s[4:5]
; %bb.32:
	ds_read_b32 v2, v6 offset:200
; %bb.33:
	s_or_b64 exec, exec, s[10:11]
	s_waitcnt lgkmcnt(0)
	ds_bpermute_b32 v4, v12, v2
	v_lshlrev_b32_e32 v1, 2, v1
	v_and_b32_e32 v1, 0x100, v1
	s_waitcnt lgkmcnt(0)
	v_add_f32_e32 v2, v2, v4
	ds_bpermute_b32 v1, v1, v2
	s_and_saveexec_b64 s[4:5], s[6:7]
	s_cbranch_execz .LBB57_36
; %bb.34:
	s_waitcnt lgkmcnt(0)
	v_add_f32_e32 v2, 0x358637bd, v1
	v_div_scale_f32 v1, s[6:7], v2, v2, 1.0
	v_div_scale_f32 v4, vcc, 1.0, v2, 1.0
	s_mov_b64 s[6:7], 0
	v_rcp_f32_e32 v5, v1
	v_fma_f32 v6, -v1, v5, 1.0
	v_fmac_f32_e32 v5, v6, v5
	v_mul_f32_e32 v6, v4, v5
	v_fma_f32 v11, -v1, v6, v4
	v_fmac_f32_e32 v6, v11, v5
	v_fma_f32 v1, -v1, v6, v4
	v_div_fmas_f32 v4, v1, v5, v6
	v_mov_b32_e32 v1, 0xd0
	v_lshl_add_u32 v1, v0, 2, v1
	v_div_fixup_f32 v2, v4, v2, 1.0
	v_mov_b32_e32 v4, v0
.LBB57_35:                              ; =>This Inner Loop Header: Depth=1
	ds_read_b32 v5, v1
	v_add_u32_e32 v4, 0x80, v4
	v_cmp_le_i32_e32 vcc, s15, v4
	s_or_b64 s[6:7], vcc, s[6:7]
	s_waitcnt lgkmcnt(0)
	v_mul_f32_e32 v5, v2, v5
	ds_write_b32 v1, v5
	v_add_u32_e32 v1, 0x200, v1
	s_andn2_b64 exec, exec, s[6:7]
	s_cbranch_execnz .LBB57_35
.LBB57_36:
	s_or_b64 exec, exec, s[4:5]
	v_mov_b32_e32 v12, 0
	v_mov_b32_e32 v11, 0
	s_waitcnt lgkmcnt(0)
	s_barrier
	s_and_saveexec_b64 s[6:7], s[2:3]
	s_cbranch_execz .LBB57_48
; %bb.37:
	s_ashr_i32 s15, s14, 31
	s_sub_i32 s34, s12, s17
	s_lshl_b64 s[2:3], s[14:15], 1
	s_add_u32 s30, s30, s2
	s_addc_u32 s31, s31, s3
	s_abs_i32 s18, s18
	v_cvt_f32_u32_e32 v1, s18
	s_sub_i32 s3, 0, s18
	s_add_i32 s36, s44, -1
	s_lshl_b64 s[4:5], s[28:29], 2
	v_rcp_iflag_f32_e32 v1, v1
	s_add_u32 s4, s26, s4
	v_and_b32_e32 v3, 60, v3
	s_addc_u32 s5, s27, s5
	v_mul_f32_e32 v1, 0x4f7ffffe, v1
	v_cvt_u32_f32_e32 v1, v1
	v_or_b32_e32 v4, 64, v10
	s_movk_i32 s2, 0x60
	v_lshlrev_b32_e32 v2, 3, v10
	v_mul_lo_u32 v5, s3, v1
	v_cmp_gt_u32_e64 s[2:3], s2, v4
	v_lshlrev_b32_e32 v4, 3, v4
	s_mov_b32 s35, s13
	v_mul_hi_u32 v5, v1, v5
	v_mov_b32_e32 v13, 0
	s_mov_b64 s[10:11], 0
	v_lshlrev_b32_e32 v16, 1, v2
	v_add_u32_e32 v14, v1, v5
	v_mov_b32_e32 v1, s5
	v_add_co_u32_e32 v5, vcc, s4, v3
	v_addc_co_u32_e32 v6, vcc, 0, v1, vcc
	v_mov_b32_e32 v1, 0xd0
	v_lshl_add_u32 v15, v8, 5, v1
	s_mov_b32 s26, 0xffff
	v_lshlrev_b32_e32 v17, 1, v4
	v_mov_b32_e32 v11, 0
	v_mov_b32_e32 v12, 0
	s_branch .LBB57_41
.LBB57_38:                              ;   in Loop: Header=BB57_41 Depth=1
	s_or_b64 exec, exec, s[16:17]
	v_lshlrev_b32_e32 v26, 16, v26
	v_and_or_b32 v1, v1, s26, v26
	v_lshlrev_b32_e32 v25, 16, v25
	v_lshlrev_b32_e32 v24, 16, v24
	v_and_or_b32 v2, v2, s26, v25
	v_and_or_b32 v3, v3, s26, v24
	;;#ASMSTART
	v_pk_mul_f16 v1, v21, v1;

	;;#ASMEND
	;;#ASMSTART
	v_pk_mul_f16 v2, v22, v2;

	;;#ASMEND
	;; [unrolled: 4-line block ×4, first 2 shown]
	;;#ASMSTART
	v_pk_add_f16 v1, v1, v2;

	;;#ASMEND
	;;#ASMSTART
	v_pk_add_f16 v1, v1, v3;

	;;#ASMEND
	;; [unrolled: 4-line block ×3, first 2 shown]
	v_lshrrev_b32_e32 v2, 16, v1
	v_and_b32_e32 v1, 0xffff, v1
	;;#ASMSTART
	v_cvt_f32_f16 v1, v1;
	;;#ASMEND
	;;#ASMSTART
	v_cvt_f32_f16 v2, v2;
	;;#ASMEND
	v_add_f32_e32 v1, v1, v2
	v_add_f32_e32 v11, v11, v1
.LBB57_39:                              ;   in Loop: Header=BB57_41 Depth=1
	s_or_b64 exec, exec, s[14:15]
	v_add_f32_e32 v1, v18, v19
	v_add_f32_e32 v12, v12, v1
.LBB57_40:                              ;   in Loop: Header=BB57_41 Depth=1
	s_or_b64 exec, exec, s[12:13]
	v_add_co_u32_e32 v5, vcc, 8, v5
	v_add_u32_e32 v8, 2, v8
	v_addc_co_u32_e32 v6, vcc, 0, v6, vcc
	v_cmp_le_i32_e32 vcc, s44, v8
	v_add_u32_e32 v9, 16, v9
	s_or_b64 s[10:11], vcc, s[10:11]
	v_add_u32_e32 v15, 64, v15
	s_andn2_b64 exec, exec, s[10:11]
	s_cbranch_execz .LBB57_47
.LBB57_41:                              ; =>This Inner Loop Header: Depth=1
	v_mul_hi_u32 v1, v9, s33
	v_mul_lo_u32 v2, v1, s23
	v_add_u32_e32 v3, 1, v1
	v_sub_u32_e32 v2, v9, v2
	v_cmp_le_u32_e32 vcc, s23, v2
	v_cndmask_b32_e32 v1, v1, v3, vcc
	v_subrev_u32_e32 v3, s23, v2
	v_cndmask_b32_e32 v2, v2, v3, vcc
	v_add_u32_e32 v3, 1, v1
	v_cmp_le_u32_e32 vcc, s23, v2
	v_cndmask_b32_e32 v1, v1, v3, vcc
	v_xor_b32_e32 v1, s43, v1
	v_subrev_u32_e32 v1, s43, v1
	v_add_u32_e32 v2, s42, v1
	v_sub_u32_e32 v3, 0, v2
	v_max_i32_e32 v3, v2, v3
	v_mul_hi_u32 v4, v3, v14
	v_ashrrev_i32_e32 v2, 31, v2
	v_cmp_lt_i32_e64 s[4:5], s34, v1
	v_mul_lo_u32 v4, v4, s18
	v_sub_u32_e32 v3, v3, v4
	v_subrev_u32_e32 v4, s18, v3
	v_cmp_le_u32_e32 vcc, s18, v3
	v_cndmask_b32_e32 v3, v3, v4, vcc
	v_subrev_u32_e32 v4, s18, v3
	v_cmp_le_u32_e32 vcc, s18, v3
	v_cndmask_b32_e32 v3, v3, v4, vcc
	v_xor_b32_e32 v3, v3, v2
	v_sub_u32_e32 v2, v3, v2
	v_cmp_eq_u32_e32 vcc, 0, v2
	s_or_b64 s[4:5], vcc, s[4:5]
	s_and_saveexec_b64 s[12:13], s[4:5]
	s_cbranch_execz .LBB57_40
; %bb.42:                               ;   in Loop: Header=BB57_41 Depth=1
	global_load_dword v21, v[5:6], off
	ds_read2_b64 v[1:4], v15 offset1:1
	ds_read2_b64 v[25:28], v15 offset0:2 offset1:3
	v_mov_b32_e32 v29, s31
	s_waitcnt lgkmcnt(1)
	;;#ASMSTART
	v_cvt_f16_f32 v18, v1;

	;;#ASMEND
	;;#ASMSTART
	v_cvt_f16_f32 v19, v2;

	;;#ASMEND
	;; [unrolled: 4-line block ×4, first 2 shown]
	s_waitcnt lgkmcnt(0)
	;;#ASMSTART
	v_cvt_f16_f32 v23, v25;

	;;#ASMEND
	;;#ASMSTART
	v_cvt_f16_f32 v26, v26;

	;;#ASMEND
	;; [unrolled: 4-line block ×4, first 2 shown]
	s_waitcnt vmcnt(0)
	v_mad_i64_i32 v[1:2], s[4:5], v21, s35, 0
	v_cmp_eq_u32_e64 s[4:5], s36, v8
	v_lshlrev_b64 v[1:2], 1, v[1:2]
	v_add_co_u32_e32 v24, vcc, s30, v1
	v_addc_co_u32_e32 v25, vcc, v29, v2, vcc
	v_add_co_u32_e32 v1, vcc, v24, v16
	v_addc_co_u32_e32 v2, vcc, 0, v25, vcc
	global_load_dwordx4 v[1:4], v[1:2], off
	s_waitcnt vmcnt(0)
	v_lshrrev_b32_e32 v31, 16, v1
	v_lshrrev_b32_e32 v30, 16, v2
	;; [unrolled: 1-line block ×3, first 2 shown]
	s_and_saveexec_b64 s[14:15], s[4:5]
	s_cbranch_execz .LBB57_44
; %bb.43:                               ;   in Loop: Header=BB57_41 Depth=1
	v_cmp_gt_i32_e32 vcc, s21, v9
	v_add_u32_e32 v21, 1, v9
	v_cndmask_b32_e32 v1, 0, v1, vcc
	v_cmp_gt_i32_e32 vcc, s21, v21
	v_add_u32_e32 v21, 2, v9
	v_cndmask_b32_e32 v31, 0, v31, vcc
	;; [unrolled: 3-line block ×6, first 2 shown]
	v_cmp_gt_i32_e32 vcc, s21, v21
	v_add_u32_e32 v32, 7, v9
	v_cndmask_b32_sdwa v21, v13, v4, vcc dst_sel:DWORD dst_unused:UNUSED_PAD src0_sel:DWORD src1_sel:WORD_0
	v_and_b32_e32 v4, 0xffff0000, v4
	v_cmp_gt_i32_e32 vcc, s21, v32
	v_cndmask_b32_e32 v4, 0, v4, vcc
	v_or_b32_e32 v4, v21, v4
.LBB57_44:                              ;   in Loop: Header=BB57_41 Depth=1
	s_or_b64 exec, exec, s[14:15]
	v_and_b32_e32 v18, 0xffff, v18
	v_lshl_or_b32 v21, v19, 16, v18
	v_and_b32_e32 v18, 0xffff, v20
	v_lshl_or_b32 v22, v22, 16, v18
	;; [unrolled: 2-line block ×4, first 2 shown]
	v_lshlrev_b32_e32 v18, 16, v31
	v_and_or_b32 v1, v1, s26, v18
	v_lshlrev_b32_e32 v18, 16, v30
	v_and_or_b32 v2, v2, s26, v18
	;; [unrolled: 2-line block ×3, first 2 shown]
	;;#ASMSTART
	v_pk_mul_f16 v1, v21, v1;

	;;#ASMEND
	;;#ASMSTART
	v_pk_mul_f16 v2, v22, v2;

	;;#ASMEND
	;; [unrolled: 4-line block ×4, first 2 shown]
	;;#ASMSTART
	v_pk_add_f16 v1, v1, v2;

	;;#ASMEND
	;;#ASMSTART
	v_pk_add_f16 v1, v1, v3;

	;;#ASMEND
	;; [unrolled: 4-line block ×3, first 2 shown]
	v_lshrrev_b32_e32 v2, 16, v1
	v_and_b32_e32 v1, 0xffff, v1
	;;#ASMSTART
	v_cvt_f32_f16 v18, v1;
	;;#ASMEND
	;;#ASMSTART
	v_cvt_f32_f16 v19, v2;
	;;#ASMEND
	s_and_saveexec_b64 s[14:15], s[2:3]
	s_cbranch_execz .LBB57_39
; %bb.45:                               ;   in Loop: Header=BB57_41 Depth=1
	v_add_co_u32_e32 v1, vcc, v24, v17
	v_addc_co_u32_e32 v2, vcc, 0, v25, vcc
	global_load_dwordx4 v[1:4], v[1:2], off
	s_waitcnt vmcnt(0)
	v_lshrrev_b32_e32 v26, 16, v1
	v_lshrrev_b32_e32 v25, 16, v2
	;; [unrolled: 1-line block ×3, first 2 shown]
	s_and_saveexec_b64 s[16:17], s[4:5]
	s_cbranch_execz .LBB57_38
; %bb.46:                               ;   in Loop: Header=BB57_41 Depth=1
	v_cmp_gt_i32_e32 vcc, s21, v9
	v_add_u32_e32 v27, 1, v9
	v_cndmask_b32_e32 v1, 0, v1, vcc
	v_cmp_gt_i32_e32 vcc, s21, v27
	v_add_u32_e32 v27, 2, v9
	v_cndmask_b32_e32 v26, 0, v26, vcc
	;; [unrolled: 3-line block ×6, first 2 shown]
	v_cmp_gt_i32_e32 vcc, s21, v27
	v_add_u32_e32 v28, 7, v9
	v_cndmask_b32_sdwa v27, v13, v4, vcc dst_sel:DWORD dst_unused:UNUSED_PAD src0_sel:DWORD src1_sel:WORD_0
	v_and_b32_e32 v4, 0xffff0000, v4
	v_cmp_gt_i32_e32 vcc, s21, v28
	v_cndmask_b32_e32 v4, 0, v4, vcc
	v_or_b32_e32 v4, v27, v4
	s_branch .LBB57_38
.LBB57_47:
	s_or_b64 exec, exec, s[10:11]
.LBB57_48:
	s_or_b64 exec, exec, s[6:7]
	v_and_b32_e32 v1, 0x3c0, v0
	v_cmp_eq_u32_e32 vcc, 64, v1
	s_barrier
	s_and_saveexec_b64 s[2:3], vcc
	s_cbranch_execz .LBB57_51
; %bb.49:
	v_mov_b32_e32 v1, 0xd0
	v_lshl_add_u32 v2, v10, 2, v1
	ds_write_b32 v2, v12
	s_and_b64 exec, exec, s[0:1]
; %bb.50:
	v_lshl_add_u32 v1, v0, 2, v1
	ds_write_b32 v1, v11
.LBB57_51:
	s_or_b64 exec, exec, s[2:3]
	v_cmp_gt_u32_e32 vcc, 64, v0
	v_or_b32_e32 v1, 64, v0
	s_waitcnt lgkmcnt(0)
	s_barrier
	s_and_saveexec_b64 s[2:3], vcc
	s_cbranch_execz .LBB57_55
; %bb.52:
	v_mov_b32_e32 v2, 0xd0
	v_lshl_add_u32 v2, v0, 2, v2
	ds_read_b32 v0, v2
	s_movk_i32 s0, 0x60
	v_cmp_gt_u32_e64 s[0:1], s0, v1
	s_and_saveexec_b64 s[4:5], s[0:1]
	s_cbranch_execz .LBB57_54
; %bb.53:
	ds_read_b32 v2, v2 offset:256
	s_waitcnt lgkmcnt(0)
	v_add_f32_e32 v11, v11, v2
.LBB57_54:
	s_or_b64 exec, exec, s[4:5]
	s_waitcnt lgkmcnt(0)
	v_add_f32_e32 v12, v12, v0
.LBB57_55:
	s_or_b64 exec, exec, s[2:3]
	s_barrier
	s_and_saveexec_b64 s[0:1], vcc
	s_cbranch_execz .LBB57_58
; %bb.56:
	s_mul_i32 s0, s20, s19
	s_mul_i32 s0, s0, s9
	s_mulk_i32 s0, 0x60
	s_ashr_i32 s1, s0, 31
	s_lshl_b64 s[0:1], s[0:1], 1
	s_add_u32 s3, s24, s0
	s_mul_i32 s0, s19, s22
	s_addc_u32 s4, s25, s1
	s_ashr_i32 s1, s0, 31
	s_lshl_b64 s[0:1], s[0:1], 1
	s_add_u32 s3, s3, s0
	s_mul_i32 s0, s8, 0x60
	s_addc_u32 s4, s4, s1
	s_ashr_i32 s1, s0, 31
	s_lshl_b64 s[0:1], s[0:1], 1
	s_movk_i32 s2, 0x60
	s_add_u32 s0, s3, s0
	s_addc_u32 s1, s4, s1
	v_cmp_gt_u32_e32 vcc, s2, v1
	;;#ASMSTART
	v_cvt_f16_f32 v0, v12;

	;;#ASMEND
	global_store_short v7, v0, s[0:1]
	s_and_b64 exec, exec, vcc
	s_cbranch_execz .LBB57_58
; %bb.57:
	v_mov_b32_e32 v1, s1
	v_add_co_u32_e32 v0, vcc, s0, v7
	v_addc_co_u32_e32 v1, vcc, 0, v1, vcc
	;;#ASMSTART
	v_cvt_f16_f32 v2, v11;

	;;#ASMEND
	global_store_short v[0:1], v2, off offset:128
.LBB57_58:
	s_endpgm
	.section	.rodata,"a",@progbits
	.p2align	6, 0x0
	.amdhsa_kernel _ZN4vllm25paged_attention_v1_kernelIttLi96ELi8ELi128ELNS_18Fp8KVCacheDataTypeE0ELb1EEEvPT_PKS2_PKT0_S8_ifPKiSA_iPKfiiiSC_SC_iiiii
		.amdhsa_group_segment_fixed_size 208
		.amdhsa_private_segment_fixed_size 0
		.amdhsa_kernarg_size 384
		.amdhsa_user_sgpr_count 6
		.amdhsa_user_sgpr_private_segment_buffer 1
		.amdhsa_user_sgpr_dispatch_ptr 0
		.amdhsa_user_sgpr_queue_ptr 0
		.amdhsa_user_sgpr_kernarg_segment_ptr 1
		.amdhsa_user_sgpr_dispatch_id 0
		.amdhsa_user_sgpr_flat_scratch_init 0
		.amdhsa_user_sgpr_private_segment_size 0
		.amdhsa_uses_dynamic_stack 0
		.amdhsa_system_sgpr_private_segment_wavefront_offset 0
		.amdhsa_system_sgpr_workgroup_id_x 1
		.amdhsa_system_sgpr_workgroup_id_y 1
		.amdhsa_system_sgpr_workgroup_id_z 1
		.amdhsa_system_sgpr_workgroup_info 0
		.amdhsa_system_vgpr_workitem_id 0
		.amdhsa_next_free_vgpr 46
		.amdhsa_next_free_sgpr 46
		.amdhsa_reserve_vcc 1
		.amdhsa_reserve_flat_scratch 0
		.amdhsa_float_round_mode_32 0
		.amdhsa_float_round_mode_16_64 0
		.amdhsa_float_denorm_mode_32 3
		.amdhsa_float_denorm_mode_16_64 3
		.amdhsa_dx10_clamp 1
		.amdhsa_ieee_mode 1
		.amdhsa_fp16_overflow 0
		.amdhsa_exception_fp_ieee_invalid_op 0
		.amdhsa_exception_fp_denorm_src 0
		.amdhsa_exception_fp_ieee_div_zero 0
		.amdhsa_exception_fp_ieee_overflow 0
		.amdhsa_exception_fp_ieee_underflow 0
		.amdhsa_exception_fp_ieee_inexact 0
		.amdhsa_exception_int_div_zero 0
	.end_amdhsa_kernel
	.section	.text._ZN4vllm25paged_attention_v1_kernelIttLi96ELi8ELi128ELNS_18Fp8KVCacheDataTypeE0ELb1EEEvPT_PKS2_PKT0_S8_ifPKiSA_iPKfiiiSC_SC_iiiii,"axG",@progbits,_ZN4vllm25paged_attention_v1_kernelIttLi96ELi8ELi128ELNS_18Fp8KVCacheDataTypeE0ELb1EEEvPT_PKS2_PKT0_S8_ifPKiSA_iPKfiiiSC_SC_iiiii,comdat
.Lfunc_end57:
	.size	_ZN4vllm25paged_attention_v1_kernelIttLi96ELi8ELi128ELNS_18Fp8KVCacheDataTypeE0ELb1EEEvPT_PKS2_PKT0_S8_ifPKiSA_iPKfiiiSC_SC_iiiii, .Lfunc_end57-_ZN4vllm25paged_attention_v1_kernelIttLi96ELi8ELi128ELNS_18Fp8KVCacheDataTypeE0ELb1EEEvPT_PKS2_PKT0_S8_ifPKiSA_iPKfiiiSC_SC_iiiii
                                        ; -- End function
	.set _ZN4vllm25paged_attention_v1_kernelIttLi96ELi8ELi128ELNS_18Fp8KVCacheDataTypeE0ELb1EEEvPT_PKS2_PKT0_S8_ifPKiSA_iPKfiiiSC_SC_iiiii.num_vgpr, 46
	.set _ZN4vllm25paged_attention_v1_kernelIttLi96ELi8ELi128ELNS_18Fp8KVCacheDataTypeE0ELb1EEEvPT_PKS2_PKT0_S8_ifPKiSA_iPKfiiiSC_SC_iiiii.num_agpr, 0
	.set _ZN4vllm25paged_attention_v1_kernelIttLi96ELi8ELi128ELNS_18Fp8KVCacheDataTypeE0ELb1EEEvPT_PKS2_PKT0_S8_ifPKiSA_iPKfiiiSC_SC_iiiii.numbered_sgpr, 46
	.set _ZN4vllm25paged_attention_v1_kernelIttLi96ELi8ELi128ELNS_18Fp8KVCacheDataTypeE0ELb1EEEvPT_PKS2_PKT0_S8_ifPKiSA_iPKfiiiSC_SC_iiiii.num_named_barrier, 0
	.set _ZN4vllm25paged_attention_v1_kernelIttLi96ELi8ELi128ELNS_18Fp8KVCacheDataTypeE0ELb1EEEvPT_PKS2_PKT0_S8_ifPKiSA_iPKfiiiSC_SC_iiiii.private_seg_size, 0
	.set _ZN4vllm25paged_attention_v1_kernelIttLi96ELi8ELi128ELNS_18Fp8KVCacheDataTypeE0ELb1EEEvPT_PKS2_PKT0_S8_ifPKiSA_iPKfiiiSC_SC_iiiii.uses_vcc, 1
	.set _ZN4vllm25paged_attention_v1_kernelIttLi96ELi8ELi128ELNS_18Fp8KVCacheDataTypeE0ELb1EEEvPT_PKS2_PKT0_S8_ifPKiSA_iPKfiiiSC_SC_iiiii.uses_flat_scratch, 0
	.set _ZN4vllm25paged_attention_v1_kernelIttLi96ELi8ELi128ELNS_18Fp8KVCacheDataTypeE0ELb1EEEvPT_PKS2_PKT0_S8_ifPKiSA_iPKfiiiSC_SC_iiiii.has_dyn_sized_stack, 0
	.set _ZN4vllm25paged_attention_v1_kernelIttLi96ELi8ELi128ELNS_18Fp8KVCacheDataTypeE0ELb1EEEvPT_PKS2_PKT0_S8_ifPKiSA_iPKfiiiSC_SC_iiiii.has_recursion, 0
	.set _ZN4vllm25paged_attention_v1_kernelIttLi96ELi8ELi128ELNS_18Fp8KVCacheDataTypeE0ELb1EEEvPT_PKS2_PKT0_S8_ifPKiSA_iPKfiiiSC_SC_iiiii.has_indirect_call, 0
	.section	.AMDGPU.csdata,"",@progbits
; Kernel info:
; codeLenInByte = 4420
; TotalNumSgprs: 50
; NumVgprs: 46
; ScratchSize: 0
; MemoryBound: 0
; FloatMode: 240
; IeeeMode: 1
; LDSByteSize: 208 bytes/workgroup (compile time only)
; SGPRBlocks: 6
; VGPRBlocks: 11
; NumSGPRsForWavesPerEU: 50
; NumVGPRsForWavesPerEU: 46
; Occupancy: 5
; WaveLimiterHint : 1
; COMPUTE_PGM_RSRC2:SCRATCH_EN: 0
; COMPUTE_PGM_RSRC2:USER_SGPR: 6
; COMPUTE_PGM_RSRC2:TRAP_HANDLER: 0
; COMPUTE_PGM_RSRC2:TGID_X_EN: 1
; COMPUTE_PGM_RSRC2:TGID_Y_EN: 1
; COMPUTE_PGM_RSRC2:TGID_Z_EN: 1
; COMPUTE_PGM_RSRC2:TIDIG_COMP_CNT: 0
	.section	.text._ZN4vllm25paged_attention_v1_kernelIttLi112ELi8ELi128ELNS_18Fp8KVCacheDataTypeE0ELb1EEEvPT_PKS2_PKT0_S8_ifPKiSA_iPKfiiiSC_SC_iiiii,"axG",@progbits,_ZN4vllm25paged_attention_v1_kernelIttLi112ELi8ELi128ELNS_18Fp8KVCacheDataTypeE0ELb1EEEvPT_PKS2_PKT0_S8_ifPKiSA_iPKfiiiSC_SC_iiiii,comdat
	.protected	_ZN4vllm25paged_attention_v1_kernelIttLi112ELi8ELi128ELNS_18Fp8KVCacheDataTypeE0ELb1EEEvPT_PKS2_PKT0_S8_ifPKiSA_iPKfiiiSC_SC_iiiii ; -- Begin function _ZN4vllm25paged_attention_v1_kernelIttLi112ELi8ELi128ELNS_18Fp8KVCacheDataTypeE0ELb1EEEvPT_PKS2_PKT0_S8_ifPKiSA_iPKfiiiSC_SC_iiiii
	.globl	_ZN4vllm25paged_attention_v1_kernelIttLi112ELi8ELi128ELNS_18Fp8KVCacheDataTypeE0ELb1EEEvPT_PKS2_PKT0_S8_ifPKiSA_iPKfiiiSC_SC_iiiii
	.p2align	8
	.type	_ZN4vllm25paged_attention_v1_kernelIttLi112ELi8ELi128ELNS_18Fp8KVCacheDataTypeE0ELb1EEEvPT_PKS2_PKT0_S8_ifPKiSA_iPKfiiiSC_SC_iiiii,@function
_ZN4vllm25paged_attention_v1_kernelIttLi112ELi8ELi128ELNS_18Fp8KVCacheDataTypeE0ELb1EEEvPT_PKS2_PKT0_S8_ifPKiSA_iPKfiiiSC_SC_iiiii: ; @_ZN4vllm25paged_attention_v1_kernelIttLi112ELi8ELi128ELNS_18Fp8KVCacheDataTypeE0ELb1EEEvPT_PKS2_PKT0_S8_ifPKiSA_iPKfiiiSC_SC_iiiii
; %bb.0:
	s_load_dword s9, s[4:5], 0x80
	s_load_dwordx2 s[0:1], s[4:5], 0x30
	s_load_dwordx2 s[34:35], s[4:5], 0x20
	s_mov_b32 s20, s7
	s_ashr_i32 s21, s7, 31
	s_lshl_b64 s[2:3], s[20:21], 2
	s_waitcnt lgkmcnt(0)
	s_add_u32 s0, s0, s2
	s_addc_u32 s1, s1, s3
	s_abs_i32 s2, s34
	v_cvt_f32_u32_e32 v1, s2
	s_sub_i32 s10, 0, s2
	s_abs_i32 s7, s9
	s_xor_b32 s3, s9, s34
	v_rcp_iflag_f32_e32 v1, v1
	s_ashr_i32 s3, s3, 31
	s_mov_b32 s45, 0
	v_mul_f32_e32 v1, 0x4f7ffffe, v1
	v_cvt_u32_f32_e32 v1, v1
	v_readfirstlane_b32 s11, v1
	s_mul_i32 s10, s10, s11
	s_mul_hi_u32 s10, s11, s10
	s_add_i32 s11, s11, s10
	s_mul_hi_u32 s10, s7, s11
	s_mul_i32 s11, s10, s2
	s_sub_i32 s7, s7, s11
	s_add_i32 s11, s10, 1
	s_sub_i32 s12, s7, s2
	s_cmp_ge_u32 s7, s2
	s_cselect_b32 s10, s11, s10
	s_cselect_b32 s7, s12, s7
	s_add_i32 s11, s10, 1
	s_cmp_ge_u32 s7, s2
	s_cselect_b32 s2, s11, s10
	s_xor_b32 s2, s2, s3
	s_sub_i32 s11, s2, s3
	s_abs_i32 s10, s11
	v_cvt_f32_u32_e32 v1, s10
	s_load_dwordx2 s[2:3], s[4:5], 0x40
	s_sub_i32 s7, 0, s10
	s_abs_i32 s24, s6
	v_rcp_iflag_f32_e32 v1, v1
	v_mul_f32_e32 v1, 0x4f7ffffe, v1
	v_cvt_u32_f32_e32 v1, v1
	v_readfirstlane_b32 s12, v1
	s_mul_i32 s7, s7, s12
	s_mul_hi_u32 s7, s12, s7
	s_add_i32 s12, s12, s7
	s_waitcnt lgkmcnt(0)
	s_cmp_eq_u64 s[2:3], 0
	s_mul_hi_u32 s25, s24, s12
	s_cbranch_scc1 .LBB58_2
; %bb.1:
	s_ashr_i32 s7, s6, 31
	s_lshl_b64 s[12:13], s[6:7], 2
	s_add_u32 s2, s2, s12
	s_addc_u32 s3, s3, s13
	s_load_dword s45, s[2:3], 0x0
.LBB58_2:
	s_load_dword s21, s[0:1], 0x0
	s_load_dwordx4 s[12:15], s[4:5], 0x48
	s_movk_i32 s0, 0x70
	s_ashr_i32 s7, s6, 31
	s_ashr_i32 s26, s11, 31
	v_and_b32_e32 v1, 7, v0
	s_mul_i32 s22, s6, 0x70
	v_cmp_gt_u32_e64 s[0:1], s0, v0
	v_lshlrev_b32_e32 v7, 1, v0
	s_and_saveexec_b64 s[2:3], s[0:1]
	s_cbranch_execz .LBB58_4
; %bb.3:
	s_load_dwordx2 s[16:17], s[4:5], 0x8
	s_waitcnt lgkmcnt(0)
	s_mul_i32 s18, s12, s20
	s_ashr_i32 s19, s18, 31
	s_lshl_b64 s[18:19], s[18:19], 1
	v_lshrrev_b32_e32 v3, 2, v0
	s_add_u32 s11, s16, s18
	s_addc_u32 s12, s17, s19
	s_ashr_i32 s23, s22, 31
	s_lshl_b64 s[16:17], s[22:23], 1
	s_add_u32 s16, s11, s16
	s_addc_u32 s17, s12, s17
	global_load_ushort v2, v7, s[16:17]
	v_and_b32_e32 v3, 0xfe, v3
	v_mad_u32_u24 v3, v1, 28, v3
	s_waitcnt vmcnt(0)
	ds_write_b16 v3, v2
.LBB58_4:
	s_or_b64 exec, exec, s[2:3]
	s_mul_i32 s3, s25, s10
	s_sub_i32 s3, s24, s3
	s_xor_b32 s2, s7, s26
	s_add_i32 s7, s25, 1
	s_waitcnt lgkmcnt(0)
	s_sub_i32 s12, s3, s10
	s_load_dwordx4 s[16:19], s[4:5], 0x68
	s_load_dword s11, s[4:5], 0x78
	s_cmp_ge_u32 s3, s10
	s_cselect_b32 s7, s7, s25
	s_cselect_b32 s3, s12, s3
	s_add_i32 s12, s7, 1
	s_cmp_ge_u32 s3, s10
	s_cselect_b32 s3, s12, s7
	s_waitcnt lgkmcnt(0)
	s_abs_i32 s23, s19
	v_cvt_f32_u32_e32 v2, s23
	s_xor_b32 s3, s3, s2
	s_sub_i32 s7, s3, s2
	s_sub_i32 s2, 0, s23
	v_rcp_iflag_f32_e32 v2, v2
	s_add_i32 s15, s21, -1
	s_abs_i32 s10, s15
	v_mul_f32_e32 v2, 0x4f7ffffe, v2
	v_cvt_u32_f32_e32 v2, v2
	s_barrier
	v_readfirstlane_b32 s33, v2
	s_mul_i32 s2, s2, s33
	s_mul_hi_u32 s2, s33, s2
	s_add_i32 s33, s33, s2
	s_cmp_lt_i32 s11, 0
	s_mul_hi_u32 s12, s10, s33
	s_cbranch_scc0 .LBB58_6
; %bb.5:
	s_mul_i32 s2, s16, s34
	s_add_i32 s2, s7, s2
	s_mul_i32 s2, s2, s11
	s_sub_i32 s42, 1, s2
	s_mov_b64 s[2:3], 0
	s_branch .LBB58_7
.LBB58_6:
	s_mov_b64 s[2:3], -1
                                        ; implicit-def: $sgpr42
.LBB58_7:
	s_load_dwordx2 s[26:27], s[4:5], 0x28
	s_ashr_i32 s15, s15, 31
	s_andn2_b64 vcc, exec, s[2:3]
	s_ashr_i32 s43, s19, 31
	s_cbranch_vccnz .LBB58_9
; %bb.8:
	s_mul_i32 s2, s9, s16
	s_add_i32 s2, s2, s6
	s_mul_i32 s2, s2, s11
	s_add_i32 s42, s2, 1
.LBB58_9:
	s_load_dword s2, s[4:5], 0x38
	s_load_dwordx2 s[24:25], s[4:5], 0x0
	s_load_dwordx2 s[30:31], s[4:5], 0x18
	s_load_dword s19, s[4:5], 0x88
	s_xor_b32 s3, s15, s43
	s_waitcnt lgkmcnt(0)
	s_mul_i32 s28, s2, s20
	s_mul_i32 s2, s12, s23
	s_sub_i32 s2, s10, s2
	s_ashr_i32 s29, s28, 31
	s_add_i32 s6, s12, 1
	s_sub_i32 s10, s2, s23
	s_cmp_ge_u32 s2, s23
	s_cselect_b32 s6, s6, s12
	s_cselect_b32 s2, s10, s2
	s_add_i32 s10, s6, 1
	s_cmp_ge_u32 s2, s23
	s_cselect_b32 s2, s10, s6
	s_xor_b32 s2, s2, s3
	s_sub_i32 s12, s2, s3
	s_add_i32 s2, s21, 7
	s_ashr_i32 s3, s2, 31
	s_lshr_b32 s3, s3, 29
	s_add_i32 s2, s2, s3
	s_ashr_i32 s44, s2, 3
	v_lshrrev_b32_e32 v8, 6, v0
	v_cmp_gt_i32_e64 s[2:3], s44, v8
	v_mov_b32_e32 v11, 0xff7fffff
	s_mul_i32 s14, s7, s14
	v_lshrrev_b32_e32 v3, 4, v0
	v_lshlrev_b32_e32 v9, 3, v8
	v_mbcnt_lo_u32_b32 v4, -1, 0
	s_and_saveexec_b64 s[36:37], s[2:3]
	s_cbranch_execz .LBB58_21
; %bb.10:
	s_load_dwordx2 s[4:5], s[4:5], 0x10
	s_ashr_i32 s15, s14, 31
	s_sub_i32 s16, s12, s17
	s_lshl_b64 s[6:7], s[14:15], 1
	v_bfe_u32 v5, v0, 3, 3
	s_waitcnt lgkmcnt(0)
	s_add_u32 s4, s4, s6
	s_addc_u32 s5, s5, s7
	s_abs_i32 s15, s18
	v_cvt_f32_u32_e32 v2, s15
	v_mov_b32_e32 v11, s5
	s_sub_i32 s5, 0, s15
	v_lshlrev_b32_e32 v10, 4, v5
	v_rcp_iflag_f32_e32 v2, v2
	v_lshlrev_b32_e32 v6, 1, v1
	s_lshl_b64 s[6:7], s[28:29], 2
	s_add_u32 s6, s26, s6
	v_mul_f32_e32 v2, 0x4f7ffffe, v2
	v_cvt_u32_f32_e32 v2, v2
	v_cmp_eq_u32_e32 vcc, 0, v1
	s_addc_u32 s7, s27, s7
	v_mbcnt_hi_u32_b32 v18, -1, v4
	v_mul_lo_u32 v12, s5, v2
	v_add_co_u32_e64 v10, s[4:5], s4, v10
	v_addc_co_u32_e64 v11, s[4:5], 0, v11, s[4:5]
	v_mul_hi_u32 v13, v2, v12
	v_add_co_u32_e64 v6, s[4:5], v10, v6
	v_addc_co_u32_e64 v10, s[4:5], 0, v11, s[4:5]
	v_subrev_u32_e32 v11, s21, v5
	v_add_u32_e32 v15, 1, v11
	v_lshlrev_b32_e32 v11, 2, v5
	v_mul_u32_u24_e32 v12, 28, v1
	v_and_b32_e32 v1, 60, v3
	v_lshl_or_b32 v11, v8, 5, v11
	v_add_u32_e32 v13, v2, v13
	v_mov_b32_e32 v2, s7
	v_add_co_u32_e64 v1, s[6:7], s6, v1
	v_add_u32_e32 v16, 0xf0, v11
	v_and_b32_e32 v11, 64, v18
	s_mov_b32 s34, s13
	v_cmp_neq_f32_e64 s[4:5], s45, 0
	v_addc_co_u32_e64 v2, s[6:7], 0, v2, s[6:7]
	v_lshlrev_b32_e32 v14, 3, v8
	v_mov_b32_e32 v17, 0xff7fffff
	s_mov_b64 s[38:39], 0
	v_add_u32_e32 v19, 64, v11
	v_xor_b32_e32 v20, 4, v18
	v_xor_b32_e32 v21, 2, v18
	v_mov_b32_e32 v11, 0xff7fffff
	v_mov_b32_e32 v22, v8
	s_branch .LBB58_13
.LBB58_11:                              ;   in Loop: Header=BB58_13 Depth=1
	s_or_b64 exec, exec, s[40:41]
.LBB58_12:                              ;   in Loop: Header=BB58_13 Depth=1
	s_or_b64 exec, exec, s[10:11]
	v_add_co_u32_e64 v1, s[6:7], 8, v1
	v_add_u32_e32 v22, 2, v22
	v_addc_co_u32_e64 v2, s[6:7], 0, v2, s[6:7]
	v_cmp_le_i32_e64 s[6:7], s44, v22
	v_add_u32_e32 v14, 16, v14
	s_or_b64 s[38:39], s[6:7], s[38:39]
	v_add_u32_e32 v16, 64, v16
	s_andn2_b64 exec, exec, s[38:39]
	s_cbranch_execz .LBB58_20
.LBB58_13:                              ; =>This Inner Loop Header: Depth=1
	v_mul_hi_u32 v23, v14, s33
	s_waitcnt lgkmcnt(0)
	v_mul_lo_u32 v24, v23, s23
	v_add_u32_e32 v25, 1, v23
	v_sub_u32_e32 v24, v14, v24
	v_cmp_le_u32_e64 s[6:7], s23, v24
	v_cndmask_b32_e64 v23, v23, v25, s[6:7]
	v_subrev_u32_e32 v25, s23, v24
	v_cndmask_b32_e64 v24, v24, v25, s[6:7]
	v_add_u32_e32 v25, 1, v23
	v_cmp_le_u32_e64 s[6:7], s23, v24
	v_cndmask_b32_e64 v23, v23, v25, s[6:7]
	v_xor_b32_e32 v23, s43, v23
	v_subrev_u32_e32 v23, s43, v23
	v_add_u32_e32 v24, s42, v23
	v_sub_u32_e32 v25, 0, v24
	v_max_i32_e32 v25, v24, v25
	v_mul_hi_u32 v26, v25, v13
	v_ashrrev_i32_e32 v24, 31, v24
	v_cmp_ge_i32_e64 s[10:11], s16, v23
	v_mul_lo_u32 v26, v26, s15
	v_sub_u32_e32 v25, v25, v26
	v_subrev_u32_e32 v26, s15, v25
	v_cmp_le_u32_e64 s[6:7], s15, v25
	v_cndmask_b32_e64 v25, v25, v26, s[6:7]
	v_subrev_u32_e32 v26, s15, v25
	v_cmp_le_u32_e64 s[6:7], s15, v25
	v_cndmask_b32_e64 v25, v25, v26, s[6:7]
	v_xor_b32_e32 v25, v25, v24
	v_sub_u32_e32 v24, v25, v24
	v_cmp_ne_u32_e64 s[6:7], 0, v24
	s_and_b64 s[6:7], s[6:7], s[10:11]
	s_and_saveexec_b64 s[10:11], s[6:7]
	s_xor_b64 s[6:7], exec, s[10:11]
	s_cbranch_execz .LBB58_17
; %bb.14:                               ;   in Loop: Header=BB58_13 Depth=1
	s_and_saveexec_b64 s[10:11], vcc
; %bb.15:                               ;   in Loop: Header=BB58_13 Depth=1
	ds_write_b32 v16, v17
; %bb.16:                               ;   in Loop: Header=BB58_13 Depth=1
	s_or_b64 exec, exec, s[10:11]
.LBB58_17:                              ;   in Loop: Header=BB58_13 Depth=1
	s_andn2_saveexec_b64 s[10:11], s[6:7]
	s_cbranch_execz .LBB58_12
; %bb.18:                               ;   in Loop: Header=BB58_13 Depth=1
	global_load_dword v23, v[1:2], off
	s_waitcnt vmcnt(0)
	v_mad_i64_i32 v[23:24], s[6:7], v23, s34, 0
	v_lshlrev_b64 v[23:24], 1, v[23:24]
	v_add_co_u32_e64 v25, s[6:7], v6, v23
	v_addc_co_u32_e64 v26, s[6:7], v10, v24, s[6:7]
	global_load_ushort v27, v[25:26], off
	global_load_ushort v28, v[25:26], off offset:128
	global_load_ushort v30, v[25:26], off offset:256
	;; [unrolled: 1-line block ×10, first 2 shown]
	ds_read_u16 v29, v12
	global_load_ushort v47, v[25:26], off offset:1408
	global_load_ushort v24, v[25:26], off offset:1536
	;; [unrolled: 1-line block ×3, first 2 shown]
	s_waitcnt lgkmcnt(0)
	;;#ASMSTART
	v_cvt_f32_f16 v25, v29;
	;;#ASMEND
	v_cmp_lt_i32_e64 s[6:7], v20, v19
	v_cndmask_b32_e64 v45, v18, v20, s[6:7]
	v_lshlrev_b32_e32 v45, 2, v45
	v_cmp_lt_i32_e64 s[6:7], v21, v19
	s_waitcnt vmcnt(13)
	;;#ASMSTART
	v_cvt_f32_f16 v26, v27;
	;;#ASMEND
	ds_read_u16 v27, v12 offset:2
	s_waitcnt lgkmcnt(0)
	;;#ASMSTART
	v_cvt_f32_f16 v27, v27;
	;;#ASMEND
	s_waitcnt vmcnt(12)
	;;#ASMSTART
	v_cvt_f32_f16 v28, v28;
	;;#ASMEND
	v_mul_f32_e32 v27, v27, v28
	ds_read_u16 v29, v12 offset:4
	v_fmac_f32_e32 v27, v25, v26
	s_waitcnt lgkmcnt(0)
	;;#ASMSTART
	v_cvt_f32_f16 v29, v29;
	;;#ASMEND
	s_waitcnt vmcnt(11)
	;;#ASMSTART
	v_cvt_f32_f16 v30, v30;
	;;#ASMEND
	ds_read_u16 v31, v12 offset:6
	v_fmac_f32_e32 v27, v29, v30
	s_waitcnt lgkmcnt(0)
	;;#ASMSTART
	v_cvt_f32_f16 v31, v31;
	;;#ASMEND
	s_waitcnt vmcnt(10)
	;;#ASMSTART
	v_cvt_f32_f16 v32, v32;
	;;#ASMEND
	;; [unrolled: 10-line block ×8, first 2 shown]
	v_fmac_f32_e32 v27, v43, v44
	ds_read_u16 v48, v12 offset:20
	s_waitcnt lgkmcnt(0)
	;;#ASMSTART
	v_cvt_f32_f16 v28, v48;
	;;#ASMEND
	s_waitcnt vmcnt(3)
	;;#ASMSTART
	v_cvt_f32_f16 v46, v46;
	;;#ASMEND
	v_fmac_f32_e32 v27, v28, v46
	ds_read_u16 v48, v12 offset:22
	s_waitcnt lgkmcnt(0)
	;;#ASMSTART
	v_cvt_f32_f16 v25, v48;
	;;#ASMEND
	s_waitcnt vmcnt(2)
	;;#ASMSTART
	v_cvt_f32_f16 v26, v47;
	;;#ASMEND
	ds_read_u16 v29, v12 offset:24
	v_fmac_f32_e32 v27, v25, v26
	s_waitcnt lgkmcnt(0)
	;;#ASMSTART
	v_cvt_f32_f16 v29, v29;
	;;#ASMEND
	s_waitcnt vmcnt(1)
	;;#ASMSTART
	v_cvt_f32_f16 v24, v24;
	;;#ASMEND
	v_fmac_f32_e32 v27, v29, v24
	ds_read_u16 v30, v12 offset:26
	s_waitcnt lgkmcnt(0)
	;;#ASMSTART
	v_cvt_f32_f16 v24, v30;
	;;#ASMEND
	s_waitcnt vmcnt(0)
	;;#ASMSTART
	v_cvt_f32_f16 v23, v23;
	;;#ASMEND
	v_fmac_f32_e32 v27, v24, v23
	ds_bpermute_b32 v23, v45, v27
	v_cndmask_b32_e64 v24, v18, v21, s[6:7]
	v_lshlrev_b32_e32 v24, 2, v24
	v_xor_b32_e32 v25, 1, v18
	v_cmp_lt_i32_e64 s[6:7], v25, v19
	s_waitcnt lgkmcnt(0)
	v_add_f32_e32 v23, v27, v23
	ds_bpermute_b32 v24, v24, v23
	v_cndmask_b32_e64 v25, v18, v25, s[6:7]
	s_waitcnt lgkmcnt(0)
	v_add_f32_e32 v23, v23, v24
	v_lshlrev_b32_e32 v24, 2, v25
	ds_bpermute_b32 v24, v24, v23
	s_and_saveexec_b64 s[40:41], vcc
	s_cbranch_execz .LBB58_11
; %bb.19:                               ;   in Loop: Header=BB58_13 Depth=1
	v_add_u32_e32 v25, v15, v14
	v_cvt_f32_i32_e32 v25, v25
	s_waitcnt lgkmcnt(0)
	v_add_f32_e32 v23, v23, v24
	v_add_u32_e32 v26, v5, v14
	v_cmp_gt_i32_e64 s[6:7], s21, v26
	v_mul_f32_e32 v24, s45, v25
	v_cndmask_b32_e64 v24, 0, v24, s[4:5]
	v_fmac_f32_e32 v24, s35, v23
	v_cndmask_b32_e64 v23, 0, v24, s[6:7]
	ds_write_b32 v16, v23
	v_max_f32_e32 v23, v11, v11
	v_max_f32_e32 v23, v23, v24
	v_cndmask_b32_e64 v11, v11, v23, s[6:7]
	s_branch .LBB58_11
.LBB58_20:
	s_or_b64 exec, exec, s[38:39]
.LBB58_21:
	s_or_b64 exec, exec, s[36:37]
	v_mbcnt_hi_u32_b32 v1, -1, v4
	v_and_b32_e32 v14, 64, v1
	v_add_u32_e32 v2, 64, v14
	v_xor_b32_e32 v4, 32, v1
	v_cmp_lt_i32_e32 vcc, v4, v2
	v_cndmask_b32_e32 v4, v1, v4, vcc
	v_lshlrev_b32_e32 v5, 2, v4
	ds_bpermute_b32 v4, v5, v11
	v_xor_b32_e32 v10, 16, v1
	v_max_f32_e32 v6, v11, v11
	v_cmp_lt_i32_e32 vcc, v10, v2
	s_waitcnt lgkmcnt(0)
	v_max_f32_e32 v4, v4, v4
	v_max_f32_e32 v4, v6, v4
	v_cndmask_b32_e32 v6, v1, v10, vcc
	v_lshlrev_b32_e32 v11, 2, v6
	ds_bpermute_b32 v6, v11, v4
	v_xor_b32_e32 v10, 8, v1
	v_cmp_lt_i32_e32 vcc, v10, v2
	s_waitcnt lgkmcnt(0)
	v_max_f32_e32 v6, v6, v6
	v_max_f32_e32 v6, v4, v6
	v_cndmask_b32_e32 v4, v1, v10, vcc
	v_lshlrev_b32_e32 v13, 2, v4
	ds_bpermute_b32 v12, v13, v6
	v_and_b32_e32 v10, 63, v0
	v_cmp_eq_u32_e32 vcc, 0, v10
	v_lshlrev_b32_e32 v4, 2, v8
	s_and_saveexec_b64 s[4:5], vcc
	s_cbranch_execz .LBB58_23
; %bb.22:
	s_waitcnt lgkmcnt(0)
	v_max_f32_e32 v12, v12, v12
	v_max_f32_e32 v6, v6, v6
	;; [unrolled: 1-line block ×3, first 2 shown]
	ds_write_b32 v4, v6 offset:224
.LBB58_23:
	s_or_b64 exec, exec, s[4:5]
	v_cmp_gt_u32_e64 s[4:5], 2, v10
	v_mov_b32_e32 v15, 0xff7fffff
	v_lshlrev_b32_e32 v6, 2, v10
	s_waitcnt lgkmcnt(0)
	s_barrier
	s_and_saveexec_b64 s[6:7], s[4:5]
; %bb.24:
	ds_read_b32 v15, v6 offset:224
; %bb.25:
	s_or_b64 exec, exec, s[6:7]
	v_xor_b32_e32 v12, 1, v1
	v_cmp_lt_i32_e64 s[6:7], v12, v2
	v_cndmask_b32_e64 v12, v1, v12, s[6:7]
	v_lshlrev_b32_e32 v12, 2, v12
	s_waitcnt lgkmcnt(0)
	ds_bpermute_b32 v16, v12, v15
	v_max_f32_e32 v15, v15, v15
	v_lshlrev_b32_e32 v14, 2, v14
	s_lshl_b32 s6, s44, 3
	s_min_i32 s15, s6, s21
	s_waitcnt lgkmcnt(0)
	v_max_f32_e32 v16, v16, v16
	v_max_f32_e32 v15, v15, v16
	ds_bpermute_b32 v15, v14, v15
	v_cmp_gt_i32_e64 s[6:7], s15, v0
	v_mov_b32_e32 v14, 0
	s_and_saveexec_b64 s[34:35], s[6:7]
	s_cbranch_execz .LBB58_29
; %bb.26:
	v_mov_b32_e32 v14, 0xf0
	v_lshl_add_u32 v16, v0, 2, v14
	v_mov_b32_e32 v14, 0
	s_mov_b64 s[36:37], 0
	v_mov_b32_e32 v17, v0
.LBB58_27:                              ; =>This Inner Loop Header: Depth=1
	ds_read_b32 v18, v16
	v_add_u32_e32 v17, 0x80, v17
	v_cmp_le_i32_e64 s[10:11], s15, v17
	s_or_b64 s[36:37], s[10:11], s[36:37]
	s_waitcnt lgkmcnt(0)
	v_sub_f32_e32 v18, v18, v15
	v_mul_f32_e32 v18, 0x3fb8aa3b, v18
	v_exp_f32_e32 v18, v18
	ds_write_b32 v16, v18
	v_add_f32_e32 v14, v14, v18
	v_add_u32_e32 v16, 0x200, v16
	s_andn2_b64 exec, exec, s[36:37]
	s_cbranch_execnz .LBB58_27
; %bb.28:
	s_or_b64 exec, exec, s[36:37]
.LBB58_29:
	s_or_b64 exec, exec, s[34:35]
	ds_bpermute_b32 v5, v5, v14
	s_waitcnt lgkmcnt(0)
	v_add_f32_e32 v5, v14, v5
	ds_bpermute_b32 v11, v11, v5
	s_waitcnt lgkmcnt(0)
	v_add_f32_e32 v5, v5, v11
	ds_bpermute_b32 v11, v13, v5
	v_xor_b32_e32 v13, 4, v1
	v_cmp_lt_i32_e64 s[10:11], v13, v2
	v_cndmask_b32_e64 v13, v1, v13, s[10:11]
	v_lshlrev_b32_e32 v13, 2, v13
	s_waitcnt lgkmcnt(0)
	v_add_f32_e32 v5, v5, v11
	ds_bpermute_b32 v11, v13, v5
	v_xor_b32_e32 v13, 2, v1
	v_cmp_lt_i32_e64 s[10:11], v13, v2
	v_cndmask_b32_e64 v2, v1, v13, s[10:11]
	v_lshlrev_b32_e32 v2, 2, v2
	s_waitcnt lgkmcnt(0)
	v_add_f32_e32 v5, v5, v11
	ds_bpermute_b32 v2, v2, v5
	s_waitcnt lgkmcnt(0)
	v_add_f32_e32 v2, v5, v2
	ds_bpermute_b32 v5, v12, v2
	s_waitcnt lgkmcnt(0)
	v_add_f32_e32 v2, v2, v5
	s_and_saveexec_b64 s[10:11], vcc
; %bb.30:
	ds_write_b32 v4, v2 offset:232
; %bb.31:
	s_or_b64 exec, exec, s[10:11]
	s_waitcnt lgkmcnt(0)
	s_barrier
	s_and_saveexec_b64 s[10:11], s[4:5]
; %bb.32:
	ds_read_b32 v2, v6 offset:232
; %bb.33:
	s_or_b64 exec, exec, s[10:11]
	s_waitcnt lgkmcnt(0)
	ds_bpermute_b32 v4, v12, v2
	v_lshlrev_b32_e32 v1, 2, v1
	v_and_b32_e32 v1, 0x100, v1
	s_waitcnt lgkmcnt(0)
	v_add_f32_e32 v2, v2, v4
	ds_bpermute_b32 v1, v1, v2
	s_and_saveexec_b64 s[4:5], s[6:7]
	s_cbranch_execz .LBB58_36
; %bb.34:
	s_waitcnt lgkmcnt(0)
	v_add_f32_e32 v2, 0x358637bd, v1
	v_div_scale_f32 v1, s[6:7], v2, v2, 1.0
	v_div_scale_f32 v4, vcc, 1.0, v2, 1.0
	s_mov_b64 s[6:7], 0
	v_rcp_f32_e32 v5, v1
	v_fma_f32 v6, -v1, v5, 1.0
	v_fmac_f32_e32 v5, v6, v5
	v_mul_f32_e32 v6, v4, v5
	v_fma_f32 v11, -v1, v6, v4
	v_fmac_f32_e32 v6, v11, v5
	v_fma_f32 v1, -v1, v6, v4
	v_div_fmas_f32 v4, v1, v5, v6
	v_mov_b32_e32 v1, 0xf0
	v_lshl_add_u32 v1, v0, 2, v1
	v_div_fixup_f32 v2, v4, v2, 1.0
	v_mov_b32_e32 v4, v0
.LBB58_35:                              ; =>This Inner Loop Header: Depth=1
	ds_read_b32 v5, v1
	v_add_u32_e32 v4, 0x80, v4
	v_cmp_le_i32_e32 vcc, s15, v4
	s_or_b64 s[6:7], vcc, s[6:7]
	s_waitcnt lgkmcnt(0)
	v_mul_f32_e32 v5, v2, v5
	ds_write_b32 v1, v5
	v_add_u32_e32 v1, 0x200, v1
	s_andn2_b64 exec, exec, s[6:7]
	s_cbranch_execnz .LBB58_35
.LBB58_36:
	s_or_b64 exec, exec, s[4:5]
	v_mov_b32_e32 v12, 0
	v_mov_b32_e32 v11, 0
	s_waitcnt lgkmcnt(0)
	s_barrier
	s_and_saveexec_b64 s[6:7], s[2:3]
	s_cbranch_execz .LBB58_48
; %bb.37:
	s_ashr_i32 s15, s14, 31
	s_sub_i32 s34, s12, s17
	s_lshl_b64 s[2:3], s[14:15], 1
	s_add_u32 s30, s30, s2
	s_addc_u32 s31, s31, s3
	s_abs_i32 s18, s18
	v_cvt_f32_u32_e32 v1, s18
	s_sub_i32 s3, 0, s18
	s_add_i32 s36, s44, -1
	s_lshl_b64 s[4:5], s[28:29], 2
	v_rcp_iflag_f32_e32 v1, v1
	s_add_u32 s4, s26, s4
	v_and_b32_e32 v3, 60, v3
	s_addc_u32 s5, s27, s5
	v_mul_f32_e32 v1, 0x4f7ffffe, v1
	v_cvt_u32_f32_e32 v1, v1
	v_or_b32_e32 v4, 64, v10
	s_movk_i32 s2, 0x70
	v_lshlrev_b32_e32 v2, 3, v10
	v_mul_lo_u32 v5, s3, v1
	v_cmp_gt_u32_e64 s[2:3], s2, v4
	v_lshlrev_b32_e32 v4, 3, v4
	s_mov_b32 s35, s13
	v_mul_hi_u32 v5, v1, v5
	v_mov_b32_e32 v13, 0
	s_mov_b64 s[10:11], 0
	v_lshlrev_b32_e32 v16, 1, v2
	v_add_u32_e32 v14, v1, v5
	v_mov_b32_e32 v1, s5
	v_add_co_u32_e32 v5, vcc, s4, v3
	v_addc_co_u32_e32 v6, vcc, 0, v1, vcc
	v_mov_b32_e32 v1, 0xf0
	v_lshl_add_u32 v15, v8, 5, v1
	s_mov_b32 s26, 0xffff
	v_lshlrev_b32_e32 v17, 1, v4
	v_mov_b32_e32 v11, 0
	v_mov_b32_e32 v12, 0
	s_branch .LBB58_41
.LBB58_38:                              ;   in Loop: Header=BB58_41 Depth=1
	s_or_b64 exec, exec, s[16:17]
	v_lshlrev_b32_e32 v26, 16, v26
	v_and_or_b32 v1, v1, s26, v26
	v_lshlrev_b32_e32 v25, 16, v25
	v_lshlrev_b32_e32 v24, 16, v24
	v_and_or_b32 v2, v2, s26, v25
	v_and_or_b32 v3, v3, s26, v24
	;;#ASMSTART
	v_pk_mul_f16 v1, v21, v1;

	;;#ASMEND
	;;#ASMSTART
	v_pk_mul_f16 v2, v22, v2;

	;;#ASMEND
	;;#ASMSTART
	v_pk_mul_f16 v3, v23, v3;

	;;#ASMEND
	;;#ASMSTART
	v_pk_mul_f16 v4, v20, v4;

	;;#ASMEND
	;;#ASMSTART
	v_pk_add_f16 v1, v1, v2;

	;;#ASMEND
	;;#ASMSTART
	v_pk_add_f16 v1, v1, v3;

	;;#ASMEND
	;;#ASMSTART
	v_pk_add_f16 v1, v1, v4;

	;;#ASMEND
	v_lshrrev_b32_e32 v2, 16, v1
	v_and_b32_e32 v1, 0xffff, v1
	;;#ASMSTART
	v_cvt_f32_f16 v1, v1;
	;;#ASMEND
	;;#ASMSTART
	v_cvt_f32_f16 v2, v2;
	;;#ASMEND
	v_add_f32_e32 v1, v1, v2
	v_add_f32_e32 v11, v11, v1
.LBB58_39:                              ;   in Loop: Header=BB58_41 Depth=1
	s_or_b64 exec, exec, s[14:15]
	v_add_f32_e32 v1, v18, v19
	v_add_f32_e32 v12, v12, v1
.LBB58_40:                              ;   in Loop: Header=BB58_41 Depth=1
	s_or_b64 exec, exec, s[12:13]
	v_add_co_u32_e32 v5, vcc, 8, v5
	v_add_u32_e32 v8, 2, v8
	v_addc_co_u32_e32 v6, vcc, 0, v6, vcc
	v_cmp_le_i32_e32 vcc, s44, v8
	v_add_u32_e32 v9, 16, v9
	s_or_b64 s[10:11], vcc, s[10:11]
	v_add_u32_e32 v15, 64, v15
	s_andn2_b64 exec, exec, s[10:11]
	s_cbranch_execz .LBB58_47
.LBB58_41:                              ; =>This Inner Loop Header: Depth=1
	v_mul_hi_u32 v1, v9, s33
	v_mul_lo_u32 v2, v1, s23
	v_add_u32_e32 v3, 1, v1
	v_sub_u32_e32 v2, v9, v2
	v_cmp_le_u32_e32 vcc, s23, v2
	v_cndmask_b32_e32 v1, v1, v3, vcc
	v_subrev_u32_e32 v3, s23, v2
	v_cndmask_b32_e32 v2, v2, v3, vcc
	v_add_u32_e32 v3, 1, v1
	v_cmp_le_u32_e32 vcc, s23, v2
	v_cndmask_b32_e32 v1, v1, v3, vcc
	v_xor_b32_e32 v1, s43, v1
	v_subrev_u32_e32 v1, s43, v1
	v_add_u32_e32 v2, s42, v1
	v_sub_u32_e32 v3, 0, v2
	v_max_i32_e32 v3, v2, v3
	v_mul_hi_u32 v4, v3, v14
	v_ashrrev_i32_e32 v2, 31, v2
	v_cmp_lt_i32_e64 s[4:5], s34, v1
	v_mul_lo_u32 v4, v4, s18
	v_sub_u32_e32 v3, v3, v4
	v_subrev_u32_e32 v4, s18, v3
	v_cmp_le_u32_e32 vcc, s18, v3
	v_cndmask_b32_e32 v3, v3, v4, vcc
	v_subrev_u32_e32 v4, s18, v3
	v_cmp_le_u32_e32 vcc, s18, v3
	v_cndmask_b32_e32 v3, v3, v4, vcc
	v_xor_b32_e32 v3, v3, v2
	v_sub_u32_e32 v2, v3, v2
	v_cmp_eq_u32_e32 vcc, 0, v2
	s_or_b64 s[4:5], vcc, s[4:5]
	s_and_saveexec_b64 s[12:13], s[4:5]
	s_cbranch_execz .LBB58_40
; %bb.42:                               ;   in Loop: Header=BB58_41 Depth=1
	global_load_dword v21, v[5:6], off
	ds_read2_b64 v[1:4], v15 offset1:1
	ds_read2_b64 v[25:28], v15 offset0:2 offset1:3
	v_mov_b32_e32 v29, s31
	s_waitcnt lgkmcnt(1)
	;;#ASMSTART
	v_cvt_f16_f32 v18, v1;

	;;#ASMEND
	;;#ASMSTART
	v_cvt_f16_f32 v19, v2;

	;;#ASMEND
	;; [unrolled: 4-line block ×4, first 2 shown]
	s_waitcnt lgkmcnt(0)
	;;#ASMSTART
	v_cvt_f16_f32 v23, v25;

	;;#ASMEND
	;;#ASMSTART
	v_cvt_f16_f32 v26, v26;

	;;#ASMEND
	;; [unrolled: 4-line block ×4, first 2 shown]
	s_waitcnt vmcnt(0)
	v_mad_i64_i32 v[1:2], s[4:5], v21, s35, 0
	v_cmp_eq_u32_e64 s[4:5], s36, v8
	v_lshlrev_b64 v[1:2], 1, v[1:2]
	v_add_co_u32_e32 v24, vcc, s30, v1
	v_addc_co_u32_e32 v25, vcc, v29, v2, vcc
	v_add_co_u32_e32 v1, vcc, v24, v16
	v_addc_co_u32_e32 v2, vcc, 0, v25, vcc
	global_load_dwordx4 v[1:4], v[1:2], off
	s_waitcnt vmcnt(0)
	v_lshrrev_b32_e32 v31, 16, v1
	v_lshrrev_b32_e32 v30, 16, v2
	;; [unrolled: 1-line block ×3, first 2 shown]
	s_and_saveexec_b64 s[14:15], s[4:5]
	s_cbranch_execz .LBB58_44
; %bb.43:                               ;   in Loop: Header=BB58_41 Depth=1
	v_cmp_gt_i32_e32 vcc, s21, v9
	v_add_u32_e32 v21, 1, v9
	v_cndmask_b32_e32 v1, 0, v1, vcc
	v_cmp_gt_i32_e32 vcc, s21, v21
	v_add_u32_e32 v21, 2, v9
	v_cndmask_b32_e32 v31, 0, v31, vcc
	;; [unrolled: 3-line block ×6, first 2 shown]
	v_cmp_gt_i32_e32 vcc, s21, v21
	v_add_u32_e32 v32, 7, v9
	v_cndmask_b32_sdwa v21, v13, v4, vcc dst_sel:DWORD dst_unused:UNUSED_PAD src0_sel:DWORD src1_sel:WORD_0
	v_and_b32_e32 v4, 0xffff0000, v4
	v_cmp_gt_i32_e32 vcc, s21, v32
	v_cndmask_b32_e32 v4, 0, v4, vcc
	v_or_b32_e32 v4, v21, v4
.LBB58_44:                              ;   in Loop: Header=BB58_41 Depth=1
	s_or_b64 exec, exec, s[14:15]
	v_and_b32_e32 v18, 0xffff, v18
	v_lshl_or_b32 v21, v19, 16, v18
	v_and_b32_e32 v18, 0xffff, v20
	v_lshl_or_b32 v22, v22, 16, v18
	;; [unrolled: 2-line block ×4, first 2 shown]
	v_lshlrev_b32_e32 v18, 16, v31
	v_and_or_b32 v1, v1, s26, v18
	v_lshlrev_b32_e32 v18, 16, v30
	v_and_or_b32 v2, v2, s26, v18
	;; [unrolled: 2-line block ×3, first 2 shown]
	;;#ASMSTART
	v_pk_mul_f16 v1, v21, v1;

	;;#ASMEND
	;;#ASMSTART
	v_pk_mul_f16 v2, v22, v2;

	;;#ASMEND
	;; [unrolled: 4-line block ×4, first 2 shown]
	;;#ASMSTART
	v_pk_add_f16 v1, v1, v2;

	;;#ASMEND
	;;#ASMSTART
	v_pk_add_f16 v1, v1, v3;

	;;#ASMEND
	;; [unrolled: 4-line block ×3, first 2 shown]
	v_lshrrev_b32_e32 v2, 16, v1
	v_and_b32_e32 v1, 0xffff, v1
	;;#ASMSTART
	v_cvt_f32_f16 v18, v1;
	;;#ASMEND
	;;#ASMSTART
	v_cvt_f32_f16 v19, v2;
	;;#ASMEND
	s_and_saveexec_b64 s[14:15], s[2:3]
	s_cbranch_execz .LBB58_39
; %bb.45:                               ;   in Loop: Header=BB58_41 Depth=1
	v_add_co_u32_e32 v1, vcc, v24, v17
	v_addc_co_u32_e32 v2, vcc, 0, v25, vcc
	global_load_dwordx4 v[1:4], v[1:2], off
	s_waitcnt vmcnt(0)
	v_lshrrev_b32_e32 v26, 16, v1
	v_lshrrev_b32_e32 v25, 16, v2
	;; [unrolled: 1-line block ×3, first 2 shown]
	s_and_saveexec_b64 s[16:17], s[4:5]
	s_cbranch_execz .LBB58_38
; %bb.46:                               ;   in Loop: Header=BB58_41 Depth=1
	v_cmp_gt_i32_e32 vcc, s21, v9
	v_add_u32_e32 v27, 1, v9
	v_cndmask_b32_e32 v1, 0, v1, vcc
	v_cmp_gt_i32_e32 vcc, s21, v27
	v_add_u32_e32 v27, 2, v9
	v_cndmask_b32_e32 v26, 0, v26, vcc
	;; [unrolled: 3-line block ×6, first 2 shown]
	v_cmp_gt_i32_e32 vcc, s21, v27
	v_add_u32_e32 v28, 7, v9
	v_cndmask_b32_sdwa v27, v13, v4, vcc dst_sel:DWORD dst_unused:UNUSED_PAD src0_sel:DWORD src1_sel:WORD_0
	v_and_b32_e32 v4, 0xffff0000, v4
	v_cmp_gt_i32_e32 vcc, s21, v28
	v_cndmask_b32_e32 v4, 0, v4, vcc
	v_or_b32_e32 v4, v27, v4
	s_branch .LBB58_38
.LBB58_47:
	s_or_b64 exec, exec, s[10:11]
.LBB58_48:
	s_or_b64 exec, exec, s[6:7]
	v_and_b32_e32 v1, 0x3c0, v0
	v_cmp_eq_u32_e32 vcc, 64, v1
	s_barrier
	s_and_saveexec_b64 s[2:3], vcc
	s_cbranch_execz .LBB58_51
; %bb.49:
	v_mov_b32_e32 v1, 0xf0
	v_lshl_add_u32 v2, v10, 2, v1
	ds_write_b32 v2, v12
	s_and_b64 exec, exec, s[0:1]
; %bb.50:
	v_lshl_add_u32 v1, v0, 2, v1
	ds_write_b32 v1, v11
.LBB58_51:
	s_or_b64 exec, exec, s[2:3]
	v_cmp_gt_u32_e32 vcc, 64, v0
	v_or_b32_e32 v1, 64, v0
	s_waitcnt lgkmcnt(0)
	s_barrier
	s_and_saveexec_b64 s[2:3], vcc
	s_cbranch_execz .LBB58_55
; %bb.52:
	v_mov_b32_e32 v2, 0xf0
	v_lshl_add_u32 v2, v0, 2, v2
	ds_read_b32 v0, v2
	s_movk_i32 s0, 0x70
	v_cmp_gt_u32_e64 s[0:1], s0, v1
	s_and_saveexec_b64 s[4:5], s[0:1]
	s_cbranch_execz .LBB58_54
; %bb.53:
	ds_read_b32 v2, v2 offset:256
	s_waitcnt lgkmcnt(0)
	v_add_f32_e32 v11, v11, v2
.LBB58_54:
	s_or_b64 exec, exec, s[4:5]
	s_waitcnt lgkmcnt(0)
	v_add_f32_e32 v12, v12, v0
.LBB58_55:
	s_or_b64 exec, exec, s[2:3]
	s_barrier
	s_and_saveexec_b64 s[0:1], vcc
	s_cbranch_execz .LBB58_58
; %bb.56:
	s_mul_i32 s0, s20, s19
	s_mul_i32 s0, s0, s9
	s_mulk_i32 s0, 0x70
	s_ashr_i32 s1, s0, 31
	s_lshl_b64 s[0:1], s[0:1], 1
	s_add_u32 s3, s24, s0
	s_mul_i32 s0, s19, s22
	s_addc_u32 s4, s25, s1
	s_ashr_i32 s1, s0, 31
	s_lshl_b64 s[0:1], s[0:1], 1
	s_add_u32 s3, s3, s0
	s_mul_i32 s0, s8, 0x70
	s_addc_u32 s4, s4, s1
	s_ashr_i32 s1, s0, 31
	s_lshl_b64 s[0:1], s[0:1], 1
	s_movk_i32 s2, 0x70
	s_add_u32 s0, s3, s0
	s_addc_u32 s1, s4, s1
	v_cmp_gt_u32_e32 vcc, s2, v1
	;;#ASMSTART
	v_cvt_f16_f32 v0, v12;

	;;#ASMEND
	global_store_short v7, v0, s[0:1]
	s_and_b64 exec, exec, vcc
	s_cbranch_execz .LBB58_58
; %bb.57:
	v_mov_b32_e32 v1, s1
	v_add_co_u32_e32 v0, vcc, s0, v7
	v_addc_co_u32_e32 v1, vcc, 0, v1, vcc
	;;#ASMSTART
	v_cvt_f16_f32 v2, v11;

	;;#ASMEND
	global_store_short v[0:1], v2, off offset:128
.LBB58_58:
	s_endpgm
	.section	.rodata,"a",@progbits
	.p2align	6, 0x0
	.amdhsa_kernel _ZN4vllm25paged_attention_v1_kernelIttLi112ELi8ELi128ELNS_18Fp8KVCacheDataTypeE0ELb1EEEvPT_PKS2_PKT0_S8_ifPKiSA_iPKfiiiSC_SC_iiiii
		.amdhsa_group_segment_fixed_size 240
		.amdhsa_private_segment_fixed_size 0
		.amdhsa_kernarg_size 384
		.amdhsa_user_sgpr_count 6
		.amdhsa_user_sgpr_private_segment_buffer 1
		.amdhsa_user_sgpr_dispatch_ptr 0
		.amdhsa_user_sgpr_queue_ptr 0
		.amdhsa_user_sgpr_kernarg_segment_ptr 1
		.amdhsa_user_sgpr_dispatch_id 0
		.amdhsa_user_sgpr_flat_scratch_init 0
		.amdhsa_user_sgpr_private_segment_size 0
		.amdhsa_uses_dynamic_stack 0
		.amdhsa_system_sgpr_private_segment_wavefront_offset 0
		.amdhsa_system_sgpr_workgroup_id_x 1
		.amdhsa_system_sgpr_workgroup_id_y 1
		.amdhsa_system_sgpr_workgroup_id_z 1
		.amdhsa_system_sgpr_workgroup_info 0
		.amdhsa_system_vgpr_workitem_id 0
		.amdhsa_next_free_vgpr 49
		.amdhsa_next_free_sgpr 46
		.amdhsa_reserve_vcc 1
		.amdhsa_reserve_flat_scratch 0
		.amdhsa_float_round_mode_32 0
		.amdhsa_float_round_mode_16_64 0
		.amdhsa_float_denorm_mode_32 3
		.amdhsa_float_denorm_mode_16_64 3
		.amdhsa_dx10_clamp 1
		.amdhsa_ieee_mode 1
		.amdhsa_fp16_overflow 0
		.amdhsa_exception_fp_ieee_invalid_op 0
		.amdhsa_exception_fp_denorm_src 0
		.amdhsa_exception_fp_ieee_div_zero 0
		.amdhsa_exception_fp_ieee_overflow 0
		.amdhsa_exception_fp_ieee_underflow 0
		.amdhsa_exception_fp_ieee_inexact 0
		.amdhsa_exception_int_div_zero 0
	.end_amdhsa_kernel
	.section	.text._ZN4vllm25paged_attention_v1_kernelIttLi112ELi8ELi128ELNS_18Fp8KVCacheDataTypeE0ELb1EEEvPT_PKS2_PKT0_S8_ifPKiSA_iPKfiiiSC_SC_iiiii,"axG",@progbits,_ZN4vllm25paged_attention_v1_kernelIttLi112ELi8ELi128ELNS_18Fp8KVCacheDataTypeE0ELb1EEEvPT_PKS2_PKT0_S8_ifPKiSA_iPKfiiiSC_SC_iiiii,comdat
.Lfunc_end58:
	.size	_ZN4vllm25paged_attention_v1_kernelIttLi112ELi8ELi128ELNS_18Fp8KVCacheDataTypeE0ELb1EEEvPT_PKS2_PKT0_S8_ifPKiSA_iPKfiiiSC_SC_iiiii, .Lfunc_end58-_ZN4vllm25paged_attention_v1_kernelIttLi112ELi8ELi128ELNS_18Fp8KVCacheDataTypeE0ELb1EEEvPT_PKS2_PKT0_S8_ifPKiSA_iPKfiiiSC_SC_iiiii
                                        ; -- End function
	.set _ZN4vllm25paged_attention_v1_kernelIttLi112ELi8ELi128ELNS_18Fp8KVCacheDataTypeE0ELb1EEEvPT_PKS2_PKT0_S8_ifPKiSA_iPKfiiiSC_SC_iiiii.num_vgpr, 49
	.set _ZN4vllm25paged_attention_v1_kernelIttLi112ELi8ELi128ELNS_18Fp8KVCacheDataTypeE0ELb1EEEvPT_PKS2_PKT0_S8_ifPKiSA_iPKfiiiSC_SC_iiiii.num_agpr, 0
	.set _ZN4vllm25paged_attention_v1_kernelIttLi112ELi8ELi128ELNS_18Fp8KVCacheDataTypeE0ELb1EEEvPT_PKS2_PKT0_S8_ifPKiSA_iPKfiiiSC_SC_iiiii.numbered_sgpr, 46
	.set _ZN4vllm25paged_attention_v1_kernelIttLi112ELi8ELi128ELNS_18Fp8KVCacheDataTypeE0ELb1EEEvPT_PKS2_PKT0_S8_ifPKiSA_iPKfiiiSC_SC_iiiii.num_named_barrier, 0
	.set _ZN4vllm25paged_attention_v1_kernelIttLi112ELi8ELi128ELNS_18Fp8KVCacheDataTypeE0ELb1EEEvPT_PKS2_PKT0_S8_ifPKiSA_iPKfiiiSC_SC_iiiii.private_seg_size, 0
	.set _ZN4vllm25paged_attention_v1_kernelIttLi112ELi8ELi128ELNS_18Fp8KVCacheDataTypeE0ELb1EEEvPT_PKS2_PKT0_S8_ifPKiSA_iPKfiiiSC_SC_iiiii.uses_vcc, 1
	.set _ZN4vllm25paged_attention_v1_kernelIttLi112ELi8ELi128ELNS_18Fp8KVCacheDataTypeE0ELb1EEEvPT_PKS2_PKT0_S8_ifPKiSA_iPKfiiiSC_SC_iiiii.uses_flat_scratch, 0
	.set _ZN4vllm25paged_attention_v1_kernelIttLi112ELi8ELi128ELNS_18Fp8KVCacheDataTypeE0ELb1EEEvPT_PKS2_PKT0_S8_ifPKiSA_iPKfiiiSC_SC_iiiii.has_dyn_sized_stack, 0
	.set _ZN4vllm25paged_attention_v1_kernelIttLi112ELi8ELi128ELNS_18Fp8KVCacheDataTypeE0ELb1EEEvPT_PKS2_PKT0_S8_ifPKiSA_iPKfiiiSC_SC_iiiii.has_recursion, 0
	.set _ZN4vllm25paged_attention_v1_kernelIttLi112ELi8ELi128ELNS_18Fp8KVCacheDataTypeE0ELb1EEEvPT_PKS2_PKT0_S8_ifPKiSA_iPKfiiiSC_SC_iiiii.has_indirect_call, 0
	.section	.AMDGPU.csdata,"",@progbits
; Kernel info:
; codeLenInByte = 4508
; TotalNumSgprs: 50
; NumVgprs: 49
; ScratchSize: 0
; MemoryBound: 0
; FloatMode: 240
; IeeeMode: 1
; LDSByteSize: 240 bytes/workgroup (compile time only)
; SGPRBlocks: 6
; VGPRBlocks: 12
; NumSGPRsForWavesPerEU: 50
; NumVGPRsForWavesPerEU: 49
; Occupancy: 4
; WaveLimiterHint : 1
; COMPUTE_PGM_RSRC2:SCRATCH_EN: 0
; COMPUTE_PGM_RSRC2:USER_SGPR: 6
; COMPUTE_PGM_RSRC2:TRAP_HANDLER: 0
; COMPUTE_PGM_RSRC2:TGID_X_EN: 1
; COMPUTE_PGM_RSRC2:TGID_Y_EN: 1
; COMPUTE_PGM_RSRC2:TGID_Z_EN: 1
; COMPUTE_PGM_RSRC2:TIDIG_COMP_CNT: 0
	.section	.text._ZN4vllm25paged_attention_v1_kernelIttLi120ELi8ELi128ELNS_18Fp8KVCacheDataTypeE0ELb1EEEvPT_PKS2_PKT0_S8_ifPKiSA_iPKfiiiSC_SC_iiiii,"axG",@progbits,_ZN4vllm25paged_attention_v1_kernelIttLi120ELi8ELi128ELNS_18Fp8KVCacheDataTypeE0ELb1EEEvPT_PKS2_PKT0_S8_ifPKiSA_iPKfiiiSC_SC_iiiii,comdat
	.protected	_ZN4vllm25paged_attention_v1_kernelIttLi120ELi8ELi128ELNS_18Fp8KVCacheDataTypeE0ELb1EEEvPT_PKS2_PKT0_S8_ifPKiSA_iPKfiiiSC_SC_iiiii ; -- Begin function _ZN4vllm25paged_attention_v1_kernelIttLi120ELi8ELi128ELNS_18Fp8KVCacheDataTypeE0ELb1EEEvPT_PKS2_PKT0_S8_ifPKiSA_iPKfiiiSC_SC_iiiii
	.globl	_ZN4vllm25paged_attention_v1_kernelIttLi120ELi8ELi128ELNS_18Fp8KVCacheDataTypeE0ELb1EEEvPT_PKS2_PKT0_S8_ifPKiSA_iPKfiiiSC_SC_iiiii
	.p2align	8
	.type	_ZN4vllm25paged_attention_v1_kernelIttLi120ELi8ELi128ELNS_18Fp8KVCacheDataTypeE0ELb1EEEvPT_PKS2_PKT0_S8_ifPKiSA_iPKfiiiSC_SC_iiiii,@function
_ZN4vllm25paged_attention_v1_kernelIttLi120ELi8ELi128ELNS_18Fp8KVCacheDataTypeE0ELb1EEEvPT_PKS2_PKT0_S8_ifPKiSA_iPKfiiiSC_SC_iiiii: ; @_ZN4vllm25paged_attention_v1_kernelIttLi120ELi8ELi128ELNS_18Fp8KVCacheDataTypeE0ELb1EEEvPT_PKS2_PKT0_S8_ifPKiSA_iPKfiiiSC_SC_iiiii
; %bb.0:
	s_load_dword s9, s[4:5], 0x80
	s_load_dwordx2 s[0:1], s[4:5], 0x30
	s_load_dwordx2 s[34:35], s[4:5], 0x20
	s_mov_b32 s20, s7
	s_ashr_i32 s21, s7, 31
	s_lshl_b64 s[2:3], s[20:21], 2
	s_waitcnt lgkmcnt(0)
	s_add_u32 s0, s0, s2
	s_addc_u32 s1, s1, s3
	s_abs_i32 s2, s34
	v_cvt_f32_u32_e32 v1, s2
	s_sub_i32 s10, 0, s2
	s_abs_i32 s7, s9
	s_xor_b32 s3, s9, s34
	v_rcp_iflag_f32_e32 v1, v1
	s_ashr_i32 s3, s3, 31
	s_mov_b32 s45, 0
	v_mul_f32_e32 v1, 0x4f7ffffe, v1
	v_cvt_u32_f32_e32 v1, v1
	v_readfirstlane_b32 s11, v1
	s_mul_i32 s10, s10, s11
	s_mul_hi_u32 s10, s11, s10
	s_add_i32 s11, s11, s10
	s_mul_hi_u32 s10, s7, s11
	s_mul_i32 s11, s10, s2
	s_sub_i32 s7, s7, s11
	s_add_i32 s11, s10, 1
	s_sub_i32 s12, s7, s2
	s_cmp_ge_u32 s7, s2
	s_cselect_b32 s10, s11, s10
	s_cselect_b32 s7, s12, s7
	s_add_i32 s11, s10, 1
	s_cmp_ge_u32 s7, s2
	s_cselect_b32 s2, s11, s10
	s_xor_b32 s2, s2, s3
	s_sub_i32 s11, s2, s3
	s_abs_i32 s10, s11
	v_cvt_f32_u32_e32 v1, s10
	s_load_dwordx2 s[2:3], s[4:5], 0x40
	s_sub_i32 s7, 0, s10
	s_abs_i32 s24, s6
	v_rcp_iflag_f32_e32 v1, v1
	v_mul_f32_e32 v1, 0x4f7ffffe, v1
	v_cvt_u32_f32_e32 v1, v1
	v_readfirstlane_b32 s12, v1
	s_mul_i32 s7, s7, s12
	s_mul_hi_u32 s7, s12, s7
	s_add_i32 s12, s12, s7
	s_waitcnt lgkmcnt(0)
	s_cmp_eq_u64 s[2:3], 0
	s_mul_hi_u32 s25, s24, s12
	s_cbranch_scc1 .LBB59_2
; %bb.1:
	s_ashr_i32 s7, s6, 31
	s_lshl_b64 s[12:13], s[6:7], 2
	s_add_u32 s2, s2, s12
	s_addc_u32 s3, s3, s13
	s_load_dword s45, s[2:3], 0x0
.LBB59_2:
	s_load_dword s21, s[0:1], 0x0
	s_load_dwordx4 s[12:15], s[4:5], 0x48
	s_movk_i32 s0, 0x78
	s_ashr_i32 s7, s6, 31
	s_ashr_i32 s26, s11, 31
	v_and_b32_e32 v1, 7, v0
	s_mul_i32 s22, s6, 0x78
	v_cmp_gt_u32_e64 s[0:1], s0, v0
	v_lshlrev_b32_e32 v7, 1, v0
	s_and_saveexec_b64 s[2:3], s[0:1]
	s_cbranch_execz .LBB59_4
; %bb.3:
	s_load_dwordx2 s[16:17], s[4:5], 0x8
	s_waitcnt lgkmcnt(0)
	s_mul_i32 s18, s12, s20
	s_ashr_i32 s19, s18, 31
	s_lshl_b64 s[18:19], s[18:19], 1
	v_lshrrev_b32_e32 v3, 2, v0
	s_add_u32 s11, s16, s18
	s_addc_u32 s12, s17, s19
	s_ashr_i32 s23, s22, 31
	s_lshl_b64 s[16:17], s[22:23], 1
	s_add_u32 s16, s11, s16
	s_addc_u32 s17, s12, s17
	global_load_ushort v2, v7, s[16:17]
	v_and_b32_e32 v3, 0xfe, v3
	v_mad_u32_u24 v3, v1, 30, v3
	s_waitcnt vmcnt(0)
	ds_write_b16 v3, v2
.LBB59_4:
	s_or_b64 exec, exec, s[2:3]
	s_mul_i32 s3, s25, s10
	s_sub_i32 s3, s24, s3
	s_xor_b32 s2, s7, s26
	s_add_i32 s7, s25, 1
	s_waitcnt lgkmcnt(0)
	s_sub_i32 s12, s3, s10
	s_load_dwordx4 s[16:19], s[4:5], 0x68
	s_load_dword s11, s[4:5], 0x78
	s_cmp_ge_u32 s3, s10
	s_cselect_b32 s7, s7, s25
	s_cselect_b32 s3, s12, s3
	s_add_i32 s12, s7, 1
	s_cmp_ge_u32 s3, s10
	s_cselect_b32 s3, s12, s7
	s_waitcnt lgkmcnt(0)
	s_abs_i32 s23, s19
	v_cvt_f32_u32_e32 v2, s23
	s_xor_b32 s3, s3, s2
	s_sub_i32 s7, s3, s2
	s_sub_i32 s2, 0, s23
	v_rcp_iflag_f32_e32 v2, v2
	s_add_i32 s15, s21, -1
	s_abs_i32 s10, s15
	v_mul_f32_e32 v2, 0x4f7ffffe, v2
	v_cvt_u32_f32_e32 v2, v2
	s_barrier
	v_readfirstlane_b32 s33, v2
	s_mul_i32 s2, s2, s33
	s_mul_hi_u32 s2, s33, s2
	s_add_i32 s33, s33, s2
	s_cmp_lt_i32 s11, 0
	s_mul_hi_u32 s12, s10, s33
	s_cbranch_scc0 .LBB59_6
; %bb.5:
	s_mul_i32 s2, s16, s34
	s_add_i32 s2, s7, s2
	s_mul_i32 s2, s2, s11
	s_sub_i32 s42, 1, s2
	s_mov_b64 s[2:3], 0
	s_branch .LBB59_7
.LBB59_6:
	s_mov_b64 s[2:3], -1
                                        ; implicit-def: $sgpr42
.LBB59_7:
	s_load_dwordx2 s[26:27], s[4:5], 0x28
	s_ashr_i32 s15, s15, 31
	s_andn2_b64 vcc, exec, s[2:3]
	s_ashr_i32 s43, s19, 31
	s_cbranch_vccnz .LBB59_9
; %bb.8:
	s_mul_i32 s2, s9, s16
	s_add_i32 s2, s2, s6
	s_mul_i32 s2, s2, s11
	s_add_i32 s42, s2, 1
.LBB59_9:
	s_load_dword s2, s[4:5], 0x38
	s_load_dwordx2 s[24:25], s[4:5], 0x0
	s_load_dwordx2 s[30:31], s[4:5], 0x18
	s_load_dword s19, s[4:5], 0x88
	s_xor_b32 s3, s15, s43
	s_waitcnt lgkmcnt(0)
	s_mul_i32 s28, s2, s20
	s_mul_i32 s2, s12, s23
	s_sub_i32 s2, s10, s2
	s_ashr_i32 s29, s28, 31
	s_add_i32 s6, s12, 1
	s_sub_i32 s10, s2, s23
	s_cmp_ge_u32 s2, s23
	s_cselect_b32 s6, s6, s12
	s_cselect_b32 s2, s10, s2
	s_add_i32 s10, s6, 1
	s_cmp_ge_u32 s2, s23
	s_cselect_b32 s2, s10, s6
	s_xor_b32 s2, s2, s3
	s_sub_i32 s12, s2, s3
	s_add_i32 s2, s21, 7
	s_ashr_i32 s3, s2, 31
	s_lshr_b32 s3, s3, 29
	s_add_i32 s2, s2, s3
	s_ashr_i32 s44, s2, 3
	v_lshrrev_b32_e32 v8, 6, v0
	v_cmp_gt_i32_e64 s[2:3], s44, v8
	v_mov_b32_e32 v11, 0xff7fffff
	s_mul_i32 s14, s7, s14
	v_lshrrev_b32_e32 v3, 4, v0
	v_lshlrev_b32_e32 v9, 3, v8
	v_mbcnt_lo_u32_b32 v4, -1, 0
	s_and_saveexec_b64 s[36:37], s[2:3]
	s_cbranch_execz .LBB59_21
; %bb.10:
	s_load_dwordx2 s[4:5], s[4:5], 0x10
	s_ashr_i32 s15, s14, 31
	s_sub_i32 s16, s12, s17
	s_lshl_b64 s[6:7], s[14:15], 1
	v_bfe_u32 v5, v0, 3, 3
	s_waitcnt lgkmcnt(0)
	s_add_u32 s4, s4, s6
	s_addc_u32 s5, s5, s7
	s_abs_i32 s15, s18
	v_cvt_f32_u32_e32 v2, s15
	v_mov_b32_e32 v11, s5
	s_sub_i32 s5, 0, s15
	v_lshlrev_b32_e32 v10, 4, v5
	v_rcp_iflag_f32_e32 v2, v2
	v_lshlrev_b32_e32 v6, 1, v1
	s_lshl_b64 s[6:7], s[28:29], 2
	s_add_u32 s6, s26, s6
	v_mul_f32_e32 v2, 0x4f7ffffe, v2
	v_cvt_u32_f32_e32 v2, v2
	v_cmp_eq_u32_e32 vcc, 0, v1
	s_addc_u32 s7, s27, s7
	v_mbcnt_hi_u32_b32 v18, -1, v4
	v_mul_lo_u32 v12, s5, v2
	v_add_co_u32_e64 v10, s[4:5], s4, v10
	v_addc_co_u32_e64 v11, s[4:5], 0, v11, s[4:5]
	v_mul_hi_u32 v13, v2, v12
	v_add_co_u32_e64 v6, s[4:5], v10, v6
	v_addc_co_u32_e64 v10, s[4:5], 0, v11, s[4:5]
	v_subrev_u32_e32 v11, s21, v5
	v_add_u32_e32 v15, 1, v11
	v_lshlrev_b32_e32 v11, 2, v5
	v_mul_u32_u24_e32 v12, 30, v1
	v_and_b32_e32 v1, 60, v3
	v_lshl_or_b32 v11, v8, 5, v11
	v_add_u32_e32 v13, v2, v13
	v_mov_b32_e32 v2, s7
	v_add_co_u32_e64 v1, s[6:7], s6, v1
	v_add_u32_e32 v16, 0x100, v11
	v_and_b32_e32 v11, 64, v18
	s_mov_b32 s34, s13
	v_cmp_neq_f32_e64 s[4:5], s45, 0
	v_addc_co_u32_e64 v2, s[6:7], 0, v2, s[6:7]
	v_lshlrev_b32_e32 v14, 3, v8
	v_mov_b32_e32 v17, 0xff7fffff
	s_mov_b64 s[38:39], 0
	v_add_u32_e32 v19, 64, v11
	v_xor_b32_e32 v20, 4, v18
	v_xor_b32_e32 v21, 2, v18
	v_mov_b32_e32 v11, 0xff7fffff
	v_mov_b32_e32 v22, v8
	s_branch .LBB59_13
.LBB59_11:                              ;   in Loop: Header=BB59_13 Depth=1
	s_or_b64 exec, exec, s[40:41]
.LBB59_12:                              ;   in Loop: Header=BB59_13 Depth=1
	s_or_b64 exec, exec, s[10:11]
	v_add_co_u32_e64 v1, s[6:7], 8, v1
	v_add_u32_e32 v22, 2, v22
	v_addc_co_u32_e64 v2, s[6:7], 0, v2, s[6:7]
	v_cmp_le_i32_e64 s[6:7], s44, v22
	v_add_u32_e32 v14, 16, v14
	s_or_b64 s[38:39], s[6:7], s[38:39]
	v_add_u32_e32 v16, 64, v16
	s_andn2_b64 exec, exec, s[38:39]
	s_cbranch_execz .LBB59_20
.LBB59_13:                              ; =>This Inner Loop Header: Depth=1
	v_mul_hi_u32 v23, v14, s33
	s_waitcnt lgkmcnt(0)
	v_mul_lo_u32 v24, v23, s23
	v_add_u32_e32 v25, 1, v23
	v_sub_u32_e32 v24, v14, v24
	v_cmp_le_u32_e64 s[6:7], s23, v24
	v_cndmask_b32_e64 v23, v23, v25, s[6:7]
	v_subrev_u32_e32 v25, s23, v24
	v_cndmask_b32_e64 v24, v24, v25, s[6:7]
	v_add_u32_e32 v25, 1, v23
	v_cmp_le_u32_e64 s[6:7], s23, v24
	v_cndmask_b32_e64 v23, v23, v25, s[6:7]
	v_xor_b32_e32 v23, s43, v23
	v_subrev_u32_e32 v23, s43, v23
	v_add_u32_e32 v24, s42, v23
	v_sub_u32_e32 v25, 0, v24
	v_max_i32_e32 v25, v24, v25
	v_mul_hi_u32 v26, v25, v13
	v_ashrrev_i32_e32 v24, 31, v24
	v_cmp_ge_i32_e64 s[10:11], s16, v23
	v_mul_lo_u32 v26, v26, s15
	v_sub_u32_e32 v25, v25, v26
	v_subrev_u32_e32 v26, s15, v25
	v_cmp_le_u32_e64 s[6:7], s15, v25
	v_cndmask_b32_e64 v25, v25, v26, s[6:7]
	v_subrev_u32_e32 v26, s15, v25
	v_cmp_le_u32_e64 s[6:7], s15, v25
	v_cndmask_b32_e64 v25, v25, v26, s[6:7]
	v_xor_b32_e32 v25, v25, v24
	v_sub_u32_e32 v24, v25, v24
	v_cmp_ne_u32_e64 s[6:7], 0, v24
	s_and_b64 s[6:7], s[6:7], s[10:11]
	s_and_saveexec_b64 s[10:11], s[6:7]
	s_xor_b64 s[6:7], exec, s[10:11]
	s_cbranch_execz .LBB59_17
; %bb.14:                               ;   in Loop: Header=BB59_13 Depth=1
	s_and_saveexec_b64 s[10:11], vcc
; %bb.15:                               ;   in Loop: Header=BB59_13 Depth=1
	ds_write_b32 v16, v17
; %bb.16:                               ;   in Loop: Header=BB59_13 Depth=1
	s_or_b64 exec, exec, s[10:11]
.LBB59_17:                              ;   in Loop: Header=BB59_13 Depth=1
	s_andn2_saveexec_b64 s[10:11], s[6:7]
	s_cbranch_execz .LBB59_12
; %bb.18:                               ;   in Loop: Header=BB59_13 Depth=1
	global_load_dword v23, v[1:2], off
	s_waitcnt vmcnt(0)
	v_mad_i64_i32 v[23:24], s[6:7], v23, s34, 0
	v_lshlrev_b64 v[23:24], 1, v[23:24]
	v_add_co_u32_e64 v26, s[6:7], v6, v23
	v_addc_co_u32_e64 v27, s[6:7], v10, v24, s[6:7]
	global_load_ushort v28, v[26:27], off
	global_load_ushort v29, v[26:27], off offset:128
	global_load_ushort v31, v[26:27], off offset:256
	;; [unrolled: 1-line block ×10, first 2 shown]
	ds_read_u16 v30, v12
	global_load_ushort v49, v[26:27], off offset:1408
	global_load_ushort v25, v[26:27], off offset:1536
	;; [unrolled: 1-line block ×4, first 2 shown]
	s_waitcnt lgkmcnt(0)
	;;#ASMSTART
	v_cvt_f32_f16 v26, v30;
	;;#ASMEND
	v_cmp_lt_i32_e64 s[6:7], v20, v19
	v_cndmask_b32_e64 v48, v18, v20, s[6:7]
	v_lshlrev_b32_e32 v48, 2, v48
	v_cmp_lt_i32_e64 s[6:7], v21, v19
	s_waitcnt vmcnt(14)
	;;#ASMSTART
	v_cvt_f32_f16 v27, v28;
	;;#ASMEND
	ds_read_u16 v28, v12 offset:2
	s_waitcnt lgkmcnt(0)
	;;#ASMSTART
	v_cvt_f32_f16 v28, v28;
	;;#ASMEND
	s_waitcnt vmcnt(13)
	;;#ASMSTART
	v_cvt_f32_f16 v29, v29;
	;;#ASMEND
	v_mul_f32_e32 v28, v28, v29
	ds_read_u16 v30, v12 offset:4
	v_fmac_f32_e32 v28, v26, v27
	s_waitcnt lgkmcnt(0)
	;;#ASMSTART
	v_cvt_f32_f16 v30, v30;
	;;#ASMEND
	s_waitcnt vmcnt(12)
	;;#ASMSTART
	v_cvt_f32_f16 v31, v31;
	;;#ASMEND
	ds_read_u16 v32, v12 offset:6
	v_fmac_f32_e32 v28, v30, v31
	s_waitcnt lgkmcnt(0)
	;;#ASMSTART
	v_cvt_f32_f16 v32, v32;
	;;#ASMEND
	s_waitcnt vmcnt(11)
	;;#ASMSTART
	v_cvt_f32_f16 v33, v33;
	;;#ASMEND
	;; [unrolled: 10-line block ×9, first 2 shown]
	v_fmac_f32_e32 v28, v46, v47
	ds_read_u16 v50, v12 offset:22
	s_waitcnt lgkmcnt(0)
	;;#ASMSTART
	v_cvt_f32_f16 v26, v50;
	;;#ASMEND
	s_waitcnt vmcnt(3)
	;;#ASMSTART
	v_cvt_f32_f16 v27, v49;
	;;#ASMEND
	ds_read_u16 v29, v12 offset:24
	v_fmac_f32_e32 v28, v26, v27
	s_waitcnt lgkmcnt(0)
	;;#ASMSTART
	v_cvt_f32_f16 v29, v29;
	;;#ASMEND
	s_waitcnt vmcnt(2)
	;;#ASMSTART
	v_cvt_f32_f16 v25, v25;
	;;#ASMEND
	ds_read_u16 v30, v12 offset:26
	v_fmac_f32_e32 v28, v29, v25
	s_waitcnt lgkmcnt(0)
	;;#ASMSTART
	v_cvt_f32_f16 v30, v30;
	;;#ASMEND
	s_waitcnt vmcnt(1)
	;;#ASMSTART
	v_cvt_f32_f16 v24, v24;
	;;#ASMEND
	v_fmac_f32_e32 v28, v30, v24
	ds_read_u16 v31, v12 offset:28
	s_waitcnt lgkmcnt(0)
	;;#ASMSTART
	v_cvt_f32_f16 v24, v31;
	;;#ASMEND
	s_waitcnt vmcnt(0)
	;;#ASMSTART
	v_cvt_f32_f16 v23, v23;
	;;#ASMEND
	v_fmac_f32_e32 v28, v24, v23
	ds_bpermute_b32 v23, v48, v28
	v_cndmask_b32_e64 v24, v18, v21, s[6:7]
	v_lshlrev_b32_e32 v24, 2, v24
	v_xor_b32_e32 v25, 1, v18
	v_cmp_lt_i32_e64 s[6:7], v25, v19
	s_waitcnt lgkmcnt(0)
	v_add_f32_e32 v23, v28, v23
	ds_bpermute_b32 v24, v24, v23
	v_cndmask_b32_e64 v25, v18, v25, s[6:7]
	s_waitcnt lgkmcnt(0)
	v_add_f32_e32 v23, v23, v24
	v_lshlrev_b32_e32 v24, 2, v25
	ds_bpermute_b32 v24, v24, v23
	s_and_saveexec_b64 s[40:41], vcc
	s_cbranch_execz .LBB59_11
; %bb.19:                               ;   in Loop: Header=BB59_13 Depth=1
	v_add_u32_e32 v25, v15, v14
	v_cvt_f32_i32_e32 v25, v25
	s_waitcnt lgkmcnt(0)
	v_add_f32_e32 v23, v23, v24
	v_add_u32_e32 v26, v5, v14
	v_cmp_gt_i32_e64 s[6:7], s21, v26
	v_mul_f32_e32 v24, s45, v25
	v_cndmask_b32_e64 v24, 0, v24, s[4:5]
	v_fmac_f32_e32 v24, s35, v23
	v_cndmask_b32_e64 v23, 0, v24, s[6:7]
	ds_write_b32 v16, v23
	v_max_f32_e32 v23, v11, v11
	v_max_f32_e32 v23, v23, v24
	v_cndmask_b32_e64 v11, v11, v23, s[6:7]
	s_branch .LBB59_11
.LBB59_20:
	s_or_b64 exec, exec, s[38:39]
.LBB59_21:
	s_or_b64 exec, exec, s[36:37]
	v_mbcnt_hi_u32_b32 v1, -1, v4
	v_and_b32_e32 v14, 64, v1
	v_add_u32_e32 v2, 64, v14
	v_xor_b32_e32 v4, 32, v1
	v_cmp_lt_i32_e32 vcc, v4, v2
	v_cndmask_b32_e32 v4, v1, v4, vcc
	v_lshlrev_b32_e32 v5, 2, v4
	ds_bpermute_b32 v4, v5, v11
	v_xor_b32_e32 v10, 16, v1
	v_max_f32_e32 v6, v11, v11
	v_cmp_lt_i32_e32 vcc, v10, v2
	s_waitcnt lgkmcnt(0)
	v_max_f32_e32 v4, v4, v4
	v_max_f32_e32 v4, v6, v4
	v_cndmask_b32_e32 v6, v1, v10, vcc
	v_lshlrev_b32_e32 v11, 2, v6
	ds_bpermute_b32 v6, v11, v4
	v_xor_b32_e32 v10, 8, v1
	v_cmp_lt_i32_e32 vcc, v10, v2
	s_waitcnt lgkmcnt(0)
	v_max_f32_e32 v6, v6, v6
	v_max_f32_e32 v6, v4, v6
	v_cndmask_b32_e32 v4, v1, v10, vcc
	v_lshlrev_b32_e32 v13, 2, v4
	ds_bpermute_b32 v12, v13, v6
	v_and_b32_e32 v10, 63, v0
	v_cmp_eq_u32_e32 vcc, 0, v10
	v_lshlrev_b32_e32 v4, 2, v8
	s_and_saveexec_b64 s[4:5], vcc
	s_cbranch_execz .LBB59_23
; %bb.22:
	s_waitcnt lgkmcnt(0)
	v_max_f32_e32 v12, v12, v12
	v_max_f32_e32 v6, v6, v6
	;; [unrolled: 1-line block ×3, first 2 shown]
	ds_write_b32 v4, v6 offset:240
.LBB59_23:
	s_or_b64 exec, exec, s[4:5]
	v_cmp_gt_u32_e64 s[4:5], 2, v10
	v_mov_b32_e32 v15, 0xff7fffff
	v_lshlrev_b32_e32 v6, 2, v10
	s_waitcnt lgkmcnt(0)
	s_barrier
	s_and_saveexec_b64 s[6:7], s[4:5]
; %bb.24:
	ds_read_b32 v15, v6 offset:240
; %bb.25:
	s_or_b64 exec, exec, s[6:7]
	v_xor_b32_e32 v12, 1, v1
	v_cmp_lt_i32_e64 s[6:7], v12, v2
	v_cndmask_b32_e64 v12, v1, v12, s[6:7]
	v_lshlrev_b32_e32 v12, 2, v12
	s_waitcnt lgkmcnt(0)
	ds_bpermute_b32 v16, v12, v15
	v_max_f32_e32 v15, v15, v15
	v_lshlrev_b32_e32 v14, 2, v14
	s_lshl_b32 s6, s44, 3
	s_min_i32 s15, s6, s21
	s_waitcnt lgkmcnt(0)
	v_max_f32_e32 v16, v16, v16
	v_max_f32_e32 v15, v15, v16
	ds_bpermute_b32 v15, v14, v15
	v_cmp_gt_i32_e64 s[6:7], s15, v0
	v_mov_b32_e32 v14, 0
	s_and_saveexec_b64 s[34:35], s[6:7]
	s_cbranch_execz .LBB59_29
; %bb.26:
	v_mov_b32_e32 v14, 0x100
	v_lshl_add_u32 v16, v0, 2, v14
	v_mov_b32_e32 v14, 0
	s_mov_b64 s[36:37], 0
	v_mov_b32_e32 v17, v0
.LBB59_27:                              ; =>This Inner Loop Header: Depth=1
	ds_read_b32 v18, v16
	v_add_u32_e32 v17, 0x80, v17
	v_cmp_le_i32_e64 s[10:11], s15, v17
	s_or_b64 s[36:37], s[10:11], s[36:37]
	s_waitcnt lgkmcnt(0)
	v_sub_f32_e32 v18, v18, v15
	v_mul_f32_e32 v18, 0x3fb8aa3b, v18
	v_exp_f32_e32 v18, v18
	ds_write_b32 v16, v18
	v_add_f32_e32 v14, v14, v18
	v_add_u32_e32 v16, 0x200, v16
	s_andn2_b64 exec, exec, s[36:37]
	s_cbranch_execnz .LBB59_27
; %bb.28:
	s_or_b64 exec, exec, s[36:37]
.LBB59_29:
	s_or_b64 exec, exec, s[34:35]
	ds_bpermute_b32 v5, v5, v14
	s_waitcnt lgkmcnt(0)
	v_add_f32_e32 v5, v14, v5
	ds_bpermute_b32 v11, v11, v5
	s_waitcnt lgkmcnt(0)
	v_add_f32_e32 v5, v5, v11
	ds_bpermute_b32 v11, v13, v5
	v_xor_b32_e32 v13, 4, v1
	v_cmp_lt_i32_e64 s[10:11], v13, v2
	v_cndmask_b32_e64 v13, v1, v13, s[10:11]
	v_lshlrev_b32_e32 v13, 2, v13
	s_waitcnt lgkmcnt(0)
	v_add_f32_e32 v5, v5, v11
	ds_bpermute_b32 v11, v13, v5
	v_xor_b32_e32 v13, 2, v1
	v_cmp_lt_i32_e64 s[10:11], v13, v2
	v_cndmask_b32_e64 v2, v1, v13, s[10:11]
	v_lshlrev_b32_e32 v2, 2, v2
	s_waitcnt lgkmcnt(0)
	v_add_f32_e32 v5, v5, v11
	ds_bpermute_b32 v2, v2, v5
	s_waitcnt lgkmcnt(0)
	v_add_f32_e32 v2, v5, v2
	ds_bpermute_b32 v5, v12, v2
	s_waitcnt lgkmcnt(0)
	v_add_f32_e32 v2, v2, v5
	s_and_saveexec_b64 s[10:11], vcc
; %bb.30:
	ds_write_b32 v4, v2 offset:248
; %bb.31:
	s_or_b64 exec, exec, s[10:11]
	s_waitcnt lgkmcnt(0)
	s_barrier
	s_and_saveexec_b64 s[10:11], s[4:5]
; %bb.32:
	ds_read_b32 v2, v6 offset:248
; %bb.33:
	s_or_b64 exec, exec, s[10:11]
	s_waitcnt lgkmcnt(0)
	ds_bpermute_b32 v4, v12, v2
	v_lshlrev_b32_e32 v1, 2, v1
	v_and_b32_e32 v1, 0x100, v1
	s_waitcnt lgkmcnt(0)
	v_add_f32_e32 v2, v2, v4
	ds_bpermute_b32 v1, v1, v2
	s_and_saveexec_b64 s[4:5], s[6:7]
	s_cbranch_execz .LBB59_36
; %bb.34:
	s_waitcnt lgkmcnt(0)
	v_add_f32_e32 v2, 0x358637bd, v1
	v_div_scale_f32 v1, s[6:7], v2, v2, 1.0
	v_div_scale_f32 v4, vcc, 1.0, v2, 1.0
	s_mov_b64 s[6:7], 0
	v_rcp_f32_e32 v5, v1
	v_fma_f32 v6, -v1, v5, 1.0
	v_fmac_f32_e32 v5, v6, v5
	v_mul_f32_e32 v6, v4, v5
	v_fma_f32 v11, -v1, v6, v4
	v_fmac_f32_e32 v6, v11, v5
	v_fma_f32 v1, -v1, v6, v4
	v_div_fmas_f32 v4, v1, v5, v6
	v_mov_b32_e32 v1, 0x100
	v_lshl_add_u32 v1, v0, 2, v1
	v_div_fixup_f32 v2, v4, v2, 1.0
	v_mov_b32_e32 v4, v0
.LBB59_35:                              ; =>This Inner Loop Header: Depth=1
	ds_read_b32 v5, v1
	v_add_u32_e32 v4, 0x80, v4
	v_cmp_le_i32_e32 vcc, s15, v4
	s_or_b64 s[6:7], vcc, s[6:7]
	s_waitcnt lgkmcnt(0)
	v_mul_f32_e32 v5, v2, v5
	ds_write_b32 v1, v5
	v_add_u32_e32 v1, 0x200, v1
	s_andn2_b64 exec, exec, s[6:7]
	s_cbranch_execnz .LBB59_35
.LBB59_36:
	s_or_b64 exec, exec, s[4:5]
	v_mov_b32_e32 v12, 0
	v_mov_b32_e32 v11, 0
	s_waitcnt lgkmcnt(0)
	s_barrier
	s_and_saveexec_b64 s[6:7], s[2:3]
	s_cbranch_execz .LBB59_48
; %bb.37:
	s_ashr_i32 s15, s14, 31
	s_sub_i32 s34, s12, s17
	s_lshl_b64 s[2:3], s[14:15], 1
	s_add_u32 s30, s30, s2
	s_addc_u32 s31, s31, s3
	s_abs_i32 s18, s18
	v_cvt_f32_u32_e32 v1, s18
	s_sub_i32 s3, 0, s18
	s_add_i32 s36, s44, -1
	s_lshl_b64 s[4:5], s[28:29], 2
	v_rcp_iflag_f32_e32 v1, v1
	s_add_u32 s4, s26, s4
	v_and_b32_e32 v3, 60, v3
	s_addc_u32 s5, s27, s5
	v_mul_f32_e32 v1, 0x4f7ffffe, v1
	v_cvt_u32_f32_e32 v1, v1
	v_or_b32_e32 v4, 64, v10
	s_movk_i32 s2, 0x78
	v_lshlrev_b32_e32 v2, 3, v10
	v_mul_lo_u32 v5, s3, v1
	v_cmp_gt_u32_e64 s[2:3], s2, v4
	v_lshlrev_b32_e32 v4, 3, v4
	s_mov_b32 s35, s13
	v_mul_hi_u32 v5, v1, v5
	v_mov_b32_e32 v13, 0
	s_mov_b64 s[10:11], 0
	v_lshlrev_b32_e32 v16, 1, v2
	v_add_u32_e32 v14, v1, v5
	v_mov_b32_e32 v1, s5
	v_add_co_u32_e32 v5, vcc, s4, v3
	v_addc_co_u32_e32 v6, vcc, 0, v1, vcc
	v_mov_b32_e32 v1, 0x100
	v_lshl_add_u32 v15, v8, 5, v1
	s_mov_b32 s26, 0xffff
	v_lshlrev_b32_e32 v17, 1, v4
	v_mov_b32_e32 v11, 0
	v_mov_b32_e32 v12, 0
	s_branch .LBB59_41
.LBB59_38:                              ;   in Loop: Header=BB59_41 Depth=1
	s_or_b64 exec, exec, s[16:17]
	v_lshlrev_b32_e32 v26, 16, v26
	v_and_or_b32 v1, v1, s26, v26
	v_lshlrev_b32_e32 v25, 16, v25
	v_lshlrev_b32_e32 v24, 16, v24
	v_and_or_b32 v2, v2, s26, v25
	v_and_or_b32 v3, v3, s26, v24
	;;#ASMSTART
	v_pk_mul_f16 v1, v21, v1;

	;;#ASMEND
	;;#ASMSTART
	v_pk_mul_f16 v2, v22, v2;

	;;#ASMEND
	;;#ASMSTART
	v_pk_mul_f16 v3, v23, v3;

	;;#ASMEND
	;;#ASMSTART
	v_pk_mul_f16 v4, v20, v4;

	;;#ASMEND
	;;#ASMSTART
	v_pk_add_f16 v1, v1, v2;

	;;#ASMEND
	;;#ASMSTART
	v_pk_add_f16 v1, v1, v3;

	;;#ASMEND
	;; [unrolled: 4-line block ×3, first 2 shown]
	v_lshrrev_b32_e32 v2, 16, v1
	v_and_b32_e32 v1, 0xffff, v1
	;;#ASMSTART
	v_cvt_f32_f16 v1, v1;
	;;#ASMEND
	;;#ASMSTART
	v_cvt_f32_f16 v2, v2;
	;;#ASMEND
	v_add_f32_e32 v1, v1, v2
	v_add_f32_e32 v11, v11, v1
.LBB59_39:                              ;   in Loop: Header=BB59_41 Depth=1
	s_or_b64 exec, exec, s[14:15]
	v_add_f32_e32 v1, v18, v19
	v_add_f32_e32 v12, v12, v1
.LBB59_40:                              ;   in Loop: Header=BB59_41 Depth=1
	s_or_b64 exec, exec, s[12:13]
	v_add_co_u32_e32 v5, vcc, 8, v5
	v_add_u32_e32 v8, 2, v8
	v_addc_co_u32_e32 v6, vcc, 0, v6, vcc
	v_cmp_le_i32_e32 vcc, s44, v8
	v_add_u32_e32 v9, 16, v9
	s_or_b64 s[10:11], vcc, s[10:11]
	v_add_u32_e32 v15, 64, v15
	s_andn2_b64 exec, exec, s[10:11]
	s_cbranch_execz .LBB59_47
.LBB59_41:                              ; =>This Inner Loop Header: Depth=1
	v_mul_hi_u32 v1, v9, s33
	v_mul_lo_u32 v2, v1, s23
	v_add_u32_e32 v3, 1, v1
	v_sub_u32_e32 v2, v9, v2
	v_cmp_le_u32_e32 vcc, s23, v2
	v_cndmask_b32_e32 v1, v1, v3, vcc
	v_subrev_u32_e32 v3, s23, v2
	v_cndmask_b32_e32 v2, v2, v3, vcc
	v_add_u32_e32 v3, 1, v1
	v_cmp_le_u32_e32 vcc, s23, v2
	v_cndmask_b32_e32 v1, v1, v3, vcc
	v_xor_b32_e32 v1, s43, v1
	v_subrev_u32_e32 v1, s43, v1
	v_add_u32_e32 v2, s42, v1
	v_sub_u32_e32 v3, 0, v2
	v_max_i32_e32 v3, v2, v3
	v_mul_hi_u32 v4, v3, v14
	v_ashrrev_i32_e32 v2, 31, v2
	v_cmp_lt_i32_e64 s[4:5], s34, v1
	v_mul_lo_u32 v4, v4, s18
	v_sub_u32_e32 v3, v3, v4
	v_subrev_u32_e32 v4, s18, v3
	v_cmp_le_u32_e32 vcc, s18, v3
	v_cndmask_b32_e32 v3, v3, v4, vcc
	v_subrev_u32_e32 v4, s18, v3
	v_cmp_le_u32_e32 vcc, s18, v3
	v_cndmask_b32_e32 v3, v3, v4, vcc
	v_xor_b32_e32 v3, v3, v2
	v_sub_u32_e32 v2, v3, v2
	v_cmp_eq_u32_e32 vcc, 0, v2
	s_or_b64 s[4:5], vcc, s[4:5]
	s_and_saveexec_b64 s[12:13], s[4:5]
	s_cbranch_execz .LBB59_40
; %bb.42:                               ;   in Loop: Header=BB59_41 Depth=1
	global_load_dword v21, v[5:6], off
	ds_read2_b64 v[1:4], v15 offset1:1
	ds_read2_b64 v[25:28], v15 offset0:2 offset1:3
	v_mov_b32_e32 v29, s31
	s_waitcnt lgkmcnt(1)
	;;#ASMSTART
	v_cvt_f16_f32 v18, v1;

	;;#ASMEND
	;;#ASMSTART
	v_cvt_f16_f32 v19, v2;

	;;#ASMEND
	;; [unrolled: 4-line block ×4, first 2 shown]
	s_waitcnt lgkmcnt(0)
	;;#ASMSTART
	v_cvt_f16_f32 v23, v25;

	;;#ASMEND
	;;#ASMSTART
	v_cvt_f16_f32 v26, v26;

	;;#ASMEND
	;; [unrolled: 4-line block ×4, first 2 shown]
	s_waitcnt vmcnt(0)
	v_mad_i64_i32 v[1:2], s[4:5], v21, s35, 0
	v_cmp_eq_u32_e64 s[4:5], s36, v8
	v_lshlrev_b64 v[1:2], 1, v[1:2]
	v_add_co_u32_e32 v24, vcc, s30, v1
	v_addc_co_u32_e32 v25, vcc, v29, v2, vcc
	v_add_co_u32_e32 v1, vcc, v24, v16
	v_addc_co_u32_e32 v2, vcc, 0, v25, vcc
	global_load_dwordx4 v[1:4], v[1:2], off
	s_waitcnt vmcnt(0)
	v_lshrrev_b32_e32 v31, 16, v1
	v_lshrrev_b32_e32 v30, 16, v2
	;; [unrolled: 1-line block ×3, first 2 shown]
	s_and_saveexec_b64 s[14:15], s[4:5]
	s_cbranch_execz .LBB59_44
; %bb.43:                               ;   in Loop: Header=BB59_41 Depth=1
	v_cmp_gt_i32_e32 vcc, s21, v9
	v_add_u32_e32 v21, 1, v9
	v_cndmask_b32_e32 v1, 0, v1, vcc
	v_cmp_gt_i32_e32 vcc, s21, v21
	v_add_u32_e32 v21, 2, v9
	v_cndmask_b32_e32 v31, 0, v31, vcc
	;; [unrolled: 3-line block ×6, first 2 shown]
	v_cmp_gt_i32_e32 vcc, s21, v21
	v_add_u32_e32 v32, 7, v9
	v_cndmask_b32_sdwa v21, v13, v4, vcc dst_sel:DWORD dst_unused:UNUSED_PAD src0_sel:DWORD src1_sel:WORD_0
	v_and_b32_e32 v4, 0xffff0000, v4
	v_cmp_gt_i32_e32 vcc, s21, v32
	v_cndmask_b32_e32 v4, 0, v4, vcc
	v_or_b32_e32 v4, v21, v4
.LBB59_44:                              ;   in Loop: Header=BB59_41 Depth=1
	s_or_b64 exec, exec, s[14:15]
	v_and_b32_e32 v18, 0xffff, v18
	v_lshl_or_b32 v21, v19, 16, v18
	v_and_b32_e32 v18, 0xffff, v20
	v_lshl_or_b32 v22, v22, 16, v18
	;; [unrolled: 2-line block ×4, first 2 shown]
	v_lshlrev_b32_e32 v18, 16, v31
	v_and_or_b32 v1, v1, s26, v18
	v_lshlrev_b32_e32 v18, 16, v30
	v_and_or_b32 v2, v2, s26, v18
	;; [unrolled: 2-line block ×3, first 2 shown]
	;;#ASMSTART
	v_pk_mul_f16 v1, v21, v1;

	;;#ASMEND
	;;#ASMSTART
	v_pk_mul_f16 v2, v22, v2;

	;;#ASMEND
	;; [unrolled: 4-line block ×4, first 2 shown]
	;;#ASMSTART
	v_pk_add_f16 v1, v1, v2;

	;;#ASMEND
	;;#ASMSTART
	v_pk_add_f16 v1, v1, v3;

	;;#ASMEND
	;; [unrolled: 4-line block ×3, first 2 shown]
	v_lshrrev_b32_e32 v2, 16, v1
	v_and_b32_e32 v1, 0xffff, v1
	;;#ASMSTART
	v_cvt_f32_f16 v18, v1;
	;;#ASMEND
	;;#ASMSTART
	v_cvt_f32_f16 v19, v2;
	;;#ASMEND
	s_and_saveexec_b64 s[14:15], s[2:3]
	s_cbranch_execz .LBB59_39
; %bb.45:                               ;   in Loop: Header=BB59_41 Depth=1
	v_add_co_u32_e32 v1, vcc, v24, v17
	v_addc_co_u32_e32 v2, vcc, 0, v25, vcc
	global_load_dwordx4 v[1:4], v[1:2], off
	s_waitcnt vmcnt(0)
	v_lshrrev_b32_e32 v26, 16, v1
	v_lshrrev_b32_e32 v25, 16, v2
	v_lshrrev_b32_e32 v24, 16, v3
	s_and_saveexec_b64 s[16:17], s[4:5]
	s_cbranch_execz .LBB59_38
; %bb.46:                               ;   in Loop: Header=BB59_41 Depth=1
	v_cmp_gt_i32_e32 vcc, s21, v9
	v_add_u32_e32 v27, 1, v9
	v_cndmask_b32_e32 v1, 0, v1, vcc
	v_cmp_gt_i32_e32 vcc, s21, v27
	v_add_u32_e32 v27, 2, v9
	v_cndmask_b32_e32 v26, 0, v26, vcc
	;; [unrolled: 3-line block ×6, first 2 shown]
	v_cmp_gt_i32_e32 vcc, s21, v27
	v_add_u32_e32 v28, 7, v9
	v_cndmask_b32_sdwa v27, v13, v4, vcc dst_sel:DWORD dst_unused:UNUSED_PAD src0_sel:DWORD src1_sel:WORD_0
	v_and_b32_e32 v4, 0xffff0000, v4
	v_cmp_gt_i32_e32 vcc, s21, v28
	v_cndmask_b32_e32 v4, 0, v4, vcc
	v_or_b32_e32 v4, v27, v4
	s_branch .LBB59_38
.LBB59_47:
	s_or_b64 exec, exec, s[10:11]
.LBB59_48:
	s_or_b64 exec, exec, s[6:7]
	v_and_b32_e32 v1, 0x3c0, v0
	v_cmp_eq_u32_e32 vcc, 64, v1
	s_barrier
	s_and_saveexec_b64 s[2:3], vcc
	s_cbranch_execz .LBB59_51
; %bb.49:
	v_mov_b32_e32 v1, 0x100
	v_lshl_add_u32 v2, v10, 2, v1
	ds_write_b32 v2, v12
	s_and_b64 exec, exec, s[0:1]
; %bb.50:
	v_lshl_add_u32 v1, v0, 2, v1
	ds_write_b32 v1, v11
.LBB59_51:
	s_or_b64 exec, exec, s[2:3]
	v_cmp_gt_u32_e32 vcc, 64, v0
	v_or_b32_e32 v1, 64, v0
	s_waitcnt lgkmcnt(0)
	s_barrier
	s_and_saveexec_b64 s[2:3], vcc
	s_cbranch_execz .LBB59_55
; %bb.52:
	v_mov_b32_e32 v2, 0x100
	v_lshl_add_u32 v2, v0, 2, v2
	ds_read_b32 v0, v2
	s_movk_i32 s0, 0x78
	v_cmp_gt_u32_e64 s[0:1], s0, v1
	s_and_saveexec_b64 s[4:5], s[0:1]
	s_cbranch_execz .LBB59_54
; %bb.53:
	ds_read_b32 v2, v2 offset:256
	s_waitcnt lgkmcnt(0)
	v_add_f32_e32 v11, v11, v2
.LBB59_54:
	s_or_b64 exec, exec, s[4:5]
	s_waitcnt lgkmcnt(0)
	v_add_f32_e32 v12, v12, v0
.LBB59_55:
	s_or_b64 exec, exec, s[2:3]
	s_barrier
	s_and_saveexec_b64 s[0:1], vcc
	s_cbranch_execz .LBB59_58
; %bb.56:
	s_mul_i32 s0, s20, s19
	s_mul_i32 s0, s0, s9
	s_mulk_i32 s0, 0x78
	s_ashr_i32 s1, s0, 31
	s_lshl_b64 s[0:1], s[0:1], 1
	s_add_u32 s3, s24, s0
	s_mul_i32 s0, s19, s22
	s_addc_u32 s4, s25, s1
	s_ashr_i32 s1, s0, 31
	s_lshl_b64 s[0:1], s[0:1], 1
	s_add_u32 s3, s3, s0
	s_mul_i32 s0, s8, 0x78
	s_addc_u32 s4, s4, s1
	s_ashr_i32 s1, s0, 31
	s_lshl_b64 s[0:1], s[0:1], 1
	s_movk_i32 s2, 0x78
	s_add_u32 s0, s3, s0
	s_addc_u32 s1, s4, s1
	v_cmp_gt_u32_e32 vcc, s2, v1
	;;#ASMSTART
	v_cvt_f16_f32 v0, v12;

	;;#ASMEND
	global_store_short v7, v0, s[0:1]
	s_and_b64 exec, exec, vcc
	s_cbranch_execz .LBB59_58
; %bb.57:
	v_mov_b32_e32 v1, s1
	v_add_co_u32_e32 v0, vcc, s0, v7
	v_addc_co_u32_e32 v1, vcc, 0, v1, vcc
	;;#ASMSTART
	v_cvt_f16_f32 v2, v11;

	;;#ASMEND
	global_store_short v[0:1], v2, off offset:128
.LBB59_58:
	s_endpgm
	.section	.rodata,"a",@progbits
	.p2align	6, 0x0
	.amdhsa_kernel _ZN4vllm25paged_attention_v1_kernelIttLi120ELi8ELi128ELNS_18Fp8KVCacheDataTypeE0ELb1EEEvPT_PKS2_PKT0_S8_ifPKiSA_iPKfiiiSC_SC_iiiii
		.amdhsa_group_segment_fixed_size 256
		.amdhsa_private_segment_fixed_size 0
		.amdhsa_kernarg_size 384
		.amdhsa_user_sgpr_count 6
		.amdhsa_user_sgpr_private_segment_buffer 1
		.amdhsa_user_sgpr_dispatch_ptr 0
		.amdhsa_user_sgpr_queue_ptr 0
		.amdhsa_user_sgpr_kernarg_segment_ptr 1
		.amdhsa_user_sgpr_dispatch_id 0
		.amdhsa_user_sgpr_flat_scratch_init 0
		.amdhsa_user_sgpr_private_segment_size 0
		.amdhsa_uses_dynamic_stack 0
		.amdhsa_system_sgpr_private_segment_wavefront_offset 0
		.amdhsa_system_sgpr_workgroup_id_x 1
		.amdhsa_system_sgpr_workgroup_id_y 1
		.amdhsa_system_sgpr_workgroup_id_z 1
		.amdhsa_system_sgpr_workgroup_info 0
		.amdhsa_system_vgpr_workitem_id 0
		.amdhsa_next_free_vgpr 51
		.amdhsa_next_free_sgpr 46
		.amdhsa_reserve_vcc 1
		.amdhsa_reserve_flat_scratch 0
		.amdhsa_float_round_mode_32 0
		.amdhsa_float_round_mode_16_64 0
		.amdhsa_float_denorm_mode_32 3
		.amdhsa_float_denorm_mode_16_64 3
		.amdhsa_dx10_clamp 1
		.amdhsa_ieee_mode 1
		.amdhsa_fp16_overflow 0
		.amdhsa_exception_fp_ieee_invalid_op 0
		.amdhsa_exception_fp_denorm_src 0
		.amdhsa_exception_fp_ieee_div_zero 0
		.amdhsa_exception_fp_ieee_overflow 0
		.amdhsa_exception_fp_ieee_underflow 0
		.amdhsa_exception_fp_ieee_inexact 0
		.amdhsa_exception_int_div_zero 0
	.end_amdhsa_kernel
	.section	.text._ZN4vllm25paged_attention_v1_kernelIttLi120ELi8ELi128ELNS_18Fp8KVCacheDataTypeE0ELb1EEEvPT_PKS2_PKT0_S8_ifPKiSA_iPKfiiiSC_SC_iiiii,"axG",@progbits,_ZN4vllm25paged_attention_v1_kernelIttLi120ELi8ELi128ELNS_18Fp8KVCacheDataTypeE0ELb1EEEvPT_PKS2_PKT0_S8_ifPKiSA_iPKfiiiSC_SC_iiiii,comdat
.Lfunc_end59:
	.size	_ZN4vllm25paged_attention_v1_kernelIttLi120ELi8ELi128ELNS_18Fp8KVCacheDataTypeE0ELb1EEEvPT_PKS2_PKT0_S8_ifPKiSA_iPKfiiiSC_SC_iiiii, .Lfunc_end59-_ZN4vllm25paged_attention_v1_kernelIttLi120ELi8ELi128ELNS_18Fp8KVCacheDataTypeE0ELb1EEEvPT_PKS2_PKT0_S8_ifPKiSA_iPKfiiiSC_SC_iiiii
                                        ; -- End function
	.set _ZN4vllm25paged_attention_v1_kernelIttLi120ELi8ELi128ELNS_18Fp8KVCacheDataTypeE0ELb1EEEvPT_PKS2_PKT0_S8_ifPKiSA_iPKfiiiSC_SC_iiiii.num_vgpr, 51
	.set _ZN4vllm25paged_attention_v1_kernelIttLi120ELi8ELi128ELNS_18Fp8KVCacheDataTypeE0ELb1EEEvPT_PKS2_PKT0_S8_ifPKiSA_iPKfiiiSC_SC_iiiii.num_agpr, 0
	.set _ZN4vllm25paged_attention_v1_kernelIttLi120ELi8ELi128ELNS_18Fp8KVCacheDataTypeE0ELb1EEEvPT_PKS2_PKT0_S8_ifPKiSA_iPKfiiiSC_SC_iiiii.numbered_sgpr, 46
	.set _ZN4vllm25paged_attention_v1_kernelIttLi120ELi8ELi128ELNS_18Fp8KVCacheDataTypeE0ELb1EEEvPT_PKS2_PKT0_S8_ifPKiSA_iPKfiiiSC_SC_iiiii.num_named_barrier, 0
	.set _ZN4vllm25paged_attention_v1_kernelIttLi120ELi8ELi128ELNS_18Fp8KVCacheDataTypeE0ELb1EEEvPT_PKS2_PKT0_S8_ifPKiSA_iPKfiiiSC_SC_iiiii.private_seg_size, 0
	.set _ZN4vllm25paged_attention_v1_kernelIttLi120ELi8ELi128ELNS_18Fp8KVCacheDataTypeE0ELb1EEEvPT_PKS2_PKT0_S8_ifPKiSA_iPKfiiiSC_SC_iiiii.uses_vcc, 1
	.set _ZN4vllm25paged_attention_v1_kernelIttLi120ELi8ELi128ELNS_18Fp8KVCacheDataTypeE0ELb1EEEvPT_PKS2_PKT0_S8_ifPKiSA_iPKfiiiSC_SC_iiiii.uses_flat_scratch, 0
	.set _ZN4vllm25paged_attention_v1_kernelIttLi120ELi8ELi128ELNS_18Fp8KVCacheDataTypeE0ELb1EEEvPT_PKS2_PKT0_S8_ifPKiSA_iPKfiiiSC_SC_iiiii.has_dyn_sized_stack, 0
	.set _ZN4vllm25paged_attention_v1_kernelIttLi120ELi8ELi128ELNS_18Fp8KVCacheDataTypeE0ELb1EEEvPT_PKS2_PKT0_S8_ifPKiSA_iPKfiiiSC_SC_iiiii.has_recursion, 0
	.set _ZN4vllm25paged_attention_v1_kernelIttLi120ELi8ELi128ELNS_18Fp8KVCacheDataTypeE0ELb1EEEvPT_PKS2_PKT0_S8_ifPKiSA_iPKfiiiSC_SC_iiiii.has_indirect_call, 0
	.section	.AMDGPU.csdata,"",@progbits
; Kernel info:
; codeLenInByte = 4552
; TotalNumSgprs: 50
; NumVgprs: 51
; ScratchSize: 0
; MemoryBound: 0
; FloatMode: 240
; IeeeMode: 1
; LDSByteSize: 256 bytes/workgroup (compile time only)
; SGPRBlocks: 6
; VGPRBlocks: 12
; NumSGPRsForWavesPerEU: 50
; NumVGPRsForWavesPerEU: 51
; Occupancy: 4
; WaveLimiterHint : 1
; COMPUTE_PGM_RSRC2:SCRATCH_EN: 0
; COMPUTE_PGM_RSRC2:USER_SGPR: 6
; COMPUTE_PGM_RSRC2:TRAP_HANDLER: 0
; COMPUTE_PGM_RSRC2:TGID_X_EN: 1
; COMPUTE_PGM_RSRC2:TGID_Y_EN: 1
; COMPUTE_PGM_RSRC2:TGID_Z_EN: 1
; COMPUTE_PGM_RSRC2:TIDIG_COMP_CNT: 0
	.section	.text._ZN4vllm25paged_attention_v1_kernelIttLi128ELi8ELi128ELNS_18Fp8KVCacheDataTypeE0ELb1EEEvPT_PKS2_PKT0_S8_ifPKiSA_iPKfiiiSC_SC_iiiii,"axG",@progbits,_ZN4vllm25paged_attention_v1_kernelIttLi128ELi8ELi128ELNS_18Fp8KVCacheDataTypeE0ELb1EEEvPT_PKS2_PKT0_S8_ifPKiSA_iPKfiiiSC_SC_iiiii,comdat
	.protected	_ZN4vllm25paged_attention_v1_kernelIttLi128ELi8ELi128ELNS_18Fp8KVCacheDataTypeE0ELb1EEEvPT_PKS2_PKT0_S8_ifPKiSA_iPKfiiiSC_SC_iiiii ; -- Begin function _ZN4vllm25paged_attention_v1_kernelIttLi128ELi8ELi128ELNS_18Fp8KVCacheDataTypeE0ELb1EEEvPT_PKS2_PKT0_S8_ifPKiSA_iPKfiiiSC_SC_iiiii
	.globl	_ZN4vllm25paged_attention_v1_kernelIttLi128ELi8ELi128ELNS_18Fp8KVCacheDataTypeE0ELb1EEEvPT_PKS2_PKT0_S8_ifPKiSA_iPKfiiiSC_SC_iiiii
	.p2align	8
	.type	_ZN4vllm25paged_attention_v1_kernelIttLi128ELi8ELi128ELNS_18Fp8KVCacheDataTypeE0ELb1EEEvPT_PKS2_PKT0_S8_ifPKiSA_iPKfiiiSC_SC_iiiii,@function
_ZN4vllm25paged_attention_v1_kernelIttLi128ELi8ELi128ELNS_18Fp8KVCacheDataTypeE0ELb1EEEvPT_PKS2_PKT0_S8_ifPKiSA_iPKfiiiSC_SC_iiiii: ; @_ZN4vllm25paged_attention_v1_kernelIttLi128ELi8ELi128ELNS_18Fp8KVCacheDataTypeE0ELb1EEEvPT_PKS2_PKT0_S8_ifPKiSA_iPKfiiiSC_SC_iiiii
; %bb.0:
	s_load_dword s9, s[4:5], 0x80
	s_load_dwordx2 s[0:1], s[4:5], 0x30
	s_load_dwordx2 s[30:31], s[4:5], 0x20
	s_mov_b32 s10, s7
	s_ashr_i32 s11, s7, 31
	s_lshl_b64 s[2:3], s[10:11], 2
	s_waitcnt lgkmcnt(0)
	s_add_u32 s0, s0, s2
	s_addc_u32 s1, s1, s3
	s_abs_i32 s2, s30
	v_cvt_f32_u32_e32 v1, s2
	s_sub_i32 s11, 0, s2
	s_abs_i32 s7, s9
	s_xor_b32 s3, s9, s30
	v_rcp_iflag_f32_e32 v1, v1
	s_ashr_i32 s3, s3, 31
	s_mov_b32 s42, 0
	v_mul_f32_e32 v1, 0x4f7ffffe, v1
	v_cvt_u32_f32_e32 v1, v1
	v_readfirstlane_b32 s12, v1
	s_mul_i32 s11, s11, s12
	s_mul_hi_u32 s11, s12, s11
	s_add_i32 s12, s12, s11
	s_mul_hi_u32 s11, s7, s12
	s_mul_i32 s12, s11, s2
	s_sub_i32 s7, s7, s12
	s_add_i32 s12, s11, 1
	s_sub_i32 s13, s7, s2
	s_cmp_ge_u32 s7, s2
	s_cselect_b32 s11, s12, s11
	s_cselect_b32 s7, s13, s7
	s_add_i32 s12, s11, 1
	s_cmp_ge_u32 s7, s2
	s_cselect_b32 s2, s12, s11
	s_xor_b32 s2, s2, s3
	s_sub_i32 s12, s2, s3
	s_abs_i32 s22, s12
	v_cvt_f32_u32_e32 v1, s22
	s_load_dwordx2 s[2:3], s[4:5], 0x40
	s_sub_i32 s7, 0, s22
	s_abs_i32 s23, s6
	v_rcp_iflag_f32_e32 v1, v1
	v_mul_f32_e32 v1, 0x4f7ffffe, v1
	v_cvt_u32_f32_e32 v1, v1
	v_readfirstlane_b32 s11, v1
	s_mul_i32 s7, s7, s11
	s_mul_hi_u32 s7, s11, s7
	s_add_i32 s11, s11, s7
	s_waitcnt lgkmcnt(0)
	s_cmp_eq_u64 s[2:3], 0
	s_mul_hi_u32 s24, s23, s11
	s_cbranch_scc1 .LBB60_2
; %bb.1:
	s_ashr_i32 s7, s6, 31
	s_lshl_b64 s[14:15], s[6:7], 2
	s_add_u32 s2, s2, s14
	s_addc_u32 s3, s3, s15
	s_load_dword s42, s[2:3], 0x0
.LBB60_2:
	s_load_dword s11, s[0:1], 0x0
	s_ashr_i32 s7, s12, 31
	s_load_dwordx4 s[12:15], s[4:5], 0x48
	s_movk_i32 s0, 0x80
	s_ashr_i32 s2, s6, 31
	v_and_b32_e32 v1, 7, v0
	s_lshl_b32 s20, s6, 7
	v_cmp_gt_u32_e32 vcc, s0, v0
	v_lshlrev_b32_e32 v9, 1, v0
	s_and_saveexec_b64 s[0:1], vcc
	s_cbranch_execz .LBB60_4
; %bb.3:
	s_load_dwordx2 s[16:17], s[4:5], 0x8
	s_waitcnt lgkmcnt(0)
	s_mul_i32 s18, s12, s10
	s_ashr_i32 s19, s18, 31
	s_lshl_b64 s[18:19], s[18:19], 1
	v_lshrrev_b32_e32 v3, 2, v0
	s_add_u32 s3, s16, s18
	s_addc_u32 s12, s17, s19
	s_ashr_i32 s21, s20, 31
	s_lshl_b64 s[16:17], s[20:21], 1
	s_add_u32 s16, s3, s16
	s_addc_u32 s17, s12, s17
	global_load_ushort v2, v9, s[16:17]
	v_and_b32_e32 v3, 0xfe, v3
	v_lshl_add_u32 v3, v1, 5, v3
	s_waitcnt vmcnt(0)
	ds_write_b16 v3, v2
.LBB60_4:
	s_or_b64 exec, exec, s[0:1]
	s_mul_i32 s1, s24, s22
	s_sub_i32 s1, s23, s1
	s_xor_b32 s0, s2, s7
	s_add_i32 s2, s24, 1
	s_sub_i32 s7, s1, s22
	s_load_dwordx4 s[16:19], s[4:5], 0x68
	s_load_dword s3, s[4:5], 0x78
	s_cmp_ge_u32 s1, s22
	s_cselect_b32 s2, s2, s24
	s_cselect_b32 s1, s7, s1
	s_add_i32 s7, s2, 1
	s_cmp_ge_u32 s1, s22
	s_cselect_b32 s1, s7, s2
	s_waitcnt lgkmcnt(0)
	s_abs_i32 s21, s19
	v_cvt_f32_u32_e32 v2, s21
	s_xor_b32 s1, s1, s0
	s_sub_i32 s2, s1, s0
	s_sub_i32 s0, 0, s21
	v_rcp_iflag_f32_e32 v2, v2
	s_add_i32 s15, s11, -1
	s_abs_i32 s7, s15
	v_mul_f32_e32 v2, 0x4f7ffffe, v2
	v_cvt_u32_f32_e32 v2, v2
	s_barrier
	v_readfirstlane_b32 s33, v2
	s_mul_i32 s0, s0, s33
	s_mul_hi_u32 s0, s33, s0
	s_add_i32 s33, s33, s0
	s_cmp_lt_i32 s3, 0
	s_mul_hi_u32 s12, s7, s33
	s_cbranch_scc0 .LBB60_6
; %bb.5:
	s_mul_i32 s0, s16, s30
	s_add_i32 s0, s2, s0
	s_mul_i32 s0, s0, s3
	s_sub_i32 s40, 1, s0
	s_mov_b64 s[0:1], 0
	s_branch .LBB60_7
.LBB60_6:
	s_mov_b64 s[0:1], -1
                                        ; implicit-def: $sgpr40
.LBB60_7:
	s_load_dwordx2 s[24:25], s[4:5], 0x28
	s_ashr_i32 s15, s15, 31
	s_andn2_b64 vcc, exec, s[0:1]
	s_ashr_i32 s19, s19, 31
	s_cbranch_vccnz .LBB60_9
; %bb.8:
	s_mul_i32 s0, s9, s16
	s_add_i32 s0, s0, s6
	s_mul_i32 s0, s0, s3
	s_add_i32 s40, s0, 1
.LBB60_9:
	s_load_dword s0, s[4:5], 0x38
	s_load_dwordx2 s[22:23], s[4:5], 0x0
	s_load_dwordx2 s[28:29], s[4:5], 0x18
	s_load_dword s16, s[4:5], 0x88
	s_xor_b32 s1, s15, s19
	s_waitcnt lgkmcnt(0)
	s_mul_i32 s26, s0, s10
	s_mul_i32 s0, s12, s21
	s_sub_i32 s0, s7, s0
	s_ashr_i32 s27, s26, 31
	s_add_i32 s3, s12, 1
	s_sub_i32 s6, s0, s21
	s_cmp_ge_u32 s0, s21
	s_cselect_b32 s3, s3, s12
	s_cselect_b32 s0, s6, s0
	s_add_i32 s6, s3, 1
	s_cmp_ge_u32 s0, s21
	s_cselect_b32 s0, s6, s3
	s_xor_b32 s0, s0, s1
	s_sub_i32 s12, s0, s1
	s_add_i32 s0, s11, 7
	s_ashr_i32 s1, s0, 31
	s_lshr_b32 s1, s1, 29
	s_add_i32 s0, s0, s1
	s_ashr_i32 s41, s0, 3
	v_lshrrev_b32_e32 v10, 6, v0
	v_cmp_gt_i32_e64 s[0:1], s41, v10
	v_mov_b32_e32 v8, 0xff7fffff
	s_mul_i32 s14, s2, s14
	v_lshrrev_b32_e32 v3, 4, v0
	v_lshlrev_b32_e32 v11, 3, v10
	v_mbcnt_lo_u32_b32 v4, -1, 0
	s_and_saveexec_b64 s[34:35], s[0:1]
	s_cbranch_execz .LBB60_21
; %bb.10:
	s_load_dwordx2 s[2:3], s[4:5], 0x10
	s_ashr_i32 s15, s14, 31
	s_sub_i32 s30, s12, s17
	s_lshl_b64 s[4:5], s[14:15], 1
	v_bfe_u32 v5, v0, 3, 3
	s_waitcnt lgkmcnt(0)
	s_add_u32 s2, s2, s4
	s_addc_u32 s3, s3, s5
	s_abs_i32 s15, s18
	v_cvt_f32_u32_e32 v2, s15
	v_mov_b32_e32 v8, s3
	s_sub_i32 s3, 0, s15
	v_lshlrev_b32_e32 v7, 4, v5
	v_rcp_iflag_f32_e32 v2, v2
	v_lshlrev_b32_e32 v6, 1, v1
	s_lshl_b64 s[4:5], s[26:27], 2
	s_add_u32 s4, s24, s4
	v_mul_f32_e32 v2, 0x4f7ffffe, v2
	v_cvt_u32_f32_e32 v2, v2
	v_cmp_eq_u32_e32 vcc, 0, v1
	s_addc_u32 s5, s25, s5
	v_mbcnt_hi_u32_b32 v18, -1, v4
	v_mul_lo_u32 v12, s3, v2
	v_add_co_u32_e64 v7, s[2:3], s2, v7
	v_addc_co_u32_e64 v8, s[2:3], 0, v8, s[2:3]
	v_mul_hi_u32 v13, v2, v12
	v_add_co_u32_e64 v6, s[2:3], v7, v6
	v_addc_co_u32_e64 v7, s[2:3], 0, v8, s[2:3]
	v_subrev_u32_e32 v8, s11, v5
	v_add_u32_e32 v15, 1, v8
	v_lshlrev_b32_e32 v8, 2, v5
	v_lshlrev_b32_e32 v12, 5, v1
	v_and_b32_e32 v1, 60, v3
	v_lshl_or_b32 v8, v10, 5, v8
	v_add_u32_e32 v13, v2, v13
	v_mov_b32_e32 v2, s5
	v_add_co_u32_e64 v1, s[4:5], s4, v1
	v_add_u32_e32 v16, 0x110, v8
	v_and_b32_e32 v8, 64, v18
	s_mov_b32 s43, s13
	v_cmp_neq_f32_e64 s[2:3], s42, 0
	v_addc_co_u32_e64 v2, s[4:5], 0, v2, s[4:5]
	v_lshlrev_b32_e32 v14, 3, v10
	v_mov_b32_e32 v17, 0xff7fffff
	s_mov_b64 s[36:37], 0
	v_add_u32_e32 v19, 64, v8
	v_xor_b32_e32 v20, 4, v18
	v_xor_b32_e32 v21, 2, v18
	v_mov_b32_e32 v8, 0xff7fffff
	v_mov_b32_e32 v22, v10
	s_branch .LBB60_13
.LBB60_11:                              ;   in Loop: Header=BB60_13 Depth=1
	s_or_b64 exec, exec, s[38:39]
.LBB60_12:                              ;   in Loop: Header=BB60_13 Depth=1
	s_or_b64 exec, exec, s[6:7]
	v_add_co_u32_e64 v1, s[4:5], 8, v1
	v_add_u32_e32 v22, 2, v22
	v_addc_co_u32_e64 v2, s[4:5], 0, v2, s[4:5]
	v_cmp_le_i32_e64 s[4:5], s41, v22
	v_add_u32_e32 v14, 16, v14
	s_or_b64 s[36:37], s[4:5], s[36:37]
	v_add_u32_e32 v16, 64, v16
	s_andn2_b64 exec, exec, s[36:37]
	s_cbranch_execz .LBB60_20
.LBB60_13:                              ; =>This Inner Loop Header: Depth=1
	v_mul_hi_u32 v23, v14, s33
	s_waitcnt lgkmcnt(0)
	v_mul_lo_u32 v24, v23, s21
	v_add_u32_e32 v25, 1, v23
	v_sub_u32_e32 v24, v14, v24
	v_cmp_le_u32_e64 s[4:5], s21, v24
	v_cndmask_b32_e64 v23, v23, v25, s[4:5]
	v_subrev_u32_e32 v25, s21, v24
	v_cndmask_b32_e64 v24, v24, v25, s[4:5]
	v_add_u32_e32 v25, 1, v23
	v_cmp_le_u32_e64 s[4:5], s21, v24
	v_cndmask_b32_e64 v23, v23, v25, s[4:5]
	v_xor_b32_e32 v23, s19, v23
	v_subrev_u32_e32 v23, s19, v23
	v_add_u32_e32 v24, s40, v23
	v_sub_u32_e32 v25, 0, v24
	v_max_i32_e32 v25, v24, v25
	v_mul_hi_u32 v26, v25, v13
	v_ashrrev_i32_e32 v24, 31, v24
	v_cmp_ge_i32_e64 s[6:7], s30, v23
	v_mul_lo_u32 v26, v26, s15
	v_sub_u32_e32 v25, v25, v26
	v_subrev_u32_e32 v26, s15, v25
	v_cmp_le_u32_e64 s[4:5], s15, v25
	v_cndmask_b32_e64 v25, v25, v26, s[4:5]
	v_subrev_u32_e32 v26, s15, v25
	v_cmp_le_u32_e64 s[4:5], s15, v25
	v_cndmask_b32_e64 v25, v25, v26, s[4:5]
	v_xor_b32_e32 v25, v25, v24
	v_sub_u32_e32 v24, v25, v24
	v_cmp_ne_u32_e64 s[4:5], 0, v24
	s_and_b64 s[4:5], s[4:5], s[6:7]
	s_and_saveexec_b64 s[6:7], s[4:5]
	s_xor_b64 s[4:5], exec, s[6:7]
	s_cbranch_execz .LBB60_17
; %bb.14:                               ;   in Loop: Header=BB60_13 Depth=1
	s_and_saveexec_b64 s[6:7], vcc
; %bb.15:                               ;   in Loop: Header=BB60_13 Depth=1
	ds_write_b32 v16, v17
; %bb.16:                               ;   in Loop: Header=BB60_13 Depth=1
	s_or_b64 exec, exec, s[6:7]
.LBB60_17:                              ;   in Loop: Header=BB60_13 Depth=1
	s_andn2_saveexec_b64 s[6:7], s[4:5]
	s_cbranch_execz .LBB60_12
; %bb.18:                               ;   in Loop: Header=BB60_13 Depth=1
	global_load_dword v23, v[1:2], off
	s_waitcnt vmcnt(0)
	v_mad_i64_i32 v[23:24], s[4:5], v23, s43, 0
	v_lshlrev_b64 v[23:24], 1, v[23:24]
	v_add_co_u32_e64 v28, s[4:5], v6, v23
	v_addc_co_u32_e64 v29, s[4:5], v7, v24, s[4:5]
	global_load_ushort v30, v[28:29], off
	global_load_ushort v31, v[28:29], off offset:128
	global_load_ushort v33, v[28:29], off offset:256
	;; [unrolled: 1-line block ×10, first 2 shown]
	ds_read_u16 v32, v12
	global_load_ushort v27, v[28:29], off offset:1408
	global_load_ushort v26, v[28:29], off offset:1536
	;; [unrolled: 1-line block ×5, first 2 shown]
	s_waitcnt lgkmcnt(0)
	;;#ASMSTART
	v_cvt_f32_f16 v28, v32;
	;;#ASMEND
	v_cmp_lt_i32_e64 s[4:5], v20, v19
	v_cndmask_b32_e64 v50, v18, v20, s[4:5]
	v_lshlrev_b32_e32 v50, 2, v50
	v_cmp_lt_i32_e64 s[4:5], v21, v19
	s_waitcnt vmcnt(15)
	;;#ASMSTART
	v_cvt_f32_f16 v29, v30;
	;;#ASMEND
	ds_read_u16 v30, v12 offset:2
	s_waitcnt lgkmcnt(0)
	;;#ASMSTART
	v_cvt_f32_f16 v30, v30;
	;;#ASMEND
	s_waitcnt vmcnt(14)
	;;#ASMSTART
	v_cvt_f32_f16 v31, v31;
	;;#ASMEND
	v_mul_f32_e32 v30, v30, v31
	ds_read_u16 v32, v12 offset:4
	v_fmac_f32_e32 v30, v28, v29
	s_waitcnt lgkmcnt(0)
	;;#ASMSTART
	v_cvt_f32_f16 v32, v32;
	;;#ASMEND
	s_waitcnt vmcnt(13)
	;;#ASMSTART
	v_cvt_f32_f16 v33, v33;
	;;#ASMEND
	ds_read_u16 v34, v12 offset:6
	v_fmac_f32_e32 v30, v32, v33
	s_waitcnt lgkmcnt(0)
	;;#ASMSTART
	v_cvt_f32_f16 v34, v34;
	;;#ASMEND
	s_waitcnt vmcnt(12)
	;;#ASMSTART
	v_cvt_f32_f16 v35, v35;
	;;#ASMEND
	;; [unrolled: 10-line block ×10, first 2 shown]
	v_fmac_f32_e32 v30, v51, v27
	ds_read_u16 v52, v12 offset:24
	s_waitcnt lgkmcnt(0)
	;;#ASMSTART
	v_cvt_f32_f16 v28, v52;
	;;#ASMEND
	s_waitcnt vmcnt(3)
	;;#ASMSTART
	v_cvt_f32_f16 v26, v26;
	;;#ASMEND
	ds_read_u16 v29, v12 offset:26
	v_fmac_f32_e32 v30, v28, v26
	s_waitcnt lgkmcnt(0)
	;;#ASMSTART
	v_cvt_f32_f16 v29, v29;
	;;#ASMEND
	s_waitcnt vmcnt(2)
	;;#ASMSTART
	v_cvt_f32_f16 v25, v25;
	;;#ASMEND
	ds_read_u16 v31, v12 offset:28
	v_fmac_f32_e32 v30, v29, v25
	s_waitcnt lgkmcnt(0)
	;;#ASMSTART
	v_cvt_f32_f16 v31, v31;
	;;#ASMEND
	s_waitcnt vmcnt(1)
	;;#ASMSTART
	v_cvt_f32_f16 v24, v24;
	;;#ASMEND
	v_fmac_f32_e32 v30, v31, v24
	ds_read_u16 v32, v12 offset:30
	s_waitcnt lgkmcnt(0)
	;;#ASMSTART
	v_cvt_f32_f16 v24, v32;
	;;#ASMEND
	s_waitcnt vmcnt(0)
	;;#ASMSTART
	v_cvt_f32_f16 v23, v23;
	;;#ASMEND
	v_fmac_f32_e32 v30, v24, v23
	ds_bpermute_b32 v23, v50, v30
	v_cndmask_b32_e64 v24, v18, v21, s[4:5]
	v_lshlrev_b32_e32 v24, 2, v24
	v_xor_b32_e32 v25, 1, v18
	v_cmp_lt_i32_e64 s[4:5], v25, v19
	s_waitcnt lgkmcnt(0)
	v_add_f32_e32 v23, v30, v23
	ds_bpermute_b32 v24, v24, v23
	v_cndmask_b32_e64 v25, v18, v25, s[4:5]
	s_waitcnt lgkmcnt(0)
	v_add_f32_e32 v23, v23, v24
	v_lshlrev_b32_e32 v24, 2, v25
	ds_bpermute_b32 v24, v24, v23
	s_and_saveexec_b64 s[38:39], vcc
	s_cbranch_execz .LBB60_11
; %bb.19:                               ;   in Loop: Header=BB60_13 Depth=1
	v_add_u32_e32 v25, v15, v14
	v_cvt_f32_i32_e32 v25, v25
	s_waitcnt lgkmcnt(0)
	v_add_f32_e32 v23, v23, v24
	v_add_u32_e32 v26, v5, v14
	v_cmp_gt_i32_e64 s[4:5], s11, v26
	v_mul_f32_e32 v24, s42, v25
	v_cndmask_b32_e64 v24, 0, v24, s[2:3]
	v_fmac_f32_e32 v24, s31, v23
	v_cndmask_b32_e64 v23, 0, v24, s[4:5]
	ds_write_b32 v16, v23
	v_max_f32_e32 v23, v8, v8
	v_max_f32_e32 v23, v23, v24
	v_cndmask_b32_e64 v8, v8, v23, s[4:5]
	s_branch .LBB60_11
.LBB60_20:
	s_or_b64 exec, exec, s[36:37]
.LBB60_21:
	s_or_b64 exec, exec, s[34:35]
	v_mbcnt_hi_u32_b32 v1, -1, v4
	v_and_b32_e32 v14, 64, v1
	v_add_u32_e32 v2, 64, v14
	v_xor_b32_e32 v4, 32, v1
	v_cmp_lt_i32_e32 vcc, v4, v2
	v_cndmask_b32_e32 v4, v1, v4, vcc
	v_lshlrev_b32_e32 v5, 2, v4
	ds_bpermute_b32 v4, v5, v8
	v_xor_b32_e32 v7, 16, v1
	v_max_f32_e32 v6, v8, v8
	v_cmp_lt_i32_e32 vcc, v7, v2
	v_xor_b32_e32 v8, 8, v1
	s_waitcnt lgkmcnt(0)
	v_max_f32_e32 v4, v4, v4
	v_max_f32_e32 v4, v6, v4
	v_cndmask_b32_e32 v6, v1, v7, vcc
	v_lshlrev_b32_e32 v7, 2, v6
	ds_bpermute_b32 v6, v7, v4
	v_cmp_lt_i32_e32 vcc, v8, v2
	v_and_b32_e32 v12, 63, v0
	s_waitcnt lgkmcnt(0)
	v_max_f32_e32 v6, v6, v6
	v_max_f32_e32 v6, v4, v6
	v_cndmask_b32_e32 v4, v1, v8, vcc
	v_lshlrev_b32_e32 v13, 2, v4
	ds_bpermute_b32 v8, v13, v6
	v_cmp_eq_u32_e32 vcc, 0, v12
	v_lshlrev_b32_e32 v4, 2, v10
	s_and_saveexec_b64 s[2:3], vcc
	s_cbranch_execz .LBB60_23
; %bb.22:
	s_waitcnt lgkmcnt(0)
	v_max_f32_e32 v8, v8, v8
	v_max_f32_e32 v6, v6, v6
	;; [unrolled: 1-line block ×3, first 2 shown]
	ds_write_b32 v4, v6 offset:256
.LBB60_23:
	s_or_b64 exec, exec, s[2:3]
	v_cmp_gt_u32_e64 s[2:3], 2, v12
	v_mov_b32_e32 v15, 0xff7fffff
	v_lshlrev_b32_e32 v6, 2, v12
	s_waitcnt lgkmcnt(0)
	s_barrier
	s_and_saveexec_b64 s[4:5], s[2:3]
; %bb.24:
	ds_read_b32 v15, v6 offset:256
; %bb.25:
	s_or_b64 exec, exec, s[4:5]
	v_xor_b32_e32 v8, 1, v1
	v_cmp_lt_i32_e64 s[4:5], v8, v2
	v_cndmask_b32_e64 v8, v1, v8, s[4:5]
	v_lshlrev_b32_e32 v8, 2, v8
	s_waitcnt lgkmcnt(0)
	ds_bpermute_b32 v16, v8, v15
	v_max_f32_e32 v15, v15, v15
	v_lshlrev_b32_e32 v14, 2, v14
	s_lshl_b32 s4, s41, 3
	s_min_i32 s15, s4, s11
	s_waitcnt lgkmcnt(0)
	v_max_f32_e32 v16, v16, v16
	v_max_f32_e32 v15, v15, v16
	ds_bpermute_b32 v15, v14, v15
	v_cmp_gt_i32_e64 s[4:5], s15, v0
	v_mov_b32_e32 v14, 0
	s_and_saveexec_b64 s[30:31], s[4:5]
	s_cbranch_execz .LBB60_29
; %bb.26:
	v_mov_b32_e32 v14, 0x110
	v_lshl_add_u32 v16, v0, 2, v14
	v_mov_b32_e32 v14, 0
	s_mov_b64 s[34:35], 0
	v_mov_b32_e32 v17, v0
.LBB60_27:                              ; =>This Inner Loop Header: Depth=1
	ds_read_b32 v18, v16
	v_add_u32_e32 v17, 0x80, v17
	v_cmp_le_i32_e64 s[6:7], s15, v17
	s_or_b64 s[34:35], s[6:7], s[34:35]
	s_waitcnt lgkmcnt(0)
	v_sub_f32_e32 v18, v18, v15
	v_mul_f32_e32 v18, 0x3fb8aa3b, v18
	v_exp_f32_e32 v18, v18
	ds_write_b32 v16, v18
	v_add_f32_e32 v14, v14, v18
	v_add_u32_e32 v16, 0x200, v16
	s_andn2_b64 exec, exec, s[34:35]
	s_cbranch_execnz .LBB60_27
; %bb.28:
	s_or_b64 exec, exec, s[34:35]
.LBB60_29:
	s_or_b64 exec, exec, s[30:31]
	ds_bpermute_b32 v5, v5, v14
	s_waitcnt lgkmcnt(0)
	v_add_f32_e32 v5, v14, v5
	ds_bpermute_b32 v7, v7, v5
	s_waitcnt lgkmcnt(0)
	v_add_f32_e32 v5, v5, v7
	ds_bpermute_b32 v7, v13, v5
	v_xor_b32_e32 v13, 4, v1
	v_cmp_lt_i32_e64 s[6:7], v13, v2
	v_cndmask_b32_e64 v13, v1, v13, s[6:7]
	v_lshlrev_b32_e32 v13, 2, v13
	s_waitcnt lgkmcnt(0)
	v_add_f32_e32 v5, v5, v7
	ds_bpermute_b32 v7, v13, v5
	v_xor_b32_e32 v13, 2, v1
	v_cmp_lt_i32_e64 s[6:7], v13, v2
	v_cndmask_b32_e64 v2, v1, v13, s[6:7]
	v_lshlrev_b32_e32 v2, 2, v2
	s_waitcnt lgkmcnt(0)
	v_add_f32_e32 v5, v5, v7
	ds_bpermute_b32 v2, v2, v5
	s_waitcnt lgkmcnt(0)
	v_add_f32_e32 v2, v5, v2
	ds_bpermute_b32 v5, v8, v2
	s_waitcnt lgkmcnt(0)
	v_add_f32_e32 v2, v2, v5
	s_and_saveexec_b64 s[6:7], vcc
; %bb.30:
	ds_write_b32 v4, v2 offset:264
; %bb.31:
	s_or_b64 exec, exec, s[6:7]
	s_waitcnt lgkmcnt(0)
	s_barrier
	s_and_saveexec_b64 s[6:7], s[2:3]
; %bb.32:
	ds_read_b32 v2, v6 offset:264
; %bb.33:
	s_or_b64 exec, exec, s[6:7]
	s_waitcnt lgkmcnt(0)
	ds_bpermute_b32 v4, v8, v2
	v_lshlrev_b32_e32 v1, 2, v1
	v_and_b32_e32 v1, 0x100, v1
	s_waitcnt lgkmcnt(0)
	v_add_f32_e32 v2, v2, v4
	ds_bpermute_b32 v1, v1, v2
	s_and_saveexec_b64 s[2:3], s[4:5]
	s_cbranch_execz .LBB60_36
; %bb.34:
	s_waitcnt lgkmcnt(0)
	v_add_f32_e32 v2, 0x358637bd, v1
	v_div_scale_f32 v1, s[4:5], v2, v2, 1.0
	v_div_scale_f32 v4, vcc, 1.0, v2, 1.0
	s_mov_b64 s[4:5], 0
	v_rcp_f32_e32 v5, v1
	v_fma_f32 v6, -v1, v5, 1.0
	v_fmac_f32_e32 v5, v6, v5
	v_mul_f32_e32 v6, v4, v5
	v_fma_f32 v7, -v1, v6, v4
	v_fmac_f32_e32 v6, v7, v5
	v_fma_f32 v1, -v1, v6, v4
	v_div_fmas_f32 v4, v1, v5, v6
	v_mov_b32_e32 v1, 0x110
	v_lshl_add_u32 v1, v0, 2, v1
	v_div_fixup_f32 v2, v4, v2, 1.0
	v_mov_b32_e32 v4, v0
.LBB60_35:                              ; =>This Inner Loop Header: Depth=1
	ds_read_b32 v5, v1
	v_add_u32_e32 v4, 0x80, v4
	v_cmp_le_i32_e32 vcc, s15, v4
	s_or_b64 s[4:5], vcc, s[4:5]
	s_waitcnt lgkmcnt(0)
	v_mul_f32_e32 v5, v2, v5
	ds_write_b32 v1, v5
	v_add_u32_e32 v1, 0x200, v1
	s_andn2_b64 exec, exec, s[4:5]
	s_cbranch_execnz .LBB60_35
.LBB60_36:
	s_or_b64 exec, exec, s[2:3]
	v_mov_b32_e32 v14, 0
	v_mov_b32_e32 v13, 0
	s_waitcnt lgkmcnt(0)
	s_barrier
	s_and_saveexec_b64 s[2:3], s[0:1]
	s_cbranch_execz .LBB60_46
; %bb.37:
	s_ashr_i32 s15, s14, 31
	s_sub_i32 s17, s12, s17
	s_lshl_b64 s[0:1], s[14:15], 1
	s_add_u32 s4, s28, s0
	s_addc_u32 s5, s29, s1
	s_abs_i32 s14, s18
	v_cvt_f32_u32_e32 v1, s14
	s_sub_i32 s0, 0, s14
	v_lshlrev_b32_e32 v2, 4, v12
	s_add_i32 s18, s41, -1
	v_rcp_iflag_f32_e32 v1, v1
	v_mov_b32_e32 v5, s5
	v_add_co_u32_e32 v16, vcc, s4, v2
	v_mul_f32_e32 v1, 0x4f7ffffe, v1
	v_cvt_u32_f32_e32 v1, v1
	v_and_b32_e32 v3, 60, v3
	v_addc_co_u32_e32 v17, vcc, 0, v5, vcc
	v_mul_lo_u32 v4, s0, v1
	s_lshl_b64 s[0:1], s[26:27], 2
	s_add_u32 s0, s24, s0
	s_addc_u32 s1, s25, s1
	v_mul_hi_u32 v4, v1, v4
	v_add_co_u32_e32 v5, vcc, s0, v3
	s_mov_b32 s15, s13
	v_add_u32_e32 v18, v1, v4
	v_mov_b32_e32 v1, s1
	v_addc_co_u32_e32 v6, vcc, 0, v1, vcc
	v_mov_b32_e32 v1, 0x110
	v_mov_b32_e32 v15, 0
	v_lshl_add_u32 v19, v10, 5, v1
	s_mov_b64 s[4:5], 0
	s_mov_b32 s24, 0xffff
	v_mov_b32_e32 v13, 0
	v_mov_b32_e32 v14, 0
	s_branch .LBB60_40
.LBB60_38:                              ;   in Loop: Header=BB60_40 Depth=1
	s_or_b64 exec, exec, s[12:13]
	v_add_f32_e32 v20, v31, v32
	v_add_f32_e32 v14, v14, v20
	v_lshlrev_b32_e32 v20, 16, v33
	v_and_or_b32 v1, v1, s24, v20
	v_lshlrev_b32_e32 v8, 16, v8
	v_lshlrev_b32_e32 v7, 16, v7
	v_and_or_b32 v2, v2, s24, v8
	v_and_or_b32 v3, v3, s24, v7
	;;#ASMSTART
	v_pk_mul_f16 v1, v28, v1;

	;;#ASMEND
	;;#ASMSTART
	v_pk_mul_f16 v2, v29, v2;

	;;#ASMEND
	;; [unrolled: 4-line block ×4, first 2 shown]
	;;#ASMSTART
	v_pk_add_f16 v1, v1, v2;

	;;#ASMEND
	;;#ASMSTART
	v_pk_add_f16 v1, v1, v3;

	;;#ASMEND
	;; [unrolled: 4-line block ×3, first 2 shown]
	v_lshrrev_b32_e32 v2, 16, v1
	v_and_b32_e32 v1, 0xffff, v1
	;;#ASMSTART
	v_cvt_f32_f16 v1, v1;
	;;#ASMEND
	;;#ASMSTART
	v_cvt_f32_f16 v2, v2;
	;;#ASMEND
	v_add_f32_e32 v1, v1, v2
	v_add_f32_e32 v13, v13, v1
.LBB60_39:                              ;   in Loop: Header=BB60_40 Depth=1
	s_or_b64 exec, exec, s[6:7]
	v_add_co_u32_e32 v5, vcc, 8, v5
	v_add_u32_e32 v10, 2, v10
	v_addc_co_u32_e32 v6, vcc, 0, v6, vcc
	v_cmp_le_i32_e32 vcc, s41, v10
	v_add_u32_e32 v11, 16, v11
	s_or_b64 s[4:5], vcc, s[4:5]
	v_add_u32_e32 v19, 64, v19
	s_andn2_b64 exec, exec, s[4:5]
	s_cbranch_execz .LBB60_45
.LBB60_40:                              ; =>This Inner Loop Header: Depth=1
	v_mul_hi_u32 v1, v11, s33
	v_mul_lo_u32 v2, v1, s21
	v_add_u32_e32 v3, 1, v1
	v_sub_u32_e32 v2, v11, v2
	v_cmp_le_u32_e32 vcc, s21, v2
	v_cndmask_b32_e32 v1, v1, v3, vcc
	v_subrev_u32_e32 v3, s21, v2
	v_cndmask_b32_e32 v2, v2, v3, vcc
	v_add_u32_e32 v3, 1, v1
	v_cmp_le_u32_e32 vcc, s21, v2
	v_cndmask_b32_e32 v1, v1, v3, vcc
	v_xor_b32_e32 v1, s19, v1
	v_subrev_u32_e32 v1, s19, v1
	v_add_u32_e32 v2, s40, v1
	v_sub_u32_e32 v3, 0, v2
	v_max_i32_e32 v3, v2, v3
	v_mul_hi_u32 v4, v3, v18
	v_ashrrev_i32_e32 v2, 31, v2
	v_cmp_lt_i32_e64 s[0:1], s17, v1
	v_mul_lo_u32 v4, v4, s14
	v_sub_u32_e32 v3, v3, v4
	v_subrev_u32_e32 v4, s14, v3
	v_cmp_le_u32_e32 vcc, s14, v3
	v_cndmask_b32_e32 v3, v3, v4, vcc
	v_subrev_u32_e32 v4, s14, v3
	v_cmp_le_u32_e32 vcc, s14, v3
	v_cndmask_b32_e32 v3, v3, v4, vcc
	v_xor_b32_e32 v3, v3, v2
	v_sub_u32_e32 v2, v3, v2
	v_cmp_eq_u32_e32 vcc, 0, v2
	s_or_b64 s[0:1], vcc, s[0:1]
	s_and_saveexec_b64 s[6:7], s[0:1]
	s_cbranch_execz .LBB60_39
; %bb.41:                               ;   in Loop: Header=BB60_40 Depth=1
	global_load_dword v7, v[5:6], off
	ds_read2_b64 v[1:4], v19 offset1:1
	ds_read2_b64 v[20:23], v19 offset0:2 offset1:3
	v_add_u32_e32 v26, 1, v11
	v_add_u32_e32 v25, 2, v11
	s_waitcnt lgkmcnt(1)
	;;#ASMSTART
	v_cvt_f16_f32 v27, v1;

	;;#ASMEND
	;;#ASMSTART
	v_cvt_f16_f32 v28, v2;

	;;#ASMEND
	;; [unrolled: 4-line block ×4, first 2 shown]
	s_waitcnt lgkmcnt(0)
	;;#ASMSTART
	v_cvt_f16_f32 v31, v20;

	;;#ASMEND
	;;#ASMSTART
	v_cvt_f16_f32 v32, v21;

	;;#ASMEND
	;; [unrolled: 4-line block ×4, first 2 shown]
	v_add_u32_e32 v24, 3, v11
	v_add_u32_e32 v23, 4, v11
	;; [unrolled: 1-line block ×5, first 2 shown]
	s_waitcnt vmcnt(0)
	v_mad_i64_i32 v[1:2], s[0:1], v7, s15, 0
	v_cmp_eq_u32_e64 s[0:1], s18, v10
	v_lshlrev_b64 v[1:2], 1, v[1:2]
	v_add_co_u32_e32 v7, vcc, v16, v1
	v_addc_co_u32_e32 v8, vcc, v17, v2, vcc
	global_load_dwordx4 v[1:4], v[7:8], off
	s_waitcnt vmcnt(0)
	v_lshrrev_b32_e32 v37, 16, v1
	v_lshrrev_b32_e32 v36, 16, v2
	;; [unrolled: 1-line block ×3, first 2 shown]
	s_and_saveexec_b64 s[12:13], s[0:1]
	s_cbranch_execz .LBB60_43
; %bb.42:                               ;   in Loop: Header=BB60_40 Depth=1
	v_cmp_gt_i32_e32 vcc, s11, v11
	v_cndmask_b32_e32 v1, 0, v1, vcc
	v_cmp_gt_i32_e32 vcc, s11, v26
	v_cndmask_b32_e32 v37, 0, v37, vcc
	;; [unrolled: 2-line block ×6, first 2 shown]
	v_cmp_gt_i32_e32 vcc, s11, v21
	v_cndmask_b32_sdwa v38, v15, v4, vcc dst_sel:DWORD dst_unused:UNUSED_PAD src0_sel:DWORD src1_sel:WORD_0
	v_and_b32_e32 v4, 0xffff0000, v4
	v_cmp_gt_i32_e32 vcc, s11, v20
	v_cndmask_b32_e32 v4, 0, v4, vcc
	v_or_b32_e32 v4, v38, v4
.LBB60_43:                              ;   in Loop: Header=BB60_40 Depth=1
	s_or_b64 exec, exec, s[12:13]
	v_and_b32_e32 v27, 0xffff, v27
	v_lshl_or_b32 v28, v28, 16, v27
	v_and_b32_e32 v27, 0xffff, v29
	v_lshl_or_b32 v29, v30, 16, v27
	v_and_b32_e32 v27, 0xffff, v31
	v_lshlrev_b32_e32 v31, 16, v37
	v_and_or_b32 v1, v1, s24, v31
	v_lshlrev_b32_e32 v31, 16, v36
	v_and_or_b32 v2, v2, s24, v31
	v_lshlrev_b32_e32 v31, 16, v35
	v_lshl_or_b32 v30, v32, 16, v27
	v_and_b32_e32 v27, 0xffff, v33
	v_and_or_b32 v3, v3, s24, v31
	;;#ASMSTART
	v_pk_mul_f16 v1, v28, v1;

	;;#ASMEND
	v_lshl_or_b32 v27, v34, 16, v27
	;;#ASMSTART
	v_pk_mul_f16 v2, v29, v2;

	;;#ASMEND
	;;#ASMSTART
	v_pk_mul_f16 v3, v30, v3;

	;;#ASMEND
	;; [unrolled: 4-line block ×3, first 2 shown]
	;;#ASMSTART
	v_pk_add_f16 v1, v1, v2;

	;;#ASMEND
	;;#ASMSTART
	v_pk_add_f16 v1, v1, v3;

	;;#ASMEND
	;; [unrolled: 4-line block ×3, first 2 shown]
	v_lshrrev_b32_e32 v2, 16, v1
	v_and_b32_e32 v1, 0xffff, v1
	;;#ASMSTART
	v_cvt_f32_f16 v31, v1;
	;;#ASMEND
	;;#ASMSTART
	v_cvt_f32_f16 v32, v2;
	;;#ASMEND
	global_load_dwordx4 v[1:4], v[7:8], off offset:1024
	s_waitcnt vmcnt(0)
	v_lshrrev_b32_e32 v33, 16, v1
	v_lshrrev_b32_e32 v8, 16, v2
	;; [unrolled: 1-line block ×3, first 2 shown]
	s_and_saveexec_b64 s[12:13], s[0:1]
	s_cbranch_execz .LBB60_38
; %bb.44:                               ;   in Loop: Header=BB60_40 Depth=1
	v_cmp_gt_i32_e32 vcc, s11, v11
	v_cndmask_b32_e32 v1, 0, v1, vcc
	v_cmp_gt_i32_e32 vcc, s11, v26
	v_cndmask_b32_e32 v33, 0, v33, vcc
	;; [unrolled: 2-line block ×6, first 2 shown]
	v_cmp_gt_i32_e32 vcc, s11, v21
	v_cndmask_b32_sdwa v21, v15, v4, vcc dst_sel:DWORD dst_unused:UNUSED_PAD src0_sel:DWORD src1_sel:WORD_0
	v_and_b32_e32 v4, 0xffff0000, v4
	v_cmp_gt_i32_e32 vcc, s11, v20
	v_cndmask_b32_e32 v4, 0, v4, vcc
	v_or_b32_e32 v4, v21, v4
	s_branch .LBB60_38
.LBB60_45:
	s_or_b64 exec, exec, s[4:5]
.LBB60_46:
	s_or_b64 exec, exec, s[2:3]
	v_and_b32_e32 v1, 0x3c0, v0
	v_cmp_eq_u32_e32 vcc, 64, v1
	s_barrier
	s_and_saveexec_b64 s[0:1], vcc
; %bb.47:
	v_mov_b32_e32 v1, 0x110
	v_lshl_add_u32 v1, v12, 2, v1
	ds_write2st64_b32 v1, v14, v13 offset1:1
; %bb.48:
	s_or_b64 exec, exec, s[0:1]
	v_cmp_gt_u32_e32 vcc, 64, v0
	s_waitcnt lgkmcnt(0)
	s_barrier
	s_and_saveexec_b64 s[0:1], vcc
	s_cbranch_execz .LBB60_50
; %bb.49:
	v_mov_b32_e32 v1, 0x110
	v_lshl_add_u32 v0, v0, 2, v1
	ds_read2st64_b32 v[0:1], v0 offset1:1
	s_waitcnt lgkmcnt(0)
	v_add_f32_e32 v14, v14, v0
	v_add_f32_e32 v13, v13, v1
.LBB60_50:
	s_or_b64 exec, exec, s[0:1]
	s_barrier
	s_and_saveexec_b64 s[0:1], vcc
	s_cbranch_execz .LBB60_52
; %bb.51:
	s_mul_i32 s0, s10, s16
	s_mul_i32 s0, s0, s9
	s_lshl_b32 s0, s0, 7
	s_ashr_i32 s1, s0, 31
	s_lshl_b64 s[0:1], s[0:1], 1
	s_add_u32 s2, s22, s0
	s_mul_i32 s0, s16, s20
	s_addc_u32 s3, s23, s1
	s_ashr_i32 s1, s0, 31
	s_lshl_b64 s[0:1], s[0:1], 1
	s_add_u32 s2, s2, s0
	s_addc_u32 s3, s3, s1
	s_lshl_b32 s0, s8, 7
	s_ashr_i32 s1, s0, 31
	s_lshl_b64 s[0:1], s[0:1], 1
	s_add_u32 s0, s2, s0
	s_addc_u32 s1, s3, s1
	;;#ASMSTART
	v_cvt_f16_f32 v0, v14;

	;;#ASMEND
	global_store_short v9, v0, s[0:1]
	;;#ASMSTART
	v_cvt_f16_f32 v0, v13;

	;;#ASMEND
	global_store_short v9, v0, s[0:1] offset:128
.LBB60_52:
	s_endpgm
	.section	.rodata,"a",@progbits
	.p2align	6, 0x0
	.amdhsa_kernel _ZN4vllm25paged_attention_v1_kernelIttLi128ELi8ELi128ELNS_18Fp8KVCacheDataTypeE0ELb1EEEvPT_PKS2_PKT0_S8_ifPKiSA_iPKfiiiSC_SC_iiiii
		.amdhsa_group_segment_fixed_size 272
		.amdhsa_private_segment_fixed_size 0
		.amdhsa_kernarg_size 384
		.amdhsa_user_sgpr_count 6
		.amdhsa_user_sgpr_private_segment_buffer 1
		.amdhsa_user_sgpr_dispatch_ptr 0
		.amdhsa_user_sgpr_queue_ptr 0
		.amdhsa_user_sgpr_kernarg_segment_ptr 1
		.amdhsa_user_sgpr_dispatch_id 0
		.amdhsa_user_sgpr_flat_scratch_init 0
		.amdhsa_user_sgpr_private_segment_size 0
		.amdhsa_uses_dynamic_stack 0
		.amdhsa_system_sgpr_private_segment_wavefront_offset 0
		.amdhsa_system_sgpr_workgroup_id_x 1
		.amdhsa_system_sgpr_workgroup_id_y 1
		.amdhsa_system_sgpr_workgroup_id_z 1
		.amdhsa_system_sgpr_workgroup_info 0
		.amdhsa_system_vgpr_workitem_id 0
		.amdhsa_next_free_vgpr 53
		.amdhsa_next_free_sgpr 44
		.amdhsa_reserve_vcc 1
		.amdhsa_reserve_flat_scratch 0
		.amdhsa_float_round_mode_32 0
		.amdhsa_float_round_mode_16_64 0
		.amdhsa_float_denorm_mode_32 3
		.amdhsa_float_denorm_mode_16_64 3
		.amdhsa_dx10_clamp 1
		.amdhsa_ieee_mode 1
		.amdhsa_fp16_overflow 0
		.amdhsa_exception_fp_ieee_invalid_op 0
		.amdhsa_exception_fp_denorm_src 0
		.amdhsa_exception_fp_ieee_div_zero 0
		.amdhsa_exception_fp_ieee_overflow 0
		.amdhsa_exception_fp_ieee_underflow 0
		.amdhsa_exception_fp_ieee_inexact 0
		.amdhsa_exception_int_div_zero 0
	.end_amdhsa_kernel
	.section	.text._ZN4vllm25paged_attention_v1_kernelIttLi128ELi8ELi128ELNS_18Fp8KVCacheDataTypeE0ELb1EEEvPT_PKS2_PKT0_S8_ifPKiSA_iPKfiiiSC_SC_iiiii,"axG",@progbits,_ZN4vllm25paged_attention_v1_kernelIttLi128ELi8ELi128ELNS_18Fp8KVCacheDataTypeE0ELb1EEEvPT_PKS2_PKT0_S8_ifPKiSA_iPKfiiiSC_SC_iiiii,comdat
.Lfunc_end60:
	.size	_ZN4vllm25paged_attention_v1_kernelIttLi128ELi8ELi128ELNS_18Fp8KVCacheDataTypeE0ELb1EEEvPT_PKS2_PKT0_S8_ifPKiSA_iPKfiiiSC_SC_iiiii, .Lfunc_end60-_ZN4vllm25paged_attention_v1_kernelIttLi128ELi8ELi128ELNS_18Fp8KVCacheDataTypeE0ELb1EEEvPT_PKS2_PKT0_S8_ifPKiSA_iPKfiiiSC_SC_iiiii
                                        ; -- End function
	.set _ZN4vllm25paged_attention_v1_kernelIttLi128ELi8ELi128ELNS_18Fp8KVCacheDataTypeE0ELb1EEEvPT_PKS2_PKT0_S8_ifPKiSA_iPKfiiiSC_SC_iiiii.num_vgpr, 53
	.set _ZN4vllm25paged_attention_v1_kernelIttLi128ELi8ELi128ELNS_18Fp8KVCacheDataTypeE0ELb1EEEvPT_PKS2_PKT0_S8_ifPKiSA_iPKfiiiSC_SC_iiiii.num_agpr, 0
	.set _ZN4vllm25paged_attention_v1_kernelIttLi128ELi8ELi128ELNS_18Fp8KVCacheDataTypeE0ELb1EEEvPT_PKS2_PKT0_S8_ifPKiSA_iPKfiiiSC_SC_iiiii.numbered_sgpr, 44
	.set _ZN4vllm25paged_attention_v1_kernelIttLi128ELi8ELi128ELNS_18Fp8KVCacheDataTypeE0ELb1EEEvPT_PKS2_PKT0_S8_ifPKiSA_iPKfiiiSC_SC_iiiii.num_named_barrier, 0
	.set _ZN4vllm25paged_attention_v1_kernelIttLi128ELi8ELi128ELNS_18Fp8KVCacheDataTypeE0ELb1EEEvPT_PKS2_PKT0_S8_ifPKiSA_iPKfiiiSC_SC_iiiii.private_seg_size, 0
	.set _ZN4vllm25paged_attention_v1_kernelIttLi128ELi8ELi128ELNS_18Fp8KVCacheDataTypeE0ELb1EEEvPT_PKS2_PKT0_S8_ifPKiSA_iPKfiiiSC_SC_iiiii.uses_vcc, 1
	.set _ZN4vllm25paged_attention_v1_kernelIttLi128ELi8ELi128ELNS_18Fp8KVCacheDataTypeE0ELb1EEEvPT_PKS2_PKT0_S8_ifPKiSA_iPKfiiiSC_SC_iiiii.uses_flat_scratch, 0
	.set _ZN4vllm25paged_attention_v1_kernelIttLi128ELi8ELi128ELNS_18Fp8KVCacheDataTypeE0ELb1EEEvPT_PKS2_PKT0_S8_ifPKiSA_iPKfiiiSC_SC_iiiii.has_dyn_sized_stack, 0
	.set _ZN4vllm25paged_attention_v1_kernelIttLi128ELi8ELi128ELNS_18Fp8KVCacheDataTypeE0ELb1EEEvPT_PKS2_PKT0_S8_ifPKiSA_iPKfiiiSC_SC_iiiii.has_recursion, 0
	.set _ZN4vllm25paged_attention_v1_kernelIttLi128ELi8ELi128ELNS_18Fp8KVCacheDataTypeE0ELb1EEEvPT_PKS2_PKT0_S8_ifPKiSA_iPKfiiiSC_SC_iiiii.has_indirect_call, 0
	.section	.AMDGPU.csdata,"",@progbits
; Kernel info:
; codeLenInByte = 4412
; TotalNumSgprs: 48
; NumVgprs: 53
; ScratchSize: 0
; MemoryBound: 0
; FloatMode: 240
; IeeeMode: 1
; LDSByteSize: 272 bytes/workgroup (compile time only)
; SGPRBlocks: 5
; VGPRBlocks: 13
; NumSGPRsForWavesPerEU: 48
; NumVGPRsForWavesPerEU: 53
; Occupancy: 4
; WaveLimiterHint : 1
; COMPUTE_PGM_RSRC2:SCRATCH_EN: 0
; COMPUTE_PGM_RSRC2:USER_SGPR: 6
; COMPUTE_PGM_RSRC2:TRAP_HANDLER: 0
; COMPUTE_PGM_RSRC2:TGID_X_EN: 1
; COMPUTE_PGM_RSRC2:TGID_Y_EN: 1
; COMPUTE_PGM_RSRC2:TGID_Z_EN: 1
; COMPUTE_PGM_RSRC2:TIDIG_COMP_CNT: 0
	.section	.text._ZN4vllm25paged_attention_v1_kernelIttLi192ELi8ELi128ELNS_18Fp8KVCacheDataTypeE0ELb1EEEvPT_PKS2_PKT0_S8_ifPKiSA_iPKfiiiSC_SC_iiiii,"axG",@progbits,_ZN4vllm25paged_attention_v1_kernelIttLi192ELi8ELi128ELNS_18Fp8KVCacheDataTypeE0ELb1EEEvPT_PKS2_PKT0_S8_ifPKiSA_iPKfiiiSC_SC_iiiii,comdat
	.protected	_ZN4vllm25paged_attention_v1_kernelIttLi192ELi8ELi128ELNS_18Fp8KVCacheDataTypeE0ELb1EEEvPT_PKS2_PKT0_S8_ifPKiSA_iPKfiiiSC_SC_iiiii ; -- Begin function _ZN4vllm25paged_attention_v1_kernelIttLi192ELi8ELi128ELNS_18Fp8KVCacheDataTypeE0ELb1EEEvPT_PKS2_PKT0_S8_ifPKiSA_iPKfiiiSC_SC_iiiii
	.globl	_ZN4vllm25paged_attention_v1_kernelIttLi192ELi8ELi128ELNS_18Fp8KVCacheDataTypeE0ELb1EEEvPT_PKS2_PKT0_S8_ifPKiSA_iPKfiiiSC_SC_iiiii
	.p2align	8
	.type	_ZN4vllm25paged_attention_v1_kernelIttLi192ELi8ELi128ELNS_18Fp8KVCacheDataTypeE0ELb1EEEvPT_PKS2_PKT0_S8_ifPKiSA_iPKfiiiSC_SC_iiiii,@function
_ZN4vllm25paged_attention_v1_kernelIttLi192ELi8ELi128ELNS_18Fp8KVCacheDataTypeE0ELb1EEEvPT_PKS2_PKT0_S8_ifPKiSA_iPKfiiiSC_SC_iiiii: ; @_ZN4vllm25paged_attention_v1_kernelIttLi192ELi8ELi128ELNS_18Fp8KVCacheDataTypeE0ELb1EEEvPT_PKS2_PKT0_S8_ifPKiSA_iPKfiiiSC_SC_iiiii
; %bb.0:
	s_load_dword s9, s[4:5], 0x80
	s_load_dwordx2 s[0:1], s[4:5], 0x30
	s_load_dwordx2 s[30:31], s[4:5], 0x20
	s_mov_b32 s10, s7
	s_ashr_i32 s11, s7, 31
	s_lshl_b64 s[2:3], s[10:11], 2
	s_waitcnt lgkmcnt(0)
	s_add_u32 s0, s0, s2
	s_addc_u32 s1, s1, s3
	s_abs_i32 s2, s30
	v_cvt_f32_u32_e32 v1, s2
	s_sub_i32 s11, 0, s2
	s_abs_i32 s7, s9
	s_xor_b32 s3, s9, s30
	v_rcp_iflag_f32_e32 v1, v1
	s_ashr_i32 s3, s3, 31
	s_mov_b32 s42, 0
	v_mul_f32_e32 v1, 0x4f7ffffe, v1
	v_cvt_u32_f32_e32 v1, v1
	v_readfirstlane_b32 s12, v1
	s_mul_i32 s11, s11, s12
	s_mul_hi_u32 s11, s12, s11
	s_add_i32 s12, s12, s11
	s_mul_hi_u32 s11, s7, s12
	s_mul_i32 s12, s11, s2
	s_sub_i32 s7, s7, s12
	s_add_i32 s12, s11, 1
	s_sub_i32 s13, s7, s2
	s_cmp_ge_u32 s7, s2
	s_cselect_b32 s11, s12, s11
	s_cselect_b32 s7, s13, s7
	s_add_i32 s12, s11, 1
	s_cmp_ge_u32 s7, s2
	s_cselect_b32 s2, s12, s11
	s_xor_b32 s2, s2, s3
	s_sub_i32 s11, s2, s3
	s_abs_i32 s22, s11
	v_cvt_f32_u32_e32 v1, s22
	s_load_dwordx2 s[2:3], s[4:5], 0x40
	s_sub_i32 s7, 0, s22
	s_abs_i32 s23, s6
	v_rcp_iflag_f32_e32 v1, v1
	v_mul_f32_e32 v1, 0x4f7ffffe, v1
	v_cvt_u32_f32_e32 v1, v1
	v_readfirstlane_b32 s12, v1
	s_mul_i32 s7, s7, s12
	s_mul_hi_u32 s7, s12, s7
	s_add_i32 s12, s12, s7
	s_waitcnt lgkmcnt(0)
	s_cmp_eq_u64 s[2:3], 0
	s_mul_hi_u32 s24, s23, s12
	s_cbranch_scc1 .LBB61_2
; %bb.1:
	s_ashr_i32 s7, s6, 31
	s_lshl_b64 s[12:13], s[6:7], 2
	s_add_u32 s2, s2, s12
	s_addc_u32 s3, s3, s13
	s_load_dword s42, s[2:3], 0x0
.LBB61_2:
	s_load_dword s33, s[0:1], 0x0
	s_ashr_i32 s25, s11, 31
	s_load_dword s11, s[4:5], 0x88
	s_load_dwordx4 s[12:15], s[4:5], 0x48
	s_movk_i32 s0, 0xc0
	s_ashr_i32 s7, s6, 31
	v_and_b32_e32 v1, 7, v0
	s_mul_i32 s20, s6, 0xc0
	v_cmp_gt_u32_e32 vcc, s0, v0
	v_lshlrev_b32_e32 v9, 1, v0
	s_and_saveexec_b64 s[0:1], vcc
	s_cbranch_execz .LBB61_5
; %bb.3:
	s_load_dwordx2 s[2:3], s[4:5], 0x8
	s_waitcnt lgkmcnt(0)
	s_mul_i32 s16, s12, s10
	s_ashr_i32 s17, s16, 31
	s_lshl_b64 s[16:17], s[16:17], 1
	v_lshrrev_b32_e32 v3, 3, v0
	s_add_u32 s12, s2, s16
	s_addc_u32 s15, s3, s17
	s_ashr_i32 s21, s20, 31
	s_lshl_b64 s[2:3], s[20:21], 1
	s_add_u32 s2, s12, s2
	s_addc_u32 s3, s15, s3
	global_load_ushort v4, v9, s[2:3]
	v_lshlrev_b32_e32 v2, 1, v3
	v_mad_u32_u24 v2, v1, 48, v2
	v_cmp_gt_u32_e32 vcc, 64, v0
	s_waitcnt vmcnt(0)
	ds_write_b16 v2, v4
	s_and_b64 exec, exec, vcc
	s_cbranch_execz .LBB61_5
; %bb.4:
	v_lshlrev_b32_e32 v3, 4, v3
	v_lshlrev_b32_e32 v4, 1, v1
	s_movk_i32 s12, 0x100
	v_or3_b32 v3, v3, v4, s12
	global_load_ushort v3, v3, s[2:3]
	s_waitcnt vmcnt(0)
	ds_write_b16 v2, v3 offset:32
.LBB61_5:
	s_or_b64 exec, exec, s[0:1]
	s_mul_i32 s1, s24, s22
	s_sub_i32 s1, s23, s1
	s_xor_b32 s0, s7, s25
	s_add_i32 s2, s24, 1
	s_sub_i32 s7, s1, s22
	s_load_dwordx4 s[16:19], s[4:5], 0x68
	s_load_dword s3, s[4:5], 0x78
	s_cmp_ge_u32 s1, s22
	s_cselect_b32 s2, s2, s24
	s_cselect_b32 s1, s7, s1
	s_add_i32 s7, s2, 1
	s_cmp_ge_u32 s1, s22
	s_cselect_b32 s1, s7, s2
	s_waitcnt lgkmcnt(0)
	s_abs_i32 s21, s19
	v_cvt_f32_u32_e32 v2, s21
	s_xor_b32 s1, s1, s0
	s_sub_i32 s2, s1, s0
	s_sub_i32 s0, 0, s21
	v_rcp_iflag_f32_e32 v2, v2
	s_add_i32 s15, s33, -1
	s_abs_i32 s7, s15
	v_mul_f32_e32 v2, 0x4f7ffffe, v2
	v_cvt_u32_f32_e32 v2, v2
	s_barrier
	v_readfirstlane_b32 s40, v2
	s_mul_i32 s0, s0, s40
	s_mul_hi_u32 s0, s40, s0
	s_add_i32 s40, s40, s0
	s_cmp_lt_i32 s3, 0
	s_mul_hi_u32 s12, s7, s40
	s_cbranch_scc0 .LBB61_7
; %bb.6:
	s_mul_i32 s0, s16, s30
	s_add_i32 s0, s2, s0
	s_mul_i32 s0, s0, s3
	s_sub_i32 s41, 1, s0
	s_mov_b64 s[0:1], 0
	s_branch .LBB61_8
.LBB61_7:
	s_mov_b64 s[0:1], -1
                                        ; implicit-def: $sgpr41
.LBB61_8:
	s_load_dwordx2 s[24:25], s[4:5], 0x28
	s_ashr_i32 s15, s15, 31
	s_andn2_b64 vcc, exec, s[0:1]
	s_ashr_i32 s19, s19, 31
	s_cbranch_vccnz .LBB61_10
; %bb.9:
	s_mul_i32 s0, s9, s16
	s_add_i32 s0, s0, s6
	s_mul_i32 s0, s0, s3
	s_add_i32 s41, s0, 1
.LBB61_10:
	s_load_dword s0, s[4:5], 0x38
	s_load_dwordx2 s[22:23], s[4:5], 0x0
	s_load_dwordx2 s[28:29], s[4:5], 0x18
	s_mul_i32 s3, s12, s21
	s_xor_b32 s1, s15, s19
	s_waitcnt lgkmcnt(0)
	s_mul_i32 s26, s0, s10
	s_sub_i32 s0, s7, s3
	s_ashr_i32 s27, s26, 31
	s_add_i32 s3, s12, 1
	s_sub_i32 s6, s0, s21
	s_cmp_ge_u32 s0, s21
	s_cselect_b32 s3, s3, s12
	s_cselect_b32 s0, s6, s0
	s_add_i32 s6, s3, 1
	s_cmp_ge_u32 s0, s21
	s_cselect_b32 s0, s6, s3
	s_xor_b32 s0, s0, s1
	s_sub_i32 s12, s0, s1
	s_add_i32 s0, s33, 7
	s_ashr_i32 s1, s0, 31
	s_lshr_b32 s1, s1, 29
	s_add_i32 s0, s0, s1
	s_ashr_i32 s16, s0, 3
	v_lshrrev_b32_e32 v10, 6, v0
	v_cmp_gt_i32_e64 s[0:1], s16, v10
	v_mov_b32_e32 v8, 0xff7fffff
	s_mul_i32 s14, s2, s14
	v_lshrrev_b32_e32 v3, 4, v0
	v_lshlrev_b32_e32 v11, 3, v10
	v_mbcnt_lo_u32_b32 v4, -1, 0
	s_and_saveexec_b64 s[34:35], s[0:1]
	s_cbranch_execz .LBB61_22
; %bb.11:
	s_load_dwordx2 s[2:3], s[4:5], 0x10
	s_ashr_i32 s15, s14, 31
	s_sub_i32 s30, s12, s17
	s_lshl_b64 s[4:5], s[14:15], 1
	v_bfe_u32 v5, v0, 3, 3
	s_waitcnt lgkmcnt(0)
	s_add_u32 s2, s2, s4
	s_addc_u32 s3, s3, s5
	s_abs_i32 s15, s18
	v_cvt_f32_u32_e32 v2, s15
	v_mov_b32_e32 v8, s3
	s_sub_i32 s3, 0, s15
	v_lshlrev_b32_e32 v7, 4, v5
	v_rcp_iflag_f32_e32 v2, v2
	v_lshlrev_b32_e32 v6, 1, v1
	s_lshl_b64 s[4:5], s[26:27], 2
	s_add_u32 s4, s24, s4
	v_mul_f32_e32 v2, 0x4f7ffffe, v2
	v_cvt_u32_f32_e32 v2, v2
	v_cmp_eq_u32_e32 vcc, 0, v1
	s_addc_u32 s5, s25, s5
	v_mbcnt_hi_u32_b32 v18, -1, v4
	v_mul_lo_u32 v12, s3, v2
	v_add_co_u32_e64 v7, s[2:3], s2, v7
	v_addc_co_u32_e64 v8, s[2:3], 0, v8, s[2:3]
	v_mul_hi_u32 v13, v2, v12
	v_add_co_u32_e64 v6, s[2:3], v7, v6
	v_addc_co_u32_e64 v7, s[2:3], 0, v8, s[2:3]
	v_subrev_u32_e32 v8, s33, v5
	v_add_u32_e32 v15, 1, v8
	v_lshlrev_b32_e32 v8, 2, v5
	v_mul_u32_u24_e32 v12, 48, v1
	v_and_b32_e32 v1, 60, v3
	v_lshl_or_b32 v8, v10, 5, v8
	v_add_u32_e32 v13, v2, v13
	v_mov_b32_e32 v2, s5
	v_add_co_u32_e64 v1, s[4:5], s4, v1
	v_add_u32_e32 v16, 0x190, v8
	v_and_b32_e32 v8, 64, v18
	s_mov_b32 s43, s13
	v_cmp_neq_f32_e64 s[2:3], s42, 0
	v_addc_co_u32_e64 v2, s[4:5], 0, v2, s[4:5]
	v_lshlrev_b32_e32 v14, 3, v10
	v_mov_b32_e32 v17, 0xff7fffff
	s_mov_b64 s[36:37], 0
	v_add_u32_e32 v19, 64, v8
	v_xor_b32_e32 v20, 4, v18
	v_xor_b32_e32 v21, 2, v18
	v_mov_b32_e32 v8, 0xff7fffff
	v_mov_b32_e32 v22, v10
	s_branch .LBB61_14
.LBB61_12:                              ;   in Loop: Header=BB61_14 Depth=1
	s_or_b64 exec, exec, s[38:39]
.LBB61_13:                              ;   in Loop: Header=BB61_14 Depth=1
	s_or_b64 exec, exec, s[6:7]
	v_add_co_u32_e64 v1, s[4:5], 8, v1
	v_add_u32_e32 v22, 2, v22
	v_addc_co_u32_e64 v2, s[4:5], 0, v2, s[4:5]
	v_cmp_le_i32_e64 s[4:5], s16, v22
	v_add_u32_e32 v14, 16, v14
	s_or_b64 s[36:37], s[4:5], s[36:37]
	v_add_u32_e32 v16, 64, v16
	s_andn2_b64 exec, exec, s[36:37]
	s_cbranch_execz .LBB61_21
.LBB61_14:                              ; =>This Inner Loop Header: Depth=1
	v_mul_hi_u32 v23, v14, s40
	s_waitcnt lgkmcnt(0)
	v_mul_lo_u32 v24, v23, s21
	v_add_u32_e32 v25, 1, v23
	v_sub_u32_e32 v24, v14, v24
	v_cmp_le_u32_e64 s[4:5], s21, v24
	v_cndmask_b32_e64 v23, v23, v25, s[4:5]
	v_subrev_u32_e32 v25, s21, v24
	v_cndmask_b32_e64 v24, v24, v25, s[4:5]
	v_add_u32_e32 v25, 1, v23
	v_cmp_le_u32_e64 s[4:5], s21, v24
	v_cndmask_b32_e64 v23, v23, v25, s[4:5]
	v_xor_b32_e32 v23, s19, v23
	v_subrev_u32_e32 v23, s19, v23
	v_add_u32_e32 v24, s41, v23
	v_sub_u32_e32 v25, 0, v24
	v_max_i32_e32 v25, v24, v25
	v_mul_hi_u32 v26, v25, v13
	v_ashrrev_i32_e32 v24, 31, v24
	v_cmp_ge_i32_e64 s[6:7], s30, v23
	v_mul_lo_u32 v26, v26, s15
	v_sub_u32_e32 v25, v25, v26
	v_subrev_u32_e32 v26, s15, v25
	v_cmp_le_u32_e64 s[4:5], s15, v25
	v_cndmask_b32_e64 v25, v25, v26, s[4:5]
	v_subrev_u32_e32 v26, s15, v25
	v_cmp_le_u32_e64 s[4:5], s15, v25
	v_cndmask_b32_e64 v25, v25, v26, s[4:5]
	v_xor_b32_e32 v25, v25, v24
	v_sub_u32_e32 v24, v25, v24
	v_cmp_ne_u32_e64 s[4:5], 0, v24
	s_and_b64 s[4:5], s[4:5], s[6:7]
	s_and_saveexec_b64 s[6:7], s[4:5]
	s_xor_b64 s[4:5], exec, s[6:7]
	s_cbranch_execz .LBB61_18
; %bb.15:                               ;   in Loop: Header=BB61_14 Depth=1
	s_and_saveexec_b64 s[6:7], vcc
; %bb.16:                               ;   in Loop: Header=BB61_14 Depth=1
	ds_write_b32 v16, v17
; %bb.17:                               ;   in Loop: Header=BB61_14 Depth=1
	s_or_b64 exec, exec, s[6:7]
.LBB61_18:                              ;   in Loop: Header=BB61_14 Depth=1
	s_andn2_saveexec_b64 s[6:7], s[4:5]
	s_cbranch_execz .LBB61_13
; %bb.19:                               ;   in Loop: Header=BB61_14 Depth=1
	global_load_dword v23, v[1:2], off
	s_waitcnt vmcnt(0)
	v_mad_i64_i32 v[23:24], s[4:5], v23, s43, 0
	v_lshlrev_b64 v[23:24], 1, v[23:24]
	v_add_co_u32_e64 v23, s[4:5], v6, v23
	v_addc_co_u32_e64 v24, s[4:5], v7, v24, s[4:5]
	global_load_ushort v25, v[23:24], off
	global_load_ushort v26, v[23:24], off offset:128
	global_load_ushort v28, v[23:24], off offset:256
	;; [unrolled: 1-line block ×9, first 2 shown]
	ds_read_u16 v27, v12
	global_load_ushort v49, v[23:24], off offset:1280
	global_load_ushort v50, v[23:24], off offset:1408
	;; [unrolled: 1-line block ×14, first 2 shown]
	s_waitcnt lgkmcnt(0)
	;;#ASMSTART
	v_cvt_f32_f16 v24, v27;
	;;#ASMEND
	v_cmp_lt_i32_e64 s[4:5], v20, v19
	s_waitcnt vmcnt(23)
	;;#ASMSTART
	v_cvt_f32_f16 v25, v25;
	;;#ASMEND
	ds_read_u16 v23, v12 offset:2
	s_waitcnt lgkmcnt(0)
	;;#ASMSTART
	v_cvt_f32_f16 v23, v23;
	;;#ASMEND
	s_waitcnt vmcnt(22)
	;;#ASMSTART
	v_cvt_f32_f16 v26, v26;
	;;#ASMEND
	v_mul_f32_e32 v23, v23, v26
	ds_read_u16 v27, v12 offset:4
	v_fmac_f32_e32 v23, v24, v25
	s_waitcnt lgkmcnt(0)
	;;#ASMSTART
	v_cvt_f32_f16 v27, v27;
	;;#ASMEND
	s_waitcnt vmcnt(21)
	;;#ASMSTART
	v_cvt_f32_f16 v28, v28;
	;;#ASMEND
	v_fmac_f32_e32 v23, v27, v28
	ds_read_u16 v41, v12 offset:6
	s_waitcnt lgkmcnt(0)
	;;#ASMSTART
	v_cvt_f32_f16 v26, v41;
	;;#ASMEND
	s_waitcnt vmcnt(20)
	;;#ASMSTART
	v_cvt_f32_f16 v29, v29;
	;;#ASMEND
	v_fmac_f32_e32 v23, v26, v29
	ds_read_u16 v41, v12 offset:8
	s_waitcnt lgkmcnt(0)
	;;#ASMSTART
	v_cvt_f32_f16 v24, v41;
	;;#ASMEND
	s_waitcnt vmcnt(19)
	;;#ASMSTART
	v_cvt_f32_f16 v25, v39;
	;;#ASMEND
	ds_read_u16 v39, v12 offset:10
	v_fmac_f32_e32 v23, v24, v25
	s_waitcnt lgkmcnt(0)
	;;#ASMSTART
	v_cvt_f32_f16 v39, v39;
	;;#ASMEND
	s_waitcnt vmcnt(18)
	;;#ASMSTART
	v_cvt_f32_f16 v40, v40;
	;;#ASMEND
	ds_read_u16 v41, v12 offset:12
	v_fmac_f32_e32 v23, v39, v40
	s_waitcnt lgkmcnt(0)
	;;#ASMSTART
	v_cvt_f32_f16 v41, v41;
	;;#ASMEND
	s_waitcnt vmcnt(17)
	;;#ASMSTART
	v_cvt_f32_f16 v42, v42;
	;;#ASMEND
	v_fmac_f32_e32 v23, v41, v42
	ds_read_u16 v27, v12 offset:14
	s_waitcnt lgkmcnt(0)
	;;#ASMSTART
	v_cvt_f32_f16 v43, v27;
	;;#ASMEND
	s_waitcnt vmcnt(16)
	;;#ASMSTART
	v_cvt_f32_f16 v44, v44;
	;;#ASMEND
	v_fmac_f32_e32 v23, v43, v44
	ds_read_u16 v27, v12 offset:16
	s_waitcnt lgkmcnt(0)
	;;#ASMSTART
	v_cvt_f32_f16 v45, v27;
	;;#ASMEND
	s_waitcnt vmcnt(15)
	;;#ASMSTART
	v_cvt_f32_f16 v46, v46;
	;;#ASMEND
	ds_read_u16 v26, v12 offset:18
	v_fmac_f32_e32 v23, v45, v46
	s_waitcnt lgkmcnt(0)
	;;#ASMSTART
	v_cvt_f32_f16 v47, v26;
	;;#ASMEND
	s_waitcnt vmcnt(14)
	;;#ASMSTART
	v_cvt_f32_f16 v48, v48;
	;;#ASMEND
	ds_read_u16 v26, v12 offset:20
	v_fmac_f32_e32 v23, v47, v48
	;; [unrolled: 10-line block ×7, first 2 shown]
	s_waitcnt lgkmcnt(0)
	;;#ASMSTART
	v_cvt_f32_f16 v49, v49;
	;;#ASMEND
	s_waitcnt vmcnt(8)
	;;#ASMSTART
	v_cvt_f32_f16 v38, v38;
	;;#ASMEND
	v_fmac_f32_e32 v23, v49, v38
	ds_read_u16 v50, v12 offset:32
	s_waitcnt lgkmcnt(0)
	;;#ASMSTART
	v_cvt_f32_f16 v43, v50;
	;;#ASMEND
	s_waitcnt vmcnt(7)
	;;#ASMSTART
	v_cvt_f32_f16 v37, v37;
	;;#ASMEND
	ds_read_u16 v44, v12 offset:34
	v_fmac_f32_e32 v23, v43, v37
	s_waitcnt lgkmcnt(0)
	;;#ASMSTART
	v_cvt_f32_f16 v44, v44;
	;;#ASMEND
	s_waitcnt vmcnt(6)
	;;#ASMSTART
	v_cvt_f32_f16 v36, v36;
	;;#ASMEND
	v_fmac_f32_e32 v23, v44, v36
	ds_read_u16 v50, v12 offset:36
	s_waitcnt lgkmcnt(0)
	;;#ASMSTART
	v_cvt_f32_f16 v45, v50;
	;;#ASMEND
	s_waitcnt vmcnt(5)
	;;#ASMSTART
	v_cvt_f32_f16 v35, v35;
	;;#ASMEND
	ds_read_u16 v46, v12 offset:38
	v_fmac_f32_e32 v23, v45, v35
	s_waitcnt lgkmcnt(0)
	;;#ASMSTART
	v_cvt_f32_f16 v46, v46;
	;;#ASMEND
	s_waitcnt vmcnt(4)
	;;#ASMSTART
	v_cvt_f32_f16 v34, v34;
	;;#ASMEND
	v_fmac_f32_e32 v23, v46, v34
	ds_read_u16 v50, v12 offset:40
	s_waitcnt lgkmcnt(0)
	;;#ASMSTART
	v_cvt_f32_f16 v24, v50;
	;;#ASMEND
	s_waitcnt vmcnt(3)
	;;#ASMSTART
	v_cvt_f32_f16 v25, v33;
	;;#ASMEND
	v_fmac_f32_e32 v23, v24, v25
	ds_read_u16 v33, v12 offset:42
	s_waitcnt lgkmcnt(0)
	;;#ASMSTART
	v_cvt_f32_f16 v26, v33;
	;;#ASMEND
	s_waitcnt vmcnt(2)
	;;#ASMSTART
	v_cvt_f32_f16 v27, v32;
	;;#ASMEND
	ds_read_u16 v28, v12 offset:44
	v_fmac_f32_e32 v23, v26, v27
	v_cndmask_b32_e64 v47, v18, v20, s[4:5]
	s_waitcnt lgkmcnt(0)
	;;#ASMSTART
	v_cvt_f32_f16 v28, v28;
	;;#ASMEND
	s_waitcnt vmcnt(1)
	;;#ASMSTART
	v_cvt_f32_f16 v29, v31;
	;;#ASMEND
	v_fmac_f32_e32 v23, v28, v29
	v_lshlrev_b32_e32 v47, 2, v47
	ds_read_u16 v31, v12 offset:46
	s_waitcnt lgkmcnt(0)
	;;#ASMSTART
	v_cvt_f32_f16 v24, v31;
	;;#ASMEND
	s_waitcnt vmcnt(0)
	;;#ASMSTART
	v_cvt_f32_f16 v25, v30;
	;;#ASMEND
	v_fmac_f32_e32 v23, v24, v25
	ds_bpermute_b32 v24, v47, v23
	v_cmp_lt_i32_e64 s[4:5], v21, v19
	v_cndmask_b32_e64 v25, v18, v21, s[4:5]
	v_lshlrev_b32_e32 v25, 2, v25
	s_waitcnt lgkmcnt(0)
	v_add_f32_e32 v23, v23, v24
	ds_bpermute_b32 v24, v25, v23
	v_xor_b32_e32 v25, 1, v18
	v_cmp_lt_i32_e64 s[4:5], v25, v19
	v_cndmask_b32_e64 v25, v18, v25, s[4:5]
	s_waitcnt lgkmcnt(0)
	v_add_f32_e32 v23, v23, v24
	v_lshlrev_b32_e32 v24, 2, v25
	ds_bpermute_b32 v24, v24, v23
	s_and_saveexec_b64 s[38:39], vcc
	s_cbranch_execz .LBB61_12
; %bb.20:                               ;   in Loop: Header=BB61_14 Depth=1
	v_add_u32_e32 v25, v15, v14
	v_cvt_f32_i32_e32 v25, v25
	s_waitcnt lgkmcnt(0)
	v_add_f32_e32 v23, v23, v24
	v_add_u32_e32 v26, v5, v14
	v_cmp_gt_i32_e64 s[4:5], s33, v26
	v_mul_f32_e32 v24, s42, v25
	v_cndmask_b32_e64 v24, 0, v24, s[2:3]
	v_fmac_f32_e32 v24, s31, v23
	v_cndmask_b32_e64 v23, 0, v24, s[4:5]
	ds_write_b32 v16, v23
	v_max_f32_e32 v23, v8, v8
	v_max_f32_e32 v23, v23, v24
	v_cndmask_b32_e64 v8, v8, v23, s[4:5]
	s_branch .LBB61_12
.LBB61_21:
	s_or_b64 exec, exec, s[36:37]
.LBB61_22:
	s_or_b64 exec, exec, s[34:35]
	v_mbcnt_hi_u32_b32 v1, -1, v4
	v_and_b32_e32 v14, 64, v1
	v_add_u32_e32 v2, 64, v14
	v_xor_b32_e32 v4, 32, v1
	v_cmp_lt_i32_e32 vcc, v4, v2
	v_cndmask_b32_e32 v4, v1, v4, vcc
	v_lshlrev_b32_e32 v5, 2, v4
	ds_bpermute_b32 v4, v5, v8
	v_xor_b32_e32 v7, 16, v1
	v_max_f32_e32 v6, v8, v8
	v_cmp_lt_i32_e32 vcc, v7, v2
	v_xor_b32_e32 v8, 8, v1
	s_waitcnt lgkmcnt(0)
	v_max_f32_e32 v4, v4, v4
	v_max_f32_e32 v4, v6, v4
	v_cndmask_b32_e32 v6, v1, v7, vcc
	v_lshlrev_b32_e32 v7, 2, v6
	ds_bpermute_b32 v6, v7, v4
	v_cmp_lt_i32_e32 vcc, v8, v2
	v_and_b32_e32 v12, 63, v0
	s_waitcnt lgkmcnt(0)
	v_max_f32_e32 v6, v6, v6
	v_max_f32_e32 v6, v4, v6
	v_cndmask_b32_e32 v4, v1, v8, vcc
	v_lshlrev_b32_e32 v13, 2, v4
	ds_bpermute_b32 v8, v13, v6
	v_cmp_eq_u32_e32 vcc, 0, v12
	v_lshlrev_b32_e32 v4, 2, v10
	s_and_saveexec_b64 s[2:3], vcc
	s_cbranch_execz .LBB61_24
; %bb.23:
	s_waitcnt lgkmcnt(0)
	v_max_f32_e32 v8, v8, v8
	v_max_f32_e32 v6, v6, v6
	;; [unrolled: 1-line block ×3, first 2 shown]
	ds_write_b32 v4, v6 offset:384
.LBB61_24:
	s_or_b64 exec, exec, s[2:3]
	v_cmp_gt_u32_e64 s[2:3], 2, v12
	v_mov_b32_e32 v15, 0xff7fffff
	v_lshlrev_b32_e32 v6, 2, v12
	s_waitcnt lgkmcnt(0)
	s_barrier
	s_and_saveexec_b64 s[4:5], s[2:3]
; %bb.25:
	ds_read_b32 v15, v6 offset:384
; %bb.26:
	s_or_b64 exec, exec, s[4:5]
	v_xor_b32_e32 v8, 1, v1
	v_cmp_lt_i32_e64 s[4:5], v8, v2
	v_cndmask_b32_e64 v8, v1, v8, s[4:5]
	v_lshlrev_b32_e32 v8, 2, v8
	s_waitcnt lgkmcnt(0)
	ds_bpermute_b32 v16, v8, v15
	v_max_f32_e32 v15, v15, v15
	v_lshlrev_b32_e32 v14, 2, v14
	s_lshl_b32 s4, s16, 3
	s_min_i32 s15, s4, s33
	s_waitcnt lgkmcnt(0)
	v_max_f32_e32 v16, v16, v16
	v_max_f32_e32 v15, v15, v16
	ds_bpermute_b32 v15, v14, v15
	v_cmp_gt_i32_e64 s[4:5], s15, v0
	v_mov_b32_e32 v14, 0
	s_and_saveexec_b64 s[30:31], s[4:5]
	s_cbranch_execz .LBB61_30
; %bb.27:
	v_mov_b32_e32 v14, 0x190
	v_lshl_add_u32 v16, v0, 2, v14
	v_mov_b32_e32 v14, 0
	s_mov_b64 s[34:35], 0
	v_mov_b32_e32 v17, v0
.LBB61_28:                              ; =>This Inner Loop Header: Depth=1
	ds_read_b32 v18, v16
	v_add_u32_e32 v17, 0x80, v17
	v_cmp_le_i32_e64 s[6:7], s15, v17
	s_or_b64 s[34:35], s[6:7], s[34:35]
	s_waitcnt lgkmcnt(0)
	v_sub_f32_e32 v18, v18, v15
	v_mul_f32_e32 v18, 0x3fb8aa3b, v18
	v_exp_f32_e32 v18, v18
	ds_write_b32 v16, v18
	v_add_f32_e32 v14, v14, v18
	v_add_u32_e32 v16, 0x200, v16
	s_andn2_b64 exec, exec, s[34:35]
	s_cbranch_execnz .LBB61_28
; %bb.29:
	s_or_b64 exec, exec, s[34:35]
.LBB61_30:
	s_or_b64 exec, exec, s[30:31]
	ds_bpermute_b32 v5, v5, v14
	s_waitcnt lgkmcnt(0)
	v_add_f32_e32 v5, v14, v5
	ds_bpermute_b32 v7, v7, v5
	s_waitcnt lgkmcnt(0)
	v_add_f32_e32 v5, v5, v7
	ds_bpermute_b32 v7, v13, v5
	v_xor_b32_e32 v13, 4, v1
	v_cmp_lt_i32_e64 s[6:7], v13, v2
	v_cndmask_b32_e64 v13, v1, v13, s[6:7]
	v_lshlrev_b32_e32 v13, 2, v13
	s_waitcnt lgkmcnt(0)
	v_add_f32_e32 v5, v5, v7
	ds_bpermute_b32 v7, v13, v5
	v_xor_b32_e32 v13, 2, v1
	v_cmp_lt_i32_e64 s[6:7], v13, v2
	v_cndmask_b32_e64 v2, v1, v13, s[6:7]
	v_lshlrev_b32_e32 v2, 2, v2
	s_waitcnt lgkmcnt(0)
	v_add_f32_e32 v5, v5, v7
	ds_bpermute_b32 v2, v2, v5
	s_waitcnt lgkmcnt(0)
	v_add_f32_e32 v2, v5, v2
	ds_bpermute_b32 v5, v8, v2
	s_waitcnt lgkmcnt(0)
	v_add_f32_e32 v2, v2, v5
	s_and_saveexec_b64 s[6:7], vcc
; %bb.31:
	ds_write_b32 v4, v2 offset:392
; %bb.32:
	s_or_b64 exec, exec, s[6:7]
	s_waitcnt lgkmcnt(0)
	s_barrier
	s_and_saveexec_b64 s[6:7], s[2:3]
; %bb.33:
	ds_read_b32 v2, v6 offset:392
; %bb.34:
	s_or_b64 exec, exec, s[6:7]
	s_waitcnt lgkmcnt(0)
	ds_bpermute_b32 v4, v8, v2
	v_lshlrev_b32_e32 v1, 2, v1
	v_and_b32_e32 v1, 0x100, v1
	s_waitcnt lgkmcnt(0)
	v_add_f32_e32 v2, v2, v4
	ds_bpermute_b32 v1, v1, v2
	s_and_saveexec_b64 s[2:3], s[4:5]
	s_cbranch_execz .LBB61_37
; %bb.35:
	s_waitcnt lgkmcnt(0)
	v_add_f32_e32 v2, 0x358637bd, v1
	v_div_scale_f32 v1, s[4:5], v2, v2, 1.0
	v_div_scale_f32 v4, vcc, 1.0, v2, 1.0
	s_mov_b64 s[4:5], 0
	v_rcp_f32_e32 v5, v1
	v_fma_f32 v6, -v1, v5, 1.0
	v_fmac_f32_e32 v5, v6, v5
	v_mul_f32_e32 v6, v4, v5
	v_fma_f32 v7, -v1, v6, v4
	v_fmac_f32_e32 v6, v7, v5
	v_fma_f32 v1, -v1, v6, v4
	v_div_fmas_f32 v4, v1, v5, v6
	v_mov_b32_e32 v1, 0x190
	v_lshl_add_u32 v1, v0, 2, v1
	v_div_fixup_f32 v2, v4, v2, 1.0
	v_mov_b32_e32 v4, v0
.LBB61_36:                              ; =>This Inner Loop Header: Depth=1
	ds_read_b32 v5, v1
	v_add_u32_e32 v4, 0x80, v4
	v_cmp_le_i32_e32 vcc, s15, v4
	s_or_b64 s[4:5], vcc, s[4:5]
	s_waitcnt lgkmcnt(0)
	v_mul_f32_e32 v5, v2, v5
	ds_write_b32 v1, v5
	v_add_u32_e32 v1, 0x200, v1
	s_andn2_b64 exec, exec, s[4:5]
	s_cbranch_execnz .LBB61_36
.LBB61_37:
	s_or_b64 exec, exec, s[2:3]
	v_mov_b32_e32 v15, 0
	v_mov_b32_e32 v14, 0
	;; [unrolled: 1-line block ×3, first 2 shown]
	s_waitcnt lgkmcnt(0)
	s_barrier
	s_and_saveexec_b64 s[2:3], s[0:1]
	s_cbranch_execz .LBB61_49
; %bb.38:
	s_ashr_i32 s15, s14, 31
	s_sub_i32 s17, s12, s17
	s_lshl_b64 s[0:1], s[14:15], 1
	s_add_u32 s4, s28, s0
	s_addc_u32 s5, s29, s1
	s_abs_i32 s14, s18
	v_cvt_f32_u32_e32 v1, s14
	s_sub_i32 s0, 0, s14
	v_lshlrev_b32_e32 v2, 4, v12
	s_add_i32 s18, s16, -1
	v_rcp_iflag_f32_e32 v1, v1
	v_mov_b32_e32 v5, s5
	v_add_co_u32_e32 v17, vcc, s4, v2
	v_mul_f32_e32 v1, 0x4f7ffffe, v1
	v_cvt_u32_f32_e32 v1, v1
	v_and_b32_e32 v3, 60, v3
	v_addc_co_u32_e32 v18, vcc, 0, v5, vcc
	v_mul_lo_u32 v4, s0, v1
	s_lshl_b64 s[0:1], s[26:27], 2
	s_add_u32 s0, s24, s0
	s_addc_u32 s1, s25, s1
	v_mul_hi_u32 v4, v1, v4
	v_add_co_u32_e32 v5, vcc, s0, v3
	s_mov_b32 s15, s13
	v_add_u32_e32 v19, v1, v4
	v_mov_b32_e32 v1, s1
	v_addc_co_u32_e32 v6, vcc, 0, v1, vcc
	v_mov_b32_e32 v1, 0x190
	v_mov_b32_e32 v16, 0
	v_lshl_add_u32 v20, v10, 5, v1
	s_mov_b64 s[4:5], 0
	s_mov_b32 s24, 0xffff
	v_mov_b32_e32 v13, 0
	v_mov_b32_e32 v14, 0
	;; [unrolled: 1-line block ×3, first 2 shown]
	s_branch .LBB61_41
.LBB61_39:                              ;   in Loop: Header=BB61_41 Depth=1
	s_or_b64 exec, exec, s[12:13]
	v_add_f32_e32 v21, v34, v35
	v_add_f32_e32 v14, v14, v21
	;; [unrolled: 1-line block ×4, first 2 shown]
	v_lshlrev_b32_e32 v21, 16, v36
	v_and_or_b32 v1, v1, s24, v21
	v_lshlrev_b32_e32 v8, 16, v8
	v_lshlrev_b32_e32 v7, 16, v7
	v_and_or_b32 v2, v2, s24, v8
	v_and_or_b32 v3, v3, s24, v7
	;;#ASMSTART
	v_pk_mul_f16 v1, v29, v1;

	;;#ASMEND
	;;#ASMSTART
	v_pk_mul_f16 v2, v30, v2;

	;;#ASMEND
	;;#ASMSTART
	v_pk_mul_f16 v3, v31, v3;

	;;#ASMEND
	;;#ASMSTART
	v_pk_mul_f16 v4, v28, v4;

	;;#ASMEND
	;;#ASMSTART
	v_pk_add_f16 v1, v1, v2;

	;;#ASMEND
	;;#ASMSTART
	v_pk_add_f16 v1, v1, v3;

	;;#ASMEND
	;; [unrolled: 4-line block ×3, first 2 shown]
	v_lshrrev_b32_e32 v2, 16, v1
	v_and_b32_e32 v1, 0xffff, v1
	;;#ASMSTART
	v_cvt_f32_f16 v1, v1;
	;;#ASMEND
	;;#ASMSTART
	v_cvt_f32_f16 v2, v2;
	;;#ASMEND
	v_add_f32_e32 v1, v1, v2
	v_add_f32_e32 v13, v13, v1
.LBB61_40:                              ;   in Loop: Header=BB61_41 Depth=1
	s_or_b64 exec, exec, s[6:7]
	v_add_co_u32_e32 v5, vcc, 8, v5
	v_add_u32_e32 v10, 2, v10
	v_addc_co_u32_e32 v6, vcc, 0, v6, vcc
	v_cmp_le_i32_e32 vcc, s16, v10
	v_add_u32_e32 v11, 16, v11
	s_or_b64 s[4:5], vcc, s[4:5]
	v_add_u32_e32 v20, 64, v20
	s_andn2_b64 exec, exec, s[4:5]
	s_cbranch_execz .LBB61_48
.LBB61_41:                              ; =>This Inner Loop Header: Depth=1
	v_mul_hi_u32 v1, v11, s40
	v_mul_lo_u32 v2, v1, s21
	v_add_u32_e32 v3, 1, v1
	v_sub_u32_e32 v2, v11, v2
	v_cmp_le_u32_e32 vcc, s21, v2
	v_cndmask_b32_e32 v1, v1, v3, vcc
	v_subrev_u32_e32 v3, s21, v2
	v_cndmask_b32_e32 v2, v2, v3, vcc
	v_add_u32_e32 v3, 1, v1
	v_cmp_le_u32_e32 vcc, s21, v2
	v_cndmask_b32_e32 v1, v1, v3, vcc
	v_xor_b32_e32 v1, s19, v1
	v_subrev_u32_e32 v1, s19, v1
	v_add_u32_e32 v2, s41, v1
	v_sub_u32_e32 v3, 0, v2
	v_max_i32_e32 v3, v2, v3
	v_mul_hi_u32 v4, v3, v19
	v_ashrrev_i32_e32 v2, 31, v2
	v_cmp_lt_i32_e64 s[0:1], s17, v1
	v_mul_lo_u32 v4, v4, s14
	v_sub_u32_e32 v3, v3, v4
	v_subrev_u32_e32 v4, s14, v3
	v_cmp_le_u32_e32 vcc, s14, v3
	v_cndmask_b32_e32 v3, v3, v4, vcc
	v_subrev_u32_e32 v4, s14, v3
	v_cmp_le_u32_e32 vcc, s14, v3
	v_cndmask_b32_e32 v3, v3, v4, vcc
	v_xor_b32_e32 v3, v3, v2
	v_sub_u32_e32 v2, v3, v2
	v_cmp_eq_u32_e32 vcc, 0, v2
	s_or_b64 s[0:1], vcc, s[0:1]
	s_and_saveexec_b64 s[6:7], s[0:1]
	s_cbranch_execz .LBB61_40
; %bb.42:                               ;   in Loop: Header=BB61_41 Depth=1
	global_load_dword v7, v[5:6], off
	ds_read2_b64 v[1:4], v20 offset1:1
	ds_read2_b64 v[21:24], v20 offset0:2 offset1:3
	v_add_u32_e32 v27, 1, v11
	v_add_u32_e32 v26, 2, v11
	s_waitcnt lgkmcnt(1)
	;;#ASMSTART
	v_cvt_f16_f32 v28, v1;

	;;#ASMEND
	;;#ASMSTART
	v_cvt_f16_f32 v29, v2;

	;;#ASMEND
	;; [unrolled: 4-line block ×4, first 2 shown]
	s_waitcnt lgkmcnt(0)
	;;#ASMSTART
	v_cvt_f16_f32 v32, v21;

	;;#ASMEND
	;;#ASMSTART
	v_cvt_f16_f32 v33, v22;

	;;#ASMEND
	;; [unrolled: 4-line block ×4, first 2 shown]
	v_add_u32_e32 v25, 3, v11
	v_add_u32_e32 v24, 4, v11
	;; [unrolled: 1-line block ×5, first 2 shown]
	s_waitcnt vmcnt(0)
	v_mad_i64_i32 v[1:2], s[0:1], v7, s15, 0
	v_cmp_eq_u32_e64 s[0:1], s18, v10
	v_lshlrev_b64 v[1:2], 1, v[1:2]
	v_add_co_u32_e32 v7, vcc, v17, v1
	v_addc_co_u32_e32 v8, vcc, v18, v2, vcc
	global_load_dwordx4 v[1:4], v[7:8], off
	s_waitcnt vmcnt(0)
	v_lshrrev_b32_e32 v38, 16, v1
	v_lshrrev_b32_e32 v37, 16, v2
	;; [unrolled: 1-line block ×3, first 2 shown]
	s_and_saveexec_b64 s[12:13], s[0:1]
	s_cbranch_execz .LBB61_44
; %bb.43:                               ;   in Loop: Header=BB61_41 Depth=1
	v_cmp_gt_i32_e32 vcc, s33, v11
	v_cndmask_b32_e32 v1, 0, v1, vcc
	v_cmp_gt_i32_e32 vcc, s33, v27
	v_cndmask_b32_e32 v38, 0, v38, vcc
	;; [unrolled: 2-line block ×6, first 2 shown]
	v_cmp_gt_i32_e32 vcc, s33, v22
	v_cndmask_b32_sdwa v39, v16, v4, vcc dst_sel:DWORD dst_unused:UNUSED_PAD src0_sel:DWORD src1_sel:WORD_0
	v_and_b32_e32 v4, 0xffff0000, v4
	v_cmp_gt_i32_e32 vcc, s33, v21
	v_cndmask_b32_e32 v4, 0, v4, vcc
	v_or_b32_e32 v4, v39, v4
.LBB61_44:                              ;   in Loop: Header=BB61_41 Depth=1
	s_or_b64 exec, exec, s[12:13]
	v_and_b32_e32 v28, 0xffff, v28
	v_lshl_or_b32 v29, v29, 16, v28
	v_and_b32_e32 v28, 0xffff, v30
	v_lshl_or_b32 v30, v31, 16, v28
	v_and_b32_e32 v28, 0xffff, v32
	v_lshlrev_b32_e32 v32, 16, v38
	v_and_or_b32 v1, v1, s24, v32
	v_lshlrev_b32_e32 v32, 16, v37
	v_and_or_b32 v2, v2, s24, v32
	v_lshlrev_b32_e32 v32, 16, v36
	v_lshl_or_b32 v31, v33, 16, v28
	v_and_b32_e32 v28, 0xffff, v34
	v_and_or_b32 v3, v3, s24, v32
	;;#ASMSTART
	v_pk_mul_f16 v1, v29, v1;

	;;#ASMEND
	v_lshl_or_b32 v28, v35, 16, v28
	;;#ASMSTART
	v_pk_mul_f16 v2, v30, v2;

	;;#ASMEND
	;;#ASMSTART
	v_pk_mul_f16 v3, v31, v3;

	;;#ASMEND
	;; [unrolled: 4-line block ×3, first 2 shown]
	;;#ASMSTART
	v_pk_add_f16 v1, v1, v2;

	;;#ASMEND
	;;#ASMSTART
	v_pk_add_f16 v1, v1, v3;

	;;#ASMEND
	;;#ASMSTART
	v_pk_add_f16 v1, v1, v4;

	;;#ASMEND
	v_lshrrev_b32_e32 v2, 16, v1
	v_and_b32_e32 v1, 0xffff, v1
	;;#ASMSTART
	v_cvt_f32_f16 v32, v1;
	;;#ASMEND
	;;#ASMSTART
	v_cvt_f32_f16 v33, v2;
	;;#ASMEND
	global_load_dwordx4 v[1:4], v[7:8], off offset:1024
	s_waitcnt vmcnt(0)
	v_lshrrev_b32_e32 v36, 16, v1
	v_lshrrev_b32_e32 v35, 16, v2
	;; [unrolled: 1-line block ×3, first 2 shown]
	s_and_saveexec_b64 s[12:13], s[0:1]
	s_cbranch_execz .LBB61_46
; %bb.45:                               ;   in Loop: Header=BB61_41 Depth=1
	v_cmp_gt_i32_e32 vcc, s33, v11
	v_cndmask_b32_e32 v1, 0, v1, vcc
	v_cmp_gt_i32_e32 vcc, s33, v27
	v_cndmask_b32_e32 v36, 0, v36, vcc
	;; [unrolled: 2-line block ×6, first 2 shown]
	v_cmp_gt_i32_e32 vcc, s33, v22
	v_cndmask_b32_sdwa v37, v16, v4, vcc dst_sel:DWORD dst_unused:UNUSED_PAD src0_sel:DWORD src1_sel:WORD_0
	v_and_b32_e32 v4, 0xffff0000, v4
	v_cmp_gt_i32_e32 vcc, s33, v21
	v_cndmask_b32_e32 v4, 0, v4, vcc
	v_or_b32_e32 v4, v37, v4
.LBB61_46:                              ;   in Loop: Header=BB61_41 Depth=1
	s_or_b64 exec, exec, s[12:13]
	v_lshlrev_b32_e32 v36, 16, v36
	v_and_or_b32 v1, v1, s24, v36
	v_lshlrev_b32_e32 v35, 16, v35
	v_lshlrev_b32_e32 v34, 16, v34
	v_and_or_b32 v2, v2, s24, v35
	v_and_or_b32 v3, v3, s24, v34
	;;#ASMSTART
	v_pk_mul_f16 v1, v29, v1;

	;;#ASMEND
	;;#ASMSTART
	v_pk_mul_f16 v2, v30, v2;

	;;#ASMEND
	;;#ASMSTART
	v_pk_mul_f16 v3, v31, v3;

	;;#ASMEND
	;;#ASMSTART
	v_pk_mul_f16 v4, v28, v4;

	;;#ASMEND
	;;#ASMSTART
	v_pk_add_f16 v1, v1, v2;

	;;#ASMEND
	;;#ASMSTART
	v_pk_add_f16 v1, v1, v3;

	;;#ASMEND
	;; [unrolled: 4-line block ×3, first 2 shown]
	v_lshrrev_b32_e32 v2, 16, v1
	v_and_b32_e32 v1, 0xffff, v1
	;;#ASMSTART
	v_cvt_f32_f16 v34, v1;
	;;#ASMEND
	;;#ASMSTART
	v_cvt_f32_f16 v35, v2;
	;;#ASMEND
	global_load_dwordx4 v[1:4], v[7:8], off offset:2048
	s_waitcnt vmcnt(0)
	v_lshrrev_b32_e32 v36, 16, v1
	v_lshrrev_b32_e32 v8, 16, v2
	;; [unrolled: 1-line block ×3, first 2 shown]
	s_and_saveexec_b64 s[12:13], s[0:1]
	s_cbranch_execz .LBB61_39
; %bb.47:                               ;   in Loop: Header=BB61_41 Depth=1
	v_cmp_gt_i32_e32 vcc, s33, v11
	v_cndmask_b32_e32 v1, 0, v1, vcc
	v_cmp_gt_i32_e32 vcc, s33, v27
	v_cndmask_b32_e32 v36, 0, v36, vcc
	;; [unrolled: 2-line block ×6, first 2 shown]
	v_cmp_gt_i32_e32 vcc, s33, v22
	v_cndmask_b32_sdwa v22, v16, v4, vcc dst_sel:DWORD dst_unused:UNUSED_PAD src0_sel:DWORD src1_sel:WORD_0
	v_and_b32_e32 v4, 0xffff0000, v4
	v_cmp_gt_i32_e32 vcc, s33, v21
	v_cndmask_b32_e32 v4, 0, v4, vcc
	v_or_b32_e32 v4, v22, v4
	s_branch .LBB61_39
.LBB61_48:
	s_or_b64 exec, exec, s[4:5]
.LBB61_49:
	s_or_b64 exec, exec, s[2:3]
	v_and_b32_e32 v1, 0x3c0, v0
	v_cmp_eq_u32_e32 vcc, 64, v1
	s_barrier
	s_and_saveexec_b64 s[0:1], vcc
	s_cbranch_execz .LBB61_51
; %bb.50:
	v_mov_b32_e32 v1, 0x190
	v_lshl_add_u32 v1, v12, 2, v1
	ds_write2st64_b32 v1, v15, v14 offset1:1
	ds_write_b32 v1, v13 offset:512
.LBB61_51:
	s_or_b64 exec, exec, s[0:1]
	v_cmp_gt_u32_e32 vcc, 64, v0
	s_waitcnt lgkmcnt(0)
	s_barrier
	s_and_saveexec_b64 s[0:1], vcc
	s_cbranch_execz .LBB61_53
; %bb.52:
	v_mov_b32_e32 v1, 0x190
	v_lshl_add_u32 v2, v0, 2, v1
	ds_read2st64_b32 v[0:1], v2 offset1:1
	ds_read_b32 v2, v2 offset:512
	s_waitcnt lgkmcnt(1)
	v_add_f32_e32 v15, v15, v0
	v_add_f32_e32 v14, v14, v1
	s_waitcnt lgkmcnt(0)
	v_add_f32_e32 v13, v13, v2
.LBB61_53:
	s_or_b64 exec, exec, s[0:1]
	s_barrier
	s_and_saveexec_b64 s[0:1], vcc
	s_cbranch_execz .LBB61_55
; %bb.54:
	s_mul_i32 s0, s10, s11
	s_mul_i32 s0, s0, s9
	s_mulk_i32 s0, 0xc0
	s_ashr_i32 s1, s0, 31
	s_lshl_b64 s[0:1], s[0:1], 1
	s_add_u32 s2, s22, s0
	s_mul_i32 s0, s11, s20
	s_addc_u32 s3, s23, s1
	s_ashr_i32 s1, s0, 31
	s_lshl_b64 s[0:1], s[0:1], 1
	s_add_u32 s2, s2, s0
	s_mul_i32 s0, s8, 0xc0
	s_addc_u32 s3, s3, s1
	s_ashr_i32 s1, s0, 31
	s_lshl_b64 s[0:1], s[0:1], 1
	s_add_u32 s0, s2, s0
	s_addc_u32 s1, s3, s1
	;;#ASMSTART
	v_cvt_f16_f32 v0, v15;

	;;#ASMEND
	global_store_short v9, v0, s[0:1]
	;;#ASMSTART
	v_cvt_f16_f32 v0, v14;

	;;#ASMEND
	global_store_short v9, v0, s[0:1] offset:128
	;;#ASMSTART
	v_cvt_f16_f32 v0, v13;

	;;#ASMEND
	global_store_short v9, v0, s[0:1] offset:256
.LBB61_55:
	s_endpgm
	.section	.rodata,"a",@progbits
	.p2align	6, 0x0
	.amdhsa_kernel _ZN4vllm25paged_attention_v1_kernelIttLi192ELi8ELi128ELNS_18Fp8KVCacheDataTypeE0ELb1EEEvPT_PKS2_PKT0_S8_ifPKiSA_iPKfiiiSC_SC_iiiii
		.amdhsa_group_segment_fixed_size 400
		.amdhsa_private_segment_fixed_size 0
		.amdhsa_kernarg_size 384
		.amdhsa_user_sgpr_count 6
		.amdhsa_user_sgpr_private_segment_buffer 1
		.amdhsa_user_sgpr_dispatch_ptr 0
		.amdhsa_user_sgpr_queue_ptr 0
		.amdhsa_user_sgpr_kernarg_segment_ptr 1
		.amdhsa_user_sgpr_dispatch_id 0
		.amdhsa_user_sgpr_flat_scratch_init 0
		.amdhsa_user_sgpr_private_segment_size 0
		.amdhsa_uses_dynamic_stack 0
		.amdhsa_system_sgpr_private_segment_wavefront_offset 0
		.amdhsa_system_sgpr_workgroup_id_x 1
		.amdhsa_system_sgpr_workgroup_id_y 1
		.amdhsa_system_sgpr_workgroup_id_z 1
		.amdhsa_system_sgpr_workgroup_info 0
		.amdhsa_system_vgpr_workitem_id 0
		.amdhsa_next_free_vgpr 54
		.amdhsa_next_free_sgpr 44
		.amdhsa_reserve_vcc 1
		.amdhsa_reserve_flat_scratch 0
		.amdhsa_float_round_mode_32 0
		.amdhsa_float_round_mode_16_64 0
		.amdhsa_float_denorm_mode_32 3
		.amdhsa_float_denorm_mode_16_64 3
		.amdhsa_dx10_clamp 1
		.amdhsa_ieee_mode 1
		.amdhsa_fp16_overflow 0
		.amdhsa_exception_fp_ieee_invalid_op 0
		.amdhsa_exception_fp_denorm_src 0
		.amdhsa_exception_fp_ieee_div_zero 0
		.amdhsa_exception_fp_ieee_overflow 0
		.amdhsa_exception_fp_ieee_underflow 0
		.amdhsa_exception_fp_ieee_inexact 0
		.amdhsa_exception_int_div_zero 0
	.end_amdhsa_kernel
	.section	.text._ZN4vllm25paged_attention_v1_kernelIttLi192ELi8ELi128ELNS_18Fp8KVCacheDataTypeE0ELb1EEEvPT_PKS2_PKT0_S8_ifPKiSA_iPKfiiiSC_SC_iiiii,"axG",@progbits,_ZN4vllm25paged_attention_v1_kernelIttLi192ELi8ELi128ELNS_18Fp8KVCacheDataTypeE0ELb1EEEvPT_PKS2_PKT0_S8_ifPKiSA_iPKfiiiSC_SC_iiiii,comdat
.Lfunc_end61:
	.size	_ZN4vllm25paged_attention_v1_kernelIttLi192ELi8ELi128ELNS_18Fp8KVCacheDataTypeE0ELb1EEEvPT_PKS2_PKT0_S8_ifPKiSA_iPKfiiiSC_SC_iiiii, .Lfunc_end61-_ZN4vllm25paged_attention_v1_kernelIttLi192ELi8ELi128ELNS_18Fp8KVCacheDataTypeE0ELb1EEEvPT_PKS2_PKT0_S8_ifPKiSA_iPKfiiiSC_SC_iiiii
                                        ; -- End function
	.set _ZN4vllm25paged_attention_v1_kernelIttLi192ELi8ELi128ELNS_18Fp8KVCacheDataTypeE0ELb1EEEvPT_PKS2_PKT0_S8_ifPKiSA_iPKfiiiSC_SC_iiiii.num_vgpr, 54
	.set _ZN4vllm25paged_attention_v1_kernelIttLi192ELi8ELi128ELNS_18Fp8KVCacheDataTypeE0ELb1EEEvPT_PKS2_PKT0_S8_ifPKiSA_iPKfiiiSC_SC_iiiii.num_agpr, 0
	.set _ZN4vllm25paged_attention_v1_kernelIttLi192ELi8ELi128ELNS_18Fp8KVCacheDataTypeE0ELb1EEEvPT_PKS2_PKT0_S8_ifPKiSA_iPKfiiiSC_SC_iiiii.numbered_sgpr, 44
	.set _ZN4vllm25paged_attention_v1_kernelIttLi192ELi8ELi128ELNS_18Fp8KVCacheDataTypeE0ELb1EEEvPT_PKS2_PKT0_S8_ifPKiSA_iPKfiiiSC_SC_iiiii.num_named_barrier, 0
	.set _ZN4vllm25paged_attention_v1_kernelIttLi192ELi8ELi128ELNS_18Fp8KVCacheDataTypeE0ELb1EEEvPT_PKS2_PKT0_S8_ifPKiSA_iPKfiiiSC_SC_iiiii.private_seg_size, 0
	.set _ZN4vllm25paged_attention_v1_kernelIttLi192ELi8ELi128ELNS_18Fp8KVCacheDataTypeE0ELb1EEEvPT_PKS2_PKT0_S8_ifPKiSA_iPKfiiiSC_SC_iiiii.uses_vcc, 1
	.set _ZN4vllm25paged_attention_v1_kernelIttLi192ELi8ELi128ELNS_18Fp8KVCacheDataTypeE0ELb1EEEvPT_PKS2_PKT0_S8_ifPKiSA_iPKfiiiSC_SC_iiiii.uses_flat_scratch, 0
	.set _ZN4vllm25paged_attention_v1_kernelIttLi192ELi8ELi128ELNS_18Fp8KVCacheDataTypeE0ELb1EEEvPT_PKS2_PKT0_S8_ifPKiSA_iPKfiiiSC_SC_iiiii.has_dyn_sized_stack, 0
	.set _ZN4vllm25paged_attention_v1_kernelIttLi192ELi8ELi128ELNS_18Fp8KVCacheDataTypeE0ELb1EEEvPT_PKS2_PKT0_S8_ifPKiSA_iPKfiiiSC_SC_iiiii.has_recursion, 0
	.set _ZN4vllm25paged_attention_v1_kernelIttLi192ELi8ELi128ELNS_18Fp8KVCacheDataTypeE0ELb1EEEvPT_PKS2_PKT0_S8_ifPKiSA_iPKfiiiSC_SC_iiiii.has_indirect_call, 0
	.section	.AMDGPU.csdata,"",@progbits
; Kernel info:
; codeLenInByte = 5116
; TotalNumSgprs: 48
; NumVgprs: 54
; ScratchSize: 0
; MemoryBound: 0
; FloatMode: 240
; IeeeMode: 1
; LDSByteSize: 400 bytes/workgroup (compile time only)
; SGPRBlocks: 5
; VGPRBlocks: 13
; NumSGPRsForWavesPerEU: 48
; NumVGPRsForWavesPerEU: 54
; Occupancy: 4
; WaveLimiterHint : 1
; COMPUTE_PGM_RSRC2:SCRATCH_EN: 0
; COMPUTE_PGM_RSRC2:USER_SGPR: 6
; COMPUTE_PGM_RSRC2:TRAP_HANDLER: 0
; COMPUTE_PGM_RSRC2:TGID_X_EN: 1
; COMPUTE_PGM_RSRC2:TGID_Y_EN: 1
; COMPUTE_PGM_RSRC2:TGID_Z_EN: 1
; COMPUTE_PGM_RSRC2:TIDIG_COMP_CNT: 0
	.section	.text._ZN4vllm25paged_attention_v1_kernelIttLi256ELi8ELi128ELNS_18Fp8KVCacheDataTypeE0ELb1EEEvPT_PKS2_PKT0_S8_ifPKiSA_iPKfiiiSC_SC_iiiii,"axG",@progbits,_ZN4vllm25paged_attention_v1_kernelIttLi256ELi8ELi128ELNS_18Fp8KVCacheDataTypeE0ELb1EEEvPT_PKS2_PKT0_S8_ifPKiSA_iPKfiiiSC_SC_iiiii,comdat
	.protected	_ZN4vllm25paged_attention_v1_kernelIttLi256ELi8ELi128ELNS_18Fp8KVCacheDataTypeE0ELb1EEEvPT_PKS2_PKT0_S8_ifPKiSA_iPKfiiiSC_SC_iiiii ; -- Begin function _ZN4vllm25paged_attention_v1_kernelIttLi256ELi8ELi128ELNS_18Fp8KVCacheDataTypeE0ELb1EEEvPT_PKS2_PKT0_S8_ifPKiSA_iPKfiiiSC_SC_iiiii
	.globl	_ZN4vllm25paged_attention_v1_kernelIttLi256ELi8ELi128ELNS_18Fp8KVCacheDataTypeE0ELb1EEEvPT_PKS2_PKT0_S8_ifPKiSA_iPKfiiiSC_SC_iiiii
	.p2align	8
	.type	_ZN4vllm25paged_attention_v1_kernelIttLi256ELi8ELi128ELNS_18Fp8KVCacheDataTypeE0ELb1EEEvPT_PKS2_PKT0_S8_ifPKiSA_iPKfiiiSC_SC_iiiii,@function
_ZN4vllm25paged_attention_v1_kernelIttLi256ELi8ELi128ELNS_18Fp8KVCacheDataTypeE0ELb1EEEvPT_PKS2_PKT0_S8_ifPKiSA_iPKfiiiSC_SC_iiiii: ; @_ZN4vllm25paged_attention_v1_kernelIttLi256ELi8ELi128ELNS_18Fp8KVCacheDataTypeE0ELb1EEEvPT_PKS2_PKT0_S8_ifPKiSA_iPKfiiiSC_SC_iiiii
; %bb.0:
	s_load_dword s9, s[4:5], 0x80
	s_load_dwordx2 s[0:1], s[4:5], 0x30
	s_load_dwordx2 s[30:31], s[4:5], 0x20
	s_mov_b32 s10, s7
	s_ashr_i32 s11, s7, 31
	s_lshl_b64 s[2:3], s[10:11], 2
	s_waitcnt lgkmcnt(0)
	s_add_u32 s0, s0, s2
	s_addc_u32 s1, s1, s3
	s_abs_i32 s2, s30
	v_cvt_f32_u32_e32 v1, s2
	s_sub_i32 s11, 0, s2
	s_abs_i32 s7, s9
	s_xor_b32 s3, s9, s30
	v_rcp_iflag_f32_e32 v1, v1
	s_ashr_i32 s3, s3, 31
	s_mov_b32 s42, 0
	v_mul_f32_e32 v1, 0x4f7ffffe, v1
	v_cvt_u32_f32_e32 v1, v1
	v_readfirstlane_b32 s12, v1
	s_mul_i32 s11, s11, s12
	s_mul_hi_u32 s11, s12, s11
	s_add_i32 s12, s12, s11
	s_mul_hi_u32 s11, s7, s12
	s_mul_i32 s12, s11, s2
	s_sub_i32 s7, s7, s12
	s_add_i32 s12, s11, 1
	s_sub_i32 s13, s7, s2
	s_cmp_ge_u32 s7, s2
	s_cselect_b32 s11, s12, s11
	s_cselect_b32 s7, s13, s7
	s_add_i32 s12, s11, 1
	s_cmp_ge_u32 s7, s2
	s_cselect_b32 s2, s12, s11
	s_xor_b32 s2, s2, s3
	s_sub_i32 s11, s2, s3
	s_abs_i32 s22, s11
	v_cvt_f32_u32_e32 v1, s22
	s_load_dwordx2 s[2:3], s[4:5], 0x40
	s_sub_i32 s7, 0, s22
	s_abs_i32 s23, s6
	v_rcp_iflag_f32_e32 v1, v1
	v_mul_f32_e32 v1, 0x4f7ffffe, v1
	v_cvt_u32_f32_e32 v1, v1
	v_readfirstlane_b32 s12, v1
	s_mul_i32 s7, s7, s12
	s_mul_hi_u32 s7, s12, s7
	s_add_i32 s12, s12, s7
	s_waitcnt lgkmcnt(0)
	s_cmp_eq_u64 s[2:3], 0
	s_mul_hi_u32 s24, s23, s12
	s_cbranch_scc1 .LBB62_2
; %bb.1:
	s_ashr_i32 s7, s6, 31
	s_lshl_b64 s[12:13], s[6:7], 2
	s_add_u32 s2, s2, s12
	s_addc_u32 s3, s3, s13
	s_load_dword s42, s[2:3], 0x0
.LBB62_2:
	s_load_dword s33, s[0:1], 0x0
	s_ashr_i32 s25, s11, 31
	s_load_dword s11, s[4:5], 0x88
	s_load_dwordx4 s[12:15], s[4:5], 0x48
	s_movk_i32 s0, 0x100
	s_ashr_i32 s7, s6, 31
	v_and_b32_e32 v1, 7, v0
	s_lshl_b32 s20, s6, 8
	v_cmp_gt_u32_e32 vcc, s0, v0
	v_lshlrev_b32_e32 v9, 1, v0
	s_and_saveexec_b64 s[0:1], vcc
	s_cbranch_execz .LBB62_5
; %bb.3:
	s_load_dwordx2 s[2:3], s[4:5], 0x8
	s_waitcnt lgkmcnt(0)
	s_mul_i32 s16, s12, s10
	s_ashr_i32 s17, s16, 31
	s_lshl_b64 s[16:17], s[16:17], 1
	v_lshrrev_b32_e32 v2, 3, v0
	s_add_u32 s12, s2, s16
	s_addc_u32 s15, s3, s17
	s_ashr_i32 s21, s20, 31
	s_lshl_b64 s[2:3], s[20:21], 1
	s_add_u32 s2, s12, s2
	s_addc_u32 s3, s15, s3
	global_load_ushort v4, v9, s[2:3]
	s_movk_i32 s12, 0x80
	v_lshlrev_b32_e32 v3, 1, v2
	v_lshl_add_u32 v3, v1, 6, v3
	v_cmp_gt_u32_e32 vcc, s12, v0
	s_waitcnt vmcnt(0)
	ds_write_b16 v3, v4
	s_and_b64 exec, exec, vcc
	s_cbranch_execz .LBB62_5
; %bb.4:
	v_lshlrev_b32_e32 v2, 4, v2
	v_lshlrev_b32_e32 v4, 1, v1
	s_movk_i32 s12, 0x100
	v_or3_b32 v2, v2, v4, s12
	global_load_ushort v2, v2, s[2:3]
	s_waitcnt vmcnt(0)
	ds_write_b16 v3, v2 offset:32
.LBB62_5:
	s_or_b64 exec, exec, s[0:1]
	s_mul_i32 s1, s24, s22
	s_sub_i32 s1, s23, s1
	s_xor_b32 s0, s7, s25
	s_add_i32 s2, s24, 1
	s_sub_i32 s7, s1, s22
	s_load_dwordx4 s[16:19], s[4:5], 0x68
	s_load_dword s3, s[4:5], 0x78
	s_cmp_ge_u32 s1, s22
	s_cselect_b32 s2, s2, s24
	s_cselect_b32 s1, s7, s1
	s_add_i32 s7, s2, 1
	s_cmp_ge_u32 s1, s22
	s_cselect_b32 s1, s7, s2
	s_waitcnt lgkmcnt(0)
	s_abs_i32 s21, s19
	v_cvt_f32_u32_e32 v2, s21
	s_xor_b32 s1, s1, s0
	s_sub_i32 s2, s1, s0
	s_sub_i32 s0, 0, s21
	v_rcp_iflag_f32_e32 v2, v2
	s_add_i32 s15, s33, -1
	s_abs_i32 s7, s15
	v_mul_f32_e32 v2, 0x4f7ffffe, v2
	v_cvt_u32_f32_e32 v2, v2
	s_barrier
	v_readfirstlane_b32 s40, v2
	s_mul_i32 s0, s0, s40
	s_mul_hi_u32 s0, s40, s0
	s_add_i32 s40, s40, s0
	s_cmp_lt_i32 s3, 0
	s_mul_hi_u32 s12, s7, s40
	s_cbranch_scc0 .LBB62_7
; %bb.6:
	s_mul_i32 s0, s16, s30
	s_add_i32 s0, s2, s0
	s_mul_i32 s0, s0, s3
	s_sub_i32 s41, 1, s0
	s_mov_b64 s[0:1], 0
	s_branch .LBB62_8
.LBB62_7:
	s_mov_b64 s[0:1], -1
                                        ; implicit-def: $sgpr41
.LBB62_8:
	s_load_dwordx2 s[24:25], s[4:5], 0x28
	s_ashr_i32 s15, s15, 31
	s_andn2_b64 vcc, exec, s[0:1]
	s_ashr_i32 s19, s19, 31
	s_cbranch_vccnz .LBB62_10
; %bb.9:
	s_mul_i32 s0, s9, s16
	s_add_i32 s0, s0, s6
	s_mul_i32 s0, s0, s3
	s_add_i32 s41, s0, 1
.LBB62_10:
	s_load_dword s0, s[4:5], 0x38
	s_load_dwordx2 s[22:23], s[4:5], 0x0
	s_load_dwordx2 s[28:29], s[4:5], 0x18
	s_mul_i32 s3, s12, s21
	s_xor_b32 s1, s15, s19
	s_waitcnt lgkmcnt(0)
	s_mul_i32 s26, s0, s10
	s_sub_i32 s0, s7, s3
	s_ashr_i32 s27, s26, 31
	s_add_i32 s3, s12, 1
	s_sub_i32 s6, s0, s21
	s_cmp_ge_u32 s0, s21
	s_cselect_b32 s3, s3, s12
	s_cselect_b32 s0, s6, s0
	s_add_i32 s6, s3, 1
	s_cmp_ge_u32 s0, s21
	s_cselect_b32 s0, s6, s3
	s_xor_b32 s0, s0, s1
	s_sub_i32 s12, s0, s1
	s_add_i32 s0, s33, 7
	s_ashr_i32 s1, s0, 31
	s_lshr_b32 s1, s1, 29
	s_add_i32 s0, s0, s1
	s_ashr_i32 s16, s0, 3
	v_lshrrev_b32_e32 v10, 6, v0
	v_cmp_gt_i32_e64 s[0:1], s16, v10
	v_mov_b32_e32 v8, 0xff7fffff
	s_mul_i32 s14, s2, s14
	v_lshrrev_b32_e32 v3, 4, v0
	v_lshlrev_b32_e32 v11, 3, v10
	v_mbcnt_lo_u32_b32 v4, -1, 0
	s_and_saveexec_b64 s[34:35], s[0:1]
	s_cbranch_execz .LBB62_22
; %bb.11:
	s_load_dwordx2 s[2:3], s[4:5], 0x10
	s_ashr_i32 s15, s14, 31
	s_sub_i32 s30, s12, s17
	s_lshl_b64 s[4:5], s[14:15], 1
	v_bfe_u32 v5, v0, 3, 3
	s_waitcnt lgkmcnt(0)
	s_add_u32 s2, s2, s4
	s_addc_u32 s3, s3, s5
	s_abs_i32 s15, s18
	v_cvt_f32_u32_e32 v2, s15
	v_mov_b32_e32 v8, s3
	s_sub_i32 s3, 0, s15
	v_lshlrev_b32_e32 v7, 4, v5
	v_rcp_iflag_f32_e32 v2, v2
	v_lshlrev_b32_e32 v6, 1, v1
	s_lshl_b64 s[4:5], s[26:27], 2
	s_add_u32 s4, s24, s4
	v_mul_f32_e32 v2, 0x4f7ffffe, v2
	v_cvt_u32_f32_e32 v2, v2
	v_cmp_eq_u32_e32 vcc, 0, v1
	s_addc_u32 s5, s25, s5
	v_mbcnt_hi_u32_b32 v18, -1, v4
	v_mul_lo_u32 v12, s3, v2
	v_add_co_u32_e64 v7, s[2:3], s2, v7
	v_addc_co_u32_e64 v8, s[2:3], 0, v8, s[2:3]
	v_mul_hi_u32 v13, v2, v12
	v_add_co_u32_e64 v6, s[2:3], v7, v6
	v_addc_co_u32_e64 v7, s[2:3], 0, v8, s[2:3]
	v_subrev_u32_e32 v8, s33, v5
	v_add_u32_e32 v15, 1, v8
	v_lshlrev_b32_e32 v8, 2, v5
	v_lshlrev_b32_e32 v12, 6, v1
	v_and_b32_e32 v1, 60, v3
	v_lshl_or_b32 v8, v10, 5, v8
	v_add_u32_e32 v13, v2, v13
	v_mov_b32_e32 v2, s5
	v_add_co_u32_e64 v1, s[4:5], s4, v1
	v_add_u32_e32 v16, 0x210, v8
	v_and_b32_e32 v8, 64, v18
	s_mov_b32 s43, s13
	v_cmp_neq_f32_e64 s[2:3], s42, 0
	v_addc_co_u32_e64 v2, s[4:5], 0, v2, s[4:5]
	v_lshlrev_b32_e32 v14, 3, v10
	v_mov_b32_e32 v17, 0xff7fffff
	s_mov_b64 s[36:37], 0
	v_add_u32_e32 v19, 64, v8
	v_xor_b32_e32 v20, 4, v18
	v_xor_b32_e32 v21, 2, v18
	v_mov_b32_e32 v8, 0xff7fffff
	v_mov_b32_e32 v22, v10
	s_branch .LBB62_14
.LBB62_12:                              ;   in Loop: Header=BB62_14 Depth=1
	s_or_b64 exec, exec, s[38:39]
.LBB62_13:                              ;   in Loop: Header=BB62_14 Depth=1
	s_or_b64 exec, exec, s[6:7]
	v_add_co_u32_e64 v1, s[4:5], 8, v1
	v_add_u32_e32 v22, 2, v22
	v_addc_co_u32_e64 v2, s[4:5], 0, v2, s[4:5]
	v_cmp_le_i32_e64 s[4:5], s16, v22
	v_add_u32_e32 v14, 16, v14
	s_or_b64 s[36:37], s[4:5], s[36:37]
	v_add_u32_e32 v16, 64, v16
	s_andn2_b64 exec, exec, s[36:37]
	s_cbranch_execz .LBB62_21
.LBB62_14:                              ; =>This Inner Loop Header: Depth=1
	v_mul_hi_u32 v23, v14, s40
	s_waitcnt lgkmcnt(0)
	v_mul_lo_u32 v24, v23, s21
	v_add_u32_e32 v25, 1, v23
	v_sub_u32_e32 v24, v14, v24
	v_cmp_le_u32_e64 s[4:5], s21, v24
	v_cndmask_b32_e64 v23, v23, v25, s[4:5]
	v_subrev_u32_e32 v25, s21, v24
	v_cndmask_b32_e64 v24, v24, v25, s[4:5]
	v_add_u32_e32 v25, 1, v23
	v_cmp_le_u32_e64 s[4:5], s21, v24
	v_cndmask_b32_e64 v23, v23, v25, s[4:5]
	v_xor_b32_e32 v23, s19, v23
	v_subrev_u32_e32 v23, s19, v23
	v_add_u32_e32 v24, s41, v23
	v_sub_u32_e32 v25, 0, v24
	v_max_i32_e32 v25, v24, v25
	v_mul_hi_u32 v26, v25, v13
	v_ashrrev_i32_e32 v24, 31, v24
	v_cmp_ge_i32_e64 s[6:7], s30, v23
	v_mul_lo_u32 v26, v26, s15
	v_sub_u32_e32 v25, v25, v26
	v_subrev_u32_e32 v26, s15, v25
	v_cmp_le_u32_e64 s[4:5], s15, v25
	v_cndmask_b32_e64 v25, v25, v26, s[4:5]
	v_subrev_u32_e32 v26, s15, v25
	v_cmp_le_u32_e64 s[4:5], s15, v25
	v_cndmask_b32_e64 v25, v25, v26, s[4:5]
	v_xor_b32_e32 v25, v25, v24
	v_sub_u32_e32 v24, v25, v24
	v_cmp_ne_u32_e64 s[4:5], 0, v24
	s_and_b64 s[4:5], s[4:5], s[6:7]
	s_and_saveexec_b64 s[6:7], s[4:5]
	s_xor_b64 s[4:5], exec, s[6:7]
	s_cbranch_execz .LBB62_18
; %bb.15:                               ;   in Loop: Header=BB62_14 Depth=1
	s_and_saveexec_b64 s[6:7], vcc
; %bb.16:                               ;   in Loop: Header=BB62_14 Depth=1
	ds_write_b32 v16, v17
; %bb.17:                               ;   in Loop: Header=BB62_14 Depth=1
	s_or_b64 exec, exec, s[6:7]
.LBB62_18:                              ;   in Loop: Header=BB62_14 Depth=1
	s_andn2_saveexec_b64 s[6:7], s[4:5]
	s_cbranch_execz .LBB62_13
; %bb.19:                               ;   in Loop: Header=BB62_14 Depth=1
	global_load_dword v23, v[1:2], off
	s_waitcnt vmcnt(0)
	v_mad_i64_i32 v[23:24], s[4:5], v23, s43, 0
	v_lshlrev_b64 v[23:24], 1, v[23:24]
	v_add_co_u32_e64 v49, s[4:5], v6, v23
	v_addc_co_u32_e64 v50, s[4:5], v7, v24, s[4:5]
	global_load_ushort v23, v[49:50], off
	global_load_ushort v51, v[49:50], off offset:128
	global_load_ushort v52, v[49:50], off offset:256
	;; [unrolled: 1-line block ×31, first 2 shown]
	ds_read_u16 v49, v12
	s_waitcnt lgkmcnt(0)
	;;#ASMSTART
	v_cvt_f32_f16 v49, v49;
	;;#ASMEND
	v_cmp_lt_i32_e64 s[4:5], v20, v19
	s_waitcnt vmcnt(31)
	;;#ASMSTART
	v_cvt_f32_f16 v50, v23;
	;;#ASMEND
	ds_read_u16 v23, v12 offset:2
	s_waitcnt lgkmcnt(0)
	;;#ASMSTART
	v_cvt_f32_f16 v23, v23;
	;;#ASMEND
	s_waitcnt vmcnt(30)
	;;#ASMSTART
	v_cvt_f32_f16 v51, v51;
	;;#ASMEND
	v_mul_f32_e32 v23, v23, v51
	v_fmac_f32_e32 v23, v49, v50
	ds_read_u16 v49, v12 offset:4
	s_waitcnt lgkmcnt(0)
	;;#ASMSTART
	v_cvt_f32_f16 v49, v49;
	;;#ASMEND
	s_waitcnt vmcnt(29)
	;;#ASMSTART
	v_cvt_f32_f16 v50, v52;
	;;#ASMEND
	v_fmac_f32_e32 v23, v49, v50
	ds_read_u16 v49, v12 offset:6
	s_waitcnt lgkmcnt(0)
	;;#ASMSTART
	v_cvt_f32_f16 v49, v49;
	;;#ASMEND
	s_waitcnt vmcnt(28)
	;;#ASMSTART
	v_cvt_f32_f16 v50, v53;
	;;#ASMEND
	;; [unrolled: 10-line block ×7, first 2 shown]
	ds_read_u16 v49, v12 offset:18
	v_fmac_f32_e32 v23, v48, v47
	s_waitcnt lgkmcnt(0)
	;;#ASMSTART
	v_cvt_f32_f16 v49, v49;
	;;#ASMEND
	s_waitcnt vmcnt(22)
	;;#ASMSTART
	v_cvt_f32_f16 v46, v46;
	;;#ASMEND
	v_fmac_f32_e32 v23, v49, v46
	ds_read_u16 v50, v12 offset:20
	s_waitcnt lgkmcnt(0)
	;;#ASMSTART
	v_cvt_f32_f16 v47, v50;
	;;#ASMEND
	s_waitcnt vmcnt(21)
	;;#ASMSTART
	v_cvt_f32_f16 v45, v45;
	;;#ASMEND
	ds_read_u16 v48, v12 offset:22
	v_fmac_f32_e32 v23, v47, v45
	s_waitcnt lgkmcnt(0)
	;;#ASMSTART
	v_cvt_f32_f16 v48, v48;
	;;#ASMEND
	s_waitcnt vmcnt(20)
	;;#ASMSTART
	v_cvt_f32_f16 v44, v44;
	;;#ASMEND
	v_fmac_f32_e32 v23, v48, v44
	ds_read_u16 v50, v12 offset:24
	s_waitcnt lgkmcnt(0)
	;;#ASMSTART
	v_cvt_f32_f16 v46, v50;
	;;#ASMEND
	s_waitcnt vmcnt(19)
	;;#ASMSTART
	v_cvt_f32_f16 v49, v32;
	;;#ASMEND
	v_fmac_f32_e32 v23, v46, v49
	ds_read_u16 v32, v12 offset:26
	;; [unrolled: 10-line block ×6, first 2 shown]
	s_waitcnt lgkmcnt(0)
	;;#ASMSTART
	v_cvt_f32_f16 v30, v26;
	;;#ASMEND
	s_waitcnt vmcnt(14)
	;;#ASMSTART
	v_cvt_f32_f16 v32, v24;
	;;#ASMEND
	ds_read_u16 v24, v12 offset:36
	v_fmac_f32_e32 v23, v30, v32
	s_waitcnt lgkmcnt(0)
	;;#ASMSTART
	v_cvt_f32_f16 v24, v24;
	;;#ASMEND
	s_waitcnt vmcnt(13)
	;;#ASMSTART
	v_cvt_f32_f16 v25, v25;
	;;#ASMEND
	ds_read_u16 v26, v12 offset:38
	v_fmac_f32_e32 v23, v24, v25
	;; [unrolled: 10-line block ×8, first 2 shown]
	s_waitcnt lgkmcnt(0)
	;;#ASMSTART
	v_cvt_f32_f16 v49, v49;
	;;#ASMEND
	s_waitcnt vmcnt(6)
	;;#ASMSTART
	v_cvt_f32_f16 v40, v40;
	;;#ASMEND
	v_fmac_f32_e32 v23, v49, v40
	ds_read_u16 v50, v12 offset:52
	s_waitcnt lgkmcnt(0)
	;;#ASMSTART
	v_cvt_f32_f16 v44, v50;
	;;#ASMEND
	s_waitcnt vmcnt(5)
	;;#ASMSTART
	v_cvt_f32_f16 v39, v39;
	;;#ASMEND
	ds_read_u16 v48, v12 offset:54
	v_fmac_f32_e32 v23, v44, v39
	s_waitcnt lgkmcnt(0)
	;;#ASMSTART
	v_cvt_f32_f16 v48, v48;
	;;#ASMEND
	s_waitcnt vmcnt(4)
	;;#ASMSTART
	v_cvt_f32_f16 v38, v38;
	;;#ASMEND
	v_fmac_f32_e32 v23, v48, v38
	ds_read_u16 v50, v12 offset:56
	s_waitcnt lgkmcnt(0)
	;;#ASMSTART
	v_cvt_f32_f16 v24, v50;
	;;#ASMEND
	s_waitcnt vmcnt(3)
	;;#ASMSTART
	v_cvt_f32_f16 v25, v37;
	;;#ASMEND
	v_fmac_f32_e32 v23, v24, v25
	ds_read_u16 v32, v12 offset:58
	s_waitcnt lgkmcnt(0)
	;;#ASMSTART
	v_cvt_f32_f16 v26, v32;
	;;#ASMEND
	s_waitcnt vmcnt(2)
	;;#ASMSTART
	v_cvt_f32_f16 v27, v36;
	;;#ASMEND
	ds_read_u16 v28, v12 offset:60
	v_fmac_f32_e32 v23, v26, v27
	v_cndmask_b32_e64 v30, v18, v20, s[4:5]
	s_waitcnt lgkmcnt(0)
	;;#ASMSTART
	v_cvt_f32_f16 v28, v28;
	;;#ASMEND
	s_waitcnt vmcnt(1)
	;;#ASMSTART
	v_cvt_f32_f16 v29, v35;
	;;#ASMEND
	v_fmac_f32_e32 v23, v28, v29
	v_lshlrev_b32_e32 v30, 2, v30
	ds_read_u16 v31, v12 offset:62
	s_waitcnt lgkmcnt(0)
	;;#ASMSTART
	v_cvt_f32_f16 v24, v31;
	;;#ASMEND
	s_waitcnt vmcnt(0)
	;;#ASMSTART
	v_cvt_f32_f16 v25, v34;
	;;#ASMEND
	v_fmac_f32_e32 v23, v24, v25
	ds_bpermute_b32 v24, v30, v23
	v_cmp_lt_i32_e64 s[4:5], v21, v19
	v_cndmask_b32_e64 v25, v18, v21, s[4:5]
	v_lshlrev_b32_e32 v25, 2, v25
	s_waitcnt lgkmcnt(0)
	v_add_f32_e32 v23, v23, v24
	ds_bpermute_b32 v24, v25, v23
	v_xor_b32_e32 v25, 1, v18
	v_cmp_lt_i32_e64 s[4:5], v25, v19
	v_cndmask_b32_e64 v25, v18, v25, s[4:5]
	s_waitcnt lgkmcnt(0)
	v_add_f32_e32 v23, v23, v24
	v_lshlrev_b32_e32 v24, 2, v25
	ds_bpermute_b32 v24, v24, v23
	s_and_saveexec_b64 s[38:39], vcc
	s_cbranch_execz .LBB62_12
; %bb.20:                               ;   in Loop: Header=BB62_14 Depth=1
	v_add_u32_e32 v25, v15, v14
	v_cvt_f32_i32_e32 v25, v25
	s_waitcnt lgkmcnt(0)
	v_add_f32_e32 v23, v23, v24
	v_add_u32_e32 v26, v5, v14
	v_cmp_gt_i32_e64 s[4:5], s33, v26
	v_mul_f32_e32 v24, s42, v25
	v_cndmask_b32_e64 v24, 0, v24, s[2:3]
	v_fmac_f32_e32 v24, s31, v23
	v_cndmask_b32_e64 v23, 0, v24, s[4:5]
	ds_write_b32 v16, v23
	v_max_f32_e32 v23, v8, v8
	v_max_f32_e32 v23, v23, v24
	v_cndmask_b32_e64 v8, v8, v23, s[4:5]
	s_branch .LBB62_12
.LBB62_21:
	s_or_b64 exec, exec, s[36:37]
.LBB62_22:
	s_or_b64 exec, exec, s[34:35]
	v_mbcnt_hi_u32_b32 v1, -1, v4
	v_and_b32_e32 v14, 64, v1
	v_add_u32_e32 v2, 64, v14
	v_xor_b32_e32 v4, 32, v1
	v_cmp_lt_i32_e32 vcc, v4, v2
	v_cndmask_b32_e32 v4, v1, v4, vcc
	v_lshlrev_b32_e32 v5, 2, v4
	ds_bpermute_b32 v4, v5, v8
	v_xor_b32_e32 v7, 16, v1
	v_max_f32_e32 v6, v8, v8
	v_cmp_lt_i32_e32 vcc, v7, v2
	v_xor_b32_e32 v8, 8, v1
	s_waitcnt lgkmcnt(0)
	v_max_f32_e32 v4, v4, v4
	v_max_f32_e32 v4, v6, v4
	v_cndmask_b32_e32 v6, v1, v7, vcc
	v_lshlrev_b32_e32 v7, 2, v6
	ds_bpermute_b32 v6, v7, v4
	v_cmp_lt_i32_e32 vcc, v8, v2
	v_and_b32_e32 v12, 63, v0
	s_waitcnt lgkmcnt(0)
	v_max_f32_e32 v6, v6, v6
	v_max_f32_e32 v6, v4, v6
	v_cndmask_b32_e32 v4, v1, v8, vcc
	v_lshlrev_b32_e32 v13, 2, v4
	ds_bpermute_b32 v8, v13, v6
	v_cmp_eq_u32_e32 vcc, 0, v12
	v_lshlrev_b32_e32 v4, 2, v10
	s_and_saveexec_b64 s[2:3], vcc
	s_cbranch_execz .LBB62_24
; %bb.23:
	s_waitcnt lgkmcnt(0)
	v_max_f32_e32 v8, v8, v8
	v_max_f32_e32 v6, v6, v6
	;; [unrolled: 1-line block ×3, first 2 shown]
	ds_write_b32 v4, v6 offset:512
.LBB62_24:
	s_or_b64 exec, exec, s[2:3]
	v_cmp_gt_u32_e64 s[2:3], 2, v12
	v_mov_b32_e32 v15, 0xff7fffff
	v_lshlrev_b32_e32 v6, 2, v12
	s_waitcnt lgkmcnt(0)
	s_barrier
	s_and_saveexec_b64 s[4:5], s[2:3]
; %bb.25:
	ds_read_b32 v15, v6 offset:512
; %bb.26:
	s_or_b64 exec, exec, s[4:5]
	v_xor_b32_e32 v8, 1, v1
	v_cmp_lt_i32_e64 s[4:5], v8, v2
	v_cndmask_b32_e64 v8, v1, v8, s[4:5]
	v_lshlrev_b32_e32 v8, 2, v8
	s_waitcnt lgkmcnt(0)
	ds_bpermute_b32 v16, v8, v15
	v_max_f32_e32 v15, v15, v15
	v_lshlrev_b32_e32 v14, 2, v14
	s_lshl_b32 s4, s16, 3
	s_min_i32 s15, s4, s33
	s_waitcnt lgkmcnt(0)
	v_max_f32_e32 v16, v16, v16
	v_max_f32_e32 v15, v15, v16
	ds_bpermute_b32 v15, v14, v15
	v_cmp_gt_i32_e64 s[4:5], s15, v0
	v_mov_b32_e32 v14, 0
	s_and_saveexec_b64 s[30:31], s[4:5]
	s_cbranch_execz .LBB62_30
; %bb.27:
	v_mov_b32_e32 v14, 0x210
	v_lshl_add_u32 v16, v0, 2, v14
	v_mov_b32_e32 v14, 0
	s_mov_b64 s[34:35], 0
	v_mov_b32_e32 v17, v0
.LBB62_28:                              ; =>This Inner Loop Header: Depth=1
	ds_read_b32 v18, v16
	v_add_u32_e32 v17, 0x80, v17
	v_cmp_le_i32_e64 s[6:7], s15, v17
	s_or_b64 s[34:35], s[6:7], s[34:35]
	s_waitcnt lgkmcnt(0)
	v_sub_f32_e32 v18, v18, v15
	v_mul_f32_e32 v18, 0x3fb8aa3b, v18
	v_exp_f32_e32 v18, v18
	ds_write_b32 v16, v18
	v_add_f32_e32 v14, v14, v18
	v_add_u32_e32 v16, 0x200, v16
	s_andn2_b64 exec, exec, s[34:35]
	s_cbranch_execnz .LBB62_28
; %bb.29:
	s_or_b64 exec, exec, s[34:35]
.LBB62_30:
	s_or_b64 exec, exec, s[30:31]
	ds_bpermute_b32 v5, v5, v14
	s_waitcnt lgkmcnt(0)
	v_add_f32_e32 v5, v14, v5
	ds_bpermute_b32 v7, v7, v5
	s_waitcnt lgkmcnt(0)
	v_add_f32_e32 v5, v5, v7
	ds_bpermute_b32 v7, v13, v5
	v_xor_b32_e32 v13, 4, v1
	v_cmp_lt_i32_e64 s[6:7], v13, v2
	v_cndmask_b32_e64 v13, v1, v13, s[6:7]
	v_lshlrev_b32_e32 v13, 2, v13
	s_waitcnt lgkmcnt(0)
	v_add_f32_e32 v5, v5, v7
	ds_bpermute_b32 v7, v13, v5
	v_xor_b32_e32 v13, 2, v1
	v_cmp_lt_i32_e64 s[6:7], v13, v2
	v_cndmask_b32_e64 v2, v1, v13, s[6:7]
	v_lshlrev_b32_e32 v2, 2, v2
	s_waitcnt lgkmcnt(0)
	v_add_f32_e32 v5, v5, v7
	ds_bpermute_b32 v2, v2, v5
	s_waitcnt lgkmcnt(0)
	v_add_f32_e32 v2, v5, v2
	ds_bpermute_b32 v5, v8, v2
	s_waitcnt lgkmcnt(0)
	v_add_f32_e32 v2, v2, v5
	s_and_saveexec_b64 s[6:7], vcc
; %bb.31:
	ds_write_b32 v4, v2 offset:520
; %bb.32:
	s_or_b64 exec, exec, s[6:7]
	s_waitcnt lgkmcnt(0)
	s_barrier
	s_and_saveexec_b64 s[6:7], s[2:3]
; %bb.33:
	ds_read_b32 v2, v6 offset:520
; %bb.34:
	s_or_b64 exec, exec, s[6:7]
	s_waitcnt lgkmcnt(0)
	ds_bpermute_b32 v4, v8, v2
	v_lshlrev_b32_e32 v1, 2, v1
	v_and_b32_e32 v1, 0x100, v1
	s_waitcnt lgkmcnt(0)
	v_add_f32_e32 v2, v2, v4
	ds_bpermute_b32 v1, v1, v2
	s_and_saveexec_b64 s[2:3], s[4:5]
	s_cbranch_execz .LBB62_37
; %bb.35:
	s_waitcnt lgkmcnt(0)
	v_add_f32_e32 v2, 0x358637bd, v1
	v_div_scale_f32 v1, s[4:5], v2, v2, 1.0
	v_div_scale_f32 v4, vcc, 1.0, v2, 1.0
	s_mov_b64 s[4:5], 0
	v_rcp_f32_e32 v5, v1
	v_fma_f32 v6, -v1, v5, 1.0
	v_fmac_f32_e32 v5, v6, v5
	v_mul_f32_e32 v6, v4, v5
	v_fma_f32 v7, -v1, v6, v4
	v_fmac_f32_e32 v6, v7, v5
	v_fma_f32 v1, -v1, v6, v4
	v_div_fmas_f32 v4, v1, v5, v6
	v_mov_b32_e32 v1, 0x210
	v_lshl_add_u32 v1, v0, 2, v1
	v_div_fixup_f32 v2, v4, v2, 1.0
	v_mov_b32_e32 v4, v0
.LBB62_36:                              ; =>This Inner Loop Header: Depth=1
	ds_read_b32 v5, v1
	v_add_u32_e32 v4, 0x80, v4
	v_cmp_le_i32_e32 vcc, s15, v4
	s_or_b64 s[4:5], vcc, s[4:5]
	s_waitcnt lgkmcnt(0)
	v_mul_f32_e32 v5, v2, v5
	ds_write_b32 v1, v5
	v_add_u32_e32 v1, 0x200, v1
	s_andn2_b64 exec, exec, s[4:5]
	s_cbranch_execnz .LBB62_36
.LBB62_37:
	s_or_b64 exec, exec, s[2:3]
	v_mov_b32_e32 v16, 0
	v_mov_b32_e32 v15, 0
	;; [unrolled: 1-line block ×4, first 2 shown]
	s_waitcnt lgkmcnt(0)
	s_barrier
	s_and_saveexec_b64 s[2:3], s[0:1]
	s_cbranch_execz .LBB62_51
; %bb.38:
	s_ashr_i32 s15, s14, 31
	s_sub_i32 s17, s12, s17
	s_lshl_b64 s[0:1], s[14:15], 1
	s_add_u32 s4, s28, s0
	s_addc_u32 s5, s29, s1
	s_abs_i32 s14, s18
	v_cvt_f32_u32_e32 v1, s14
	s_sub_i32 s0, 0, s14
	v_lshlrev_b32_e32 v2, 4, v12
	s_add_i32 s18, s16, -1
	v_rcp_iflag_f32_e32 v1, v1
	v_mov_b32_e32 v5, s5
	v_add_co_u32_e32 v18, vcc, s4, v2
	v_mul_f32_e32 v1, 0x4f7ffffe, v1
	v_cvt_u32_f32_e32 v1, v1
	v_and_b32_e32 v3, 60, v3
	v_addc_co_u32_e32 v19, vcc, 0, v5, vcc
	v_mul_lo_u32 v4, s0, v1
	s_lshl_b64 s[0:1], s[26:27], 2
	s_add_u32 s0, s24, s0
	s_addc_u32 s1, s25, s1
	v_mul_hi_u32 v4, v1, v4
	v_add_co_u32_e32 v5, vcc, s0, v3
	s_mov_b32 s15, s13
	v_add_u32_e32 v20, v1, v4
	v_mov_b32_e32 v1, s1
	v_addc_co_u32_e32 v6, vcc, 0, v1, vcc
	v_mov_b32_e32 v1, 0x210
	v_mov_b32_e32 v17, 0
	v_lshl_add_u32 v21, v10, 5, v1
	s_mov_b64 s[4:5], 0
	s_mov_b32 s24, 0xffff
	v_mov_b32_e32 v13, 0
	v_mov_b32_e32 v14, 0
	;; [unrolled: 1-line block ×4, first 2 shown]
	s_branch .LBB62_41
.LBB62_39:                              ;   in Loop: Header=BB62_41 Depth=1
	s_or_b64 exec, exec, s[12:13]
	v_add_f32_e32 v22, v37, v38
	v_add_f32_e32 v14, v14, v22
	;; [unrolled: 1-line block ×6, first 2 shown]
	v_lshlrev_b32_e32 v22, 16, v39
	v_and_or_b32 v1, v1, s24, v22
	v_lshlrev_b32_e32 v8, 16, v8
	v_lshlrev_b32_e32 v7, 16, v7
	v_and_or_b32 v2, v2, s24, v8
	v_and_or_b32 v3, v3, s24, v7
	;;#ASMSTART
	v_pk_mul_f16 v1, v30, v1;

	;;#ASMEND
	;;#ASMSTART
	v_pk_mul_f16 v2, v31, v2;

	;;#ASMEND
	;; [unrolled: 4-line block ×4, first 2 shown]
	;;#ASMSTART
	v_pk_add_f16 v1, v1, v2;

	;;#ASMEND
	;;#ASMSTART
	v_pk_add_f16 v1, v1, v3;

	;;#ASMEND
	;; [unrolled: 4-line block ×3, first 2 shown]
	v_lshrrev_b32_e32 v2, 16, v1
	v_and_b32_e32 v1, 0xffff, v1
	;;#ASMSTART
	v_cvt_f32_f16 v1, v1;
	;;#ASMEND
	;;#ASMSTART
	v_cvt_f32_f16 v2, v2;
	;;#ASMEND
	v_add_f32_e32 v1, v1, v2
	v_add_f32_e32 v13, v13, v1
.LBB62_40:                              ;   in Loop: Header=BB62_41 Depth=1
	s_or_b64 exec, exec, s[6:7]
	v_add_co_u32_e32 v5, vcc, 8, v5
	v_add_u32_e32 v10, 2, v10
	v_addc_co_u32_e32 v6, vcc, 0, v6, vcc
	v_cmp_le_i32_e32 vcc, s16, v10
	v_add_u32_e32 v11, 16, v11
	s_or_b64 s[4:5], vcc, s[4:5]
	v_add_u32_e32 v21, 64, v21
	s_andn2_b64 exec, exec, s[4:5]
	s_cbranch_execz .LBB62_50
.LBB62_41:                              ; =>This Inner Loop Header: Depth=1
	v_mul_hi_u32 v1, v11, s40
	v_mul_lo_u32 v2, v1, s21
	v_add_u32_e32 v3, 1, v1
	v_sub_u32_e32 v2, v11, v2
	v_cmp_le_u32_e32 vcc, s21, v2
	v_cndmask_b32_e32 v1, v1, v3, vcc
	v_subrev_u32_e32 v3, s21, v2
	v_cndmask_b32_e32 v2, v2, v3, vcc
	v_add_u32_e32 v3, 1, v1
	v_cmp_le_u32_e32 vcc, s21, v2
	v_cndmask_b32_e32 v1, v1, v3, vcc
	v_xor_b32_e32 v1, s19, v1
	v_subrev_u32_e32 v1, s19, v1
	v_add_u32_e32 v2, s41, v1
	v_sub_u32_e32 v3, 0, v2
	v_max_i32_e32 v3, v2, v3
	v_mul_hi_u32 v4, v3, v20
	v_ashrrev_i32_e32 v2, 31, v2
	v_cmp_lt_i32_e64 s[0:1], s17, v1
	v_mul_lo_u32 v4, v4, s14
	v_sub_u32_e32 v3, v3, v4
	v_subrev_u32_e32 v4, s14, v3
	v_cmp_le_u32_e32 vcc, s14, v3
	v_cndmask_b32_e32 v3, v3, v4, vcc
	v_subrev_u32_e32 v4, s14, v3
	v_cmp_le_u32_e32 vcc, s14, v3
	v_cndmask_b32_e32 v3, v3, v4, vcc
	v_xor_b32_e32 v3, v3, v2
	v_sub_u32_e32 v2, v3, v2
	v_cmp_eq_u32_e32 vcc, 0, v2
	s_or_b64 s[0:1], vcc, s[0:1]
	s_and_saveexec_b64 s[6:7], s[0:1]
	s_cbranch_execz .LBB62_40
; %bb.42:                               ;   in Loop: Header=BB62_41 Depth=1
	global_load_dword v7, v[5:6], off
	ds_read2_b64 v[1:4], v21 offset1:1
	ds_read2_b64 v[22:25], v21 offset0:2 offset1:3
	v_add_u32_e32 v28, 1, v11
	v_add_u32_e32 v27, 2, v11
	s_waitcnt lgkmcnt(1)
	;;#ASMSTART
	v_cvt_f16_f32 v29, v1;

	;;#ASMEND
	;;#ASMSTART
	v_cvt_f16_f32 v30, v2;

	;;#ASMEND
	;; [unrolled: 4-line block ×4, first 2 shown]
	s_waitcnt lgkmcnt(0)
	;;#ASMSTART
	v_cvt_f16_f32 v33, v22;

	;;#ASMEND
	;;#ASMSTART
	v_cvt_f16_f32 v34, v23;

	;;#ASMEND
	;; [unrolled: 4-line block ×4, first 2 shown]
	v_add_u32_e32 v26, 3, v11
	v_add_u32_e32 v25, 4, v11
	;; [unrolled: 1-line block ×5, first 2 shown]
	s_waitcnt vmcnt(0)
	v_mad_i64_i32 v[1:2], s[0:1], v7, s15, 0
	v_cmp_eq_u32_e64 s[0:1], s18, v10
	v_lshlrev_b64 v[1:2], 1, v[1:2]
	v_add_co_u32_e32 v7, vcc, v18, v1
	v_addc_co_u32_e32 v8, vcc, v19, v2, vcc
	global_load_dwordx4 v[1:4], v[7:8], off
	s_waitcnt vmcnt(0)
	v_lshrrev_b32_e32 v39, 16, v1
	v_lshrrev_b32_e32 v38, 16, v2
	;; [unrolled: 1-line block ×3, first 2 shown]
	s_and_saveexec_b64 s[12:13], s[0:1]
	s_cbranch_execz .LBB62_44
; %bb.43:                               ;   in Loop: Header=BB62_41 Depth=1
	v_cmp_gt_i32_e32 vcc, s33, v11
	v_cndmask_b32_e32 v1, 0, v1, vcc
	v_cmp_gt_i32_e32 vcc, s33, v28
	v_cndmask_b32_e32 v39, 0, v39, vcc
	;; [unrolled: 2-line block ×6, first 2 shown]
	v_cmp_gt_i32_e32 vcc, s33, v23
	v_cndmask_b32_sdwa v40, v17, v4, vcc dst_sel:DWORD dst_unused:UNUSED_PAD src0_sel:DWORD src1_sel:WORD_0
	v_and_b32_e32 v4, 0xffff0000, v4
	v_cmp_gt_i32_e32 vcc, s33, v22
	v_cndmask_b32_e32 v4, 0, v4, vcc
	v_or_b32_e32 v4, v40, v4
.LBB62_44:                              ;   in Loop: Header=BB62_41 Depth=1
	s_or_b64 exec, exec, s[12:13]
	v_and_b32_e32 v29, 0xffff, v29
	v_lshl_or_b32 v30, v30, 16, v29
	v_and_b32_e32 v29, 0xffff, v31
	v_lshl_or_b32 v31, v32, 16, v29
	v_and_b32_e32 v29, 0xffff, v33
	v_lshlrev_b32_e32 v33, 16, v39
	v_and_or_b32 v1, v1, s24, v33
	v_lshlrev_b32_e32 v33, 16, v38
	v_and_or_b32 v2, v2, s24, v33
	v_lshlrev_b32_e32 v33, 16, v37
	v_lshl_or_b32 v32, v34, 16, v29
	v_and_b32_e32 v29, 0xffff, v35
	v_and_or_b32 v3, v3, s24, v33
	;;#ASMSTART
	v_pk_mul_f16 v1, v30, v1;

	;;#ASMEND
	v_lshl_or_b32 v29, v36, 16, v29
	;;#ASMSTART
	v_pk_mul_f16 v2, v31, v2;

	;;#ASMEND
	;;#ASMSTART
	v_pk_mul_f16 v3, v32, v3;

	;;#ASMEND
	;; [unrolled: 4-line block ×3, first 2 shown]
	;;#ASMSTART
	v_pk_add_f16 v1, v1, v2;

	;;#ASMEND
	;;#ASMSTART
	v_pk_add_f16 v1, v1, v3;

	;;#ASMEND
	;; [unrolled: 4-line block ×3, first 2 shown]
	v_lshrrev_b32_e32 v2, 16, v1
	v_and_b32_e32 v1, 0xffff, v1
	;;#ASMSTART
	v_cvt_f32_f16 v33, v1;
	;;#ASMEND
	;;#ASMSTART
	v_cvt_f32_f16 v34, v2;
	;;#ASMEND
	global_load_dwordx4 v[1:4], v[7:8], off offset:1024
	s_waitcnt vmcnt(0)
	v_lshrrev_b32_e32 v37, 16, v1
	v_lshrrev_b32_e32 v36, 16, v2
	;; [unrolled: 1-line block ×3, first 2 shown]
	s_and_saveexec_b64 s[12:13], s[0:1]
	s_cbranch_execz .LBB62_46
; %bb.45:                               ;   in Loop: Header=BB62_41 Depth=1
	v_cmp_gt_i32_e32 vcc, s33, v11
	v_cndmask_b32_e32 v1, 0, v1, vcc
	v_cmp_gt_i32_e32 vcc, s33, v28
	v_cndmask_b32_e32 v37, 0, v37, vcc
	;; [unrolled: 2-line block ×6, first 2 shown]
	v_cmp_gt_i32_e32 vcc, s33, v23
	v_cndmask_b32_sdwa v38, v17, v4, vcc dst_sel:DWORD dst_unused:UNUSED_PAD src0_sel:DWORD src1_sel:WORD_0
	v_and_b32_e32 v4, 0xffff0000, v4
	v_cmp_gt_i32_e32 vcc, s33, v22
	v_cndmask_b32_e32 v4, 0, v4, vcc
	v_or_b32_e32 v4, v38, v4
.LBB62_46:                              ;   in Loop: Header=BB62_41 Depth=1
	s_or_b64 exec, exec, s[12:13]
	v_lshlrev_b32_e32 v37, 16, v37
	v_and_or_b32 v1, v1, s24, v37
	v_lshlrev_b32_e32 v36, 16, v36
	v_lshlrev_b32_e32 v35, 16, v35
	v_and_or_b32 v2, v2, s24, v36
	v_and_or_b32 v3, v3, s24, v35
	;;#ASMSTART
	v_pk_mul_f16 v1, v30, v1;

	;;#ASMEND
	;;#ASMSTART
	v_pk_mul_f16 v2, v31, v2;

	;;#ASMEND
	;; [unrolled: 4-line block ×4, first 2 shown]
	;;#ASMSTART
	v_pk_add_f16 v1, v1, v2;

	;;#ASMEND
	;;#ASMSTART
	v_pk_add_f16 v1, v1, v3;

	;;#ASMEND
	;; [unrolled: 4-line block ×3, first 2 shown]
	v_lshrrev_b32_e32 v2, 16, v1
	v_and_b32_e32 v1, 0xffff, v1
	;;#ASMSTART
	v_cvt_f32_f16 v35, v1;
	;;#ASMEND
	;;#ASMSTART
	v_cvt_f32_f16 v36, v2;
	;;#ASMEND
	global_load_dwordx4 v[1:4], v[7:8], off offset:2048
	s_waitcnt vmcnt(0)
	v_lshrrev_b32_e32 v39, 16, v1
	v_lshrrev_b32_e32 v38, 16, v2
	;; [unrolled: 1-line block ×3, first 2 shown]
	s_and_saveexec_b64 s[12:13], s[0:1]
	s_cbranch_execz .LBB62_48
; %bb.47:                               ;   in Loop: Header=BB62_41 Depth=1
	v_cmp_gt_i32_e32 vcc, s33, v11
	v_cndmask_b32_e32 v1, 0, v1, vcc
	v_cmp_gt_i32_e32 vcc, s33, v28
	v_cndmask_b32_e32 v39, 0, v39, vcc
	;; [unrolled: 2-line block ×6, first 2 shown]
	v_cmp_gt_i32_e32 vcc, s33, v23
	v_cndmask_b32_sdwa v40, v17, v4, vcc dst_sel:DWORD dst_unused:UNUSED_PAD src0_sel:DWORD src1_sel:WORD_0
	v_and_b32_e32 v4, 0xffff0000, v4
	v_cmp_gt_i32_e32 vcc, s33, v22
	v_cndmask_b32_e32 v4, 0, v4, vcc
	v_or_b32_e32 v4, v40, v4
.LBB62_48:                              ;   in Loop: Header=BB62_41 Depth=1
	s_or_b64 exec, exec, s[12:13]
	v_lshlrev_b32_e32 v39, 16, v39
	v_and_or_b32 v1, v1, s24, v39
	v_lshlrev_b32_e32 v38, 16, v38
	v_lshlrev_b32_e32 v37, 16, v37
	v_and_or_b32 v2, v2, s24, v38
	v_and_or_b32 v3, v3, s24, v37
	;;#ASMSTART
	v_pk_mul_f16 v1, v30, v1;

	;;#ASMEND
	;;#ASMSTART
	v_pk_mul_f16 v2, v31, v2;

	;;#ASMEND
	;; [unrolled: 4-line block ×4, first 2 shown]
	;;#ASMSTART
	v_pk_add_f16 v1, v1, v2;

	;;#ASMEND
	;;#ASMSTART
	v_pk_add_f16 v1, v1, v3;

	;;#ASMEND
	;; [unrolled: 4-line block ×3, first 2 shown]
	v_lshrrev_b32_e32 v2, 16, v1
	v_and_b32_e32 v1, 0xffff, v1
	;;#ASMSTART
	v_cvt_f32_f16 v37, v1;
	;;#ASMEND
	;;#ASMSTART
	v_cvt_f32_f16 v38, v2;
	;;#ASMEND
	global_load_dwordx4 v[1:4], v[7:8], off offset:3072
	s_waitcnt vmcnt(0)
	v_lshrrev_b32_e32 v39, 16, v1
	v_lshrrev_b32_e32 v8, 16, v2
	;; [unrolled: 1-line block ×3, first 2 shown]
	s_and_saveexec_b64 s[12:13], s[0:1]
	s_cbranch_execz .LBB62_39
; %bb.49:                               ;   in Loop: Header=BB62_41 Depth=1
	v_cmp_gt_i32_e32 vcc, s33, v11
	v_cndmask_b32_e32 v1, 0, v1, vcc
	v_cmp_gt_i32_e32 vcc, s33, v28
	v_cndmask_b32_e32 v39, 0, v39, vcc
	;; [unrolled: 2-line block ×6, first 2 shown]
	v_cmp_gt_i32_e32 vcc, s33, v23
	v_cndmask_b32_sdwa v23, v17, v4, vcc dst_sel:DWORD dst_unused:UNUSED_PAD src0_sel:DWORD src1_sel:WORD_0
	v_and_b32_e32 v4, 0xffff0000, v4
	v_cmp_gt_i32_e32 vcc, s33, v22
	v_cndmask_b32_e32 v4, 0, v4, vcc
	v_or_b32_e32 v4, v23, v4
	s_branch .LBB62_39
.LBB62_50:
	s_or_b64 exec, exec, s[4:5]
.LBB62_51:
	s_or_b64 exec, exec, s[2:3]
	v_and_b32_e32 v1, 0x3c0, v0
	v_cmp_eq_u32_e32 vcc, 64, v1
	s_barrier
	s_and_saveexec_b64 s[0:1], vcc
	s_cbranch_execz .LBB62_53
; %bb.52:
	v_mov_b32_e32 v1, 0x210
	v_lshl_add_u32 v1, v12, 2, v1
	ds_write2st64_b32 v1, v16, v15 offset1:1
	ds_write2st64_b32 v1, v14, v13 offset0:2 offset1:3
.LBB62_53:
	s_or_b64 exec, exec, s[0:1]
	v_cmp_gt_u32_e32 vcc, 64, v0
	s_waitcnt lgkmcnt(0)
	s_barrier
	s_and_saveexec_b64 s[0:1], vcc
	s_cbranch_execz .LBB62_55
; %bb.54:
	v_mov_b32_e32 v1, 0x210
	v_lshl_add_u32 v2, v0, 2, v1
	ds_read2st64_b32 v[0:1], v2 offset1:1
	ds_read2st64_b32 v[2:3], v2 offset0:2 offset1:3
	s_waitcnt lgkmcnt(1)
	v_add_f32_e32 v16, v16, v0
	v_add_f32_e32 v15, v15, v1
	s_waitcnt lgkmcnt(0)
	v_add_f32_e32 v14, v14, v2
	v_add_f32_e32 v13, v13, v3
.LBB62_55:
	s_or_b64 exec, exec, s[0:1]
	s_barrier
	s_and_saveexec_b64 s[0:1], vcc
	s_cbranch_execz .LBB62_57
; %bb.56:
	s_mul_i32 s0, s10, s11
	s_mul_i32 s0, s0, s9
	s_lshl_b32 s0, s0, 8
	s_ashr_i32 s1, s0, 31
	s_lshl_b64 s[0:1], s[0:1], 1
	s_add_u32 s2, s22, s0
	s_mul_i32 s0, s11, s20
	s_addc_u32 s3, s23, s1
	s_ashr_i32 s1, s0, 31
	s_lshl_b64 s[0:1], s[0:1], 1
	s_add_u32 s2, s2, s0
	s_addc_u32 s3, s3, s1
	s_lshl_b32 s0, s8, 8
	s_ashr_i32 s1, s0, 31
	s_lshl_b64 s[0:1], s[0:1], 1
	s_add_u32 s0, s2, s0
	s_addc_u32 s1, s3, s1
	;;#ASMSTART
	v_cvt_f16_f32 v0, v16;

	;;#ASMEND
	global_store_short v9, v0, s[0:1]
	;;#ASMSTART
	v_cvt_f16_f32 v0, v15;

	;;#ASMEND
	global_store_short v9, v0, s[0:1] offset:128
	;;#ASMSTART
	v_cvt_f16_f32 v0, v14;

	;;#ASMEND
	global_store_short v9, v0, s[0:1] offset:256
	;;#ASMSTART
	v_cvt_f16_f32 v0, v13;

	;;#ASMEND
	global_store_short v9, v0, s[0:1] offset:384
.LBB62_57:
	s_endpgm
	.section	.rodata,"a",@progbits
	.p2align	6, 0x0
	.amdhsa_kernel _ZN4vllm25paged_attention_v1_kernelIttLi256ELi8ELi128ELNS_18Fp8KVCacheDataTypeE0ELb1EEEvPT_PKS2_PKT0_S8_ifPKiSA_iPKfiiiSC_SC_iiiii
		.amdhsa_group_segment_fixed_size 528
		.amdhsa_private_segment_fixed_size 0
		.amdhsa_kernarg_size 384
		.amdhsa_user_sgpr_count 6
		.amdhsa_user_sgpr_private_segment_buffer 1
		.amdhsa_user_sgpr_dispatch_ptr 0
		.amdhsa_user_sgpr_queue_ptr 0
		.amdhsa_user_sgpr_kernarg_segment_ptr 1
		.amdhsa_user_sgpr_dispatch_id 0
		.amdhsa_user_sgpr_flat_scratch_init 0
		.amdhsa_user_sgpr_private_segment_size 0
		.amdhsa_uses_dynamic_stack 0
		.amdhsa_system_sgpr_private_segment_wavefront_offset 0
		.amdhsa_system_sgpr_workgroup_id_x 1
		.amdhsa_system_sgpr_workgroup_id_y 1
		.amdhsa_system_sgpr_workgroup_id_z 1
		.amdhsa_system_sgpr_workgroup_info 0
		.amdhsa_system_vgpr_workitem_id 0
		.amdhsa_next_free_vgpr 57
		.amdhsa_next_free_sgpr 44
		.amdhsa_reserve_vcc 1
		.amdhsa_reserve_flat_scratch 0
		.amdhsa_float_round_mode_32 0
		.amdhsa_float_round_mode_16_64 0
		.amdhsa_float_denorm_mode_32 3
		.amdhsa_float_denorm_mode_16_64 3
		.amdhsa_dx10_clamp 1
		.amdhsa_ieee_mode 1
		.amdhsa_fp16_overflow 0
		.amdhsa_exception_fp_ieee_invalid_op 0
		.amdhsa_exception_fp_denorm_src 0
		.amdhsa_exception_fp_ieee_div_zero 0
		.amdhsa_exception_fp_ieee_overflow 0
		.amdhsa_exception_fp_ieee_underflow 0
		.amdhsa_exception_fp_ieee_inexact 0
		.amdhsa_exception_int_div_zero 0
	.end_amdhsa_kernel
	.section	.text._ZN4vllm25paged_attention_v1_kernelIttLi256ELi8ELi128ELNS_18Fp8KVCacheDataTypeE0ELb1EEEvPT_PKS2_PKT0_S8_ifPKiSA_iPKfiiiSC_SC_iiiii,"axG",@progbits,_ZN4vllm25paged_attention_v1_kernelIttLi256ELi8ELi128ELNS_18Fp8KVCacheDataTypeE0ELb1EEEvPT_PKS2_PKT0_S8_ifPKiSA_iPKfiiiSC_SC_iiiii,comdat
.Lfunc_end62:
	.size	_ZN4vllm25paged_attention_v1_kernelIttLi256ELi8ELi128ELNS_18Fp8KVCacheDataTypeE0ELb1EEEvPT_PKS2_PKT0_S8_ifPKiSA_iPKfiiiSC_SC_iiiii, .Lfunc_end62-_ZN4vllm25paged_attention_v1_kernelIttLi256ELi8ELi128ELNS_18Fp8KVCacheDataTypeE0ELb1EEEvPT_PKS2_PKT0_S8_ifPKiSA_iPKfiiiSC_SC_iiiii
                                        ; -- End function
	.set _ZN4vllm25paged_attention_v1_kernelIttLi256ELi8ELi128ELNS_18Fp8KVCacheDataTypeE0ELb1EEEvPT_PKS2_PKT0_S8_ifPKiSA_iPKfiiiSC_SC_iiiii.num_vgpr, 57
	.set _ZN4vllm25paged_attention_v1_kernelIttLi256ELi8ELi128ELNS_18Fp8KVCacheDataTypeE0ELb1EEEvPT_PKS2_PKT0_S8_ifPKiSA_iPKfiiiSC_SC_iiiii.num_agpr, 0
	.set _ZN4vllm25paged_attention_v1_kernelIttLi256ELi8ELi128ELNS_18Fp8KVCacheDataTypeE0ELb1EEEvPT_PKS2_PKT0_S8_ifPKiSA_iPKfiiiSC_SC_iiiii.numbered_sgpr, 44
	.set _ZN4vllm25paged_attention_v1_kernelIttLi256ELi8ELi128ELNS_18Fp8KVCacheDataTypeE0ELb1EEEvPT_PKS2_PKT0_S8_ifPKiSA_iPKfiiiSC_SC_iiiii.num_named_barrier, 0
	.set _ZN4vllm25paged_attention_v1_kernelIttLi256ELi8ELi128ELNS_18Fp8KVCacheDataTypeE0ELb1EEEvPT_PKS2_PKT0_S8_ifPKiSA_iPKfiiiSC_SC_iiiii.private_seg_size, 0
	.set _ZN4vllm25paged_attention_v1_kernelIttLi256ELi8ELi128ELNS_18Fp8KVCacheDataTypeE0ELb1EEEvPT_PKS2_PKT0_S8_ifPKiSA_iPKfiiiSC_SC_iiiii.uses_vcc, 1
	.set _ZN4vllm25paged_attention_v1_kernelIttLi256ELi8ELi128ELNS_18Fp8KVCacheDataTypeE0ELb1EEEvPT_PKS2_PKT0_S8_ifPKiSA_iPKfiiiSC_SC_iiiii.uses_flat_scratch, 0
	.set _ZN4vllm25paged_attention_v1_kernelIttLi256ELi8ELi128ELNS_18Fp8KVCacheDataTypeE0ELb1EEEvPT_PKS2_PKT0_S8_ifPKiSA_iPKfiiiSC_SC_iiiii.has_dyn_sized_stack, 0
	.set _ZN4vllm25paged_attention_v1_kernelIttLi256ELi8ELi128ELNS_18Fp8KVCacheDataTypeE0ELb1EEEvPT_PKS2_PKT0_S8_ifPKiSA_iPKfiiiSC_SC_iiiii.has_recursion, 0
	.set _ZN4vllm25paged_attention_v1_kernelIttLi256ELi8ELi128ELNS_18Fp8KVCacheDataTypeE0ELb1EEEvPT_PKS2_PKT0_S8_ifPKiSA_iPKfiiiSC_SC_iiiii.has_indirect_call, 0
	.section	.AMDGPU.csdata,"",@progbits
; Kernel info:
; codeLenInByte = 5736
; TotalNumSgprs: 48
; NumVgprs: 57
; ScratchSize: 0
; MemoryBound: 0
; FloatMode: 240
; IeeeMode: 1
; LDSByteSize: 528 bytes/workgroup (compile time only)
; SGPRBlocks: 5
; VGPRBlocks: 14
; NumSGPRsForWavesPerEU: 48
; NumVGPRsForWavesPerEU: 57
; Occupancy: 4
; WaveLimiterHint : 1
; COMPUTE_PGM_RSRC2:SCRATCH_EN: 0
; COMPUTE_PGM_RSRC2:USER_SGPR: 6
; COMPUTE_PGM_RSRC2:TRAP_HANDLER: 0
; COMPUTE_PGM_RSRC2:TGID_X_EN: 1
; COMPUTE_PGM_RSRC2:TGID_Y_EN: 1
; COMPUTE_PGM_RSRC2:TGID_Z_EN: 1
; COMPUTE_PGM_RSRC2:TIDIG_COMP_CNT: 0
	.section	.text._ZN4vllm25paged_attention_v1_kernelIttLi32ELi8ELi128ELNS_18Fp8KVCacheDataTypeE0ELb0EEEvPT_PKS2_PKT0_S8_ifPKiSA_iPKfiiiSC_SC_iiiii,"axG",@progbits,_ZN4vllm25paged_attention_v1_kernelIttLi32ELi8ELi128ELNS_18Fp8KVCacheDataTypeE0ELb0EEEvPT_PKS2_PKT0_S8_ifPKiSA_iPKfiiiSC_SC_iiiii,comdat
	.protected	_ZN4vllm25paged_attention_v1_kernelIttLi32ELi8ELi128ELNS_18Fp8KVCacheDataTypeE0ELb0EEEvPT_PKS2_PKT0_S8_ifPKiSA_iPKfiiiSC_SC_iiiii ; -- Begin function _ZN4vllm25paged_attention_v1_kernelIttLi32ELi8ELi128ELNS_18Fp8KVCacheDataTypeE0ELb0EEEvPT_PKS2_PKT0_S8_ifPKiSA_iPKfiiiSC_SC_iiiii
	.globl	_ZN4vllm25paged_attention_v1_kernelIttLi32ELi8ELi128ELNS_18Fp8KVCacheDataTypeE0ELb0EEEvPT_PKS2_PKT0_S8_ifPKiSA_iPKfiiiSC_SC_iiiii
	.p2align	8
	.type	_ZN4vllm25paged_attention_v1_kernelIttLi32ELi8ELi128ELNS_18Fp8KVCacheDataTypeE0ELb0EEEvPT_PKS2_PKT0_S8_ifPKiSA_iPKfiiiSC_SC_iiiii,@function
_ZN4vllm25paged_attention_v1_kernelIttLi32ELi8ELi128ELNS_18Fp8KVCacheDataTypeE0ELb0EEEvPT_PKS2_PKT0_S8_ifPKiSA_iPKfiiiSC_SC_iiiii: ; @_ZN4vllm25paged_attention_v1_kernelIttLi32ELi8ELi128ELNS_18Fp8KVCacheDataTypeE0ELb0EEEvPT_PKS2_PKT0_S8_ifPKiSA_iPKfiiiSC_SC_iiiii
; %bb.0:
	s_load_dword s9, s[4:5], 0x80
	s_load_dwordx2 s[0:1], s[4:5], 0x30
	s_load_dwordx2 s[26:27], s[4:5], 0x20
	s_mov_b32 s10, s7
	s_ashr_i32 s11, s7, 31
	s_lshl_b64 s[2:3], s[10:11], 2
	s_waitcnt lgkmcnt(0)
	s_add_u32 s0, s0, s2
	s_addc_u32 s1, s1, s3
	s_abs_i32 s2, s26
	v_cvt_f32_u32_e32 v1, s2
	s_sub_i32 s11, 0, s2
	s_abs_i32 s7, s9
	s_xor_b32 s3, s9, s26
	v_rcp_iflag_f32_e32 v1, v1
	s_ashr_i32 s3, s3, 31
	s_mov_b32 s26, 0
	v_mul_f32_e32 v1, 0x4f7ffffe, v1
	v_cvt_u32_f32_e32 v1, v1
	v_readfirstlane_b32 s12, v1
	s_mul_i32 s11, s11, s12
	s_mul_hi_u32 s11, s12, s11
	s_add_i32 s12, s12, s11
	s_mul_hi_u32 s11, s7, s12
	s_mul_i32 s12, s11, s2
	s_sub_i32 s7, s7, s12
	s_add_i32 s12, s11, 1
	s_sub_i32 s13, s7, s2
	s_cmp_ge_u32 s7, s2
	s_cselect_b32 s11, s12, s11
	s_cselect_b32 s7, s13, s7
	s_add_i32 s12, s11, 1
	s_cmp_ge_u32 s7, s2
	s_cselect_b32 s2, s12, s11
	s_xor_b32 s2, s2, s3
	s_sub_i32 s16, s2, s3
	s_abs_i32 s18, s16
	v_cvt_f32_u32_e32 v1, s18
	s_load_dwordx2 s[2:3], s[4:5], 0x40
	s_sub_i32 s7, 0, s18
	s_abs_i32 s19, s6
	v_rcp_iflag_f32_e32 v1, v1
	v_mul_f32_e32 v1, 0x4f7ffffe, v1
	v_cvt_u32_f32_e32 v1, v1
	v_readfirstlane_b32 s11, v1
	s_mul_i32 s7, s7, s11
	s_mul_hi_u32 s7, s11, s7
	s_add_i32 s11, s11, s7
	s_waitcnt lgkmcnt(0)
	s_cmp_eq_u64 s[2:3], 0
	s_mul_hi_u32 s22, s19, s11
	s_cbranch_scc1 .LBB63_2
; %bb.1:
	s_ashr_i32 s7, s6, 31
	s_lshl_b64 s[12:13], s[6:7], 2
	s_add_u32 s2, s2, s12
	s_addc_u32 s3, s3, s13
	s_load_dword s26, s[2:3], 0x0
.LBB63_2:
	s_load_dword s11, s[0:1], 0x0
	s_load_dwordx4 s[12:15], s[4:5], 0x48
	s_ashr_i32 s2, s6, 31
	s_ashr_i32 s3, s16, 31
	v_and_b32_e32 v1, 7, v0
	s_lshl_b32 s16, s6, 5
	v_cmp_gt_u32_e32 vcc, 32, v0
	s_and_saveexec_b64 s[0:1], vcc
	s_cbranch_execz .LBB63_4
; %bb.3:
	s_load_dwordx2 s[6:7], s[4:5], 0x8
	s_waitcnt lgkmcnt(0)
	s_mul_i32 s20, s12, s10
	s_ashr_i32 s21, s20, 31
	s_lshl_b64 s[20:21], s[20:21], 1
	v_lshlrev_b32_e32 v2, 1, v0
	s_add_u32 s12, s6, s20
	s_addc_u32 s15, s7, s21
	s_ashr_i32 s17, s16, 31
	s_lshl_b64 s[6:7], s[16:17], 1
	s_add_u32 s6, s12, s6
	s_addc_u32 s7, s15, s7
	global_load_ushort v2, v2, s[6:7]
	v_lshrrev_b32_e32 v3, 2, v0
	v_and_b32_e32 v3, 0xfe, v3
	v_lshl_add_u32 v3, v1, 3, v3
	s_waitcnt vmcnt(0)
	ds_write_b16 v3, v2
.LBB63_4:
	s_or_b64 exec, exec, s[0:1]
	s_waitcnt lgkmcnt(0)
	s_add_i32 s1, s11, 7
	s_ashr_i32 s6, s1, 31
	s_lshr_b32 s6, s6, 29
	s_add_i32 s1, s1, s6
	s_ashr_i32 s33, s1, 3
	s_xor_b32 s1, s2, s3
	s_mul_i32 s2, s22, s18
	s_sub_i32 s2, s19, s2
	s_add_i32 s3, s22, 1
	s_sub_i32 s6, s2, s18
	s_load_dwordx2 s[20:21], s[4:5], 0x28
	s_load_dword s0, s[4:5], 0x38
	s_cmp_ge_u32 s2, s18
	s_cselect_b32 s3, s3, s22
	s_cselect_b32 s2, s6, s2
	s_add_i32 s6, s3, 1
	s_cmp_ge_u32 s2, s18
	s_cselect_b32 s2, s6, s3
	v_lshrrev_b32_e32 v7, 6, v0
	s_xor_b32 s2, s2, s1
	s_waitcnt lgkmcnt(0)
	s_mul_i32 s22, s0, s10
	s_sub_i32 s12, s2, s1
	s_ashr_i32 s23, s22, 31
	v_cmp_gt_i32_e64 s[0:1], s33, v7
	v_cmp_le_i32_e32 vcc, s33, v7
	v_mbcnt_lo_u32_b32 v14, -1, 0
	s_barrier
                                        ; implicit-def: $vgpr4
                                        ; implicit-def: $vgpr6
                                        ; implicit-def: $vgpr5
	s_and_saveexec_b64 s[2:3], vcc
	s_xor_b64 s[2:3], exec, s[2:3]
; %bb.5:
	v_mbcnt_hi_u32_b32 v4, -1, v14
	v_and_b32_e32 v6, 64, v4
	v_add_u32_e32 v5, 64, v6
                                        ; implicit-def: $vgpr1
                                        ; implicit-def: $vgpr14
; %bb.6:
	s_or_saveexec_b64 s[6:7], s[2:3]
	s_load_dwordx2 s[18:19], s[4:5], 0x0
	s_load_dwordx2 s[24:25], s[4:5], 0x18
	s_load_dword s17, s[4:5], 0x88
	v_mov_b32_e32 v8, 0xff7fffff
	s_mul_i32 s14, s12, s14
	v_lshrrev_b32_e32 v3, 4, v0
	s_xor_b64 exec, exec, s[6:7]
	s_cbranch_execz .LBB63_12
; %bb.7:
	s_load_dwordx2 s[2:3], s[4:5], 0x10
	s_ashr_i32 s15, s14, 31
	s_lshl_b64 s[4:5], s[14:15], 1
	v_bfe_u32 v2, v0, 3, 3
	v_lshlrev_b32_e32 v4, 4, v2
	s_waitcnt lgkmcnt(0)
	s_add_u32 s2, s2, s4
	s_addc_u32 s3, s3, s5
	v_mov_b32_e32 v5, s3
	v_add_co_u32_e32 v4, vcc, s2, v4
	v_addc_co_u32_e32 v5, vcc, 0, v5, vcc
	v_lshlrev_b32_e32 v6, 1, v1
	v_add_co_u32_e32 v9, vcc, v4, v6
	v_addc_co_u32_e32 v10, vcc, 0, v5, vcc
	v_lshlrev_b32_e32 v11, 3, v1
	v_cmp_eq_u32_e32 vcc, 0, v1
	s_sub_i32 s15, 1, s11
	v_lshlrev_b32_e32 v1, 2, v2
	s_lshl_b64 s[4:5], s[22:23], 2
	v_lshl_or_b32 v1, v7, 5, v1
	s_add_u32 s4, s20, s4
	v_add_u32_e32 v13, 0x50, v1
	v_and_b32_e32 v1, 60, v3
	s_addc_u32 s5, s21, s5
	v_mbcnt_hi_u32_b32 v4, -1, v14
	v_lshl_or_b32 v12, v7, 3, v2
	v_mov_b32_e32 v2, s5
	v_add_co_u32_e64 v1, s[4:5], s4, v1
	v_and_b32_e32 v6, 64, v4
	s_mov_b32 s12, s13
	v_cmp_neq_f32_e64 s[2:3], s26, 0
	v_addc_co_u32_e64 v2, s[4:5], 0, v2, s[4:5]
	v_mov_b32_e32 v8, 0xff7fffff
	s_mov_b64 s[28:29], 0
	v_add_u32_e32 v5, 64, v6
	v_xor_b32_e32 v14, 4, v4
	v_xor_b32_e32 v15, 2, v4
	;; [unrolled: 1-line block ×3, first 2 shown]
	v_mov_b32_e32 v17, v7
	s_branch .LBB63_9
.LBB63_8:                               ;   in Loop: Header=BB63_9 Depth=1
	s_or_b64 exec, exec, s[30:31]
	v_add_u32_e32 v17, 2, v17
	v_cmp_le_i32_e64 s[4:5], s33, v17
	s_or_b64 s[28:29], s[4:5], s[28:29]
	v_add_co_u32_e64 v1, s[4:5], 8, v1
	v_add_u32_e32 v12, 16, v12
	v_add_u32_e32 v13, 64, v13
	v_addc_co_u32_e64 v2, s[4:5], 0, v2, s[4:5]
	s_andn2_b64 exec, exec, s[28:29]
	s_cbranch_execz .LBB63_11
.LBB63_9:                               ; =>This Inner Loop Header: Depth=1
	global_load_dword v18, v[1:2], off
	s_waitcnt vmcnt(0) lgkmcnt(0)
	v_mad_i64_i32 v[18:19], s[4:5], v18, s12, 0
	v_lshlrev_b64 v[18:19], 1, v[18:19]
	v_add_co_u32_e64 v18, s[4:5], v9, v18
	v_addc_co_u32_e64 v19, s[4:5], v10, v19, s[4:5]
	global_load_ushort v20, v[18:19], off
	global_load_ushort v21, v[18:19], off offset:128
	global_load_ushort v24, v[18:19], off offset:256
	;; [unrolled: 1-line block ×3, first 2 shown]
	ds_read_u16 v18, v11
	s_waitcnt lgkmcnt(0)
	;;#ASMSTART
	v_cvt_f32_f16 v18, v18;
	;;#ASMEND
	v_cmp_lt_i32_e64 s[4:5], v14, v5
	v_cndmask_b32_e64 v22, v4, v14, s[4:5]
	v_lshlrev_b32_e32 v22, 2, v22
	v_cmp_lt_i32_e64 s[4:5], v15, v5
	s_waitcnt vmcnt(3)
	;;#ASMSTART
	v_cvt_f32_f16 v19, v20;
	;;#ASMEND
	ds_read_u16 v20, v11 offset:2
	s_waitcnt lgkmcnt(0)
	;;#ASMSTART
	v_cvt_f32_f16 v20, v20;
	;;#ASMEND
	s_waitcnt vmcnt(2)
	;;#ASMSTART
	v_cvt_f32_f16 v21, v21;
	;;#ASMEND
	v_mul_f32_e32 v20, v20, v21
	ds_read_u16 v23, v11 offset:4
	v_fmac_f32_e32 v20, v18, v19
	s_waitcnt lgkmcnt(0)
	;;#ASMSTART
	v_cvt_f32_f16 v23, v23;
	;;#ASMEND
	s_waitcnt vmcnt(1)
	;;#ASMSTART
	v_cvt_f32_f16 v24, v24;
	;;#ASMEND
	v_fmac_f32_e32 v20, v23, v24
	ds_read_u16 v26, v11 offset:6
	s_waitcnt lgkmcnt(0)
	;;#ASMSTART
	v_cvt_f32_f16 v18, v26;
	;;#ASMEND
	s_waitcnt vmcnt(0)
	;;#ASMSTART
	v_cvt_f32_f16 v19, v25;
	;;#ASMEND
	v_fmac_f32_e32 v20, v18, v19
	ds_bpermute_b32 v18, v22, v20
	v_cndmask_b32_e64 v19, v4, v15, s[4:5]
	v_lshlrev_b32_e32 v19, 2, v19
	v_cmp_lt_i32_e64 s[4:5], v16, v5
	s_waitcnt lgkmcnt(0)
	v_add_f32_e32 v18, v20, v18
	ds_bpermute_b32 v19, v19, v18
	v_cndmask_b32_e64 v20, v4, v16, s[4:5]
	s_waitcnt lgkmcnt(0)
	v_add_f32_e32 v18, v18, v19
	v_lshlrev_b32_e32 v19, 2, v20
	ds_bpermute_b32 v19, v19, v18
	s_and_saveexec_b64 s[30:31], vcc
	s_cbranch_execz .LBB63_8
; %bb.10:                               ;   in Loop: Header=BB63_9 Depth=1
	v_add_u32_e32 v20, s15, v12
	v_cvt_f32_i32_e32 v20, v20
	s_waitcnt lgkmcnt(0)
	v_add_f32_e32 v18, v18, v19
	v_cmp_gt_i32_e64 s[4:5], s11, v12
	v_max_f32_e32 v19, v8, v8
	v_mul_f32_e32 v20, s26, v20
	v_cndmask_b32_e64 v20, 0, v20, s[2:3]
	v_fmac_f32_e32 v20, s27, v18
	v_cndmask_b32_e64 v18, 0, v20, s[4:5]
	ds_write_b32 v13, v18
	v_max_f32_e32 v18, v19, v20
	v_cndmask_b32_e64 v8, v8, v18, s[4:5]
	s_branch .LBB63_8
.LBB63_11:
	s_or_b64 exec, exec, s[28:29]
.LBB63_12:
	s_or_b64 exec, exec, s[6:7]
	v_xor_b32_e32 v1, 32, v4
	v_cmp_lt_i32_e32 vcc, v1, v5
	v_cndmask_b32_e32 v1, v4, v1, vcc
	v_lshlrev_b32_e32 v2, 2, v1
	ds_bpermute_b32 v1, v2, v8
	v_xor_b32_e32 v9, 16, v4
	v_max_f32_e32 v8, v8, v8
	v_cmp_lt_i32_e32 vcc, v9, v5
	v_xor_b32_e32 v11, 8, v4
	s_waitcnt lgkmcnt(0)
	v_max_f32_e32 v1, v1, v1
	v_max_f32_e32 v1, v8, v1
	v_cndmask_b32_e32 v8, v4, v9, vcc
	v_lshlrev_b32_e32 v10, 2, v8
	ds_bpermute_b32 v8, v10, v1
	v_cmp_lt_i32_e32 vcc, v11, v5
	s_waitcnt lgkmcnt(0)
	v_max_f32_e32 v8, v8, v8
	v_max_f32_e32 v9, v1, v8
	v_cndmask_b32_e32 v1, v4, v11, vcc
	v_lshlrev_b32_e32 v12, 2, v1
	ds_bpermute_b32 v11, v12, v9
	v_and_b32_e32 v8, 63, v0
	v_cmp_eq_u32_e32 vcc, 0, v8
	v_lshlrev_b32_e32 v1, 2, v7
	s_and_saveexec_b64 s[2:3], vcc
	s_cbranch_execz .LBB63_14
; %bb.13:
	s_waitcnt lgkmcnt(0)
	v_max_f32_e32 v11, v11, v11
	v_max_f32_e32 v9, v9, v9
	;; [unrolled: 1-line block ×3, first 2 shown]
	ds_write_b32 v1, v9 offset:64
.LBB63_14:
	s_or_b64 exec, exec, s[2:3]
	v_cmp_gt_u32_e64 s[2:3], 2, v8
	v_mov_b32_e32 v13, 0xff7fffff
	v_lshlrev_b32_e32 v9, 2, v8
	s_waitcnt lgkmcnt(0)
	s_barrier
	s_and_saveexec_b64 s[4:5], s[2:3]
; %bb.15:
	ds_read_b32 v13, v9 offset:64
; %bb.16:
	s_or_b64 exec, exec, s[4:5]
	v_xor_b32_e32 v11, 1, v4
	v_cmp_lt_i32_e64 s[4:5], v11, v5
	v_cndmask_b32_e64 v11, v4, v11, s[4:5]
	v_lshlrev_b32_e32 v11, 2, v11
	s_waitcnt lgkmcnt(0)
	ds_bpermute_b32 v14, v11, v13
	v_max_f32_e32 v13, v13, v13
	v_lshlrev_b32_e32 v6, 2, v6
	s_lshl_b32 s4, s33, 3
	s_min_i32 s12, s4, s11
	s_waitcnt lgkmcnt(0)
	v_max_f32_e32 v14, v14, v14
	v_max_f32_e32 v13, v13, v14
	ds_bpermute_b32 v13, v6, v13
	v_cmp_gt_i32_e64 s[4:5], s12, v0
	v_mov_b32_e32 v6, 0
	s_and_saveexec_b64 s[26:27], s[4:5]
	s_cbranch_execz .LBB63_20
; %bb.17:
	v_mov_b32_e32 v6, 0x50
	v_lshl_add_u32 v14, v0, 2, v6
	v_mov_b32_e32 v6, 0
	s_mov_b64 s[28:29], 0
	v_mov_b32_e32 v15, v0
.LBB63_18:                              ; =>This Inner Loop Header: Depth=1
	ds_read_b32 v16, v14
	v_add_u32_e32 v15, 0x80, v15
	v_cmp_le_i32_e64 s[6:7], s12, v15
	s_or_b64 s[28:29], s[6:7], s[28:29]
	s_waitcnt lgkmcnt(0)
	v_sub_f32_e32 v16, v16, v13
	v_mul_f32_e32 v16, 0x3fb8aa3b, v16
	v_exp_f32_e32 v16, v16
	ds_write_b32 v14, v16
	v_add_f32_e32 v6, v6, v16
	v_add_u32_e32 v14, 0x200, v14
	s_andn2_b64 exec, exec, s[28:29]
	s_cbranch_execnz .LBB63_18
; %bb.19:
	s_or_b64 exec, exec, s[28:29]
.LBB63_20:
	s_or_b64 exec, exec, s[26:27]
	ds_bpermute_b32 v2, v2, v6
	s_waitcnt lgkmcnt(0)
	v_add_f32_e32 v2, v6, v2
	ds_bpermute_b32 v6, v10, v2
	v_xor_b32_e32 v10, 4, v4
	v_cmp_lt_i32_e64 s[6:7], v10, v5
	v_cndmask_b32_e64 v10, v4, v10, s[6:7]
	v_lshlrev_b32_e32 v10, 2, v10
	s_waitcnt lgkmcnt(0)
	v_add_f32_e32 v2, v2, v6
	ds_bpermute_b32 v6, v12, v2
	s_waitcnt lgkmcnt(0)
	v_add_f32_e32 v2, v2, v6
	ds_bpermute_b32 v6, v10, v2
	v_xor_b32_e32 v10, 2, v4
	v_cmp_lt_i32_e64 s[6:7], v10, v5
	v_cndmask_b32_e64 v5, v4, v10, s[6:7]
	v_lshlrev_b32_e32 v5, 2, v5
	s_waitcnt lgkmcnt(0)
	v_add_f32_e32 v2, v2, v6
	ds_bpermute_b32 v5, v5, v2
	s_waitcnt lgkmcnt(0)
	v_add_f32_e32 v2, v2, v5
	ds_bpermute_b32 v5, v11, v2
	s_waitcnt lgkmcnt(0)
	v_add_f32_e32 v2, v2, v5
	s_and_saveexec_b64 s[6:7], vcc
; %bb.21:
	ds_write_b32 v1, v2 offset:72
; %bb.22:
	s_or_b64 exec, exec, s[6:7]
	s_waitcnt lgkmcnt(0)
	s_barrier
	s_and_saveexec_b64 s[6:7], s[2:3]
; %bb.23:
	ds_read_b32 v2, v9 offset:72
; %bb.24:
	s_or_b64 exec, exec, s[6:7]
	s_waitcnt lgkmcnt(0)
	ds_bpermute_b32 v1, v11, v2
	v_lshlrev_b32_e32 v4, 2, v4
	s_waitcnt lgkmcnt(0)
	v_add_f32_e32 v1, v2, v1
	v_and_b32_e32 v2, 0xffffff00, v4
	ds_bpermute_b32 v1, v2, v1
	s_and_saveexec_b64 s[2:3], s[4:5]
	s_cbranch_execz .LBB63_27
; %bb.25:
	s_waitcnt lgkmcnt(0)
	v_add_f32_e32 v2, 0x358637bd, v1
	v_div_scale_f32 v1, s[4:5], v2, v2, 1.0
	v_div_scale_f32 v4, vcc, 1.0, v2, 1.0
	s_mov_b64 s[4:5], 0
	v_rcp_f32_e32 v5, v1
	v_fma_f32 v6, -v1, v5, 1.0
	v_fmac_f32_e32 v5, v6, v5
	v_mul_f32_e32 v6, v4, v5
	v_fma_f32 v9, -v1, v6, v4
	v_fmac_f32_e32 v6, v9, v5
	v_fma_f32 v1, -v1, v6, v4
	v_div_fmas_f32 v4, v1, v5, v6
	v_mov_b32_e32 v1, 0x50
	v_lshl_add_u32 v1, v0, 2, v1
	v_div_fixup_f32 v2, v4, v2, 1.0
	v_mov_b32_e32 v4, v0
.LBB63_26:                              ; =>This Inner Loop Header: Depth=1
	ds_read_b32 v5, v1
	v_add_u32_e32 v4, 0x80, v4
	v_cmp_le_i32_e32 vcc, s12, v4
	s_or_b64 s[4:5], vcc, s[4:5]
	s_waitcnt lgkmcnt(0)
	v_mul_f32_e32 v5, v2, v5
	ds_write_b32 v1, v5
	v_add_u32_e32 v1, 0x200, v1
	s_andn2_b64 exec, exec, s[4:5]
	s_cbranch_execnz .LBB63_26
.LBB63_27:
	s_or_b64 exec, exec, s[2:3]
	v_mov_b32_e32 v9, 0
	s_waitcnt lgkmcnt(0)
	s_barrier
	s_and_saveexec_b64 s[2:3], s[0:1]
	s_cbranch_execz .LBB63_35
; %bb.28:
	s_ashr_i32 s15, s14, 31
	s_lshl_b64 s[0:1], s[14:15], 1
	s_add_u32 s4, s24, s0
	s_addc_u32 s5, s25, s1
	v_lshlrev_b32_e32 v1, 4, v8
	v_mov_b32_e32 v2, s5
	v_add_co_u32_e32 v11, vcc, s4, v1
	s_add_i32 s14, s33, -1
	s_lshl_b64 s[4:5], s[22:23], 2
	v_mov_b32_e32 v1, 0x50
	s_add_u32 s4, s20, s4
	v_addc_co_u32_e32 v12, vcc, 0, v2, vcc
	v_lshl_add_u32 v14, v7, 5, v1
	v_and_b32_e32 v1, 60, v3
	s_addc_u32 s5, s21, s5
	v_mov_b32_e32 v2, s5
	v_add_co_u32_e32 v5, vcc, s4, v1
	s_mov_b32 s26, s13
	v_cmp_gt_u32_e64 s[0:1], 32, v8
	v_mov_b32_e32 v10, 0
	v_lshl_or_b32 v13, v7, 3, 7
	v_addc_co_u32_e32 v6, vcc, 0, v2, vcc
	s_mov_b64 s[4:5], 0
	s_mov_b32 s15, 0xffff
	v_mov_b32_e32 v9, 0
	s_branch .LBB63_31
.LBB63_29:                              ;   in Loop: Header=BB63_31 Depth=1
	s_or_b64 exec, exec, s[12:13]
	v_and_b32_e32 v15, 0xffff, v15
	v_lshl_or_b32 v15, v16, 16, v15
	v_and_b32_e32 v16, 0xffff, v17
	v_and_b32_e32 v17, 0xffff, v19
	v_lshlrev_b32_e32 v19, 16, v25
	v_and_or_b32 v1, v1, s15, v19
	v_lshlrev_b32_e32 v19, 16, v24
	v_and_or_b32 v2, v2, s15, v19
	v_lshlrev_b32_e32 v19, 16, v23
	v_lshl_or_b32 v16, v18, 16, v16
	v_and_b32_e32 v18, 0xffff, v21
	v_and_or_b32 v3, v3, s15, v19
	;;#ASMSTART
	v_pk_mul_f16 v1, v15, v1;

	;;#ASMEND
	v_lshl_or_b32 v17, v20, 16, v17
	v_lshl_or_b32 v18, v22, 16, v18
	;;#ASMSTART
	v_pk_mul_f16 v2, v16, v2;

	;;#ASMEND
	;;#ASMSTART
	v_pk_mul_f16 v3, v17, v3;

	;;#ASMEND
	;;#ASMSTART
	v_pk_mul_f16 v4, v18, v4;

	;;#ASMEND
	;;#ASMSTART
	v_pk_add_f16 v1, v1, v2;

	;;#ASMEND
	;;#ASMSTART
	v_pk_add_f16 v1, v1, v3;

	;;#ASMEND
	;; [unrolled: 4-line block ×3, first 2 shown]
	v_lshrrev_b32_e32 v2, 16, v1
	v_and_b32_e32 v1, 0xffff, v1
	;;#ASMSTART
	v_cvt_f32_f16 v1, v1;
	;;#ASMEND
	;;#ASMSTART
	v_cvt_f32_f16 v2, v2;
	;;#ASMEND
	v_add_f32_e32 v1, v1, v2
	v_add_f32_e32 v9, v9, v1
.LBB63_30:                              ;   in Loop: Header=BB63_31 Depth=1
	s_or_b64 exec, exec, s[6:7]
	v_add_u32_e32 v7, 2, v7
	v_cmp_le_i32_e32 vcc, s33, v7
	s_or_b64 s[4:5], vcc, s[4:5]
	v_add_co_u32_e32 v5, vcc, 8, v5
	v_add_u32_e32 v13, 16, v13
	v_add_u32_e32 v14, 64, v14
	v_addc_co_u32_e32 v6, vcc, 0, v6, vcc
	s_andn2_b64 exec, exec, s[4:5]
	s_cbranch_execz .LBB63_34
.LBB63_31:                              ; =>This Inner Loop Header: Depth=1
	ds_read2_b64 v[1:4], v14 offset1:1
	ds_read2_b64 v[19:22], v14 offset0:2 offset1:3
	s_waitcnt lgkmcnt(1)
	;;#ASMSTART
	v_cvt_f16_f32 v15, v1;

	;;#ASMEND
	;;#ASMSTART
	v_cvt_f16_f32 v16, v2;

	;;#ASMEND
	;; [unrolled: 4-line block ×4, first 2 shown]
	s_waitcnt lgkmcnt(0)
	;;#ASMSTART
	v_cvt_f16_f32 v19, v19;

	;;#ASMEND
	;;#ASMSTART
	v_cvt_f16_f32 v20, v20;

	;;#ASMEND
	;; [unrolled: 4-line block ×4, first 2 shown]
	s_and_saveexec_b64 s[6:7], s[0:1]
	s_cbranch_execz .LBB63_30
; %bb.32:                               ;   in Loop: Header=BB63_31 Depth=1
	global_load_dword v1, v[5:6], off
	s_waitcnt vmcnt(0)
	v_mad_i64_i32 v[1:2], s[12:13], v1, s26, 0
	v_lshlrev_b64 v[1:2], 1, v[1:2]
	v_add_co_u32_e32 v1, vcc, v11, v1
	v_addc_co_u32_e32 v2, vcc, v12, v2, vcc
	global_load_dwordx4 v[1:4], v[1:2], off
	v_cmp_eq_u32_e32 vcc, s14, v7
	s_waitcnt vmcnt(0)
	v_lshrrev_b32_e32 v25, 16, v1
	v_lshrrev_b32_e32 v24, 16, v2
	;; [unrolled: 1-line block ×3, first 2 shown]
	s_and_saveexec_b64 s[12:13], vcc
	s_cbranch_execz .LBB63_29
; %bb.33:                               ;   in Loop: Header=BB63_31 Depth=1
	v_add_u32_e32 v26, -7, v13
	v_cmp_gt_i32_e32 vcc, s11, v26
	v_add_u32_e32 v26, -6, v13
	v_cndmask_b32_e32 v1, 0, v1, vcc
	v_cmp_gt_i32_e32 vcc, s11, v26
	v_add_u32_e32 v26, -5, v13
	v_cndmask_b32_e32 v25, 0, v25, vcc
	;; [unrolled: 3-line block ×6, first 2 shown]
	v_cmp_gt_i32_e32 vcc, s11, v26
	v_cndmask_b32_sdwa v26, v10, v4, vcc dst_sel:DWORD dst_unused:UNUSED_PAD src0_sel:DWORD src1_sel:WORD_0
	v_and_b32_e32 v4, 0xffff0000, v4
	v_cmp_gt_i32_e32 vcc, s11, v13
	v_cndmask_b32_e32 v4, 0, v4, vcc
	v_or_b32_e32 v4, v26, v4
	s_branch .LBB63_29
.LBB63_34:
	s_or_b64 exec, exec, s[4:5]
.LBB63_35:
	s_or_b64 exec, exec, s[2:3]
	v_and_b32_e32 v1, 0x3c0, v0
	v_cmp_eq_u32_e64 s[0:1], 64, v1
	v_cmp_gt_u32_e64 s[2:3], 32, v8
	v_mov_b32_e32 v1, 0x50
	v_cmp_lt_u32_e32 vcc, 31, v8
	v_lshl_add_u32 v1, v8, 2, v1
	s_and_b64 s[2:3], s[0:1], s[2:3]
	s_barrier
	s_and_saveexec_b64 s[0:1], s[2:3]
; %bb.36:
	ds_write_b32 v1, v9
; %bb.37:
	s_or_b64 exec, exec, s[0:1]
	v_cmp_gt_u32_e64 s[0:1], 64, v0
	s_xor_b64 s[2:3], vcc, -1
	s_and_b64 s[2:3], s[0:1], s[2:3]
	s_waitcnt lgkmcnt(0)
	s_barrier
	s_and_saveexec_b64 s[0:1], s[2:3]
	s_cbranch_execz .LBB63_39
; %bb.38:
	ds_read_b32 v1, v1
	s_waitcnt lgkmcnt(0)
	v_add_f32_e32 v9, v9, v1
.LBB63_39:
	s_or_b64 exec, exec, s[0:1]
	v_cmp_gt_u32_e32 vcc, 64, v0
	v_cmp_gt_u32_e64 s[0:1], 32, v8
	s_and_b64 s[0:1], vcc, s[0:1]
	s_barrier
	s_and_saveexec_b64 s[2:3], s[0:1]
	s_cbranch_execz .LBB63_41
; %bb.40:
	s_mul_i32 s0, s10, s17
	s_mul_i32 s0, s0, s9
	s_lshl_b32 s0, s0, 5
	s_ashr_i32 s1, s0, 31
	s_lshl_b64 s[0:1], s[0:1], 1
	s_add_u32 s2, s18, s0
	s_mul_i32 s0, s17, s16
	s_addc_u32 s3, s19, s1
	s_ashr_i32 s1, s0, 31
	s_lshl_b64 s[0:1], s[0:1], 1
	s_add_u32 s2, s2, s0
	s_addc_u32 s3, s3, s1
	s_lshl_b32 s0, s8, 5
	s_ashr_i32 s1, s0, 31
	s_lshl_b64 s[0:1], s[0:1], 1
	s_add_u32 s0, s2, s0
	s_addc_u32 s1, s3, s1
	v_lshlrev_b32_e32 v0, 1, v8
	;;#ASMSTART
	v_cvt_f16_f32 v1, v9;

	;;#ASMEND
	global_store_short v0, v1, s[0:1]
.LBB63_41:
	s_endpgm
	.section	.rodata,"a",@progbits
	.p2align	6, 0x0
	.amdhsa_kernel _ZN4vllm25paged_attention_v1_kernelIttLi32ELi8ELi128ELNS_18Fp8KVCacheDataTypeE0ELb0EEEvPT_PKS2_PKT0_S8_ifPKiSA_iPKfiiiSC_SC_iiiii
		.amdhsa_group_segment_fixed_size 80
		.amdhsa_private_segment_fixed_size 0
		.amdhsa_kernarg_size 384
		.amdhsa_user_sgpr_count 6
		.amdhsa_user_sgpr_private_segment_buffer 1
		.amdhsa_user_sgpr_dispatch_ptr 0
		.amdhsa_user_sgpr_queue_ptr 0
		.amdhsa_user_sgpr_kernarg_segment_ptr 1
		.amdhsa_user_sgpr_dispatch_id 0
		.amdhsa_user_sgpr_flat_scratch_init 0
		.amdhsa_user_sgpr_private_segment_size 0
		.amdhsa_uses_dynamic_stack 0
		.amdhsa_system_sgpr_private_segment_wavefront_offset 0
		.amdhsa_system_sgpr_workgroup_id_x 1
		.amdhsa_system_sgpr_workgroup_id_y 1
		.amdhsa_system_sgpr_workgroup_id_z 1
		.amdhsa_system_sgpr_workgroup_info 0
		.amdhsa_system_vgpr_workitem_id 0
		.amdhsa_next_free_vgpr 27
		.amdhsa_next_free_sgpr 34
		.amdhsa_reserve_vcc 1
		.amdhsa_reserve_flat_scratch 0
		.amdhsa_float_round_mode_32 0
		.amdhsa_float_round_mode_16_64 0
		.amdhsa_float_denorm_mode_32 3
		.amdhsa_float_denorm_mode_16_64 3
		.amdhsa_dx10_clamp 1
		.amdhsa_ieee_mode 1
		.amdhsa_fp16_overflow 0
		.amdhsa_exception_fp_ieee_invalid_op 0
		.amdhsa_exception_fp_denorm_src 0
		.amdhsa_exception_fp_ieee_div_zero 0
		.amdhsa_exception_fp_ieee_overflow 0
		.amdhsa_exception_fp_ieee_underflow 0
		.amdhsa_exception_fp_ieee_inexact 0
		.amdhsa_exception_int_div_zero 0
	.end_amdhsa_kernel
	.section	.text._ZN4vllm25paged_attention_v1_kernelIttLi32ELi8ELi128ELNS_18Fp8KVCacheDataTypeE0ELb0EEEvPT_PKS2_PKT0_S8_ifPKiSA_iPKfiiiSC_SC_iiiii,"axG",@progbits,_ZN4vllm25paged_attention_v1_kernelIttLi32ELi8ELi128ELNS_18Fp8KVCacheDataTypeE0ELb0EEEvPT_PKS2_PKT0_S8_ifPKiSA_iPKfiiiSC_SC_iiiii,comdat
.Lfunc_end63:
	.size	_ZN4vllm25paged_attention_v1_kernelIttLi32ELi8ELi128ELNS_18Fp8KVCacheDataTypeE0ELb0EEEvPT_PKS2_PKT0_S8_ifPKiSA_iPKfiiiSC_SC_iiiii, .Lfunc_end63-_ZN4vllm25paged_attention_v1_kernelIttLi32ELi8ELi128ELNS_18Fp8KVCacheDataTypeE0ELb0EEEvPT_PKS2_PKT0_S8_ifPKiSA_iPKfiiiSC_SC_iiiii
                                        ; -- End function
	.set _ZN4vllm25paged_attention_v1_kernelIttLi32ELi8ELi128ELNS_18Fp8KVCacheDataTypeE0ELb0EEEvPT_PKS2_PKT0_S8_ifPKiSA_iPKfiiiSC_SC_iiiii.num_vgpr, 27
	.set _ZN4vllm25paged_attention_v1_kernelIttLi32ELi8ELi128ELNS_18Fp8KVCacheDataTypeE0ELb0EEEvPT_PKS2_PKT0_S8_ifPKiSA_iPKfiiiSC_SC_iiiii.num_agpr, 0
	.set _ZN4vllm25paged_attention_v1_kernelIttLi32ELi8ELi128ELNS_18Fp8KVCacheDataTypeE0ELb0EEEvPT_PKS2_PKT0_S8_ifPKiSA_iPKfiiiSC_SC_iiiii.numbered_sgpr, 34
	.set _ZN4vllm25paged_attention_v1_kernelIttLi32ELi8ELi128ELNS_18Fp8KVCacheDataTypeE0ELb0EEEvPT_PKS2_PKT0_S8_ifPKiSA_iPKfiiiSC_SC_iiiii.num_named_barrier, 0
	.set _ZN4vllm25paged_attention_v1_kernelIttLi32ELi8ELi128ELNS_18Fp8KVCacheDataTypeE0ELb0EEEvPT_PKS2_PKT0_S8_ifPKiSA_iPKfiiiSC_SC_iiiii.private_seg_size, 0
	.set _ZN4vllm25paged_attention_v1_kernelIttLi32ELi8ELi128ELNS_18Fp8KVCacheDataTypeE0ELb0EEEvPT_PKS2_PKT0_S8_ifPKiSA_iPKfiiiSC_SC_iiiii.uses_vcc, 1
	.set _ZN4vllm25paged_attention_v1_kernelIttLi32ELi8ELi128ELNS_18Fp8KVCacheDataTypeE0ELb0EEEvPT_PKS2_PKT0_S8_ifPKiSA_iPKfiiiSC_SC_iiiii.uses_flat_scratch, 0
	.set _ZN4vllm25paged_attention_v1_kernelIttLi32ELi8ELi128ELNS_18Fp8KVCacheDataTypeE0ELb0EEEvPT_PKS2_PKT0_S8_ifPKiSA_iPKfiiiSC_SC_iiiii.has_dyn_sized_stack, 0
	.set _ZN4vllm25paged_attention_v1_kernelIttLi32ELi8ELi128ELNS_18Fp8KVCacheDataTypeE0ELb0EEEvPT_PKS2_PKT0_S8_ifPKiSA_iPKfiiiSC_SC_iiiii.has_recursion, 0
	.set _ZN4vllm25paged_attention_v1_kernelIttLi32ELi8ELi128ELNS_18Fp8KVCacheDataTypeE0ELb0EEEvPT_PKS2_PKT0_S8_ifPKiSA_iPKfiiiSC_SC_iiiii.has_indirect_call, 0
	.section	.AMDGPU.csdata,"",@progbits
; Kernel info:
; codeLenInByte = 2972
; TotalNumSgprs: 38
; NumVgprs: 27
; ScratchSize: 0
; MemoryBound: 0
; FloatMode: 240
; IeeeMode: 1
; LDSByteSize: 80 bytes/workgroup (compile time only)
; SGPRBlocks: 4
; VGPRBlocks: 6
; NumSGPRsForWavesPerEU: 38
; NumVGPRsForWavesPerEU: 27
; Occupancy: 9
; WaveLimiterHint : 1
; COMPUTE_PGM_RSRC2:SCRATCH_EN: 0
; COMPUTE_PGM_RSRC2:USER_SGPR: 6
; COMPUTE_PGM_RSRC2:TRAP_HANDLER: 0
; COMPUTE_PGM_RSRC2:TGID_X_EN: 1
; COMPUTE_PGM_RSRC2:TGID_Y_EN: 1
; COMPUTE_PGM_RSRC2:TGID_Z_EN: 1
; COMPUTE_PGM_RSRC2:TIDIG_COMP_CNT: 0
	.section	.text._ZN4vllm25paged_attention_v1_kernelIttLi64ELi8ELi128ELNS_18Fp8KVCacheDataTypeE0ELb0EEEvPT_PKS2_PKT0_S8_ifPKiSA_iPKfiiiSC_SC_iiiii,"axG",@progbits,_ZN4vllm25paged_attention_v1_kernelIttLi64ELi8ELi128ELNS_18Fp8KVCacheDataTypeE0ELb0EEEvPT_PKS2_PKT0_S8_ifPKiSA_iPKfiiiSC_SC_iiiii,comdat
	.protected	_ZN4vllm25paged_attention_v1_kernelIttLi64ELi8ELi128ELNS_18Fp8KVCacheDataTypeE0ELb0EEEvPT_PKS2_PKT0_S8_ifPKiSA_iPKfiiiSC_SC_iiiii ; -- Begin function _ZN4vllm25paged_attention_v1_kernelIttLi64ELi8ELi128ELNS_18Fp8KVCacheDataTypeE0ELb0EEEvPT_PKS2_PKT0_S8_ifPKiSA_iPKfiiiSC_SC_iiiii
	.globl	_ZN4vllm25paged_attention_v1_kernelIttLi64ELi8ELi128ELNS_18Fp8KVCacheDataTypeE0ELb0EEEvPT_PKS2_PKT0_S8_ifPKiSA_iPKfiiiSC_SC_iiiii
	.p2align	8
	.type	_ZN4vllm25paged_attention_v1_kernelIttLi64ELi8ELi128ELNS_18Fp8KVCacheDataTypeE0ELb0EEEvPT_PKS2_PKT0_S8_ifPKiSA_iPKfiiiSC_SC_iiiii,@function
_ZN4vllm25paged_attention_v1_kernelIttLi64ELi8ELi128ELNS_18Fp8KVCacheDataTypeE0ELb0EEEvPT_PKS2_PKT0_S8_ifPKiSA_iPKfiiiSC_SC_iiiii: ; @_ZN4vllm25paged_attention_v1_kernelIttLi64ELi8ELi128ELNS_18Fp8KVCacheDataTypeE0ELb0EEEvPT_PKS2_PKT0_S8_ifPKiSA_iPKfiiiSC_SC_iiiii
; %bb.0:
	s_load_dword s9, s[4:5], 0x80
	s_load_dwordx2 s[0:1], s[4:5], 0x30
	s_load_dwordx2 s[10:11], s[4:5], 0x20
	s_mov_b32 s16, s7
	s_ashr_i32 s17, s7, 31
	s_lshl_b64 s[2:3], s[16:17], 2
	s_waitcnt lgkmcnt(0)
	s_add_u32 s0, s0, s2
	s_addc_u32 s1, s1, s3
	s_abs_i32 s2, s10
	v_cvt_f32_u32_e32 v1, s2
	s_xor_b32 s3, s9, s10
	s_sub_i32 s10, 0, s2
	s_abs_i32 s7, s9
	v_rcp_iflag_f32_e32 v1, v1
	s_ashr_i32 s3, s3, 31
	v_mul_f32_e32 v1, 0x4f7ffffe, v1
	v_cvt_u32_f32_e32 v1, v1
	v_readfirstlane_b32 s12, v1
	s_mul_i32 s10, s10, s12
	s_mul_hi_u32 s10, s12, s10
	s_add_i32 s12, s12, s10
	s_mul_hi_u32 s10, s7, s12
	s_mul_i32 s12, s10, s2
	s_sub_i32 s7, s7, s12
	s_add_i32 s12, s10, 1
	s_sub_i32 s13, s7, s2
	s_cmp_ge_u32 s7, s2
	s_cselect_b32 s10, s12, s10
	s_cselect_b32 s7, s13, s7
	s_add_i32 s12, s10, 1
	s_cmp_ge_u32 s7, s2
	s_cselect_b32 s2, s12, s10
	s_xor_b32 s2, s2, s3
	s_sub_i32 s18, s2, s3
	s_abs_i32 s20, s18
	v_cvt_f32_u32_e32 v1, s20
	s_load_dwordx2 s[2:3], s[4:5], 0x40
	s_sub_i32 s7, 0, s20
	s_abs_i32 s21, s6
	v_rcp_iflag_f32_e32 v1, v1
	s_mov_b32 s10, 0
	v_mul_f32_e32 v1, 0x4f7ffffe, v1
	v_cvt_u32_f32_e32 v1, v1
	v_readfirstlane_b32 s12, v1
	s_mul_i32 s7, s7, s12
	s_mul_hi_u32 s7, s12, s7
	s_add_i32 s12, s12, s7
	s_waitcnt lgkmcnt(0)
	s_cmp_eq_u64 s[2:3], 0
	s_mul_hi_u32 s24, s21, s12
	s_cbranch_scc1 .LBB64_2
; %bb.1:
	s_ashr_i32 s7, s6, 31
	s_lshl_b64 s[12:13], s[6:7], 2
	s_add_u32 s2, s2, s12
	s_addc_u32 s3, s3, s13
	s_load_dword s10, s[2:3], 0x0
.LBB64_2:
	s_load_dword s17, s[0:1], 0x0
	s_load_dwordx4 s[12:15], s[4:5], 0x48
	s_ashr_i32 s7, s6, 31
	s_waitcnt lgkmcnt(0)
	s_ashr_i32 s15, s18, 31
	v_and_b32_e32 v1, 7, v0
	s_lshl_b32 s18, s6, 6
	v_cmp_gt_u32_e64 s[0:1], 64, v0
	s_and_saveexec_b64 s[2:3], s[0:1]
	s_cbranch_execz .LBB64_4
; %bb.3:
	s_load_dwordx2 s[22:23], s[4:5], 0x8
	s_mul_i32 s26, s12, s16
	s_ashr_i32 s27, s26, 31
	s_lshl_b64 s[26:27], s[26:27], 1
	v_lshlrev_b32_e32 v2, 1, v0
	s_waitcnt lgkmcnt(0)
	s_add_u32 s6, s22, s26
	s_addc_u32 s12, s23, s27
	s_ashr_i32 s19, s18, 31
	s_lshl_b64 s[22:23], s[18:19], 1
	s_add_u32 s22, s6, s22
	s_addc_u32 s23, s12, s23
	global_load_ushort v2, v2, s[22:23]
	v_lshrrev_b32_e32 v3, 2, v0
	v_and_b32_e32 v3, 0xfe, v3
	v_lshl_add_u32 v3, v1, 4, v3
	s_waitcnt vmcnt(0)
	ds_write_b16 v3, v2
.LBB64_4:
	s_or_b64 exec, exec, s[2:3]
	s_add_i32 s3, s17, 7
	s_ashr_i32 s6, s3, 31
	s_lshr_b32 s6, s6, 29
	s_add_i32 s3, s3, s6
	s_mul_i32 s6, s24, s20
	s_sub_i32 s6, s21, s6
	s_ashr_i32 s19, s3, 3
	s_xor_b32 s3, s7, s15
	s_add_i32 s7, s24, 1
	s_sub_i32 s12, s6, s20
	s_load_dwordx2 s[22:23], s[4:5], 0x28
	s_load_dword s2, s[4:5], 0x38
	s_cmp_ge_u32 s6, s20
	s_cselect_b32 s7, s7, s24
	s_cselect_b32 s6, s12, s6
	s_add_i32 s12, s7, 1
	s_cmp_ge_u32 s6, s20
	s_cselect_b32 s6, s12, s7
	v_lshrrev_b32_e32 v7, 6, v0
	s_xor_b32 s6, s6, s3
	s_waitcnt lgkmcnt(0)
	s_mul_i32 s24, s2, s16
	s_sub_i32 s15, s6, s3
	s_ashr_i32 s25, s24, 31
	v_cmp_gt_i32_e64 s[2:3], s19, v7
	v_cmp_le_i32_e32 vcc, s19, v7
	v_mbcnt_lo_u32_b32 v14, -1, 0
	s_barrier
                                        ; implicit-def: $vgpr4
                                        ; implicit-def: $vgpr6
                                        ; implicit-def: $vgpr5
	s_and_saveexec_b64 s[6:7], vcc
	s_xor_b64 s[6:7], exec, s[6:7]
; %bb.5:
	v_mbcnt_hi_u32_b32 v4, -1, v14
	v_and_b32_e32 v6, 64, v4
	v_add_u32_e32 v5, 64, v6
                                        ; implicit-def: $vgpr1
                                        ; implicit-def: $vgpr14
; %bb.6:
	s_or_saveexec_b64 s[28:29], s[6:7]
	s_load_dwordx2 s[20:21], s[4:5], 0x0
	s_load_dwordx2 s[26:27], s[4:5], 0x18
	s_load_dword s12, s[4:5], 0x88
	v_mov_b32_e32 v8, 0xff7fffff
	s_mul_i32 s14, s15, s14
	v_lshrrev_b32_e32 v3, 4, v0
	s_xor_b64 exec, exec, s[28:29]
	s_cbranch_execz .LBB64_12
; %bb.7:
	s_load_dwordx2 s[4:5], s[4:5], 0x10
	s_ashr_i32 s15, s14, 31
	s_lshl_b64 s[6:7], s[14:15], 1
	v_bfe_u32 v2, v0, 3, 3
	v_lshlrev_b32_e32 v4, 4, v2
	s_waitcnt lgkmcnt(0)
	s_add_u32 s4, s4, s6
	s_addc_u32 s5, s5, s7
	v_mov_b32_e32 v5, s5
	v_add_co_u32_e32 v4, vcc, s4, v4
	v_addc_co_u32_e32 v5, vcc, 0, v5, vcc
	v_lshlrev_b32_e32 v6, 1, v1
	v_add_co_u32_e32 v9, vcc, v4, v6
	v_addc_co_u32_e32 v10, vcc, 0, v5, vcc
	v_lshlrev_b32_e32 v11, 4, v1
	v_cmp_eq_u32_e32 vcc, 0, v1
	s_sub_i32 s15, 1, s17
	v_lshlrev_b32_e32 v1, 2, v2
	s_lshl_b64 s[6:7], s[24:25], 2
	v_lshl_or_b32 v1, v7, 5, v1
	s_add_u32 s6, s22, s6
	v_add_u32_e32 v13, 0x90, v1
	v_and_b32_e32 v1, 60, v3
	s_addc_u32 s7, s23, s7
	v_mbcnt_hi_u32_b32 v4, -1, v14
	v_lshl_or_b32 v12, v7, 3, v2
	v_mov_b32_e32 v2, s7
	v_add_co_u32_e64 v1, s[6:7], s6, v1
	v_and_b32_e32 v6, 64, v4
	s_mov_b32 s33, s13
	v_cmp_neq_f32_e64 s[4:5], s10, 0
	v_addc_co_u32_e64 v2, s[6:7], 0, v2, s[6:7]
	v_mov_b32_e32 v8, 0xff7fffff
	s_mov_b64 s[30:31], 0
	v_add_u32_e32 v5, 64, v6
	v_xor_b32_e32 v14, 4, v4
	v_xor_b32_e32 v15, 2, v4
	;; [unrolled: 1-line block ×3, first 2 shown]
	v_mov_b32_e32 v17, v7
	s_branch .LBB64_9
.LBB64_8:                               ;   in Loop: Header=BB64_9 Depth=1
	s_or_b64 exec, exec, s[34:35]
	v_add_u32_e32 v17, 2, v17
	v_cmp_le_i32_e64 s[6:7], s19, v17
	s_or_b64 s[30:31], s[6:7], s[30:31]
	v_add_co_u32_e64 v1, s[6:7], 8, v1
	v_add_u32_e32 v12, 16, v12
	v_add_u32_e32 v13, 64, v13
	v_addc_co_u32_e64 v2, s[6:7], 0, v2, s[6:7]
	s_andn2_b64 exec, exec, s[30:31]
	s_cbranch_execz .LBB64_11
.LBB64_9:                               ; =>This Inner Loop Header: Depth=1
	global_load_dword v18, v[1:2], off
	s_waitcnt vmcnt(0) lgkmcnt(0)
	v_mad_i64_i32 v[18:19], s[6:7], v18, s33, 0
	v_lshlrev_b64 v[18:19], 1, v[18:19]
	v_add_co_u32_e64 v18, s[6:7], v9, v18
	v_addc_co_u32_e64 v19, s[6:7], v10, v19, s[6:7]
	global_load_ushort v20, v[18:19], off
	global_load_ushort v21, v[18:19], off offset:128
	global_load_ushort v23, v[18:19], off offset:256
	;; [unrolled: 1-line block ×7, first 2 shown]
	ds_read_u16 v18, v11
	s_waitcnt lgkmcnt(0)
	;;#ASMSTART
	v_cvt_f32_f16 v18, v18;
	;;#ASMEND
	v_cmp_lt_i32_e64 s[6:7], v14, v5
	v_cndmask_b32_e64 v28, v4, v14, s[6:7]
	v_lshlrev_b32_e32 v28, 2, v28
	v_cmp_lt_i32_e64 s[6:7], v15, v5
	s_waitcnt vmcnt(7)
	;;#ASMSTART
	v_cvt_f32_f16 v19, v20;
	;;#ASMEND
	ds_read_u16 v20, v11 offset:2
	s_waitcnt lgkmcnt(0)
	;;#ASMSTART
	v_cvt_f32_f16 v20, v20;
	;;#ASMEND
	s_waitcnt vmcnt(6)
	;;#ASMSTART
	v_cvt_f32_f16 v21, v21;
	;;#ASMEND
	v_mul_f32_e32 v20, v20, v21
	ds_read_u16 v22, v11 offset:4
	v_fmac_f32_e32 v20, v18, v19
	s_waitcnt lgkmcnt(0)
	;;#ASMSTART
	v_cvt_f32_f16 v22, v22;
	;;#ASMEND
	s_waitcnt vmcnt(5)
	;;#ASMSTART
	v_cvt_f32_f16 v23, v23;
	;;#ASMEND
	ds_read_u16 v24, v11 offset:6
	v_fmac_f32_e32 v20, v22, v23
	s_waitcnt lgkmcnt(0)
	;;#ASMSTART
	v_cvt_f32_f16 v24, v24;
	;;#ASMEND
	s_waitcnt vmcnt(4)
	;;#ASMSTART
	v_cvt_f32_f16 v25, v25;
	;;#ASMEND
	;; [unrolled: 10-line block ×4, first 2 shown]
	v_fmac_f32_e32 v20, v29, v30
	ds_read_u16 v33, v11 offset:12
	s_waitcnt lgkmcnt(0)
	;;#ASMSTART
	v_cvt_f32_f16 v18, v33;
	;;#ASMEND
	s_waitcnt vmcnt(1)
	;;#ASMSTART
	v_cvt_f32_f16 v19, v31;
	;;#ASMEND
	v_fmac_f32_e32 v20, v18, v19
	ds_read_u16 v21, v11 offset:14
	s_waitcnt lgkmcnt(0)
	;;#ASMSTART
	v_cvt_f32_f16 v18, v21;
	;;#ASMEND
	s_waitcnt vmcnt(0)
	;;#ASMSTART
	v_cvt_f32_f16 v19, v32;
	;;#ASMEND
	v_fmac_f32_e32 v20, v18, v19
	ds_bpermute_b32 v18, v28, v20
	v_cndmask_b32_e64 v19, v4, v15, s[6:7]
	v_lshlrev_b32_e32 v19, 2, v19
	v_cmp_lt_i32_e64 s[6:7], v16, v5
	s_waitcnt lgkmcnt(0)
	v_add_f32_e32 v18, v20, v18
	ds_bpermute_b32 v19, v19, v18
	v_cndmask_b32_e64 v20, v4, v16, s[6:7]
	s_waitcnt lgkmcnt(0)
	v_add_f32_e32 v18, v18, v19
	v_lshlrev_b32_e32 v19, 2, v20
	ds_bpermute_b32 v19, v19, v18
	s_and_saveexec_b64 s[34:35], vcc
	s_cbranch_execz .LBB64_8
; %bb.10:                               ;   in Loop: Header=BB64_9 Depth=1
	v_add_u32_e32 v20, s15, v12
	v_cvt_f32_i32_e32 v20, v20
	s_waitcnt lgkmcnt(0)
	v_add_f32_e32 v18, v18, v19
	v_cmp_gt_i32_e64 s[6:7], s17, v12
	v_max_f32_e32 v19, v8, v8
	v_mul_f32_e32 v20, s10, v20
	v_cndmask_b32_e64 v20, 0, v20, s[4:5]
	v_fmac_f32_e32 v20, s11, v18
	v_cndmask_b32_e64 v18, 0, v20, s[6:7]
	ds_write_b32 v13, v18
	v_max_f32_e32 v18, v19, v20
	v_cndmask_b32_e64 v8, v8, v18, s[6:7]
	s_branch .LBB64_8
.LBB64_11:
	s_or_b64 exec, exec, s[30:31]
.LBB64_12:
	s_or_b64 exec, exec, s[28:29]
	v_xor_b32_e32 v1, 32, v4
	v_cmp_lt_i32_e32 vcc, v1, v5
	v_cndmask_b32_e32 v1, v4, v1, vcc
	v_lshlrev_b32_e32 v2, 2, v1
	ds_bpermute_b32 v1, v2, v8
	v_xor_b32_e32 v9, 16, v4
	v_max_f32_e32 v8, v8, v8
	v_cmp_lt_i32_e32 vcc, v9, v5
	v_xor_b32_e32 v11, 8, v4
	s_waitcnt lgkmcnt(0)
	v_max_f32_e32 v1, v1, v1
	v_max_f32_e32 v1, v8, v1
	v_cndmask_b32_e32 v8, v4, v9, vcc
	v_lshlrev_b32_e32 v10, 2, v8
	ds_bpermute_b32 v8, v10, v1
	v_cmp_lt_i32_e32 vcc, v11, v5
	s_waitcnt lgkmcnt(0)
	v_max_f32_e32 v8, v8, v8
	v_max_f32_e32 v9, v1, v8
	v_cndmask_b32_e32 v1, v4, v11, vcc
	v_lshlrev_b32_e32 v12, 2, v1
	ds_bpermute_b32 v11, v12, v9
	v_and_b32_e32 v8, 63, v0
	v_cmp_eq_u32_e32 vcc, 0, v8
	v_lshlrev_b32_e32 v1, 2, v7
	s_and_saveexec_b64 s[4:5], vcc
	s_cbranch_execz .LBB64_14
; %bb.13:
	s_waitcnt lgkmcnt(0)
	v_max_f32_e32 v11, v11, v11
	v_max_f32_e32 v9, v9, v9
	;; [unrolled: 1-line block ×3, first 2 shown]
	ds_write_b32 v1, v9 offset:128
.LBB64_14:
	s_or_b64 exec, exec, s[4:5]
	v_cmp_gt_u32_e64 s[4:5], 2, v8
	v_mov_b32_e32 v13, 0xff7fffff
	v_lshlrev_b32_e32 v9, 2, v8
	s_waitcnt lgkmcnt(0)
	s_barrier
	s_and_saveexec_b64 s[6:7], s[4:5]
; %bb.15:
	ds_read_b32 v13, v9 offset:128
; %bb.16:
	s_or_b64 exec, exec, s[6:7]
	v_xor_b32_e32 v11, 1, v4
	v_cmp_lt_i32_e64 s[6:7], v11, v5
	v_cndmask_b32_e64 v11, v4, v11, s[6:7]
	v_lshlrev_b32_e32 v11, 2, v11
	s_waitcnt lgkmcnt(0)
	ds_bpermute_b32 v14, v11, v13
	v_max_f32_e32 v13, v13, v13
	v_lshlrev_b32_e32 v6, 2, v6
	s_lshl_b32 s6, s19, 3
	s_min_i32 s15, s6, s17
	s_waitcnt lgkmcnt(0)
	v_max_f32_e32 v14, v14, v14
	v_max_f32_e32 v13, v13, v14
	ds_bpermute_b32 v13, v6, v13
	v_cmp_gt_i32_e64 s[6:7], s15, v0
	v_mov_b32_e32 v6, 0
	s_and_saveexec_b64 s[28:29], s[6:7]
	s_cbranch_execz .LBB64_20
; %bb.17:
	v_mov_b32_e32 v6, 0x90
	v_lshl_add_u32 v14, v0, 2, v6
	v_mov_b32_e32 v6, 0
	s_mov_b64 s[30:31], 0
	v_mov_b32_e32 v15, v0
.LBB64_18:                              ; =>This Inner Loop Header: Depth=1
	ds_read_b32 v16, v14
	v_add_u32_e32 v15, 0x80, v15
	v_cmp_le_i32_e64 s[10:11], s15, v15
	s_or_b64 s[30:31], s[10:11], s[30:31]
	s_waitcnt lgkmcnt(0)
	v_sub_f32_e32 v16, v16, v13
	v_mul_f32_e32 v16, 0x3fb8aa3b, v16
	v_exp_f32_e32 v16, v16
	ds_write_b32 v14, v16
	v_add_f32_e32 v6, v6, v16
	v_add_u32_e32 v14, 0x200, v14
	s_andn2_b64 exec, exec, s[30:31]
	s_cbranch_execnz .LBB64_18
; %bb.19:
	s_or_b64 exec, exec, s[30:31]
.LBB64_20:
	s_or_b64 exec, exec, s[28:29]
	ds_bpermute_b32 v2, v2, v6
	s_waitcnt lgkmcnt(0)
	v_add_f32_e32 v2, v6, v2
	ds_bpermute_b32 v6, v10, v2
	v_xor_b32_e32 v10, 4, v4
	v_cmp_lt_i32_e64 s[10:11], v10, v5
	v_cndmask_b32_e64 v10, v4, v10, s[10:11]
	v_lshlrev_b32_e32 v10, 2, v10
	s_waitcnt lgkmcnt(0)
	v_add_f32_e32 v2, v2, v6
	ds_bpermute_b32 v6, v12, v2
	s_waitcnt lgkmcnt(0)
	v_add_f32_e32 v2, v2, v6
	ds_bpermute_b32 v6, v10, v2
	v_xor_b32_e32 v10, 2, v4
	v_cmp_lt_i32_e64 s[10:11], v10, v5
	v_cndmask_b32_e64 v5, v4, v10, s[10:11]
	v_lshlrev_b32_e32 v5, 2, v5
	s_waitcnt lgkmcnt(0)
	v_add_f32_e32 v2, v2, v6
	ds_bpermute_b32 v5, v5, v2
	s_waitcnt lgkmcnt(0)
	v_add_f32_e32 v2, v2, v5
	ds_bpermute_b32 v5, v11, v2
	s_waitcnt lgkmcnt(0)
	v_add_f32_e32 v2, v2, v5
	s_and_saveexec_b64 s[10:11], vcc
; %bb.21:
	ds_write_b32 v1, v2 offset:136
; %bb.22:
	s_or_b64 exec, exec, s[10:11]
	s_waitcnt lgkmcnt(0)
	s_barrier
	s_and_saveexec_b64 s[10:11], s[4:5]
; %bb.23:
	ds_read_b32 v2, v9 offset:136
; %bb.24:
	s_or_b64 exec, exec, s[10:11]
	s_waitcnt lgkmcnt(0)
	ds_bpermute_b32 v1, v11, v2
	v_lshlrev_b32_e32 v4, 2, v4
	s_waitcnt lgkmcnt(0)
	v_add_f32_e32 v1, v2, v1
	v_and_b32_e32 v2, 0xffffff00, v4
	ds_bpermute_b32 v1, v2, v1
	s_and_saveexec_b64 s[4:5], s[6:7]
	s_cbranch_execz .LBB64_27
; %bb.25:
	s_waitcnt lgkmcnt(0)
	v_add_f32_e32 v2, 0x358637bd, v1
	v_div_scale_f32 v1, s[6:7], v2, v2, 1.0
	v_div_scale_f32 v4, vcc, 1.0, v2, 1.0
	s_mov_b64 s[6:7], 0
	v_rcp_f32_e32 v5, v1
	v_fma_f32 v6, -v1, v5, 1.0
	v_fmac_f32_e32 v5, v6, v5
	v_mul_f32_e32 v6, v4, v5
	v_fma_f32 v9, -v1, v6, v4
	v_fmac_f32_e32 v6, v9, v5
	v_fma_f32 v1, -v1, v6, v4
	v_div_fmas_f32 v4, v1, v5, v6
	v_mov_b32_e32 v1, 0x90
	v_lshl_add_u32 v1, v0, 2, v1
	v_div_fixup_f32 v2, v4, v2, 1.0
	v_mov_b32_e32 v4, v0
.LBB64_26:                              ; =>This Inner Loop Header: Depth=1
	ds_read_b32 v5, v1
	v_add_u32_e32 v4, 0x80, v4
	v_cmp_le_i32_e32 vcc, s15, v4
	s_or_b64 s[6:7], vcc, s[6:7]
	s_waitcnt lgkmcnt(0)
	v_mul_f32_e32 v5, v2, v5
	ds_write_b32 v1, v5
	v_add_u32_e32 v1, 0x200, v1
	s_andn2_b64 exec, exec, s[6:7]
	s_cbranch_execnz .LBB64_26
.LBB64_27:
	s_or_b64 exec, exec, s[4:5]
	v_mov_b32_e32 v9, 0
	s_waitcnt lgkmcnt(0)
	s_barrier
	s_and_saveexec_b64 s[4:5], s[2:3]
	s_cbranch_execz .LBB64_33
; %bb.28:
	s_ashr_i32 s15, s14, 31
	s_lshl_b64 s[2:3], s[14:15], 1
	s_add_u32 s2, s26, s2
	s_addc_u32 s3, s27, s3
	v_lshlrev_b32_e32 v1, 4, v8
	v_mov_b32_e32 v2, s3
	v_add_co_u32_e32 v11, vcc, s2, v1
	s_add_i32 s11, s19, -1
	s_lshl_b64 s[2:3], s[24:25], 2
	v_mov_b32_e32 v1, 0x90
	s_add_u32 s2, s22, s2
	v_addc_co_u32_e32 v12, vcc, 0, v2, vcc
	v_lshl_add_u32 v14, v7, 5, v1
	v_and_b32_e32 v1, 60, v3
	s_addc_u32 s3, s23, s3
	v_mov_b32_e32 v2, s3
	v_add_co_u32_e32 v5, vcc, s2, v1
	s_mov_b32 s10, s13
	v_mov_b32_e32 v10, 0
	v_lshl_or_b32 v13, v7, 3, 7
	v_addc_co_u32_e32 v6, vcc, 0, v2, vcc
	s_mov_b64 s[2:3], 0
	s_mov_b32 s13, 0xffff
	v_mov_b32_e32 v9, 0
	s_branch .LBB64_30
.LBB64_29:                              ;   in Loop: Header=BB64_30 Depth=1
	s_or_b64 exec, exec, s[6:7]
	v_and_b32_e32 v15, 0xffff, v15
	v_lshl_or_b32 v15, v16, 16, v15
	v_and_b32_e32 v16, 0xffff, v17
	v_and_b32_e32 v17, 0xffff, v19
	v_lshlrev_b32_e32 v19, 16, v25
	v_and_or_b32 v1, v1, s13, v19
	v_lshlrev_b32_e32 v19, 16, v24
	v_and_or_b32 v2, v2, s13, v19
	v_lshlrev_b32_e32 v19, 16, v23
	v_lshl_or_b32 v16, v18, 16, v16
	v_and_b32_e32 v18, 0xffff, v21
	v_and_or_b32 v3, v3, s13, v19
	;;#ASMSTART
	v_pk_mul_f16 v1, v15, v1;

	;;#ASMEND
	v_lshl_or_b32 v17, v20, 16, v17
	v_lshl_or_b32 v18, v22, 16, v18
	;;#ASMSTART
	v_pk_mul_f16 v2, v16, v2;

	;;#ASMEND
	;;#ASMSTART
	v_pk_mul_f16 v3, v17, v3;

	;;#ASMEND
	;; [unrolled: 4-line block ×3, first 2 shown]
	;;#ASMSTART
	v_pk_add_f16 v1, v1, v2;

	;;#ASMEND
	;;#ASMSTART
	v_pk_add_f16 v1, v1, v3;

	;;#ASMEND
	;; [unrolled: 4-line block ×3, first 2 shown]
	v_lshrrev_b32_e32 v2, 16, v1
	v_and_b32_e32 v1, 0xffff, v1
	v_add_u32_e32 v7, 2, v7
	;;#ASMSTART
	v_cvt_f32_f16 v1, v1;
	;;#ASMEND
	v_cmp_le_i32_e32 vcc, s19, v7
	;;#ASMSTART
	v_cvt_f32_f16 v2, v2;
	;;#ASMEND
	v_add_f32_e32 v1, v1, v2
	s_or_b64 s[2:3], vcc, s[2:3]
	v_add_co_u32_e32 v5, vcc, 8, v5
	v_add_f32_e32 v9, v9, v1
	v_add_u32_e32 v13, 16, v13
	v_add_u32_e32 v14, 64, v14
	v_addc_co_u32_e32 v6, vcc, 0, v6, vcc
	s_andn2_b64 exec, exec, s[2:3]
	s_cbranch_execz .LBB64_32
.LBB64_30:                              ; =>This Inner Loop Header: Depth=1
	global_load_dword v23, v[5:6], off
	ds_read2_b64 v[1:4], v14 offset1:1
	ds_read2_b64 v[19:22], v14 offset0:2 offset1:3
	s_waitcnt lgkmcnt(1)
	;;#ASMSTART
	v_cvt_f16_f32 v15, v1;

	;;#ASMEND
	;;#ASMSTART
	v_cvt_f16_f32 v16, v2;

	;;#ASMEND
	;; [unrolled: 4-line block ×4, first 2 shown]
	s_waitcnt lgkmcnt(0)
	;;#ASMSTART
	v_cvt_f16_f32 v19, v19;

	;;#ASMEND
	;;#ASMSTART
	v_cvt_f16_f32 v20, v20;

	;;#ASMEND
	;; [unrolled: 4-line block ×4, first 2 shown]
	s_waitcnt vmcnt(0)
	v_mad_i64_i32 v[1:2], s[6:7], v23, s10, 0
	v_lshlrev_b64 v[1:2], 1, v[1:2]
	v_add_co_u32_e32 v1, vcc, v11, v1
	v_addc_co_u32_e32 v2, vcc, v12, v2, vcc
	global_load_dwordx4 v[1:4], v[1:2], off
	v_cmp_eq_u32_e32 vcc, s11, v7
	s_waitcnt vmcnt(0)
	v_lshrrev_b32_e32 v25, 16, v1
	v_lshrrev_b32_e32 v24, 16, v2
	;; [unrolled: 1-line block ×3, first 2 shown]
	s_and_saveexec_b64 s[6:7], vcc
	s_cbranch_execz .LBB64_29
; %bb.31:                               ;   in Loop: Header=BB64_30 Depth=1
	v_add_u32_e32 v26, -7, v13
	v_cmp_gt_i32_e32 vcc, s17, v26
	v_add_u32_e32 v26, -6, v13
	v_cndmask_b32_e32 v1, 0, v1, vcc
	v_cmp_gt_i32_e32 vcc, s17, v26
	v_add_u32_e32 v26, -5, v13
	v_cndmask_b32_e32 v25, 0, v25, vcc
	;; [unrolled: 3-line block ×6, first 2 shown]
	v_cmp_gt_i32_e32 vcc, s17, v26
	v_cndmask_b32_sdwa v26, v10, v4, vcc dst_sel:DWORD dst_unused:UNUSED_PAD src0_sel:DWORD src1_sel:WORD_0
	v_and_b32_e32 v4, 0xffff0000, v4
	v_cmp_gt_i32_e32 vcc, s17, v13
	v_cndmask_b32_e32 v4, 0, v4, vcc
	v_or_b32_e32 v4, v26, v4
	s_branch .LBB64_29
.LBB64_32:
	s_or_b64 exec, exec, s[2:3]
.LBB64_33:
	s_or_b64 exec, exec, s[4:5]
	v_and_b32_e32 v0, 0x3c0, v0
	v_cmp_eq_u32_e32 vcc, 64, v0
	v_mov_b32_e32 v0, 0x90
	v_lshl_add_u32 v0, v8, 2, v0
	s_barrier
	s_and_saveexec_b64 s[2:3], vcc
; %bb.34:
	ds_write_b32 v0, v9
; %bb.35:
	s_or_b64 exec, exec, s[2:3]
	s_waitcnt lgkmcnt(0)
	s_barrier
	s_and_saveexec_b64 s[2:3], s[0:1]
	s_cbranch_execz .LBB64_37
; %bb.36:
	ds_read_b32 v0, v0
	s_waitcnt lgkmcnt(0)
	v_add_f32_e32 v9, v9, v0
.LBB64_37:
	s_or_b64 exec, exec, s[2:3]
	s_barrier
	s_and_saveexec_b64 s[2:3], s[0:1]
	s_cbranch_execz .LBB64_39
; %bb.38:
	s_mul_i32 s0, s16, s12
	s_mul_i32 s0, s0, s9
	s_lshl_b32 s0, s0, 6
	s_ashr_i32 s1, s0, 31
	s_lshl_b64 s[0:1], s[0:1], 1
	s_add_u32 s2, s20, s0
	s_mul_i32 s0, s12, s18
	s_addc_u32 s3, s21, s1
	s_ashr_i32 s1, s0, 31
	s_lshl_b64 s[0:1], s[0:1], 1
	s_add_u32 s2, s2, s0
	s_addc_u32 s3, s3, s1
	s_lshl_b32 s0, s8, 6
	s_ashr_i32 s1, s0, 31
	s_lshl_b64 s[0:1], s[0:1], 1
	s_add_u32 s0, s2, s0
	s_addc_u32 s1, s3, s1
	v_lshlrev_b32_e32 v0, 1, v8
	;;#ASMSTART
	v_cvt_f16_f32 v1, v9;

	;;#ASMEND
	global_store_short v0, v1, s[0:1]
.LBB64_39:
	s_endpgm
	.section	.rodata,"a",@progbits
	.p2align	6, 0x0
	.amdhsa_kernel _ZN4vllm25paged_attention_v1_kernelIttLi64ELi8ELi128ELNS_18Fp8KVCacheDataTypeE0ELb0EEEvPT_PKS2_PKT0_S8_ifPKiSA_iPKfiiiSC_SC_iiiii
		.amdhsa_group_segment_fixed_size 144
		.amdhsa_private_segment_fixed_size 0
		.amdhsa_kernarg_size 384
		.amdhsa_user_sgpr_count 6
		.amdhsa_user_sgpr_private_segment_buffer 1
		.amdhsa_user_sgpr_dispatch_ptr 0
		.amdhsa_user_sgpr_queue_ptr 0
		.amdhsa_user_sgpr_kernarg_segment_ptr 1
		.amdhsa_user_sgpr_dispatch_id 0
		.amdhsa_user_sgpr_flat_scratch_init 0
		.amdhsa_user_sgpr_private_segment_size 0
		.amdhsa_uses_dynamic_stack 0
		.amdhsa_system_sgpr_private_segment_wavefront_offset 0
		.amdhsa_system_sgpr_workgroup_id_x 1
		.amdhsa_system_sgpr_workgroup_id_y 1
		.amdhsa_system_sgpr_workgroup_id_z 1
		.amdhsa_system_sgpr_workgroup_info 0
		.amdhsa_system_vgpr_workitem_id 0
		.amdhsa_next_free_vgpr 34
		.amdhsa_next_free_sgpr 36
		.amdhsa_reserve_vcc 1
		.amdhsa_reserve_flat_scratch 0
		.amdhsa_float_round_mode_32 0
		.amdhsa_float_round_mode_16_64 0
		.amdhsa_float_denorm_mode_32 3
		.amdhsa_float_denorm_mode_16_64 3
		.amdhsa_dx10_clamp 1
		.amdhsa_ieee_mode 1
		.amdhsa_fp16_overflow 0
		.amdhsa_exception_fp_ieee_invalid_op 0
		.amdhsa_exception_fp_denorm_src 0
		.amdhsa_exception_fp_ieee_div_zero 0
		.amdhsa_exception_fp_ieee_overflow 0
		.amdhsa_exception_fp_ieee_underflow 0
		.amdhsa_exception_fp_ieee_inexact 0
		.amdhsa_exception_int_div_zero 0
	.end_amdhsa_kernel
	.section	.text._ZN4vllm25paged_attention_v1_kernelIttLi64ELi8ELi128ELNS_18Fp8KVCacheDataTypeE0ELb0EEEvPT_PKS2_PKT0_S8_ifPKiSA_iPKfiiiSC_SC_iiiii,"axG",@progbits,_ZN4vllm25paged_attention_v1_kernelIttLi64ELi8ELi128ELNS_18Fp8KVCacheDataTypeE0ELb0EEEvPT_PKS2_PKT0_S8_ifPKiSA_iPKfiiiSC_SC_iiiii,comdat
.Lfunc_end64:
	.size	_ZN4vllm25paged_attention_v1_kernelIttLi64ELi8ELi128ELNS_18Fp8KVCacheDataTypeE0ELb0EEEvPT_PKS2_PKT0_S8_ifPKiSA_iPKfiiiSC_SC_iiiii, .Lfunc_end64-_ZN4vllm25paged_attention_v1_kernelIttLi64ELi8ELi128ELNS_18Fp8KVCacheDataTypeE0ELb0EEEvPT_PKS2_PKT0_S8_ifPKiSA_iPKfiiiSC_SC_iiiii
                                        ; -- End function
	.set _ZN4vllm25paged_attention_v1_kernelIttLi64ELi8ELi128ELNS_18Fp8KVCacheDataTypeE0ELb0EEEvPT_PKS2_PKT0_S8_ifPKiSA_iPKfiiiSC_SC_iiiii.num_vgpr, 34
	.set _ZN4vllm25paged_attention_v1_kernelIttLi64ELi8ELi128ELNS_18Fp8KVCacheDataTypeE0ELb0EEEvPT_PKS2_PKT0_S8_ifPKiSA_iPKfiiiSC_SC_iiiii.num_agpr, 0
	.set _ZN4vllm25paged_attention_v1_kernelIttLi64ELi8ELi128ELNS_18Fp8KVCacheDataTypeE0ELb0EEEvPT_PKS2_PKT0_S8_ifPKiSA_iPKfiiiSC_SC_iiiii.numbered_sgpr, 36
	.set _ZN4vllm25paged_attention_v1_kernelIttLi64ELi8ELi128ELNS_18Fp8KVCacheDataTypeE0ELb0EEEvPT_PKS2_PKT0_S8_ifPKiSA_iPKfiiiSC_SC_iiiii.num_named_barrier, 0
	.set _ZN4vllm25paged_attention_v1_kernelIttLi64ELi8ELi128ELNS_18Fp8KVCacheDataTypeE0ELb0EEEvPT_PKS2_PKT0_S8_ifPKiSA_iPKfiiiSC_SC_iiiii.private_seg_size, 0
	.set _ZN4vllm25paged_attention_v1_kernelIttLi64ELi8ELi128ELNS_18Fp8KVCacheDataTypeE0ELb0EEEvPT_PKS2_PKT0_S8_ifPKiSA_iPKfiiiSC_SC_iiiii.uses_vcc, 1
	.set _ZN4vllm25paged_attention_v1_kernelIttLi64ELi8ELi128ELNS_18Fp8KVCacheDataTypeE0ELb0EEEvPT_PKS2_PKT0_S8_ifPKiSA_iPKfiiiSC_SC_iiiii.uses_flat_scratch, 0
	.set _ZN4vllm25paged_attention_v1_kernelIttLi64ELi8ELi128ELNS_18Fp8KVCacheDataTypeE0ELb0EEEvPT_PKS2_PKT0_S8_ifPKiSA_iPKfiiiSC_SC_iiiii.has_dyn_sized_stack, 0
	.set _ZN4vllm25paged_attention_v1_kernelIttLi64ELi8ELi128ELNS_18Fp8KVCacheDataTypeE0ELb0EEEvPT_PKS2_PKT0_S8_ifPKiSA_iPKfiiiSC_SC_iiiii.has_recursion, 0
	.set _ZN4vllm25paged_attention_v1_kernelIttLi64ELi8ELi128ELNS_18Fp8KVCacheDataTypeE0ELb0EEEvPT_PKS2_PKT0_S8_ifPKiSA_iPKfiiiSC_SC_iiiii.has_indirect_call, 0
	.section	.AMDGPU.csdata,"",@progbits
; Kernel info:
; codeLenInByte = 3080
; TotalNumSgprs: 40
; NumVgprs: 34
; ScratchSize: 0
; MemoryBound: 0
; FloatMode: 240
; IeeeMode: 1
; LDSByteSize: 144 bytes/workgroup (compile time only)
; SGPRBlocks: 4
; VGPRBlocks: 8
; NumSGPRsForWavesPerEU: 40
; NumVGPRsForWavesPerEU: 34
; Occupancy: 7
; WaveLimiterHint : 1
; COMPUTE_PGM_RSRC2:SCRATCH_EN: 0
; COMPUTE_PGM_RSRC2:USER_SGPR: 6
; COMPUTE_PGM_RSRC2:TRAP_HANDLER: 0
; COMPUTE_PGM_RSRC2:TGID_X_EN: 1
; COMPUTE_PGM_RSRC2:TGID_Y_EN: 1
; COMPUTE_PGM_RSRC2:TGID_Z_EN: 1
; COMPUTE_PGM_RSRC2:TIDIG_COMP_CNT: 0
	.section	.text._ZN4vllm25paged_attention_v1_kernelIttLi80ELi8ELi128ELNS_18Fp8KVCacheDataTypeE0ELb0EEEvPT_PKS2_PKT0_S8_ifPKiSA_iPKfiiiSC_SC_iiiii,"axG",@progbits,_ZN4vllm25paged_attention_v1_kernelIttLi80ELi8ELi128ELNS_18Fp8KVCacheDataTypeE0ELb0EEEvPT_PKS2_PKT0_S8_ifPKiSA_iPKfiiiSC_SC_iiiii,comdat
	.protected	_ZN4vllm25paged_attention_v1_kernelIttLi80ELi8ELi128ELNS_18Fp8KVCacheDataTypeE0ELb0EEEvPT_PKS2_PKT0_S8_ifPKiSA_iPKfiiiSC_SC_iiiii ; -- Begin function _ZN4vllm25paged_attention_v1_kernelIttLi80ELi8ELi128ELNS_18Fp8KVCacheDataTypeE0ELb0EEEvPT_PKS2_PKT0_S8_ifPKiSA_iPKfiiiSC_SC_iiiii
	.globl	_ZN4vllm25paged_attention_v1_kernelIttLi80ELi8ELi128ELNS_18Fp8KVCacheDataTypeE0ELb0EEEvPT_PKS2_PKT0_S8_ifPKiSA_iPKfiiiSC_SC_iiiii
	.p2align	8
	.type	_ZN4vllm25paged_attention_v1_kernelIttLi80ELi8ELi128ELNS_18Fp8KVCacheDataTypeE0ELb0EEEvPT_PKS2_PKT0_S8_ifPKiSA_iPKfiiiSC_SC_iiiii,@function
_ZN4vllm25paged_attention_v1_kernelIttLi80ELi8ELi128ELNS_18Fp8KVCacheDataTypeE0ELb0EEEvPT_PKS2_PKT0_S8_ifPKiSA_iPKfiiiSC_SC_iiiii: ; @_ZN4vllm25paged_attention_v1_kernelIttLi80ELi8ELi128ELNS_18Fp8KVCacheDataTypeE0ELb0EEEvPT_PKS2_PKT0_S8_ifPKiSA_iPKfiiiSC_SC_iiiii
; %bb.0:
	s_load_dword s9, s[4:5], 0x80
	s_load_dwordx2 s[0:1], s[4:5], 0x30
	s_load_dwordx2 s[10:11], s[4:5], 0x20
	s_mov_b32 s16, s7
	s_ashr_i32 s17, s7, 31
	s_lshl_b64 s[2:3], s[16:17], 2
	s_waitcnt lgkmcnt(0)
	s_add_u32 s0, s0, s2
	s_addc_u32 s1, s1, s3
	s_abs_i32 s2, s10
	v_cvt_f32_u32_e32 v1, s2
	s_xor_b32 s3, s9, s10
	s_sub_i32 s10, 0, s2
	s_abs_i32 s7, s9
	v_rcp_iflag_f32_e32 v1, v1
	s_ashr_i32 s3, s3, 31
	v_mul_f32_e32 v1, 0x4f7ffffe, v1
	v_cvt_u32_f32_e32 v1, v1
	v_readfirstlane_b32 s12, v1
	s_mul_i32 s10, s10, s12
	s_mul_hi_u32 s10, s12, s10
	s_add_i32 s12, s12, s10
	s_mul_hi_u32 s10, s7, s12
	s_mul_i32 s12, s10, s2
	s_sub_i32 s7, s7, s12
	s_add_i32 s12, s10, 1
	s_sub_i32 s13, s7, s2
	s_cmp_ge_u32 s7, s2
	s_cselect_b32 s10, s12, s10
	s_cselect_b32 s7, s13, s7
	s_add_i32 s12, s10, 1
	s_cmp_ge_u32 s7, s2
	s_cselect_b32 s2, s12, s10
	s_xor_b32 s2, s2, s3
	s_sub_i32 s12, s2, s3
	s_abs_i32 s20, s12
	v_cvt_f32_u32_e32 v1, s20
	s_load_dwordx2 s[2:3], s[4:5], 0x40
	s_sub_i32 s7, 0, s20
	s_abs_i32 s21, s6
	v_rcp_iflag_f32_e32 v1, v1
	s_mov_b32 s10, 0
	v_mul_f32_e32 v1, 0x4f7ffffe, v1
	v_cvt_u32_f32_e32 v1, v1
	v_readfirstlane_b32 s13, v1
	s_mul_i32 s7, s7, s13
	s_mul_hi_u32 s7, s13, s7
	s_add_i32 s13, s13, s7
	s_waitcnt lgkmcnt(0)
	s_cmp_eq_u64 s[2:3], 0
	s_mul_hi_u32 s24, s21, s13
	s_cbranch_scc1 .LBB65_2
; %bb.1:
	s_ashr_i32 s7, s6, 31
	s_lshl_b64 s[14:15], s[6:7], 2
	s_add_u32 s2, s2, s14
	s_addc_u32 s3, s3, s15
	s_load_dword s10, s[2:3], 0x0
.LBB65_2:
	s_load_dword s17, s[0:1], 0x0
	s_ashr_i32 s25, s12, 31
	s_load_dwordx4 s[12:15], s[4:5], 0x48
	s_movk_i32 s0, 0x50
	s_ashr_i32 s7, s6, 31
	v_and_b32_e32 v1, 7, v0
	s_mul_i32 s18, s6, 0x50
	v_cmp_gt_u32_e64 s[0:1], s0, v0
	v_lshlrev_b32_e32 v7, 1, v0
	s_and_saveexec_b64 s[2:3], s[0:1]
	s_cbranch_execz .LBB65_4
; %bb.3:
	s_load_dwordx2 s[22:23], s[4:5], 0x8
	s_waitcnt lgkmcnt(0)
	s_mul_i32 s26, s12, s16
	s_ashr_i32 s27, s26, 31
	s_lshl_b64 s[26:27], s[26:27], 1
	v_lshrrev_b32_e32 v3, 2, v0
	s_add_u32 s6, s22, s26
	s_addc_u32 s12, s23, s27
	s_ashr_i32 s19, s18, 31
	s_lshl_b64 s[22:23], s[18:19], 1
	s_add_u32 s22, s6, s22
	s_addc_u32 s23, s12, s23
	global_load_ushort v2, v7, s[22:23]
	v_and_b32_e32 v3, 0xfe, v3
	v_mad_u32_u24 v3, v1, 20, v3
	s_waitcnt vmcnt(0)
	ds_write_b16 v3, v2
.LBB65_4:
	s_or_b64 exec, exec, s[2:3]
	s_waitcnt lgkmcnt(0)
	s_add_i32 s3, s17, 7
	s_ashr_i32 s6, s3, 31
	s_lshr_b32 s6, s6, 29
	s_add_i32 s3, s3, s6
	s_mul_i32 s6, s24, s20
	s_sub_i32 s6, s21, s6
	s_ashr_i32 s33, s3, 3
	s_xor_b32 s3, s7, s25
	s_add_i32 s7, s24, 1
	s_sub_i32 s12, s6, s20
	s_load_dwordx2 s[22:23], s[4:5], 0x28
	s_load_dword s2, s[4:5], 0x38
	s_cmp_ge_u32 s6, s20
	s_cselect_b32 s7, s7, s24
	s_cselect_b32 s6, s12, s6
	s_add_i32 s12, s7, 1
	s_cmp_ge_u32 s6, s20
	s_cselect_b32 s6, s12, s7
	v_lshrrev_b32_e32 v8, 6, v0
	s_xor_b32 s6, s6, s3
	s_waitcnt lgkmcnt(0)
	s_mul_i32 s24, s2, s16
	s_sub_i32 s12, s6, s3
	s_ashr_i32 s25, s24, 31
	v_cmp_gt_i32_e64 s[2:3], s33, v8
	v_cmp_le_i32_e32 vcc, s33, v8
	v_mbcnt_lo_u32_b32 v15, -1, 0
	s_barrier
                                        ; implicit-def: $vgpr4
                                        ; implicit-def: $vgpr6
                                        ; implicit-def: $vgpr5
	s_and_saveexec_b64 s[6:7], vcc
	s_xor_b64 s[6:7], exec, s[6:7]
; %bb.5:
	v_mbcnt_hi_u32_b32 v4, -1, v15
	v_and_b32_e32 v6, 64, v4
	v_add_u32_e32 v5, 64, v6
                                        ; implicit-def: $vgpr1
                                        ; implicit-def: $vgpr15
; %bb.6:
	s_or_saveexec_b64 s[28:29], s[6:7]
	s_load_dwordx2 s[20:21], s[4:5], 0x0
	s_load_dwordx2 s[26:27], s[4:5], 0x18
	s_load_dword s19, s[4:5], 0x88
	v_mov_b32_e32 v9, 0xff7fffff
	s_mul_i32 s14, s12, s14
	v_lshrrev_b32_e32 v3, 4, v0
	s_xor_b64 exec, exec, s[28:29]
	s_cbranch_execz .LBB65_12
; %bb.7:
	s_load_dwordx2 s[4:5], s[4:5], 0x10
	s_ashr_i32 s15, s14, 31
	s_lshl_b64 s[6:7], s[14:15], 1
	v_bfe_u32 v2, v0, 3, 3
	v_lshlrev_b32_e32 v4, 4, v2
	s_waitcnt lgkmcnt(0)
	s_add_u32 s4, s4, s6
	s_addc_u32 s5, s5, s7
	v_mov_b32_e32 v5, s5
	v_add_co_u32_e32 v4, vcc, s4, v4
	v_addc_co_u32_e32 v5, vcc, 0, v5, vcc
	v_lshlrev_b32_e32 v6, 1, v1
	v_add_co_u32_e32 v10, vcc, v4, v6
	v_addc_co_u32_e32 v11, vcc, 0, v5, vcc
	v_mul_u32_u24_e32 v12, 20, v1
	v_cmp_eq_u32_e32 vcc, 0, v1
	s_sub_i32 s15, 1, s17
	v_lshlrev_b32_e32 v1, 2, v2
	s_lshl_b64 s[6:7], s[24:25], 2
	v_lshl_or_b32 v1, v8, 5, v1
	s_add_u32 s6, s22, s6
	v_add_u32_e32 v14, 0xb0, v1
	v_and_b32_e32 v1, 60, v3
	s_addc_u32 s7, s23, s7
	v_mbcnt_hi_u32_b32 v4, -1, v15
	v_lshl_or_b32 v13, v8, 3, v2
	v_mov_b32_e32 v2, s7
	v_add_co_u32_e64 v1, s[6:7], s6, v1
	v_and_b32_e32 v6, 64, v4
	s_mov_b32 s12, s13
	v_cmp_neq_f32_e64 s[4:5], s10, 0
	v_addc_co_u32_e64 v2, s[6:7], 0, v2, s[6:7]
	v_mov_b32_e32 v9, 0xff7fffff
	s_mov_b64 s[30:31], 0
	v_add_u32_e32 v5, 64, v6
	v_xor_b32_e32 v15, 4, v4
	v_xor_b32_e32 v16, 2, v4
	;; [unrolled: 1-line block ×3, first 2 shown]
	v_mov_b32_e32 v18, v8
	s_branch .LBB65_9
.LBB65_8:                               ;   in Loop: Header=BB65_9 Depth=1
	s_or_b64 exec, exec, s[34:35]
	v_add_u32_e32 v18, 2, v18
	v_cmp_le_i32_e64 s[6:7], s33, v18
	s_or_b64 s[30:31], s[6:7], s[30:31]
	v_add_co_u32_e64 v1, s[6:7], 8, v1
	v_add_u32_e32 v13, 16, v13
	v_add_u32_e32 v14, 64, v14
	v_addc_co_u32_e64 v2, s[6:7], 0, v2, s[6:7]
	s_andn2_b64 exec, exec, s[30:31]
	s_cbranch_execz .LBB65_11
.LBB65_9:                               ; =>This Inner Loop Header: Depth=1
	global_load_dword v19, v[1:2], off
	s_waitcnt vmcnt(0) lgkmcnt(0)
	v_mad_i64_i32 v[19:20], s[6:7], v19, s12, 0
	v_lshlrev_b64 v[19:20], 1, v[19:20]
	v_add_co_u32_e64 v19, s[6:7], v10, v19
	v_addc_co_u32_e64 v20, s[6:7], v11, v20, s[6:7]
	global_load_ushort v21, v[19:20], off
	global_load_ushort v22, v[19:20], off offset:128
	global_load_ushort v24, v[19:20], off offset:256
	;; [unrolled: 1-line block ×9, first 2 shown]
	ds_read_u16 v19, v12
	s_waitcnt lgkmcnt(0)
	;;#ASMSTART
	v_cvt_f32_f16 v19, v19;
	;;#ASMEND
	v_cmp_lt_i32_e64 s[6:7], v15, v5
	v_cndmask_b32_e64 v33, v4, v15, s[6:7]
	v_lshlrev_b32_e32 v33, 2, v33
	v_cmp_lt_i32_e64 s[6:7], v16, v5
	s_waitcnt vmcnt(9)
	;;#ASMSTART
	v_cvt_f32_f16 v20, v21;
	;;#ASMEND
	ds_read_u16 v21, v12 offset:2
	s_waitcnt lgkmcnt(0)
	;;#ASMSTART
	v_cvt_f32_f16 v21, v21;
	;;#ASMEND
	s_waitcnt vmcnt(8)
	;;#ASMSTART
	v_cvt_f32_f16 v22, v22;
	;;#ASMEND
	v_mul_f32_e32 v21, v21, v22
	ds_read_u16 v23, v12 offset:4
	v_fmac_f32_e32 v21, v19, v20
	s_waitcnt lgkmcnt(0)
	;;#ASMSTART
	v_cvt_f32_f16 v23, v23;
	;;#ASMEND
	s_waitcnt vmcnt(7)
	;;#ASMSTART
	v_cvt_f32_f16 v24, v24;
	;;#ASMEND
	ds_read_u16 v25, v12 offset:6
	v_fmac_f32_e32 v21, v23, v24
	s_waitcnt lgkmcnt(0)
	;;#ASMSTART
	v_cvt_f32_f16 v25, v25;
	;;#ASMEND
	s_waitcnt vmcnt(6)
	;;#ASMSTART
	v_cvt_f32_f16 v26, v26;
	;;#ASMEND
	;; [unrolled: 10-line block ×5, first 2 shown]
	v_fmac_f32_e32 v21, v31, v32
	ds_read_u16 v37, v12 offset:14
	s_waitcnt lgkmcnt(0)
	;;#ASMSTART
	v_cvt_f32_f16 v22, v37;
	;;#ASMEND
	s_waitcnt vmcnt(2)
	;;#ASMSTART
	v_cvt_f32_f16 v34, v34;
	;;#ASMEND
	v_fmac_f32_e32 v21, v22, v34
	ds_read_u16 v37, v12 offset:16
	s_waitcnt lgkmcnt(0)
	;;#ASMSTART
	v_cvt_f32_f16 v19, v37;
	;;#ASMEND
	s_waitcnt vmcnt(1)
	;;#ASMSTART
	v_cvt_f32_f16 v20, v35;
	;;#ASMEND
	;; [unrolled: 10-line block ×3, first 2 shown]
	v_fmac_f32_e32 v21, v19, v20
	ds_bpermute_b32 v19, v33, v21
	v_cndmask_b32_e64 v20, v4, v16, s[6:7]
	v_lshlrev_b32_e32 v20, 2, v20
	v_cmp_lt_i32_e64 s[6:7], v17, v5
	s_waitcnt lgkmcnt(0)
	v_add_f32_e32 v19, v21, v19
	ds_bpermute_b32 v20, v20, v19
	v_cndmask_b32_e64 v21, v4, v17, s[6:7]
	s_waitcnt lgkmcnt(0)
	v_add_f32_e32 v19, v19, v20
	v_lshlrev_b32_e32 v20, 2, v21
	ds_bpermute_b32 v20, v20, v19
	s_and_saveexec_b64 s[34:35], vcc
	s_cbranch_execz .LBB65_8
; %bb.10:                               ;   in Loop: Header=BB65_9 Depth=1
	v_add_u32_e32 v21, s15, v13
	v_cvt_f32_i32_e32 v21, v21
	s_waitcnt lgkmcnt(0)
	v_add_f32_e32 v19, v19, v20
	v_cmp_gt_i32_e64 s[6:7], s17, v13
	v_max_f32_e32 v20, v9, v9
	v_mul_f32_e32 v21, s10, v21
	v_cndmask_b32_e64 v21, 0, v21, s[4:5]
	v_fmac_f32_e32 v21, s11, v19
	v_cndmask_b32_e64 v19, 0, v21, s[6:7]
	ds_write_b32 v14, v19
	v_max_f32_e32 v19, v20, v21
	v_cndmask_b32_e64 v9, v9, v19, s[6:7]
	s_branch .LBB65_8
.LBB65_11:
	s_or_b64 exec, exec, s[30:31]
.LBB65_12:
	s_or_b64 exec, exec, s[28:29]
	v_xor_b32_e32 v1, 32, v4
	v_cmp_lt_i32_e32 vcc, v1, v5
	v_cndmask_b32_e32 v1, v4, v1, vcc
	v_lshlrev_b32_e32 v2, 2, v1
	ds_bpermute_b32 v1, v2, v9
	v_xor_b32_e32 v10, 16, v4
	v_max_f32_e32 v9, v9, v9
	v_cmp_lt_i32_e32 vcc, v10, v5
	v_xor_b32_e32 v12, 8, v4
	s_waitcnt lgkmcnt(0)
	v_max_f32_e32 v1, v1, v1
	v_max_f32_e32 v1, v9, v1
	v_cndmask_b32_e32 v9, v4, v10, vcc
	v_lshlrev_b32_e32 v11, 2, v9
	ds_bpermute_b32 v9, v11, v1
	v_cmp_lt_i32_e32 vcc, v12, v5
	s_waitcnt lgkmcnt(0)
	v_max_f32_e32 v9, v9, v9
	v_max_f32_e32 v10, v1, v9
	v_cndmask_b32_e32 v1, v4, v12, vcc
	v_lshlrev_b32_e32 v13, 2, v1
	ds_bpermute_b32 v12, v13, v10
	v_and_b32_e32 v9, 63, v0
	v_cmp_eq_u32_e32 vcc, 0, v9
	v_lshlrev_b32_e32 v1, 2, v8
	s_and_saveexec_b64 s[4:5], vcc
	s_cbranch_execz .LBB65_14
; %bb.13:
	s_waitcnt lgkmcnt(0)
	v_max_f32_e32 v12, v12, v12
	v_max_f32_e32 v10, v10, v10
	;; [unrolled: 1-line block ×3, first 2 shown]
	ds_write_b32 v1, v10 offset:160
.LBB65_14:
	s_or_b64 exec, exec, s[4:5]
	v_cmp_gt_u32_e64 s[4:5], 2, v9
	v_mov_b32_e32 v14, 0xff7fffff
	v_lshlrev_b32_e32 v10, 2, v9
	s_waitcnt lgkmcnt(0)
	s_barrier
	s_and_saveexec_b64 s[6:7], s[4:5]
; %bb.15:
	ds_read_b32 v14, v10 offset:160
; %bb.16:
	s_or_b64 exec, exec, s[6:7]
	v_xor_b32_e32 v12, 1, v4
	v_cmp_lt_i32_e64 s[6:7], v12, v5
	v_cndmask_b32_e64 v12, v4, v12, s[6:7]
	v_lshlrev_b32_e32 v12, 2, v12
	s_waitcnt lgkmcnt(0)
	ds_bpermute_b32 v15, v12, v14
	v_max_f32_e32 v14, v14, v14
	v_lshlrev_b32_e32 v6, 2, v6
	s_lshl_b32 s6, s33, 3
	s_min_i32 s12, s6, s17
	s_waitcnt lgkmcnt(0)
	v_max_f32_e32 v15, v15, v15
	v_max_f32_e32 v14, v14, v15
	ds_bpermute_b32 v14, v6, v14
	v_cmp_gt_i32_e64 s[6:7], s12, v0
	v_mov_b32_e32 v6, 0
	s_and_saveexec_b64 s[28:29], s[6:7]
	s_cbranch_execz .LBB65_20
; %bb.17:
	v_mov_b32_e32 v6, 0xb0
	v_lshl_add_u32 v15, v0, 2, v6
	v_mov_b32_e32 v6, 0
	s_mov_b64 s[30:31], 0
	v_mov_b32_e32 v16, v0
.LBB65_18:                              ; =>This Inner Loop Header: Depth=1
	ds_read_b32 v17, v15
	v_add_u32_e32 v16, 0x80, v16
	v_cmp_le_i32_e64 s[10:11], s12, v16
	s_or_b64 s[30:31], s[10:11], s[30:31]
	s_waitcnt lgkmcnt(0)
	v_sub_f32_e32 v17, v17, v14
	v_mul_f32_e32 v17, 0x3fb8aa3b, v17
	v_exp_f32_e32 v17, v17
	ds_write_b32 v15, v17
	v_add_f32_e32 v6, v6, v17
	v_add_u32_e32 v15, 0x200, v15
	s_andn2_b64 exec, exec, s[30:31]
	s_cbranch_execnz .LBB65_18
; %bb.19:
	s_or_b64 exec, exec, s[30:31]
.LBB65_20:
	s_or_b64 exec, exec, s[28:29]
	ds_bpermute_b32 v2, v2, v6
	s_waitcnt lgkmcnt(0)
	v_add_f32_e32 v2, v6, v2
	ds_bpermute_b32 v6, v11, v2
	v_xor_b32_e32 v11, 4, v4
	v_cmp_lt_i32_e64 s[10:11], v11, v5
	v_cndmask_b32_e64 v11, v4, v11, s[10:11]
	v_lshlrev_b32_e32 v11, 2, v11
	s_waitcnt lgkmcnt(0)
	v_add_f32_e32 v2, v2, v6
	ds_bpermute_b32 v6, v13, v2
	s_waitcnt lgkmcnt(0)
	v_add_f32_e32 v2, v2, v6
	ds_bpermute_b32 v6, v11, v2
	v_xor_b32_e32 v11, 2, v4
	v_cmp_lt_i32_e64 s[10:11], v11, v5
	v_cndmask_b32_e64 v5, v4, v11, s[10:11]
	v_lshlrev_b32_e32 v5, 2, v5
	s_waitcnt lgkmcnt(0)
	v_add_f32_e32 v2, v2, v6
	ds_bpermute_b32 v5, v5, v2
	s_waitcnt lgkmcnt(0)
	v_add_f32_e32 v2, v2, v5
	ds_bpermute_b32 v5, v12, v2
	s_waitcnt lgkmcnt(0)
	v_add_f32_e32 v2, v2, v5
	s_and_saveexec_b64 s[10:11], vcc
; %bb.21:
	ds_write_b32 v1, v2 offset:168
; %bb.22:
	s_or_b64 exec, exec, s[10:11]
	s_waitcnt lgkmcnt(0)
	s_barrier
	s_and_saveexec_b64 s[10:11], s[4:5]
; %bb.23:
	ds_read_b32 v2, v10 offset:168
; %bb.24:
	s_or_b64 exec, exec, s[10:11]
	s_waitcnt lgkmcnt(0)
	ds_bpermute_b32 v1, v12, v2
	v_lshlrev_b32_e32 v4, 2, v4
	s_waitcnt lgkmcnt(0)
	v_add_f32_e32 v1, v2, v1
	v_and_b32_e32 v2, 0xffffff00, v4
	ds_bpermute_b32 v1, v2, v1
	s_and_saveexec_b64 s[4:5], s[6:7]
	s_cbranch_execz .LBB65_27
; %bb.25:
	s_waitcnt lgkmcnt(0)
	v_add_f32_e32 v2, 0x358637bd, v1
	v_div_scale_f32 v1, s[6:7], v2, v2, 1.0
	v_div_scale_f32 v4, vcc, 1.0, v2, 1.0
	s_mov_b64 s[6:7], 0
	v_rcp_f32_e32 v5, v1
	v_fma_f32 v6, -v1, v5, 1.0
	v_fmac_f32_e32 v5, v6, v5
	v_mul_f32_e32 v6, v4, v5
	v_fma_f32 v10, -v1, v6, v4
	v_fmac_f32_e32 v6, v10, v5
	v_fma_f32 v1, -v1, v6, v4
	v_div_fmas_f32 v4, v1, v5, v6
	v_mov_b32_e32 v1, 0xb0
	v_lshl_add_u32 v1, v0, 2, v1
	v_div_fixup_f32 v2, v4, v2, 1.0
	v_mov_b32_e32 v4, v0
.LBB65_26:                              ; =>This Inner Loop Header: Depth=1
	ds_read_b32 v5, v1
	v_add_u32_e32 v4, 0x80, v4
	v_cmp_le_i32_e32 vcc, s12, v4
	s_or_b64 s[6:7], vcc, s[6:7]
	s_waitcnt lgkmcnt(0)
	v_mul_f32_e32 v5, v2, v5
	ds_write_b32 v1, v5
	v_add_u32_e32 v1, 0x200, v1
	s_andn2_b64 exec, exec, s[6:7]
	s_cbranch_execnz .LBB65_26
.LBB65_27:
	s_or_b64 exec, exec, s[4:5]
	v_mov_b32_e32 v11, 0
	v_mov_b32_e32 v10, 0
	s_waitcnt lgkmcnt(0)
	s_barrier
	s_and_saveexec_b64 s[6:7], s[2:3]
	s_cbranch_execz .LBB65_37
; %bb.28:
	s_ashr_i32 s15, s14, 31
	s_lshl_b64 s[2:3], s[14:15], 1
	s_add_u32 s26, s26, s2
	s_addc_u32 s12, s27, s3
	s_add_i32 s27, s33, -1
	s_lshl_b64 s[4:5], s[24:25], 2
	s_add_u32 s4, s22, s4
	v_or_b32_e32 v2, 64, v9
	s_movk_i32 s2, 0x50
	v_mov_b32_e32 v4, 0xb0
	v_and_b32_e32 v3, 60, v3
	s_addc_u32 s5, s23, s5
	v_lshlrev_b32_e32 v1, 3, v9
	v_cmp_gt_u32_e64 s[2:3], s2, v2
	v_lshlrev_b32_e32 v2, 3, v2
	v_lshl_add_u32 v14, v8, 5, v4
	v_mov_b32_e32 v4, s5
	v_add_co_u32_e32 v5, vcc, s4, v3
	s_mov_b32 s28, s13
	v_mov_b32_e32 v12, 0
	v_lshl_or_b32 v13, v8, 3, 7
	v_addc_co_u32_e32 v6, vcc, 0, v4, vcc
	s_mov_b64 s[10:11], 0
	v_mov_b32_e32 v15, s12
	v_lshlrev_b32_e32 v16, 1, v1
	s_mov_b32 s22, 0xffff
	v_lshlrev_b32_e32 v17, 1, v2
	v_mov_b32_e32 v10, 0
	v_mov_b32_e32 v11, 0
	s_branch .LBB65_31
.LBB65_29:                              ;   in Loop: Header=BB65_31 Depth=1
	s_or_b64 exec, exec, s[14:15]
	v_lshlrev_b32_e32 v18, 16, v27
	v_and_or_b32 v1, v1, s22, v18
	v_lshlrev_b32_e32 v18, 16, v26
	v_and_or_b32 v2, v2, s22, v18
	;; [unrolled: 2-line block ×3, first 2 shown]
	;;#ASMSTART
	v_pk_mul_f16 v1, v22, v1;

	;;#ASMEND
	;;#ASMSTART
	v_pk_mul_f16 v2, v23, v2;

	;;#ASMEND
	;; [unrolled: 4-line block ×4, first 2 shown]
	;;#ASMSTART
	v_pk_add_f16 v1, v1, v2;

	;;#ASMEND
	;;#ASMSTART
	v_pk_add_f16 v1, v1, v3;

	;;#ASMEND
	;; [unrolled: 4-line block ×3, first 2 shown]
	v_lshrrev_b32_e32 v2, 16, v1
	v_and_b32_e32 v1, 0xffff, v1
	;;#ASMSTART
	v_cvt_f32_f16 v1, v1;
	;;#ASMEND
	;;#ASMSTART
	v_cvt_f32_f16 v2, v2;
	;;#ASMEND
	v_add_f32_e32 v1, v1, v2
	v_add_f32_e32 v10, v10, v1
.LBB65_30:                              ;   in Loop: Header=BB65_31 Depth=1
	s_or_b64 exec, exec, s[12:13]
	v_add_u32_e32 v8, 2, v8
	v_cmp_le_i32_e32 vcc, s33, v8
	v_add_f32_e32 v1, v19, v20
	s_or_b64 s[10:11], vcc, s[10:11]
	v_add_co_u32_e32 v5, vcc, 8, v5
	v_add_f32_e32 v11, v11, v1
	v_add_u32_e32 v13, 16, v13
	v_add_u32_e32 v14, 64, v14
	v_addc_co_u32_e32 v6, vcc, 0, v6, vcc
	s_andn2_b64 exec, exec, s[10:11]
	s_cbranch_execz .LBB65_36
.LBB65_31:                              ; =>This Inner Loop Header: Depth=1
	global_load_dword v18, v[5:6], off
	ds_read2_b64 v[1:4], v14 offset1:1
	ds_read2_b64 v[26:29], v14 offset0:2 offset1:3
	s_waitcnt lgkmcnt(1)
	;;#ASMSTART
	v_cvt_f16_f32 v19, v1;

	;;#ASMEND
	;;#ASMSTART
	v_cvt_f16_f32 v20, v2;

	;;#ASMEND
	;; [unrolled: 4-line block ×4, first 2 shown]
	s_waitcnt lgkmcnt(0)
	;;#ASMSTART
	v_cvt_f16_f32 v24, v26;

	;;#ASMEND
	;;#ASMSTART
	v_cvt_f16_f32 v27, v27;

	;;#ASMEND
	;; [unrolled: 4-line block ×4, first 2 shown]
	s_waitcnt vmcnt(0)
	v_mad_i64_i32 v[1:2], s[4:5], v18, s28, 0
	v_add_u32_e32 v18, -7, v13
	v_cmp_eq_u32_e64 s[4:5], s27, v8
	v_lshlrev_b64 v[1:2], 1, v[1:2]
	v_add_co_u32_e32 v25, vcc, s26, v1
	v_addc_co_u32_e32 v26, vcc, v15, v2, vcc
	v_add_co_u32_e32 v1, vcc, v25, v16
	v_addc_co_u32_e32 v2, vcc, 0, v26, vcc
	global_load_dwordx4 v[1:4], v[1:2], off
	s_waitcnt vmcnt(0)
	v_lshrrev_b32_e32 v32, 16, v1
	v_lshrrev_b32_e32 v31, 16, v2
	;; [unrolled: 1-line block ×3, first 2 shown]
	s_and_saveexec_b64 s[12:13], s[4:5]
	s_cbranch_execz .LBB65_33
; %bb.32:                               ;   in Loop: Header=BB65_31 Depth=1
	v_cmp_gt_i32_e32 vcc, s17, v18
	v_add_u32_e32 v22, -6, v13
	v_cndmask_b32_e32 v1, 0, v1, vcc
	v_cmp_gt_i32_e32 vcc, s17, v22
	v_add_u32_e32 v22, -5, v13
	v_cndmask_b32_e32 v32, 0, v32, vcc
	;; [unrolled: 3-line block ×6, first 2 shown]
	v_cmp_gt_i32_e32 vcc, s17, v22
	v_cndmask_b32_sdwa v22, v12, v4, vcc dst_sel:DWORD dst_unused:UNUSED_PAD src0_sel:DWORD src1_sel:WORD_0
	v_and_b32_e32 v4, 0xffff0000, v4
	v_cmp_gt_i32_e32 vcc, s17, v13
	v_cndmask_b32_e32 v4, 0, v4, vcc
	v_or_b32_e32 v4, v22, v4
.LBB65_33:                              ;   in Loop: Header=BB65_31 Depth=1
	s_or_b64 exec, exec, s[12:13]
	v_and_b32_e32 v19, 0xffff, v19
	v_lshl_or_b32 v22, v20, 16, v19
	v_and_b32_e32 v19, 0xffff, v21
	v_lshl_or_b32 v23, v23, 16, v19
	;; [unrolled: 2-line block ×4, first 2 shown]
	v_lshlrev_b32_e32 v19, 16, v32
	v_and_or_b32 v1, v1, s22, v19
	v_lshlrev_b32_e32 v19, 16, v31
	v_and_or_b32 v2, v2, s22, v19
	;; [unrolled: 2-line block ×3, first 2 shown]
	;;#ASMSTART
	v_pk_mul_f16 v1, v22, v1;

	;;#ASMEND
	;;#ASMSTART
	v_pk_mul_f16 v2, v23, v2;

	;;#ASMEND
	;; [unrolled: 4-line block ×4, first 2 shown]
	;;#ASMSTART
	v_pk_add_f16 v1, v1, v2;

	;;#ASMEND
	;;#ASMSTART
	v_pk_add_f16 v1, v1, v3;

	;;#ASMEND
	;; [unrolled: 4-line block ×3, first 2 shown]
	v_lshrrev_b32_e32 v2, 16, v1
	v_and_b32_e32 v1, 0xffff, v1
	;;#ASMSTART
	v_cvt_f32_f16 v19, v1;
	;;#ASMEND
	;;#ASMSTART
	v_cvt_f32_f16 v20, v2;
	;;#ASMEND
	s_and_saveexec_b64 s[12:13], s[2:3]
	s_cbranch_execz .LBB65_30
; %bb.34:                               ;   in Loop: Header=BB65_31 Depth=1
	v_add_co_u32_e32 v1, vcc, v25, v17
	v_addc_co_u32_e32 v2, vcc, 0, v26, vcc
	global_load_dwordx4 v[1:4], v[1:2], off
	s_waitcnt vmcnt(0)
	v_lshrrev_b32_e32 v27, 16, v1
	v_lshrrev_b32_e32 v26, 16, v2
	;; [unrolled: 1-line block ×3, first 2 shown]
	s_and_saveexec_b64 s[14:15], s[4:5]
	s_cbranch_execz .LBB65_29
; %bb.35:                               ;   in Loop: Header=BB65_31 Depth=1
	v_cmp_gt_i32_e32 vcc, s17, v18
	v_add_u32_e32 v18, -6, v13
	v_cndmask_b32_e32 v1, 0, v1, vcc
	v_cmp_gt_i32_e32 vcc, s17, v18
	v_add_u32_e32 v18, -5, v13
	v_cndmask_b32_e32 v27, 0, v27, vcc
	;; [unrolled: 3-line block ×6, first 2 shown]
	v_cmp_gt_i32_e32 vcc, s17, v18
	v_cndmask_b32_sdwa v18, v12, v4, vcc dst_sel:DWORD dst_unused:UNUSED_PAD src0_sel:DWORD src1_sel:WORD_0
	v_and_b32_e32 v4, 0xffff0000, v4
	v_cmp_gt_i32_e32 vcc, s17, v13
	v_cndmask_b32_e32 v4, 0, v4, vcc
	v_or_b32_e32 v4, v18, v4
	s_branch .LBB65_29
.LBB65_36:
	s_or_b64 exec, exec, s[10:11]
.LBB65_37:
	s_or_b64 exec, exec, s[6:7]
	v_and_b32_e32 v1, 0x3c0, v0
	v_cmp_eq_u32_e32 vcc, 64, v1
	s_barrier
	s_and_saveexec_b64 s[2:3], vcc
	s_cbranch_execz .LBB65_40
; %bb.38:
	v_mov_b32_e32 v1, 0xb0
	v_lshl_add_u32 v2, v9, 2, v1
	ds_write_b32 v2, v11
	s_and_b64 exec, exec, s[0:1]
; %bb.39:
	v_lshl_add_u32 v1, v0, 2, v1
	ds_write_b32 v1, v10
.LBB65_40:
	s_or_b64 exec, exec, s[2:3]
	v_cmp_gt_u32_e32 vcc, 64, v0
	v_or_b32_e32 v1, 64, v0
	s_waitcnt lgkmcnt(0)
	s_barrier
	s_and_saveexec_b64 s[2:3], vcc
	s_cbranch_execz .LBB65_44
; %bb.41:
	v_mov_b32_e32 v2, 0xb0
	v_lshl_add_u32 v2, v0, 2, v2
	ds_read_b32 v0, v2
	s_movk_i32 s0, 0x50
	v_cmp_gt_u32_e64 s[0:1], s0, v1
	s_and_saveexec_b64 s[4:5], s[0:1]
	s_cbranch_execz .LBB65_43
; %bb.42:
	ds_read_b32 v2, v2 offset:256
	s_waitcnt lgkmcnt(0)
	v_add_f32_e32 v10, v10, v2
.LBB65_43:
	s_or_b64 exec, exec, s[4:5]
	s_waitcnt lgkmcnt(0)
	v_add_f32_e32 v11, v11, v0
.LBB65_44:
	s_or_b64 exec, exec, s[2:3]
	s_barrier
	s_and_saveexec_b64 s[0:1], vcc
	s_cbranch_execz .LBB65_47
; %bb.45:
	s_mul_i32 s0, s16, s19
	s_mul_i32 s0, s0, s9
	s_mulk_i32 s0, 0x50
	s_ashr_i32 s1, s0, 31
	s_lshl_b64 s[0:1], s[0:1], 1
	s_add_u32 s3, s20, s0
	s_mul_i32 s0, s19, s18
	s_addc_u32 s4, s21, s1
	s_ashr_i32 s1, s0, 31
	s_lshl_b64 s[0:1], s[0:1], 1
	s_add_u32 s3, s3, s0
	s_mul_i32 s0, s8, 0x50
	s_addc_u32 s4, s4, s1
	s_ashr_i32 s1, s0, 31
	s_lshl_b64 s[0:1], s[0:1], 1
	s_movk_i32 s2, 0x50
	s_add_u32 s0, s3, s0
	s_addc_u32 s1, s4, s1
	v_cmp_gt_u32_e32 vcc, s2, v1
	;;#ASMSTART
	v_cvt_f16_f32 v0, v11;

	;;#ASMEND
	global_store_short v7, v0, s[0:1]
	s_and_b64 exec, exec, vcc
	s_cbranch_execz .LBB65_47
; %bb.46:
	v_mov_b32_e32 v1, s1
	v_add_co_u32_e32 v0, vcc, s0, v7
	v_addc_co_u32_e32 v1, vcc, 0, v1, vcc
	;;#ASMSTART
	v_cvt_f16_f32 v2, v10;

	;;#ASMEND
	global_store_short v[0:1], v2, off offset:128
.LBB65_47:
	s_endpgm
	.section	.rodata,"a",@progbits
	.p2align	6, 0x0
	.amdhsa_kernel _ZN4vllm25paged_attention_v1_kernelIttLi80ELi8ELi128ELNS_18Fp8KVCacheDataTypeE0ELb0EEEvPT_PKS2_PKT0_S8_ifPKiSA_iPKfiiiSC_SC_iiiii
		.amdhsa_group_segment_fixed_size 176
		.amdhsa_private_segment_fixed_size 0
		.amdhsa_kernarg_size 384
		.amdhsa_user_sgpr_count 6
		.amdhsa_user_sgpr_private_segment_buffer 1
		.amdhsa_user_sgpr_dispatch_ptr 0
		.amdhsa_user_sgpr_queue_ptr 0
		.amdhsa_user_sgpr_kernarg_segment_ptr 1
		.amdhsa_user_sgpr_dispatch_id 0
		.amdhsa_user_sgpr_flat_scratch_init 0
		.amdhsa_user_sgpr_private_segment_size 0
		.amdhsa_uses_dynamic_stack 0
		.amdhsa_system_sgpr_private_segment_wavefront_offset 0
		.amdhsa_system_sgpr_workgroup_id_x 1
		.amdhsa_system_sgpr_workgroup_id_y 1
		.amdhsa_system_sgpr_workgroup_id_z 1
		.amdhsa_system_sgpr_workgroup_info 0
		.amdhsa_system_vgpr_workitem_id 0
		.amdhsa_next_free_vgpr 38
		.amdhsa_next_free_sgpr 36
		.amdhsa_reserve_vcc 1
		.amdhsa_reserve_flat_scratch 0
		.amdhsa_float_round_mode_32 0
		.amdhsa_float_round_mode_16_64 0
		.amdhsa_float_denorm_mode_32 3
		.amdhsa_float_denorm_mode_16_64 3
		.amdhsa_dx10_clamp 1
		.amdhsa_ieee_mode 1
		.amdhsa_fp16_overflow 0
		.amdhsa_exception_fp_ieee_invalid_op 0
		.amdhsa_exception_fp_denorm_src 0
		.amdhsa_exception_fp_ieee_div_zero 0
		.amdhsa_exception_fp_ieee_overflow 0
		.amdhsa_exception_fp_ieee_underflow 0
		.amdhsa_exception_fp_ieee_inexact 0
		.amdhsa_exception_int_div_zero 0
	.end_amdhsa_kernel
	.section	.text._ZN4vllm25paged_attention_v1_kernelIttLi80ELi8ELi128ELNS_18Fp8KVCacheDataTypeE0ELb0EEEvPT_PKS2_PKT0_S8_ifPKiSA_iPKfiiiSC_SC_iiiii,"axG",@progbits,_ZN4vllm25paged_attention_v1_kernelIttLi80ELi8ELi128ELNS_18Fp8KVCacheDataTypeE0ELb0EEEvPT_PKS2_PKT0_S8_ifPKiSA_iPKfiiiSC_SC_iiiii,comdat
.Lfunc_end65:
	.size	_ZN4vllm25paged_attention_v1_kernelIttLi80ELi8ELi128ELNS_18Fp8KVCacheDataTypeE0ELb0EEEvPT_PKS2_PKT0_S8_ifPKiSA_iPKfiiiSC_SC_iiiii, .Lfunc_end65-_ZN4vllm25paged_attention_v1_kernelIttLi80ELi8ELi128ELNS_18Fp8KVCacheDataTypeE0ELb0EEEvPT_PKS2_PKT0_S8_ifPKiSA_iPKfiiiSC_SC_iiiii
                                        ; -- End function
	.set _ZN4vllm25paged_attention_v1_kernelIttLi80ELi8ELi128ELNS_18Fp8KVCacheDataTypeE0ELb0EEEvPT_PKS2_PKT0_S8_ifPKiSA_iPKfiiiSC_SC_iiiii.num_vgpr, 38
	.set _ZN4vllm25paged_attention_v1_kernelIttLi80ELi8ELi128ELNS_18Fp8KVCacheDataTypeE0ELb0EEEvPT_PKS2_PKT0_S8_ifPKiSA_iPKfiiiSC_SC_iiiii.num_agpr, 0
	.set _ZN4vllm25paged_attention_v1_kernelIttLi80ELi8ELi128ELNS_18Fp8KVCacheDataTypeE0ELb0EEEvPT_PKS2_PKT0_S8_ifPKiSA_iPKfiiiSC_SC_iiiii.numbered_sgpr, 36
	.set _ZN4vllm25paged_attention_v1_kernelIttLi80ELi8ELi128ELNS_18Fp8KVCacheDataTypeE0ELb0EEEvPT_PKS2_PKT0_S8_ifPKiSA_iPKfiiiSC_SC_iiiii.num_named_barrier, 0
	.set _ZN4vllm25paged_attention_v1_kernelIttLi80ELi8ELi128ELNS_18Fp8KVCacheDataTypeE0ELb0EEEvPT_PKS2_PKT0_S8_ifPKiSA_iPKfiiiSC_SC_iiiii.private_seg_size, 0
	.set _ZN4vllm25paged_attention_v1_kernelIttLi80ELi8ELi128ELNS_18Fp8KVCacheDataTypeE0ELb0EEEvPT_PKS2_PKT0_S8_ifPKiSA_iPKfiiiSC_SC_iiiii.uses_vcc, 1
	.set _ZN4vllm25paged_attention_v1_kernelIttLi80ELi8ELi128ELNS_18Fp8KVCacheDataTypeE0ELb0EEEvPT_PKS2_PKT0_S8_ifPKiSA_iPKfiiiSC_SC_iiiii.uses_flat_scratch, 0
	.set _ZN4vllm25paged_attention_v1_kernelIttLi80ELi8ELi128ELNS_18Fp8KVCacheDataTypeE0ELb0EEEvPT_PKS2_PKT0_S8_ifPKiSA_iPKfiiiSC_SC_iiiii.has_dyn_sized_stack, 0
	.set _ZN4vllm25paged_attention_v1_kernelIttLi80ELi8ELi128ELNS_18Fp8KVCacheDataTypeE0ELb0EEEvPT_PKS2_PKT0_S8_ifPKiSA_iPKfiiiSC_SC_iiiii.has_recursion, 0
	.set _ZN4vllm25paged_attention_v1_kernelIttLi80ELi8ELi128ELNS_18Fp8KVCacheDataTypeE0ELb0EEEvPT_PKS2_PKT0_S8_ifPKiSA_iPKfiiiSC_SC_iiiii.has_indirect_call, 0
	.section	.AMDGPU.csdata,"",@progbits
; Kernel info:
; codeLenInByte = 3636
; TotalNumSgprs: 40
; NumVgprs: 38
; ScratchSize: 0
; MemoryBound: 0
; FloatMode: 240
; IeeeMode: 1
; LDSByteSize: 176 bytes/workgroup (compile time only)
; SGPRBlocks: 4
; VGPRBlocks: 9
; NumSGPRsForWavesPerEU: 40
; NumVGPRsForWavesPerEU: 38
; Occupancy: 6
; WaveLimiterHint : 1
; COMPUTE_PGM_RSRC2:SCRATCH_EN: 0
; COMPUTE_PGM_RSRC2:USER_SGPR: 6
; COMPUTE_PGM_RSRC2:TRAP_HANDLER: 0
; COMPUTE_PGM_RSRC2:TGID_X_EN: 1
; COMPUTE_PGM_RSRC2:TGID_Y_EN: 1
; COMPUTE_PGM_RSRC2:TGID_Z_EN: 1
; COMPUTE_PGM_RSRC2:TIDIG_COMP_CNT: 0
	.section	.text._ZN4vllm25paged_attention_v1_kernelIttLi96ELi8ELi128ELNS_18Fp8KVCacheDataTypeE0ELb0EEEvPT_PKS2_PKT0_S8_ifPKiSA_iPKfiiiSC_SC_iiiii,"axG",@progbits,_ZN4vllm25paged_attention_v1_kernelIttLi96ELi8ELi128ELNS_18Fp8KVCacheDataTypeE0ELb0EEEvPT_PKS2_PKT0_S8_ifPKiSA_iPKfiiiSC_SC_iiiii,comdat
	.protected	_ZN4vllm25paged_attention_v1_kernelIttLi96ELi8ELi128ELNS_18Fp8KVCacheDataTypeE0ELb0EEEvPT_PKS2_PKT0_S8_ifPKiSA_iPKfiiiSC_SC_iiiii ; -- Begin function _ZN4vllm25paged_attention_v1_kernelIttLi96ELi8ELi128ELNS_18Fp8KVCacheDataTypeE0ELb0EEEvPT_PKS2_PKT0_S8_ifPKiSA_iPKfiiiSC_SC_iiiii
	.globl	_ZN4vllm25paged_attention_v1_kernelIttLi96ELi8ELi128ELNS_18Fp8KVCacheDataTypeE0ELb0EEEvPT_PKS2_PKT0_S8_ifPKiSA_iPKfiiiSC_SC_iiiii
	.p2align	8
	.type	_ZN4vllm25paged_attention_v1_kernelIttLi96ELi8ELi128ELNS_18Fp8KVCacheDataTypeE0ELb0EEEvPT_PKS2_PKT0_S8_ifPKiSA_iPKfiiiSC_SC_iiiii,@function
_ZN4vllm25paged_attention_v1_kernelIttLi96ELi8ELi128ELNS_18Fp8KVCacheDataTypeE0ELb0EEEvPT_PKS2_PKT0_S8_ifPKiSA_iPKfiiiSC_SC_iiiii: ; @_ZN4vllm25paged_attention_v1_kernelIttLi96ELi8ELi128ELNS_18Fp8KVCacheDataTypeE0ELb0EEEvPT_PKS2_PKT0_S8_ifPKiSA_iPKfiiiSC_SC_iiiii
; %bb.0:
	s_load_dword s9, s[4:5], 0x80
	s_load_dwordx2 s[0:1], s[4:5], 0x30
	s_load_dwordx2 s[10:11], s[4:5], 0x20
	s_mov_b32 s16, s7
	s_ashr_i32 s17, s7, 31
	s_lshl_b64 s[2:3], s[16:17], 2
	s_waitcnt lgkmcnt(0)
	s_add_u32 s0, s0, s2
	s_addc_u32 s1, s1, s3
	s_abs_i32 s2, s10
	v_cvt_f32_u32_e32 v1, s2
	s_xor_b32 s3, s9, s10
	s_sub_i32 s10, 0, s2
	s_abs_i32 s7, s9
	v_rcp_iflag_f32_e32 v1, v1
	s_ashr_i32 s3, s3, 31
	v_mul_f32_e32 v1, 0x4f7ffffe, v1
	v_cvt_u32_f32_e32 v1, v1
	v_readfirstlane_b32 s12, v1
	s_mul_i32 s10, s10, s12
	s_mul_hi_u32 s10, s12, s10
	s_add_i32 s12, s12, s10
	s_mul_hi_u32 s10, s7, s12
	s_mul_i32 s12, s10, s2
	s_sub_i32 s7, s7, s12
	s_add_i32 s12, s10, 1
	s_sub_i32 s13, s7, s2
	s_cmp_ge_u32 s7, s2
	s_cselect_b32 s10, s12, s10
	s_cselect_b32 s7, s13, s7
	s_add_i32 s12, s10, 1
	s_cmp_ge_u32 s7, s2
	s_cselect_b32 s2, s12, s10
	s_xor_b32 s2, s2, s3
	s_sub_i32 s12, s2, s3
	s_abs_i32 s20, s12
	v_cvt_f32_u32_e32 v1, s20
	s_load_dwordx2 s[2:3], s[4:5], 0x40
	s_sub_i32 s7, 0, s20
	s_abs_i32 s21, s6
	v_rcp_iflag_f32_e32 v1, v1
	s_mov_b32 s10, 0
	v_mul_f32_e32 v1, 0x4f7ffffe, v1
	v_cvt_u32_f32_e32 v1, v1
	v_readfirstlane_b32 s13, v1
	s_mul_i32 s7, s7, s13
	s_mul_hi_u32 s7, s13, s7
	s_add_i32 s13, s13, s7
	s_waitcnt lgkmcnt(0)
	s_cmp_eq_u64 s[2:3], 0
	s_mul_hi_u32 s24, s21, s13
	s_cbranch_scc1 .LBB66_2
; %bb.1:
	s_ashr_i32 s7, s6, 31
	s_lshl_b64 s[14:15], s[6:7], 2
	s_add_u32 s2, s2, s14
	s_addc_u32 s3, s3, s15
	s_load_dword s10, s[2:3], 0x0
.LBB66_2:
	s_load_dword s17, s[0:1], 0x0
	s_ashr_i32 s25, s12, 31
	s_load_dwordx4 s[12:15], s[4:5], 0x48
	s_movk_i32 s0, 0x60
	s_ashr_i32 s7, s6, 31
	v_and_b32_e32 v1, 7, v0
	s_mul_i32 s18, s6, 0x60
	v_cmp_gt_u32_e64 s[0:1], s0, v0
	v_lshlrev_b32_e32 v7, 1, v0
	s_and_saveexec_b64 s[2:3], s[0:1]
	s_cbranch_execz .LBB66_4
; %bb.3:
	s_load_dwordx2 s[22:23], s[4:5], 0x8
	s_waitcnt lgkmcnt(0)
	s_mul_i32 s26, s12, s16
	s_ashr_i32 s27, s26, 31
	s_lshl_b64 s[26:27], s[26:27], 1
	v_lshrrev_b32_e32 v3, 2, v0
	s_add_u32 s6, s22, s26
	s_addc_u32 s12, s23, s27
	s_ashr_i32 s19, s18, 31
	s_lshl_b64 s[22:23], s[18:19], 1
	s_add_u32 s22, s6, s22
	s_addc_u32 s23, s12, s23
	global_load_ushort v2, v7, s[22:23]
	v_and_b32_e32 v3, 0xfe, v3
	v_mad_u32_u24 v3, v1, 24, v3
	s_waitcnt vmcnt(0)
	ds_write_b16 v3, v2
.LBB66_4:
	s_or_b64 exec, exec, s[2:3]
	s_waitcnt lgkmcnt(0)
	s_add_i32 s3, s17, 7
	s_ashr_i32 s6, s3, 31
	s_lshr_b32 s6, s6, 29
	s_add_i32 s3, s3, s6
	s_mul_i32 s6, s24, s20
	s_sub_i32 s6, s21, s6
	s_ashr_i32 s33, s3, 3
	s_xor_b32 s3, s7, s25
	s_add_i32 s7, s24, 1
	s_sub_i32 s12, s6, s20
	s_load_dwordx2 s[22:23], s[4:5], 0x28
	s_load_dword s2, s[4:5], 0x38
	s_cmp_ge_u32 s6, s20
	s_cselect_b32 s7, s7, s24
	s_cselect_b32 s6, s12, s6
	s_add_i32 s12, s7, 1
	s_cmp_ge_u32 s6, s20
	s_cselect_b32 s6, s12, s7
	v_lshrrev_b32_e32 v8, 6, v0
	s_xor_b32 s6, s6, s3
	s_waitcnt lgkmcnt(0)
	s_mul_i32 s24, s2, s16
	s_sub_i32 s12, s6, s3
	s_ashr_i32 s25, s24, 31
	v_cmp_gt_i32_e64 s[2:3], s33, v8
	v_cmp_le_i32_e32 vcc, s33, v8
	v_mbcnt_lo_u32_b32 v15, -1, 0
	s_barrier
                                        ; implicit-def: $vgpr4
                                        ; implicit-def: $vgpr6
                                        ; implicit-def: $vgpr5
	s_and_saveexec_b64 s[6:7], vcc
	s_xor_b64 s[6:7], exec, s[6:7]
; %bb.5:
	v_mbcnt_hi_u32_b32 v4, -1, v15
	v_and_b32_e32 v6, 64, v4
	v_add_u32_e32 v5, 64, v6
                                        ; implicit-def: $vgpr1
                                        ; implicit-def: $vgpr15
; %bb.6:
	s_or_saveexec_b64 s[28:29], s[6:7]
	s_load_dwordx2 s[20:21], s[4:5], 0x0
	s_load_dwordx2 s[26:27], s[4:5], 0x18
	s_load_dword s19, s[4:5], 0x88
	v_mov_b32_e32 v9, 0xff7fffff
	s_mul_i32 s14, s12, s14
	v_lshrrev_b32_e32 v3, 4, v0
	s_xor_b64 exec, exec, s[28:29]
	s_cbranch_execz .LBB66_12
; %bb.7:
	s_load_dwordx2 s[4:5], s[4:5], 0x10
	s_ashr_i32 s15, s14, 31
	s_lshl_b64 s[6:7], s[14:15], 1
	v_bfe_u32 v2, v0, 3, 3
	v_lshlrev_b32_e32 v4, 4, v2
	s_waitcnt lgkmcnt(0)
	s_add_u32 s4, s4, s6
	s_addc_u32 s5, s5, s7
	v_mov_b32_e32 v5, s5
	v_add_co_u32_e32 v4, vcc, s4, v4
	v_addc_co_u32_e32 v5, vcc, 0, v5, vcc
	v_lshlrev_b32_e32 v6, 1, v1
	v_add_co_u32_e32 v10, vcc, v4, v6
	v_addc_co_u32_e32 v11, vcc, 0, v5, vcc
	v_mul_u32_u24_e32 v12, 24, v1
	v_cmp_eq_u32_e32 vcc, 0, v1
	s_sub_i32 s15, 1, s17
	v_lshlrev_b32_e32 v1, 2, v2
	s_lshl_b64 s[6:7], s[24:25], 2
	v_lshl_or_b32 v1, v8, 5, v1
	s_add_u32 s6, s22, s6
	v_add_u32_e32 v14, 0xd0, v1
	v_and_b32_e32 v1, 60, v3
	s_addc_u32 s7, s23, s7
	v_mbcnt_hi_u32_b32 v4, -1, v15
	v_lshl_or_b32 v13, v8, 3, v2
	v_mov_b32_e32 v2, s7
	v_add_co_u32_e64 v1, s[6:7], s6, v1
	v_and_b32_e32 v6, 64, v4
	s_mov_b32 s12, s13
	v_cmp_neq_f32_e64 s[4:5], s10, 0
	v_addc_co_u32_e64 v2, s[6:7], 0, v2, s[6:7]
	v_mov_b32_e32 v9, 0xff7fffff
	s_mov_b64 s[30:31], 0
	v_add_u32_e32 v5, 64, v6
	v_xor_b32_e32 v15, 4, v4
	v_xor_b32_e32 v16, 2, v4
	;; [unrolled: 1-line block ×3, first 2 shown]
	v_mov_b32_e32 v18, v8
	s_branch .LBB66_9
.LBB66_8:                               ;   in Loop: Header=BB66_9 Depth=1
	s_or_b64 exec, exec, s[34:35]
	v_add_u32_e32 v18, 2, v18
	v_cmp_le_i32_e64 s[6:7], s33, v18
	s_or_b64 s[30:31], s[6:7], s[30:31]
	v_add_co_u32_e64 v1, s[6:7], 8, v1
	v_add_u32_e32 v13, 16, v13
	v_add_u32_e32 v14, 64, v14
	v_addc_co_u32_e64 v2, s[6:7], 0, v2, s[6:7]
	s_andn2_b64 exec, exec, s[30:31]
	s_cbranch_execz .LBB66_11
.LBB66_9:                               ; =>This Inner Loop Header: Depth=1
	global_load_dword v19, v[1:2], off
	s_waitcnt vmcnt(0) lgkmcnt(0)
	v_mad_i64_i32 v[19:20], s[6:7], v19, s12, 0
	v_lshlrev_b64 v[19:20], 1, v[19:20]
	v_add_co_u32_e64 v19, s[6:7], v10, v19
	v_addc_co_u32_e64 v20, s[6:7], v11, v20, s[6:7]
	global_load_ushort v21, v[19:20], off
	global_load_ushort v22, v[19:20], off offset:128
	global_load_ushort v24, v[19:20], off offset:256
	global_load_ushort v26, v[19:20], off offset:384
	global_load_ushort v28, v[19:20], off offset:512
	global_load_ushort v30, v[19:20], off offset:640
	global_load_ushort v32, v[19:20], off offset:768
	global_load_ushort v34, v[19:20], off offset:896
	global_load_ushort v35, v[19:20], off offset:1024
	global_load_ushort v37, v[19:20], off offset:1152
	global_load_ushort v38, v[19:20], off offset:1280
	ds_read_u16 v23, v12
	global_load_ushort v39, v[19:20], off offset:1408
	s_waitcnt lgkmcnt(0)
	;;#ASMSTART
	v_cvt_f32_f16 v19, v23;
	;;#ASMEND
	v_cmp_lt_i32_e64 s[6:7], v15, v5
	s_waitcnt vmcnt(11)
	;;#ASMSTART
	v_cvt_f32_f16 v20, v21;
	;;#ASMEND
	ds_read_u16 v21, v12 offset:2
	s_waitcnt lgkmcnt(0)
	;;#ASMSTART
	v_cvt_f32_f16 v21, v21;
	;;#ASMEND
	s_waitcnt vmcnt(10)
	;;#ASMSTART
	v_cvt_f32_f16 v22, v22;
	;;#ASMEND
	v_mul_f32_e32 v21, v21, v22
	ds_read_u16 v23, v12 offset:4
	v_fmac_f32_e32 v21, v19, v20
	s_waitcnt lgkmcnt(0)
	;;#ASMSTART
	v_cvt_f32_f16 v23, v23;
	;;#ASMEND
	s_waitcnt vmcnt(9)
	;;#ASMSTART
	v_cvt_f32_f16 v24, v24;
	;;#ASMEND
	ds_read_u16 v25, v12 offset:6
	v_fmac_f32_e32 v21, v23, v24
	s_waitcnt lgkmcnt(0)
	;;#ASMSTART
	v_cvt_f32_f16 v25, v25;
	;;#ASMEND
	s_waitcnt vmcnt(8)
	;;#ASMSTART
	v_cvt_f32_f16 v26, v26;
	;;#ASMEND
	;; [unrolled: 10-line block ×6, first 2 shown]
	v_fmac_f32_e32 v21, v33, v34
	ds_read_u16 v36, v12 offset:16
	s_waitcnt lgkmcnt(0)
	;;#ASMSTART
	v_cvt_f32_f16 v22, v36;
	;;#ASMEND
	s_waitcnt vmcnt(3)
	;;#ASMSTART
	v_cvt_f32_f16 v35, v35;
	;;#ASMEND
	v_fmac_f32_e32 v21, v22, v35
	ds_read_u16 v40, v12 offset:18
	s_waitcnt lgkmcnt(0)
	;;#ASMSTART
	v_cvt_f32_f16 v19, v40;
	;;#ASMEND
	s_waitcnt vmcnt(2)
	;;#ASMSTART
	v_cvt_f32_f16 v20, v37;
	;;#ASMEND
	ds_read_u16 v23, v12 offset:20
	v_fmac_f32_e32 v21, v19, v20
	v_cndmask_b32_e64 v36, v4, v15, s[6:7]
	s_waitcnt lgkmcnt(0)
	;;#ASMSTART
	v_cvt_f32_f16 v23, v23;
	;;#ASMEND
	s_waitcnt vmcnt(1)
	;;#ASMSTART
	v_cvt_f32_f16 v24, v38;
	;;#ASMEND
	v_fmac_f32_e32 v21, v23, v24
	v_lshlrev_b32_e32 v36, 2, v36
	ds_read_u16 v25, v12 offset:22
	s_waitcnt lgkmcnt(0)
	;;#ASMSTART
	v_cvt_f32_f16 v19, v25;
	;;#ASMEND
	s_waitcnt vmcnt(0)
	;;#ASMSTART
	v_cvt_f32_f16 v20, v39;
	;;#ASMEND
	v_fmac_f32_e32 v21, v19, v20
	ds_bpermute_b32 v19, v36, v21
	v_cmp_lt_i32_e64 s[6:7], v16, v5
	v_cndmask_b32_e64 v20, v4, v16, s[6:7]
	v_lshlrev_b32_e32 v20, 2, v20
	v_cmp_lt_i32_e64 s[6:7], v17, v5
	s_waitcnt lgkmcnt(0)
	v_add_f32_e32 v19, v21, v19
	ds_bpermute_b32 v20, v20, v19
	v_cndmask_b32_e64 v21, v4, v17, s[6:7]
	s_waitcnt lgkmcnt(0)
	v_add_f32_e32 v19, v19, v20
	v_lshlrev_b32_e32 v20, 2, v21
	ds_bpermute_b32 v20, v20, v19
	s_and_saveexec_b64 s[34:35], vcc
	s_cbranch_execz .LBB66_8
; %bb.10:                               ;   in Loop: Header=BB66_9 Depth=1
	v_add_u32_e32 v21, s15, v13
	v_cvt_f32_i32_e32 v21, v21
	s_waitcnt lgkmcnt(0)
	v_add_f32_e32 v19, v19, v20
	v_cmp_gt_i32_e64 s[6:7], s17, v13
	v_max_f32_e32 v20, v9, v9
	v_mul_f32_e32 v21, s10, v21
	v_cndmask_b32_e64 v21, 0, v21, s[4:5]
	v_fmac_f32_e32 v21, s11, v19
	v_cndmask_b32_e64 v19, 0, v21, s[6:7]
	ds_write_b32 v14, v19
	v_max_f32_e32 v19, v20, v21
	v_cndmask_b32_e64 v9, v9, v19, s[6:7]
	s_branch .LBB66_8
.LBB66_11:
	s_or_b64 exec, exec, s[30:31]
.LBB66_12:
	s_or_b64 exec, exec, s[28:29]
	v_xor_b32_e32 v1, 32, v4
	v_cmp_lt_i32_e32 vcc, v1, v5
	v_cndmask_b32_e32 v1, v4, v1, vcc
	v_lshlrev_b32_e32 v2, 2, v1
	ds_bpermute_b32 v1, v2, v9
	v_xor_b32_e32 v10, 16, v4
	v_max_f32_e32 v9, v9, v9
	v_cmp_lt_i32_e32 vcc, v10, v5
	v_xor_b32_e32 v12, 8, v4
	s_waitcnt lgkmcnt(0)
	v_max_f32_e32 v1, v1, v1
	v_max_f32_e32 v1, v9, v1
	v_cndmask_b32_e32 v9, v4, v10, vcc
	v_lshlrev_b32_e32 v11, 2, v9
	ds_bpermute_b32 v9, v11, v1
	v_cmp_lt_i32_e32 vcc, v12, v5
	s_waitcnt lgkmcnt(0)
	v_max_f32_e32 v9, v9, v9
	v_max_f32_e32 v10, v1, v9
	v_cndmask_b32_e32 v1, v4, v12, vcc
	v_lshlrev_b32_e32 v13, 2, v1
	ds_bpermute_b32 v12, v13, v10
	v_and_b32_e32 v9, 63, v0
	v_cmp_eq_u32_e32 vcc, 0, v9
	v_lshlrev_b32_e32 v1, 2, v8
	s_and_saveexec_b64 s[4:5], vcc
	s_cbranch_execz .LBB66_14
; %bb.13:
	s_waitcnt lgkmcnt(0)
	v_max_f32_e32 v12, v12, v12
	v_max_f32_e32 v10, v10, v10
	;; [unrolled: 1-line block ×3, first 2 shown]
	ds_write_b32 v1, v10 offset:192
.LBB66_14:
	s_or_b64 exec, exec, s[4:5]
	v_cmp_gt_u32_e64 s[4:5], 2, v9
	v_mov_b32_e32 v14, 0xff7fffff
	v_lshlrev_b32_e32 v10, 2, v9
	s_waitcnt lgkmcnt(0)
	s_barrier
	s_and_saveexec_b64 s[6:7], s[4:5]
; %bb.15:
	ds_read_b32 v14, v10 offset:192
; %bb.16:
	s_or_b64 exec, exec, s[6:7]
	v_xor_b32_e32 v12, 1, v4
	v_cmp_lt_i32_e64 s[6:7], v12, v5
	v_cndmask_b32_e64 v12, v4, v12, s[6:7]
	v_lshlrev_b32_e32 v12, 2, v12
	s_waitcnt lgkmcnt(0)
	ds_bpermute_b32 v15, v12, v14
	v_max_f32_e32 v14, v14, v14
	v_lshlrev_b32_e32 v6, 2, v6
	s_lshl_b32 s6, s33, 3
	s_min_i32 s12, s6, s17
	s_waitcnt lgkmcnt(0)
	v_max_f32_e32 v15, v15, v15
	v_max_f32_e32 v14, v14, v15
	ds_bpermute_b32 v14, v6, v14
	v_cmp_gt_i32_e64 s[6:7], s12, v0
	v_mov_b32_e32 v6, 0
	s_and_saveexec_b64 s[28:29], s[6:7]
	s_cbranch_execz .LBB66_20
; %bb.17:
	v_mov_b32_e32 v6, 0xd0
	v_lshl_add_u32 v15, v0, 2, v6
	v_mov_b32_e32 v6, 0
	s_mov_b64 s[30:31], 0
	v_mov_b32_e32 v16, v0
.LBB66_18:                              ; =>This Inner Loop Header: Depth=1
	ds_read_b32 v17, v15
	v_add_u32_e32 v16, 0x80, v16
	v_cmp_le_i32_e64 s[10:11], s12, v16
	s_or_b64 s[30:31], s[10:11], s[30:31]
	s_waitcnt lgkmcnt(0)
	v_sub_f32_e32 v17, v17, v14
	v_mul_f32_e32 v17, 0x3fb8aa3b, v17
	v_exp_f32_e32 v17, v17
	ds_write_b32 v15, v17
	v_add_f32_e32 v6, v6, v17
	v_add_u32_e32 v15, 0x200, v15
	s_andn2_b64 exec, exec, s[30:31]
	s_cbranch_execnz .LBB66_18
; %bb.19:
	s_or_b64 exec, exec, s[30:31]
.LBB66_20:
	s_or_b64 exec, exec, s[28:29]
	ds_bpermute_b32 v2, v2, v6
	s_waitcnt lgkmcnt(0)
	v_add_f32_e32 v2, v6, v2
	ds_bpermute_b32 v6, v11, v2
	v_xor_b32_e32 v11, 4, v4
	v_cmp_lt_i32_e64 s[10:11], v11, v5
	v_cndmask_b32_e64 v11, v4, v11, s[10:11]
	v_lshlrev_b32_e32 v11, 2, v11
	s_waitcnt lgkmcnt(0)
	v_add_f32_e32 v2, v2, v6
	ds_bpermute_b32 v6, v13, v2
	s_waitcnt lgkmcnt(0)
	v_add_f32_e32 v2, v2, v6
	ds_bpermute_b32 v6, v11, v2
	v_xor_b32_e32 v11, 2, v4
	v_cmp_lt_i32_e64 s[10:11], v11, v5
	v_cndmask_b32_e64 v5, v4, v11, s[10:11]
	v_lshlrev_b32_e32 v5, 2, v5
	s_waitcnt lgkmcnt(0)
	v_add_f32_e32 v2, v2, v6
	ds_bpermute_b32 v5, v5, v2
	s_waitcnt lgkmcnt(0)
	v_add_f32_e32 v2, v2, v5
	ds_bpermute_b32 v5, v12, v2
	s_waitcnt lgkmcnt(0)
	v_add_f32_e32 v2, v2, v5
	s_and_saveexec_b64 s[10:11], vcc
; %bb.21:
	ds_write_b32 v1, v2 offset:200
; %bb.22:
	s_or_b64 exec, exec, s[10:11]
	s_waitcnt lgkmcnt(0)
	s_barrier
	s_and_saveexec_b64 s[10:11], s[4:5]
; %bb.23:
	ds_read_b32 v2, v10 offset:200
; %bb.24:
	s_or_b64 exec, exec, s[10:11]
	s_waitcnt lgkmcnt(0)
	ds_bpermute_b32 v1, v12, v2
	v_lshlrev_b32_e32 v4, 2, v4
	s_waitcnt lgkmcnt(0)
	v_add_f32_e32 v1, v2, v1
	v_and_b32_e32 v2, 0xffffff00, v4
	ds_bpermute_b32 v1, v2, v1
	s_and_saveexec_b64 s[4:5], s[6:7]
	s_cbranch_execz .LBB66_27
; %bb.25:
	s_waitcnt lgkmcnt(0)
	v_add_f32_e32 v2, 0x358637bd, v1
	v_div_scale_f32 v1, s[6:7], v2, v2, 1.0
	v_div_scale_f32 v4, vcc, 1.0, v2, 1.0
	s_mov_b64 s[6:7], 0
	v_rcp_f32_e32 v5, v1
	v_fma_f32 v6, -v1, v5, 1.0
	v_fmac_f32_e32 v5, v6, v5
	v_mul_f32_e32 v6, v4, v5
	v_fma_f32 v10, -v1, v6, v4
	v_fmac_f32_e32 v6, v10, v5
	v_fma_f32 v1, -v1, v6, v4
	v_div_fmas_f32 v4, v1, v5, v6
	v_mov_b32_e32 v1, 0xd0
	v_lshl_add_u32 v1, v0, 2, v1
	v_div_fixup_f32 v2, v4, v2, 1.0
	v_mov_b32_e32 v4, v0
.LBB66_26:                              ; =>This Inner Loop Header: Depth=1
	ds_read_b32 v5, v1
	v_add_u32_e32 v4, 0x80, v4
	v_cmp_le_i32_e32 vcc, s12, v4
	s_or_b64 s[6:7], vcc, s[6:7]
	s_waitcnt lgkmcnt(0)
	v_mul_f32_e32 v5, v2, v5
	ds_write_b32 v1, v5
	v_add_u32_e32 v1, 0x200, v1
	s_andn2_b64 exec, exec, s[6:7]
	s_cbranch_execnz .LBB66_26
.LBB66_27:
	s_or_b64 exec, exec, s[4:5]
	v_mov_b32_e32 v11, 0
	v_mov_b32_e32 v10, 0
	s_waitcnt lgkmcnt(0)
	s_barrier
	s_and_saveexec_b64 s[6:7], s[2:3]
	s_cbranch_execz .LBB66_37
; %bb.28:
	s_ashr_i32 s15, s14, 31
	s_lshl_b64 s[2:3], s[14:15], 1
	s_add_u32 s26, s26, s2
	s_addc_u32 s12, s27, s3
	s_add_i32 s27, s33, -1
	s_lshl_b64 s[4:5], s[24:25], 2
	s_add_u32 s4, s22, s4
	v_or_b32_e32 v2, 64, v9
	s_movk_i32 s2, 0x60
	v_mov_b32_e32 v4, 0xd0
	v_and_b32_e32 v3, 60, v3
	s_addc_u32 s5, s23, s5
	v_lshlrev_b32_e32 v1, 3, v9
	v_cmp_gt_u32_e64 s[2:3], s2, v2
	v_lshlrev_b32_e32 v2, 3, v2
	v_lshl_add_u32 v14, v8, 5, v4
	v_mov_b32_e32 v4, s5
	v_add_co_u32_e32 v5, vcc, s4, v3
	s_mov_b32 s28, s13
	v_mov_b32_e32 v12, 0
	v_lshl_or_b32 v13, v8, 3, 7
	v_addc_co_u32_e32 v6, vcc, 0, v4, vcc
	s_mov_b64 s[10:11], 0
	v_mov_b32_e32 v15, s12
	v_lshlrev_b32_e32 v16, 1, v1
	s_mov_b32 s22, 0xffff
	v_lshlrev_b32_e32 v17, 1, v2
	v_mov_b32_e32 v10, 0
	v_mov_b32_e32 v11, 0
	s_branch .LBB66_31
.LBB66_29:                              ;   in Loop: Header=BB66_31 Depth=1
	s_or_b64 exec, exec, s[14:15]
	v_lshlrev_b32_e32 v18, 16, v27
	v_and_or_b32 v1, v1, s22, v18
	v_lshlrev_b32_e32 v18, 16, v26
	v_and_or_b32 v2, v2, s22, v18
	;; [unrolled: 2-line block ×3, first 2 shown]
	;;#ASMSTART
	v_pk_mul_f16 v1, v22, v1;

	;;#ASMEND
	;;#ASMSTART
	v_pk_mul_f16 v2, v23, v2;

	;;#ASMEND
	;; [unrolled: 4-line block ×4, first 2 shown]
	;;#ASMSTART
	v_pk_add_f16 v1, v1, v2;

	;;#ASMEND
	;;#ASMSTART
	v_pk_add_f16 v1, v1, v3;

	;;#ASMEND
	;; [unrolled: 4-line block ×3, first 2 shown]
	v_lshrrev_b32_e32 v2, 16, v1
	v_and_b32_e32 v1, 0xffff, v1
	;;#ASMSTART
	v_cvt_f32_f16 v1, v1;
	;;#ASMEND
	;;#ASMSTART
	v_cvt_f32_f16 v2, v2;
	;;#ASMEND
	v_add_f32_e32 v1, v1, v2
	v_add_f32_e32 v10, v10, v1
.LBB66_30:                              ;   in Loop: Header=BB66_31 Depth=1
	s_or_b64 exec, exec, s[12:13]
	v_add_u32_e32 v8, 2, v8
	v_cmp_le_i32_e32 vcc, s33, v8
	v_add_f32_e32 v1, v19, v20
	s_or_b64 s[10:11], vcc, s[10:11]
	v_add_co_u32_e32 v5, vcc, 8, v5
	v_add_f32_e32 v11, v11, v1
	v_add_u32_e32 v13, 16, v13
	v_add_u32_e32 v14, 64, v14
	v_addc_co_u32_e32 v6, vcc, 0, v6, vcc
	s_andn2_b64 exec, exec, s[10:11]
	s_cbranch_execz .LBB66_36
.LBB66_31:                              ; =>This Inner Loop Header: Depth=1
	global_load_dword v18, v[5:6], off
	ds_read2_b64 v[1:4], v14 offset1:1
	ds_read2_b64 v[26:29], v14 offset0:2 offset1:3
	s_waitcnt lgkmcnt(1)
	;;#ASMSTART
	v_cvt_f16_f32 v19, v1;

	;;#ASMEND
	;;#ASMSTART
	v_cvt_f16_f32 v20, v2;

	;;#ASMEND
	;; [unrolled: 4-line block ×4, first 2 shown]
	s_waitcnt lgkmcnt(0)
	;;#ASMSTART
	v_cvt_f16_f32 v24, v26;

	;;#ASMEND
	;;#ASMSTART
	v_cvt_f16_f32 v27, v27;

	;;#ASMEND
	;; [unrolled: 4-line block ×4, first 2 shown]
	s_waitcnt vmcnt(0)
	v_mad_i64_i32 v[1:2], s[4:5], v18, s28, 0
	v_add_u32_e32 v18, -7, v13
	v_cmp_eq_u32_e64 s[4:5], s27, v8
	v_lshlrev_b64 v[1:2], 1, v[1:2]
	v_add_co_u32_e32 v25, vcc, s26, v1
	v_addc_co_u32_e32 v26, vcc, v15, v2, vcc
	v_add_co_u32_e32 v1, vcc, v25, v16
	v_addc_co_u32_e32 v2, vcc, 0, v26, vcc
	global_load_dwordx4 v[1:4], v[1:2], off
	s_waitcnt vmcnt(0)
	v_lshrrev_b32_e32 v32, 16, v1
	v_lshrrev_b32_e32 v31, 16, v2
	;; [unrolled: 1-line block ×3, first 2 shown]
	s_and_saveexec_b64 s[12:13], s[4:5]
	s_cbranch_execz .LBB66_33
; %bb.32:                               ;   in Loop: Header=BB66_31 Depth=1
	v_cmp_gt_i32_e32 vcc, s17, v18
	v_add_u32_e32 v22, -6, v13
	v_cndmask_b32_e32 v1, 0, v1, vcc
	v_cmp_gt_i32_e32 vcc, s17, v22
	v_add_u32_e32 v22, -5, v13
	v_cndmask_b32_e32 v32, 0, v32, vcc
	;; [unrolled: 3-line block ×6, first 2 shown]
	v_cmp_gt_i32_e32 vcc, s17, v22
	v_cndmask_b32_sdwa v22, v12, v4, vcc dst_sel:DWORD dst_unused:UNUSED_PAD src0_sel:DWORD src1_sel:WORD_0
	v_and_b32_e32 v4, 0xffff0000, v4
	v_cmp_gt_i32_e32 vcc, s17, v13
	v_cndmask_b32_e32 v4, 0, v4, vcc
	v_or_b32_e32 v4, v22, v4
.LBB66_33:                              ;   in Loop: Header=BB66_31 Depth=1
	s_or_b64 exec, exec, s[12:13]
	v_and_b32_e32 v19, 0xffff, v19
	v_lshl_or_b32 v22, v20, 16, v19
	v_and_b32_e32 v19, 0xffff, v21
	v_lshl_or_b32 v23, v23, 16, v19
	;; [unrolled: 2-line block ×4, first 2 shown]
	v_lshlrev_b32_e32 v19, 16, v32
	v_and_or_b32 v1, v1, s22, v19
	v_lshlrev_b32_e32 v19, 16, v31
	v_and_or_b32 v2, v2, s22, v19
	;; [unrolled: 2-line block ×3, first 2 shown]
	;;#ASMSTART
	v_pk_mul_f16 v1, v22, v1;

	;;#ASMEND
	;;#ASMSTART
	v_pk_mul_f16 v2, v23, v2;

	;;#ASMEND
	;; [unrolled: 4-line block ×4, first 2 shown]
	;;#ASMSTART
	v_pk_add_f16 v1, v1, v2;

	;;#ASMEND
	;;#ASMSTART
	v_pk_add_f16 v1, v1, v3;

	;;#ASMEND
	;; [unrolled: 4-line block ×3, first 2 shown]
	v_lshrrev_b32_e32 v2, 16, v1
	v_and_b32_e32 v1, 0xffff, v1
	;;#ASMSTART
	v_cvt_f32_f16 v19, v1;
	;;#ASMEND
	;;#ASMSTART
	v_cvt_f32_f16 v20, v2;
	;;#ASMEND
	s_and_saveexec_b64 s[12:13], s[2:3]
	s_cbranch_execz .LBB66_30
; %bb.34:                               ;   in Loop: Header=BB66_31 Depth=1
	v_add_co_u32_e32 v1, vcc, v25, v17
	v_addc_co_u32_e32 v2, vcc, 0, v26, vcc
	global_load_dwordx4 v[1:4], v[1:2], off
	s_waitcnt vmcnt(0)
	v_lshrrev_b32_e32 v27, 16, v1
	v_lshrrev_b32_e32 v26, 16, v2
	;; [unrolled: 1-line block ×3, first 2 shown]
	s_and_saveexec_b64 s[14:15], s[4:5]
	s_cbranch_execz .LBB66_29
; %bb.35:                               ;   in Loop: Header=BB66_31 Depth=1
	v_cmp_gt_i32_e32 vcc, s17, v18
	v_add_u32_e32 v18, -6, v13
	v_cndmask_b32_e32 v1, 0, v1, vcc
	v_cmp_gt_i32_e32 vcc, s17, v18
	v_add_u32_e32 v18, -5, v13
	v_cndmask_b32_e32 v27, 0, v27, vcc
	;; [unrolled: 3-line block ×6, first 2 shown]
	v_cmp_gt_i32_e32 vcc, s17, v18
	v_cndmask_b32_sdwa v18, v12, v4, vcc dst_sel:DWORD dst_unused:UNUSED_PAD src0_sel:DWORD src1_sel:WORD_0
	v_and_b32_e32 v4, 0xffff0000, v4
	v_cmp_gt_i32_e32 vcc, s17, v13
	v_cndmask_b32_e32 v4, 0, v4, vcc
	v_or_b32_e32 v4, v18, v4
	s_branch .LBB66_29
.LBB66_36:
	s_or_b64 exec, exec, s[10:11]
.LBB66_37:
	s_or_b64 exec, exec, s[6:7]
	v_and_b32_e32 v1, 0x3c0, v0
	v_cmp_eq_u32_e32 vcc, 64, v1
	s_barrier
	s_and_saveexec_b64 s[2:3], vcc
	s_cbranch_execz .LBB66_40
; %bb.38:
	v_mov_b32_e32 v1, 0xd0
	v_lshl_add_u32 v2, v9, 2, v1
	ds_write_b32 v2, v11
	s_and_b64 exec, exec, s[0:1]
; %bb.39:
	v_lshl_add_u32 v1, v0, 2, v1
	ds_write_b32 v1, v10
.LBB66_40:
	s_or_b64 exec, exec, s[2:3]
	v_cmp_gt_u32_e32 vcc, 64, v0
	v_or_b32_e32 v1, 64, v0
	s_waitcnt lgkmcnt(0)
	s_barrier
	s_and_saveexec_b64 s[2:3], vcc
	s_cbranch_execz .LBB66_44
; %bb.41:
	v_mov_b32_e32 v2, 0xd0
	v_lshl_add_u32 v2, v0, 2, v2
	ds_read_b32 v0, v2
	s_movk_i32 s0, 0x60
	v_cmp_gt_u32_e64 s[0:1], s0, v1
	s_and_saveexec_b64 s[4:5], s[0:1]
	s_cbranch_execz .LBB66_43
; %bb.42:
	ds_read_b32 v2, v2 offset:256
	s_waitcnt lgkmcnt(0)
	v_add_f32_e32 v10, v10, v2
.LBB66_43:
	s_or_b64 exec, exec, s[4:5]
	s_waitcnt lgkmcnt(0)
	v_add_f32_e32 v11, v11, v0
.LBB66_44:
	s_or_b64 exec, exec, s[2:3]
	s_barrier
	s_and_saveexec_b64 s[0:1], vcc
	s_cbranch_execz .LBB66_47
; %bb.45:
	s_mul_i32 s0, s16, s19
	s_mul_i32 s0, s0, s9
	s_mulk_i32 s0, 0x60
	s_ashr_i32 s1, s0, 31
	s_lshl_b64 s[0:1], s[0:1], 1
	s_add_u32 s3, s20, s0
	s_mul_i32 s0, s19, s18
	s_addc_u32 s4, s21, s1
	s_ashr_i32 s1, s0, 31
	s_lshl_b64 s[0:1], s[0:1], 1
	s_add_u32 s3, s3, s0
	s_mul_i32 s0, s8, 0x60
	s_addc_u32 s4, s4, s1
	s_ashr_i32 s1, s0, 31
	s_lshl_b64 s[0:1], s[0:1], 1
	s_movk_i32 s2, 0x60
	s_add_u32 s0, s3, s0
	s_addc_u32 s1, s4, s1
	v_cmp_gt_u32_e32 vcc, s2, v1
	;;#ASMSTART
	v_cvt_f16_f32 v0, v11;

	;;#ASMEND
	global_store_short v7, v0, s[0:1]
	s_and_b64 exec, exec, vcc
	s_cbranch_execz .LBB66_47
; %bb.46:
	v_mov_b32_e32 v1, s1
	v_add_co_u32_e32 v0, vcc, s0, v7
	v_addc_co_u32_e32 v1, vcc, 0, v1, vcc
	;;#ASMSTART
	v_cvt_f16_f32 v2, v10;

	;;#ASMEND
	global_store_short v[0:1], v2, off offset:128
.LBB66_47:
	s_endpgm
	.section	.rodata,"a",@progbits
	.p2align	6, 0x0
	.amdhsa_kernel _ZN4vllm25paged_attention_v1_kernelIttLi96ELi8ELi128ELNS_18Fp8KVCacheDataTypeE0ELb0EEEvPT_PKS2_PKT0_S8_ifPKiSA_iPKfiiiSC_SC_iiiii
		.amdhsa_group_segment_fixed_size 208
		.amdhsa_private_segment_fixed_size 0
		.amdhsa_kernarg_size 384
		.amdhsa_user_sgpr_count 6
		.amdhsa_user_sgpr_private_segment_buffer 1
		.amdhsa_user_sgpr_dispatch_ptr 0
		.amdhsa_user_sgpr_queue_ptr 0
		.amdhsa_user_sgpr_kernarg_segment_ptr 1
		.amdhsa_user_sgpr_dispatch_id 0
		.amdhsa_user_sgpr_flat_scratch_init 0
		.amdhsa_user_sgpr_private_segment_size 0
		.amdhsa_uses_dynamic_stack 0
		.amdhsa_system_sgpr_private_segment_wavefront_offset 0
		.amdhsa_system_sgpr_workgroup_id_x 1
		.amdhsa_system_sgpr_workgroup_id_y 1
		.amdhsa_system_sgpr_workgroup_id_z 1
		.amdhsa_system_sgpr_workgroup_info 0
		.amdhsa_system_vgpr_workitem_id 0
		.amdhsa_next_free_vgpr 41
		.amdhsa_next_free_sgpr 36
		.amdhsa_reserve_vcc 1
		.amdhsa_reserve_flat_scratch 0
		.amdhsa_float_round_mode_32 0
		.amdhsa_float_round_mode_16_64 0
		.amdhsa_float_denorm_mode_32 3
		.amdhsa_float_denorm_mode_16_64 3
		.amdhsa_dx10_clamp 1
		.amdhsa_ieee_mode 1
		.amdhsa_fp16_overflow 0
		.amdhsa_exception_fp_ieee_invalid_op 0
		.amdhsa_exception_fp_denorm_src 0
		.amdhsa_exception_fp_ieee_div_zero 0
		.amdhsa_exception_fp_ieee_overflow 0
		.amdhsa_exception_fp_ieee_underflow 0
		.amdhsa_exception_fp_ieee_inexact 0
		.amdhsa_exception_int_div_zero 0
	.end_amdhsa_kernel
	.section	.text._ZN4vllm25paged_attention_v1_kernelIttLi96ELi8ELi128ELNS_18Fp8KVCacheDataTypeE0ELb0EEEvPT_PKS2_PKT0_S8_ifPKiSA_iPKfiiiSC_SC_iiiii,"axG",@progbits,_ZN4vllm25paged_attention_v1_kernelIttLi96ELi8ELi128ELNS_18Fp8KVCacheDataTypeE0ELb0EEEvPT_PKS2_PKT0_S8_ifPKiSA_iPKfiiiSC_SC_iiiii,comdat
.Lfunc_end66:
	.size	_ZN4vllm25paged_attention_v1_kernelIttLi96ELi8ELi128ELNS_18Fp8KVCacheDataTypeE0ELb0EEEvPT_PKS2_PKT0_S8_ifPKiSA_iPKfiiiSC_SC_iiiii, .Lfunc_end66-_ZN4vllm25paged_attention_v1_kernelIttLi96ELi8ELi128ELNS_18Fp8KVCacheDataTypeE0ELb0EEEvPT_PKS2_PKT0_S8_ifPKiSA_iPKfiiiSC_SC_iiiii
                                        ; -- End function
	.set _ZN4vllm25paged_attention_v1_kernelIttLi96ELi8ELi128ELNS_18Fp8KVCacheDataTypeE0ELb0EEEvPT_PKS2_PKT0_S8_ifPKiSA_iPKfiiiSC_SC_iiiii.num_vgpr, 41
	.set _ZN4vllm25paged_attention_v1_kernelIttLi96ELi8ELi128ELNS_18Fp8KVCacheDataTypeE0ELb0EEEvPT_PKS2_PKT0_S8_ifPKiSA_iPKfiiiSC_SC_iiiii.num_agpr, 0
	.set _ZN4vllm25paged_attention_v1_kernelIttLi96ELi8ELi128ELNS_18Fp8KVCacheDataTypeE0ELb0EEEvPT_PKS2_PKT0_S8_ifPKiSA_iPKfiiiSC_SC_iiiii.numbered_sgpr, 36
	.set _ZN4vllm25paged_attention_v1_kernelIttLi96ELi8ELi128ELNS_18Fp8KVCacheDataTypeE0ELb0EEEvPT_PKS2_PKT0_S8_ifPKiSA_iPKfiiiSC_SC_iiiii.num_named_barrier, 0
	.set _ZN4vllm25paged_attention_v1_kernelIttLi96ELi8ELi128ELNS_18Fp8KVCacheDataTypeE0ELb0EEEvPT_PKS2_PKT0_S8_ifPKiSA_iPKfiiiSC_SC_iiiii.private_seg_size, 0
	.set _ZN4vllm25paged_attention_v1_kernelIttLi96ELi8ELi128ELNS_18Fp8KVCacheDataTypeE0ELb0EEEvPT_PKS2_PKT0_S8_ifPKiSA_iPKfiiiSC_SC_iiiii.uses_vcc, 1
	.set _ZN4vllm25paged_attention_v1_kernelIttLi96ELi8ELi128ELNS_18Fp8KVCacheDataTypeE0ELb0EEEvPT_PKS2_PKT0_S8_ifPKiSA_iPKfiiiSC_SC_iiiii.uses_flat_scratch, 0
	.set _ZN4vllm25paged_attention_v1_kernelIttLi96ELi8ELi128ELNS_18Fp8KVCacheDataTypeE0ELb0EEEvPT_PKS2_PKT0_S8_ifPKiSA_iPKfiiiSC_SC_iiiii.has_dyn_sized_stack, 0
	.set _ZN4vllm25paged_attention_v1_kernelIttLi96ELi8ELi128ELNS_18Fp8KVCacheDataTypeE0ELb0EEEvPT_PKS2_PKT0_S8_ifPKiSA_iPKfiiiSC_SC_iiiii.has_recursion, 0
	.set _ZN4vllm25paged_attention_v1_kernelIttLi96ELi8ELi128ELNS_18Fp8KVCacheDataTypeE0ELb0EEEvPT_PKS2_PKT0_S8_ifPKiSA_iPKfiiiSC_SC_iiiii.has_indirect_call, 0
	.section	.AMDGPU.csdata,"",@progbits
; Kernel info:
; codeLenInByte = 3724
; TotalNumSgprs: 40
; NumVgprs: 41
; ScratchSize: 0
; MemoryBound: 0
; FloatMode: 240
; IeeeMode: 1
; LDSByteSize: 208 bytes/workgroup (compile time only)
; SGPRBlocks: 4
; VGPRBlocks: 10
; NumSGPRsForWavesPerEU: 40
; NumVGPRsForWavesPerEU: 41
; Occupancy: 5
; WaveLimiterHint : 1
; COMPUTE_PGM_RSRC2:SCRATCH_EN: 0
; COMPUTE_PGM_RSRC2:USER_SGPR: 6
; COMPUTE_PGM_RSRC2:TRAP_HANDLER: 0
; COMPUTE_PGM_RSRC2:TGID_X_EN: 1
; COMPUTE_PGM_RSRC2:TGID_Y_EN: 1
; COMPUTE_PGM_RSRC2:TGID_Z_EN: 1
; COMPUTE_PGM_RSRC2:TIDIG_COMP_CNT: 0
	.section	.text._ZN4vllm25paged_attention_v1_kernelIttLi112ELi8ELi128ELNS_18Fp8KVCacheDataTypeE0ELb0EEEvPT_PKS2_PKT0_S8_ifPKiSA_iPKfiiiSC_SC_iiiii,"axG",@progbits,_ZN4vllm25paged_attention_v1_kernelIttLi112ELi8ELi128ELNS_18Fp8KVCacheDataTypeE0ELb0EEEvPT_PKS2_PKT0_S8_ifPKiSA_iPKfiiiSC_SC_iiiii,comdat
	.protected	_ZN4vllm25paged_attention_v1_kernelIttLi112ELi8ELi128ELNS_18Fp8KVCacheDataTypeE0ELb0EEEvPT_PKS2_PKT0_S8_ifPKiSA_iPKfiiiSC_SC_iiiii ; -- Begin function _ZN4vllm25paged_attention_v1_kernelIttLi112ELi8ELi128ELNS_18Fp8KVCacheDataTypeE0ELb0EEEvPT_PKS2_PKT0_S8_ifPKiSA_iPKfiiiSC_SC_iiiii
	.globl	_ZN4vllm25paged_attention_v1_kernelIttLi112ELi8ELi128ELNS_18Fp8KVCacheDataTypeE0ELb0EEEvPT_PKS2_PKT0_S8_ifPKiSA_iPKfiiiSC_SC_iiiii
	.p2align	8
	.type	_ZN4vllm25paged_attention_v1_kernelIttLi112ELi8ELi128ELNS_18Fp8KVCacheDataTypeE0ELb0EEEvPT_PKS2_PKT0_S8_ifPKiSA_iPKfiiiSC_SC_iiiii,@function
_ZN4vllm25paged_attention_v1_kernelIttLi112ELi8ELi128ELNS_18Fp8KVCacheDataTypeE0ELb0EEEvPT_PKS2_PKT0_S8_ifPKiSA_iPKfiiiSC_SC_iiiii: ; @_ZN4vllm25paged_attention_v1_kernelIttLi112ELi8ELi128ELNS_18Fp8KVCacheDataTypeE0ELb0EEEvPT_PKS2_PKT0_S8_ifPKiSA_iPKfiiiSC_SC_iiiii
; %bb.0:
	s_load_dword s9, s[4:5], 0x80
	s_load_dwordx2 s[0:1], s[4:5], 0x30
	s_load_dwordx2 s[10:11], s[4:5], 0x20
	s_mov_b32 s16, s7
	s_ashr_i32 s17, s7, 31
	s_lshl_b64 s[2:3], s[16:17], 2
	s_waitcnt lgkmcnt(0)
	s_add_u32 s0, s0, s2
	s_addc_u32 s1, s1, s3
	s_abs_i32 s2, s10
	v_cvt_f32_u32_e32 v1, s2
	s_xor_b32 s3, s9, s10
	s_sub_i32 s10, 0, s2
	s_abs_i32 s7, s9
	v_rcp_iflag_f32_e32 v1, v1
	s_ashr_i32 s3, s3, 31
	v_mul_f32_e32 v1, 0x4f7ffffe, v1
	v_cvt_u32_f32_e32 v1, v1
	v_readfirstlane_b32 s12, v1
	s_mul_i32 s10, s10, s12
	s_mul_hi_u32 s10, s12, s10
	s_add_i32 s12, s12, s10
	s_mul_hi_u32 s10, s7, s12
	s_mul_i32 s12, s10, s2
	s_sub_i32 s7, s7, s12
	s_add_i32 s12, s10, 1
	s_sub_i32 s13, s7, s2
	s_cmp_ge_u32 s7, s2
	s_cselect_b32 s10, s12, s10
	s_cselect_b32 s7, s13, s7
	s_add_i32 s12, s10, 1
	s_cmp_ge_u32 s7, s2
	s_cselect_b32 s2, s12, s10
	s_xor_b32 s2, s2, s3
	s_sub_i32 s12, s2, s3
	s_abs_i32 s20, s12
	v_cvt_f32_u32_e32 v1, s20
	s_load_dwordx2 s[2:3], s[4:5], 0x40
	s_sub_i32 s7, 0, s20
	s_abs_i32 s21, s6
	v_rcp_iflag_f32_e32 v1, v1
	s_mov_b32 s10, 0
	v_mul_f32_e32 v1, 0x4f7ffffe, v1
	v_cvt_u32_f32_e32 v1, v1
	v_readfirstlane_b32 s13, v1
	s_mul_i32 s7, s7, s13
	s_mul_hi_u32 s7, s13, s7
	s_add_i32 s13, s13, s7
	s_waitcnt lgkmcnt(0)
	s_cmp_eq_u64 s[2:3], 0
	s_mul_hi_u32 s24, s21, s13
	s_cbranch_scc1 .LBB67_2
; %bb.1:
	s_ashr_i32 s7, s6, 31
	s_lshl_b64 s[14:15], s[6:7], 2
	s_add_u32 s2, s2, s14
	s_addc_u32 s3, s3, s15
	s_load_dword s10, s[2:3], 0x0
.LBB67_2:
	s_load_dword s17, s[0:1], 0x0
	s_ashr_i32 s25, s12, 31
	s_load_dwordx4 s[12:15], s[4:5], 0x48
	s_movk_i32 s0, 0x70
	s_ashr_i32 s7, s6, 31
	v_and_b32_e32 v1, 7, v0
	s_mul_i32 s18, s6, 0x70
	v_cmp_gt_u32_e64 s[0:1], s0, v0
	v_lshlrev_b32_e32 v7, 1, v0
	s_and_saveexec_b64 s[2:3], s[0:1]
	s_cbranch_execz .LBB67_4
; %bb.3:
	s_load_dwordx2 s[22:23], s[4:5], 0x8
	s_waitcnt lgkmcnt(0)
	s_mul_i32 s26, s12, s16
	s_ashr_i32 s27, s26, 31
	s_lshl_b64 s[26:27], s[26:27], 1
	v_lshrrev_b32_e32 v3, 2, v0
	s_add_u32 s6, s22, s26
	s_addc_u32 s12, s23, s27
	s_ashr_i32 s19, s18, 31
	s_lshl_b64 s[22:23], s[18:19], 1
	s_add_u32 s22, s6, s22
	s_addc_u32 s23, s12, s23
	global_load_ushort v2, v7, s[22:23]
	v_and_b32_e32 v3, 0xfe, v3
	v_mad_u32_u24 v3, v1, 28, v3
	s_waitcnt vmcnt(0)
	ds_write_b16 v3, v2
.LBB67_4:
	s_or_b64 exec, exec, s[2:3]
	s_waitcnt lgkmcnt(0)
	s_add_i32 s3, s17, 7
	s_ashr_i32 s6, s3, 31
	s_lshr_b32 s6, s6, 29
	s_add_i32 s3, s3, s6
	s_mul_i32 s6, s24, s20
	s_sub_i32 s6, s21, s6
	s_ashr_i32 s33, s3, 3
	s_xor_b32 s3, s7, s25
	s_add_i32 s7, s24, 1
	s_sub_i32 s12, s6, s20
	s_load_dwordx2 s[22:23], s[4:5], 0x28
	s_load_dword s2, s[4:5], 0x38
	s_cmp_ge_u32 s6, s20
	s_cselect_b32 s7, s7, s24
	s_cselect_b32 s6, s12, s6
	s_add_i32 s12, s7, 1
	s_cmp_ge_u32 s6, s20
	s_cselect_b32 s6, s12, s7
	v_lshrrev_b32_e32 v8, 6, v0
	s_xor_b32 s6, s6, s3
	s_waitcnt lgkmcnt(0)
	s_mul_i32 s24, s2, s16
	s_sub_i32 s12, s6, s3
	s_ashr_i32 s25, s24, 31
	v_cmp_gt_i32_e64 s[2:3], s33, v8
	v_cmp_le_i32_e32 vcc, s33, v8
	v_mbcnt_lo_u32_b32 v15, -1, 0
	s_barrier
                                        ; implicit-def: $vgpr4
                                        ; implicit-def: $vgpr6
                                        ; implicit-def: $vgpr5
	s_and_saveexec_b64 s[6:7], vcc
	s_xor_b64 s[6:7], exec, s[6:7]
; %bb.5:
	v_mbcnt_hi_u32_b32 v4, -1, v15
	v_and_b32_e32 v6, 64, v4
	v_add_u32_e32 v5, 64, v6
                                        ; implicit-def: $vgpr1
                                        ; implicit-def: $vgpr15
; %bb.6:
	s_or_saveexec_b64 s[28:29], s[6:7]
	s_load_dwordx2 s[20:21], s[4:5], 0x0
	s_load_dwordx2 s[26:27], s[4:5], 0x18
	s_load_dword s19, s[4:5], 0x88
	v_mov_b32_e32 v9, 0xff7fffff
	s_mul_i32 s14, s12, s14
	v_lshrrev_b32_e32 v3, 4, v0
	s_xor_b64 exec, exec, s[28:29]
	s_cbranch_execz .LBB67_12
; %bb.7:
	s_load_dwordx2 s[4:5], s[4:5], 0x10
	s_ashr_i32 s15, s14, 31
	s_lshl_b64 s[6:7], s[14:15], 1
	v_bfe_u32 v2, v0, 3, 3
	v_lshlrev_b32_e32 v4, 4, v2
	s_waitcnt lgkmcnt(0)
	s_add_u32 s4, s4, s6
	s_addc_u32 s5, s5, s7
	v_mov_b32_e32 v5, s5
	v_add_co_u32_e32 v4, vcc, s4, v4
	v_addc_co_u32_e32 v5, vcc, 0, v5, vcc
	v_lshlrev_b32_e32 v6, 1, v1
	v_add_co_u32_e32 v10, vcc, v4, v6
	v_addc_co_u32_e32 v11, vcc, 0, v5, vcc
	v_mul_u32_u24_e32 v12, 28, v1
	v_cmp_eq_u32_e32 vcc, 0, v1
	s_sub_i32 s15, 1, s17
	v_lshlrev_b32_e32 v1, 2, v2
	s_lshl_b64 s[6:7], s[24:25], 2
	v_lshl_or_b32 v1, v8, 5, v1
	s_add_u32 s6, s22, s6
	v_add_u32_e32 v14, 0xf0, v1
	v_and_b32_e32 v1, 60, v3
	s_addc_u32 s7, s23, s7
	v_mbcnt_hi_u32_b32 v4, -1, v15
	v_lshl_or_b32 v13, v8, 3, v2
	v_mov_b32_e32 v2, s7
	v_add_co_u32_e64 v1, s[6:7], s6, v1
	v_and_b32_e32 v6, 64, v4
	s_mov_b32 s12, s13
	v_cmp_neq_f32_e64 s[4:5], s10, 0
	v_addc_co_u32_e64 v2, s[6:7], 0, v2, s[6:7]
	v_mov_b32_e32 v9, 0xff7fffff
	s_mov_b64 s[30:31], 0
	v_add_u32_e32 v5, 64, v6
	v_xor_b32_e32 v15, 4, v4
	v_xor_b32_e32 v16, 2, v4
	;; [unrolled: 1-line block ×3, first 2 shown]
	v_mov_b32_e32 v18, v8
	s_branch .LBB67_9
.LBB67_8:                               ;   in Loop: Header=BB67_9 Depth=1
	s_or_b64 exec, exec, s[34:35]
	v_add_u32_e32 v18, 2, v18
	v_cmp_le_i32_e64 s[6:7], s33, v18
	s_or_b64 s[30:31], s[6:7], s[30:31]
	v_add_co_u32_e64 v1, s[6:7], 8, v1
	v_add_u32_e32 v13, 16, v13
	v_add_u32_e32 v14, 64, v14
	v_addc_co_u32_e64 v2, s[6:7], 0, v2, s[6:7]
	s_andn2_b64 exec, exec, s[30:31]
	s_cbranch_execz .LBB67_11
.LBB67_9:                               ; =>This Inner Loop Header: Depth=1
	global_load_dword v19, v[1:2], off
	s_waitcnt vmcnt(0) lgkmcnt(0)
	v_mad_i64_i32 v[19:20], s[6:7], v19, s12, 0
	v_lshlrev_b64 v[19:20], 1, v[19:20]
	v_add_co_u32_e64 v19, s[6:7], v10, v19
	v_addc_co_u32_e64 v20, s[6:7], v11, v20, s[6:7]
	global_load_ushort v21, v[19:20], off
	global_load_ushort v23, v[19:20], off offset:128
	global_load_ushort v25, v[19:20], off offset:256
	;; [unrolled: 1-line block ×10, first 2 shown]
	ds_read_u16 v22, v12
	global_load_ushort v38, v[19:20], off offset:1408
	global_load_ushort v39, v[19:20], off offset:1536
	s_nop 0
	global_load_ushort v19, v[19:20], off offset:1664
	s_waitcnt lgkmcnt(0)
	;;#ASMSTART
	v_cvt_f32_f16 v20, v22;
	;;#ASMEND
	v_cmp_lt_i32_e64 s[6:7], v15, v5
	s_waitcnt vmcnt(13)
	;;#ASMSTART
	v_cvt_f32_f16 v21, v21;
	;;#ASMEND
	ds_read_u16 v22, v12 offset:2
	s_waitcnt lgkmcnt(0)
	;;#ASMSTART
	v_cvt_f32_f16 v22, v22;
	;;#ASMEND
	s_waitcnt vmcnt(12)
	;;#ASMSTART
	v_cvt_f32_f16 v23, v23;
	;;#ASMEND
	v_mul_f32_e32 v22, v22, v23
	ds_read_u16 v24, v12 offset:4
	v_fmac_f32_e32 v22, v20, v21
	s_waitcnt lgkmcnt(0)
	;;#ASMSTART
	v_cvt_f32_f16 v24, v24;
	;;#ASMEND
	s_waitcnt vmcnt(11)
	;;#ASMSTART
	v_cvt_f32_f16 v25, v25;
	;;#ASMEND
	ds_read_u16 v26, v12 offset:6
	v_fmac_f32_e32 v22, v24, v25
	s_waitcnt lgkmcnt(0)
	;;#ASMSTART
	v_cvt_f32_f16 v26, v26;
	;;#ASMEND
	s_waitcnt vmcnt(10)
	;;#ASMSTART
	v_cvt_f32_f16 v27, v27;
	;;#ASMEND
	;; [unrolled: 10-line block ×5, first 2 shown]
	v_fmac_f32_e32 v22, v32, v33
	ds_read_u16 v40, v12 offset:14
	s_waitcnt lgkmcnt(0)
	;;#ASMSTART
	v_cvt_f32_f16 v23, v40;
	;;#ASMEND
	s_waitcnt vmcnt(6)
	;;#ASMSTART
	v_cvt_f32_f16 v34, v34;
	;;#ASMEND
	v_fmac_f32_e32 v22, v23, v34
	ds_read_u16 v40, v12 offset:16
	s_waitcnt lgkmcnt(0)
	;;#ASMSTART
	v_cvt_f32_f16 v20, v40;
	;;#ASMEND
	s_waitcnt vmcnt(5)
	;;#ASMSTART
	v_cvt_f32_f16 v21, v35;
	;;#ASMEND
	ds_read_u16 v35, v12 offset:18
	v_fmac_f32_e32 v22, v20, v21
	s_waitcnt lgkmcnt(0)
	;;#ASMSTART
	v_cvt_f32_f16 v35, v35;
	;;#ASMEND
	s_waitcnt vmcnt(4)
	;;#ASMSTART
	v_cvt_f32_f16 v36, v36;
	;;#ASMEND
	v_fmac_f32_e32 v22, v35, v36
	ds_read_u16 v40, v12 offset:20
	s_waitcnt lgkmcnt(0)
	;;#ASMSTART
	v_cvt_f32_f16 v24, v40;
	;;#ASMEND
	s_waitcnt vmcnt(3)
	;;#ASMSTART
	v_cvt_f32_f16 v25, v37;
	;;#ASMEND
	v_fmac_f32_e32 v22, v24, v25
	ds_read_u16 v40, v12 offset:22
	s_waitcnt lgkmcnt(0)
	;;#ASMSTART
	v_cvt_f32_f16 v26, v40;
	;;#ASMEND
	s_waitcnt vmcnt(2)
	;;#ASMSTART
	v_cvt_f32_f16 v27, v38;
	;;#ASMEND
	v_fmac_f32_e32 v22, v26, v27
	v_cndmask_b32_e64 v37, v4, v15, s[6:7]
	ds_read_u16 v28, v12 offset:24
	s_waitcnt lgkmcnt(0)
	;;#ASMSTART
	v_cvt_f32_f16 v20, v28;
	;;#ASMEND
	s_waitcnt vmcnt(1)
	;;#ASMSTART
	v_cvt_f32_f16 v21, v39;
	;;#ASMEND
	v_fmac_f32_e32 v22, v20, v21
	v_lshlrev_b32_e32 v37, 2, v37
	ds_read_u16 v23, v12 offset:26
	s_waitcnt lgkmcnt(0)
	;;#ASMSTART
	v_cvt_f32_f16 v20, v23;
	;;#ASMEND
	s_waitcnt vmcnt(0)
	;;#ASMSTART
	v_cvt_f32_f16 v19, v19;
	;;#ASMEND
	v_fmac_f32_e32 v22, v20, v19
	ds_bpermute_b32 v19, v37, v22
	v_cmp_lt_i32_e64 s[6:7], v16, v5
	v_cndmask_b32_e64 v20, v4, v16, s[6:7]
	v_lshlrev_b32_e32 v20, 2, v20
	v_cmp_lt_i32_e64 s[6:7], v17, v5
	s_waitcnt lgkmcnt(0)
	v_add_f32_e32 v19, v22, v19
	ds_bpermute_b32 v20, v20, v19
	v_cndmask_b32_e64 v21, v4, v17, s[6:7]
	s_waitcnt lgkmcnt(0)
	v_add_f32_e32 v19, v19, v20
	v_lshlrev_b32_e32 v20, 2, v21
	ds_bpermute_b32 v20, v20, v19
	s_and_saveexec_b64 s[34:35], vcc
	s_cbranch_execz .LBB67_8
; %bb.10:                               ;   in Loop: Header=BB67_9 Depth=1
	v_add_u32_e32 v21, s15, v13
	v_cvt_f32_i32_e32 v21, v21
	s_waitcnt lgkmcnt(0)
	v_add_f32_e32 v19, v19, v20
	v_cmp_gt_i32_e64 s[6:7], s17, v13
	v_max_f32_e32 v20, v9, v9
	v_mul_f32_e32 v21, s10, v21
	v_cndmask_b32_e64 v21, 0, v21, s[4:5]
	v_fmac_f32_e32 v21, s11, v19
	v_cndmask_b32_e64 v19, 0, v21, s[6:7]
	ds_write_b32 v14, v19
	v_max_f32_e32 v19, v20, v21
	v_cndmask_b32_e64 v9, v9, v19, s[6:7]
	s_branch .LBB67_8
.LBB67_11:
	s_or_b64 exec, exec, s[30:31]
.LBB67_12:
	s_or_b64 exec, exec, s[28:29]
	v_xor_b32_e32 v1, 32, v4
	v_cmp_lt_i32_e32 vcc, v1, v5
	v_cndmask_b32_e32 v1, v4, v1, vcc
	v_lshlrev_b32_e32 v2, 2, v1
	ds_bpermute_b32 v1, v2, v9
	v_xor_b32_e32 v10, 16, v4
	v_max_f32_e32 v9, v9, v9
	v_cmp_lt_i32_e32 vcc, v10, v5
	v_xor_b32_e32 v12, 8, v4
	s_waitcnt lgkmcnt(0)
	v_max_f32_e32 v1, v1, v1
	v_max_f32_e32 v1, v9, v1
	v_cndmask_b32_e32 v9, v4, v10, vcc
	v_lshlrev_b32_e32 v11, 2, v9
	ds_bpermute_b32 v9, v11, v1
	v_cmp_lt_i32_e32 vcc, v12, v5
	s_waitcnt lgkmcnt(0)
	v_max_f32_e32 v9, v9, v9
	v_max_f32_e32 v10, v1, v9
	v_cndmask_b32_e32 v1, v4, v12, vcc
	v_lshlrev_b32_e32 v13, 2, v1
	ds_bpermute_b32 v12, v13, v10
	v_and_b32_e32 v9, 63, v0
	v_cmp_eq_u32_e32 vcc, 0, v9
	v_lshlrev_b32_e32 v1, 2, v8
	s_and_saveexec_b64 s[4:5], vcc
	s_cbranch_execz .LBB67_14
; %bb.13:
	s_waitcnt lgkmcnt(0)
	v_max_f32_e32 v12, v12, v12
	v_max_f32_e32 v10, v10, v10
	;; [unrolled: 1-line block ×3, first 2 shown]
	ds_write_b32 v1, v10 offset:224
.LBB67_14:
	s_or_b64 exec, exec, s[4:5]
	v_cmp_gt_u32_e64 s[4:5], 2, v9
	v_mov_b32_e32 v14, 0xff7fffff
	v_lshlrev_b32_e32 v10, 2, v9
	s_waitcnt lgkmcnt(0)
	s_barrier
	s_and_saveexec_b64 s[6:7], s[4:5]
; %bb.15:
	ds_read_b32 v14, v10 offset:224
; %bb.16:
	s_or_b64 exec, exec, s[6:7]
	v_xor_b32_e32 v12, 1, v4
	v_cmp_lt_i32_e64 s[6:7], v12, v5
	v_cndmask_b32_e64 v12, v4, v12, s[6:7]
	v_lshlrev_b32_e32 v12, 2, v12
	s_waitcnt lgkmcnt(0)
	ds_bpermute_b32 v15, v12, v14
	v_max_f32_e32 v14, v14, v14
	v_lshlrev_b32_e32 v6, 2, v6
	s_lshl_b32 s6, s33, 3
	s_min_i32 s12, s6, s17
	s_waitcnt lgkmcnt(0)
	v_max_f32_e32 v15, v15, v15
	v_max_f32_e32 v14, v14, v15
	ds_bpermute_b32 v14, v6, v14
	v_cmp_gt_i32_e64 s[6:7], s12, v0
	v_mov_b32_e32 v6, 0
	s_and_saveexec_b64 s[28:29], s[6:7]
	s_cbranch_execz .LBB67_20
; %bb.17:
	v_mov_b32_e32 v6, 0xf0
	v_lshl_add_u32 v15, v0, 2, v6
	v_mov_b32_e32 v6, 0
	s_mov_b64 s[30:31], 0
	v_mov_b32_e32 v16, v0
.LBB67_18:                              ; =>This Inner Loop Header: Depth=1
	ds_read_b32 v17, v15
	v_add_u32_e32 v16, 0x80, v16
	v_cmp_le_i32_e64 s[10:11], s12, v16
	s_or_b64 s[30:31], s[10:11], s[30:31]
	s_waitcnt lgkmcnt(0)
	v_sub_f32_e32 v17, v17, v14
	v_mul_f32_e32 v17, 0x3fb8aa3b, v17
	v_exp_f32_e32 v17, v17
	ds_write_b32 v15, v17
	v_add_f32_e32 v6, v6, v17
	v_add_u32_e32 v15, 0x200, v15
	s_andn2_b64 exec, exec, s[30:31]
	s_cbranch_execnz .LBB67_18
; %bb.19:
	s_or_b64 exec, exec, s[30:31]
.LBB67_20:
	s_or_b64 exec, exec, s[28:29]
	ds_bpermute_b32 v2, v2, v6
	s_waitcnt lgkmcnt(0)
	v_add_f32_e32 v2, v6, v2
	ds_bpermute_b32 v6, v11, v2
	v_xor_b32_e32 v11, 4, v4
	v_cmp_lt_i32_e64 s[10:11], v11, v5
	v_cndmask_b32_e64 v11, v4, v11, s[10:11]
	v_lshlrev_b32_e32 v11, 2, v11
	s_waitcnt lgkmcnt(0)
	v_add_f32_e32 v2, v2, v6
	ds_bpermute_b32 v6, v13, v2
	s_waitcnt lgkmcnt(0)
	v_add_f32_e32 v2, v2, v6
	ds_bpermute_b32 v6, v11, v2
	v_xor_b32_e32 v11, 2, v4
	v_cmp_lt_i32_e64 s[10:11], v11, v5
	v_cndmask_b32_e64 v5, v4, v11, s[10:11]
	v_lshlrev_b32_e32 v5, 2, v5
	s_waitcnt lgkmcnt(0)
	v_add_f32_e32 v2, v2, v6
	ds_bpermute_b32 v5, v5, v2
	s_waitcnt lgkmcnt(0)
	v_add_f32_e32 v2, v2, v5
	ds_bpermute_b32 v5, v12, v2
	s_waitcnt lgkmcnt(0)
	v_add_f32_e32 v2, v2, v5
	s_and_saveexec_b64 s[10:11], vcc
; %bb.21:
	ds_write_b32 v1, v2 offset:232
; %bb.22:
	s_or_b64 exec, exec, s[10:11]
	s_waitcnt lgkmcnt(0)
	s_barrier
	s_and_saveexec_b64 s[10:11], s[4:5]
; %bb.23:
	ds_read_b32 v2, v10 offset:232
; %bb.24:
	s_or_b64 exec, exec, s[10:11]
	s_waitcnt lgkmcnt(0)
	ds_bpermute_b32 v1, v12, v2
	v_lshlrev_b32_e32 v4, 2, v4
	s_waitcnt lgkmcnt(0)
	v_add_f32_e32 v1, v2, v1
	v_and_b32_e32 v2, 0xffffff00, v4
	ds_bpermute_b32 v1, v2, v1
	s_and_saveexec_b64 s[4:5], s[6:7]
	s_cbranch_execz .LBB67_27
; %bb.25:
	s_waitcnt lgkmcnt(0)
	v_add_f32_e32 v2, 0x358637bd, v1
	v_div_scale_f32 v1, s[6:7], v2, v2, 1.0
	v_div_scale_f32 v4, vcc, 1.0, v2, 1.0
	s_mov_b64 s[6:7], 0
	v_rcp_f32_e32 v5, v1
	v_fma_f32 v6, -v1, v5, 1.0
	v_fmac_f32_e32 v5, v6, v5
	v_mul_f32_e32 v6, v4, v5
	v_fma_f32 v10, -v1, v6, v4
	v_fmac_f32_e32 v6, v10, v5
	v_fma_f32 v1, -v1, v6, v4
	v_div_fmas_f32 v4, v1, v5, v6
	v_mov_b32_e32 v1, 0xf0
	v_lshl_add_u32 v1, v0, 2, v1
	v_div_fixup_f32 v2, v4, v2, 1.0
	v_mov_b32_e32 v4, v0
.LBB67_26:                              ; =>This Inner Loop Header: Depth=1
	ds_read_b32 v5, v1
	v_add_u32_e32 v4, 0x80, v4
	v_cmp_le_i32_e32 vcc, s12, v4
	s_or_b64 s[6:7], vcc, s[6:7]
	s_waitcnt lgkmcnt(0)
	v_mul_f32_e32 v5, v2, v5
	ds_write_b32 v1, v5
	v_add_u32_e32 v1, 0x200, v1
	s_andn2_b64 exec, exec, s[6:7]
	s_cbranch_execnz .LBB67_26
.LBB67_27:
	s_or_b64 exec, exec, s[4:5]
	v_mov_b32_e32 v11, 0
	v_mov_b32_e32 v10, 0
	s_waitcnt lgkmcnt(0)
	s_barrier
	s_and_saveexec_b64 s[6:7], s[2:3]
	s_cbranch_execz .LBB67_37
; %bb.28:
	s_ashr_i32 s15, s14, 31
	s_lshl_b64 s[2:3], s[14:15], 1
	s_add_u32 s26, s26, s2
	s_addc_u32 s12, s27, s3
	s_add_i32 s27, s33, -1
	s_lshl_b64 s[4:5], s[24:25], 2
	s_add_u32 s4, s22, s4
	v_or_b32_e32 v2, 64, v9
	s_movk_i32 s2, 0x70
	v_mov_b32_e32 v4, 0xf0
	v_and_b32_e32 v3, 60, v3
	s_addc_u32 s5, s23, s5
	v_lshlrev_b32_e32 v1, 3, v9
	v_cmp_gt_u32_e64 s[2:3], s2, v2
	v_lshlrev_b32_e32 v2, 3, v2
	v_lshl_add_u32 v14, v8, 5, v4
	v_mov_b32_e32 v4, s5
	v_add_co_u32_e32 v5, vcc, s4, v3
	s_mov_b32 s28, s13
	v_mov_b32_e32 v12, 0
	v_lshl_or_b32 v13, v8, 3, 7
	v_addc_co_u32_e32 v6, vcc, 0, v4, vcc
	s_mov_b64 s[10:11], 0
	v_mov_b32_e32 v15, s12
	v_lshlrev_b32_e32 v16, 1, v1
	s_mov_b32 s22, 0xffff
	v_lshlrev_b32_e32 v17, 1, v2
	v_mov_b32_e32 v10, 0
	v_mov_b32_e32 v11, 0
	s_branch .LBB67_31
.LBB67_29:                              ;   in Loop: Header=BB67_31 Depth=1
	s_or_b64 exec, exec, s[14:15]
	v_lshlrev_b32_e32 v18, 16, v27
	v_and_or_b32 v1, v1, s22, v18
	v_lshlrev_b32_e32 v18, 16, v26
	v_and_or_b32 v2, v2, s22, v18
	;; [unrolled: 2-line block ×3, first 2 shown]
	;;#ASMSTART
	v_pk_mul_f16 v1, v22, v1;

	;;#ASMEND
	;;#ASMSTART
	v_pk_mul_f16 v2, v23, v2;

	;;#ASMEND
	;; [unrolled: 4-line block ×4, first 2 shown]
	;;#ASMSTART
	v_pk_add_f16 v1, v1, v2;

	;;#ASMEND
	;;#ASMSTART
	v_pk_add_f16 v1, v1, v3;

	;;#ASMEND
	;; [unrolled: 4-line block ×3, first 2 shown]
	v_lshrrev_b32_e32 v2, 16, v1
	v_and_b32_e32 v1, 0xffff, v1
	;;#ASMSTART
	v_cvt_f32_f16 v1, v1;
	;;#ASMEND
	;;#ASMSTART
	v_cvt_f32_f16 v2, v2;
	;;#ASMEND
	v_add_f32_e32 v1, v1, v2
	v_add_f32_e32 v10, v10, v1
.LBB67_30:                              ;   in Loop: Header=BB67_31 Depth=1
	s_or_b64 exec, exec, s[12:13]
	v_add_u32_e32 v8, 2, v8
	v_cmp_le_i32_e32 vcc, s33, v8
	v_add_f32_e32 v1, v19, v20
	s_or_b64 s[10:11], vcc, s[10:11]
	v_add_co_u32_e32 v5, vcc, 8, v5
	v_add_f32_e32 v11, v11, v1
	v_add_u32_e32 v13, 16, v13
	v_add_u32_e32 v14, 64, v14
	v_addc_co_u32_e32 v6, vcc, 0, v6, vcc
	s_andn2_b64 exec, exec, s[10:11]
	s_cbranch_execz .LBB67_36
.LBB67_31:                              ; =>This Inner Loop Header: Depth=1
	global_load_dword v18, v[5:6], off
	ds_read2_b64 v[1:4], v14 offset1:1
	ds_read2_b64 v[26:29], v14 offset0:2 offset1:3
	s_waitcnt lgkmcnt(1)
	;;#ASMSTART
	v_cvt_f16_f32 v19, v1;

	;;#ASMEND
	;;#ASMSTART
	v_cvt_f16_f32 v20, v2;

	;;#ASMEND
	;; [unrolled: 4-line block ×4, first 2 shown]
	s_waitcnt lgkmcnt(0)
	;;#ASMSTART
	v_cvt_f16_f32 v24, v26;

	;;#ASMEND
	;;#ASMSTART
	v_cvt_f16_f32 v27, v27;

	;;#ASMEND
	;; [unrolled: 4-line block ×4, first 2 shown]
	s_waitcnt vmcnt(0)
	v_mad_i64_i32 v[1:2], s[4:5], v18, s28, 0
	v_add_u32_e32 v18, -7, v13
	v_cmp_eq_u32_e64 s[4:5], s27, v8
	v_lshlrev_b64 v[1:2], 1, v[1:2]
	v_add_co_u32_e32 v25, vcc, s26, v1
	v_addc_co_u32_e32 v26, vcc, v15, v2, vcc
	v_add_co_u32_e32 v1, vcc, v25, v16
	v_addc_co_u32_e32 v2, vcc, 0, v26, vcc
	global_load_dwordx4 v[1:4], v[1:2], off
	s_waitcnt vmcnt(0)
	v_lshrrev_b32_e32 v32, 16, v1
	v_lshrrev_b32_e32 v31, 16, v2
	v_lshrrev_b32_e32 v30, 16, v3
	s_and_saveexec_b64 s[12:13], s[4:5]
	s_cbranch_execz .LBB67_33
; %bb.32:                               ;   in Loop: Header=BB67_31 Depth=1
	v_cmp_gt_i32_e32 vcc, s17, v18
	v_add_u32_e32 v22, -6, v13
	v_cndmask_b32_e32 v1, 0, v1, vcc
	v_cmp_gt_i32_e32 vcc, s17, v22
	v_add_u32_e32 v22, -5, v13
	v_cndmask_b32_e32 v32, 0, v32, vcc
	;; [unrolled: 3-line block ×6, first 2 shown]
	v_cmp_gt_i32_e32 vcc, s17, v22
	v_cndmask_b32_sdwa v22, v12, v4, vcc dst_sel:DWORD dst_unused:UNUSED_PAD src0_sel:DWORD src1_sel:WORD_0
	v_and_b32_e32 v4, 0xffff0000, v4
	v_cmp_gt_i32_e32 vcc, s17, v13
	v_cndmask_b32_e32 v4, 0, v4, vcc
	v_or_b32_e32 v4, v22, v4
.LBB67_33:                              ;   in Loop: Header=BB67_31 Depth=1
	s_or_b64 exec, exec, s[12:13]
	v_and_b32_e32 v19, 0xffff, v19
	v_lshl_or_b32 v22, v20, 16, v19
	v_and_b32_e32 v19, 0xffff, v21
	v_lshl_or_b32 v23, v23, 16, v19
	;; [unrolled: 2-line block ×4, first 2 shown]
	v_lshlrev_b32_e32 v19, 16, v32
	v_and_or_b32 v1, v1, s22, v19
	v_lshlrev_b32_e32 v19, 16, v31
	v_and_or_b32 v2, v2, s22, v19
	v_lshlrev_b32_e32 v19, 16, v30
	v_and_or_b32 v3, v3, s22, v19
	;;#ASMSTART
	v_pk_mul_f16 v1, v22, v1;

	;;#ASMEND
	;;#ASMSTART
	v_pk_mul_f16 v2, v23, v2;

	;;#ASMEND
	;; [unrolled: 4-line block ×4, first 2 shown]
	;;#ASMSTART
	v_pk_add_f16 v1, v1, v2;

	;;#ASMEND
	;;#ASMSTART
	v_pk_add_f16 v1, v1, v3;

	;;#ASMEND
	;; [unrolled: 4-line block ×3, first 2 shown]
	v_lshrrev_b32_e32 v2, 16, v1
	v_and_b32_e32 v1, 0xffff, v1
	;;#ASMSTART
	v_cvt_f32_f16 v19, v1;
	;;#ASMEND
	;;#ASMSTART
	v_cvt_f32_f16 v20, v2;
	;;#ASMEND
	s_and_saveexec_b64 s[12:13], s[2:3]
	s_cbranch_execz .LBB67_30
; %bb.34:                               ;   in Loop: Header=BB67_31 Depth=1
	v_add_co_u32_e32 v1, vcc, v25, v17
	v_addc_co_u32_e32 v2, vcc, 0, v26, vcc
	global_load_dwordx4 v[1:4], v[1:2], off
	s_waitcnt vmcnt(0)
	v_lshrrev_b32_e32 v27, 16, v1
	v_lshrrev_b32_e32 v26, 16, v2
	;; [unrolled: 1-line block ×3, first 2 shown]
	s_and_saveexec_b64 s[14:15], s[4:5]
	s_cbranch_execz .LBB67_29
; %bb.35:                               ;   in Loop: Header=BB67_31 Depth=1
	v_cmp_gt_i32_e32 vcc, s17, v18
	v_add_u32_e32 v18, -6, v13
	v_cndmask_b32_e32 v1, 0, v1, vcc
	v_cmp_gt_i32_e32 vcc, s17, v18
	v_add_u32_e32 v18, -5, v13
	v_cndmask_b32_e32 v27, 0, v27, vcc
	;; [unrolled: 3-line block ×6, first 2 shown]
	v_cmp_gt_i32_e32 vcc, s17, v18
	v_cndmask_b32_sdwa v18, v12, v4, vcc dst_sel:DWORD dst_unused:UNUSED_PAD src0_sel:DWORD src1_sel:WORD_0
	v_and_b32_e32 v4, 0xffff0000, v4
	v_cmp_gt_i32_e32 vcc, s17, v13
	v_cndmask_b32_e32 v4, 0, v4, vcc
	v_or_b32_e32 v4, v18, v4
	s_branch .LBB67_29
.LBB67_36:
	s_or_b64 exec, exec, s[10:11]
.LBB67_37:
	s_or_b64 exec, exec, s[6:7]
	v_and_b32_e32 v1, 0x3c0, v0
	v_cmp_eq_u32_e32 vcc, 64, v1
	s_barrier
	s_and_saveexec_b64 s[2:3], vcc
	s_cbranch_execz .LBB67_40
; %bb.38:
	v_mov_b32_e32 v1, 0xf0
	v_lshl_add_u32 v2, v9, 2, v1
	ds_write_b32 v2, v11
	s_and_b64 exec, exec, s[0:1]
; %bb.39:
	v_lshl_add_u32 v1, v0, 2, v1
	ds_write_b32 v1, v10
.LBB67_40:
	s_or_b64 exec, exec, s[2:3]
	v_cmp_gt_u32_e32 vcc, 64, v0
	v_or_b32_e32 v1, 64, v0
	s_waitcnt lgkmcnt(0)
	s_barrier
	s_and_saveexec_b64 s[2:3], vcc
	s_cbranch_execz .LBB67_44
; %bb.41:
	v_mov_b32_e32 v2, 0xf0
	v_lshl_add_u32 v2, v0, 2, v2
	ds_read_b32 v0, v2
	s_movk_i32 s0, 0x70
	v_cmp_gt_u32_e64 s[0:1], s0, v1
	s_and_saveexec_b64 s[4:5], s[0:1]
	s_cbranch_execz .LBB67_43
; %bb.42:
	ds_read_b32 v2, v2 offset:256
	s_waitcnt lgkmcnt(0)
	v_add_f32_e32 v10, v10, v2
.LBB67_43:
	s_or_b64 exec, exec, s[4:5]
	s_waitcnt lgkmcnt(0)
	v_add_f32_e32 v11, v11, v0
.LBB67_44:
	s_or_b64 exec, exec, s[2:3]
	s_barrier
	s_and_saveexec_b64 s[0:1], vcc
	s_cbranch_execz .LBB67_47
; %bb.45:
	s_mul_i32 s0, s16, s19
	s_mul_i32 s0, s0, s9
	s_mulk_i32 s0, 0x70
	s_ashr_i32 s1, s0, 31
	s_lshl_b64 s[0:1], s[0:1], 1
	s_add_u32 s3, s20, s0
	s_mul_i32 s0, s19, s18
	s_addc_u32 s4, s21, s1
	s_ashr_i32 s1, s0, 31
	s_lshl_b64 s[0:1], s[0:1], 1
	s_add_u32 s3, s3, s0
	s_mul_i32 s0, s8, 0x70
	s_addc_u32 s4, s4, s1
	s_ashr_i32 s1, s0, 31
	s_lshl_b64 s[0:1], s[0:1], 1
	s_movk_i32 s2, 0x70
	s_add_u32 s0, s3, s0
	s_addc_u32 s1, s4, s1
	v_cmp_gt_u32_e32 vcc, s2, v1
	;;#ASMSTART
	v_cvt_f16_f32 v0, v11;

	;;#ASMEND
	global_store_short v7, v0, s[0:1]
	s_and_b64 exec, exec, vcc
	s_cbranch_execz .LBB67_47
; %bb.46:
	v_mov_b32_e32 v1, s1
	v_add_co_u32_e32 v0, vcc, s0, v7
	v_addc_co_u32_e32 v1, vcc, 0, v1, vcc
	;;#ASMSTART
	v_cvt_f16_f32 v2, v10;

	;;#ASMEND
	global_store_short v[0:1], v2, off offset:128
.LBB67_47:
	s_endpgm
	.section	.rodata,"a",@progbits
	.p2align	6, 0x0
	.amdhsa_kernel _ZN4vllm25paged_attention_v1_kernelIttLi112ELi8ELi128ELNS_18Fp8KVCacheDataTypeE0ELb0EEEvPT_PKS2_PKT0_S8_ifPKiSA_iPKfiiiSC_SC_iiiii
		.amdhsa_group_segment_fixed_size 240
		.amdhsa_private_segment_fixed_size 0
		.amdhsa_kernarg_size 384
		.amdhsa_user_sgpr_count 6
		.amdhsa_user_sgpr_private_segment_buffer 1
		.amdhsa_user_sgpr_dispatch_ptr 0
		.amdhsa_user_sgpr_queue_ptr 0
		.amdhsa_user_sgpr_kernarg_segment_ptr 1
		.amdhsa_user_sgpr_dispatch_id 0
		.amdhsa_user_sgpr_flat_scratch_init 0
		.amdhsa_user_sgpr_private_segment_size 0
		.amdhsa_uses_dynamic_stack 0
		.amdhsa_system_sgpr_private_segment_wavefront_offset 0
		.amdhsa_system_sgpr_workgroup_id_x 1
		.amdhsa_system_sgpr_workgroup_id_y 1
		.amdhsa_system_sgpr_workgroup_id_z 1
		.amdhsa_system_sgpr_workgroup_info 0
		.amdhsa_system_vgpr_workitem_id 0
		.amdhsa_next_free_vgpr 41
		.amdhsa_next_free_sgpr 36
		.amdhsa_reserve_vcc 1
		.amdhsa_reserve_flat_scratch 0
		.amdhsa_float_round_mode_32 0
		.amdhsa_float_round_mode_16_64 0
		.amdhsa_float_denorm_mode_32 3
		.amdhsa_float_denorm_mode_16_64 3
		.amdhsa_dx10_clamp 1
		.amdhsa_ieee_mode 1
		.amdhsa_fp16_overflow 0
		.amdhsa_exception_fp_ieee_invalid_op 0
		.amdhsa_exception_fp_denorm_src 0
		.amdhsa_exception_fp_ieee_div_zero 0
		.amdhsa_exception_fp_ieee_overflow 0
		.amdhsa_exception_fp_ieee_underflow 0
		.amdhsa_exception_fp_ieee_inexact 0
		.amdhsa_exception_int_div_zero 0
	.end_amdhsa_kernel
	.section	.text._ZN4vllm25paged_attention_v1_kernelIttLi112ELi8ELi128ELNS_18Fp8KVCacheDataTypeE0ELb0EEEvPT_PKS2_PKT0_S8_ifPKiSA_iPKfiiiSC_SC_iiiii,"axG",@progbits,_ZN4vllm25paged_attention_v1_kernelIttLi112ELi8ELi128ELNS_18Fp8KVCacheDataTypeE0ELb0EEEvPT_PKS2_PKT0_S8_ifPKiSA_iPKfiiiSC_SC_iiiii,comdat
.Lfunc_end67:
	.size	_ZN4vllm25paged_attention_v1_kernelIttLi112ELi8ELi128ELNS_18Fp8KVCacheDataTypeE0ELb0EEEvPT_PKS2_PKT0_S8_ifPKiSA_iPKfiiiSC_SC_iiiii, .Lfunc_end67-_ZN4vllm25paged_attention_v1_kernelIttLi112ELi8ELi128ELNS_18Fp8KVCacheDataTypeE0ELb0EEEvPT_PKS2_PKT0_S8_ifPKiSA_iPKfiiiSC_SC_iiiii
                                        ; -- End function
	.set _ZN4vllm25paged_attention_v1_kernelIttLi112ELi8ELi128ELNS_18Fp8KVCacheDataTypeE0ELb0EEEvPT_PKS2_PKT0_S8_ifPKiSA_iPKfiiiSC_SC_iiiii.num_vgpr, 41
	.set _ZN4vllm25paged_attention_v1_kernelIttLi112ELi8ELi128ELNS_18Fp8KVCacheDataTypeE0ELb0EEEvPT_PKS2_PKT0_S8_ifPKiSA_iPKfiiiSC_SC_iiiii.num_agpr, 0
	.set _ZN4vllm25paged_attention_v1_kernelIttLi112ELi8ELi128ELNS_18Fp8KVCacheDataTypeE0ELb0EEEvPT_PKS2_PKT0_S8_ifPKiSA_iPKfiiiSC_SC_iiiii.numbered_sgpr, 36
	.set _ZN4vllm25paged_attention_v1_kernelIttLi112ELi8ELi128ELNS_18Fp8KVCacheDataTypeE0ELb0EEEvPT_PKS2_PKT0_S8_ifPKiSA_iPKfiiiSC_SC_iiiii.num_named_barrier, 0
	.set _ZN4vllm25paged_attention_v1_kernelIttLi112ELi8ELi128ELNS_18Fp8KVCacheDataTypeE0ELb0EEEvPT_PKS2_PKT0_S8_ifPKiSA_iPKfiiiSC_SC_iiiii.private_seg_size, 0
	.set _ZN4vllm25paged_attention_v1_kernelIttLi112ELi8ELi128ELNS_18Fp8KVCacheDataTypeE0ELb0EEEvPT_PKS2_PKT0_S8_ifPKiSA_iPKfiiiSC_SC_iiiii.uses_vcc, 1
	.set _ZN4vllm25paged_attention_v1_kernelIttLi112ELi8ELi128ELNS_18Fp8KVCacheDataTypeE0ELb0EEEvPT_PKS2_PKT0_S8_ifPKiSA_iPKfiiiSC_SC_iiiii.uses_flat_scratch, 0
	.set _ZN4vllm25paged_attention_v1_kernelIttLi112ELi8ELi128ELNS_18Fp8KVCacheDataTypeE0ELb0EEEvPT_PKS2_PKT0_S8_ifPKiSA_iPKfiiiSC_SC_iiiii.has_dyn_sized_stack, 0
	.set _ZN4vllm25paged_attention_v1_kernelIttLi112ELi8ELi128ELNS_18Fp8KVCacheDataTypeE0ELb0EEEvPT_PKS2_PKT0_S8_ifPKiSA_iPKfiiiSC_SC_iiiii.has_recursion, 0
	.set _ZN4vllm25paged_attention_v1_kernelIttLi112ELi8ELi128ELNS_18Fp8KVCacheDataTypeE0ELb0EEEvPT_PKS2_PKT0_S8_ifPKiSA_iPKfiiiSC_SC_iiiii.has_indirect_call, 0
	.section	.AMDGPU.csdata,"",@progbits
; Kernel info:
; codeLenInByte = 3816
; TotalNumSgprs: 40
; NumVgprs: 41
; ScratchSize: 0
; MemoryBound: 0
; FloatMode: 240
; IeeeMode: 1
; LDSByteSize: 240 bytes/workgroup (compile time only)
; SGPRBlocks: 4
; VGPRBlocks: 10
; NumSGPRsForWavesPerEU: 40
; NumVGPRsForWavesPerEU: 41
; Occupancy: 5
; WaveLimiterHint : 1
; COMPUTE_PGM_RSRC2:SCRATCH_EN: 0
; COMPUTE_PGM_RSRC2:USER_SGPR: 6
; COMPUTE_PGM_RSRC2:TRAP_HANDLER: 0
; COMPUTE_PGM_RSRC2:TGID_X_EN: 1
; COMPUTE_PGM_RSRC2:TGID_Y_EN: 1
; COMPUTE_PGM_RSRC2:TGID_Z_EN: 1
; COMPUTE_PGM_RSRC2:TIDIG_COMP_CNT: 0
	.section	.text._ZN4vllm25paged_attention_v1_kernelIttLi120ELi8ELi128ELNS_18Fp8KVCacheDataTypeE0ELb0EEEvPT_PKS2_PKT0_S8_ifPKiSA_iPKfiiiSC_SC_iiiii,"axG",@progbits,_ZN4vllm25paged_attention_v1_kernelIttLi120ELi8ELi128ELNS_18Fp8KVCacheDataTypeE0ELb0EEEvPT_PKS2_PKT0_S8_ifPKiSA_iPKfiiiSC_SC_iiiii,comdat
	.protected	_ZN4vllm25paged_attention_v1_kernelIttLi120ELi8ELi128ELNS_18Fp8KVCacheDataTypeE0ELb0EEEvPT_PKS2_PKT0_S8_ifPKiSA_iPKfiiiSC_SC_iiiii ; -- Begin function _ZN4vllm25paged_attention_v1_kernelIttLi120ELi8ELi128ELNS_18Fp8KVCacheDataTypeE0ELb0EEEvPT_PKS2_PKT0_S8_ifPKiSA_iPKfiiiSC_SC_iiiii
	.globl	_ZN4vllm25paged_attention_v1_kernelIttLi120ELi8ELi128ELNS_18Fp8KVCacheDataTypeE0ELb0EEEvPT_PKS2_PKT0_S8_ifPKiSA_iPKfiiiSC_SC_iiiii
	.p2align	8
	.type	_ZN4vllm25paged_attention_v1_kernelIttLi120ELi8ELi128ELNS_18Fp8KVCacheDataTypeE0ELb0EEEvPT_PKS2_PKT0_S8_ifPKiSA_iPKfiiiSC_SC_iiiii,@function
_ZN4vllm25paged_attention_v1_kernelIttLi120ELi8ELi128ELNS_18Fp8KVCacheDataTypeE0ELb0EEEvPT_PKS2_PKT0_S8_ifPKiSA_iPKfiiiSC_SC_iiiii: ; @_ZN4vllm25paged_attention_v1_kernelIttLi120ELi8ELi128ELNS_18Fp8KVCacheDataTypeE0ELb0EEEvPT_PKS2_PKT0_S8_ifPKiSA_iPKfiiiSC_SC_iiiii
; %bb.0:
	s_load_dword s9, s[4:5], 0x80
	s_load_dwordx2 s[0:1], s[4:5], 0x30
	s_load_dwordx2 s[10:11], s[4:5], 0x20
	s_mov_b32 s16, s7
	s_ashr_i32 s17, s7, 31
	s_lshl_b64 s[2:3], s[16:17], 2
	s_waitcnt lgkmcnt(0)
	s_add_u32 s0, s0, s2
	s_addc_u32 s1, s1, s3
	s_abs_i32 s2, s10
	v_cvt_f32_u32_e32 v1, s2
	s_xor_b32 s3, s9, s10
	s_sub_i32 s10, 0, s2
	s_abs_i32 s7, s9
	v_rcp_iflag_f32_e32 v1, v1
	s_ashr_i32 s3, s3, 31
	v_mul_f32_e32 v1, 0x4f7ffffe, v1
	v_cvt_u32_f32_e32 v1, v1
	v_readfirstlane_b32 s12, v1
	s_mul_i32 s10, s10, s12
	s_mul_hi_u32 s10, s12, s10
	s_add_i32 s12, s12, s10
	s_mul_hi_u32 s10, s7, s12
	s_mul_i32 s12, s10, s2
	s_sub_i32 s7, s7, s12
	s_add_i32 s12, s10, 1
	s_sub_i32 s13, s7, s2
	s_cmp_ge_u32 s7, s2
	s_cselect_b32 s10, s12, s10
	s_cselect_b32 s7, s13, s7
	s_add_i32 s12, s10, 1
	s_cmp_ge_u32 s7, s2
	s_cselect_b32 s2, s12, s10
	s_xor_b32 s2, s2, s3
	s_sub_i32 s12, s2, s3
	s_abs_i32 s20, s12
	v_cvt_f32_u32_e32 v1, s20
	s_load_dwordx2 s[2:3], s[4:5], 0x40
	s_sub_i32 s7, 0, s20
	s_abs_i32 s21, s6
	v_rcp_iflag_f32_e32 v1, v1
	s_mov_b32 s10, 0
	v_mul_f32_e32 v1, 0x4f7ffffe, v1
	v_cvt_u32_f32_e32 v1, v1
	v_readfirstlane_b32 s13, v1
	s_mul_i32 s7, s7, s13
	s_mul_hi_u32 s7, s13, s7
	s_add_i32 s13, s13, s7
	s_waitcnt lgkmcnt(0)
	s_cmp_eq_u64 s[2:3], 0
	s_mul_hi_u32 s24, s21, s13
	s_cbranch_scc1 .LBB68_2
; %bb.1:
	s_ashr_i32 s7, s6, 31
	s_lshl_b64 s[14:15], s[6:7], 2
	s_add_u32 s2, s2, s14
	s_addc_u32 s3, s3, s15
	s_load_dword s10, s[2:3], 0x0
.LBB68_2:
	s_load_dword s17, s[0:1], 0x0
	s_ashr_i32 s25, s12, 31
	s_load_dwordx4 s[12:15], s[4:5], 0x48
	s_movk_i32 s0, 0x78
	s_ashr_i32 s7, s6, 31
	v_and_b32_e32 v1, 7, v0
	s_mul_i32 s18, s6, 0x78
	v_cmp_gt_u32_e64 s[0:1], s0, v0
	v_lshlrev_b32_e32 v7, 1, v0
	s_and_saveexec_b64 s[2:3], s[0:1]
	s_cbranch_execz .LBB68_4
; %bb.3:
	s_load_dwordx2 s[22:23], s[4:5], 0x8
	s_waitcnt lgkmcnt(0)
	s_mul_i32 s26, s12, s16
	s_ashr_i32 s27, s26, 31
	s_lshl_b64 s[26:27], s[26:27], 1
	v_lshrrev_b32_e32 v3, 2, v0
	s_add_u32 s6, s22, s26
	s_addc_u32 s12, s23, s27
	s_ashr_i32 s19, s18, 31
	s_lshl_b64 s[22:23], s[18:19], 1
	s_add_u32 s22, s6, s22
	s_addc_u32 s23, s12, s23
	global_load_ushort v2, v7, s[22:23]
	v_and_b32_e32 v3, 0xfe, v3
	v_mad_u32_u24 v3, v1, 30, v3
	s_waitcnt vmcnt(0)
	ds_write_b16 v3, v2
.LBB68_4:
	s_or_b64 exec, exec, s[2:3]
	s_waitcnt lgkmcnt(0)
	s_add_i32 s3, s17, 7
	s_ashr_i32 s6, s3, 31
	s_lshr_b32 s6, s6, 29
	s_add_i32 s3, s3, s6
	s_mul_i32 s6, s24, s20
	s_sub_i32 s6, s21, s6
	s_ashr_i32 s33, s3, 3
	s_xor_b32 s3, s7, s25
	s_add_i32 s7, s24, 1
	s_sub_i32 s12, s6, s20
	s_load_dwordx2 s[22:23], s[4:5], 0x28
	s_load_dword s2, s[4:5], 0x38
	s_cmp_ge_u32 s6, s20
	s_cselect_b32 s7, s7, s24
	s_cselect_b32 s6, s12, s6
	s_add_i32 s12, s7, 1
	s_cmp_ge_u32 s6, s20
	s_cselect_b32 s6, s12, s7
	v_lshrrev_b32_e32 v8, 6, v0
	s_xor_b32 s6, s6, s3
	s_waitcnt lgkmcnt(0)
	s_mul_i32 s24, s2, s16
	s_sub_i32 s12, s6, s3
	s_ashr_i32 s25, s24, 31
	v_cmp_gt_i32_e64 s[2:3], s33, v8
	v_cmp_le_i32_e32 vcc, s33, v8
	v_mbcnt_lo_u32_b32 v15, -1, 0
	s_barrier
                                        ; implicit-def: $vgpr4
                                        ; implicit-def: $vgpr6
                                        ; implicit-def: $vgpr5
	s_and_saveexec_b64 s[6:7], vcc
	s_xor_b64 s[6:7], exec, s[6:7]
; %bb.5:
	v_mbcnt_hi_u32_b32 v4, -1, v15
	v_and_b32_e32 v6, 64, v4
	v_add_u32_e32 v5, 64, v6
                                        ; implicit-def: $vgpr1
                                        ; implicit-def: $vgpr15
; %bb.6:
	s_or_saveexec_b64 s[28:29], s[6:7]
	s_load_dwordx2 s[20:21], s[4:5], 0x0
	s_load_dwordx2 s[26:27], s[4:5], 0x18
	s_load_dword s19, s[4:5], 0x88
	v_mov_b32_e32 v9, 0xff7fffff
	s_mul_i32 s14, s12, s14
	v_lshrrev_b32_e32 v3, 4, v0
	s_xor_b64 exec, exec, s[28:29]
	s_cbranch_execz .LBB68_12
; %bb.7:
	s_load_dwordx2 s[4:5], s[4:5], 0x10
	s_ashr_i32 s15, s14, 31
	s_lshl_b64 s[6:7], s[14:15], 1
	v_bfe_u32 v2, v0, 3, 3
	v_lshlrev_b32_e32 v4, 4, v2
	s_waitcnt lgkmcnt(0)
	s_add_u32 s4, s4, s6
	s_addc_u32 s5, s5, s7
	v_mov_b32_e32 v5, s5
	v_add_co_u32_e32 v4, vcc, s4, v4
	v_addc_co_u32_e32 v5, vcc, 0, v5, vcc
	v_lshlrev_b32_e32 v6, 1, v1
	v_add_co_u32_e32 v10, vcc, v4, v6
	v_addc_co_u32_e32 v11, vcc, 0, v5, vcc
	v_mul_u32_u24_e32 v12, 30, v1
	v_cmp_eq_u32_e32 vcc, 0, v1
	s_sub_i32 s15, 1, s17
	v_lshlrev_b32_e32 v1, 2, v2
	s_lshl_b64 s[6:7], s[24:25], 2
	v_lshl_or_b32 v1, v8, 5, v1
	s_add_u32 s6, s22, s6
	v_add_u32_e32 v14, 0x100, v1
	v_and_b32_e32 v1, 60, v3
	s_addc_u32 s7, s23, s7
	v_mbcnt_hi_u32_b32 v4, -1, v15
	v_lshl_or_b32 v13, v8, 3, v2
	v_mov_b32_e32 v2, s7
	v_add_co_u32_e64 v1, s[6:7], s6, v1
	v_and_b32_e32 v6, 64, v4
	s_mov_b32 s12, s13
	v_cmp_neq_f32_e64 s[4:5], s10, 0
	v_addc_co_u32_e64 v2, s[6:7], 0, v2, s[6:7]
	v_mov_b32_e32 v9, 0xff7fffff
	s_mov_b64 s[30:31], 0
	v_add_u32_e32 v5, 64, v6
	v_xor_b32_e32 v15, 4, v4
	v_xor_b32_e32 v16, 2, v4
	;; [unrolled: 1-line block ×3, first 2 shown]
	v_mov_b32_e32 v18, v8
	s_branch .LBB68_9
.LBB68_8:                               ;   in Loop: Header=BB68_9 Depth=1
	s_or_b64 exec, exec, s[34:35]
	v_add_u32_e32 v18, 2, v18
	v_cmp_le_i32_e64 s[6:7], s33, v18
	s_or_b64 s[30:31], s[6:7], s[30:31]
	v_add_co_u32_e64 v1, s[6:7], 8, v1
	v_add_u32_e32 v13, 16, v13
	v_add_u32_e32 v14, 64, v14
	v_addc_co_u32_e64 v2, s[6:7], 0, v2, s[6:7]
	s_andn2_b64 exec, exec, s[30:31]
	s_cbranch_execz .LBB68_11
.LBB68_9:                               ; =>This Inner Loop Header: Depth=1
	global_load_dword v19, v[1:2], off
	s_waitcnt vmcnt(0) lgkmcnt(0)
	v_mad_i64_i32 v[19:20], s[6:7], v19, s12, 0
	v_lshlrev_b64 v[19:20], 1, v[19:20]
	v_add_co_u32_e64 v22, s[6:7], v10, v19
	v_addc_co_u32_e64 v23, s[6:7], v11, v20, s[6:7]
	global_load_ushort v24, v[22:23], off
	global_load_ushort v25, v[22:23], off offset:128
	global_load_ushort v27, v[22:23], off offset:256
	global_load_ushort v29, v[22:23], off offset:384
	global_load_ushort v31, v[22:23], off offset:512
	global_load_ushort v33, v[22:23], off offset:640
	global_load_ushort v35, v[22:23], off offset:768
	global_load_ushort v37, v[22:23], off offset:896
	global_load_ushort v39, v[22:23], off offset:1024
	global_load_ushort v41, v[22:23], off offset:1152
	global_load_ushort v42, v[22:23], off offset:1280
	ds_read_u16 v26, v12
	global_load_ushort v43, v[22:23], off offset:1408
	global_load_ushort v21, v[22:23], off offset:1536
	;; [unrolled: 1-line block ×4, first 2 shown]
	s_waitcnt lgkmcnt(0)
	;;#ASMSTART
	v_cvt_f32_f16 v22, v26;
	;;#ASMEND
	v_cmp_lt_i32_e64 s[6:7], v15, v5
	s_waitcnt vmcnt(14)
	;;#ASMSTART
	v_cvt_f32_f16 v23, v24;
	;;#ASMEND
	ds_read_u16 v24, v12 offset:2
	s_waitcnt lgkmcnt(0)
	;;#ASMSTART
	v_cvt_f32_f16 v24, v24;
	;;#ASMEND
	s_waitcnt vmcnt(13)
	;;#ASMSTART
	v_cvt_f32_f16 v25, v25;
	;;#ASMEND
	v_mul_f32_e32 v24, v24, v25
	ds_read_u16 v26, v12 offset:4
	v_fmac_f32_e32 v24, v22, v23
	s_waitcnt lgkmcnt(0)
	;;#ASMSTART
	v_cvt_f32_f16 v26, v26;
	;;#ASMEND
	s_waitcnt vmcnt(12)
	;;#ASMSTART
	v_cvt_f32_f16 v27, v27;
	;;#ASMEND
	ds_read_u16 v28, v12 offset:6
	v_fmac_f32_e32 v24, v26, v27
	s_waitcnt lgkmcnt(0)
	;;#ASMSTART
	v_cvt_f32_f16 v28, v28;
	;;#ASMEND
	s_waitcnt vmcnt(11)
	;;#ASMSTART
	v_cvt_f32_f16 v29, v29;
	;;#ASMEND
	;; [unrolled: 10-line block ×8, first 2 shown]
	v_fmac_f32_e32 v24, v40, v41
	ds_read_u16 v44, v12 offset:20
	s_waitcnt lgkmcnt(0)
	;;#ASMSTART
	v_cvt_f32_f16 v25, v44;
	;;#ASMEND
	s_waitcnt vmcnt(4)
	;;#ASMSTART
	v_cvt_f32_f16 v42, v42;
	;;#ASMEND
	v_fmac_f32_e32 v24, v25, v42
	ds_read_u16 v44, v12 offset:22
	s_waitcnt lgkmcnt(0)
	;;#ASMSTART
	v_cvt_f32_f16 v23, v44;
	;;#ASMEND
	s_waitcnt vmcnt(3)
	;;#ASMSTART
	v_cvt_f32_f16 v43, v43;
	;;#ASMEND
	;; [unrolled: 10-line block ×3, first 2 shown]
	ds_read_u16 v27, v12 offset:26
	v_fmac_f32_e32 v24, v26, v21
	v_cndmask_b32_e64 v22, v4, v15, s[6:7]
	s_waitcnt lgkmcnt(0)
	;;#ASMSTART
	v_cvt_f32_f16 v27, v27;
	;;#ASMEND
	s_waitcnt vmcnt(1)
	;;#ASMSTART
	v_cvt_f32_f16 v20, v20;
	;;#ASMEND
	v_fmac_f32_e32 v24, v27, v20
	v_lshlrev_b32_e32 v22, 2, v22
	ds_read_u16 v28, v12 offset:28
	s_waitcnt lgkmcnt(0)
	;;#ASMSTART
	v_cvt_f32_f16 v20, v28;
	;;#ASMEND
	s_waitcnt vmcnt(0)
	;;#ASMSTART
	v_cvt_f32_f16 v19, v19;
	;;#ASMEND
	v_fmac_f32_e32 v24, v20, v19
	ds_bpermute_b32 v19, v22, v24
	v_cmp_lt_i32_e64 s[6:7], v16, v5
	v_cndmask_b32_e64 v20, v4, v16, s[6:7]
	v_lshlrev_b32_e32 v20, 2, v20
	v_cmp_lt_i32_e64 s[6:7], v17, v5
	s_waitcnt lgkmcnt(0)
	v_add_f32_e32 v19, v24, v19
	ds_bpermute_b32 v20, v20, v19
	v_cndmask_b32_e64 v21, v4, v17, s[6:7]
	s_waitcnt lgkmcnt(0)
	v_add_f32_e32 v19, v19, v20
	v_lshlrev_b32_e32 v20, 2, v21
	ds_bpermute_b32 v20, v20, v19
	s_and_saveexec_b64 s[34:35], vcc
	s_cbranch_execz .LBB68_8
; %bb.10:                               ;   in Loop: Header=BB68_9 Depth=1
	v_add_u32_e32 v21, s15, v13
	v_cvt_f32_i32_e32 v21, v21
	s_waitcnt lgkmcnt(0)
	v_add_f32_e32 v19, v19, v20
	v_cmp_gt_i32_e64 s[6:7], s17, v13
	v_max_f32_e32 v20, v9, v9
	v_mul_f32_e32 v21, s10, v21
	v_cndmask_b32_e64 v21, 0, v21, s[4:5]
	v_fmac_f32_e32 v21, s11, v19
	v_cndmask_b32_e64 v19, 0, v21, s[6:7]
	ds_write_b32 v14, v19
	v_max_f32_e32 v19, v20, v21
	v_cndmask_b32_e64 v9, v9, v19, s[6:7]
	s_branch .LBB68_8
.LBB68_11:
	s_or_b64 exec, exec, s[30:31]
.LBB68_12:
	s_or_b64 exec, exec, s[28:29]
	v_xor_b32_e32 v1, 32, v4
	v_cmp_lt_i32_e32 vcc, v1, v5
	v_cndmask_b32_e32 v1, v4, v1, vcc
	v_lshlrev_b32_e32 v2, 2, v1
	ds_bpermute_b32 v1, v2, v9
	v_xor_b32_e32 v10, 16, v4
	v_max_f32_e32 v9, v9, v9
	v_cmp_lt_i32_e32 vcc, v10, v5
	v_xor_b32_e32 v12, 8, v4
	s_waitcnt lgkmcnt(0)
	v_max_f32_e32 v1, v1, v1
	v_max_f32_e32 v1, v9, v1
	v_cndmask_b32_e32 v9, v4, v10, vcc
	v_lshlrev_b32_e32 v11, 2, v9
	ds_bpermute_b32 v9, v11, v1
	v_cmp_lt_i32_e32 vcc, v12, v5
	s_waitcnt lgkmcnt(0)
	v_max_f32_e32 v9, v9, v9
	v_max_f32_e32 v10, v1, v9
	v_cndmask_b32_e32 v1, v4, v12, vcc
	v_lshlrev_b32_e32 v13, 2, v1
	ds_bpermute_b32 v12, v13, v10
	v_and_b32_e32 v9, 63, v0
	v_cmp_eq_u32_e32 vcc, 0, v9
	v_lshlrev_b32_e32 v1, 2, v8
	s_and_saveexec_b64 s[4:5], vcc
	s_cbranch_execz .LBB68_14
; %bb.13:
	s_waitcnt lgkmcnt(0)
	v_max_f32_e32 v12, v12, v12
	v_max_f32_e32 v10, v10, v10
	;; [unrolled: 1-line block ×3, first 2 shown]
	ds_write_b32 v1, v10 offset:240
.LBB68_14:
	s_or_b64 exec, exec, s[4:5]
	v_cmp_gt_u32_e64 s[4:5], 2, v9
	v_mov_b32_e32 v14, 0xff7fffff
	v_lshlrev_b32_e32 v10, 2, v9
	s_waitcnt lgkmcnt(0)
	s_barrier
	s_and_saveexec_b64 s[6:7], s[4:5]
; %bb.15:
	ds_read_b32 v14, v10 offset:240
; %bb.16:
	s_or_b64 exec, exec, s[6:7]
	v_xor_b32_e32 v12, 1, v4
	v_cmp_lt_i32_e64 s[6:7], v12, v5
	v_cndmask_b32_e64 v12, v4, v12, s[6:7]
	v_lshlrev_b32_e32 v12, 2, v12
	s_waitcnt lgkmcnt(0)
	ds_bpermute_b32 v15, v12, v14
	v_max_f32_e32 v14, v14, v14
	v_lshlrev_b32_e32 v6, 2, v6
	s_lshl_b32 s6, s33, 3
	s_min_i32 s12, s6, s17
	s_waitcnt lgkmcnt(0)
	v_max_f32_e32 v15, v15, v15
	v_max_f32_e32 v14, v14, v15
	ds_bpermute_b32 v14, v6, v14
	v_cmp_gt_i32_e64 s[6:7], s12, v0
	v_mov_b32_e32 v6, 0
	s_and_saveexec_b64 s[28:29], s[6:7]
	s_cbranch_execz .LBB68_20
; %bb.17:
	v_mov_b32_e32 v6, 0x100
	v_lshl_add_u32 v15, v0, 2, v6
	v_mov_b32_e32 v6, 0
	s_mov_b64 s[30:31], 0
	v_mov_b32_e32 v16, v0
.LBB68_18:                              ; =>This Inner Loop Header: Depth=1
	ds_read_b32 v17, v15
	v_add_u32_e32 v16, 0x80, v16
	v_cmp_le_i32_e64 s[10:11], s12, v16
	s_or_b64 s[30:31], s[10:11], s[30:31]
	s_waitcnt lgkmcnt(0)
	v_sub_f32_e32 v17, v17, v14
	v_mul_f32_e32 v17, 0x3fb8aa3b, v17
	v_exp_f32_e32 v17, v17
	ds_write_b32 v15, v17
	v_add_f32_e32 v6, v6, v17
	v_add_u32_e32 v15, 0x200, v15
	s_andn2_b64 exec, exec, s[30:31]
	s_cbranch_execnz .LBB68_18
; %bb.19:
	s_or_b64 exec, exec, s[30:31]
.LBB68_20:
	s_or_b64 exec, exec, s[28:29]
	ds_bpermute_b32 v2, v2, v6
	s_waitcnt lgkmcnt(0)
	v_add_f32_e32 v2, v6, v2
	ds_bpermute_b32 v6, v11, v2
	v_xor_b32_e32 v11, 4, v4
	v_cmp_lt_i32_e64 s[10:11], v11, v5
	v_cndmask_b32_e64 v11, v4, v11, s[10:11]
	v_lshlrev_b32_e32 v11, 2, v11
	s_waitcnt lgkmcnt(0)
	v_add_f32_e32 v2, v2, v6
	ds_bpermute_b32 v6, v13, v2
	s_waitcnt lgkmcnt(0)
	v_add_f32_e32 v2, v2, v6
	ds_bpermute_b32 v6, v11, v2
	v_xor_b32_e32 v11, 2, v4
	v_cmp_lt_i32_e64 s[10:11], v11, v5
	v_cndmask_b32_e64 v5, v4, v11, s[10:11]
	v_lshlrev_b32_e32 v5, 2, v5
	s_waitcnt lgkmcnt(0)
	v_add_f32_e32 v2, v2, v6
	ds_bpermute_b32 v5, v5, v2
	s_waitcnt lgkmcnt(0)
	v_add_f32_e32 v2, v2, v5
	ds_bpermute_b32 v5, v12, v2
	s_waitcnt lgkmcnt(0)
	v_add_f32_e32 v2, v2, v5
	s_and_saveexec_b64 s[10:11], vcc
; %bb.21:
	ds_write_b32 v1, v2 offset:248
; %bb.22:
	s_or_b64 exec, exec, s[10:11]
	s_waitcnt lgkmcnt(0)
	s_barrier
	s_and_saveexec_b64 s[10:11], s[4:5]
; %bb.23:
	ds_read_b32 v2, v10 offset:248
; %bb.24:
	s_or_b64 exec, exec, s[10:11]
	s_waitcnt lgkmcnt(0)
	ds_bpermute_b32 v1, v12, v2
	v_lshlrev_b32_e32 v4, 2, v4
	s_waitcnt lgkmcnt(0)
	v_add_f32_e32 v1, v2, v1
	v_and_b32_e32 v2, 0xffffff00, v4
	ds_bpermute_b32 v1, v2, v1
	s_and_saveexec_b64 s[4:5], s[6:7]
	s_cbranch_execz .LBB68_27
; %bb.25:
	s_waitcnt lgkmcnt(0)
	v_add_f32_e32 v2, 0x358637bd, v1
	v_div_scale_f32 v1, s[6:7], v2, v2, 1.0
	v_div_scale_f32 v4, vcc, 1.0, v2, 1.0
	s_mov_b64 s[6:7], 0
	v_rcp_f32_e32 v5, v1
	v_fma_f32 v6, -v1, v5, 1.0
	v_fmac_f32_e32 v5, v6, v5
	v_mul_f32_e32 v6, v4, v5
	v_fma_f32 v10, -v1, v6, v4
	v_fmac_f32_e32 v6, v10, v5
	v_fma_f32 v1, -v1, v6, v4
	v_div_fmas_f32 v4, v1, v5, v6
	v_mov_b32_e32 v1, 0x100
	v_lshl_add_u32 v1, v0, 2, v1
	v_div_fixup_f32 v2, v4, v2, 1.0
	v_mov_b32_e32 v4, v0
.LBB68_26:                              ; =>This Inner Loop Header: Depth=1
	ds_read_b32 v5, v1
	v_add_u32_e32 v4, 0x80, v4
	v_cmp_le_i32_e32 vcc, s12, v4
	s_or_b64 s[6:7], vcc, s[6:7]
	s_waitcnt lgkmcnt(0)
	v_mul_f32_e32 v5, v2, v5
	ds_write_b32 v1, v5
	v_add_u32_e32 v1, 0x200, v1
	s_andn2_b64 exec, exec, s[6:7]
	s_cbranch_execnz .LBB68_26
.LBB68_27:
	s_or_b64 exec, exec, s[4:5]
	v_mov_b32_e32 v11, 0
	v_mov_b32_e32 v10, 0
	s_waitcnt lgkmcnt(0)
	s_barrier
	s_and_saveexec_b64 s[6:7], s[2:3]
	s_cbranch_execz .LBB68_37
; %bb.28:
	s_ashr_i32 s15, s14, 31
	s_lshl_b64 s[2:3], s[14:15], 1
	s_add_u32 s26, s26, s2
	s_addc_u32 s12, s27, s3
	s_add_i32 s27, s33, -1
	s_lshl_b64 s[4:5], s[24:25], 2
	s_add_u32 s4, s22, s4
	v_or_b32_e32 v2, 64, v9
	s_movk_i32 s2, 0x78
	v_mov_b32_e32 v4, 0x100
	v_and_b32_e32 v3, 60, v3
	s_addc_u32 s5, s23, s5
	v_lshlrev_b32_e32 v1, 3, v9
	v_cmp_gt_u32_e64 s[2:3], s2, v2
	v_lshlrev_b32_e32 v2, 3, v2
	v_lshl_add_u32 v14, v8, 5, v4
	v_mov_b32_e32 v4, s5
	v_add_co_u32_e32 v5, vcc, s4, v3
	s_mov_b32 s28, s13
	v_mov_b32_e32 v12, 0
	v_lshl_or_b32 v13, v8, 3, 7
	v_addc_co_u32_e32 v6, vcc, 0, v4, vcc
	s_mov_b64 s[10:11], 0
	v_mov_b32_e32 v15, s12
	v_lshlrev_b32_e32 v16, 1, v1
	s_mov_b32 s22, 0xffff
	v_lshlrev_b32_e32 v17, 1, v2
	v_mov_b32_e32 v10, 0
	v_mov_b32_e32 v11, 0
	s_branch .LBB68_31
.LBB68_29:                              ;   in Loop: Header=BB68_31 Depth=1
	s_or_b64 exec, exec, s[14:15]
	v_lshlrev_b32_e32 v18, 16, v27
	v_and_or_b32 v1, v1, s22, v18
	v_lshlrev_b32_e32 v18, 16, v26
	v_and_or_b32 v2, v2, s22, v18
	;; [unrolled: 2-line block ×3, first 2 shown]
	;;#ASMSTART
	v_pk_mul_f16 v1, v22, v1;

	;;#ASMEND
	;;#ASMSTART
	v_pk_mul_f16 v2, v23, v2;

	;;#ASMEND
	;; [unrolled: 4-line block ×4, first 2 shown]
	;;#ASMSTART
	v_pk_add_f16 v1, v1, v2;

	;;#ASMEND
	;;#ASMSTART
	v_pk_add_f16 v1, v1, v3;

	;;#ASMEND
	;;#ASMSTART
	v_pk_add_f16 v1, v1, v4;

	;;#ASMEND
	v_lshrrev_b32_e32 v2, 16, v1
	v_and_b32_e32 v1, 0xffff, v1
	;;#ASMSTART
	v_cvt_f32_f16 v1, v1;
	;;#ASMEND
	;;#ASMSTART
	v_cvt_f32_f16 v2, v2;
	;;#ASMEND
	v_add_f32_e32 v1, v1, v2
	v_add_f32_e32 v10, v10, v1
.LBB68_30:                              ;   in Loop: Header=BB68_31 Depth=1
	s_or_b64 exec, exec, s[12:13]
	v_add_u32_e32 v8, 2, v8
	v_cmp_le_i32_e32 vcc, s33, v8
	v_add_f32_e32 v1, v19, v20
	s_or_b64 s[10:11], vcc, s[10:11]
	v_add_co_u32_e32 v5, vcc, 8, v5
	v_add_f32_e32 v11, v11, v1
	v_add_u32_e32 v13, 16, v13
	v_add_u32_e32 v14, 64, v14
	v_addc_co_u32_e32 v6, vcc, 0, v6, vcc
	s_andn2_b64 exec, exec, s[10:11]
	s_cbranch_execz .LBB68_36
.LBB68_31:                              ; =>This Inner Loop Header: Depth=1
	global_load_dword v18, v[5:6], off
	ds_read2_b64 v[1:4], v14 offset1:1
	ds_read2_b64 v[26:29], v14 offset0:2 offset1:3
	s_waitcnt lgkmcnt(1)
	;;#ASMSTART
	v_cvt_f16_f32 v19, v1;

	;;#ASMEND
	;;#ASMSTART
	v_cvt_f16_f32 v20, v2;

	;;#ASMEND
	;; [unrolled: 4-line block ×4, first 2 shown]
	s_waitcnt lgkmcnt(0)
	;;#ASMSTART
	v_cvt_f16_f32 v24, v26;

	;;#ASMEND
	;;#ASMSTART
	v_cvt_f16_f32 v27, v27;

	;;#ASMEND
	;; [unrolled: 4-line block ×4, first 2 shown]
	s_waitcnt vmcnt(0)
	v_mad_i64_i32 v[1:2], s[4:5], v18, s28, 0
	v_add_u32_e32 v18, -7, v13
	v_cmp_eq_u32_e64 s[4:5], s27, v8
	v_lshlrev_b64 v[1:2], 1, v[1:2]
	v_add_co_u32_e32 v25, vcc, s26, v1
	v_addc_co_u32_e32 v26, vcc, v15, v2, vcc
	v_add_co_u32_e32 v1, vcc, v25, v16
	v_addc_co_u32_e32 v2, vcc, 0, v26, vcc
	global_load_dwordx4 v[1:4], v[1:2], off
	s_waitcnt vmcnt(0)
	v_lshrrev_b32_e32 v32, 16, v1
	v_lshrrev_b32_e32 v31, 16, v2
	;; [unrolled: 1-line block ×3, first 2 shown]
	s_and_saveexec_b64 s[12:13], s[4:5]
	s_cbranch_execz .LBB68_33
; %bb.32:                               ;   in Loop: Header=BB68_31 Depth=1
	v_cmp_gt_i32_e32 vcc, s17, v18
	v_add_u32_e32 v22, -6, v13
	v_cndmask_b32_e32 v1, 0, v1, vcc
	v_cmp_gt_i32_e32 vcc, s17, v22
	v_add_u32_e32 v22, -5, v13
	v_cndmask_b32_e32 v32, 0, v32, vcc
	v_cmp_gt_i32_e32 vcc, s17, v22
	v_add_u32_e32 v22, -4, v13
	v_cndmask_b32_e32 v2, 0, v2, vcc
	v_cmp_gt_i32_e32 vcc, s17, v22
	v_add_u32_e32 v22, -3, v13
	v_cndmask_b32_e32 v31, 0, v31, vcc
	v_cmp_gt_i32_e32 vcc, s17, v22
	v_add_u32_e32 v22, -2, v13
	v_cndmask_b32_e32 v3, 0, v3, vcc
	v_cmp_gt_i32_e32 vcc, s17, v22
	v_add_u32_e32 v22, -1, v13
	v_cndmask_b32_e32 v30, 0, v30, vcc
	v_cmp_gt_i32_e32 vcc, s17, v22
	v_cndmask_b32_sdwa v22, v12, v4, vcc dst_sel:DWORD dst_unused:UNUSED_PAD src0_sel:DWORD src1_sel:WORD_0
	v_and_b32_e32 v4, 0xffff0000, v4
	v_cmp_gt_i32_e32 vcc, s17, v13
	v_cndmask_b32_e32 v4, 0, v4, vcc
	v_or_b32_e32 v4, v22, v4
.LBB68_33:                              ;   in Loop: Header=BB68_31 Depth=1
	s_or_b64 exec, exec, s[12:13]
	v_and_b32_e32 v19, 0xffff, v19
	v_lshl_or_b32 v22, v20, 16, v19
	v_and_b32_e32 v19, 0xffff, v21
	v_lshl_or_b32 v23, v23, 16, v19
	;; [unrolled: 2-line block ×4, first 2 shown]
	v_lshlrev_b32_e32 v19, 16, v32
	v_and_or_b32 v1, v1, s22, v19
	v_lshlrev_b32_e32 v19, 16, v31
	v_and_or_b32 v2, v2, s22, v19
	;; [unrolled: 2-line block ×3, first 2 shown]
	;;#ASMSTART
	v_pk_mul_f16 v1, v22, v1;

	;;#ASMEND
	;;#ASMSTART
	v_pk_mul_f16 v2, v23, v2;

	;;#ASMEND
	;;#ASMSTART
	v_pk_mul_f16 v3, v24, v3;

	;;#ASMEND
	;;#ASMSTART
	v_pk_mul_f16 v4, v21, v4;

	;;#ASMEND
	;;#ASMSTART
	v_pk_add_f16 v1, v1, v2;

	;;#ASMEND
	;;#ASMSTART
	v_pk_add_f16 v1, v1, v3;

	;;#ASMEND
	;; [unrolled: 4-line block ×3, first 2 shown]
	v_lshrrev_b32_e32 v2, 16, v1
	v_and_b32_e32 v1, 0xffff, v1
	;;#ASMSTART
	v_cvt_f32_f16 v19, v1;
	;;#ASMEND
	;;#ASMSTART
	v_cvt_f32_f16 v20, v2;
	;;#ASMEND
	s_and_saveexec_b64 s[12:13], s[2:3]
	s_cbranch_execz .LBB68_30
; %bb.34:                               ;   in Loop: Header=BB68_31 Depth=1
	v_add_co_u32_e32 v1, vcc, v25, v17
	v_addc_co_u32_e32 v2, vcc, 0, v26, vcc
	global_load_dwordx4 v[1:4], v[1:2], off
	s_waitcnt vmcnt(0)
	v_lshrrev_b32_e32 v27, 16, v1
	v_lshrrev_b32_e32 v26, 16, v2
	;; [unrolled: 1-line block ×3, first 2 shown]
	s_and_saveexec_b64 s[14:15], s[4:5]
	s_cbranch_execz .LBB68_29
; %bb.35:                               ;   in Loop: Header=BB68_31 Depth=1
	v_cmp_gt_i32_e32 vcc, s17, v18
	v_add_u32_e32 v18, -6, v13
	v_cndmask_b32_e32 v1, 0, v1, vcc
	v_cmp_gt_i32_e32 vcc, s17, v18
	v_add_u32_e32 v18, -5, v13
	v_cndmask_b32_e32 v27, 0, v27, vcc
	;; [unrolled: 3-line block ×6, first 2 shown]
	v_cmp_gt_i32_e32 vcc, s17, v18
	v_cndmask_b32_sdwa v18, v12, v4, vcc dst_sel:DWORD dst_unused:UNUSED_PAD src0_sel:DWORD src1_sel:WORD_0
	v_and_b32_e32 v4, 0xffff0000, v4
	v_cmp_gt_i32_e32 vcc, s17, v13
	v_cndmask_b32_e32 v4, 0, v4, vcc
	v_or_b32_e32 v4, v18, v4
	s_branch .LBB68_29
.LBB68_36:
	s_or_b64 exec, exec, s[10:11]
.LBB68_37:
	s_or_b64 exec, exec, s[6:7]
	v_and_b32_e32 v1, 0x3c0, v0
	v_cmp_eq_u32_e32 vcc, 64, v1
	s_barrier
	s_and_saveexec_b64 s[2:3], vcc
	s_cbranch_execz .LBB68_40
; %bb.38:
	v_mov_b32_e32 v1, 0x100
	v_lshl_add_u32 v2, v9, 2, v1
	ds_write_b32 v2, v11
	s_and_b64 exec, exec, s[0:1]
; %bb.39:
	v_lshl_add_u32 v1, v0, 2, v1
	ds_write_b32 v1, v10
.LBB68_40:
	s_or_b64 exec, exec, s[2:3]
	v_cmp_gt_u32_e32 vcc, 64, v0
	v_or_b32_e32 v1, 64, v0
	s_waitcnt lgkmcnt(0)
	s_barrier
	s_and_saveexec_b64 s[2:3], vcc
	s_cbranch_execz .LBB68_44
; %bb.41:
	v_mov_b32_e32 v2, 0x100
	v_lshl_add_u32 v2, v0, 2, v2
	ds_read_b32 v0, v2
	s_movk_i32 s0, 0x78
	v_cmp_gt_u32_e64 s[0:1], s0, v1
	s_and_saveexec_b64 s[4:5], s[0:1]
	s_cbranch_execz .LBB68_43
; %bb.42:
	ds_read_b32 v2, v2 offset:256
	s_waitcnt lgkmcnt(0)
	v_add_f32_e32 v10, v10, v2
.LBB68_43:
	s_or_b64 exec, exec, s[4:5]
	s_waitcnt lgkmcnt(0)
	v_add_f32_e32 v11, v11, v0
.LBB68_44:
	s_or_b64 exec, exec, s[2:3]
	s_barrier
	s_and_saveexec_b64 s[0:1], vcc
	s_cbranch_execz .LBB68_47
; %bb.45:
	s_mul_i32 s0, s16, s19
	s_mul_i32 s0, s0, s9
	s_mulk_i32 s0, 0x78
	s_ashr_i32 s1, s0, 31
	s_lshl_b64 s[0:1], s[0:1], 1
	s_add_u32 s3, s20, s0
	s_mul_i32 s0, s19, s18
	s_addc_u32 s4, s21, s1
	s_ashr_i32 s1, s0, 31
	s_lshl_b64 s[0:1], s[0:1], 1
	s_add_u32 s3, s3, s0
	s_mul_i32 s0, s8, 0x78
	s_addc_u32 s4, s4, s1
	s_ashr_i32 s1, s0, 31
	s_lshl_b64 s[0:1], s[0:1], 1
	s_movk_i32 s2, 0x78
	s_add_u32 s0, s3, s0
	s_addc_u32 s1, s4, s1
	v_cmp_gt_u32_e32 vcc, s2, v1
	;;#ASMSTART
	v_cvt_f16_f32 v0, v11;

	;;#ASMEND
	global_store_short v7, v0, s[0:1]
	s_and_b64 exec, exec, vcc
	s_cbranch_execz .LBB68_47
; %bb.46:
	v_mov_b32_e32 v1, s1
	v_add_co_u32_e32 v0, vcc, s0, v7
	v_addc_co_u32_e32 v1, vcc, 0, v1, vcc
	;;#ASMSTART
	v_cvt_f16_f32 v2, v10;

	;;#ASMEND
	global_store_short v[0:1], v2, off offset:128
.LBB68_47:
	s_endpgm
	.section	.rodata,"a",@progbits
	.p2align	6, 0x0
	.amdhsa_kernel _ZN4vllm25paged_attention_v1_kernelIttLi120ELi8ELi128ELNS_18Fp8KVCacheDataTypeE0ELb0EEEvPT_PKS2_PKT0_S8_ifPKiSA_iPKfiiiSC_SC_iiiii
		.amdhsa_group_segment_fixed_size 256
		.amdhsa_private_segment_fixed_size 0
		.amdhsa_kernarg_size 384
		.amdhsa_user_sgpr_count 6
		.amdhsa_user_sgpr_private_segment_buffer 1
		.amdhsa_user_sgpr_dispatch_ptr 0
		.amdhsa_user_sgpr_queue_ptr 0
		.amdhsa_user_sgpr_kernarg_segment_ptr 1
		.amdhsa_user_sgpr_dispatch_id 0
		.amdhsa_user_sgpr_flat_scratch_init 0
		.amdhsa_user_sgpr_private_segment_size 0
		.amdhsa_uses_dynamic_stack 0
		.amdhsa_system_sgpr_private_segment_wavefront_offset 0
		.amdhsa_system_sgpr_workgroup_id_x 1
		.amdhsa_system_sgpr_workgroup_id_y 1
		.amdhsa_system_sgpr_workgroup_id_z 1
		.amdhsa_system_sgpr_workgroup_info 0
		.amdhsa_system_vgpr_workitem_id 0
		.amdhsa_next_free_vgpr 45
		.amdhsa_next_free_sgpr 36
		.amdhsa_reserve_vcc 1
		.amdhsa_reserve_flat_scratch 0
		.amdhsa_float_round_mode_32 0
		.amdhsa_float_round_mode_16_64 0
		.amdhsa_float_denorm_mode_32 3
		.amdhsa_float_denorm_mode_16_64 3
		.amdhsa_dx10_clamp 1
		.amdhsa_ieee_mode 1
		.amdhsa_fp16_overflow 0
		.amdhsa_exception_fp_ieee_invalid_op 0
		.amdhsa_exception_fp_denorm_src 0
		.amdhsa_exception_fp_ieee_div_zero 0
		.amdhsa_exception_fp_ieee_overflow 0
		.amdhsa_exception_fp_ieee_underflow 0
		.amdhsa_exception_fp_ieee_inexact 0
		.amdhsa_exception_int_div_zero 0
	.end_amdhsa_kernel
	.section	.text._ZN4vllm25paged_attention_v1_kernelIttLi120ELi8ELi128ELNS_18Fp8KVCacheDataTypeE0ELb0EEEvPT_PKS2_PKT0_S8_ifPKiSA_iPKfiiiSC_SC_iiiii,"axG",@progbits,_ZN4vllm25paged_attention_v1_kernelIttLi120ELi8ELi128ELNS_18Fp8KVCacheDataTypeE0ELb0EEEvPT_PKS2_PKT0_S8_ifPKiSA_iPKfiiiSC_SC_iiiii,comdat
.Lfunc_end68:
	.size	_ZN4vllm25paged_attention_v1_kernelIttLi120ELi8ELi128ELNS_18Fp8KVCacheDataTypeE0ELb0EEEvPT_PKS2_PKT0_S8_ifPKiSA_iPKfiiiSC_SC_iiiii, .Lfunc_end68-_ZN4vllm25paged_attention_v1_kernelIttLi120ELi8ELi128ELNS_18Fp8KVCacheDataTypeE0ELb0EEEvPT_PKS2_PKT0_S8_ifPKiSA_iPKfiiiSC_SC_iiiii
                                        ; -- End function
	.set _ZN4vllm25paged_attention_v1_kernelIttLi120ELi8ELi128ELNS_18Fp8KVCacheDataTypeE0ELb0EEEvPT_PKS2_PKT0_S8_ifPKiSA_iPKfiiiSC_SC_iiiii.num_vgpr, 45
	.set _ZN4vllm25paged_attention_v1_kernelIttLi120ELi8ELi128ELNS_18Fp8KVCacheDataTypeE0ELb0EEEvPT_PKS2_PKT0_S8_ifPKiSA_iPKfiiiSC_SC_iiiii.num_agpr, 0
	.set _ZN4vllm25paged_attention_v1_kernelIttLi120ELi8ELi128ELNS_18Fp8KVCacheDataTypeE0ELb0EEEvPT_PKS2_PKT0_S8_ifPKiSA_iPKfiiiSC_SC_iiiii.numbered_sgpr, 36
	.set _ZN4vllm25paged_attention_v1_kernelIttLi120ELi8ELi128ELNS_18Fp8KVCacheDataTypeE0ELb0EEEvPT_PKS2_PKT0_S8_ifPKiSA_iPKfiiiSC_SC_iiiii.num_named_barrier, 0
	.set _ZN4vllm25paged_attention_v1_kernelIttLi120ELi8ELi128ELNS_18Fp8KVCacheDataTypeE0ELb0EEEvPT_PKS2_PKT0_S8_ifPKiSA_iPKfiiiSC_SC_iiiii.private_seg_size, 0
	.set _ZN4vllm25paged_attention_v1_kernelIttLi120ELi8ELi128ELNS_18Fp8KVCacheDataTypeE0ELb0EEEvPT_PKS2_PKT0_S8_ifPKiSA_iPKfiiiSC_SC_iiiii.uses_vcc, 1
	.set _ZN4vllm25paged_attention_v1_kernelIttLi120ELi8ELi128ELNS_18Fp8KVCacheDataTypeE0ELb0EEEvPT_PKS2_PKT0_S8_ifPKiSA_iPKfiiiSC_SC_iiiii.uses_flat_scratch, 0
	.set _ZN4vllm25paged_attention_v1_kernelIttLi120ELi8ELi128ELNS_18Fp8KVCacheDataTypeE0ELb0EEEvPT_PKS2_PKT0_S8_ifPKiSA_iPKfiiiSC_SC_iiiii.has_dyn_sized_stack, 0
	.set _ZN4vllm25paged_attention_v1_kernelIttLi120ELi8ELi128ELNS_18Fp8KVCacheDataTypeE0ELb0EEEvPT_PKS2_PKT0_S8_ifPKiSA_iPKfiiiSC_SC_iiiii.has_recursion, 0
	.set _ZN4vllm25paged_attention_v1_kernelIttLi120ELi8ELi128ELNS_18Fp8KVCacheDataTypeE0ELb0EEEvPT_PKS2_PKT0_S8_ifPKiSA_iPKfiiiSC_SC_iiiii.has_indirect_call, 0
	.section	.AMDGPU.csdata,"",@progbits
; Kernel info:
; codeLenInByte = 3856
; TotalNumSgprs: 40
; NumVgprs: 45
; ScratchSize: 0
; MemoryBound: 0
; FloatMode: 240
; IeeeMode: 1
; LDSByteSize: 256 bytes/workgroup (compile time only)
; SGPRBlocks: 4
; VGPRBlocks: 11
; NumSGPRsForWavesPerEU: 40
; NumVGPRsForWavesPerEU: 45
; Occupancy: 5
; WaveLimiterHint : 1
; COMPUTE_PGM_RSRC2:SCRATCH_EN: 0
; COMPUTE_PGM_RSRC2:USER_SGPR: 6
; COMPUTE_PGM_RSRC2:TRAP_HANDLER: 0
; COMPUTE_PGM_RSRC2:TGID_X_EN: 1
; COMPUTE_PGM_RSRC2:TGID_Y_EN: 1
; COMPUTE_PGM_RSRC2:TGID_Z_EN: 1
; COMPUTE_PGM_RSRC2:TIDIG_COMP_CNT: 0
	.section	.text._ZN4vllm25paged_attention_v1_kernelIttLi128ELi8ELi128ELNS_18Fp8KVCacheDataTypeE0ELb0EEEvPT_PKS2_PKT0_S8_ifPKiSA_iPKfiiiSC_SC_iiiii,"axG",@progbits,_ZN4vllm25paged_attention_v1_kernelIttLi128ELi8ELi128ELNS_18Fp8KVCacheDataTypeE0ELb0EEEvPT_PKS2_PKT0_S8_ifPKiSA_iPKfiiiSC_SC_iiiii,comdat
	.protected	_ZN4vllm25paged_attention_v1_kernelIttLi128ELi8ELi128ELNS_18Fp8KVCacheDataTypeE0ELb0EEEvPT_PKS2_PKT0_S8_ifPKiSA_iPKfiiiSC_SC_iiiii ; -- Begin function _ZN4vllm25paged_attention_v1_kernelIttLi128ELi8ELi128ELNS_18Fp8KVCacheDataTypeE0ELb0EEEvPT_PKS2_PKT0_S8_ifPKiSA_iPKfiiiSC_SC_iiiii
	.globl	_ZN4vllm25paged_attention_v1_kernelIttLi128ELi8ELi128ELNS_18Fp8KVCacheDataTypeE0ELb0EEEvPT_PKS2_PKT0_S8_ifPKiSA_iPKfiiiSC_SC_iiiii
	.p2align	8
	.type	_ZN4vllm25paged_attention_v1_kernelIttLi128ELi8ELi128ELNS_18Fp8KVCacheDataTypeE0ELb0EEEvPT_PKS2_PKT0_S8_ifPKiSA_iPKfiiiSC_SC_iiiii,@function
_ZN4vllm25paged_attention_v1_kernelIttLi128ELi8ELi128ELNS_18Fp8KVCacheDataTypeE0ELb0EEEvPT_PKS2_PKT0_S8_ifPKiSA_iPKfiiiSC_SC_iiiii: ; @_ZN4vllm25paged_attention_v1_kernelIttLi128ELi8ELi128ELNS_18Fp8KVCacheDataTypeE0ELb0EEEvPT_PKS2_PKT0_S8_ifPKiSA_iPKfiiiSC_SC_iiiii
; %bb.0:
	s_load_dword s9, s[4:5], 0x80
	s_load_dwordx2 s[0:1], s[4:5], 0x30
	s_load_dwordx2 s[26:27], s[4:5], 0x20
	s_mov_b32 s10, s7
	s_ashr_i32 s11, s7, 31
	s_lshl_b64 s[2:3], s[10:11], 2
	s_waitcnt lgkmcnt(0)
	s_add_u32 s0, s0, s2
	s_addc_u32 s1, s1, s3
	s_abs_i32 s2, s26
	v_cvt_f32_u32_e32 v1, s2
	s_sub_i32 s11, 0, s2
	s_abs_i32 s7, s9
	s_xor_b32 s3, s9, s26
	v_rcp_iflag_f32_e32 v1, v1
	s_ashr_i32 s3, s3, 31
	s_mov_b32 s26, 0
	v_mul_f32_e32 v1, 0x4f7ffffe, v1
	v_cvt_u32_f32_e32 v1, v1
	v_readfirstlane_b32 s12, v1
	s_mul_i32 s11, s11, s12
	s_mul_hi_u32 s11, s12, s11
	s_add_i32 s12, s12, s11
	s_mul_hi_u32 s11, s7, s12
	s_mul_i32 s12, s11, s2
	s_sub_i32 s7, s7, s12
	s_add_i32 s12, s11, 1
	s_sub_i32 s13, s7, s2
	s_cmp_ge_u32 s7, s2
	s_cselect_b32 s11, s12, s11
	s_cselect_b32 s7, s13, s7
	s_add_i32 s12, s11, 1
	s_cmp_ge_u32 s7, s2
	s_cselect_b32 s2, s12, s11
	s_xor_b32 s2, s2, s3
	s_sub_i32 s12, s2, s3
	s_abs_i32 s18, s12
	v_cvt_f32_u32_e32 v1, s18
	s_load_dwordx2 s[2:3], s[4:5], 0x40
	s_sub_i32 s7, 0, s18
	s_abs_i32 s19, s6
	v_rcp_iflag_f32_e32 v1, v1
	v_mul_f32_e32 v1, 0x4f7ffffe, v1
	v_cvt_u32_f32_e32 v1, v1
	v_readfirstlane_b32 s11, v1
	s_mul_i32 s7, s7, s11
	s_mul_hi_u32 s7, s11, s7
	s_add_i32 s11, s11, s7
	s_waitcnt lgkmcnt(0)
	s_cmp_eq_u64 s[2:3], 0
	s_mul_hi_u32 s22, s19, s11
	s_cbranch_scc1 .LBB69_2
; %bb.1:
	s_ashr_i32 s7, s6, 31
	s_lshl_b64 s[14:15], s[6:7], 2
	s_add_u32 s2, s2, s14
	s_addc_u32 s3, s3, s15
	s_load_dword s26, s[2:3], 0x0
.LBB69_2:
	s_load_dword s11, s[0:1], 0x0
	s_ashr_i32 s3, s12, 31
	s_load_dwordx4 s[12:15], s[4:5], 0x48
	s_movk_i32 s0, 0x80
	s_ashr_i32 s2, s6, 31
	v_and_b32_e32 v1, 7, v0
	s_lshl_b32 s16, s6, 7
	v_cmp_gt_u32_e32 vcc, s0, v0
	v_lshlrev_b32_e32 v9, 1, v0
	s_and_saveexec_b64 s[0:1], vcc
	s_cbranch_execz .LBB69_4
; %bb.3:
	s_load_dwordx2 s[6:7], s[4:5], 0x8
	s_waitcnt lgkmcnt(0)
	s_mul_i32 s20, s12, s10
	s_ashr_i32 s21, s20, 31
	s_lshl_b64 s[20:21], s[20:21], 1
	v_lshrrev_b32_e32 v3, 2, v0
	s_add_u32 s12, s6, s20
	s_addc_u32 s15, s7, s21
	s_ashr_i32 s17, s16, 31
	s_lshl_b64 s[6:7], s[16:17], 1
	s_add_u32 s6, s12, s6
	s_addc_u32 s7, s15, s7
	global_load_ushort v2, v9, s[6:7]
	v_and_b32_e32 v3, 0xfe, v3
	v_lshl_add_u32 v3, v1, 5, v3
	s_waitcnt vmcnt(0)
	ds_write_b16 v3, v2
.LBB69_4:
	s_or_b64 exec, exec, s[0:1]
	s_waitcnt lgkmcnt(0)
	s_add_i32 s1, s11, 7
	s_ashr_i32 s6, s1, 31
	s_lshr_b32 s6, s6, 29
	s_add_i32 s1, s1, s6
	s_ashr_i32 s17, s1, 3
	s_xor_b32 s1, s2, s3
	s_mul_i32 s2, s22, s18
	s_sub_i32 s2, s19, s2
	s_add_i32 s3, s22, 1
	s_sub_i32 s6, s2, s18
	s_load_dwordx2 s[20:21], s[4:5], 0x28
	s_load_dword s0, s[4:5], 0x38
	s_cmp_ge_u32 s2, s18
	s_cselect_b32 s3, s3, s22
	s_cselect_b32 s2, s6, s2
	s_add_i32 s6, s3, 1
	s_cmp_ge_u32 s2, s18
	s_cselect_b32 s2, s6, s3
	v_lshrrev_b32_e32 v10, 6, v0
	s_xor_b32 s2, s2, s1
	s_waitcnt lgkmcnt(0)
	s_mul_i32 s22, s0, s10
	s_sub_i32 s15, s2, s1
	s_ashr_i32 s23, s22, 31
	v_cmp_gt_i32_e64 s[0:1], s17, v10
	v_cmp_le_i32_e32 vcc, s17, v10
	v_mbcnt_lo_u32_b32 v15, -1, 0
	s_barrier
                                        ; implicit-def: $vgpr4
                                        ; implicit-def: $vgpr6
                                        ; implicit-def: $vgpr5
	s_and_saveexec_b64 s[2:3], vcc
	s_xor_b64 s[2:3], exec, s[2:3]
; %bb.5:
	v_mbcnt_hi_u32_b32 v4, -1, v15
	v_and_b32_e32 v6, 64, v4
	v_add_u32_e32 v5, 64, v6
                                        ; implicit-def: $vgpr1
                                        ; implicit-def: $vgpr15
; %bb.6:
	s_or_saveexec_b64 s[6:7], s[2:3]
	s_load_dwordx2 s[18:19], s[4:5], 0x0
	s_load_dwordx2 s[24:25], s[4:5], 0x18
	s_load_dword s12, s[4:5], 0x88
	v_mov_b32_e32 v7, 0xff7fffff
	s_mul_i32 s14, s15, s14
	v_lshrrev_b32_e32 v3, 4, v0
	s_xor_b64 exec, exec, s[6:7]
	s_cbranch_execz .LBB69_12
; %bb.7:
	s_load_dwordx2 s[2:3], s[4:5], 0x10
	s_ashr_i32 s15, s14, 31
	s_lshl_b64 s[4:5], s[14:15], 1
	v_bfe_u32 v2, v0, 3, 3
	v_lshlrev_b32_e32 v4, 4, v2
	s_waitcnt lgkmcnt(0)
	s_add_u32 s2, s2, s4
	s_addc_u32 s3, s3, s5
	v_mov_b32_e32 v5, s3
	v_add_co_u32_e32 v4, vcc, s2, v4
	v_addc_co_u32_e32 v5, vcc, 0, v5, vcc
	v_lshlrev_b32_e32 v6, 1, v1
	v_add_co_u32_e32 v8, vcc, v4, v6
	v_addc_co_u32_e32 v11, vcc, 0, v5, vcc
	v_lshlrev_b32_e32 v12, 5, v1
	v_cmp_eq_u32_e32 vcc, 0, v1
	s_sub_i32 s15, 1, s11
	v_lshlrev_b32_e32 v1, 2, v2
	s_lshl_b64 s[4:5], s[22:23], 2
	v_lshl_or_b32 v1, v10, 5, v1
	s_add_u32 s4, s20, s4
	v_add_u32_e32 v14, 0x110, v1
	v_and_b32_e32 v1, 60, v3
	s_addc_u32 s5, s21, s5
	v_mbcnt_hi_u32_b32 v4, -1, v15
	v_lshl_or_b32 v13, v10, 3, v2
	v_mov_b32_e32 v2, s5
	v_add_co_u32_e64 v1, s[4:5], s4, v1
	v_and_b32_e32 v6, 64, v4
	s_mov_b32 s33, s13
	v_cmp_neq_f32_e64 s[2:3], s26, 0
	v_addc_co_u32_e64 v2, s[4:5], 0, v2, s[4:5]
	v_mov_b32_e32 v7, 0xff7fffff
	s_mov_b64 s[28:29], 0
	v_add_u32_e32 v5, 64, v6
	v_xor_b32_e32 v15, 4, v4
	v_xor_b32_e32 v16, 2, v4
	v_xor_b32_e32 v17, 1, v4
	v_mov_b32_e32 v18, v10
	s_branch .LBB69_9
.LBB69_8:                               ;   in Loop: Header=BB69_9 Depth=1
	s_or_b64 exec, exec, s[30:31]
	v_add_u32_e32 v18, 2, v18
	v_cmp_le_i32_e64 s[4:5], s17, v18
	s_or_b64 s[28:29], s[4:5], s[28:29]
	v_add_co_u32_e64 v1, s[4:5], 8, v1
	v_add_u32_e32 v13, 16, v13
	v_add_u32_e32 v14, 64, v14
	v_addc_co_u32_e64 v2, s[4:5], 0, v2, s[4:5]
	s_andn2_b64 exec, exec, s[28:29]
	s_cbranch_execz .LBB69_11
.LBB69_9:                               ; =>This Inner Loop Header: Depth=1
	global_load_dword v19, v[1:2], off
	s_waitcnt vmcnt(0) lgkmcnt(0)
	v_mad_i64_i32 v[19:20], s[4:5], v19, s33, 0
	v_lshlrev_b64 v[19:20], 1, v[19:20]
	v_add_co_u32_e64 v23, s[4:5], v8, v19
	v_addc_co_u32_e64 v24, s[4:5], v11, v20, s[4:5]
	global_load_ushort v25, v[23:24], off
	global_load_ushort v26, v[23:24], off offset:128
	global_load_ushort v28, v[23:24], off offset:256
	;; [unrolled: 1-line block ×10, first 2 shown]
	ds_read_u16 v27, v12
	global_load_ushort v43, v[23:24], off offset:1408
	global_load_ushort v22, v[23:24], off offset:1536
	;; [unrolled: 1-line block ×5, first 2 shown]
	s_waitcnt lgkmcnt(0)
	;;#ASMSTART
	v_cvt_f32_f16 v23, v27;
	;;#ASMEND
	v_cmp_lt_i32_e64 s[4:5], v15, v5
	s_waitcnt vmcnt(15)
	;;#ASMSTART
	v_cvt_f32_f16 v24, v25;
	;;#ASMEND
	ds_read_u16 v25, v12 offset:2
	s_waitcnt lgkmcnt(0)
	;;#ASMSTART
	v_cvt_f32_f16 v25, v25;
	;;#ASMEND
	s_waitcnt vmcnt(14)
	;;#ASMSTART
	v_cvt_f32_f16 v26, v26;
	;;#ASMEND
	v_mul_f32_e32 v25, v25, v26
	ds_read_u16 v27, v12 offset:4
	v_fmac_f32_e32 v25, v23, v24
	s_waitcnt lgkmcnt(0)
	;;#ASMSTART
	v_cvt_f32_f16 v27, v27;
	;;#ASMEND
	s_waitcnt vmcnt(13)
	;;#ASMSTART
	v_cvt_f32_f16 v28, v28;
	;;#ASMEND
	ds_read_u16 v29, v12 offset:6
	v_fmac_f32_e32 v25, v27, v28
	s_waitcnt lgkmcnt(0)
	;;#ASMSTART
	v_cvt_f32_f16 v29, v29;
	;;#ASMEND
	s_waitcnt vmcnt(12)
	;;#ASMSTART
	v_cvt_f32_f16 v30, v30;
	;;#ASMEND
	;; [unrolled: 10-line block ×7, first 2 shown]
	v_fmac_f32_e32 v25, v39, v40
	ds_read_u16 v44, v12 offset:18
	s_waitcnt lgkmcnt(0)
	;;#ASMSTART
	v_cvt_f32_f16 v26, v44;
	;;#ASMEND
	s_waitcnt vmcnt(6)
	;;#ASMSTART
	v_cvt_f32_f16 v41, v41;
	;;#ASMEND
	v_fmac_f32_e32 v25, v26, v41
	ds_read_u16 v44, v12 offset:20
	s_waitcnt lgkmcnt(0)
	;;#ASMSTART
	v_cvt_f32_f16 v23, v44;
	;;#ASMEND
	s_waitcnt vmcnt(5)
	;;#ASMSTART
	v_cvt_f32_f16 v24, v42;
	;;#ASMEND
	ds_read_u16 v42, v12 offset:22
	v_fmac_f32_e32 v25, v23, v24
	s_waitcnt lgkmcnt(0)
	;;#ASMSTART
	v_cvt_f32_f16 v42, v42;
	;;#ASMEND
	s_waitcnt vmcnt(4)
	;;#ASMSTART
	v_cvt_f32_f16 v43, v43;
	;;#ASMEND
	v_fmac_f32_e32 v25, v42, v43
	ds_read_u16 v44, v12 offset:24
	s_waitcnt lgkmcnt(0)
	;;#ASMSTART
	v_cvt_f32_f16 v28, v44;
	;;#ASMEND
	s_waitcnt vmcnt(3)
	;;#ASMSTART
	v_cvt_f32_f16 v22, v22;
	;;#ASMEND
	v_fmac_f32_e32 v25, v28, v22
	ds_read_u16 v44, v12 offset:26
	s_waitcnt lgkmcnt(0)
	;;#ASMSTART
	v_cvt_f32_f16 v29, v44;
	;;#ASMEND
	s_waitcnt vmcnt(2)
	;;#ASMSTART
	v_cvt_f32_f16 v21, v21;
	;;#ASMEND
	v_fmac_f32_e32 v25, v29, v21
	v_cndmask_b32_e64 v27, v4, v15, s[4:5]
	ds_read_u16 v30, v12 offset:28
	s_waitcnt lgkmcnt(0)
	;;#ASMSTART
	v_cvt_f32_f16 v23, v30;
	;;#ASMEND
	s_waitcnt vmcnt(1)
	;;#ASMSTART
	v_cvt_f32_f16 v20, v20;
	;;#ASMEND
	v_fmac_f32_e32 v25, v23, v20
	v_lshlrev_b32_e32 v27, 2, v27
	ds_read_u16 v24, v12 offset:30
	s_waitcnt lgkmcnt(0)
	;;#ASMSTART
	v_cvt_f32_f16 v20, v24;
	;;#ASMEND
	s_waitcnt vmcnt(0)
	;;#ASMSTART
	v_cvt_f32_f16 v19, v19;
	;;#ASMEND
	v_fmac_f32_e32 v25, v20, v19
	ds_bpermute_b32 v19, v27, v25
	v_cmp_lt_i32_e64 s[4:5], v16, v5
	v_cndmask_b32_e64 v20, v4, v16, s[4:5]
	v_lshlrev_b32_e32 v20, 2, v20
	v_cmp_lt_i32_e64 s[4:5], v17, v5
	s_waitcnt lgkmcnt(0)
	v_add_f32_e32 v19, v25, v19
	ds_bpermute_b32 v20, v20, v19
	v_cndmask_b32_e64 v21, v4, v17, s[4:5]
	s_waitcnt lgkmcnt(0)
	v_add_f32_e32 v19, v19, v20
	v_lshlrev_b32_e32 v20, 2, v21
	ds_bpermute_b32 v20, v20, v19
	s_and_saveexec_b64 s[30:31], vcc
	s_cbranch_execz .LBB69_8
; %bb.10:                               ;   in Loop: Header=BB69_9 Depth=1
	v_add_u32_e32 v21, s15, v13
	v_cvt_f32_i32_e32 v21, v21
	s_waitcnt lgkmcnt(0)
	v_add_f32_e32 v19, v19, v20
	v_cmp_gt_i32_e64 s[4:5], s11, v13
	v_max_f32_e32 v20, v7, v7
	v_mul_f32_e32 v21, s26, v21
	v_cndmask_b32_e64 v21, 0, v21, s[2:3]
	v_fmac_f32_e32 v21, s27, v19
	v_cndmask_b32_e64 v19, 0, v21, s[4:5]
	ds_write_b32 v14, v19
	v_max_f32_e32 v19, v20, v21
	v_cndmask_b32_e64 v7, v7, v19, s[4:5]
	s_branch .LBB69_8
.LBB69_11:
	s_or_b64 exec, exec, s[28:29]
.LBB69_12:
	s_or_b64 exec, exec, s[6:7]
	v_xor_b32_e32 v1, 32, v4
	v_cmp_lt_i32_e32 vcc, v1, v5
	v_cndmask_b32_e32 v1, v4, v1, vcc
	v_lshlrev_b32_e32 v2, 2, v1
	ds_bpermute_b32 v1, v2, v7
	v_xor_b32_e32 v8, 16, v4
	v_max_f32_e32 v7, v7, v7
	v_cmp_lt_i32_e32 vcc, v8, v5
	v_xor_b32_e32 v11, 8, v4
	s_waitcnt lgkmcnt(0)
	v_max_f32_e32 v1, v1, v1
	v_max_f32_e32 v1, v7, v1
	v_cndmask_b32_e32 v7, v4, v8, vcc
	v_lshlrev_b32_e32 v8, 2, v7
	ds_bpermute_b32 v7, v8, v1
	v_cmp_lt_i32_e32 vcc, v11, v5
	s_waitcnt lgkmcnt(0)
	v_max_f32_e32 v7, v7, v7
	v_max_f32_e32 v7, v1, v7
	v_cndmask_b32_e32 v1, v4, v11, vcc
	v_lshlrev_b32_e32 v13, 2, v1
	ds_bpermute_b32 v12, v13, v7
	v_and_b32_e32 v11, 63, v0
	v_cmp_eq_u32_e32 vcc, 0, v11
	v_lshlrev_b32_e32 v1, 2, v10
	s_and_saveexec_b64 s[2:3], vcc
	s_cbranch_execz .LBB69_14
; %bb.13:
	s_waitcnt lgkmcnt(0)
	v_max_f32_e32 v12, v12, v12
	v_max_f32_e32 v7, v7, v7
	;; [unrolled: 1-line block ×3, first 2 shown]
	ds_write_b32 v1, v7 offset:256
.LBB69_14:
	s_or_b64 exec, exec, s[2:3]
	v_cmp_gt_u32_e64 s[2:3], 2, v11
	v_mov_b32_e32 v14, 0xff7fffff
	v_lshlrev_b32_e32 v7, 2, v11
	s_waitcnt lgkmcnt(0)
	s_barrier
	s_and_saveexec_b64 s[4:5], s[2:3]
; %bb.15:
	ds_read_b32 v14, v7 offset:256
; %bb.16:
	s_or_b64 exec, exec, s[4:5]
	v_xor_b32_e32 v12, 1, v4
	v_cmp_lt_i32_e64 s[4:5], v12, v5
	v_cndmask_b32_e64 v12, v4, v12, s[4:5]
	v_lshlrev_b32_e32 v12, 2, v12
	s_waitcnt lgkmcnt(0)
	ds_bpermute_b32 v15, v12, v14
	v_max_f32_e32 v14, v14, v14
	v_lshlrev_b32_e32 v6, 2, v6
	s_lshl_b32 s4, s17, 3
	s_min_i32 s15, s4, s11
	s_waitcnt lgkmcnt(0)
	v_max_f32_e32 v15, v15, v15
	v_max_f32_e32 v14, v14, v15
	ds_bpermute_b32 v14, v6, v14
	v_cmp_gt_i32_e64 s[4:5], s15, v0
	v_mov_b32_e32 v6, 0
	s_and_saveexec_b64 s[26:27], s[4:5]
	s_cbranch_execz .LBB69_20
; %bb.17:
	v_mov_b32_e32 v6, 0x110
	v_lshl_add_u32 v15, v0, 2, v6
	v_mov_b32_e32 v6, 0
	s_mov_b64 s[28:29], 0
	v_mov_b32_e32 v16, v0
.LBB69_18:                              ; =>This Inner Loop Header: Depth=1
	ds_read_b32 v17, v15
	v_add_u32_e32 v16, 0x80, v16
	v_cmp_le_i32_e64 s[6:7], s15, v16
	s_or_b64 s[28:29], s[6:7], s[28:29]
	s_waitcnt lgkmcnt(0)
	v_sub_f32_e32 v17, v17, v14
	v_mul_f32_e32 v17, 0x3fb8aa3b, v17
	v_exp_f32_e32 v17, v17
	ds_write_b32 v15, v17
	v_add_f32_e32 v6, v6, v17
	v_add_u32_e32 v15, 0x200, v15
	s_andn2_b64 exec, exec, s[28:29]
	s_cbranch_execnz .LBB69_18
; %bb.19:
	s_or_b64 exec, exec, s[28:29]
.LBB69_20:
	s_or_b64 exec, exec, s[26:27]
	ds_bpermute_b32 v2, v2, v6
	s_waitcnt lgkmcnt(0)
	v_add_f32_e32 v2, v6, v2
	ds_bpermute_b32 v6, v8, v2
	v_xor_b32_e32 v8, 4, v4
	v_cmp_lt_i32_e64 s[6:7], v8, v5
	v_cndmask_b32_e64 v8, v4, v8, s[6:7]
	v_lshlrev_b32_e32 v8, 2, v8
	s_waitcnt lgkmcnt(0)
	v_add_f32_e32 v2, v2, v6
	ds_bpermute_b32 v6, v13, v2
	s_waitcnt lgkmcnt(0)
	v_add_f32_e32 v2, v2, v6
	ds_bpermute_b32 v6, v8, v2
	v_xor_b32_e32 v8, 2, v4
	v_cmp_lt_i32_e64 s[6:7], v8, v5
	v_cndmask_b32_e64 v5, v4, v8, s[6:7]
	v_lshlrev_b32_e32 v5, 2, v5
	s_waitcnt lgkmcnt(0)
	v_add_f32_e32 v2, v2, v6
	ds_bpermute_b32 v5, v5, v2
	s_waitcnt lgkmcnt(0)
	v_add_f32_e32 v2, v2, v5
	ds_bpermute_b32 v5, v12, v2
	s_waitcnt lgkmcnt(0)
	v_add_f32_e32 v2, v2, v5
	s_and_saveexec_b64 s[6:7], vcc
; %bb.21:
	ds_write_b32 v1, v2 offset:264
; %bb.22:
	s_or_b64 exec, exec, s[6:7]
	s_waitcnt lgkmcnt(0)
	s_barrier
	s_and_saveexec_b64 s[6:7], s[2:3]
; %bb.23:
	ds_read_b32 v2, v7 offset:264
; %bb.24:
	s_or_b64 exec, exec, s[6:7]
	s_waitcnt lgkmcnt(0)
	ds_bpermute_b32 v1, v12, v2
	v_lshlrev_b32_e32 v4, 2, v4
	s_waitcnt lgkmcnt(0)
	v_add_f32_e32 v1, v2, v1
	v_and_b32_e32 v2, 0xffffff00, v4
	ds_bpermute_b32 v1, v2, v1
	s_and_saveexec_b64 s[2:3], s[4:5]
	s_cbranch_execz .LBB69_27
; %bb.25:
	s_waitcnt lgkmcnt(0)
	v_add_f32_e32 v2, 0x358637bd, v1
	v_div_scale_f32 v1, s[4:5], v2, v2, 1.0
	v_div_scale_f32 v4, vcc, 1.0, v2, 1.0
	s_mov_b64 s[4:5], 0
	v_rcp_f32_e32 v5, v1
	v_fma_f32 v6, -v1, v5, 1.0
	v_fmac_f32_e32 v5, v6, v5
	v_mul_f32_e32 v6, v4, v5
	v_fma_f32 v7, -v1, v6, v4
	v_fmac_f32_e32 v6, v7, v5
	v_fma_f32 v1, -v1, v6, v4
	v_div_fmas_f32 v4, v1, v5, v6
	v_mov_b32_e32 v1, 0x110
	v_lshl_add_u32 v1, v0, 2, v1
	v_div_fixup_f32 v2, v4, v2, 1.0
	v_mov_b32_e32 v4, v0
.LBB69_26:                              ; =>This Inner Loop Header: Depth=1
	ds_read_b32 v5, v1
	v_add_u32_e32 v4, 0x80, v4
	v_cmp_le_i32_e32 vcc, s15, v4
	s_or_b64 s[4:5], vcc, s[4:5]
	s_waitcnt lgkmcnt(0)
	v_mul_f32_e32 v5, v2, v5
	ds_write_b32 v1, v5
	v_add_u32_e32 v1, 0x200, v1
	s_andn2_b64 exec, exec, s[4:5]
	s_cbranch_execnz .LBB69_26
.LBB69_27:
	s_or_b64 exec, exec, s[2:3]
	v_mov_b32_e32 v13, 0
	v_mov_b32_e32 v12, 0
	s_waitcnt lgkmcnt(0)
	s_barrier
	s_and_saveexec_b64 s[2:3], s[0:1]
	s_cbranch_execz .LBB69_35
; %bb.28:
	s_ashr_i32 s15, s14, 31
	s_lshl_b64 s[0:1], s[14:15], 1
	s_add_u32 s0, s24, s0
	s_addc_u32 s1, s25, s1
	v_lshlrev_b32_e32 v1, 4, v11
	s_add_i32 s14, s17, -1
	v_mov_b32_e32 v2, s1
	v_add_co_u32_e32 v15, vcc, s0, v1
	s_lshl_b64 s[0:1], s[22:23], 2
	v_mov_b32_e32 v1, 0x110
	s_add_u32 s0, s20, s0
	v_addc_co_u32_e32 v16, vcc, 0, v2, vcc
	v_lshl_add_u32 v18, v10, 5, v1
	v_and_b32_e32 v1, 60, v3
	s_addc_u32 s1, s21, s1
	v_mov_b32_e32 v2, s1
	v_add_co_u32_e32 v5, vcc, s0, v1
	v_mov_b32_e32 v14, 0
	v_lshl_or_b32 v17, v10, 3, 7
	v_addc_co_u32_e32 v6, vcc, 0, v2, vcc
	s_mov_b64 s[4:5], 0
	s_mov_b32 s15, 0xffff
	v_mov_b32_e32 v12, 0
	v_mov_b32_e32 v13, 0
	s_branch .LBB69_30
.LBB69_29:                              ;   in Loop: Header=BB69_30 Depth=1
	s_or_b64 exec, exec, s[6:7]
	v_add_f32_e32 v19, v30, v31
	v_add_f32_e32 v13, v13, v19
	v_lshlrev_b32_e32 v19, 16, v32
	v_and_or_b32 v1, v1, s15, v19
	v_lshlrev_b32_e32 v8, 16, v8
	v_lshlrev_b32_e32 v7, 16, v7
	v_and_or_b32 v2, v2, s15, v8
	v_and_or_b32 v3, v3, s15, v7
	;;#ASMSTART
	v_pk_mul_f16 v1, v26, v1;

	;;#ASMEND
	;;#ASMSTART
	v_pk_mul_f16 v2, v27, v2;

	;;#ASMEND
	;; [unrolled: 4-line block ×4, first 2 shown]
	;;#ASMSTART
	v_pk_add_f16 v1, v1, v2;

	;;#ASMEND
	;;#ASMSTART
	v_pk_add_f16 v1, v1, v3;

	;;#ASMEND
	;; [unrolled: 4-line block ×3, first 2 shown]
	v_lshrrev_b32_e32 v2, 16, v1
	v_and_b32_e32 v1, 0xffff, v1
	v_add_u32_e32 v10, 2, v10
	;;#ASMSTART
	v_cvt_f32_f16 v1, v1;
	;;#ASMEND
	v_cmp_le_i32_e32 vcc, s17, v10
	;;#ASMSTART
	v_cvt_f32_f16 v2, v2;
	;;#ASMEND
	v_add_f32_e32 v1, v1, v2
	s_or_b64 s[4:5], vcc, s[4:5]
	v_add_co_u32_e32 v5, vcc, 8, v5
	v_add_f32_e32 v12, v12, v1
	v_add_u32_e32 v17, 16, v17
	v_add_u32_e32 v18, 64, v18
	v_addc_co_u32_e32 v6, vcc, 0, v6, vcc
	s_andn2_b64 exec, exec, s[4:5]
	s_cbranch_execz .LBB69_34
.LBB69_30:                              ; =>This Inner Loop Header: Depth=1
	global_load_dword v7, v[5:6], off
	ds_read2_b64 v[1:4], v18 offset1:1
	ds_read2_b64 v[19:22], v18 offset0:2 offset1:3
	v_add_u32_e32 v25, -6, v17
	v_add_u32_e32 v24, -5, v17
	s_waitcnt lgkmcnt(1)
	;;#ASMSTART
	v_cvt_f16_f32 v26, v1;

	;;#ASMEND
	;;#ASMSTART
	v_cvt_f16_f32 v27, v2;

	;;#ASMEND
	;; [unrolled: 4-line block ×4, first 2 shown]
	s_waitcnt lgkmcnt(0)
	;;#ASMSTART
	v_cvt_f16_f32 v30, v19;

	;;#ASMEND
	;;#ASMSTART
	v_cvt_f16_f32 v31, v20;

	;;#ASMEND
	;;#ASMSTART
	v_cvt_f16_f32 v32, v21;

	;;#ASMEND
	;;#ASMSTART
	v_cvt_f16_f32 v33, v22;

	;;#ASMEND
	v_add_u32_e32 v19, -7, v17
	v_add_u32_e32 v22, -4, v17
	;; [unrolled: 1-line block ×5, first 2 shown]
	s_waitcnt vmcnt(0)
	v_mad_i64_i32 v[1:2], s[0:1], v7, s13, 0
	v_cmp_eq_u32_e64 s[0:1], s14, v10
	v_lshlrev_b64 v[1:2], 1, v[1:2]
	v_add_co_u32_e32 v7, vcc, v15, v1
	v_addc_co_u32_e32 v8, vcc, v16, v2, vcc
	global_load_dwordx4 v[1:4], v[7:8], off
	s_waitcnt vmcnt(0)
	v_lshrrev_b32_e32 v36, 16, v1
	v_lshrrev_b32_e32 v35, 16, v2
	;; [unrolled: 1-line block ×3, first 2 shown]
	s_and_saveexec_b64 s[6:7], s[0:1]
	s_cbranch_execz .LBB69_32
; %bb.31:                               ;   in Loop: Header=BB69_30 Depth=1
	v_cmp_gt_i32_e32 vcc, s11, v19
	v_cndmask_b32_e32 v1, 0, v1, vcc
	v_cmp_gt_i32_e32 vcc, s11, v25
	v_cndmask_b32_e32 v36, 0, v36, vcc
	;; [unrolled: 2-line block ×6, first 2 shown]
	v_cmp_gt_i32_e32 vcc, s11, v23
	v_cndmask_b32_sdwa v37, v14, v4, vcc dst_sel:DWORD dst_unused:UNUSED_PAD src0_sel:DWORD src1_sel:WORD_0
	v_and_b32_e32 v4, 0xffff0000, v4
	v_cmp_gt_i32_e32 vcc, s11, v17
	v_cndmask_b32_e32 v4, 0, v4, vcc
	v_or_b32_e32 v4, v37, v4
.LBB69_32:                              ;   in Loop: Header=BB69_30 Depth=1
	s_or_b64 exec, exec, s[6:7]
	v_and_b32_e32 v26, 0xffff, v26
	v_lshl_or_b32 v26, v27, 16, v26
	v_and_b32_e32 v27, 0xffff, v28
	v_and_b32_e32 v28, 0xffff, v30
	v_lshlrev_b32_e32 v30, 16, v36
	v_and_or_b32 v1, v1, s15, v30
	v_lshlrev_b32_e32 v30, 16, v35
	v_and_or_b32 v2, v2, s15, v30
	v_lshlrev_b32_e32 v30, 16, v34
	v_lshl_or_b32 v27, v29, 16, v27
	v_and_b32_e32 v29, 0xffff, v32
	v_and_or_b32 v3, v3, s15, v30
	;;#ASMSTART
	v_pk_mul_f16 v1, v26, v1;

	;;#ASMEND
	v_lshl_or_b32 v28, v31, 16, v28
	v_lshl_or_b32 v29, v33, 16, v29
	;;#ASMSTART
	v_pk_mul_f16 v2, v27, v2;

	;;#ASMEND
	;;#ASMSTART
	v_pk_mul_f16 v3, v28, v3;

	;;#ASMEND
	;; [unrolled: 4-line block ×3, first 2 shown]
	;;#ASMSTART
	v_pk_add_f16 v1, v1, v2;

	;;#ASMEND
	;;#ASMSTART
	v_pk_add_f16 v1, v1, v3;

	;;#ASMEND
	;; [unrolled: 4-line block ×3, first 2 shown]
	v_lshrrev_b32_e32 v2, 16, v1
	v_and_b32_e32 v1, 0xffff, v1
	;;#ASMSTART
	v_cvt_f32_f16 v30, v1;
	;;#ASMEND
	;;#ASMSTART
	v_cvt_f32_f16 v31, v2;
	;;#ASMEND
	global_load_dwordx4 v[1:4], v[7:8], off offset:1024
	s_waitcnt vmcnt(0)
	v_lshrrev_b32_e32 v32, 16, v1
	v_lshrrev_b32_e32 v8, 16, v2
	;; [unrolled: 1-line block ×3, first 2 shown]
	s_and_saveexec_b64 s[6:7], s[0:1]
	s_cbranch_execz .LBB69_29
; %bb.33:                               ;   in Loop: Header=BB69_30 Depth=1
	v_cmp_gt_i32_e32 vcc, s11, v19
	v_cndmask_b32_e32 v1, 0, v1, vcc
	v_cmp_gt_i32_e32 vcc, s11, v25
	v_cndmask_b32_e32 v32, 0, v32, vcc
	;; [unrolled: 2-line block ×6, first 2 shown]
	v_cmp_gt_i32_e32 vcc, s11, v23
	v_cndmask_b32_sdwa v19, v14, v4, vcc dst_sel:DWORD dst_unused:UNUSED_PAD src0_sel:DWORD src1_sel:WORD_0
	v_and_b32_e32 v4, 0xffff0000, v4
	v_cmp_gt_i32_e32 vcc, s11, v17
	v_cndmask_b32_e32 v4, 0, v4, vcc
	v_or_b32_e32 v4, v19, v4
	s_branch .LBB69_29
.LBB69_34:
	s_or_b64 exec, exec, s[4:5]
.LBB69_35:
	s_or_b64 exec, exec, s[2:3]
	v_and_b32_e32 v1, 0x3c0, v0
	v_cmp_eq_u32_e32 vcc, 64, v1
	s_barrier
	s_and_saveexec_b64 s[0:1], vcc
; %bb.36:
	v_mov_b32_e32 v1, 0x110
	v_lshl_add_u32 v1, v11, 2, v1
	ds_write2st64_b32 v1, v13, v12 offset1:1
; %bb.37:
	s_or_b64 exec, exec, s[0:1]
	v_cmp_gt_u32_e32 vcc, 64, v0
	s_waitcnt lgkmcnt(0)
	s_barrier
	s_and_saveexec_b64 s[0:1], vcc
	s_cbranch_execz .LBB69_39
; %bb.38:
	v_mov_b32_e32 v1, 0x110
	v_lshl_add_u32 v0, v0, 2, v1
	ds_read2st64_b32 v[0:1], v0 offset1:1
	s_waitcnt lgkmcnt(0)
	v_add_f32_e32 v13, v13, v0
	v_add_f32_e32 v12, v12, v1
.LBB69_39:
	s_or_b64 exec, exec, s[0:1]
	s_barrier
	s_and_saveexec_b64 s[0:1], vcc
	s_cbranch_execz .LBB69_41
; %bb.40:
	s_mul_i32 s0, s10, s12
	s_mul_i32 s0, s0, s9
	s_lshl_b32 s0, s0, 7
	s_ashr_i32 s1, s0, 31
	s_lshl_b64 s[0:1], s[0:1], 1
	s_add_u32 s2, s18, s0
	s_mul_i32 s0, s12, s16
	s_addc_u32 s3, s19, s1
	s_ashr_i32 s1, s0, 31
	s_lshl_b64 s[0:1], s[0:1], 1
	s_add_u32 s2, s2, s0
	s_addc_u32 s3, s3, s1
	s_lshl_b32 s0, s8, 7
	s_ashr_i32 s1, s0, 31
	s_lshl_b64 s[0:1], s[0:1], 1
	s_add_u32 s0, s2, s0
	s_addc_u32 s1, s3, s1
	;;#ASMSTART
	v_cvt_f16_f32 v0, v13;

	;;#ASMEND
	global_store_short v9, v0, s[0:1]
	;;#ASMSTART
	v_cvt_f16_f32 v0, v12;

	;;#ASMEND
	global_store_short v9, v0, s[0:1] offset:128
.LBB69_41:
	s_endpgm
	.section	.rodata,"a",@progbits
	.p2align	6, 0x0
	.amdhsa_kernel _ZN4vllm25paged_attention_v1_kernelIttLi128ELi8ELi128ELNS_18Fp8KVCacheDataTypeE0ELb0EEEvPT_PKS2_PKT0_S8_ifPKiSA_iPKfiiiSC_SC_iiiii
		.amdhsa_group_segment_fixed_size 272
		.amdhsa_private_segment_fixed_size 0
		.amdhsa_kernarg_size 384
		.amdhsa_user_sgpr_count 6
		.amdhsa_user_sgpr_private_segment_buffer 1
		.amdhsa_user_sgpr_dispatch_ptr 0
		.amdhsa_user_sgpr_queue_ptr 0
		.amdhsa_user_sgpr_kernarg_segment_ptr 1
		.amdhsa_user_sgpr_dispatch_id 0
		.amdhsa_user_sgpr_flat_scratch_init 0
		.amdhsa_user_sgpr_private_segment_size 0
		.amdhsa_uses_dynamic_stack 0
		.amdhsa_system_sgpr_private_segment_wavefront_offset 0
		.amdhsa_system_sgpr_workgroup_id_x 1
		.amdhsa_system_sgpr_workgroup_id_y 1
		.amdhsa_system_sgpr_workgroup_id_z 1
		.amdhsa_system_sgpr_workgroup_info 0
		.amdhsa_system_vgpr_workitem_id 0
		.amdhsa_next_free_vgpr 45
		.amdhsa_next_free_sgpr 34
		.amdhsa_reserve_vcc 1
		.amdhsa_reserve_flat_scratch 0
		.amdhsa_float_round_mode_32 0
		.amdhsa_float_round_mode_16_64 0
		.amdhsa_float_denorm_mode_32 3
		.amdhsa_float_denorm_mode_16_64 3
		.amdhsa_dx10_clamp 1
		.amdhsa_ieee_mode 1
		.amdhsa_fp16_overflow 0
		.amdhsa_exception_fp_ieee_invalid_op 0
		.amdhsa_exception_fp_denorm_src 0
		.amdhsa_exception_fp_ieee_div_zero 0
		.amdhsa_exception_fp_ieee_overflow 0
		.amdhsa_exception_fp_ieee_underflow 0
		.amdhsa_exception_fp_ieee_inexact 0
		.amdhsa_exception_int_div_zero 0
	.end_amdhsa_kernel
	.section	.text._ZN4vllm25paged_attention_v1_kernelIttLi128ELi8ELi128ELNS_18Fp8KVCacheDataTypeE0ELb0EEEvPT_PKS2_PKT0_S8_ifPKiSA_iPKfiiiSC_SC_iiiii,"axG",@progbits,_ZN4vllm25paged_attention_v1_kernelIttLi128ELi8ELi128ELNS_18Fp8KVCacheDataTypeE0ELb0EEEvPT_PKS2_PKT0_S8_ifPKiSA_iPKfiiiSC_SC_iiiii,comdat
.Lfunc_end69:
	.size	_ZN4vllm25paged_attention_v1_kernelIttLi128ELi8ELi128ELNS_18Fp8KVCacheDataTypeE0ELb0EEEvPT_PKS2_PKT0_S8_ifPKiSA_iPKfiiiSC_SC_iiiii, .Lfunc_end69-_ZN4vllm25paged_attention_v1_kernelIttLi128ELi8ELi128ELNS_18Fp8KVCacheDataTypeE0ELb0EEEvPT_PKS2_PKT0_S8_ifPKiSA_iPKfiiiSC_SC_iiiii
                                        ; -- End function
	.set _ZN4vllm25paged_attention_v1_kernelIttLi128ELi8ELi128ELNS_18Fp8KVCacheDataTypeE0ELb0EEEvPT_PKS2_PKT0_S8_ifPKiSA_iPKfiiiSC_SC_iiiii.num_vgpr, 45
	.set _ZN4vllm25paged_attention_v1_kernelIttLi128ELi8ELi128ELNS_18Fp8KVCacheDataTypeE0ELb0EEEvPT_PKS2_PKT0_S8_ifPKiSA_iPKfiiiSC_SC_iiiii.num_agpr, 0
	.set _ZN4vllm25paged_attention_v1_kernelIttLi128ELi8ELi128ELNS_18Fp8KVCacheDataTypeE0ELb0EEEvPT_PKS2_PKT0_S8_ifPKiSA_iPKfiiiSC_SC_iiiii.numbered_sgpr, 34
	.set _ZN4vllm25paged_attention_v1_kernelIttLi128ELi8ELi128ELNS_18Fp8KVCacheDataTypeE0ELb0EEEvPT_PKS2_PKT0_S8_ifPKiSA_iPKfiiiSC_SC_iiiii.num_named_barrier, 0
	.set _ZN4vllm25paged_attention_v1_kernelIttLi128ELi8ELi128ELNS_18Fp8KVCacheDataTypeE0ELb0EEEvPT_PKS2_PKT0_S8_ifPKiSA_iPKfiiiSC_SC_iiiii.private_seg_size, 0
	.set _ZN4vllm25paged_attention_v1_kernelIttLi128ELi8ELi128ELNS_18Fp8KVCacheDataTypeE0ELb0EEEvPT_PKS2_PKT0_S8_ifPKiSA_iPKfiiiSC_SC_iiiii.uses_vcc, 1
	.set _ZN4vllm25paged_attention_v1_kernelIttLi128ELi8ELi128ELNS_18Fp8KVCacheDataTypeE0ELb0EEEvPT_PKS2_PKT0_S8_ifPKiSA_iPKfiiiSC_SC_iiiii.uses_flat_scratch, 0
	.set _ZN4vllm25paged_attention_v1_kernelIttLi128ELi8ELi128ELNS_18Fp8KVCacheDataTypeE0ELb0EEEvPT_PKS2_PKT0_S8_ifPKiSA_iPKfiiiSC_SC_iiiii.has_dyn_sized_stack, 0
	.set _ZN4vllm25paged_attention_v1_kernelIttLi128ELi8ELi128ELNS_18Fp8KVCacheDataTypeE0ELb0EEEvPT_PKS2_PKT0_S8_ifPKiSA_iPKfiiiSC_SC_iiiii.has_recursion, 0
	.set _ZN4vllm25paged_attention_v1_kernelIttLi128ELi8ELi128ELNS_18Fp8KVCacheDataTypeE0ELb0EEEvPT_PKS2_PKT0_S8_ifPKiSA_iPKfiiiSC_SC_iiiii.has_indirect_call, 0
	.section	.AMDGPU.csdata,"",@progbits
; Kernel info:
; codeLenInByte = 3720
; TotalNumSgprs: 38
; NumVgprs: 45
; ScratchSize: 0
; MemoryBound: 0
; FloatMode: 240
; IeeeMode: 1
; LDSByteSize: 272 bytes/workgroup (compile time only)
; SGPRBlocks: 4
; VGPRBlocks: 11
; NumSGPRsForWavesPerEU: 38
; NumVGPRsForWavesPerEU: 45
; Occupancy: 5
; WaveLimiterHint : 1
; COMPUTE_PGM_RSRC2:SCRATCH_EN: 0
; COMPUTE_PGM_RSRC2:USER_SGPR: 6
; COMPUTE_PGM_RSRC2:TRAP_HANDLER: 0
; COMPUTE_PGM_RSRC2:TGID_X_EN: 1
; COMPUTE_PGM_RSRC2:TGID_Y_EN: 1
; COMPUTE_PGM_RSRC2:TGID_Z_EN: 1
; COMPUTE_PGM_RSRC2:TIDIG_COMP_CNT: 0
	.section	.text._ZN4vllm25paged_attention_v1_kernelIttLi192ELi8ELi128ELNS_18Fp8KVCacheDataTypeE0ELb0EEEvPT_PKS2_PKT0_S8_ifPKiSA_iPKfiiiSC_SC_iiiii,"axG",@progbits,_ZN4vllm25paged_attention_v1_kernelIttLi192ELi8ELi128ELNS_18Fp8KVCacheDataTypeE0ELb0EEEvPT_PKS2_PKT0_S8_ifPKiSA_iPKfiiiSC_SC_iiiii,comdat
	.protected	_ZN4vllm25paged_attention_v1_kernelIttLi192ELi8ELi128ELNS_18Fp8KVCacheDataTypeE0ELb0EEEvPT_PKS2_PKT0_S8_ifPKiSA_iPKfiiiSC_SC_iiiii ; -- Begin function _ZN4vllm25paged_attention_v1_kernelIttLi192ELi8ELi128ELNS_18Fp8KVCacheDataTypeE0ELb0EEEvPT_PKS2_PKT0_S8_ifPKiSA_iPKfiiiSC_SC_iiiii
	.globl	_ZN4vllm25paged_attention_v1_kernelIttLi192ELi8ELi128ELNS_18Fp8KVCacheDataTypeE0ELb0EEEvPT_PKS2_PKT0_S8_ifPKiSA_iPKfiiiSC_SC_iiiii
	.p2align	8
	.type	_ZN4vllm25paged_attention_v1_kernelIttLi192ELi8ELi128ELNS_18Fp8KVCacheDataTypeE0ELb0EEEvPT_PKS2_PKT0_S8_ifPKiSA_iPKfiiiSC_SC_iiiii,@function
_ZN4vllm25paged_attention_v1_kernelIttLi192ELi8ELi128ELNS_18Fp8KVCacheDataTypeE0ELb0EEEvPT_PKS2_PKT0_S8_ifPKiSA_iPKfiiiSC_SC_iiiii: ; @_ZN4vllm25paged_attention_v1_kernelIttLi192ELi8ELi128ELNS_18Fp8KVCacheDataTypeE0ELb0EEEvPT_PKS2_PKT0_S8_ifPKiSA_iPKfiiiSC_SC_iiiii
; %bb.0:
	s_load_dword s9, s[4:5], 0x80
	s_load_dwordx2 s[0:1], s[4:5], 0x30
	s_load_dwordx2 s[26:27], s[4:5], 0x20
	s_mov_b32 s10, s7
	s_ashr_i32 s11, s7, 31
	s_lshl_b64 s[2:3], s[10:11], 2
	s_waitcnt lgkmcnt(0)
	s_add_u32 s0, s0, s2
	s_addc_u32 s1, s1, s3
	s_abs_i32 s2, s26
	v_cvt_f32_u32_e32 v1, s2
	s_sub_i32 s11, 0, s2
	s_abs_i32 s7, s9
	s_xor_b32 s3, s9, s26
	v_rcp_iflag_f32_e32 v1, v1
	s_ashr_i32 s3, s3, 31
	s_mov_b32 s26, 0
	v_mul_f32_e32 v1, 0x4f7ffffe, v1
	v_cvt_u32_f32_e32 v1, v1
	v_readfirstlane_b32 s12, v1
	s_mul_i32 s11, s11, s12
	s_mul_hi_u32 s11, s12, s11
	s_add_i32 s12, s12, s11
	s_mul_hi_u32 s11, s7, s12
	s_mul_i32 s12, s11, s2
	s_sub_i32 s7, s7, s12
	s_add_i32 s12, s11, 1
	s_sub_i32 s13, s7, s2
	s_cmp_ge_u32 s7, s2
	s_cselect_b32 s11, s12, s11
	s_cselect_b32 s7, s13, s7
	s_add_i32 s12, s11, 1
	s_cmp_ge_u32 s7, s2
	s_cselect_b32 s2, s12, s11
	s_xor_b32 s2, s2, s3
	s_sub_i32 s11, s2, s3
	s_abs_i32 s18, s11
	v_cvt_f32_u32_e32 v1, s18
	s_load_dwordx2 s[2:3], s[4:5], 0x40
	s_sub_i32 s7, 0, s18
	s_abs_i32 s19, s6
	v_rcp_iflag_f32_e32 v1, v1
	v_mul_f32_e32 v1, 0x4f7ffffe, v1
	v_cvt_u32_f32_e32 v1, v1
	v_readfirstlane_b32 s12, v1
	s_mul_i32 s7, s7, s12
	s_mul_hi_u32 s7, s12, s7
	s_add_i32 s12, s12, s7
	s_waitcnt lgkmcnt(0)
	s_cmp_eq_u64 s[2:3], 0
	s_mul_hi_u32 s22, s19, s12
	s_cbranch_scc1 .LBB70_2
; %bb.1:
	s_ashr_i32 s7, s6, 31
	s_lshl_b64 s[12:13], s[6:7], 2
	s_add_u32 s2, s2, s12
	s_addc_u32 s3, s3, s13
	s_load_dword s26, s[2:3], 0x0
.LBB70_2:
	s_load_dword s33, s[0:1], 0x0
	s_ashr_i32 s23, s11, 31
	s_load_dword s11, s[4:5], 0x88
	s_load_dwordx4 s[12:15], s[4:5], 0x48
	s_movk_i32 s0, 0xc0
	s_ashr_i32 s7, s6, 31
	v_and_b32_e32 v1, 7, v0
	s_mul_i32 s16, s6, 0xc0
	v_cmp_gt_u32_e32 vcc, s0, v0
	v_lshlrev_b32_e32 v9, 1, v0
	s_and_saveexec_b64 s[0:1], vcc
	s_cbranch_execz .LBB70_5
; %bb.3:
	s_load_dwordx2 s[2:3], s[4:5], 0x8
	s_waitcnt lgkmcnt(0)
	s_mul_i32 s20, s12, s10
	s_ashr_i32 s21, s20, 31
	s_lshl_b64 s[20:21], s[20:21], 1
	v_lshrrev_b32_e32 v3, 3, v0
	s_add_u32 s6, s2, s20
	s_addc_u32 s12, s3, s21
	s_ashr_i32 s17, s16, 31
	s_lshl_b64 s[2:3], s[16:17], 1
	s_add_u32 s2, s6, s2
	s_addc_u32 s3, s12, s3
	global_load_ushort v4, v9, s[2:3]
	v_lshlrev_b32_e32 v2, 1, v3
	v_mad_u32_u24 v2, v1, 48, v2
	v_cmp_gt_u32_e32 vcc, 64, v0
	s_waitcnt vmcnt(0)
	ds_write_b16 v2, v4
	s_and_b64 exec, exec, vcc
	s_cbranch_execz .LBB70_5
; %bb.4:
	v_lshlrev_b32_e32 v3, 4, v3
	v_lshlrev_b32_e32 v4, 1, v1
	s_movk_i32 s6, 0x100
	v_or3_b32 v3, v3, v4, s6
	global_load_ushort v3, v3, s[2:3]
	s_waitcnt vmcnt(0)
	ds_write_b16 v2, v3 offset:32
.LBB70_5:
	s_or_b64 exec, exec, s[0:1]
	s_waitcnt lgkmcnt(0)
	s_add_i32 s1, s33, 7
	s_ashr_i32 s2, s1, 31
	s_lshr_b32 s2, s2, 29
	s_add_i32 s1, s1, s2
	s_mul_i32 s2, s22, s18
	s_sub_i32 s2, s19, s2
	s_ashr_i32 s12, s1, 3
	s_xor_b32 s1, s7, s23
	s_add_i32 s3, s22, 1
	s_sub_i32 s6, s2, s18
	s_load_dwordx2 s[20:21], s[4:5], 0x28
	s_load_dword s0, s[4:5], 0x38
	s_cmp_ge_u32 s2, s18
	s_cselect_b32 s3, s3, s22
	s_cselect_b32 s2, s6, s2
	s_add_i32 s6, s3, 1
	s_cmp_ge_u32 s2, s18
	s_cselect_b32 s2, s6, s3
	v_lshrrev_b32_e32 v10, 6, v0
	s_xor_b32 s2, s2, s1
	s_waitcnt lgkmcnt(0)
	s_mul_i32 s22, s0, s10
	s_sub_i32 s15, s2, s1
	s_ashr_i32 s23, s22, 31
	v_cmp_gt_i32_e64 s[0:1], s12, v10
	v_cmp_le_i32_e32 vcc, s12, v10
	v_mbcnt_lo_u32_b32 v15, -1, 0
	s_barrier
                                        ; implicit-def: $vgpr4
                                        ; implicit-def: $vgpr6
                                        ; implicit-def: $vgpr5
	s_and_saveexec_b64 s[2:3], vcc
	s_xor_b64 s[2:3], exec, s[2:3]
; %bb.6:
	v_mbcnt_hi_u32_b32 v4, -1, v15
	v_and_b32_e32 v6, 64, v4
	v_add_u32_e32 v5, 64, v6
                                        ; implicit-def: $vgpr1
                                        ; implicit-def: $vgpr15
; %bb.7:
	s_or_saveexec_b64 s[6:7], s[2:3]
	s_load_dwordx2 s[18:19], s[4:5], 0x0
	s_load_dwordx2 s[24:25], s[4:5], 0x18
	v_mov_b32_e32 v7, 0xff7fffff
	s_mul_i32 s14, s15, s14
	v_lshrrev_b32_e32 v3, 4, v0
	s_xor_b64 exec, exec, s[6:7]
	s_cbranch_execz .LBB70_13
; %bb.8:
	s_load_dwordx2 s[2:3], s[4:5], 0x10
	s_ashr_i32 s15, s14, 31
	s_lshl_b64 s[4:5], s[14:15], 1
	v_bfe_u32 v2, v0, 3, 3
	v_lshlrev_b32_e32 v4, 4, v2
	s_waitcnt lgkmcnt(0)
	s_add_u32 s2, s2, s4
	s_addc_u32 s3, s3, s5
	v_mov_b32_e32 v5, s3
	v_add_co_u32_e32 v4, vcc, s2, v4
	v_addc_co_u32_e32 v5, vcc, 0, v5, vcc
	v_lshlrev_b32_e32 v6, 1, v1
	v_add_co_u32_e32 v8, vcc, v4, v6
	v_addc_co_u32_e32 v11, vcc, 0, v5, vcc
	v_mul_u32_u24_e32 v12, 48, v1
	v_cmp_eq_u32_e32 vcc, 0, v1
	s_sub_i32 s15, 1, s33
	v_lshlrev_b32_e32 v1, 2, v2
	s_lshl_b64 s[4:5], s[22:23], 2
	v_lshl_or_b32 v1, v10, 5, v1
	s_add_u32 s4, s20, s4
	v_add_u32_e32 v14, 0x190, v1
	v_and_b32_e32 v1, 60, v3
	s_addc_u32 s5, s21, s5
	v_mbcnt_hi_u32_b32 v4, -1, v15
	v_lshl_or_b32 v13, v10, 3, v2
	v_mov_b32_e32 v2, s5
	v_add_co_u32_e64 v1, s[4:5], s4, v1
	v_and_b32_e32 v6, 64, v4
	s_mov_b32 s17, s13
	v_cmp_neq_f32_e64 s[2:3], s26, 0
	v_addc_co_u32_e64 v2, s[4:5], 0, v2, s[4:5]
	v_mov_b32_e32 v7, 0xff7fffff
	s_mov_b64 s[28:29], 0
	v_add_u32_e32 v5, 64, v6
	v_xor_b32_e32 v15, 4, v4
	v_xor_b32_e32 v16, 2, v4
	;; [unrolled: 1-line block ×3, first 2 shown]
	v_mov_b32_e32 v18, v10
	s_branch .LBB70_10
.LBB70_9:                               ;   in Loop: Header=BB70_10 Depth=1
	s_or_b64 exec, exec, s[30:31]
	v_add_u32_e32 v18, 2, v18
	v_cmp_le_i32_e64 s[4:5], s12, v18
	s_or_b64 s[28:29], s[4:5], s[28:29]
	v_add_co_u32_e64 v1, s[4:5], 8, v1
	v_add_u32_e32 v13, 16, v13
	v_add_u32_e32 v14, 64, v14
	v_addc_co_u32_e64 v2, s[4:5], 0, v2, s[4:5]
	s_andn2_b64 exec, exec, s[28:29]
	s_cbranch_execz .LBB70_12
.LBB70_10:                              ; =>This Inner Loop Header: Depth=1
	global_load_dword v19, v[1:2], off
	s_waitcnt vmcnt(0) lgkmcnt(0)
	v_mad_i64_i32 v[19:20], s[4:5], v19, s17, 0
	v_lshlrev_b64 v[19:20], 1, v[19:20]
	v_add_co_u32_e64 v19, s[4:5], v8, v19
	v_addc_co_u32_e64 v20, s[4:5], v11, v20, s[4:5]
	global_load_ushort v21, v[19:20], off
	global_load_ushort v22, v[19:20], off offset:128
	global_load_ushort v23, v[19:20], off offset:256
	;; [unrolled: 1-line block ×9, first 2 shown]
	ds_read_u16 v26, v12
	global_load_ushort v49, v[19:20], off offset:1280
	global_load_ushort v50, v[19:20], off offset:1408
	;; [unrolled: 1-line block ×14, first 2 shown]
	s_waitcnt lgkmcnt(0)
	;;#ASMSTART
	v_cvt_f32_f16 v35, v26;
	;;#ASMEND
	v_cmp_lt_i32_e64 s[4:5], v15, v5
	s_waitcnt vmcnt(23)
	;;#ASMSTART
	v_cvt_f32_f16 v36, v21;
	;;#ASMEND
	ds_read_u16 v19, v12 offset:2
	s_waitcnt lgkmcnt(0)
	;;#ASMSTART
	v_cvt_f32_f16 v19, v19;
	;;#ASMEND
	s_waitcnt vmcnt(22)
	;;#ASMSTART
	v_cvt_f32_f16 v26, v22;
	;;#ASMEND
	v_mul_f32_e32 v19, v19, v26
	ds_read_u16 v20, v12 offset:4
	v_fmac_f32_e32 v19, v35, v36
	s_waitcnt lgkmcnt(0)
	;;#ASMSTART
	v_cvt_f32_f16 v37, v20;
	;;#ASMEND
	s_waitcnt vmcnt(21)
	;;#ASMSTART
	v_cvt_f32_f16 v38, v23;
	;;#ASMEND
	ds_read_u16 v20, v12 offset:6
	v_fmac_f32_e32 v19, v37, v38
	s_waitcnt lgkmcnt(0)
	;;#ASMSTART
	v_cvt_f32_f16 v39, v20;
	;;#ASMEND
	s_waitcnt vmcnt(20)
	;;#ASMSTART
	v_cvt_f32_f16 v40, v24;
	;;#ASMEND
	;; [unrolled: 10-line block ×14, first 2 shown]
	v_fmac_f32_e32 v19, v50, v51
	ds_read_u16 v52, v12 offset:32
	s_waitcnt lgkmcnt(0)
	;;#ASMSTART
	v_cvt_f32_f16 v41, v52;
	;;#ASMEND
	s_waitcnt vmcnt(7)
	;;#ASMSTART
	v_cvt_f32_f16 v34, v34;
	;;#ASMEND
	ds_read_u16 v42, v12 offset:34
	v_fmac_f32_e32 v19, v41, v34
	s_waitcnt lgkmcnt(0)
	;;#ASMSTART
	v_cvt_f32_f16 v42, v42;
	;;#ASMEND
	s_waitcnt vmcnt(6)
	;;#ASMSTART
	v_cvt_f32_f16 v33, v33;
	;;#ASMEND
	v_fmac_f32_e32 v19, v42, v33
	ds_read_u16 v52, v12 offset:36
	s_waitcnt lgkmcnt(0)
	;;#ASMSTART
	v_cvt_f32_f16 v43, v52;
	;;#ASMEND
	s_waitcnt vmcnt(5)
	;;#ASMSTART
	v_cvt_f32_f16 v32, v32;
	;;#ASMEND
	v_fmac_f32_e32 v19, v43, v32
	ds_read_u16 v52, v12 offset:38
	;; [unrolled: 10-line block ×3, first 2 shown]
	s_waitcnt lgkmcnt(0)
	;;#ASMSTART
	v_cvt_f32_f16 v22, v31;
	;;#ASMEND
	s_waitcnt vmcnt(3)
	;;#ASMSTART
	v_cvt_f32_f16 v23, v30;
	;;#ASMEND
	ds_read_u16 v24, v12 offset:42
	v_fmac_f32_e32 v19, v22, v23
	s_waitcnt lgkmcnt(0)
	;;#ASMSTART
	v_cvt_f32_f16 v24, v24;
	;;#ASMEND
	s_waitcnt vmcnt(2)
	;;#ASMSTART
	v_cvt_f32_f16 v25, v29;
	;;#ASMEND
	ds_read_u16 v26, v12 offset:44
	v_fmac_f32_e32 v19, v24, v25
	v_cndmask_b32_e64 v44, v4, v15, s[4:5]
	s_waitcnt lgkmcnt(0)
	;;#ASMSTART
	v_cvt_f32_f16 v26, v26;
	;;#ASMEND
	s_waitcnt vmcnt(1)
	;;#ASMSTART
	v_cvt_f32_f16 v28, v28;
	;;#ASMEND
	v_fmac_f32_e32 v19, v26, v28
	v_lshlrev_b32_e32 v44, 2, v44
	ds_read_u16 v29, v12 offset:46
	s_waitcnt lgkmcnt(0)
	;;#ASMSTART
	v_cvt_f32_f16 v20, v29;
	;;#ASMEND
	s_waitcnt vmcnt(0)
	;;#ASMSTART
	v_cvt_f32_f16 v21, v27;
	;;#ASMEND
	v_fmac_f32_e32 v19, v20, v21
	ds_bpermute_b32 v20, v44, v19
	v_cmp_lt_i32_e64 s[4:5], v16, v5
	v_cndmask_b32_e64 v21, v4, v16, s[4:5]
	v_lshlrev_b32_e32 v21, 2, v21
	v_cmp_lt_i32_e64 s[4:5], v17, v5
	s_waitcnt lgkmcnt(0)
	v_add_f32_e32 v19, v19, v20
	ds_bpermute_b32 v20, v21, v19
	v_cndmask_b32_e64 v21, v4, v17, s[4:5]
	s_waitcnt lgkmcnt(0)
	v_add_f32_e32 v19, v19, v20
	v_lshlrev_b32_e32 v20, 2, v21
	ds_bpermute_b32 v20, v20, v19
	s_and_saveexec_b64 s[30:31], vcc
	s_cbranch_execz .LBB70_9
; %bb.11:                               ;   in Loop: Header=BB70_10 Depth=1
	v_add_u32_e32 v21, s15, v13
	v_cvt_f32_i32_e32 v21, v21
	s_waitcnt lgkmcnt(0)
	v_add_f32_e32 v19, v19, v20
	v_cmp_gt_i32_e64 s[4:5], s33, v13
	v_max_f32_e32 v20, v7, v7
	v_mul_f32_e32 v21, s26, v21
	v_cndmask_b32_e64 v21, 0, v21, s[2:3]
	v_fmac_f32_e32 v21, s27, v19
	v_cndmask_b32_e64 v19, 0, v21, s[4:5]
	ds_write_b32 v14, v19
	v_max_f32_e32 v19, v20, v21
	v_cndmask_b32_e64 v7, v7, v19, s[4:5]
	s_branch .LBB70_9
.LBB70_12:
	s_or_b64 exec, exec, s[28:29]
.LBB70_13:
	s_or_b64 exec, exec, s[6:7]
	v_xor_b32_e32 v1, 32, v4
	v_cmp_lt_i32_e32 vcc, v1, v5
	v_cndmask_b32_e32 v1, v4, v1, vcc
	v_lshlrev_b32_e32 v2, 2, v1
	ds_bpermute_b32 v1, v2, v7
	v_xor_b32_e32 v8, 16, v4
	v_max_f32_e32 v7, v7, v7
	v_cmp_lt_i32_e32 vcc, v8, v5
	v_xor_b32_e32 v11, 8, v4
	s_waitcnt lgkmcnt(0)
	v_max_f32_e32 v1, v1, v1
	v_max_f32_e32 v1, v7, v1
	v_cndmask_b32_e32 v7, v4, v8, vcc
	v_lshlrev_b32_e32 v8, 2, v7
	ds_bpermute_b32 v7, v8, v1
	v_cmp_lt_i32_e32 vcc, v11, v5
	s_waitcnt lgkmcnt(0)
	v_max_f32_e32 v7, v7, v7
	v_max_f32_e32 v7, v1, v7
	v_cndmask_b32_e32 v1, v4, v11, vcc
	v_lshlrev_b32_e32 v13, 2, v1
	ds_bpermute_b32 v12, v13, v7
	v_and_b32_e32 v11, 63, v0
	v_cmp_eq_u32_e32 vcc, 0, v11
	v_lshlrev_b32_e32 v1, 2, v10
	s_and_saveexec_b64 s[2:3], vcc
	s_cbranch_execz .LBB70_15
; %bb.14:
	s_waitcnt lgkmcnt(0)
	v_max_f32_e32 v12, v12, v12
	v_max_f32_e32 v7, v7, v7
	;; [unrolled: 1-line block ×3, first 2 shown]
	ds_write_b32 v1, v7 offset:384
.LBB70_15:
	s_or_b64 exec, exec, s[2:3]
	v_cmp_gt_u32_e64 s[2:3], 2, v11
	v_mov_b32_e32 v14, 0xff7fffff
	v_lshlrev_b32_e32 v7, 2, v11
	s_waitcnt lgkmcnt(0)
	s_barrier
	s_and_saveexec_b64 s[4:5], s[2:3]
; %bb.16:
	ds_read_b32 v14, v7 offset:384
; %bb.17:
	s_or_b64 exec, exec, s[4:5]
	v_xor_b32_e32 v12, 1, v4
	v_cmp_lt_i32_e64 s[4:5], v12, v5
	v_cndmask_b32_e64 v12, v4, v12, s[4:5]
	v_lshlrev_b32_e32 v12, 2, v12
	s_waitcnt lgkmcnt(0)
	ds_bpermute_b32 v15, v12, v14
	v_max_f32_e32 v14, v14, v14
	v_lshlrev_b32_e32 v6, 2, v6
	s_lshl_b32 s4, s12, 3
	s_min_i32 s15, s4, s33
	s_waitcnt lgkmcnt(0)
	v_max_f32_e32 v15, v15, v15
	v_max_f32_e32 v14, v14, v15
	ds_bpermute_b32 v14, v6, v14
	v_cmp_gt_i32_e64 s[4:5], s15, v0
	v_mov_b32_e32 v6, 0
	s_and_saveexec_b64 s[26:27], s[4:5]
	s_cbranch_execz .LBB70_21
; %bb.18:
	v_mov_b32_e32 v6, 0x190
	v_lshl_add_u32 v15, v0, 2, v6
	v_mov_b32_e32 v6, 0
	s_mov_b64 s[28:29], 0
	v_mov_b32_e32 v16, v0
.LBB70_19:                              ; =>This Inner Loop Header: Depth=1
	ds_read_b32 v17, v15
	v_add_u32_e32 v16, 0x80, v16
	v_cmp_le_i32_e64 s[6:7], s15, v16
	s_or_b64 s[28:29], s[6:7], s[28:29]
	s_waitcnt lgkmcnt(0)
	v_sub_f32_e32 v17, v17, v14
	v_mul_f32_e32 v17, 0x3fb8aa3b, v17
	v_exp_f32_e32 v17, v17
	ds_write_b32 v15, v17
	v_add_f32_e32 v6, v6, v17
	v_add_u32_e32 v15, 0x200, v15
	s_andn2_b64 exec, exec, s[28:29]
	s_cbranch_execnz .LBB70_19
; %bb.20:
	s_or_b64 exec, exec, s[28:29]
.LBB70_21:
	s_or_b64 exec, exec, s[26:27]
	ds_bpermute_b32 v2, v2, v6
	s_waitcnt lgkmcnt(0)
	v_add_f32_e32 v2, v6, v2
	ds_bpermute_b32 v6, v8, v2
	v_xor_b32_e32 v8, 4, v4
	v_cmp_lt_i32_e64 s[6:7], v8, v5
	v_cndmask_b32_e64 v8, v4, v8, s[6:7]
	v_lshlrev_b32_e32 v8, 2, v8
	s_waitcnt lgkmcnt(0)
	v_add_f32_e32 v2, v2, v6
	ds_bpermute_b32 v6, v13, v2
	s_waitcnt lgkmcnt(0)
	v_add_f32_e32 v2, v2, v6
	ds_bpermute_b32 v6, v8, v2
	v_xor_b32_e32 v8, 2, v4
	v_cmp_lt_i32_e64 s[6:7], v8, v5
	v_cndmask_b32_e64 v5, v4, v8, s[6:7]
	v_lshlrev_b32_e32 v5, 2, v5
	s_waitcnt lgkmcnt(0)
	v_add_f32_e32 v2, v2, v6
	ds_bpermute_b32 v5, v5, v2
	s_waitcnt lgkmcnt(0)
	v_add_f32_e32 v2, v2, v5
	ds_bpermute_b32 v5, v12, v2
	s_waitcnt lgkmcnt(0)
	v_add_f32_e32 v2, v2, v5
	s_and_saveexec_b64 s[6:7], vcc
; %bb.22:
	ds_write_b32 v1, v2 offset:392
; %bb.23:
	s_or_b64 exec, exec, s[6:7]
	s_waitcnt lgkmcnt(0)
	s_barrier
	s_and_saveexec_b64 s[6:7], s[2:3]
; %bb.24:
	ds_read_b32 v2, v7 offset:392
; %bb.25:
	s_or_b64 exec, exec, s[6:7]
	s_waitcnt lgkmcnt(0)
	ds_bpermute_b32 v1, v12, v2
	v_lshlrev_b32_e32 v4, 2, v4
	s_waitcnt lgkmcnt(0)
	v_add_f32_e32 v1, v2, v1
	v_and_b32_e32 v2, 0xffffff00, v4
	ds_bpermute_b32 v1, v2, v1
	s_and_saveexec_b64 s[2:3], s[4:5]
	s_cbranch_execz .LBB70_28
; %bb.26:
	s_waitcnt lgkmcnt(0)
	v_add_f32_e32 v2, 0x358637bd, v1
	v_div_scale_f32 v1, s[4:5], v2, v2, 1.0
	v_div_scale_f32 v4, vcc, 1.0, v2, 1.0
	s_mov_b64 s[4:5], 0
	v_rcp_f32_e32 v5, v1
	v_fma_f32 v6, -v1, v5, 1.0
	v_fmac_f32_e32 v5, v6, v5
	v_mul_f32_e32 v6, v4, v5
	v_fma_f32 v7, -v1, v6, v4
	v_fmac_f32_e32 v6, v7, v5
	v_fma_f32 v1, -v1, v6, v4
	v_div_fmas_f32 v4, v1, v5, v6
	v_mov_b32_e32 v1, 0x190
	v_lshl_add_u32 v1, v0, 2, v1
	v_div_fixup_f32 v2, v4, v2, 1.0
	v_mov_b32_e32 v4, v0
.LBB70_27:                              ; =>This Inner Loop Header: Depth=1
	ds_read_b32 v5, v1
	v_add_u32_e32 v4, 0x80, v4
	v_cmp_le_i32_e32 vcc, s15, v4
	s_or_b64 s[4:5], vcc, s[4:5]
	s_waitcnt lgkmcnt(0)
	v_mul_f32_e32 v5, v2, v5
	ds_write_b32 v1, v5
	v_add_u32_e32 v1, 0x200, v1
	s_andn2_b64 exec, exec, s[4:5]
	s_cbranch_execnz .LBB70_27
.LBB70_28:
	s_or_b64 exec, exec, s[2:3]
	v_mov_b32_e32 v14, 0
	v_mov_b32_e32 v13, 0
	v_mov_b32_e32 v12, 0
	s_waitcnt lgkmcnt(0)
	s_barrier
	s_and_saveexec_b64 s[2:3], s[0:1]
	s_cbranch_execz .LBB70_38
; %bb.29:
	s_ashr_i32 s15, s14, 31
	s_lshl_b64 s[0:1], s[14:15], 1
	s_add_u32 s0, s24, s0
	s_addc_u32 s1, s25, s1
	v_lshlrev_b32_e32 v1, 4, v11
	s_add_i32 s14, s12, -1
	v_mov_b32_e32 v2, s1
	v_add_co_u32_e32 v16, vcc, s0, v1
	s_lshl_b64 s[0:1], s[22:23], 2
	v_mov_b32_e32 v1, 0x190
	s_add_u32 s0, s20, s0
	v_addc_co_u32_e32 v17, vcc, 0, v2, vcc
	v_lshl_add_u32 v19, v10, 5, v1
	v_and_b32_e32 v1, 60, v3
	s_addc_u32 s1, s21, s1
	v_mov_b32_e32 v2, s1
	v_add_co_u32_e32 v5, vcc, s0, v1
	v_mov_b32_e32 v15, 0
	v_lshl_or_b32 v18, v10, 3, 7
	v_addc_co_u32_e32 v6, vcc, 0, v2, vcc
	s_mov_b64 s[4:5], 0
	s_mov_b32 s15, 0xffff
	v_mov_b32_e32 v12, 0
	v_mov_b32_e32 v13, 0
	;; [unrolled: 1-line block ×3, first 2 shown]
	s_branch .LBB70_31
.LBB70_30:                              ;   in Loop: Header=BB70_31 Depth=1
	s_or_b64 exec, exec, s[6:7]
	v_add_f32_e32 v20, v33, v34
	v_add_f32_e32 v13, v13, v20
	;; [unrolled: 1-line block ×4, first 2 shown]
	v_lshlrev_b32_e32 v20, 16, v35
	v_and_or_b32 v1, v1, s15, v20
	v_lshlrev_b32_e32 v8, 16, v8
	v_lshlrev_b32_e32 v7, 16, v7
	v_and_or_b32 v2, v2, s15, v8
	v_and_or_b32 v3, v3, s15, v7
	;;#ASMSTART
	v_pk_mul_f16 v1, v27, v1;

	;;#ASMEND
	;;#ASMSTART
	v_pk_mul_f16 v2, v28, v2;

	;;#ASMEND
	;; [unrolled: 4-line block ×4, first 2 shown]
	;;#ASMSTART
	v_pk_add_f16 v1, v1, v2;

	;;#ASMEND
	;;#ASMSTART
	v_pk_add_f16 v1, v1, v3;

	;;#ASMEND
	;; [unrolled: 4-line block ×3, first 2 shown]
	v_lshrrev_b32_e32 v2, 16, v1
	v_and_b32_e32 v1, 0xffff, v1
	v_add_u32_e32 v10, 2, v10
	;;#ASMSTART
	v_cvt_f32_f16 v1, v1;
	;;#ASMEND
	v_cmp_le_i32_e32 vcc, s12, v10
	;;#ASMSTART
	v_cvt_f32_f16 v2, v2;
	;;#ASMEND
	v_add_f32_e32 v1, v1, v2
	s_or_b64 s[4:5], vcc, s[4:5]
	v_add_co_u32_e32 v5, vcc, 8, v5
	v_add_f32_e32 v12, v12, v1
	v_add_u32_e32 v18, 16, v18
	v_add_u32_e32 v19, 64, v19
	v_addc_co_u32_e32 v6, vcc, 0, v6, vcc
	s_andn2_b64 exec, exec, s[4:5]
	s_cbranch_execz .LBB70_37
.LBB70_31:                              ; =>This Inner Loop Header: Depth=1
	global_load_dword v7, v[5:6], off
	ds_read2_b64 v[1:4], v19 offset1:1
	ds_read2_b64 v[20:23], v19 offset0:2 offset1:3
	v_add_u32_e32 v26, -6, v18
	v_add_u32_e32 v25, -5, v18
	s_waitcnt lgkmcnt(1)
	;;#ASMSTART
	v_cvt_f16_f32 v27, v1;

	;;#ASMEND
	;;#ASMSTART
	v_cvt_f16_f32 v28, v2;

	;;#ASMEND
	;; [unrolled: 4-line block ×4, first 2 shown]
	s_waitcnt lgkmcnt(0)
	;;#ASMSTART
	v_cvt_f16_f32 v31, v20;

	;;#ASMEND
	;;#ASMSTART
	v_cvt_f16_f32 v32, v21;

	;;#ASMEND
	;; [unrolled: 4-line block ×4, first 2 shown]
	v_add_u32_e32 v20, -7, v18
	v_add_u32_e32 v23, -4, v18
	v_add_u32_e32 v22, -3, v18
	v_add_u32_e32 v21, -2, v18
	v_add_u32_e32 v24, -1, v18
	s_waitcnt vmcnt(0)
	v_mad_i64_i32 v[1:2], s[0:1], v7, s13, 0
	v_cmp_eq_u32_e64 s[0:1], s14, v10
	v_lshlrev_b64 v[1:2], 1, v[1:2]
	v_add_co_u32_e32 v7, vcc, v16, v1
	v_addc_co_u32_e32 v8, vcc, v17, v2, vcc
	global_load_dwordx4 v[1:4], v[7:8], off
	s_waitcnt vmcnt(0)
	v_lshrrev_b32_e32 v37, 16, v1
	v_lshrrev_b32_e32 v36, 16, v2
	;; [unrolled: 1-line block ×3, first 2 shown]
	s_and_saveexec_b64 s[6:7], s[0:1]
	s_cbranch_execz .LBB70_33
; %bb.32:                               ;   in Loop: Header=BB70_31 Depth=1
	v_cmp_gt_i32_e32 vcc, s33, v20
	v_cndmask_b32_e32 v1, 0, v1, vcc
	v_cmp_gt_i32_e32 vcc, s33, v26
	v_cndmask_b32_e32 v37, 0, v37, vcc
	;; [unrolled: 2-line block ×6, first 2 shown]
	v_cmp_gt_i32_e32 vcc, s33, v24
	v_cndmask_b32_sdwa v38, v15, v4, vcc dst_sel:DWORD dst_unused:UNUSED_PAD src0_sel:DWORD src1_sel:WORD_0
	v_and_b32_e32 v4, 0xffff0000, v4
	v_cmp_gt_i32_e32 vcc, s33, v18
	v_cndmask_b32_e32 v4, 0, v4, vcc
	v_or_b32_e32 v4, v38, v4
.LBB70_33:                              ;   in Loop: Header=BB70_31 Depth=1
	s_or_b64 exec, exec, s[6:7]
	v_and_b32_e32 v27, 0xffff, v27
	v_lshl_or_b32 v27, v28, 16, v27
	v_and_b32_e32 v28, 0xffff, v29
	v_and_b32_e32 v29, 0xffff, v31
	v_lshlrev_b32_e32 v31, 16, v37
	v_and_or_b32 v1, v1, s15, v31
	v_lshlrev_b32_e32 v31, 16, v36
	v_and_or_b32 v2, v2, s15, v31
	v_lshlrev_b32_e32 v31, 16, v35
	v_lshl_or_b32 v28, v30, 16, v28
	v_and_b32_e32 v30, 0xffff, v33
	v_and_or_b32 v3, v3, s15, v31
	;;#ASMSTART
	v_pk_mul_f16 v1, v27, v1;

	;;#ASMEND
	v_lshl_or_b32 v29, v32, 16, v29
	v_lshl_or_b32 v30, v34, 16, v30
	;;#ASMSTART
	v_pk_mul_f16 v2, v28, v2;

	;;#ASMEND
	;;#ASMSTART
	v_pk_mul_f16 v3, v29, v3;

	;;#ASMEND
	;; [unrolled: 4-line block ×3, first 2 shown]
	;;#ASMSTART
	v_pk_add_f16 v1, v1, v2;

	;;#ASMEND
	;;#ASMSTART
	v_pk_add_f16 v1, v1, v3;

	;;#ASMEND
	;; [unrolled: 4-line block ×3, first 2 shown]
	v_lshrrev_b32_e32 v2, 16, v1
	v_and_b32_e32 v1, 0xffff, v1
	;;#ASMSTART
	v_cvt_f32_f16 v31, v1;
	;;#ASMEND
	;;#ASMSTART
	v_cvt_f32_f16 v32, v2;
	;;#ASMEND
	global_load_dwordx4 v[1:4], v[7:8], off offset:1024
	s_waitcnt vmcnt(0)
	v_lshrrev_b32_e32 v35, 16, v1
	v_lshrrev_b32_e32 v34, 16, v2
	;; [unrolled: 1-line block ×3, first 2 shown]
	s_and_saveexec_b64 s[6:7], s[0:1]
	s_cbranch_execz .LBB70_35
; %bb.34:                               ;   in Loop: Header=BB70_31 Depth=1
	v_cmp_gt_i32_e32 vcc, s33, v20
	v_cndmask_b32_e32 v1, 0, v1, vcc
	v_cmp_gt_i32_e32 vcc, s33, v26
	v_cndmask_b32_e32 v35, 0, v35, vcc
	;; [unrolled: 2-line block ×6, first 2 shown]
	v_cmp_gt_i32_e32 vcc, s33, v24
	v_cndmask_b32_sdwa v36, v15, v4, vcc dst_sel:DWORD dst_unused:UNUSED_PAD src0_sel:DWORD src1_sel:WORD_0
	v_and_b32_e32 v4, 0xffff0000, v4
	v_cmp_gt_i32_e32 vcc, s33, v18
	v_cndmask_b32_e32 v4, 0, v4, vcc
	v_or_b32_e32 v4, v36, v4
.LBB70_35:                              ;   in Loop: Header=BB70_31 Depth=1
	s_or_b64 exec, exec, s[6:7]
	v_lshlrev_b32_e32 v35, 16, v35
	v_and_or_b32 v1, v1, s15, v35
	v_lshlrev_b32_e32 v34, 16, v34
	v_lshlrev_b32_e32 v33, 16, v33
	v_and_or_b32 v2, v2, s15, v34
	v_and_or_b32 v3, v3, s15, v33
	;;#ASMSTART
	v_pk_mul_f16 v1, v27, v1;

	;;#ASMEND
	;;#ASMSTART
	v_pk_mul_f16 v2, v28, v2;

	;;#ASMEND
	;; [unrolled: 4-line block ×4, first 2 shown]
	;;#ASMSTART
	v_pk_add_f16 v1, v1, v2;

	;;#ASMEND
	;;#ASMSTART
	v_pk_add_f16 v1, v1, v3;

	;;#ASMEND
	;; [unrolled: 4-line block ×3, first 2 shown]
	v_lshrrev_b32_e32 v2, 16, v1
	v_and_b32_e32 v1, 0xffff, v1
	;;#ASMSTART
	v_cvt_f32_f16 v33, v1;
	;;#ASMEND
	;;#ASMSTART
	v_cvt_f32_f16 v34, v2;
	;;#ASMEND
	global_load_dwordx4 v[1:4], v[7:8], off offset:2048
	s_waitcnt vmcnt(0)
	v_lshrrev_b32_e32 v35, 16, v1
	v_lshrrev_b32_e32 v8, 16, v2
	;; [unrolled: 1-line block ×3, first 2 shown]
	s_and_saveexec_b64 s[6:7], s[0:1]
	s_cbranch_execz .LBB70_30
; %bb.36:                               ;   in Loop: Header=BB70_31 Depth=1
	v_cmp_gt_i32_e32 vcc, s33, v20
	v_cndmask_b32_e32 v1, 0, v1, vcc
	v_cmp_gt_i32_e32 vcc, s33, v26
	v_cndmask_b32_e32 v35, 0, v35, vcc
	;; [unrolled: 2-line block ×6, first 2 shown]
	v_cmp_gt_i32_e32 vcc, s33, v24
	v_cndmask_b32_sdwa v20, v15, v4, vcc dst_sel:DWORD dst_unused:UNUSED_PAD src0_sel:DWORD src1_sel:WORD_0
	v_and_b32_e32 v4, 0xffff0000, v4
	v_cmp_gt_i32_e32 vcc, s33, v18
	v_cndmask_b32_e32 v4, 0, v4, vcc
	v_or_b32_e32 v4, v20, v4
	s_branch .LBB70_30
.LBB70_37:
	s_or_b64 exec, exec, s[4:5]
.LBB70_38:
	s_or_b64 exec, exec, s[2:3]
	v_and_b32_e32 v1, 0x3c0, v0
	v_cmp_eq_u32_e32 vcc, 64, v1
	s_barrier
	s_and_saveexec_b64 s[0:1], vcc
	s_cbranch_execz .LBB70_40
; %bb.39:
	v_mov_b32_e32 v1, 0x190
	v_lshl_add_u32 v1, v11, 2, v1
	ds_write2st64_b32 v1, v14, v13 offset1:1
	ds_write_b32 v1, v12 offset:512
.LBB70_40:
	s_or_b64 exec, exec, s[0:1]
	v_cmp_gt_u32_e32 vcc, 64, v0
	s_waitcnt lgkmcnt(0)
	s_barrier
	s_and_saveexec_b64 s[0:1], vcc
	s_cbranch_execz .LBB70_42
; %bb.41:
	v_mov_b32_e32 v1, 0x190
	v_lshl_add_u32 v2, v0, 2, v1
	ds_read2st64_b32 v[0:1], v2 offset1:1
	ds_read_b32 v2, v2 offset:512
	s_waitcnt lgkmcnt(1)
	v_add_f32_e32 v14, v14, v0
	v_add_f32_e32 v13, v13, v1
	s_waitcnt lgkmcnt(0)
	v_add_f32_e32 v12, v12, v2
.LBB70_42:
	s_or_b64 exec, exec, s[0:1]
	s_barrier
	s_and_saveexec_b64 s[0:1], vcc
	s_cbranch_execz .LBB70_44
; %bb.43:
	s_mul_i32 s0, s10, s11
	s_mul_i32 s0, s0, s9
	s_mulk_i32 s0, 0xc0
	s_ashr_i32 s1, s0, 31
	s_lshl_b64 s[0:1], s[0:1], 1
	s_add_u32 s2, s18, s0
	s_mul_i32 s0, s11, s16
	s_addc_u32 s3, s19, s1
	s_ashr_i32 s1, s0, 31
	s_lshl_b64 s[0:1], s[0:1], 1
	s_add_u32 s2, s2, s0
	s_mul_i32 s0, s8, 0xc0
	s_addc_u32 s3, s3, s1
	s_ashr_i32 s1, s0, 31
	s_lshl_b64 s[0:1], s[0:1], 1
	s_add_u32 s0, s2, s0
	s_addc_u32 s1, s3, s1
	;;#ASMSTART
	v_cvt_f16_f32 v0, v14;

	;;#ASMEND
	global_store_short v9, v0, s[0:1]
	;;#ASMSTART
	v_cvt_f16_f32 v0, v13;

	;;#ASMEND
	global_store_short v9, v0, s[0:1] offset:128
	;;#ASMSTART
	v_cvt_f16_f32 v0, v12;

	;;#ASMEND
	global_store_short v9, v0, s[0:1] offset:256
.LBB70_44:
	s_endpgm
	.section	.rodata,"a",@progbits
	.p2align	6, 0x0
	.amdhsa_kernel _ZN4vllm25paged_attention_v1_kernelIttLi192ELi8ELi128ELNS_18Fp8KVCacheDataTypeE0ELb0EEEvPT_PKS2_PKT0_S8_ifPKiSA_iPKfiiiSC_SC_iiiii
		.amdhsa_group_segment_fixed_size 400
		.amdhsa_private_segment_fixed_size 0
		.amdhsa_kernarg_size 384
		.amdhsa_user_sgpr_count 6
		.amdhsa_user_sgpr_private_segment_buffer 1
		.amdhsa_user_sgpr_dispatch_ptr 0
		.amdhsa_user_sgpr_queue_ptr 0
		.amdhsa_user_sgpr_kernarg_segment_ptr 1
		.amdhsa_user_sgpr_dispatch_id 0
		.amdhsa_user_sgpr_flat_scratch_init 0
		.amdhsa_user_sgpr_private_segment_size 0
		.amdhsa_uses_dynamic_stack 0
		.amdhsa_system_sgpr_private_segment_wavefront_offset 0
		.amdhsa_system_sgpr_workgroup_id_x 1
		.amdhsa_system_sgpr_workgroup_id_y 1
		.amdhsa_system_sgpr_workgroup_id_z 1
		.amdhsa_system_sgpr_workgroup_info 0
		.amdhsa_system_vgpr_workitem_id 0
		.amdhsa_next_free_vgpr 55
		.amdhsa_next_free_sgpr 34
		.amdhsa_reserve_vcc 1
		.amdhsa_reserve_flat_scratch 0
		.amdhsa_float_round_mode_32 0
		.amdhsa_float_round_mode_16_64 0
		.amdhsa_float_denorm_mode_32 3
		.amdhsa_float_denorm_mode_16_64 3
		.amdhsa_dx10_clamp 1
		.amdhsa_ieee_mode 1
		.amdhsa_fp16_overflow 0
		.amdhsa_exception_fp_ieee_invalid_op 0
		.amdhsa_exception_fp_denorm_src 0
		.amdhsa_exception_fp_ieee_div_zero 0
		.amdhsa_exception_fp_ieee_overflow 0
		.amdhsa_exception_fp_ieee_underflow 0
		.amdhsa_exception_fp_ieee_inexact 0
		.amdhsa_exception_int_div_zero 0
	.end_amdhsa_kernel
	.section	.text._ZN4vllm25paged_attention_v1_kernelIttLi192ELi8ELi128ELNS_18Fp8KVCacheDataTypeE0ELb0EEEvPT_PKS2_PKT0_S8_ifPKiSA_iPKfiiiSC_SC_iiiii,"axG",@progbits,_ZN4vllm25paged_attention_v1_kernelIttLi192ELi8ELi128ELNS_18Fp8KVCacheDataTypeE0ELb0EEEvPT_PKS2_PKT0_S8_ifPKiSA_iPKfiiiSC_SC_iiiii,comdat
.Lfunc_end70:
	.size	_ZN4vllm25paged_attention_v1_kernelIttLi192ELi8ELi128ELNS_18Fp8KVCacheDataTypeE0ELb0EEEvPT_PKS2_PKT0_S8_ifPKiSA_iPKfiiiSC_SC_iiiii, .Lfunc_end70-_ZN4vllm25paged_attention_v1_kernelIttLi192ELi8ELi128ELNS_18Fp8KVCacheDataTypeE0ELb0EEEvPT_PKS2_PKT0_S8_ifPKiSA_iPKfiiiSC_SC_iiiii
                                        ; -- End function
	.set _ZN4vllm25paged_attention_v1_kernelIttLi192ELi8ELi128ELNS_18Fp8KVCacheDataTypeE0ELb0EEEvPT_PKS2_PKT0_S8_ifPKiSA_iPKfiiiSC_SC_iiiii.num_vgpr, 55
	.set _ZN4vllm25paged_attention_v1_kernelIttLi192ELi8ELi128ELNS_18Fp8KVCacheDataTypeE0ELb0EEEvPT_PKS2_PKT0_S8_ifPKiSA_iPKfiiiSC_SC_iiiii.num_agpr, 0
	.set _ZN4vllm25paged_attention_v1_kernelIttLi192ELi8ELi128ELNS_18Fp8KVCacheDataTypeE0ELb0EEEvPT_PKS2_PKT0_S8_ifPKiSA_iPKfiiiSC_SC_iiiii.numbered_sgpr, 34
	.set _ZN4vllm25paged_attention_v1_kernelIttLi192ELi8ELi128ELNS_18Fp8KVCacheDataTypeE0ELb0EEEvPT_PKS2_PKT0_S8_ifPKiSA_iPKfiiiSC_SC_iiiii.num_named_barrier, 0
	.set _ZN4vllm25paged_attention_v1_kernelIttLi192ELi8ELi128ELNS_18Fp8KVCacheDataTypeE0ELb0EEEvPT_PKS2_PKT0_S8_ifPKiSA_iPKfiiiSC_SC_iiiii.private_seg_size, 0
	.set _ZN4vllm25paged_attention_v1_kernelIttLi192ELi8ELi128ELNS_18Fp8KVCacheDataTypeE0ELb0EEEvPT_PKS2_PKT0_S8_ifPKiSA_iPKfiiiSC_SC_iiiii.uses_vcc, 1
	.set _ZN4vllm25paged_attention_v1_kernelIttLi192ELi8ELi128ELNS_18Fp8KVCacheDataTypeE0ELb0EEEvPT_PKS2_PKT0_S8_ifPKiSA_iPKfiiiSC_SC_iiiii.uses_flat_scratch, 0
	.set _ZN4vllm25paged_attention_v1_kernelIttLi192ELi8ELi128ELNS_18Fp8KVCacheDataTypeE0ELb0EEEvPT_PKS2_PKT0_S8_ifPKiSA_iPKfiiiSC_SC_iiiii.has_dyn_sized_stack, 0
	.set _ZN4vllm25paged_attention_v1_kernelIttLi192ELi8ELi128ELNS_18Fp8KVCacheDataTypeE0ELb0EEEvPT_PKS2_PKT0_S8_ifPKiSA_iPKfiiiSC_SC_iiiii.has_recursion, 0
	.set _ZN4vllm25paged_attention_v1_kernelIttLi192ELi8ELi128ELNS_18Fp8KVCacheDataTypeE0ELb0EEEvPT_PKS2_PKT0_S8_ifPKiSA_iPKfiiiSC_SC_iiiii.has_indirect_call, 0
	.section	.AMDGPU.csdata,"",@progbits
; Kernel info:
; codeLenInByte = 4424
; TotalNumSgprs: 38
; NumVgprs: 55
; ScratchSize: 0
; MemoryBound: 0
; FloatMode: 240
; IeeeMode: 1
; LDSByteSize: 400 bytes/workgroup (compile time only)
; SGPRBlocks: 4
; VGPRBlocks: 13
; NumSGPRsForWavesPerEU: 38
; NumVGPRsForWavesPerEU: 55
; Occupancy: 4
; WaveLimiterHint : 1
; COMPUTE_PGM_RSRC2:SCRATCH_EN: 0
; COMPUTE_PGM_RSRC2:USER_SGPR: 6
; COMPUTE_PGM_RSRC2:TRAP_HANDLER: 0
; COMPUTE_PGM_RSRC2:TGID_X_EN: 1
; COMPUTE_PGM_RSRC2:TGID_Y_EN: 1
; COMPUTE_PGM_RSRC2:TGID_Z_EN: 1
; COMPUTE_PGM_RSRC2:TIDIG_COMP_CNT: 0
	.section	.text._ZN4vllm25paged_attention_v1_kernelIttLi256ELi8ELi128ELNS_18Fp8KVCacheDataTypeE0ELb0EEEvPT_PKS2_PKT0_S8_ifPKiSA_iPKfiiiSC_SC_iiiii,"axG",@progbits,_ZN4vllm25paged_attention_v1_kernelIttLi256ELi8ELi128ELNS_18Fp8KVCacheDataTypeE0ELb0EEEvPT_PKS2_PKT0_S8_ifPKiSA_iPKfiiiSC_SC_iiiii,comdat
	.protected	_ZN4vllm25paged_attention_v1_kernelIttLi256ELi8ELi128ELNS_18Fp8KVCacheDataTypeE0ELb0EEEvPT_PKS2_PKT0_S8_ifPKiSA_iPKfiiiSC_SC_iiiii ; -- Begin function _ZN4vllm25paged_attention_v1_kernelIttLi256ELi8ELi128ELNS_18Fp8KVCacheDataTypeE0ELb0EEEvPT_PKS2_PKT0_S8_ifPKiSA_iPKfiiiSC_SC_iiiii
	.globl	_ZN4vllm25paged_attention_v1_kernelIttLi256ELi8ELi128ELNS_18Fp8KVCacheDataTypeE0ELb0EEEvPT_PKS2_PKT0_S8_ifPKiSA_iPKfiiiSC_SC_iiiii
	.p2align	8
	.type	_ZN4vllm25paged_attention_v1_kernelIttLi256ELi8ELi128ELNS_18Fp8KVCacheDataTypeE0ELb0EEEvPT_PKS2_PKT0_S8_ifPKiSA_iPKfiiiSC_SC_iiiii,@function
_ZN4vllm25paged_attention_v1_kernelIttLi256ELi8ELi128ELNS_18Fp8KVCacheDataTypeE0ELb0EEEvPT_PKS2_PKT0_S8_ifPKiSA_iPKfiiiSC_SC_iiiii: ; @_ZN4vllm25paged_attention_v1_kernelIttLi256ELi8ELi128ELNS_18Fp8KVCacheDataTypeE0ELb0EEEvPT_PKS2_PKT0_S8_ifPKiSA_iPKfiiiSC_SC_iiiii
; %bb.0:
	s_load_dword s9, s[4:5], 0x80
	s_load_dwordx2 s[0:1], s[4:5], 0x30
	s_load_dwordx2 s[26:27], s[4:5], 0x20
	s_mov_b32 s10, s7
	s_ashr_i32 s11, s7, 31
	s_lshl_b64 s[2:3], s[10:11], 2
	s_waitcnt lgkmcnt(0)
	s_add_u32 s0, s0, s2
	s_addc_u32 s1, s1, s3
	s_abs_i32 s2, s26
	v_cvt_f32_u32_e32 v1, s2
	s_sub_i32 s11, 0, s2
	s_abs_i32 s7, s9
	s_xor_b32 s3, s9, s26
	v_rcp_iflag_f32_e32 v1, v1
	s_ashr_i32 s3, s3, 31
	s_mov_b32 s26, 0
	v_mul_f32_e32 v1, 0x4f7ffffe, v1
	v_cvt_u32_f32_e32 v1, v1
	v_readfirstlane_b32 s12, v1
	s_mul_i32 s11, s11, s12
	s_mul_hi_u32 s11, s12, s11
	s_add_i32 s12, s12, s11
	s_mul_hi_u32 s11, s7, s12
	s_mul_i32 s12, s11, s2
	s_sub_i32 s7, s7, s12
	s_add_i32 s12, s11, 1
	s_sub_i32 s13, s7, s2
	s_cmp_ge_u32 s7, s2
	s_cselect_b32 s11, s12, s11
	s_cselect_b32 s7, s13, s7
	s_add_i32 s12, s11, 1
	s_cmp_ge_u32 s7, s2
	s_cselect_b32 s2, s12, s11
	s_xor_b32 s2, s2, s3
	s_sub_i32 s11, s2, s3
	s_abs_i32 s18, s11
	v_cvt_f32_u32_e32 v1, s18
	s_load_dwordx2 s[2:3], s[4:5], 0x40
	s_sub_i32 s7, 0, s18
	s_abs_i32 s19, s6
	v_rcp_iflag_f32_e32 v1, v1
	v_mul_f32_e32 v1, 0x4f7ffffe, v1
	v_cvt_u32_f32_e32 v1, v1
	v_readfirstlane_b32 s12, v1
	s_mul_i32 s7, s7, s12
	s_mul_hi_u32 s7, s12, s7
	s_add_i32 s12, s12, s7
	s_waitcnt lgkmcnt(0)
	s_cmp_eq_u64 s[2:3], 0
	s_mul_hi_u32 s22, s19, s12
	s_cbranch_scc1 .LBB71_2
; %bb.1:
	s_ashr_i32 s7, s6, 31
	s_lshl_b64 s[12:13], s[6:7], 2
	s_add_u32 s2, s2, s12
	s_addc_u32 s3, s3, s13
	s_load_dword s26, s[2:3], 0x0
.LBB71_2:
	s_load_dword s33, s[0:1], 0x0
	s_ashr_i32 s23, s11, 31
	s_load_dword s11, s[4:5], 0x88
	s_load_dwordx4 s[12:15], s[4:5], 0x48
	s_movk_i32 s0, 0x100
	s_ashr_i32 s7, s6, 31
	v_and_b32_e32 v1, 7, v0
	s_lshl_b32 s16, s6, 8
	v_cmp_gt_u32_e32 vcc, s0, v0
	v_lshlrev_b32_e32 v9, 1, v0
	s_and_saveexec_b64 s[0:1], vcc
	s_cbranch_execz .LBB71_5
; %bb.3:
	s_load_dwordx2 s[2:3], s[4:5], 0x8
	s_waitcnt lgkmcnt(0)
	s_mul_i32 s20, s12, s10
	s_ashr_i32 s21, s20, 31
	s_lshl_b64 s[20:21], s[20:21], 1
	v_lshrrev_b32_e32 v2, 3, v0
	s_add_u32 s6, s2, s20
	s_addc_u32 s12, s3, s21
	s_ashr_i32 s17, s16, 31
	s_lshl_b64 s[2:3], s[16:17], 1
	s_add_u32 s2, s6, s2
	s_addc_u32 s3, s12, s3
	global_load_ushort v4, v9, s[2:3]
	s_movk_i32 s6, 0x80
	v_lshlrev_b32_e32 v3, 1, v2
	v_lshl_add_u32 v3, v1, 6, v3
	v_cmp_gt_u32_e32 vcc, s6, v0
	s_waitcnt vmcnt(0)
	ds_write_b16 v3, v4
	s_and_b64 exec, exec, vcc
	s_cbranch_execz .LBB71_5
; %bb.4:
	v_lshlrev_b32_e32 v2, 4, v2
	v_lshlrev_b32_e32 v4, 1, v1
	s_movk_i32 s6, 0x100
	v_or3_b32 v2, v2, v4, s6
	global_load_ushort v2, v2, s[2:3]
	s_waitcnt vmcnt(0)
	ds_write_b16 v3, v2 offset:32
.LBB71_5:
	s_or_b64 exec, exec, s[0:1]
	s_waitcnt lgkmcnt(0)
	s_add_i32 s1, s33, 7
	s_ashr_i32 s2, s1, 31
	s_lshr_b32 s2, s2, 29
	s_add_i32 s1, s1, s2
	s_mul_i32 s2, s22, s18
	s_sub_i32 s2, s19, s2
	s_ashr_i32 s12, s1, 3
	s_xor_b32 s1, s7, s23
	s_add_i32 s3, s22, 1
	s_sub_i32 s6, s2, s18
	s_load_dwordx2 s[20:21], s[4:5], 0x28
	s_load_dword s0, s[4:5], 0x38
	s_cmp_ge_u32 s2, s18
	s_cselect_b32 s3, s3, s22
	s_cselect_b32 s2, s6, s2
	s_add_i32 s6, s3, 1
	s_cmp_ge_u32 s2, s18
	s_cselect_b32 s2, s6, s3
	v_lshrrev_b32_e32 v10, 6, v0
	s_xor_b32 s2, s2, s1
	s_waitcnt lgkmcnt(0)
	s_mul_i32 s22, s0, s10
	s_sub_i32 s15, s2, s1
	s_ashr_i32 s23, s22, 31
	v_cmp_gt_i32_e64 s[0:1], s12, v10
	v_cmp_le_i32_e32 vcc, s12, v10
	v_mbcnt_lo_u32_b32 v15, -1, 0
	s_barrier
                                        ; implicit-def: $vgpr4
                                        ; implicit-def: $vgpr6
                                        ; implicit-def: $vgpr5
	s_and_saveexec_b64 s[2:3], vcc
	s_xor_b64 s[2:3], exec, s[2:3]
; %bb.6:
	v_mbcnt_hi_u32_b32 v4, -1, v15
	v_and_b32_e32 v6, 64, v4
	v_add_u32_e32 v5, 64, v6
                                        ; implicit-def: $vgpr1
                                        ; implicit-def: $vgpr15
; %bb.7:
	s_or_saveexec_b64 s[6:7], s[2:3]
	s_load_dwordx2 s[18:19], s[4:5], 0x0
	s_load_dwordx2 s[24:25], s[4:5], 0x18
	v_mov_b32_e32 v7, 0xff7fffff
	s_mul_i32 s14, s15, s14
	v_lshrrev_b32_e32 v3, 4, v0
	s_xor_b64 exec, exec, s[6:7]
	s_cbranch_execz .LBB71_13
; %bb.8:
	s_load_dwordx2 s[2:3], s[4:5], 0x10
	s_ashr_i32 s15, s14, 31
	s_lshl_b64 s[4:5], s[14:15], 1
	v_bfe_u32 v2, v0, 3, 3
	v_lshlrev_b32_e32 v4, 4, v2
	s_waitcnt lgkmcnt(0)
	s_add_u32 s2, s2, s4
	s_addc_u32 s3, s3, s5
	v_mov_b32_e32 v5, s3
	v_add_co_u32_e32 v4, vcc, s2, v4
	v_addc_co_u32_e32 v5, vcc, 0, v5, vcc
	v_lshlrev_b32_e32 v6, 1, v1
	v_add_co_u32_e32 v8, vcc, v4, v6
	v_addc_co_u32_e32 v11, vcc, 0, v5, vcc
	v_lshlrev_b32_e32 v12, 6, v1
	v_cmp_eq_u32_e32 vcc, 0, v1
	s_sub_i32 s15, 1, s33
	v_lshlrev_b32_e32 v1, 2, v2
	s_lshl_b64 s[4:5], s[22:23], 2
	v_lshl_or_b32 v1, v10, 5, v1
	s_add_u32 s4, s20, s4
	v_add_u32_e32 v14, 0x210, v1
	v_and_b32_e32 v1, 60, v3
	s_addc_u32 s5, s21, s5
	v_mbcnt_hi_u32_b32 v4, -1, v15
	v_lshl_or_b32 v13, v10, 3, v2
	v_mov_b32_e32 v2, s5
	v_add_co_u32_e64 v1, s[4:5], s4, v1
	v_and_b32_e32 v6, 64, v4
	s_mov_b32 s17, s13
	v_cmp_neq_f32_e64 s[2:3], s26, 0
	v_addc_co_u32_e64 v2, s[4:5], 0, v2, s[4:5]
	v_mov_b32_e32 v7, 0xff7fffff
	s_mov_b64 s[28:29], 0
	v_add_u32_e32 v5, 64, v6
	v_xor_b32_e32 v15, 4, v4
	v_xor_b32_e32 v16, 2, v4
	;; [unrolled: 1-line block ×3, first 2 shown]
	v_mov_b32_e32 v18, v10
	s_branch .LBB71_10
.LBB71_9:                               ;   in Loop: Header=BB71_10 Depth=1
	s_or_b64 exec, exec, s[30:31]
	v_add_u32_e32 v18, 2, v18
	v_cmp_le_i32_e64 s[4:5], s12, v18
	s_or_b64 s[28:29], s[4:5], s[28:29]
	v_add_co_u32_e64 v1, s[4:5], 8, v1
	v_add_u32_e32 v13, 16, v13
	v_add_u32_e32 v14, 64, v14
	v_addc_co_u32_e64 v2, s[4:5], 0, v2, s[4:5]
	s_andn2_b64 exec, exec, s[28:29]
	s_cbranch_execz .LBB71_12
.LBB71_10:                              ; =>This Inner Loop Header: Depth=1
	global_load_dword v19, v[1:2], off
	s_waitcnt vmcnt(0) lgkmcnt(0)
	v_mad_i64_i32 v[19:20], s[4:5], v19, s17, 0
	v_lshlrev_b64 v[19:20], 1, v[19:20]
	v_add_co_u32_e64 v45, s[4:5], v8, v19
	v_addc_co_u32_e64 v46, s[4:5], v11, v20, s[4:5]
	global_load_ushort v19, v[45:46], off
	global_load_ushort v47, v[45:46], off offset:128
	global_load_ushort v48, v[45:46], off offset:256
	;; [unrolled: 1-line block ×31, first 2 shown]
	ds_read_u16 v45, v12
	s_waitcnt lgkmcnt(0)
	;;#ASMSTART
	v_cvt_f32_f16 v45, v45;
	;;#ASMEND
	v_cmp_lt_i32_e64 s[4:5], v15, v5
	s_waitcnt vmcnt(31)
	;;#ASMSTART
	v_cvt_f32_f16 v46, v19;
	;;#ASMEND
	ds_read_u16 v19, v12 offset:2
	s_waitcnt lgkmcnt(0)
	;;#ASMSTART
	v_cvt_f32_f16 v19, v19;
	;;#ASMEND
	s_waitcnt vmcnt(30)
	;;#ASMSTART
	v_cvt_f32_f16 v47, v47;
	;;#ASMEND
	v_mul_f32_e32 v19, v19, v47
	v_fmac_f32_e32 v19, v45, v46
	ds_read_u16 v45, v12 offset:4
	s_waitcnt lgkmcnt(0)
	;;#ASMSTART
	v_cvt_f32_f16 v45, v45;
	;;#ASMEND
	s_waitcnt vmcnt(29)
	;;#ASMSTART
	v_cvt_f32_f16 v46, v48;
	;;#ASMEND
	v_fmac_f32_e32 v19, v45, v46
	ds_read_u16 v45, v12 offset:6
	s_waitcnt lgkmcnt(0)
	;;#ASMSTART
	v_cvt_f32_f16 v45, v45;
	;;#ASMEND
	s_waitcnt vmcnt(28)
	;;#ASMSTART
	v_cvt_f32_f16 v46, v49;
	;;#ASMEND
	;; [unrolled: 10-line block ×8, first 2 shown]
	ds_read_u16 v44, v12 offset:20
	v_fmac_f32_e32 v19, v43, v42
	s_waitcnt lgkmcnt(0)
	;;#ASMSTART
	v_cvt_f32_f16 v44, v44;
	;;#ASMEND
	s_waitcnt vmcnt(21)
	;;#ASMSTART
	v_cvt_f32_f16 v41, v41;
	;;#ASMEND
	v_fmac_f32_e32 v19, v44, v41
	ds_read_u16 v45, v12 offset:22
	s_waitcnt lgkmcnt(0)
	;;#ASMSTART
	v_cvt_f32_f16 v42, v45;
	;;#ASMEND
	s_waitcnt vmcnt(20)
	;;#ASMSTART
	v_cvt_f32_f16 v40, v40;
	;;#ASMEND
	ds_read_u16 v43, v12 offset:24
	v_fmac_f32_e32 v19, v42, v40
	s_waitcnt lgkmcnt(0)
	;;#ASMSTART
	v_cvt_f32_f16 v43, v43;
	;;#ASMEND
	s_waitcnt vmcnt(19)
	;;#ASMSTART
	v_cvt_f32_f16 v39, v39;
	;;#ASMEND
	v_fmac_f32_e32 v19, v43, v39
	ds_read_u16 v45, v12 offset:26
	s_waitcnt lgkmcnt(0)
	;;#ASMSTART
	v_cvt_f32_f16 v41, v45;
	;;#ASMEND
	s_waitcnt vmcnt(18)
	;;#ASMSTART
	v_cvt_f32_f16 v38, v38;
	;;#ASMEND
	ds_read_u16 v44, v12 offset:28
	v_fmac_f32_e32 v19, v41, v38
	s_waitcnt lgkmcnt(0)
	;;#ASMSTART
	v_cvt_f32_f16 v44, v44;
	;;#ASMEND
	s_waitcnt vmcnt(17)
	;;#ASMSTART
	v_cvt_f32_f16 v26, v26;
	;;#ASMEND
	v_fmac_f32_e32 v19, v44, v26
	ds_read_u16 v45, v12 offset:30
	s_waitcnt lgkmcnt(0)
	;;#ASMSTART
	v_cvt_f32_f16 v40, v45;
	;;#ASMEND
	s_waitcnt vmcnt(16)
	;;#ASMSTART
	v_cvt_f32_f16 v42, v24;
	;;#ASMEND
	v_fmac_f32_e32 v19, v40, v42
	ds_read_u16 v24, v12 offset:32
	s_waitcnt lgkmcnt(0)
	;;#ASMSTART
	v_cvt_f32_f16 v45, v24;
	;;#ASMEND
	s_waitcnt vmcnt(15)
	;;#ASMSTART
	v_cvt_f32_f16 v46, v22;
	;;#ASMEND
	v_fmac_f32_e32 v19, v45, v46
	ds_read_u16 v22, v12 offset:34
	s_waitcnt lgkmcnt(0)
	;;#ASMSTART
	v_cvt_f32_f16 v39, v22;
	;;#ASMEND
	s_waitcnt vmcnt(14)
	;;#ASMSTART
	v_cvt_f32_f16 v43, v20;
	;;#ASMEND
	ds_read_u16 v20, v12 offset:36
	v_fmac_f32_e32 v19, v39, v43
	s_waitcnt lgkmcnt(0)
	;;#ASMSTART
	v_cvt_f32_f16 v20, v20;
	;;#ASMEND
	s_waitcnt vmcnt(13)
	;;#ASMSTART
	v_cvt_f32_f16 v21, v21;
	;;#ASMEND
	ds_read_u16 v22, v12 offset:38
	v_fmac_f32_e32 v19, v20, v21
	;; [unrolled: 10-line block ×9, first 2 shown]
	s_waitcnt lgkmcnt(0)
	;;#ASMSTART
	v_cvt_f32_f16 v44, v44;
	;;#ASMEND
	s_waitcnt vmcnt(5)
	;;#ASMSTART
	v_cvt_f32_f16 v32, v32;
	;;#ASMEND
	v_fmac_f32_e32 v19, v44, v32
	ds_read_u16 v45, v12 offset:54
	s_waitcnt lgkmcnt(0)
	;;#ASMSTART
	v_cvt_f32_f16 v39, v45;
	;;#ASMEND
	s_waitcnt vmcnt(4)
	;;#ASMSTART
	v_cvt_f32_f16 v31, v31;
	;;#ASMEND
	v_fmac_f32_e32 v19, v39, v31
	ds_read_u16 v45, v12 offset:56
	;; [unrolled: 10-line block ×3, first 2 shown]
	s_waitcnt lgkmcnt(0)
	;;#ASMSTART
	v_cvt_f32_f16 v22, v30;
	;;#ASMEND
	s_waitcnt vmcnt(2)
	;;#ASMSTART
	v_cvt_f32_f16 v23, v29;
	;;#ASMEND
	ds_read_u16 v24, v12 offset:60
	v_fmac_f32_e32 v19, v22, v23
	v_cndmask_b32_e64 v43, v4, v15, s[4:5]
	s_waitcnt lgkmcnt(0)
	;;#ASMSTART
	v_cvt_f32_f16 v24, v24;
	;;#ASMEND
	s_waitcnt vmcnt(1)
	;;#ASMSTART
	v_cvt_f32_f16 v25, v28;
	;;#ASMEND
	v_fmac_f32_e32 v19, v24, v25
	v_lshlrev_b32_e32 v43, 2, v43
	ds_read_u16 v26, v12 offset:62
	s_waitcnt lgkmcnt(0)
	;;#ASMSTART
	v_cvt_f32_f16 v20, v26;
	;;#ASMEND
	s_waitcnt vmcnt(0)
	;;#ASMSTART
	v_cvt_f32_f16 v21, v27;
	;;#ASMEND
	v_fmac_f32_e32 v19, v20, v21
	ds_bpermute_b32 v20, v43, v19
	v_cmp_lt_i32_e64 s[4:5], v16, v5
	v_cndmask_b32_e64 v21, v4, v16, s[4:5]
	v_lshlrev_b32_e32 v21, 2, v21
	v_cmp_lt_i32_e64 s[4:5], v17, v5
	s_waitcnt lgkmcnt(0)
	v_add_f32_e32 v19, v19, v20
	ds_bpermute_b32 v20, v21, v19
	v_cndmask_b32_e64 v21, v4, v17, s[4:5]
	s_waitcnt lgkmcnt(0)
	v_add_f32_e32 v19, v19, v20
	v_lshlrev_b32_e32 v20, 2, v21
	ds_bpermute_b32 v20, v20, v19
	s_and_saveexec_b64 s[30:31], vcc
	s_cbranch_execz .LBB71_9
; %bb.11:                               ;   in Loop: Header=BB71_10 Depth=1
	v_add_u32_e32 v21, s15, v13
	v_cvt_f32_i32_e32 v21, v21
	s_waitcnt lgkmcnt(0)
	v_add_f32_e32 v19, v19, v20
	v_cmp_gt_i32_e64 s[4:5], s33, v13
	v_max_f32_e32 v20, v7, v7
	v_mul_f32_e32 v21, s26, v21
	v_cndmask_b32_e64 v21, 0, v21, s[2:3]
	v_fmac_f32_e32 v21, s27, v19
	v_cndmask_b32_e64 v19, 0, v21, s[4:5]
	ds_write_b32 v14, v19
	v_max_f32_e32 v19, v20, v21
	v_cndmask_b32_e64 v7, v7, v19, s[4:5]
	s_branch .LBB71_9
.LBB71_12:
	s_or_b64 exec, exec, s[28:29]
.LBB71_13:
	s_or_b64 exec, exec, s[6:7]
	v_xor_b32_e32 v1, 32, v4
	v_cmp_lt_i32_e32 vcc, v1, v5
	v_cndmask_b32_e32 v1, v4, v1, vcc
	v_lshlrev_b32_e32 v2, 2, v1
	ds_bpermute_b32 v1, v2, v7
	v_xor_b32_e32 v8, 16, v4
	v_max_f32_e32 v7, v7, v7
	v_cmp_lt_i32_e32 vcc, v8, v5
	v_xor_b32_e32 v11, 8, v4
	s_waitcnt lgkmcnt(0)
	v_max_f32_e32 v1, v1, v1
	v_max_f32_e32 v1, v7, v1
	v_cndmask_b32_e32 v7, v4, v8, vcc
	v_lshlrev_b32_e32 v8, 2, v7
	ds_bpermute_b32 v7, v8, v1
	v_cmp_lt_i32_e32 vcc, v11, v5
	s_waitcnt lgkmcnt(0)
	v_max_f32_e32 v7, v7, v7
	v_max_f32_e32 v7, v1, v7
	v_cndmask_b32_e32 v1, v4, v11, vcc
	v_lshlrev_b32_e32 v13, 2, v1
	ds_bpermute_b32 v12, v13, v7
	v_and_b32_e32 v11, 63, v0
	v_cmp_eq_u32_e32 vcc, 0, v11
	v_lshlrev_b32_e32 v1, 2, v10
	s_and_saveexec_b64 s[2:3], vcc
	s_cbranch_execz .LBB71_15
; %bb.14:
	s_waitcnt lgkmcnt(0)
	v_max_f32_e32 v12, v12, v12
	v_max_f32_e32 v7, v7, v7
	;; [unrolled: 1-line block ×3, first 2 shown]
	ds_write_b32 v1, v7 offset:512
.LBB71_15:
	s_or_b64 exec, exec, s[2:3]
	v_cmp_gt_u32_e64 s[2:3], 2, v11
	v_mov_b32_e32 v14, 0xff7fffff
	v_lshlrev_b32_e32 v7, 2, v11
	s_waitcnt lgkmcnt(0)
	s_barrier
	s_and_saveexec_b64 s[4:5], s[2:3]
; %bb.16:
	ds_read_b32 v14, v7 offset:512
; %bb.17:
	s_or_b64 exec, exec, s[4:5]
	v_xor_b32_e32 v12, 1, v4
	v_cmp_lt_i32_e64 s[4:5], v12, v5
	v_cndmask_b32_e64 v12, v4, v12, s[4:5]
	v_lshlrev_b32_e32 v12, 2, v12
	s_waitcnt lgkmcnt(0)
	ds_bpermute_b32 v15, v12, v14
	v_max_f32_e32 v14, v14, v14
	v_lshlrev_b32_e32 v6, 2, v6
	s_lshl_b32 s4, s12, 3
	s_min_i32 s15, s4, s33
	s_waitcnt lgkmcnt(0)
	v_max_f32_e32 v15, v15, v15
	v_max_f32_e32 v14, v14, v15
	ds_bpermute_b32 v14, v6, v14
	v_cmp_gt_i32_e64 s[4:5], s15, v0
	v_mov_b32_e32 v6, 0
	s_and_saveexec_b64 s[26:27], s[4:5]
	s_cbranch_execz .LBB71_21
; %bb.18:
	v_mov_b32_e32 v6, 0x210
	v_lshl_add_u32 v15, v0, 2, v6
	v_mov_b32_e32 v6, 0
	s_mov_b64 s[28:29], 0
	v_mov_b32_e32 v16, v0
.LBB71_19:                              ; =>This Inner Loop Header: Depth=1
	ds_read_b32 v17, v15
	v_add_u32_e32 v16, 0x80, v16
	v_cmp_le_i32_e64 s[6:7], s15, v16
	s_or_b64 s[28:29], s[6:7], s[28:29]
	s_waitcnt lgkmcnt(0)
	v_sub_f32_e32 v17, v17, v14
	v_mul_f32_e32 v17, 0x3fb8aa3b, v17
	v_exp_f32_e32 v17, v17
	ds_write_b32 v15, v17
	v_add_f32_e32 v6, v6, v17
	v_add_u32_e32 v15, 0x200, v15
	s_andn2_b64 exec, exec, s[28:29]
	s_cbranch_execnz .LBB71_19
; %bb.20:
	s_or_b64 exec, exec, s[28:29]
.LBB71_21:
	s_or_b64 exec, exec, s[26:27]
	ds_bpermute_b32 v2, v2, v6
	s_waitcnt lgkmcnt(0)
	v_add_f32_e32 v2, v6, v2
	ds_bpermute_b32 v6, v8, v2
	v_xor_b32_e32 v8, 4, v4
	v_cmp_lt_i32_e64 s[6:7], v8, v5
	v_cndmask_b32_e64 v8, v4, v8, s[6:7]
	v_lshlrev_b32_e32 v8, 2, v8
	s_waitcnt lgkmcnt(0)
	v_add_f32_e32 v2, v2, v6
	ds_bpermute_b32 v6, v13, v2
	s_waitcnt lgkmcnt(0)
	v_add_f32_e32 v2, v2, v6
	ds_bpermute_b32 v6, v8, v2
	v_xor_b32_e32 v8, 2, v4
	v_cmp_lt_i32_e64 s[6:7], v8, v5
	v_cndmask_b32_e64 v5, v4, v8, s[6:7]
	v_lshlrev_b32_e32 v5, 2, v5
	s_waitcnt lgkmcnt(0)
	v_add_f32_e32 v2, v2, v6
	ds_bpermute_b32 v5, v5, v2
	s_waitcnt lgkmcnt(0)
	v_add_f32_e32 v2, v2, v5
	ds_bpermute_b32 v5, v12, v2
	s_waitcnt lgkmcnt(0)
	v_add_f32_e32 v2, v2, v5
	s_and_saveexec_b64 s[6:7], vcc
; %bb.22:
	ds_write_b32 v1, v2 offset:520
; %bb.23:
	s_or_b64 exec, exec, s[6:7]
	s_waitcnt lgkmcnt(0)
	s_barrier
	s_and_saveexec_b64 s[6:7], s[2:3]
; %bb.24:
	ds_read_b32 v2, v7 offset:520
; %bb.25:
	s_or_b64 exec, exec, s[6:7]
	s_waitcnt lgkmcnt(0)
	ds_bpermute_b32 v1, v12, v2
	v_lshlrev_b32_e32 v4, 2, v4
	s_waitcnt lgkmcnt(0)
	v_add_f32_e32 v1, v2, v1
	v_and_b32_e32 v2, 0xffffff00, v4
	ds_bpermute_b32 v1, v2, v1
	s_and_saveexec_b64 s[2:3], s[4:5]
	s_cbranch_execz .LBB71_28
; %bb.26:
	s_waitcnt lgkmcnt(0)
	v_add_f32_e32 v2, 0x358637bd, v1
	v_div_scale_f32 v1, s[4:5], v2, v2, 1.0
	v_div_scale_f32 v4, vcc, 1.0, v2, 1.0
	s_mov_b64 s[4:5], 0
	v_rcp_f32_e32 v5, v1
	v_fma_f32 v6, -v1, v5, 1.0
	v_fmac_f32_e32 v5, v6, v5
	v_mul_f32_e32 v6, v4, v5
	v_fma_f32 v7, -v1, v6, v4
	v_fmac_f32_e32 v6, v7, v5
	v_fma_f32 v1, -v1, v6, v4
	v_div_fmas_f32 v4, v1, v5, v6
	v_mov_b32_e32 v1, 0x210
	v_lshl_add_u32 v1, v0, 2, v1
	v_div_fixup_f32 v2, v4, v2, 1.0
	v_mov_b32_e32 v4, v0
.LBB71_27:                              ; =>This Inner Loop Header: Depth=1
	ds_read_b32 v5, v1
	v_add_u32_e32 v4, 0x80, v4
	v_cmp_le_i32_e32 vcc, s15, v4
	s_or_b64 s[4:5], vcc, s[4:5]
	s_waitcnt lgkmcnt(0)
	v_mul_f32_e32 v5, v2, v5
	ds_write_b32 v1, v5
	v_add_u32_e32 v1, 0x200, v1
	s_andn2_b64 exec, exec, s[4:5]
	s_cbranch_execnz .LBB71_27
.LBB71_28:
	s_or_b64 exec, exec, s[2:3]
	v_mov_b32_e32 v15, 0
	v_mov_b32_e32 v14, 0
	;; [unrolled: 1-line block ×4, first 2 shown]
	s_waitcnt lgkmcnt(0)
	s_barrier
	s_and_saveexec_b64 s[2:3], s[0:1]
	s_cbranch_execz .LBB71_40
; %bb.29:
	s_ashr_i32 s15, s14, 31
	s_lshl_b64 s[0:1], s[14:15], 1
	s_add_u32 s0, s24, s0
	s_addc_u32 s1, s25, s1
	v_lshlrev_b32_e32 v1, 4, v11
	s_add_i32 s14, s12, -1
	v_mov_b32_e32 v2, s1
	v_add_co_u32_e32 v17, vcc, s0, v1
	s_lshl_b64 s[0:1], s[22:23], 2
	v_mov_b32_e32 v1, 0x210
	s_add_u32 s0, s20, s0
	v_addc_co_u32_e32 v18, vcc, 0, v2, vcc
	v_lshl_add_u32 v20, v10, 5, v1
	v_and_b32_e32 v1, 60, v3
	s_addc_u32 s1, s21, s1
	v_mov_b32_e32 v2, s1
	v_add_co_u32_e32 v5, vcc, s0, v1
	v_mov_b32_e32 v16, 0
	v_lshl_or_b32 v19, v10, 3, 7
	v_addc_co_u32_e32 v6, vcc, 0, v2, vcc
	s_mov_b64 s[4:5], 0
	s_mov_b32 s15, 0xffff
	v_mov_b32_e32 v12, 0
	v_mov_b32_e32 v13, 0
	;; [unrolled: 1-line block ×4, first 2 shown]
	s_branch .LBB71_31
.LBB71_30:                              ;   in Loop: Header=BB71_31 Depth=1
	s_or_b64 exec, exec, s[6:7]
	v_add_f32_e32 v21, v36, v37
	v_add_f32_e32 v13, v13, v21
	v_add_f32_e32 v21, v34, v35
	v_add_f32_e32 v14, v14, v21
	v_add_f32_e32 v21, v32, v33
	v_add_f32_e32 v15, v15, v21
	v_lshlrev_b32_e32 v21, 16, v38
	v_and_or_b32 v1, v1, s15, v21
	v_lshlrev_b32_e32 v8, 16, v8
	v_lshlrev_b32_e32 v7, 16, v7
	v_and_or_b32 v2, v2, s15, v8
	v_and_or_b32 v3, v3, s15, v7
	;;#ASMSTART
	v_pk_mul_f16 v1, v28, v1;

	;;#ASMEND
	;;#ASMSTART
	v_pk_mul_f16 v2, v29, v2;

	;;#ASMEND
	;; [unrolled: 4-line block ×4, first 2 shown]
	;;#ASMSTART
	v_pk_add_f16 v1, v1, v2;

	;;#ASMEND
	;;#ASMSTART
	v_pk_add_f16 v1, v1, v3;

	;;#ASMEND
	;; [unrolled: 4-line block ×3, first 2 shown]
	v_lshrrev_b32_e32 v2, 16, v1
	v_and_b32_e32 v1, 0xffff, v1
	v_add_u32_e32 v10, 2, v10
	;;#ASMSTART
	v_cvt_f32_f16 v1, v1;
	;;#ASMEND
	v_cmp_le_i32_e32 vcc, s12, v10
	;;#ASMSTART
	v_cvt_f32_f16 v2, v2;
	;;#ASMEND
	v_add_f32_e32 v1, v1, v2
	s_or_b64 s[4:5], vcc, s[4:5]
	v_add_co_u32_e32 v5, vcc, 8, v5
	v_add_f32_e32 v12, v12, v1
	v_add_u32_e32 v19, 16, v19
	v_add_u32_e32 v20, 64, v20
	v_addc_co_u32_e32 v6, vcc, 0, v6, vcc
	s_andn2_b64 exec, exec, s[4:5]
	s_cbranch_execz .LBB71_39
.LBB71_31:                              ; =>This Inner Loop Header: Depth=1
	global_load_dword v7, v[5:6], off
	ds_read2_b64 v[1:4], v20 offset1:1
	ds_read2_b64 v[21:24], v20 offset0:2 offset1:3
	v_add_u32_e32 v27, -6, v19
	v_add_u32_e32 v26, -5, v19
	s_waitcnt lgkmcnt(1)
	;;#ASMSTART
	v_cvt_f16_f32 v28, v1;

	;;#ASMEND
	;;#ASMSTART
	v_cvt_f16_f32 v29, v2;

	;;#ASMEND
	;; [unrolled: 4-line block ×4, first 2 shown]
	s_waitcnt lgkmcnt(0)
	;;#ASMSTART
	v_cvt_f16_f32 v32, v21;

	;;#ASMEND
	;;#ASMSTART
	v_cvt_f16_f32 v33, v22;

	;;#ASMEND
	;; [unrolled: 4-line block ×4, first 2 shown]
	v_add_u32_e32 v21, -7, v19
	v_add_u32_e32 v24, -4, v19
	;; [unrolled: 1-line block ×5, first 2 shown]
	s_waitcnt vmcnt(0)
	v_mad_i64_i32 v[1:2], s[0:1], v7, s13, 0
	v_cmp_eq_u32_e64 s[0:1], s14, v10
	v_lshlrev_b64 v[1:2], 1, v[1:2]
	v_add_co_u32_e32 v7, vcc, v17, v1
	v_addc_co_u32_e32 v8, vcc, v18, v2, vcc
	global_load_dwordx4 v[1:4], v[7:8], off
	s_waitcnt vmcnt(0)
	v_lshrrev_b32_e32 v38, 16, v1
	v_lshrrev_b32_e32 v37, 16, v2
	;; [unrolled: 1-line block ×3, first 2 shown]
	s_and_saveexec_b64 s[6:7], s[0:1]
	s_cbranch_execz .LBB71_33
; %bb.32:                               ;   in Loop: Header=BB71_31 Depth=1
	v_cmp_gt_i32_e32 vcc, s33, v21
	v_cndmask_b32_e32 v1, 0, v1, vcc
	v_cmp_gt_i32_e32 vcc, s33, v27
	v_cndmask_b32_e32 v38, 0, v38, vcc
	;; [unrolled: 2-line block ×6, first 2 shown]
	v_cmp_gt_i32_e32 vcc, s33, v25
	v_cndmask_b32_sdwa v39, v16, v4, vcc dst_sel:DWORD dst_unused:UNUSED_PAD src0_sel:DWORD src1_sel:WORD_0
	v_and_b32_e32 v4, 0xffff0000, v4
	v_cmp_gt_i32_e32 vcc, s33, v19
	v_cndmask_b32_e32 v4, 0, v4, vcc
	v_or_b32_e32 v4, v39, v4
.LBB71_33:                              ;   in Loop: Header=BB71_31 Depth=1
	s_or_b64 exec, exec, s[6:7]
	v_and_b32_e32 v28, 0xffff, v28
	v_lshl_or_b32 v28, v29, 16, v28
	v_and_b32_e32 v29, 0xffff, v30
	v_and_b32_e32 v30, 0xffff, v32
	v_lshlrev_b32_e32 v32, 16, v38
	v_and_or_b32 v1, v1, s15, v32
	v_lshlrev_b32_e32 v32, 16, v37
	v_and_or_b32 v2, v2, s15, v32
	v_lshlrev_b32_e32 v32, 16, v36
	v_lshl_or_b32 v29, v31, 16, v29
	v_and_b32_e32 v31, 0xffff, v34
	v_and_or_b32 v3, v3, s15, v32
	;;#ASMSTART
	v_pk_mul_f16 v1, v28, v1;

	;;#ASMEND
	v_lshl_or_b32 v30, v33, 16, v30
	v_lshl_or_b32 v31, v35, 16, v31
	;;#ASMSTART
	v_pk_mul_f16 v2, v29, v2;

	;;#ASMEND
	;;#ASMSTART
	v_pk_mul_f16 v3, v30, v3;

	;;#ASMEND
	;; [unrolled: 4-line block ×3, first 2 shown]
	;;#ASMSTART
	v_pk_add_f16 v1, v1, v2;

	;;#ASMEND
	;;#ASMSTART
	v_pk_add_f16 v1, v1, v3;

	;;#ASMEND
	;; [unrolled: 4-line block ×3, first 2 shown]
	v_lshrrev_b32_e32 v2, 16, v1
	v_and_b32_e32 v1, 0xffff, v1
	;;#ASMSTART
	v_cvt_f32_f16 v32, v1;
	;;#ASMEND
	;;#ASMSTART
	v_cvt_f32_f16 v33, v2;
	;;#ASMEND
	global_load_dwordx4 v[1:4], v[7:8], off offset:1024
	s_waitcnt vmcnt(0)
	v_lshrrev_b32_e32 v36, 16, v1
	v_lshrrev_b32_e32 v35, 16, v2
	v_lshrrev_b32_e32 v34, 16, v3
	s_and_saveexec_b64 s[6:7], s[0:1]
	s_cbranch_execz .LBB71_35
; %bb.34:                               ;   in Loop: Header=BB71_31 Depth=1
	v_cmp_gt_i32_e32 vcc, s33, v21
	v_cndmask_b32_e32 v1, 0, v1, vcc
	v_cmp_gt_i32_e32 vcc, s33, v27
	v_cndmask_b32_e32 v36, 0, v36, vcc
	;; [unrolled: 2-line block ×6, first 2 shown]
	v_cmp_gt_i32_e32 vcc, s33, v25
	v_cndmask_b32_sdwa v37, v16, v4, vcc dst_sel:DWORD dst_unused:UNUSED_PAD src0_sel:DWORD src1_sel:WORD_0
	v_and_b32_e32 v4, 0xffff0000, v4
	v_cmp_gt_i32_e32 vcc, s33, v19
	v_cndmask_b32_e32 v4, 0, v4, vcc
	v_or_b32_e32 v4, v37, v4
.LBB71_35:                              ;   in Loop: Header=BB71_31 Depth=1
	s_or_b64 exec, exec, s[6:7]
	v_lshlrev_b32_e32 v36, 16, v36
	v_and_or_b32 v1, v1, s15, v36
	v_lshlrev_b32_e32 v35, 16, v35
	v_lshlrev_b32_e32 v34, 16, v34
	v_and_or_b32 v2, v2, s15, v35
	v_and_or_b32 v3, v3, s15, v34
	;;#ASMSTART
	v_pk_mul_f16 v1, v28, v1;

	;;#ASMEND
	;;#ASMSTART
	v_pk_mul_f16 v2, v29, v2;

	;;#ASMEND
	;; [unrolled: 4-line block ×4, first 2 shown]
	;;#ASMSTART
	v_pk_add_f16 v1, v1, v2;

	;;#ASMEND
	;;#ASMSTART
	v_pk_add_f16 v1, v1, v3;

	;;#ASMEND
	;; [unrolled: 4-line block ×3, first 2 shown]
	v_lshrrev_b32_e32 v2, 16, v1
	v_and_b32_e32 v1, 0xffff, v1
	;;#ASMSTART
	v_cvt_f32_f16 v34, v1;
	;;#ASMEND
	;;#ASMSTART
	v_cvt_f32_f16 v35, v2;
	;;#ASMEND
	global_load_dwordx4 v[1:4], v[7:8], off offset:2048
	s_waitcnt vmcnt(0)
	v_lshrrev_b32_e32 v38, 16, v1
	v_lshrrev_b32_e32 v37, 16, v2
	;; [unrolled: 1-line block ×3, first 2 shown]
	s_and_saveexec_b64 s[6:7], s[0:1]
	s_cbranch_execz .LBB71_37
; %bb.36:                               ;   in Loop: Header=BB71_31 Depth=1
	v_cmp_gt_i32_e32 vcc, s33, v21
	v_cndmask_b32_e32 v1, 0, v1, vcc
	v_cmp_gt_i32_e32 vcc, s33, v27
	v_cndmask_b32_e32 v38, 0, v38, vcc
	;; [unrolled: 2-line block ×6, first 2 shown]
	v_cmp_gt_i32_e32 vcc, s33, v25
	v_cndmask_b32_sdwa v39, v16, v4, vcc dst_sel:DWORD dst_unused:UNUSED_PAD src0_sel:DWORD src1_sel:WORD_0
	v_and_b32_e32 v4, 0xffff0000, v4
	v_cmp_gt_i32_e32 vcc, s33, v19
	v_cndmask_b32_e32 v4, 0, v4, vcc
	v_or_b32_e32 v4, v39, v4
.LBB71_37:                              ;   in Loop: Header=BB71_31 Depth=1
	s_or_b64 exec, exec, s[6:7]
	v_lshlrev_b32_e32 v38, 16, v38
	v_and_or_b32 v1, v1, s15, v38
	v_lshlrev_b32_e32 v37, 16, v37
	v_lshlrev_b32_e32 v36, 16, v36
	v_and_or_b32 v2, v2, s15, v37
	v_and_or_b32 v3, v3, s15, v36
	;;#ASMSTART
	v_pk_mul_f16 v1, v28, v1;

	;;#ASMEND
	;;#ASMSTART
	v_pk_mul_f16 v2, v29, v2;

	;;#ASMEND
	;; [unrolled: 4-line block ×4, first 2 shown]
	;;#ASMSTART
	v_pk_add_f16 v1, v1, v2;

	;;#ASMEND
	;;#ASMSTART
	v_pk_add_f16 v1, v1, v3;

	;;#ASMEND
	;; [unrolled: 4-line block ×3, first 2 shown]
	v_lshrrev_b32_e32 v2, 16, v1
	v_and_b32_e32 v1, 0xffff, v1
	;;#ASMSTART
	v_cvt_f32_f16 v36, v1;
	;;#ASMEND
	;;#ASMSTART
	v_cvt_f32_f16 v37, v2;
	;;#ASMEND
	global_load_dwordx4 v[1:4], v[7:8], off offset:3072
	s_waitcnt vmcnt(0)
	v_lshrrev_b32_e32 v38, 16, v1
	v_lshrrev_b32_e32 v8, 16, v2
	;; [unrolled: 1-line block ×3, first 2 shown]
	s_and_saveexec_b64 s[6:7], s[0:1]
	s_cbranch_execz .LBB71_30
; %bb.38:                               ;   in Loop: Header=BB71_31 Depth=1
	v_cmp_gt_i32_e32 vcc, s33, v21
	v_cndmask_b32_e32 v1, 0, v1, vcc
	v_cmp_gt_i32_e32 vcc, s33, v27
	v_cndmask_b32_e32 v38, 0, v38, vcc
	;; [unrolled: 2-line block ×6, first 2 shown]
	v_cmp_gt_i32_e32 vcc, s33, v25
	v_cndmask_b32_sdwa v21, v16, v4, vcc dst_sel:DWORD dst_unused:UNUSED_PAD src0_sel:DWORD src1_sel:WORD_0
	v_and_b32_e32 v4, 0xffff0000, v4
	v_cmp_gt_i32_e32 vcc, s33, v19
	v_cndmask_b32_e32 v4, 0, v4, vcc
	v_or_b32_e32 v4, v21, v4
	s_branch .LBB71_30
.LBB71_39:
	s_or_b64 exec, exec, s[4:5]
.LBB71_40:
	s_or_b64 exec, exec, s[2:3]
	v_and_b32_e32 v1, 0x3c0, v0
	v_cmp_eq_u32_e32 vcc, 64, v1
	s_barrier
	s_and_saveexec_b64 s[0:1], vcc
	s_cbranch_execz .LBB71_42
; %bb.41:
	v_mov_b32_e32 v1, 0x210
	v_lshl_add_u32 v1, v11, 2, v1
	ds_write2st64_b32 v1, v15, v14 offset1:1
	ds_write2st64_b32 v1, v13, v12 offset0:2 offset1:3
.LBB71_42:
	s_or_b64 exec, exec, s[0:1]
	v_cmp_gt_u32_e32 vcc, 64, v0
	s_waitcnt lgkmcnt(0)
	s_barrier
	s_and_saveexec_b64 s[0:1], vcc
	s_cbranch_execz .LBB71_44
; %bb.43:
	v_mov_b32_e32 v1, 0x210
	v_lshl_add_u32 v2, v0, 2, v1
	ds_read2st64_b32 v[0:1], v2 offset1:1
	ds_read2st64_b32 v[2:3], v2 offset0:2 offset1:3
	s_waitcnt lgkmcnt(1)
	v_add_f32_e32 v15, v15, v0
	v_add_f32_e32 v14, v14, v1
	s_waitcnt lgkmcnt(0)
	v_add_f32_e32 v13, v13, v2
	v_add_f32_e32 v12, v12, v3
.LBB71_44:
	s_or_b64 exec, exec, s[0:1]
	s_barrier
	s_and_saveexec_b64 s[0:1], vcc
	s_cbranch_execz .LBB71_46
; %bb.45:
	s_mul_i32 s0, s10, s11
	s_mul_i32 s0, s0, s9
	s_lshl_b32 s0, s0, 8
	s_ashr_i32 s1, s0, 31
	s_lshl_b64 s[0:1], s[0:1], 1
	s_add_u32 s2, s18, s0
	s_mul_i32 s0, s11, s16
	s_addc_u32 s3, s19, s1
	s_ashr_i32 s1, s0, 31
	s_lshl_b64 s[0:1], s[0:1], 1
	s_add_u32 s2, s2, s0
	s_addc_u32 s3, s3, s1
	s_lshl_b32 s0, s8, 8
	s_ashr_i32 s1, s0, 31
	s_lshl_b64 s[0:1], s[0:1], 1
	s_add_u32 s0, s2, s0
	s_addc_u32 s1, s3, s1
	;;#ASMSTART
	v_cvt_f16_f32 v0, v15;

	;;#ASMEND
	global_store_short v9, v0, s[0:1]
	;;#ASMSTART
	v_cvt_f16_f32 v0, v14;

	;;#ASMEND
	global_store_short v9, v0, s[0:1] offset:128
	;;#ASMSTART
	v_cvt_f16_f32 v0, v13;

	;;#ASMEND
	global_store_short v9, v0, s[0:1] offset:256
	;; [unrolled: 5-line block ×3, first 2 shown]
.LBB71_46:
	s_endpgm
	.section	.rodata,"a",@progbits
	.p2align	6, 0x0
	.amdhsa_kernel _ZN4vllm25paged_attention_v1_kernelIttLi256ELi8ELi128ELNS_18Fp8KVCacheDataTypeE0ELb0EEEvPT_PKS2_PKT0_S8_ifPKiSA_iPKfiiiSC_SC_iiiii
		.amdhsa_group_segment_fixed_size 528
		.amdhsa_private_segment_fixed_size 0
		.amdhsa_kernarg_size 384
		.amdhsa_user_sgpr_count 6
		.amdhsa_user_sgpr_private_segment_buffer 1
		.amdhsa_user_sgpr_dispatch_ptr 0
		.amdhsa_user_sgpr_queue_ptr 0
		.amdhsa_user_sgpr_kernarg_segment_ptr 1
		.amdhsa_user_sgpr_dispatch_id 0
		.amdhsa_user_sgpr_flat_scratch_init 0
		.amdhsa_user_sgpr_private_segment_size 0
		.amdhsa_uses_dynamic_stack 0
		.amdhsa_system_sgpr_private_segment_wavefront_offset 0
		.amdhsa_system_sgpr_workgroup_id_x 1
		.amdhsa_system_sgpr_workgroup_id_y 1
		.amdhsa_system_sgpr_workgroup_id_z 1
		.amdhsa_system_sgpr_workgroup_info 0
		.amdhsa_system_vgpr_workitem_id 0
		.amdhsa_next_free_vgpr 53
		.amdhsa_next_free_sgpr 34
		.amdhsa_reserve_vcc 1
		.amdhsa_reserve_flat_scratch 0
		.amdhsa_float_round_mode_32 0
		.amdhsa_float_round_mode_16_64 0
		.amdhsa_float_denorm_mode_32 3
		.amdhsa_float_denorm_mode_16_64 3
		.amdhsa_dx10_clamp 1
		.amdhsa_ieee_mode 1
		.amdhsa_fp16_overflow 0
		.amdhsa_exception_fp_ieee_invalid_op 0
		.amdhsa_exception_fp_denorm_src 0
		.amdhsa_exception_fp_ieee_div_zero 0
		.amdhsa_exception_fp_ieee_overflow 0
		.amdhsa_exception_fp_ieee_underflow 0
		.amdhsa_exception_fp_ieee_inexact 0
		.amdhsa_exception_int_div_zero 0
	.end_amdhsa_kernel
	.section	.text._ZN4vllm25paged_attention_v1_kernelIttLi256ELi8ELi128ELNS_18Fp8KVCacheDataTypeE0ELb0EEEvPT_PKS2_PKT0_S8_ifPKiSA_iPKfiiiSC_SC_iiiii,"axG",@progbits,_ZN4vllm25paged_attention_v1_kernelIttLi256ELi8ELi128ELNS_18Fp8KVCacheDataTypeE0ELb0EEEvPT_PKS2_PKT0_S8_ifPKiSA_iPKfiiiSC_SC_iiiii,comdat
.Lfunc_end71:
	.size	_ZN4vllm25paged_attention_v1_kernelIttLi256ELi8ELi128ELNS_18Fp8KVCacheDataTypeE0ELb0EEEvPT_PKS2_PKT0_S8_ifPKiSA_iPKfiiiSC_SC_iiiii, .Lfunc_end71-_ZN4vllm25paged_attention_v1_kernelIttLi256ELi8ELi128ELNS_18Fp8KVCacheDataTypeE0ELb0EEEvPT_PKS2_PKT0_S8_ifPKiSA_iPKfiiiSC_SC_iiiii
                                        ; -- End function
	.set _ZN4vllm25paged_attention_v1_kernelIttLi256ELi8ELi128ELNS_18Fp8KVCacheDataTypeE0ELb0EEEvPT_PKS2_PKT0_S8_ifPKiSA_iPKfiiiSC_SC_iiiii.num_vgpr, 53
	.set _ZN4vllm25paged_attention_v1_kernelIttLi256ELi8ELi128ELNS_18Fp8KVCacheDataTypeE0ELb0EEEvPT_PKS2_PKT0_S8_ifPKiSA_iPKfiiiSC_SC_iiiii.num_agpr, 0
	.set _ZN4vllm25paged_attention_v1_kernelIttLi256ELi8ELi128ELNS_18Fp8KVCacheDataTypeE0ELb0EEEvPT_PKS2_PKT0_S8_ifPKiSA_iPKfiiiSC_SC_iiiii.numbered_sgpr, 34
	.set _ZN4vllm25paged_attention_v1_kernelIttLi256ELi8ELi128ELNS_18Fp8KVCacheDataTypeE0ELb0EEEvPT_PKS2_PKT0_S8_ifPKiSA_iPKfiiiSC_SC_iiiii.num_named_barrier, 0
	.set _ZN4vllm25paged_attention_v1_kernelIttLi256ELi8ELi128ELNS_18Fp8KVCacheDataTypeE0ELb0EEEvPT_PKS2_PKT0_S8_ifPKiSA_iPKfiiiSC_SC_iiiii.private_seg_size, 0
	.set _ZN4vllm25paged_attention_v1_kernelIttLi256ELi8ELi128ELNS_18Fp8KVCacheDataTypeE0ELb0EEEvPT_PKS2_PKT0_S8_ifPKiSA_iPKfiiiSC_SC_iiiii.uses_vcc, 1
	.set _ZN4vllm25paged_attention_v1_kernelIttLi256ELi8ELi128ELNS_18Fp8KVCacheDataTypeE0ELb0EEEvPT_PKS2_PKT0_S8_ifPKiSA_iPKfiiiSC_SC_iiiii.uses_flat_scratch, 0
	.set _ZN4vllm25paged_attention_v1_kernelIttLi256ELi8ELi128ELNS_18Fp8KVCacheDataTypeE0ELb0EEEvPT_PKS2_PKT0_S8_ifPKiSA_iPKfiiiSC_SC_iiiii.has_dyn_sized_stack, 0
	.set _ZN4vllm25paged_attention_v1_kernelIttLi256ELi8ELi128ELNS_18Fp8KVCacheDataTypeE0ELb0EEEvPT_PKS2_PKT0_S8_ifPKiSA_iPKfiiiSC_SC_iiiii.has_recursion, 0
	.set _ZN4vllm25paged_attention_v1_kernelIttLi256ELi8ELi128ELNS_18Fp8KVCacheDataTypeE0ELb0EEEvPT_PKS2_PKT0_S8_ifPKiSA_iPKfiiiSC_SC_iiiii.has_indirect_call, 0
	.section	.AMDGPU.csdata,"",@progbits
; Kernel info:
; codeLenInByte = 5044
; TotalNumSgprs: 38
; NumVgprs: 53
; ScratchSize: 0
; MemoryBound: 0
; FloatMode: 240
; IeeeMode: 1
; LDSByteSize: 528 bytes/workgroup (compile time only)
; SGPRBlocks: 4
; VGPRBlocks: 13
; NumSGPRsForWavesPerEU: 38
; NumVGPRsForWavesPerEU: 53
; Occupancy: 4
; WaveLimiterHint : 1
; COMPUTE_PGM_RSRC2:SCRATCH_EN: 0
; COMPUTE_PGM_RSRC2:USER_SGPR: 6
; COMPUTE_PGM_RSRC2:TRAP_HANDLER: 0
; COMPUTE_PGM_RSRC2:TGID_X_EN: 1
; COMPUTE_PGM_RSRC2:TGID_Y_EN: 1
; COMPUTE_PGM_RSRC2:TGID_Z_EN: 1
; COMPUTE_PGM_RSRC2:TIDIG_COMP_CNT: 0
	.section	.text._ZN4vllm25paged_attention_v1_kernelIttLi32ELi16ELi128ELNS_18Fp8KVCacheDataTypeE0ELb1EEEvPT_PKS2_PKT0_S8_ifPKiSA_iPKfiiiSC_SC_iiiii,"axG",@progbits,_ZN4vllm25paged_attention_v1_kernelIttLi32ELi16ELi128ELNS_18Fp8KVCacheDataTypeE0ELb1EEEvPT_PKS2_PKT0_S8_ifPKiSA_iPKfiiiSC_SC_iiiii,comdat
	.protected	_ZN4vllm25paged_attention_v1_kernelIttLi32ELi16ELi128ELNS_18Fp8KVCacheDataTypeE0ELb1EEEvPT_PKS2_PKT0_S8_ifPKiSA_iPKfiiiSC_SC_iiiii ; -- Begin function _ZN4vllm25paged_attention_v1_kernelIttLi32ELi16ELi128ELNS_18Fp8KVCacheDataTypeE0ELb1EEEvPT_PKS2_PKT0_S8_ifPKiSA_iPKfiiiSC_SC_iiiii
	.globl	_ZN4vllm25paged_attention_v1_kernelIttLi32ELi16ELi128ELNS_18Fp8KVCacheDataTypeE0ELb1EEEvPT_PKS2_PKT0_S8_ifPKiSA_iPKfiiiSC_SC_iiiii
	.p2align	8
	.type	_ZN4vllm25paged_attention_v1_kernelIttLi32ELi16ELi128ELNS_18Fp8KVCacheDataTypeE0ELb1EEEvPT_PKS2_PKT0_S8_ifPKiSA_iPKfiiiSC_SC_iiiii,@function
_ZN4vllm25paged_attention_v1_kernelIttLi32ELi16ELi128ELNS_18Fp8KVCacheDataTypeE0ELb1EEEvPT_PKS2_PKT0_S8_ifPKiSA_iPKfiiiSC_SC_iiiii: ; @_ZN4vllm25paged_attention_v1_kernelIttLi32ELi16ELi128ELNS_18Fp8KVCacheDataTypeE0ELb1EEEvPT_PKS2_PKT0_S8_ifPKiSA_iPKfiiiSC_SC_iiiii
; %bb.0:
	s_load_dword s9, s[4:5], 0x80
	s_load_dwordx2 s[0:1], s[4:5], 0x30
	s_load_dwordx2 s[30:31], s[4:5], 0x20
	s_mov_b32 s10, s7
	s_ashr_i32 s11, s7, 31
	s_lshl_b64 s[2:3], s[10:11], 2
	s_waitcnt lgkmcnt(0)
	s_add_u32 s0, s0, s2
	s_addc_u32 s1, s1, s3
	s_abs_i32 s2, s30
	v_cvt_f32_u32_e32 v1, s2
	s_sub_i32 s11, 0, s2
	s_abs_i32 s7, s9
	s_xor_b32 s3, s9, s30
	v_rcp_iflag_f32_e32 v1, v1
	s_ashr_i32 s3, s3, 31
	s_mov_b32 s42, 0
	v_mul_f32_e32 v1, 0x4f7ffffe, v1
	v_cvt_u32_f32_e32 v1, v1
	v_readfirstlane_b32 s12, v1
	s_mul_i32 s11, s11, s12
	s_mul_hi_u32 s11, s12, s11
	s_add_i32 s12, s12, s11
	s_mul_hi_u32 s11, s7, s12
	s_mul_i32 s12, s11, s2
	s_sub_i32 s7, s7, s12
	s_add_i32 s12, s11, 1
	s_sub_i32 s13, s7, s2
	s_cmp_ge_u32 s7, s2
	s_cselect_b32 s11, s12, s11
	s_cselect_b32 s7, s13, s7
	s_add_i32 s12, s11, 1
	s_cmp_ge_u32 s7, s2
	s_cselect_b32 s2, s12, s11
	s_xor_b32 s2, s2, s3
	s_sub_i32 s12, s2, s3
	s_abs_i32 s22, s12
	v_cvt_f32_u32_e32 v1, s22
	s_load_dwordx2 s[2:3], s[4:5], 0x40
	s_sub_i32 s7, 0, s22
	s_abs_i32 s23, s6
	v_rcp_iflag_f32_e32 v1, v1
	v_mul_f32_e32 v1, 0x4f7ffffe, v1
	v_cvt_u32_f32_e32 v1, v1
	v_readfirstlane_b32 s11, v1
	s_mul_i32 s7, s7, s11
	s_mul_hi_u32 s7, s11, s7
	s_add_i32 s11, s11, s7
	s_waitcnt lgkmcnt(0)
	s_cmp_eq_u64 s[2:3], 0
	s_mul_hi_u32 s24, s23, s11
	s_cbranch_scc1 .LBB72_2
; %bb.1:
	s_ashr_i32 s7, s6, 31
	s_lshl_b64 s[14:15], s[6:7], 2
	s_add_u32 s2, s2, s14
	s_addc_u32 s3, s3, s15
	s_load_dword s42, s[2:3], 0x0
.LBB72_2:
	s_load_dword s11, s[0:1], 0x0
	s_ashr_i32 s7, s12, 31
	s_load_dwordx4 s[12:15], s[4:5], 0x48
	s_ashr_i32 s2, s6, 31
	v_and_b32_e32 v1, 3, v0
	s_lshl_b32 s20, s6, 5
	v_cmp_gt_u32_e32 vcc, 16, v0
	v_lshlrev_b32_e32 v2, 2, v0
	s_and_saveexec_b64 s[0:1], vcc
	s_cbranch_execz .LBB72_4
; %bb.3:
	s_load_dwordx2 s[16:17], s[4:5], 0x8
	s_waitcnt lgkmcnt(0)
	s_mul_i32 s18, s12, s10
	s_ashr_i32 s19, s18, 31
	s_lshl_b64 s[18:19], s[18:19], 1
	v_and_b32_e32 v4, 0x3fc, v0
	s_add_u32 s3, s16, s18
	s_addc_u32 s12, s17, s19
	s_ashr_i32 s21, s20, 31
	s_lshl_b64 s[16:17], s[20:21], 1
	s_add_u32 s16, s3, s16
	s_addc_u32 s17, s12, s17
	global_load_dword v3, v2, s[16:17]
	v_lshl_add_u32 v4, v1, 4, v4
	s_waitcnt vmcnt(0)
	ds_write_b32 v4, v3
.LBB72_4:
	s_or_b64 exec, exec, s[0:1]
	s_mul_i32 s1, s24, s22
	s_sub_i32 s1, s23, s1
	s_xor_b32 s0, s2, s7
	s_add_i32 s2, s24, 1
	s_sub_i32 s7, s1, s22
	s_load_dwordx4 s[16:19], s[4:5], 0x68
	s_load_dword s3, s[4:5], 0x78
	s_cmp_ge_u32 s1, s22
	s_cselect_b32 s2, s2, s24
	s_cselect_b32 s1, s7, s1
	s_add_i32 s7, s2, 1
	s_cmp_ge_u32 s1, s22
	s_cselect_b32 s1, s7, s2
	s_waitcnt lgkmcnt(0)
	s_abs_i32 s21, s19
	v_cvt_f32_u32_e32 v3, s21
	s_xor_b32 s1, s1, s0
	s_sub_i32 s2, s1, s0
	s_sub_i32 s0, 0, s21
	v_rcp_iflag_f32_e32 v3, v3
	s_add_i32 s12, s11, -1
	s_abs_i32 s7, s12
	v_mul_f32_e32 v3, 0x4f7ffffe, v3
	v_cvt_u32_f32_e32 v3, v3
	s_barrier
	v_readfirstlane_b32 s33, v3
	s_mul_i32 s0, s0, s33
	s_mul_hi_u32 s0, s33, s0
	s_add_i32 s33, s33, s0
	s_cmp_lt_i32 s3, 0
	s_mul_hi_u32 s15, s7, s33
	s_cbranch_scc0 .LBB72_6
; %bb.5:
	s_mul_i32 s0, s16, s30
	s_add_i32 s0, s2, s0
	s_mul_i32 s0, s0, s3
	s_sub_i32 s40, 1, s0
	s_mov_b64 s[0:1], 0
	s_branch .LBB72_7
.LBB72_6:
	s_mov_b64 s[0:1], -1
                                        ; implicit-def: $sgpr40
.LBB72_7:
	s_load_dwordx2 s[24:25], s[4:5], 0x28
	s_ashr_i32 s26, s12, 31
	s_andn2_b64 vcc, exec, s[0:1]
	s_ashr_i32 s19, s19, 31
	s_cbranch_vccnz .LBB72_9
; %bb.8:
	s_mul_i32 s0, s9, s16
	s_add_i32 s0, s0, s6
	s_mul_i32 s0, s0, s3
	s_add_i32 s40, s0, 1
.LBB72_9:
	s_load_dword s0, s[4:5], 0x38
	s_load_dwordx2 s[22:23], s[4:5], 0x0
	s_load_dwordx2 s[28:29], s[4:5], 0x18
	s_load_dword s12, s[4:5], 0x88
	s_xor_b32 s1, s26, s19
	s_waitcnt lgkmcnt(0)
	s_mul_i32 s26, s0, s10
	s_mul_i32 s0, s15, s21
	s_sub_i32 s0, s7, s0
	s_ashr_i32 s27, s26, 31
	s_add_i32 s3, s15, 1
	s_sub_i32 s6, s0, s21
	s_cmp_ge_u32 s0, s21
	s_cselect_b32 s3, s3, s15
	s_cselect_b32 s0, s6, s0
	s_add_i32 s6, s3, 1
	s_cmp_ge_u32 s0, s21
	s_cselect_b32 s0, s6, s3
	s_xor_b32 s0, s0, s1
	s_sub_i32 s41, s0, s1
	s_add_i32 s0, s11, 15
	s_ashr_i32 s1, s0, 31
	s_lshr_b32 s1, s1, 28
	s_add_i32 s0, s0, s1
	s_ashr_i32 s16, s0, 4
	v_lshrrev_b32_e32 v7, 6, v0
	v_cmp_gt_i32_e64 s[0:1], s16, v7
	v_mov_b32_e32 v10, 0xff7fffff
	s_mul_i32 s14, s2, s14
	v_lshrrev_b32_e32 v3, 4, v0
	v_lshlrev_b32_e32 v8, 4, v7
	v_mbcnt_lo_u32_b32 v4, -1, 0
	s_and_saveexec_b64 s[34:35], s[0:1]
	s_cbranch_execz .LBB72_21
; %bb.10:
	s_load_dwordx2 s[2:3], s[4:5], 0x10
	s_ashr_i32 s15, s14, 31
	s_sub_i32 s30, s41, s17
	s_lshl_b64 s[4:5], s[14:15], 1
	v_and_b32_e32 v2, 12, v2
	s_waitcnt lgkmcnt(0)
	s_add_u32 s2, s2, s4
	s_addc_u32 s3, s3, s5
	s_abs_i32 s15, s18
	v_cvt_f32_u32_e32 v5, s15
	v_mov_b32_e32 v9, s3
	s_sub_i32 s3, 0, s15
	s_lshl_b64 s[4:5], s[26:27], 2
	v_rcp_iflag_f32_e32 v6, v5
	v_bfe_u32 v5, v0, 2, 4
	s_add_u32 s4, s24, s4
	v_cmp_eq_u32_e32 vcc, 0, v1
	v_mul_f32_e32 v6, 0x4f7ffffe, v6
	v_cvt_u32_f32_e32 v10, v6
	v_lshlrev_b32_e32 v6, 4, v5
	s_addc_u32 s5, s25, s5
	v_mbcnt_hi_u32_b32 v16, -1, v4
	v_mul_lo_u32 v11, s3, v10
	v_add_co_u32_e64 v6, s[2:3], s2, v6
	v_addc_co_u32_e64 v9, s[2:3], 0, v9, s[2:3]
	v_mul_hi_u32 v12, v10, v11
	v_add_co_u32_e64 v6, s[2:3], v6, v2
	v_lshlrev_b32_e32 v11, 4, v1
	v_add_u32_e32 v12, v10, v12
	v_subrev_u32_e32 v10, s11, v5
	v_add_u32_e32 v14, 1, v10
	v_lshlrev_b32_e32 v10, 2, v5
	v_and_b32_e32 v1, 60, v3
	v_lshl_or_b32 v10, v7, 6, v10
	v_addc_co_u32_e64 v9, s[2:3], 0, v9, s[2:3]
	v_mov_b32_e32 v2, s5
	v_add_co_u32_e64 v1, s[4:5], s4, v1
	v_add_u32_e32 v15, 0x50, v10
	v_and_b32_e32 v10, 64, v16
	s_mov_b32 s43, s13
	v_cmp_neq_f32_e64 s[2:3], s42, 0
	v_addc_co_u32_e64 v2, s[4:5], 0, v2, s[4:5]
	v_lshlrev_b32_e32 v13, 4, v7
	s_mov_b64 s[36:37], 0
	v_add_u32_e32 v17, 64, v10
	v_xor_b32_e32 v18, 2, v16
	v_xor_b32_e32 v19, 1, v16
	v_mov_b32_e32 v10, 0xff7fffff
	v_mov_b32_e32 v20, v7
	s_branch .LBB72_13
.LBB72_11:                              ;   in Loop: Header=BB72_13 Depth=1
	s_or_b64 exec, exec, s[38:39]
.LBB72_12:                              ;   in Loop: Header=BB72_13 Depth=1
	s_or_b64 exec, exec, s[6:7]
	v_add_co_u32_e64 v1, s[4:5], 8, v1
	v_add_u32_e32 v20, 2, v20
	v_addc_co_u32_e64 v2, s[4:5], 0, v2, s[4:5]
	v_cmp_le_i32_e64 s[4:5], s16, v20
	v_add_u32_e32 v13, 32, v13
	s_or_b64 s[36:37], s[4:5], s[36:37]
	v_add_u32_e32 v15, 0x80, v15
	s_andn2_b64 exec, exec, s[36:37]
	s_cbranch_execz .LBB72_20
.LBB72_13:                              ; =>This Inner Loop Header: Depth=1
	v_mul_hi_u32 v21, v13, s33
	s_waitcnt lgkmcnt(0)
	v_mul_lo_u32 v22, v21, s21
	v_add_u32_e32 v23, 1, v21
	v_sub_u32_e32 v22, v13, v22
	v_cmp_le_u32_e64 s[4:5], s21, v22
	v_cndmask_b32_e64 v21, v21, v23, s[4:5]
	v_subrev_u32_e32 v23, s21, v22
	v_cndmask_b32_e64 v22, v22, v23, s[4:5]
	v_add_u32_e32 v23, 1, v21
	v_cmp_le_u32_e64 s[4:5], s21, v22
	v_cndmask_b32_e64 v21, v21, v23, s[4:5]
	v_xor_b32_e32 v21, s19, v21
	v_subrev_u32_e32 v21, s19, v21
	v_add_u32_e32 v22, s40, v21
	v_sub_u32_e32 v23, 0, v22
	v_max_i32_e32 v23, v22, v23
	v_mul_hi_u32 v24, v23, v12
	v_ashrrev_i32_e32 v22, 31, v22
	v_cmp_ge_i32_e64 s[6:7], s30, v21
	v_mul_lo_u32 v24, v24, s15
	v_sub_u32_e32 v23, v23, v24
	v_subrev_u32_e32 v24, s15, v23
	v_cmp_le_u32_e64 s[4:5], s15, v23
	v_cndmask_b32_e64 v23, v23, v24, s[4:5]
	v_subrev_u32_e32 v24, s15, v23
	v_cmp_le_u32_e64 s[4:5], s15, v23
	v_cndmask_b32_e64 v23, v23, v24, s[4:5]
	v_xor_b32_e32 v23, v23, v22
	v_sub_u32_e32 v22, v23, v22
	v_cmp_ne_u32_e64 s[4:5], 0, v22
	s_and_b64 s[4:5], s[4:5], s[6:7]
	s_and_saveexec_b64 s[6:7], s[4:5]
	s_xor_b64 s[4:5], exec, s[6:7]
	s_cbranch_execz .LBB72_17
; %bb.14:                               ;   in Loop: Header=BB72_13 Depth=1
	s_and_saveexec_b64 s[6:7], vcc
; %bb.15:                               ;   in Loop: Header=BB72_13 Depth=1
	v_mov_b32_e32 v21, 0xff7fffff
	ds_write_b32 v15, v21
; %bb.16:                               ;   in Loop: Header=BB72_13 Depth=1
	s_or_b64 exec, exec, s[6:7]
.LBB72_17:                              ;   in Loop: Header=BB72_13 Depth=1
	s_andn2_saveexec_b64 s[6:7], s[4:5]
	s_cbranch_execz .LBB72_12
; %bb.18:                               ;   in Loop: Header=BB72_13 Depth=1
	global_load_dword v21, v[1:2], off
	s_waitcnt vmcnt(0)
	v_mad_i64_i32 v[21:22], s[4:5], v21, s43, 0
	v_lshlrev_b64 v[21:22], 1, v[21:22]
	v_add_co_u32_e64 v21, s[4:5], v6, v21
	v_addc_co_u32_e64 v22, s[4:5], v9, v22, s[4:5]
	global_load_dword v23, v[21:22], off
	global_load_dword v24, v[21:22], off offset:256
	global_load_dword v25, v[21:22], off offset:512
	;; [unrolled: 1-line block ×3, first 2 shown]
	ds_read_b32 v21, v11
	v_cmp_lt_i32_e64 s[4:5], v18, v17
	v_cndmask_b32_e64 v22, v16, v18, s[4:5]
	v_lshlrev_b32_e32 v22, 2, v22
	v_cmp_lt_i32_e64 s[4:5], v19, v17
	s_waitcnt lgkmcnt(0)
	v_lshrrev_b32_e32 v27, 16, v21
	v_and_b32_e32 v21, 0xffff, v21
	;;#ASMSTART
	v_cvt_f32_f16 v21, v21;
	;;#ASMEND
	;;#ASMSTART
	v_cvt_f32_f16 v27, v27;
	;;#ASMEND
	s_waitcnt vmcnt(3)
	v_lshrrev_b32_e32 v28, 16, v23
	v_and_b32_e32 v23, 0xffff, v23
	;;#ASMSTART
	v_cvt_f32_f16 v23, v23;
	;;#ASMEND
	;;#ASMSTART
	v_cvt_f32_f16 v28, v28;
	;;#ASMEND
	ds_read_b32 v29, v11 offset:4
	s_waitcnt vmcnt(2)
	v_lshrrev_b32_e32 v30, 16, v24
	v_and_b32_e32 v31, 0xffff, v24
	s_waitcnt vmcnt(1)
	v_lshrrev_b32_e32 v32, 16, v25
	v_and_b32_e32 v33, 0xffff, v25
	s_waitcnt lgkmcnt(0)
	v_lshrrev_b32_e32 v25, 16, v29
	v_and_b32_e32 v24, 0xffff, v29
	;;#ASMSTART
	v_cvt_f32_f16 v24, v24;
	;;#ASMEND
	;;#ASMSTART
	v_cvt_f32_f16 v25, v25;
	;;#ASMEND
	;; [unrolled: 3-line block ×4, first 2 shown]
	ds_read_b32 v31, v11 offset:8
	s_waitcnt vmcnt(0)
	v_lshrrev_b32_e32 v34, 16, v26
	v_and_b32_e32 v35, 0xffff, v26
	v_mul_f32_e32 v24, v24, v29
	v_mul_f32_e32 v25, v25, v30
	s_waitcnt lgkmcnt(0)
	v_lshrrev_b32_e32 v29, 16, v31
	v_and_b32_e32 v26, 0xffff, v31
	;;#ASMSTART
	v_cvt_f32_f16 v26, v26;
	;;#ASMEND
	;;#ASMSTART
	v_cvt_f32_f16 v29, v29;
	;;#ASMEND
	;; [unrolled: 3-line block ×4, first 2 shown]
	ds_read_b32 v32, v11 offset:12
	v_fmac_f32_e32 v24, v21, v23
	v_fmac_f32_e32 v25, v27, v28
	;; [unrolled: 1-line block ×4, first 2 shown]
	s_waitcnt lgkmcnt(0)
	v_lshrrev_b32_e32 v23, 16, v32
	v_and_b32_e32 v21, 0xffff, v32
	;;#ASMSTART
	v_cvt_f32_f16 v21, v21;
	;;#ASMEND
	;;#ASMSTART
	v_cvt_f32_f16 v23, v23;
	;;#ASMEND
	;; [unrolled: 3-line block ×4, first 2 shown]
	v_fmac_f32_e32 v24, v21, v26
	v_fmac_f32_e32 v25, v23, v27
	v_add_f32_e32 v21, v24, v25
	ds_bpermute_b32 v22, v22, v21
	v_cndmask_b32_e64 v23, v16, v19, s[4:5]
	s_waitcnt lgkmcnt(0)
	v_add_f32_e32 v21, v21, v22
	v_lshlrev_b32_e32 v22, 2, v23
	ds_bpermute_b32 v22, v22, v21
	s_and_saveexec_b64 s[38:39], vcc
	s_cbranch_execz .LBB72_11
; %bb.19:                               ;   in Loop: Header=BB72_13 Depth=1
	v_add_u32_e32 v23, v14, v13
	v_cvt_f32_i32_e32 v23, v23
	s_waitcnt lgkmcnt(0)
	v_add_f32_e32 v21, v21, v22
	v_add_u32_e32 v24, v5, v13
	v_cmp_gt_i32_e64 s[4:5], s11, v24
	v_mul_f32_e32 v22, s42, v23
	v_cndmask_b32_e64 v22, 0, v22, s[2:3]
	v_fmac_f32_e32 v22, s31, v21
	v_cndmask_b32_e64 v21, 0, v22, s[4:5]
	ds_write_b32 v15, v21
	v_max_f32_e32 v21, v10, v10
	v_max_f32_e32 v21, v21, v22
	v_cndmask_b32_e64 v10, v10, v21, s[4:5]
	s_branch .LBB72_11
.LBB72_20:
	s_or_b64 exec, exec, s[36:37]
.LBB72_21:
	s_or_b64 exec, exec, s[34:35]
	v_mbcnt_hi_u32_b32 v1, -1, v4
	v_and_b32_e32 v14, 64, v1
	v_add_u32_e32 v2, 64, v14
	v_xor_b32_e32 v4, 32, v1
	v_cmp_lt_i32_e32 vcc, v4, v2
	v_cndmask_b32_e32 v4, v1, v4, vcc
	v_lshlrev_b32_e32 v4, 2, v4
	ds_bpermute_b32 v5, v4, v10
	v_xor_b32_e32 v9, 16, v1
	v_max_f32_e32 v6, v10, v10
	v_cmp_lt_i32_e32 vcc, v9, v2
	v_xor_b32_e32 v10, 8, v1
	s_waitcnt lgkmcnt(0)
	v_max_f32_e32 v5, v5, v5
	v_max_f32_e32 v6, v6, v5
	v_cndmask_b32_e32 v5, v1, v9, vcc
	v_lshlrev_b32_e32 v5, 2, v5
	ds_bpermute_b32 v9, v5, v6
	v_cmp_lt_i32_e32 vcc, v10, v2
	v_xor_b32_e32 v11, 4, v1
	s_waitcnt lgkmcnt(0)
	v_max_f32_e32 v9, v9, v9
	v_max_f32_e32 v6, v6, v9
	v_cndmask_b32_e32 v9, v1, v10, vcc
	v_lshlrev_b32_e32 v12, 2, v9
	ds_bpermute_b32 v9, v12, v6
	v_cmp_lt_i32_e32 vcc, v11, v2
	s_waitcnt lgkmcnt(0)
	v_max_f32_e32 v9, v9, v9
	v_max_f32_e32 v10, v6, v9
	v_cndmask_b32_e32 v6, v1, v11, vcc
	v_lshlrev_b32_e32 v13, 2, v6
	ds_bpermute_b32 v11, v13, v10
	v_and_b32_e32 v9, 63, v0
	v_cmp_eq_u32_e32 vcc, 0, v9
	v_lshlrev_b32_e32 v6, 2, v7
	s_and_saveexec_b64 s[2:3], vcc
	s_cbranch_execz .LBB72_23
; %bb.22:
	s_waitcnt lgkmcnt(0)
	v_max_f32_e32 v11, v11, v11
	v_max_f32_e32 v10, v10, v10
	;; [unrolled: 1-line block ×3, first 2 shown]
	ds_write_b32 v6, v10 offset:64
.LBB72_23:
	s_or_b64 exec, exec, s[2:3]
	v_cmp_gt_u32_e64 s[2:3], 2, v9
	v_mov_b32_e32 v15, 0xff7fffff
	s_waitcnt lgkmcnt(0)
	v_lshlrev_b32_e32 v11, 2, v9
	s_barrier
	s_and_saveexec_b64 s[4:5], s[2:3]
; %bb.24:
	ds_read_b32 v15, v11 offset:64
; %bb.25:
	s_or_b64 exec, exec, s[4:5]
	v_xor_b32_e32 v10, 1, v1
	v_cmp_lt_i32_e64 s[4:5], v10, v2
	v_cndmask_b32_e64 v10, v1, v10, s[4:5]
	v_lshlrev_b32_e32 v10, 2, v10
	s_waitcnt lgkmcnt(0)
	ds_bpermute_b32 v16, v10, v15
	v_max_f32_e32 v15, v15, v15
	v_lshlrev_b32_e32 v14, 2, v14
	s_lshl_b32 s4, s16, 4
	s_min_i32 s15, s4, s11
	s_waitcnt lgkmcnt(0)
	v_max_f32_e32 v16, v16, v16
	v_max_f32_e32 v15, v15, v16
	ds_bpermute_b32 v15, v14, v15
	v_cmp_gt_i32_e64 s[4:5], s15, v0
	v_mov_b32_e32 v14, 0
	s_and_saveexec_b64 s[30:31], s[4:5]
	s_cbranch_execz .LBB72_29
; %bb.26:
	v_mov_b32_e32 v14, 0x50
	v_lshl_add_u32 v16, v0, 2, v14
	v_mov_b32_e32 v14, 0
	s_mov_b64 s[34:35], 0
	v_mov_b32_e32 v17, v0
.LBB72_27:                              ; =>This Inner Loop Header: Depth=1
	ds_read_b32 v18, v16
	v_add_u32_e32 v17, 0x80, v17
	v_cmp_le_i32_e64 s[6:7], s15, v17
	s_or_b64 s[34:35], s[6:7], s[34:35]
	s_waitcnt lgkmcnt(0)
	v_sub_f32_e32 v18, v18, v15
	v_mul_f32_e32 v18, 0x3fb8aa3b, v18
	v_exp_f32_e32 v18, v18
	ds_write_b32 v16, v18
	v_add_f32_e32 v14, v14, v18
	v_add_u32_e32 v16, 0x200, v16
	s_andn2_b64 exec, exec, s[34:35]
	s_cbranch_execnz .LBB72_27
; %bb.28:
	s_or_b64 exec, exec, s[34:35]
.LBB72_29:
	s_or_b64 exec, exec, s[30:31]
	ds_bpermute_b32 v4, v4, v14
	s_waitcnt lgkmcnt(0)
	v_add_f32_e32 v4, v14, v4
	ds_bpermute_b32 v5, v5, v4
	s_waitcnt lgkmcnt(0)
	v_add_f32_e32 v4, v4, v5
	ds_bpermute_b32 v5, v12, v4
	v_xor_b32_e32 v12, 2, v1
	v_cmp_lt_i32_e64 s[6:7], v12, v2
	v_cndmask_b32_e64 v2, v1, v12, s[6:7]
	v_lshlrev_b32_e32 v2, 2, v2
	s_waitcnt lgkmcnt(0)
	v_add_f32_e32 v4, v4, v5
	ds_bpermute_b32 v5, v13, v4
	s_waitcnt lgkmcnt(0)
	v_add_f32_e32 v4, v4, v5
	ds_bpermute_b32 v2, v2, v4
	;; [unrolled: 3-line block ×3, first 2 shown]
	s_waitcnt lgkmcnt(0)
	v_add_f32_e32 v2, v2, v4
	s_and_saveexec_b64 s[6:7], vcc
; %bb.30:
	ds_write_b32 v6, v2 offset:72
; %bb.31:
	s_or_b64 exec, exec, s[6:7]
	s_waitcnt lgkmcnt(0)
	s_barrier
	s_and_saveexec_b64 s[6:7], s[2:3]
; %bb.32:
	ds_read_b32 v2, v11 offset:72
; %bb.33:
	s_or_b64 exec, exec, s[6:7]
	s_waitcnt lgkmcnt(0)
	ds_bpermute_b32 v4, v10, v2
	v_lshlrev_b32_e32 v1, 2, v1
	v_and_b32_e32 v1, 0x100, v1
	s_waitcnt lgkmcnt(0)
	v_add_f32_e32 v2, v2, v4
	ds_bpermute_b32 v1, v1, v2
	s_and_saveexec_b64 s[2:3], s[4:5]
	s_cbranch_execz .LBB72_36
; %bb.34:
	s_waitcnt lgkmcnt(0)
	v_add_f32_e32 v2, 0x358637bd, v1
	v_div_scale_f32 v1, s[4:5], v2, v2, 1.0
	v_div_scale_f32 v4, vcc, 1.0, v2, 1.0
	s_mov_b64 s[4:5], 0
	v_rcp_f32_e32 v5, v1
	v_fma_f32 v6, -v1, v5, 1.0
	v_fmac_f32_e32 v5, v6, v5
	v_mul_f32_e32 v6, v4, v5
	v_fma_f32 v11, -v1, v6, v4
	v_fmac_f32_e32 v6, v11, v5
	v_fma_f32 v1, -v1, v6, v4
	v_div_fmas_f32 v4, v1, v5, v6
	v_mov_b32_e32 v1, 0x50
	v_lshl_add_u32 v1, v0, 2, v1
	v_div_fixup_f32 v2, v4, v2, 1.0
	v_mov_b32_e32 v4, v0
.LBB72_35:                              ; =>This Inner Loop Header: Depth=1
	ds_read_b32 v5, v1
	v_add_u32_e32 v4, 0x80, v4
	v_cmp_le_i32_e32 vcc, s15, v4
	s_or_b64 s[4:5], vcc, s[4:5]
	s_waitcnt lgkmcnt(0)
	v_mul_f32_e32 v5, v2, v5
	ds_write_b32 v1, v5
	v_add_u32_e32 v1, 0x200, v1
	s_andn2_b64 exec, exec, s[4:5]
	s_cbranch_execnz .LBB72_35
.LBB72_36:
	s_or_b64 exec, exec, s[2:3]
	v_mov_b32_e32 v16, 0
	s_waitcnt lgkmcnt(0)
	s_barrier
	s_and_saveexec_b64 s[2:3], s[0:1]
	s_cbranch_execz .LBB72_44
; %bb.37:
	s_ashr_i32 s15, s14, 31
	s_sub_i32 s17, s41, s17
	s_lshl_b64 s[0:1], s[14:15], 1
	s_add_u32 s0, s28, s0
	s_addc_u32 s1, s29, s1
	s_abs_i32 s14, s18
	v_cvt_f32_u32_e32 v1, s14
	v_lshlrev_b32_e32 v2, 3, v0
	s_sub_i32 s4, 0, s14
	v_and_b32_e32 v12, 8, v2
	v_rcp_iflag_f32_e32 v1, v1
	v_lshlrev_b32_e32 v4, 4, v0
	v_and_b32_e32 v4, 0x3f0, v4
	s_add_i32 s15, s16, -1
	v_mul_f32_e32 v1, 0x4f7ffffe, v1
	v_cvt_u32_f32_e32 v1, v1
	v_mov_b32_e32 v5, s1
	v_add_co_u32_e32 v13, vcc, s0, v4
	v_mul_lo_u32 v2, s4, v1
	s_lshl_b64 s[0:1], s[26:27], 2
	v_addc_co_u32_e32 v14, vcc, 0, v5, vcc
	v_mul_hi_u32 v2, v1, v2
	s_add_u32 s0, s24, s0
	s_addc_u32 s1, s25, s1
	v_mov_b32_e32 v11, 0
	v_add_u32_e32 v15, v1, v2
	v_and_b32_e32 v1, 60, v3
	v_add_co_u32_e32 v5, vcc, s0, v1
	v_and_b32_e32 v1, 1, v0
	v_lshlrev_b32_e32 v1, 5, v1
	v_mov_b32_e32 v2, s1
	v_lshl_or_b32 v1, v7, 6, v1
	v_addc_co_u32_e32 v6, vcc, 0, v2, vcc
	v_add_u32_e32 v17, 0x50, v1
	s_mov_b64 s[4:5], 0
	s_mov_b32 s18, 0xffff
	v_mov_b32_e32 v16, 0
	s_branch .LBB72_40
.LBB72_38:                              ;   in Loop: Header=BB72_40 Depth=1
	s_or_b64 exec, exec, s[6:7]
	v_and_b32_e32 v18, 0xffff, v18
	v_lshl_or_b32 v18, v19, 16, v18
	v_and_b32_e32 v19, 0xffff, v20
	v_and_b32_e32 v20, 0xffff, v22
	v_lshlrev_b32_e32 v22, 16, v28
	v_and_or_b32 v1, v1, s18, v22
	v_lshlrev_b32_e32 v22, 16, v27
	v_and_or_b32 v2, v2, s18, v22
	v_lshlrev_b32_e32 v22, 16, v26
	v_lshl_or_b32 v19, v21, 16, v19
	v_and_b32_e32 v21, 0xffff, v24
	v_and_or_b32 v3, v3, s18, v22
	;;#ASMSTART
	v_pk_mul_f16 v1, v18, v1;

	;;#ASMEND
	v_lshl_or_b32 v20, v23, 16, v20
	v_lshl_or_b32 v21, v25, 16, v21
	;;#ASMSTART
	v_pk_mul_f16 v2, v19, v2;

	;;#ASMEND
	;;#ASMSTART
	v_pk_mul_f16 v3, v20, v3;

	;;#ASMEND
	;; [unrolled: 4-line block ×3, first 2 shown]
	;;#ASMSTART
	v_pk_add_f16 v1, v1, v2;

	;;#ASMEND
	;;#ASMSTART
	v_pk_add_f16 v1, v1, v3;

	;;#ASMEND
	;; [unrolled: 4-line block ×3, first 2 shown]
	v_lshrrev_b32_e32 v2, 16, v1
	v_and_b32_e32 v1, 0xffff, v1
	;;#ASMSTART
	v_cvt_f32_f16 v1, v1;
	;;#ASMEND
	;;#ASMSTART
	v_cvt_f32_f16 v2, v2;
	;;#ASMEND
	v_add_f32_e32 v1, v1, v2
	v_add_f32_e32 v16, v16, v1
.LBB72_39:                              ;   in Loop: Header=BB72_40 Depth=1
	s_or_b64 exec, exec, s[0:1]
	v_add_co_u32_e32 v5, vcc, 8, v5
	v_add_u32_e32 v7, 2, v7
	v_addc_co_u32_e32 v6, vcc, 0, v6, vcc
	v_cmp_le_i32_e32 vcc, s16, v7
	v_add_u32_e32 v8, 32, v8
	s_or_b64 s[4:5], vcc, s[4:5]
	v_add_u32_e32 v17, 0x80, v17
	s_andn2_b64 exec, exec, s[4:5]
	s_cbranch_execz .LBB72_43
.LBB72_40:                              ; =>This Inner Loop Header: Depth=1
	v_mul_hi_u32 v1, v8, s33
	v_mul_lo_u32 v2, v1, s21
	v_add_u32_e32 v3, 1, v1
	v_sub_u32_e32 v2, v8, v2
	v_cmp_le_u32_e32 vcc, s21, v2
	v_cndmask_b32_e32 v1, v1, v3, vcc
	v_subrev_u32_e32 v3, s21, v2
	v_cndmask_b32_e32 v2, v2, v3, vcc
	v_add_u32_e32 v3, 1, v1
	v_cmp_le_u32_e32 vcc, s21, v2
	v_cndmask_b32_e32 v1, v1, v3, vcc
	v_xor_b32_e32 v1, s19, v1
	v_subrev_u32_e32 v1, s19, v1
	v_add_u32_e32 v2, s40, v1
	v_sub_u32_e32 v3, 0, v2
	v_max_i32_e32 v3, v2, v3
	v_mul_hi_u32 v4, v3, v15
	v_ashrrev_i32_e32 v2, 31, v2
	v_cmp_lt_i32_e64 s[0:1], s17, v1
	v_mul_lo_u32 v4, v4, s14
	v_sub_u32_e32 v3, v3, v4
	v_subrev_u32_e32 v4, s14, v3
	v_cmp_le_u32_e32 vcc, s14, v3
	v_cndmask_b32_e32 v3, v3, v4, vcc
	v_subrev_u32_e32 v4, s14, v3
	v_cmp_le_u32_e32 vcc, s14, v3
	v_cndmask_b32_e32 v3, v3, v4, vcc
	v_xor_b32_e32 v3, v3, v2
	v_sub_u32_e32 v2, v3, v2
	v_cmp_eq_u32_e32 vcc, 0, v2
	s_or_b64 s[6:7], vcc, s[0:1]
	s_and_saveexec_b64 s[0:1], s[6:7]
	s_cbranch_execz .LBB72_39
; %bb.41:                               ;   in Loop: Header=BB72_40 Depth=1
	global_load_dword v26, v[5:6], off
	ds_read2_b64 v[1:4], v17 offset1:1
	ds_read2_b64 v[22:25], v17 offset0:2 offset1:3
	s_waitcnt lgkmcnt(1)
	;;#ASMSTART
	v_cvt_f16_f32 v18, v1;

	;;#ASMEND
	;;#ASMSTART
	v_cvt_f16_f32 v19, v2;

	;;#ASMEND
	;; [unrolled: 4-line block ×4, first 2 shown]
	s_waitcnt lgkmcnt(0)
	;;#ASMSTART
	v_cvt_f16_f32 v22, v22;

	;;#ASMEND
	;;#ASMSTART
	v_cvt_f16_f32 v23, v23;

	;;#ASMEND
	;; [unrolled: 4-line block ×4, first 2 shown]
	s_waitcnt vmcnt(0)
	v_mad_i64_i32 v[1:2], s[6:7], v26, s13, 0
	v_lshlrev_b64 v[1:2], 1, v[1:2]
	v_add_co_u32_e32 v1, vcc, v13, v1
	v_addc_co_u32_e32 v2, vcc, v14, v2, vcc
	global_load_dwordx4 v[1:4], v[1:2], off
	v_cmp_eq_u32_e32 vcc, s15, v7
	s_waitcnt vmcnt(0)
	v_lshrrev_b32_e32 v28, 16, v1
	v_lshrrev_b32_e32 v27, 16, v2
	;; [unrolled: 1-line block ×3, first 2 shown]
	s_and_saveexec_b64 s[6:7], vcc
	s_cbranch_execz .LBB72_38
; %bb.42:                               ;   in Loop: Header=BB72_40 Depth=1
	v_add_u32_e32 v29, v12, v8
	v_cmp_gt_i32_e32 vcc, s11, v29
	v_add_u32_e32 v30, 1, v29
	v_cndmask_b32_e32 v1, 0, v1, vcc
	v_cmp_gt_i32_e32 vcc, s11, v30
	v_add_u32_e32 v30, 2, v29
	v_cndmask_b32_e32 v28, 0, v28, vcc
	;; [unrolled: 3-line block ×6, first 2 shown]
	v_cmp_gt_i32_e32 vcc, s11, v30
	v_add_u32_e32 v29, 7, v29
	v_cndmask_b32_sdwa v30, v11, v4, vcc dst_sel:DWORD dst_unused:UNUSED_PAD src0_sel:DWORD src1_sel:WORD_0
	v_and_b32_e32 v4, 0xffff0000, v4
	v_cmp_gt_i32_e32 vcc, s11, v29
	v_cndmask_b32_e32 v4, 0, v4, vcc
	v_or_b32_e32 v4, v30, v4
	s_branch .LBB72_38
.LBB72_43:
	s_or_b64 exec, exec, s[4:5]
.LBB72_44:
	s_or_b64 exec, exec, s[2:3]
	ds_bpermute_b32 v1, v10, v16
	v_and_b32_e32 v2, 0x3c1, v0
	v_cmp_eq_u32_e32 vcc, 64, v2
	s_waitcnt lgkmcnt(0)
	s_barrier
	v_add_f32_e32 v1, v16, v1
	s_and_saveexec_b64 s[0:1], vcc
; %bb.45:
	v_mov_b32_e32 v3, 0x50
	v_lshl_add_u32 v3, v9, 1, v3
	ds_write_b32 v3, v1
; %bb.46:
	s_or_b64 exec, exec, s[0:1]
	v_lshrrev_b32_e32 v0, 1, v0
	v_cmp_eq_u32_e32 vcc, 0, v2
	s_waitcnt lgkmcnt(0)
	s_barrier
	s_and_saveexec_b64 s[0:1], vcc
	s_cbranch_execz .LBB72_48
; %bb.47:
	v_mov_b32_e32 v2, 0x50
	v_lshl_add_u32 v2, v0, 2, v2
	ds_read_b32 v2, v2
	s_waitcnt lgkmcnt(0)
	v_add_f32_e32 v1, v1, v2
.LBB72_48:
	s_or_b64 exec, exec, s[0:1]
	s_barrier
	s_and_saveexec_b64 s[0:1], vcc
	s_cbranch_execz .LBB72_50
; %bb.49:
	s_mul_i32 s0, s10, s12
	s_mul_i32 s0, s0, s9
	s_lshl_b32 s0, s0, 5
	s_ashr_i32 s1, s0, 31
	s_lshl_b64 s[0:1], s[0:1], 1
	s_add_u32 s2, s22, s0
	s_mul_i32 s0, s12, s20
	s_addc_u32 s3, s23, s1
	s_ashr_i32 s1, s0, 31
	s_lshl_b64 s[0:1], s[0:1], 1
	s_add_u32 s2, s2, s0
	s_addc_u32 s3, s3, s1
	s_lshl_b32 s0, s8, 5
	s_ashr_i32 s1, s0, 31
	s_lshl_b64 s[0:1], s[0:1], 1
	s_add_u32 s0, s2, s0
	s_addc_u32 s1, s3, s1
	v_lshlrev_b32_e32 v0, 1, v0
	;;#ASMSTART
	v_cvt_f16_f32 v1, v1;

	;;#ASMEND
	global_store_short v0, v1, s[0:1]
.LBB72_50:
	s_endpgm
	.section	.rodata,"a",@progbits
	.p2align	6, 0x0
	.amdhsa_kernel _ZN4vllm25paged_attention_v1_kernelIttLi32ELi16ELi128ELNS_18Fp8KVCacheDataTypeE0ELb1EEEvPT_PKS2_PKT0_S8_ifPKiSA_iPKfiiiSC_SC_iiiii
		.amdhsa_group_segment_fixed_size 80
		.amdhsa_private_segment_fixed_size 0
		.amdhsa_kernarg_size 384
		.amdhsa_user_sgpr_count 6
		.amdhsa_user_sgpr_private_segment_buffer 1
		.amdhsa_user_sgpr_dispatch_ptr 0
		.amdhsa_user_sgpr_queue_ptr 0
		.amdhsa_user_sgpr_kernarg_segment_ptr 1
		.amdhsa_user_sgpr_dispatch_id 0
		.amdhsa_user_sgpr_flat_scratch_init 0
		.amdhsa_user_sgpr_private_segment_size 0
		.amdhsa_uses_dynamic_stack 0
		.amdhsa_system_sgpr_private_segment_wavefront_offset 0
		.amdhsa_system_sgpr_workgroup_id_x 1
		.amdhsa_system_sgpr_workgroup_id_y 1
		.amdhsa_system_sgpr_workgroup_id_z 1
		.amdhsa_system_sgpr_workgroup_info 0
		.amdhsa_system_vgpr_workitem_id 0
		.amdhsa_next_free_vgpr 36
		.amdhsa_next_free_sgpr 44
		.amdhsa_reserve_vcc 1
		.amdhsa_reserve_flat_scratch 0
		.amdhsa_float_round_mode_32 0
		.amdhsa_float_round_mode_16_64 0
		.amdhsa_float_denorm_mode_32 3
		.amdhsa_float_denorm_mode_16_64 3
		.amdhsa_dx10_clamp 1
		.amdhsa_ieee_mode 1
		.amdhsa_fp16_overflow 0
		.amdhsa_exception_fp_ieee_invalid_op 0
		.amdhsa_exception_fp_denorm_src 0
		.amdhsa_exception_fp_ieee_div_zero 0
		.amdhsa_exception_fp_ieee_overflow 0
		.amdhsa_exception_fp_ieee_underflow 0
		.amdhsa_exception_fp_ieee_inexact 0
		.amdhsa_exception_int_div_zero 0
	.end_amdhsa_kernel
	.section	.text._ZN4vllm25paged_attention_v1_kernelIttLi32ELi16ELi128ELNS_18Fp8KVCacheDataTypeE0ELb1EEEvPT_PKS2_PKT0_S8_ifPKiSA_iPKfiiiSC_SC_iiiii,"axG",@progbits,_ZN4vllm25paged_attention_v1_kernelIttLi32ELi16ELi128ELNS_18Fp8KVCacheDataTypeE0ELb1EEEvPT_PKS2_PKT0_S8_ifPKiSA_iPKfiiiSC_SC_iiiii,comdat
.Lfunc_end72:
	.size	_ZN4vllm25paged_attention_v1_kernelIttLi32ELi16ELi128ELNS_18Fp8KVCacheDataTypeE0ELb1EEEvPT_PKS2_PKT0_S8_ifPKiSA_iPKfiiiSC_SC_iiiii, .Lfunc_end72-_ZN4vllm25paged_attention_v1_kernelIttLi32ELi16ELi128ELNS_18Fp8KVCacheDataTypeE0ELb1EEEvPT_PKS2_PKT0_S8_ifPKiSA_iPKfiiiSC_SC_iiiii
                                        ; -- End function
	.set _ZN4vllm25paged_attention_v1_kernelIttLi32ELi16ELi128ELNS_18Fp8KVCacheDataTypeE0ELb1EEEvPT_PKS2_PKT0_S8_ifPKiSA_iPKfiiiSC_SC_iiiii.num_vgpr, 36
	.set _ZN4vllm25paged_attention_v1_kernelIttLi32ELi16ELi128ELNS_18Fp8KVCacheDataTypeE0ELb1EEEvPT_PKS2_PKT0_S8_ifPKiSA_iPKfiiiSC_SC_iiiii.num_agpr, 0
	.set _ZN4vllm25paged_attention_v1_kernelIttLi32ELi16ELi128ELNS_18Fp8KVCacheDataTypeE0ELb1EEEvPT_PKS2_PKT0_S8_ifPKiSA_iPKfiiiSC_SC_iiiii.numbered_sgpr, 44
	.set _ZN4vllm25paged_attention_v1_kernelIttLi32ELi16ELi128ELNS_18Fp8KVCacheDataTypeE0ELb1EEEvPT_PKS2_PKT0_S8_ifPKiSA_iPKfiiiSC_SC_iiiii.num_named_barrier, 0
	.set _ZN4vllm25paged_attention_v1_kernelIttLi32ELi16ELi128ELNS_18Fp8KVCacheDataTypeE0ELb1EEEvPT_PKS2_PKT0_S8_ifPKiSA_iPKfiiiSC_SC_iiiii.private_seg_size, 0
	.set _ZN4vllm25paged_attention_v1_kernelIttLi32ELi16ELi128ELNS_18Fp8KVCacheDataTypeE0ELb1EEEvPT_PKS2_PKT0_S8_ifPKiSA_iPKfiiiSC_SC_iiiii.uses_vcc, 1
	.set _ZN4vllm25paged_attention_v1_kernelIttLi32ELi16ELi128ELNS_18Fp8KVCacheDataTypeE0ELb1EEEvPT_PKS2_PKT0_S8_ifPKiSA_iPKfiiiSC_SC_iiiii.uses_flat_scratch, 0
	.set _ZN4vllm25paged_attention_v1_kernelIttLi32ELi16ELi128ELNS_18Fp8KVCacheDataTypeE0ELb1EEEvPT_PKS2_PKT0_S8_ifPKiSA_iPKfiiiSC_SC_iiiii.has_dyn_sized_stack, 0
	.set _ZN4vllm25paged_attention_v1_kernelIttLi32ELi16ELi128ELNS_18Fp8KVCacheDataTypeE0ELb1EEEvPT_PKS2_PKT0_S8_ifPKiSA_iPKfiiiSC_SC_iiiii.has_recursion, 0
	.set _ZN4vllm25paged_attention_v1_kernelIttLi32ELi16ELi128ELNS_18Fp8KVCacheDataTypeE0ELb1EEEvPT_PKS2_PKT0_S8_ifPKiSA_iPKfiiiSC_SC_iiiii.has_indirect_call, 0
	.section	.AMDGPU.csdata,"",@progbits
; Kernel info:
; codeLenInByte = 3808
; TotalNumSgprs: 48
; NumVgprs: 36
; ScratchSize: 0
; MemoryBound: 0
; FloatMode: 240
; IeeeMode: 1
; LDSByteSize: 80 bytes/workgroup (compile time only)
; SGPRBlocks: 5
; VGPRBlocks: 8
; NumSGPRsForWavesPerEU: 48
; NumVGPRsForWavesPerEU: 36
; Occupancy: 7
; WaveLimiterHint : 1
; COMPUTE_PGM_RSRC2:SCRATCH_EN: 0
; COMPUTE_PGM_RSRC2:USER_SGPR: 6
; COMPUTE_PGM_RSRC2:TRAP_HANDLER: 0
; COMPUTE_PGM_RSRC2:TGID_X_EN: 1
; COMPUTE_PGM_RSRC2:TGID_Y_EN: 1
; COMPUTE_PGM_RSRC2:TGID_Z_EN: 1
; COMPUTE_PGM_RSRC2:TIDIG_COMP_CNT: 0
	.section	.text._ZN4vllm25paged_attention_v1_kernelIttLi64ELi16ELi128ELNS_18Fp8KVCacheDataTypeE0ELb1EEEvPT_PKS2_PKT0_S8_ifPKiSA_iPKfiiiSC_SC_iiiii,"axG",@progbits,_ZN4vllm25paged_attention_v1_kernelIttLi64ELi16ELi128ELNS_18Fp8KVCacheDataTypeE0ELb1EEEvPT_PKS2_PKT0_S8_ifPKiSA_iPKfiiiSC_SC_iiiii,comdat
	.protected	_ZN4vllm25paged_attention_v1_kernelIttLi64ELi16ELi128ELNS_18Fp8KVCacheDataTypeE0ELb1EEEvPT_PKS2_PKT0_S8_ifPKiSA_iPKfiiiSC_SC_iiiii ; -- Begin function _ZN4vllm25paged_attention_v1_kernelIttLi64ELi16ELi128ELNS_18Fp8KVCacheDataTypeE0ELb1EEEvPT_PKS2_PKT0_S8_ifPKiSA_iPKfiiiSC_SC_iiiii
	.globl	_ZN4vllm25paged_attention_v1_kernelIttLi64ELi16ELi128ELNS_18Fp8KVCacheDataTypeE0ELb1EEEvPT_PKS2_PKT0_S8_ifPKiSA_iPKfiiiSC_SC_iiiii
	.p2align	8
	.type	_ZN4vllm25paged_attention_v1_kernelIttLi64ELi16ELi128ELNS_18Fp8KVCacheDataTypeE0ELb1EEEvPT_PKS2_PKT0_S8_ifPKiSA_iPKfiiiSC_SC_iiiii,@function
_ZN4vllm25paged_attention_v1_kernelIttLi64ELi16ELi128ELNS_18Fp8KVCacheDataTypeE0ELb1EEEvPT_PKS2_PKT0_S8_ifPKiSA_iPKfiiiSC_SC_iiiii: ; @_ZN4vllm25paged_attention_v1_kernelIttLi64ELi16ELi128ELNS_18Fp8KVCacheDataTypeE0ELb1EEEvPT_PKS2_PKT0_S8_ifPKiSA_iPKfiiiSC_SC_iiiii
; %bb.0:
	s_load_dword s9, s[4:5], 0x80
	s_load_dwordx2 s[0:1], s[4:5], 0x30
	s_load_dwordx2 s[30:31], s[4:5], 0x20
	s_mov_b32 s10, s7
	s_ashr_i32 s11, s7, 31
	s_lshl_b64 s[2:3], s[10:11], 2
	s_waitcnt lgkmcnt(0)
	s_add_u32 s0, s0, s2
	s_addc_u32 s1, s1, s3
	s_abs_i32 s2, s30
	v_cvt_f32_u32_e32 v1, s2
	s_sub_i32 s11, 0, s2
	s_abs_i32 s7, s9
	s_xor_b32 s3, s9, s30
	v_rcp_iflag_f32_e32 v1, v1
	s_ashr_i32 s3, s3, 31
	s_mov_b32 s42, 0
	v_mul_f32_e32 v1, 0x4f7ffffe, v1
	v_cvt_u32_f32_e32 v1, v1
	v_readfirstlane_b32 s12, v1
	s_mul_i32 s11, s11, s12
	s_mul_hi_u32 s11, s12, s11
	s_add_i32 s12, s12, s11
	s_mul_hi_u32 s11, s7, s12
	s_mul_i32 s12, s11, s2
	s_sub_i32 s7, s7, s12
	s_add_i32 s12, s11, 1
	s_sub_i32 s13, s7, s2
	s_cmp_ge_u32 s7, s2
	s_cselect_b32 s11, s12, s11
	s_cselect_b32 s7, s13, s7
	s_add_i32 s12, s11, 1
	s_cmp_ge_u32 s7, s2
	s_cselect_b32 s2, s12, s11
	s_xor_b32 s2, s2, s3
	s_sub_i32 s12, s2, s3
	s_abs_i32 s22, s12
	v_cvt_f32_u32_e32 v1, s22
	s_load_dwordx2 s[2:3], s[4:5], 0x40
	s_sub_i32 s7, 0, s22
	s_abs_i32 s23, s6
	v_rcp_iflag_f32_e32 v1, v1
	v_mul_f32_e32 v1, 0x4f7ffffe, v1
	v_cvt_u32_f32_e32 v1, v1
	v_readfirstlane_b32 s11, v1
	s_mul_i32 s7, s7, s11
	s_mul_hi_u32 s7, s11, s7
	s_add_i32 s11, s11, s7
	s_waitcnt lgkmcnt(0)
	s_cmp_eq_u64 s[2:3], 0
	s_mul_hi_u32 s24, s23, s11
	s_cbranch_scc1 .LBB73_2
; %bb.1:
	s_ashr_i32 s7, s6, 31
	s_lshl_b64 s[14:15], s[6:7], 2
	s_add_u32 s2, s2, s14
	s_addc_u32 s3, s3, s15
	s_load_dword s42, s[2:3], 0x0
.LBB73_2:
	s_load_dword s11, s[0:1], 0x0
	s_ashr_i32 s7, s12, 31
	s_load_dwordx4 s[12:15], s[4:5], 0x48
	s_ashr_i32 s2, s6, 31
	v_and_b32_e32 v1, 3, v0
	s_lshl_b32 s20, s6, 6
	v_cmp_gt_u32_e32 vcc, 32, v0
	v_lshlrev_b32_e32 v2, 2, v0
	s_and_saveexec_b64 s[0:1], vcc
	s_cbranch_execz .LBB73_4
; %bb.3:
	s_load_dwordx2 s[16:17], s[4:5], 0x8
	s_waitcnt lgkmcnt(0)
	s_mul_i32 s18, s12, s10
	s_ashr_i32 s19, s18, 31
	s_lshl_b64 s[18:19], s[18:19], 1
	v_and_b32_e32 v4, 0x3fc, v0
	s_add_u32 s3, s16, s18
	s_addc_u32 s12, s17, s19
	s_ashr_i32 s21, s20, 31
	s_lshl_b64 s[16:17], s[20:21], 1
	s_add_u32 s16, s3, s16
	s_addc_u32 s17, s12, s17
	global_load_dword v3, v2, s[16:17]
	v_lshl_add_u32 v4, v1, 5, v4
	s_waitcnt vmcnt(0)
	ds_write_b32 v4, v3
.LBB73_4:
	s_or_b64 exec, exec, s[0:1]
	s_mul_i32 s1, s24, s22
	s_sub_i32 s1, s23, s1
	s_xor_b32 s0, s2, s7
	s_add_i32 s2, s24, 1
	s_sub_i32 s7, s1, s22
	s_load_dwordx4 s[16:19], s[4:5], 0x68
	s_load_dword s3, s[4:5], 0x78
	s_cmp_ge_u32 s1, s22
	s_cselect_b32 s2, s2, s24
	s_cselect_b32 s1, s7, s1
	s_add_i32 s7, s2, 1
	s_cmp_ge_u32 s1, s22
	s_cselect_b32 s1, s7, s2
	s_waitcnt lgkmcnt(0)
	s_abs_i32 s21, s19
	v_cvt_f32_u32_e32 v3, s21
	s_xor_b32 s1, s1, s0
	s_sub_i32 s2, s1, s0
	s_sub_i32 s0, 0, s21
	v_rcp_iflag_f32_e32 v3, v3
	s_add_i32 s15, s11, -1
	s_abs_i32 s7, s15
	v_mul_f32_e32 v3, 0x4f7ffffe, v3
	v_cvt_u32_f32_e32 v3, v3
	s_barrier
	v_readfirstlane_b32 s33, v3
	s_mul_i32 s0, s0, s33
	s_mul_hi_u32 s0, s33, s0
	s_add_i32 s33, s33, s0
	s_cmp_lt_i32 s3, 0
	s_mul_hi_u32 s12, s7, s33
	s_cbranch_scc0 .LBB73_6
; %bb.5:
	s_mul_i32 s0, s16, s30
	s_add_i32 s0, s2, s0
	s_mul_i32 s0, s0, s3
	s_sub_i32 s40, 1, s0
	s_mov_b64 s[0:1], 0
	s_branch .LBB73_7
.LBB73_6:
	s_mov_b64 s[0:1], -1
                                        ; implicit-def: $sgpr40
.LBB73_7:
	s_load_dwordx2 s[24:25], s[4:5], 0x28
	s_ashr_i32 s15, s15, 31
	s_andn2_b64 vcc, exec, s[0:1]
	s_ashr_i32 s19, s19, 31
	s_cbranch_vccnz .LBB73_9
; %bb.8:
	s_mul_i32 s0, s9, s16
	s_add_i32 s0, s0, s6
	s_mul_i32 s0, s0, s3
	s_add_i32 s40, s0, 1
.LBB73_9:
	s_load_dword s0, s[4:5], 0x38
	s_load_dwordx2 s[22:23], s[4:5], 0x0
	s_load_dwordx2 s[28:29], s[4:5], 0x18
	s_load_dword s16, s[4:5], 0x88
	s_xor_b32 s1, s15, s19
	s_waitcnt lgkmcnt(0)
	s_mul_i32 s26, s0, s10
	s_mul_i32 s0, s12, s21
	s_sub_i32 s0, s7, s0
	s_ashr_i32 s27, s26, 31
	s_add_i32 s3, s12, 1
	s_sub_i32 s6, s0, s21
	s_cmp_ge_u32 s0, s21
	s_cselect_b32 s3, s3, s12
	s_cselect_b32 s0, s6, s0
	s_add_i32 s6, s3, 1
	s_cmp_ge_u32 s0, s21
	s_cselect_b32 s0, s6, s3
	s_xor_b32 s0, s0, s1
	s_sub_i32 s12, s0, s1
	s_add_i32 s0, s11, 15
	s_ashr_i32 s1, s0, 31
	s_lshr_b32 s1, s1, 28
	s_add_i32 s0, s0, s1
	s_ashr_i32 s41, s0, 4
	v_lshrrev_b32_e32 v9, 6, v0
	v_cmp_gt_i32_e64 s[0:1], s41, v9
	v_mov_b32_e32 v8, 0xff7fffff
	s_mul_i32 s14, s2, s14
	v_lshrrev_b32_e32 v3, 4, v0
	v_lshlrev_b32_e32 v10, 4, v9
	v_mbcnt_lo_u32_b32 v4, -1, 0
	s_and_saveexec_b64 s[34:35], s[0:1]
	s_cbranch_execz .LBB73_21
; %bb.10:
	s_load_dwordx2 s[2:3], s[4:5], 0x10
	s_ashr_i32 s15, s14, 31
	s_sub_i32 s30, s12, s17
	s_lshl_b64 s[4:5], s[14:15], 1
	v_and_b32_e32 v2, 12, v2
	s_waitcnt lgkmcnt(0)
	s_add_u32 s2, s2, s4
	s_addc_u32 s3, s3, s5
	s_abs_i32 s15, s18
	v_cvt_f32_u32_e32 v5, s15
	v_mov_b32_e32 v7, s3
	s_sub_i32 s3, 0, s15
	s_lshl_b64 s[4:5], s[26:27], 2
	v_rcp_iflag_f32_e32 v6, v5
	v_bfe_u32 v5, v0, 2, 4
	s_add_u32 s4, s24, s4
	v_cmp_eq_u32_e32 vcc, 0, v1
	v_mul_f32_e32 v6, 0x4f7ffffe, v6
	v_cvt_u32_f32_e32 v8, v6
	v_lshlrev_b32_e32 v6, 4, v5
	s_addc_u32 s5, s25, s5
	v_mbcnt_hi_u32_b32 v16, -1, v4
	v_mul_lo_u32 v11, s3, v8
	v_add_co_u32_e64 v6, s[2:3], s2, v6
	v_addc_co_u32_e64 v7, s[2:3], 0, v7, s[2:3]
	v_mul_hi_u32 v12, v8, v11
	v_add_co_u32_e64 v6, s[2:3], v6, v2
	v_lshlrev_b32_e32 v11, 5, v1
	v_add_u32_e32 v12, v8, v12
	v_subrev_u32_e32 v8, s11, v5
	v_add_u32_e32 v14, 1, v8
	v_lshlrev_b32_e32 v8, 2, v5
	v_and_b32_e32 v1, 60, v3
	v_lshl_or_b32 v8, v9, 6, v8
	v_addc_co_u32_e64 v7, s[2:3], 0, v7, s[2:3]
	v_mov_b32_e32 v2, s5
	v_add_co_u32_e64 v1, s[4:5], s4, v1
	v_add_u32_e32 v15, 0x90, v8
	v_and_b32_e32 v8, 64, v16
	s_mov_b32 s43, s13
	v_cmp_neq_f32_e64 s[2:3], s42, 0
	v_addc_co_u32_e64 v2, s[4:5], 0, v2, s[4:5]
	v_lshlrev_b32_e32 v13, 4, v9
	s_mov_b64 s[36:37], 0
	v_add_u32_e32 v17, 64, v8
	v_xor_b32_e32 v18, 2, v16
	v_xor_b32_e32 v19, 1, v16
	v_mov_b32_e32 v8, 0xff7fffff
	v_mov_b32_e32 v20, v9
	s_branch .LBB73_13
.LBB73_11:                              ;   in Loop: Header=BB73_13 Depth=1
	s_or_b64 exec, exec, s[38:39]
.LBB73_12:                              ;   in Loop: Header=BB73_13 Depth=1
	s_or_b64 exec, exec, s[6:7]
	v_add_co_u32_e64 v1, s[4:5], 8, v1
	v_add_u32_e32 v20, 2, v20
	v_addc_co_u32_e64 v2, s[4:5], 0, v2, s[4:5]
	v_cmp_le_i32_e64 s[4:5], s41, v20
	v_add_u32_e32 v13, 32, v13
	s_or_b64 s[36:37], s[4:5], s[36:37]
	v_add_u32_e32 v15, 0x80, v15
	s_andn2_b64 exec, exec, s[36:37]
	s_cbranch_execz .LBB73_20
.LBB73_13:                              ; =>This Inner Loop Header: Depth=1
	v_mul_hi_u32 v21, v13, s33
	s_waitcnt lgkmcnt(0)
	v_mul_lo_u32 v22, v21, s21
	v_add_u32_e32 v23, 1, v21
	v_sub_u32_e32 v22, v13, v22
	v_cmp_le_u32_e64 s[4:5], s21, v22
	v_cndmask_b32_e64 v21, v21, v23, s[4:5]
	v_subrev_u32_e32 v23, s21, v22
	v_cndmask_b32_e64 v22, v22, v23, s[4:5]
	v_add_u32_e32 v23, 1, v21
	v_cmp_le_u32_e64 s[4:5], s21, v22
	v_cndmask_b32_e64 v21, v21, v23, s[4:5]
	v_xor_b32_e32 v21, s19, v21
	v_subrev_u32_e32 v21, s19, v21
	v_add_u32_e32 v22, s40, v21
	v_sub_u32_e32 v23, 0, v22
	v_max_i32_e32 v23, v22, v23
	v_mul_hi_u32 v24, v23, v12
	v_ashrrev_i32_e32 v22, 31, v22
	v_cmp_ge_i32_e64 s[6:7], s30, v21
	v_mul_lo_u32 v24, v24, s15
	v_sub_u32_e32 v23, v23, v24
	v_subrev_u32_e32 v24, s15, v23
	v_cmp_le_u32_e64 s[4:5], s15, v23
	v_cndmask_b32_e64 v23, v23, v24, s[4:5]
	v_subrev_u32_e32 v24, s15, v23
	v_cmp_le_u32_e64 s[4:5], s15, v23
	v_cndmask_b32_e64 v23, v23, v24, s[4:5]
	v_xor_b32_e32 v23, v23, v22
	v_sub_u32_e32 v22, v23, v22
	v_cmp_ne_u32_e64 s[4:5], 0, v22
	s_and_b64 s[4:5], s[4:5], s[6:7]
	s_and_saveexec_b64 s[6:7], s[4:5]
	s_xor_b64 s[4:5], exec, s[6:7]
	s_cbranch_execz .LBB73_17
; %bb.14:                               ;   in Loop: Header=BB73_13 Depth=1
	s_and_saveexec_b64 s[6:7], vcc
; %bb.15:                               ;   in Loop: Header=BB73_13 Depth=1
	v_mov_b32_e32 v21, 0xff7fffff
	ds_write_b32 v15, v21
; %bb.16:                               ;   in Loop: Header=BB73_13 Depth=1
	s_or_b64 exec, exec, s[6:7]
.LBB73_17:                              ;   in Loop: Header=BB73_13 Depth=1
	s_andn2_saveexec_b64 s[6:7], s[4:5]
	s_cbranch_execz .LBB73_12
; %bb.18:                               ;   in Loop: Header=BB73_13 Depth=1
	global_load_dword v21, v[1:2], off
	s_waitcnt vmcnt(0)
	v_mad_i64_i32 v[21:22], s[4:5], v21, s43, 0
	v_lshlrev_b64 v[21:22], 1, v[21:22]
	v_add_co_u32_e64 v29, s[4:5], v6, v21
	v_addc_co_u32_e64 v30, s[4:5], v7, v22, s[4:5]
	global_load_dword v27, v[29:30], off
	global_load_dword v28, v[29:30], off offset:256
	global_load_dword v26, v[29:30], off offset:512
	global_load_dword v25, v[29:30], off offset:768
	global_load_dword v24, v[29:30], off offset:1024
	global_load_dword v23, v[29:30], off offset:1280
	global_load_dword v22, v[29:30], off offset:1536
	global_load_dword v21, v[29:30], off offset:1792
	ds_read_b32 v29, v11
	v_cmp_lt_i32_e64 s[4:5], v18, v17
	s_waitcnt lgkmcnt(0)
	v_lshrrev_b32_e32 v30, 16, v29
	v_and_b32_e32 v29, 0xffff, v29
	;;#ASMSTART
	v_cvt_f32_f16 v29, v29;
	;;#ASMEND
	;;#ASMSTART
	v_cvt_f32_f16 v30, v30;
	;;#ASMEND
	s_waitcnt vmcnt(7)
	v_lshrrev_b32_e32 v32, 16, v27
	v_and_b32_e32 v27, 0xffff, v27
	;;#ASMSTART
	v_cvt_f32_f16 v31, v27;
	;;#ASMEND
	;;#ASMSTART
	v_cvt_f32_f16 v32, v32;
	;;#ASMEND
	ds_read_b32 v33, v11 offset:4
	s_waitcnt vmcnt(6)
	v_lshrrev_b32_e32 v35, 16, v28
	v_and_b32_e32 v34, 0xffff, v28
	s_waitcnt vmcnt(2)
	v_lshrrev_b32_e32 v37, 16, v23
	v_cndmask_b32_e64 v27, v16, v18, s[4:5]
	s_waitcnt lgkmcnt(0)
	v_and_b32_e32 v28, 0xffff, v33
	v_lshrrev_b32_e32 v36, 16, v33
	;;#ASMSTART
	v_cvt_f32_f16 v28, v28;
	;;#ASMEND
	;;#ASMSTART
	v_cvt_f32_f16 v33, v36;
	;;#ASMEND
	;; [unrolled: 3-line block ×4, first 2 shown]
	v_mul_f32_e32 v28, v28, v34
	ds_read_b32 v34, v11 offset:8
	v_mul_f32_e32 v33, v33, v35
	v_lshrrev_b32_e32 v35, 16, v26
	v_and_b32_e32 v36, 0xffff, v26
	v_fmac_f32_e32 v28, v29, v31
	s_waitcnt lgkmcnt(0)
	v_lshrrev_b32_e32 v29, 16, v34
	v_and_b32_e32 v26, 0xffff, v34
	v_fmac_f32_e32 v33, v30, v32
	;;#ASMSTART
	v_cvt_f32_f16 v26, v26;
	;;#ASMEND
	;;#ASMSTART
	v_cvt_f32_f16 v29, v29;
	;;#ASMEND
	;; [unrolled: 3-line block ×4, first 2 shown]
	ds_read_b32 v32, v11 offset:12
	v_lshrrev_b32_e32 v34, 16, v25
	v_and_b32_e32 v35, 0xffff, v25
	v_fmac_f32_e32 v28, v26, v30
	v_lshrrev_b32_e32 v36, 16, v24
	s_waitcnt lgkmcnt(0)
	v_lshrrev_b32_e32 v26, 16, v32
	v_and_b32_e32 v25, 0xffff, v32
	;;#ASMSTART
	v_cvt_f32_f16 v25, v25;
	;;#ASMEND
	;;#ASMSTART
	v_cvt_f32_f16 v26, v26;
	;;#ASMEND
	;; [unrolled: 3-line block ×4, first 2 shown]
	ds_read_b32 v34, v11 offset:16
	v_and_b32_e32 v35, 0xffff, v24
	v_fmac_f32_e32 v28, v25, v30
	v_fmac_f32_e32 v33, v29, v31
	v_fmac_f32_e32 v33, v26, v32
	s_waitcnt lgkmcnt(0)
	v_lshrrev_b32_e32 v25, 16, v34
	v_and_b32_e32 v24, 0xffff, v34
	;;#ASMSTART
	v_cvt_f32_f16 v24, v24;
	;;#ASMEND
	;;#ASMSTART
	v_cvt_f32_f16 v25, v25;
	;;#ASMEND
	;; [unrolled: 3-line block ×4, first 2 shown]
	ds_read_b32 v31, v11 offset:20
	v_and_b32_e32 v34, 0xffff, v23
	s_waitcnt vmcnt(1)
	v_lshrrev_b32_e32 v35, 16, v22
	v_and_b32_e32 v36, 0xffff, v22
	v_fmac_f32_e32 v28, v24, v29
	s_waitcnt lgkmcnt(0)
	v_lshrrev_b32_e32 v23, 16, v31
	v_and_b32_e32 v22, 0xffff, v31
	;;#ASMSTART
	v_cvt_f32_f16 v22, v22;
	;;#ASMEND
	;;#ASMSTART
	v_cvt_f32_f16 v23, v23;
	;;#ASMEND
	;; [unrolled: 3-line block ×4, first 2 shown]
	ds_read_b32 v32, v11 offset:24
	s_waitcnt vmcnt(0)
	v_lshrrev_b32_e32 v34, 16, v21
	v_and_b32_e32 v37, 0xffff, v21
	v_fmac_f32_e32 v33, v25, v30
	v_fmac_f32_e32 v28, v22, v26
	s_waitcnt lgkmcnt(0)
	v_lshrrev_b32_e32 v24, 16, v32
	v_and_b32_e32 v21, 0xffff, v32
	;;#ASMSTART
	v_cvt_f32_f16 v21, v21;
	;;#ASMEND
	;;#ASMSTART
	v_cvt_f32_f16 v24, v24;
	;;#ASMEND
	;; [unrolled: 3-line block ×4, first 2 shown]
	ds_read_b32 v30, v11 offset:28
	v_fmac_f32_e32 v33, v23, v31
	v_fmac_f32_e32 v28, v21, v25
	;; [unrolled: 1-line block ×3, first 2 shown]
	v_lshlrev_b32_e32 v27, 2, v27
	s_waitcnt lgkmcnt(0)
	v_lshrrev_b32_e32 v22, 16, v30
	v_and_b32_e32 v21, 0xffff, v30
	;;#ASMSTART
	v_cvt_f32_f16 v21, v21;
	;;#ASMEND
	;;#ASMSTART
	v_cvt_f32_f16 v22, v22;
	;;#ASMEND
	;; [unrolled: 3-line block ×4, first 2 shown]
	v_fmac_f32_e32 v28, v21, v23
	v_fmac_f32_e32 v33, v22, v24
	v_add_f32_e32 v21, v28, v33
	ds_bpermute_b32 v22, v27, v21
	v_cmp_lt_i32_e64 s[4:5], v19, v17
	v_cndmask_b32_e64 v23, v16, v19, s[4:5]
	s_waitcnt lgkmcnt(0)
	v_add_f32_e32 v21, v21, v22
	v_lshlrev_b32_e32 v22, 2, v23
	ds_bpermute_b32 v22, v22, v21
	s_and_saveexec_b64 s[38:39], vcc
	s_cbranch_execz .LBB73_11
; %bb.19:                               ;   in Loop: Header=BB73_13 Depth=1
	v_add_u32_e32 v23, v14, v13
	v_cvt_f32_i32_e32 v23, v23
	s_waitcnt lgkmcnt(0)
	v_add_f32_e32 v21, v21, v22
	v_add_u32_e32 v24, v5, v13
	v_cmp_gt_i32_e64 s[4:5], s11, v24
	v_mul_f32_e32 v22, s42, v23
	v_cndmask_b32_e64 v22, 0, v22, s[2:3]
	v_fmac_f32_e32 v22, s31, v21
	v_cndmask_b32_e64 v21, 0, v22, s[4:5]
	ds_write_b32 v15, v21
	v_max_f32_e32 v21, v8, v8
	v_max_f32_e32 v21, v21, v22
	v_cndmask_b32_e64 v8, v8, v21, s[4:5]
	s_branch .LBB73_11
.LBB73_20:
	s_or_b64 exec, exec, s[36:37]
.LBB73_21:
	s_or_b64 exec, exec, s[34:35]
	v_mbcnt_hi_u32_b32 v1, -1, v4
	v_and_b32_e32 v14, 64, v1
	v_add_u32_e32 v2, 64, v14
	v_xor_b32_e32 v4, 32, v1
	v_cmp_lt_i32_e32 vcc, v4, v2
	v_cndmask_b32_e32 v4, v1, v4, vcc
	v_lshlrev_b32_e32 v4, 2, v4
	ds_bpermute_b32 v5, v4, v8
	v_xor_b32_e32 v7, 16, v1
	v_max_f32_e32 v6, v8, v8
	v_cmp_lt_i32_e32 vcc, v7, v2
	v_xor_b32_e32 v8, 8, v1
	s_waitcnt lgkmcnt(0)
	v_max_f32_e32 v5, v5, v5
	v_max_f32_e32 v6, v6, v5
	v_cndmask_b32_e32 v5, v1, v7, vcc
	v_lshlrev_b32_e32 v5, 2, v5
	ds_bpermute_b32 v7, v5, v6
	v_cmp_lt_i32_e32 vcc, v8, v2
	v_xor_b32_e32 v11, 4, v1
	s_waitcnt lgkmcnt(0)
	v_max_f32_e32 v7, v7, v7
	v_max_f32_e32 v6, v6, v7
	v_cndmask_b32_e32 v7, v1, v8, vcc
	v_lshlrev_b32_e32 v8, 2, v7
	ds_bpermute_b32 v7, v8, v6
	v_cmp_lt_i32_e32 vcc, v11, v2
	s_waitcnt lgkmcnt(0)
	v_max_f32_e32 v7, v7, v7
	v_max_f32_e32 v7, v6, v7
	v_cndmask_b32_e32 v6, v1, v11, vcc
	v_lshlrev_b32_e32 v13, 2, v6
	ds_bpermute_b32 v12, v13, v7
	v_and_b32_e32 v11, 63, v0
	v_cmp_eq_u32_e32 vcc, 0, v11
	v_lshlrev_b32_e32 v6, 2, v9
	s_and_saveexec_b64 s[2:3], vcc
	s_cbranch_execz .LBB73_23
; %bb.22:
	s_waitcnt lgkmcnt(0)
	v_max_f32_e32 v12, v12, v12
	v_max_f32_e32 v7, v7, v7
	;; [unrolled: 1-line block ×3, first 2 shown]
	ds_write_b32 v6, v7 offset:128
.LBB73_23:
	s_or_b64 exec, exec, s[2:3]
	v_cmp_gt_u32_e64 s[2:3], 2, v11
	v_mov_b32_e32 v15, 0xff7fffff
	v_lshlrev_b32_e32 v7, 2, v11
	s_waitcnt lgkmcnt(0)
	s_barrier
	s_and_saveexec_b64 s[4:5], s[2:3]
; %bb.24:
	ds_read_b32 v15, v7 offset:128
; %bb.25:
	s_or_b64 exec, exec, s[4:5]
	v_xor_b32_e32 v12, 1, v1
	v_cmp_lt_i32_e64 s[4:5], v12, v2
	v_cndmask_b32_e64 v12, v1, v12, s[4:5]
	v_lshlrev_b32_e32 v12, 2, v12
	s_waitcnt lgkmcnt(0)
	ds_bpermute_b32 v16, v12, v15
	v_max_f32_e32 v15, v15, v15
	v_lshlrev_b32_e32 v14, 2, v14
	s_lshl_b32 s4, s41, 4
	s_min_i32 s15, s4, s11
	s_waitcnt lgkmcnt(0)
	v_max_f32_e32 v16, v16, v16
	v_max_f32_e32 v15, v15, v16
	ds_bpermute_b32 v15, v14, v15
	v_cmp_gt_i32_e64 s[4:5], s15, v0
	v_mov_b32_e32 v14, 0
	s_and_saveexec_b64 s[30:31], s[4:5]
	s_cbranch_execz .LBB73_29
; %bb.26:
	v_mov_b32_e32 v14, 0x90
	v_lshl_add_u32 v16, v0, 2, v14
	v_mov_b32_e32 v14, 0
	s_mov_b64 s[34:35], 0
	v_mov_b32_e32 v17, v0
.LBB73_27:                              ; =>This Inner Loop Header: Depth=1
	ds_read_b32 v18, v16
	v_add_u32_e32 v17, 0x80, v17
	v_cmp_le_i32_e64 s[6:7], s15, v17
	s_or_b64 s[34:35], s[6:7], s[34:35]
	s_waitcnt lgkmcnt(0)
	v_sub_f32_e32 v18, v18, v15
	v_mul_f32_e32 v18, 0x3fb8aa3b, v18
	v_exp_f32_e32 v18, v18
	ds_write_b32 v16, v18
	v_add_f32_e32 v14, v14, v18
	v_add_u32_e32 v16, 0x200, v16
	s_andn2_b64 exec, exec, s[34:35]
	s_cbranch_execnz .LBB73_27
; %bb.28:
	s_or_b64 exec, exec, s[34:35]
.LBB73_29:
	s_or_b64 exec, exec, s[30:31]
	ds_bpermute_b32 v4, v4, v14
	s_waitcnt lgkmcnt(0)
	v_add_f32_e32 v4, v14, v4
	ds_bpermute_b32 v5, v5, v4
	s_waitcnt lgkmcnt(0)
	v_add_f32_e32 v4, v4, v5
	ds_bpermute_b32 v5, v8, v4
	v_xor_b32_e32 v8, 2, v1
	v_cmp_lt_i32_e64 s[6:7], v8, v2
	v_cndmask_b32_e64 v2, v1, v8, s[6:7]
	v_lshlrev_b32_e32 v2, 2, v2
	s_waitcnt lgkmcnt(0)
	v_add_f32_e32 v4, v4, v5
	ds_bpermute_b32 v5, v13, v4
	s_waitcnt lgkmcnt(0)
	v_add_f32_e32 v4, v4, v5
	ds_bpermute_b32 v2, v2, v4
	;; [unrolled: 3-line block ×3, first 2 shown]
	s_waitcnt lgkmcnt(0)
	v_add_f32_e32 v2, v2, v4
	s_and_saveexec_b64 s[6:7], vcc
; %bb.30:
	ds_write_b32 v6, v2 offset:136
; %bb.31:
	s_or_b64 exec, exec, s[6:7]
	s_waitcnt lgkmcnt(0)
	s_barrier
	s_and_saveexec_b64 s[6:7], s[2:3]
; %bb.32:
	ds_read_b32 v2, v7 offset:136
; %bb.33:
	s_or_b64 exec, exec, s[6:7]
	s_waitcnt lgkmcnt(0)
	ds_bpermute_b32 v4, v12, v2
	v_lshlrev_b32_e32 v1, 2, v1
	v_and_b32_e32 v1, 0x100, v1
	s_waitcnt lgkmcnt(0)
	v_add_f32_e32 v2, v2, v4
	ds_bpermute_b32 v1, v1, v2
	s_and_saveexec_b64 s[2:3], s[4:5]
	s_cbranch_execz .LBB73_36
; %bb.34:
	s_waitcnt lgkmcnt(0)
	v_add_f32_e32 v2, 0x358637bd, v1
	v_div_scale_f32 v1, s[4:5], v2, v2, 1.0
	v_div_scale_f32 v4, vcc, 1.0, v2, 1.0
	s_mov_b64 s[4:5], 0
	v_rcp_f32_e32 v5, v1
	v_fma_f32 v6, -v1, v5, 1.0
	v_fmac_f32_e32 v5, v6, v5
	v_mul_f32_e32 v6, v4, v5
	v_fma_f32 v7, -v1, v6, v4
	v_fmac_f32_e32 v6, v7, v5
	v_fma_f32 v1, -v1, v6, v4
	v_div_fmas_f32 v4, v1, v5, v6
	v_mov_b32_e32 v1, 0x90
	v_lshl_add_u32 v1, v0, 2, v1
	v_div_fixup_f32 v2, v4, v2, 1.0
	v_mov_b32_e32 v4, v0
.LBB73_35:                              ; =>This Inner Loop Header: Depth=1
	ds_read_b32 v5, v1
	v_add_u32_e32 v4, 0x80, v4
	v_cmp_le_i32_e32 vcc, s15, v4
	s_or_b64 s[4:5], vcc, s[4:5]
	s_waitcnt lgkmcnt(0)
	v_mul_f32_e32 v5, v2, v5
	ds_write_b32 v1, v5
	v_add_u32_e32 v1, 0x200, v1
	s_andn2_b64 exec, exec, s[4:5]
	s_cbranch_execnz .LBB73_35
.LBB73_36:
	s_or_b64 exec, exec, s[2:3]
	v_mov_b32_e32 v16, 0
	v_and_b32_e32 v13, 1, v0
	v_mov_b32_e32 v17, 0
	s_waitcnt lgkmcnt(0)
	s_barrier
	s_and_saveexec_b64 s[2:3], s[0:1]
	s_cbranch_execz .LBB73_46
; %bb.37:
	s_ashr_i32 s15, s14, 31
	s_sub_i32 s17, s12, s17
	s_lshl_b64 s[0:1], s[14:15], 1
	s_add_u32 s0, s28, s0
	s_addc_u32 s1, s29, s1
	s_abs_i32 s14, s18
	v_cvt_f32_u32_e32 v1, s14
	v_lshlrev_b32_e32 v2, 3, v0
	s_sub_i32 s4, 0, s14
	v_and_b32_e32 v15, 8, v2
	v_rcp_iflag_f32_e32 v1, v1
	v_lshlrev_b32_e32 v4, 4, v0
	v_and_b32_e32 v4, 0x3f0, v4
	s_add_i32 s18, s41, -1
	v_mul_f32_e32 v1, 0x4f7ffffe, v1
	v_cvt_u32_f32_e32 v1, v1
	v_mov_b32_e32 v5, s1
	v_add_co_u32_e32 v18, vcc, s0, v4
	v_mul_lo_u32 v2, s4, v1
	s_lshl_b64 s[0:1], s[26:27], 2
	v_addc_co_u32_e32 v19, vcc, 0, v5, vcc
	v_mul_hi_u32 v2, v1, v2
	s_add_u32 s0, s24, s0
	s_addc_u32 s1, s25, s1
	s_mov_b32 s15, s13
	v_add_u32_e32 v20, v1, v2
	v_and_b32_e32 v1, 60, v3
	v_add_co_u32_e32 v5, vcc, s0, v1
	v_lshlrev_b32_e32 v1, 5, v13
	v_mov_b32_e32 v2, s1
	v_lshl_or_b32 v1, v9, 6, v1
	v_mov_b32_e32 v14, 0
	v_addc_co_u32_e32 v6, vcc, 0, v2, vcc
	v_add_u32_e32 v21, 0x90, v1
	s_mov_b64 s[4:5], 0
	s_mov_b32 s24, 0xffff
	v_mov_b32_e32 v17, 0
	v_mov_b32_e32 v16, 0
	s_branch .LBB73_40
.LBB73_38:                              ;   in Loop: Header=BB73_40 Depth=1
	s_or_b64 exec, exec, s[12:13]
	v_add_f32_e32 v22, v34, v35
	v_add_f32_e32 v16, v16, v22
	v_lshlrev_b32_e32 v22, 16, v36
	v_and_or_b32 v1, v1, s24, v22
	v_lshlrev_b32_e32 v8, 16, v8
	v_lshlrev_b32_e32 v7, 16, v7
	v_and_or_b32 v2, v2, s24, v8
	v_and_or_b32 v3, v3, s24, v7
	;;#ASMSTART
	v_pk_mul_f16 v1, v31, v1;

	;;#ASMEND
	;;#ASMSTART
	v_pk_mul_f16 v2, v32, v2;

	;;#ASMEND
	;; [unrolled: 4-line block ×4, first 2 shown]
	;;#ASMSTART
	v_pk_add_f16 v1, v1, v2;

	;;#ASMEND
	;;#ASMSTART
	v_pk_add_f16 v1, v1, v3;

	;;#ASMEND
	;; [unrolled: 4-line block ×3, first 2 shown]
	v_lshrrev_b32_e32 v2, 16, v1
	v_and_b32_e32 v1, 0xffff, v1
	;;#ASMSTART
	v_cvt_f32_f16 v1, v1;
	;;#ASMEND
	;;#ASMSTART
	v_cvt_f32_f16 v2, v2;
	;;#ASMEND
	v_add_f32_e32 v1, v1, v2
	v_add_f32_e32 v17, v17, v1
.LBB73_39:                              ;   in Loop: Header=BB73_40 Depth=1
	s_or_b64 exec, exec, s[6:7]
	v_add_co_u32_e32 v5, vcc, 8, v5
	v_add_u32_e32 v9, 2, v9
	v_addc_co_u32_e32 v6, vcc, 0, v6, vcc
	v_cmp_le_i32_e32 vcc, s41, v9
	v_add_u32_e32 v10, 32, v10
	s_or_b64 s[4:5], vcc, s[4:5]
	v_add_u32_e32 v21, 0x80, v21
	s_andn2_b64 exec, exec, s[4:5]
	s_cbranch_execz .LBB73_45
.LBB73_40:                              ; =>This Inner Loop Header: Depth=1
	v_mul_hi_u32 v1, v10, s33
	v_mul_lo_u32 v2, v1, s21
	v_add_u32_e32 v3, 1, v1
	v_sub_u32_e32 v2, v10, v2
	v_cmp_le_u32_e32 vcc, s21, v2
	v_cndmask_b32_e32 v1, v1, v3, vcc
	v_subrev_u32_e32 v3, s21, v2
	v_cndmask_b32_e32 v2, v2, v3, vcc
	v_add_u32_e32 v3, 1, v1
	v_cmp_le_u32_e32 vcc, s21, v2
	v_cndmask_b32_e32 v1, v1, v3, vcc
	v_xor_b32_e32 v1, s19, v1
	v_subrev_u32_e32 v1, s19, v1
	v_add_u32_e32 v2, s40, v1
	v_sub_u32_e32 v3, 0, v2
	v_max_i32_e32 v3, v2, v3
	v_mul_hi_u32 v4, v3, v20
	v_ashrrev_i32_e32 v2, 31, v2
	v_cmp_lt_i32_e64 s[0:1], s17, v1
	v_mul_lo_u32 v4, v4, s14
	v_sub_u32_e32 v3, v3, v4
	v_subrev_u32_e32 v4, s14, v3
	v_cmp_le_u32_e32 vcc, s14, v3
	v_cndmask_b32_e32 v3, v3, v4, vcc
	v_subrev_u32_e32 v4, s14, v3
	v_cmp_le_u32_e32 vcc, s14, v3
	v_cndmask_b32_e32 v3, v3, v4, vcc
	v_xor_b32_e32 v3, v3, v2
	v_sub_u32_e32 v2, v3, v2
	v_cmp_eq_u32_e32 vcc, 0, v2
	s_or_b64 s[0:1], vcc, s[0:1]
	s_and_saveexec_b64 s[6:7], s[0:1]
	s_cbranch_execz .LBB73_39
; %bb.41:                               ;   in Loop: Header=BB73_40 Depth=1
	global_load_dword v7, v[5:6], off
	ds_read2_b64 v[1:4], v21 offset1:1
	ds_read2_b64 v[22:25], v21 offset0:2 offset1:3
	s_waitcnt lgkmcnt(1)
	;;#ASMSTART
	v_cvt_f16_f32 v30, v1;

	;;#ASMEND
	;;#ASMSTART
	v_cvt_f16_f32 v31, v2;

	;;#ASMEND
	;; [unrolled: 4-line block ×4, first 2 shown]
	s_waitcnt lgkmcnt(0)
	;;#ASMSTART
	v_cvt_f16_f32 v34, v22;

	;;#ASMEND
	;;#ASMSTART
	v_cvt_f16_f32 v35, v23;

	;;#ASMEND
	;; [unrolled: 4-line block ×4, first 2 shown]
	v_add_u32_e32 v22, v15, v10
	v_add_u32_e32 v29, 1, v22
	;; [unrolled: 1-line block ×8, first 2 shown]
	s_waitcnt vmcnt(0)
	v_mad_i64_i32 v[1:2], s[0:1], v7, s15, 0
	v_cmp_eq_u32_e64 s[0:1], s18, v9
	v_lshlrev_b64 v[1:2], 1, v[1:2]
	v_add_co_u32_e32 v7, vcc, v18, v1
	v_addc_co_u32_e32 v8, vcc, v19, v2, vcc
	global_load_dwordx4 v[1:4], v[7:8], off
	s_waitcnt vmcnt(0)
	v_lshrrev_b32_e32 v40, 16, v1
	v_lshrrev_b32_e32 v39, 16, v2
	v_lshrrev_b32_e32 v38, 16, v3
	s_and_saveexec_b64 s[12:13], s[0:1]
	s_cbranch_execz .LBB73_43
; %bb.42:                               ;   in Loop: Header=BB73_40 Depth=1
	v_cmp_gt_i32_e32 vcc, s11, v22
	v_cndmask_b32_e32 v1, 0, v1, vcc
	v_cmp_gt_i32_e32 vcc, s11, v29
	v_cndmask_b32_e32 v40, 0, v40, vcc
	v_cmp_gt_i32_e32 vcc, s11, v28
	v_cndmask_b32_e32 v2, 0, v2, vcc
	v_cmp_gt_i32_e32 vcc, s11, v27
	v_cndmask_b32_e32 v39, 0, v39, vcc
	v_cmp_gt_i32_e32 vcc, s11, v26
	v_cndmask_b32_e32 v3, 0, v3, vcc
	v_cmp_gt_i32_e32 vcc, s11, v25
	v_cndmask_b32_e32 v38, 0, v38, vcc
	v_cmp_gt_i32_e32 vcc, s11, v24
	v_cndmask_b32_sdwa v41, v14, v4, vcc dst_sel:DWORD dst_unused:UNUSED_PAD src0_sel:DWORD src1_sel:WORD_0
	v_and_b32_e32 v4, 0xffff0000, v4
	v_cmp_gt_i32_e32 vcc, s11, v23
	v_cndmask_b32_e32 v4, 0, v4, vcc
	v_or_b32_e32 v4, v41, v4
.LBB73_43:                              ;   in Loop: Header=BB73_40 Depth=1
	s_or_b64 exec, exec, s[12:13]
	v_and_b32_e32 v30, 0xffff, v30
	v_lshl_or_b32 v31, v31, 16, v30
	v_and_b32_e32 v30, 0xffff, v32
	v_lshl_or_b32 v32, v33, 16, v30
	v_and_b32_e32 v30, 0xffff, v34
	v_lshlrev_b32_e32 v34, 16, v40
	v_and_or_b32 v1, v1, s24, v34
	v_lshlrev_b32_e32 v34, 16, v39
	v_and_or_b32 v2, v2, s24, v34
	v_lshlrev_b32_e32 v34, 16, v38
	v_lshl_or_b32 v33, v35, 16, v30
	v_and_b32_e32 v30, 0xffff, v36
	v_and_or_b32 v3, v3, s24, v34
	;;#ASMSTART
	v_pk_mul_f16 v1, v31, v1;

	;;#ASMEND
	v_lshl_or_b32 v30, v37, 16, v30
	;;#ASMSTART
	v_pk_mul_f16 v2, v32, v2;

	;;#ASMEND
	;;#ASMSTART
	v_pk_mul_f16 v3, v33, v3;

	;;#ASMEND
	;; [unrolled: 4-line block ×3, first 2 shown]
	;;#ASMSTART
	v_pk_add_f16 v1, v1, v2;

	;;#ASMEND
	;;#ASMSTART
	v_pk_add_f16 v1, v1, v3;

	;;#ASMEND
	;;#ASMSTART
	v_pk_add_f16 v1, v1, v4;

	;;#ASMEND
	v_lshrrev_b32_e32 v2, 16, v1
	v_and_b32_e32 v1, 0xffff, v1
	;;#ASMSTART
	v_cvt_f32_f16 v34, v1;
	;;#ASMEND
	;;#ASMSTART
	v_cvt_f32_f16 v35, v2;
	;;#ASMEND
	global_load_dwordx4 v[1:4], v[7:8], off offset:1024
	s_waitcnt vmcnt(0)
	v_lshrrev_b32_e32 v36, 16, v1
	v_lshrrev_b32_e32 v8, 16, v2
	;; [unrolled: 1-line block ×3, first 2 shown]
	s_and_saveexec_b64 s[12:13], s[0:1]
	s_cbranch_execz .LBB73_38
; %bb.44:                               ;   in Loop: Header=BB73_40 Depth=1
	v_cmp_gt_i32_e32 vcc, s11, v22
	v_cndmask_b32_e32 v1, 0, v1, vcc
	v_cmp_gt_i32_e32 vcc, s11, v29
	v_cndmask_b32_e32 v36, 0, v36, vcc
	;; [unrolled: 2-line block ×6, first 2 shown]
	v_cmp_gt_i32_e32 vcc, s11, v24
	v_cndmask_b32_sdwa v22, v14, v4, vcc dst_sel:DWORD dst_unused:UNUSED_PAD src0_sel:DWORD src1_sel:WORD_0
	v_and_b32_e32 v4, 0xffff0000, v4
	v_cmp_gt_i32_e32 vcc, s11, v23
	v_cndmask_b32_e32 v4, 0, v4, vcc
	v_or_b32_e32 v4, v22, v4
	s_branch .LBB73_38
.LBB73_45:
	s_or_b64 exec, exec, s[4:5]
.LBB73_46:
	s_or_b64 exec, exec, s[2:3]
	ds_bpermute_b32 v1, v12, v16
	ds_bpermute_b32 v3, v12, v17
	s_waitcnt lgkmcnt(0)
	s_barrier
	v_add_f32_e32 v2, v16, v1
	v_add_f32_e32 v1, v17, v3
	v_and_b32_e32 v3, 0x3c1, v0
	v_cmp_eq_u32_e32 vcc, 64, v3
	s_and_saveexec_b64 s[0:1], vcc
; %bb.47:
	v_mov_b32_e32 v4, 0x90
	v_lshl_add_u32 v4, v11, 1, v4
	ds_write2_b32 v4, v2, v1 offset1:32
; %bb.48:
	s_or_b64 exec, exec, s[0:1]
	v_cmp_gt_u32_e32 vcc, 64, v0
	v_lshrrev_b32_e32 v0, 1, v0
	s_waitcnt lgkmcnt(0)
	s_barrier
	s_and_saveexec_b64 s[0:1], vcc
	s_cbranch_execz .LBB73_54
; %bb.49:
	v_mov_b32_e32 v4, 0x90
	v_cmp_eq_u32_e32 vcc, 0, v13
	v_lshl_add_u32 v4, v0, 2, v4
	s_and_saveexec_b64 s[2:3], vcc
	s_cbranch_execz .LBB73_51
; %bb.50:
	ds_read_b32 v5, v4
	s_waitcnt lgkmcnt(0)
	v_add_f32_e32 v2, v2, v5
.LBB73_51:
	s_or_b64 exec, exec, s[2:3]
	s_and_saveexec_b64 s[2:3], vcc
	s_cbranch_execz .LBB73_53
; %bb.52:
	ds_read_b32 v4, v4 offset:128
	s_waitcnt lgkmcnt(0)
	v_add_f32_e32 v1, v1, v4
.LBB73_53:
	s_or_b64 exec, exec, s[2:3]
.LBB73_54:
	s_or_b64 exec, exec, s[0:1]
	v_cmp_eq_u32_e32 vcc, 0, v3
	s_barrier
	s_and_saveexec_b64 s[0:1], vcc
	s_cbranch_execz .LBB73_56
; %bb.55:
	s_mul_i32 s0, s10, s16
	s_mul_i32 s0, s0, s9
	s_lshl_b32 s0, s0, 6
	s_ashr_i32 s1, s0, 31
	s_lshl_b64 s[0:1], s[0:1], 1
	s_add_u32 s2, s22, s0
	s_mul_i32 s0, s16, s20
	s_addc_u32 s3, s23, s1
	s_ashr_i32 s1, s0, 31
	s_lshl_b64 s[0:1], s[0:1], 1
	s_add_u32 s2, s2, s0
	s_addc_u32 s3, s3, s1
	s_lshl_b32 s0, s8, 6
	s_ashr_i32 s1, s0, 31
	s_lshl_b64 s[0:1], s[0:1], 1
	s_add_u32 s0, s2, s0
	s_addc_u32 s1, s3, s1
	v_lshlrev_b32_e32 v0, 1, v0
	;;#ASMSTART
	v_cvt_f16_f32 v2, v2;

	;;#ASMEND
	global_store_short v0, v2, s[0:1]
	;;#ASMSTART
	v_cvt_f16_f32 v1, v1;

	;;#ASMEND
	global_store_short v0, v1, s[0:1] offset:64
.LBB73_56:
	s_endpgm
	.section	.rodata,"a",@progbits
	.p2align	6, 0x0
	.amdhsa_kernel _ZN4vllm25paged_attention_v1_kernelIttLi64ELi16ELi128ELNS_18Fp8KVCacheDataTypeE0ELb1EEEvPT_PKS2_PKT0_S8_ifPKiSA_iPKfiiiSC_SC_iiiii
		.amdhsa_group_segment_fixed_size 144
		.amdhsa_private_segment_fixed_size 0
		.amdhsa_kernarg_size 384
		.amdhsa_user_sgpr_count 6
		.amdhsa_user_sgpr_private_segment_buffer 1
		.amdhsa_user_sgpr_dispatch_ptr 0
		.amdhsa_user_sgpr_queue_ptr 0
		.amdhsa_user_sgpr_kernarg_segment_ptr 1
		.amdhsa_user_sgpr_dispatch_id 0
		.amdhsa_user_sgpr_flat_scratch_init 0
		.amdhsa_user_sgpr_private_segment_size 0
		.amdhsa_uses_dynamic_stack 0
		.amdhsa_system_sgpr_private_segment_wavefront_offset 0
		.amdhsa_system_sgpr_workgroup_id_x 1
		.amdhsa_system_sgpr_workgroup_id_y 1
		.amdhsa_system_sgpr_workgroup_id_z 1
		.amdhsa_system_sgpr_workgroup_info 0
		.amdhsa_system_vgpr_workitem_id 0
		.amdhsa_next_free_vgpr 42
		.amdhsa_next_free_sgpr 44
		.amdhsa_reserve_vcc 1
		.amdhsa_reserve_flat_scratch 0
		.amdhsa_float_round_mode_32 0
		.amdhsa_float_round_mode_16_64 0
		.amdhsa_float_denorm_mode_32 3
		.amdhsa_float_denorm_mode_16_64 3
		.amdhsa_dx10_clamp 1
		.amdhsa_ieee_mode 1
		.amdhsa_fp16_overflow 0
		.amdhsa_exception_fp_ieee_invalid_op 0
		.amdhsa_exception_fp_denorm_src 0
		.amdhsa_exception_fp_ieee_div_zero 0
		.amdhsa_exception_fp_ieee_overflow 0
		.amdhsa_exception_fp_ieee_underflow 0
		.amdhsa_exception_fp_ieee_inexact 0
		.amdhsa_exception_int_div_zero 0
	.end_amdhsa_kernel
	.section	.text._ZN4vllm25paged_attention_v1_kernelIttLi64ELi16ELi128ELNS_18Fp8KVCacheDataTypeE0ELb1EEEvPT_PKS2_PKT0_S8_ifPKiSA_iPKfiiiSC_SC_iiiii,"axG",@progbits,_ZN4vllm25paged_attention_v1_kernelIttLi64ELi16ELi128ELNS_18Fp8KVCacheDataTypeE0ELb1EEEvPT_PKS2_PKT0_S8_ifPKiSA_iPKfiiiSC_SC_iiiii,comdat
.Lfunc_end73:
	.size	_ZN4vllm25paged_attention_v1_kernelIttLi64ELi16ELi128ELNS_18Fp8KVCacheDataTypeE0ELb1EEEvPT_PKS2_PKT0_S8_ifPKiSA_iPKfiiiSC_SC_iiiii, .Lfunc_end73-_ZN4vllm25paged_attention_v1_kernelIttLi64ELi16ELi128ELNS_18Fp8KVCacheDataTypeE0ELb1EEEvPT_PKS2_PKT0_S8_ifPKiSA_iPKfiiiSC_SC_iiiii
                                        ; -- End function
	.set _ZN4vllm25paged_attention_v1_kernelIttLi64ELi16ELi128ELNS_18Fp8KVCacheDataTypeE0ELb1EEEvPT_PKS2_PKT0_S8_ifPKiSA_iPKfiiiSC_SC_iiiii.num_vgpr, 42
	.set _ZN4vllm25paged_attention_v1_kernelIttLi64ELi16ELi128ELNS_18Fp8KVCacheDataTypeE0ELb1EEEvPT_PKS2_PKT0_S8_ifPKiSA_iPKfiiiSC_SC_iiiii.num_agpr, 0
	.set _ZN4vllm25paged_attention_v1_kernelIttLi64ELi16ELi128ELNS_18Fp8KVCacheDataTypeE0ELb1EEEvPT_PKS2_PKT0_S8_ifPKiSA_iPKfiiiSC_SC_iiiii.numbered_sgpr, 44
	.set _ZN4vllm25paged_attention_v1_kernelIttLi64ELi16ELi128ELNS_18Fp8KVCacheDataTypeE0ELb1EEEvPT_PKS2_PKT0_S8_ifPKiSA_iPKfiiiSC_SC_iiiii.num_named_barrier, 0
	.set _ZN4vllm25paged_attention_v1_kernelIttLi64ELi16ELi128ELNS_18Fp8KVCacheDataTypeE0ELb1EEEvPT_PKS2_PKT0_S8_ifPKiSA_iPKfiiiSC_SC_iiiii.private_seg_size, 0
	.set _ZN4vllm25paged_attention_v1_kernelIttLi64ELi16ELi128ELNS_18Fp8KVCacheDataTypeE0ELb1EEEvPT_PKS2_PKT0_S8_ifPKiSA_iPKfiiiSC_SC_iiiii.uses_vcc, 1
	.set _ZN4vllm25paged_attention_v1_kernelIttLi64ELi16ELi128ELNS_18Fp8KVCacheDataTypeE0ELb1EEEvPT_PKS2_PKT0_S8_ifPKiSA_iPKfiiiSC_SC_iiiii.uses_flat_scratch, 0
	.set _ZN4vllm25paged_attention_v1_kernelIttLi64ELi16ELi128ELNS_18Fp8KVCacheDataTypeE0ELb1EEEvPT_PKS2_PKT0_S8_ifPKiSA_iPKfiiiSC_SC_iiiii.has_dyn_sized_stack, 0
	.set _ZN4vllm25paged_attention_v1_kernelIttLi64ELi16ELi128ELNS_18Fp8KVCacheDataTypeE0ELb1EEEvPT_PKS2_PKT0_S8_ifPKiSA_iPKfiiiSC_SC_iiiii.has_recursion, 0
	.set _ZN4vllm25paged_attention_v1_kernelIttLi64ELi16ELi128ELNS_18Fp8KVCacheDataTypeE0ELb1EEEvPT_PKS2_PKT0_S8_ifPKiSA_iPKfiiiSC_SC_iiiii.has_indirect_call, 0
	.section	.AMDGPU.csdata,"",@progbits
; Kernel info:
; codeLenInByte = 4484
; TotalNumSgprs: 48
; NumVgprs: 42
; ScratchSize: 0
; MemoryBound: 0
; FloatMode: 240
; IeeeMode: 1
; LDSByteSize: 144 bytes/workgroup (compile time only)
; SGPRBlocks: 5
; VGPRBlocks: 10
; NumSGPRsForWavesPerEU: 48
; NumVGPRsForWavesPerEU: 42
; Occupancy: 5
; WaveLimiterHint : 1
; COMPUTE_PGM_RSRC2:SCRATCH_EN: 0
; COMPUTE_PGM_RSRC2:USER_SGPR: 6
; COMPUTE_PGM_RSRC2:TRAP_HANDLER: 0
; COMPUTE_PGM_RSRC2:TGID_X_EN: 1
; COMPUTE_PGM_RSRC2:TGID_Y_EN: 1
; COMPUTE_PGM_RSRC2:TGID_Z_EN: 1
; COMPUTE_PGM_RSRC2:TIDIG_COMP_CNT: 0
	.section	.text._ZN4vllm25paged_attention_v1_kernelIttLi80ELi16ELi128ELNS_18Fp8KVCacheDataTypeE0ELb1EEEvPT_PKS2_PKT0_S8_ifPKiSA_iPKfiiiSC_SC_iiiii,"axG",@progbits,_ZN4vllm25paged_attention_v1_kernelIttLi80ELi16ELi128ELNS_18Fp8KVCacheDataTypeE0ELb1EEEvPT_PKS2_PKT0_S8_ifPKiSA_iPKfiiiSC_SC_iiiii,comdat
	.protected	_ZN4vllm25paged_attention_v1_kernelIttLi80ELi16ELi128ELNS_18Fp8KVCacheDataTypeE0ELb1EEEvPT_PKS2_PKT0_S8_ifPKiSA_iPKfiiiSC_SC_iiiii ; -- Begin function _ZN4vllm25paged_attention_v1_kernelIttLi80ELi16ELi128ELNS_18Fp8KVCacheDataTypeE0ELb1EEEvPT_PKS2_PKT0_S8_ifPKiSA_iPKfiiiSC_SC_iiiii
	.globl	_ZN4vllm25paged_attention_v1_kernelIttLi80ELi16ELi128ELNS_18Fp8KVCacheDataTypeE0ELb1EEEvPT_PKS2_PKT0_S8_ifPKiSA_iPKfiiiSC_SC_iiiii
	.p2align	8
	.type	_ZN4vllm25paged_attention_v1_kernelIttLi80ELi16ELi128ELNS_18Fp8KVCacheDataTypeE0ELb1EEEvPT_PKS2_PKT0_S8_ifPKiSA_iPKfiiiSC_SC_iiiii,@function
_ZN4vllm25paged_attention_v1_kernelIttLi80ELi16ELi128ELNS_18Fp8KVCacheDataTypeE0ELb1EEEvPT_PKS2_PKT0_S8_ifPKiSA_iPKfiiiSC_SC_iiiii: ; @_ZN4vllm25paged_attention_v1_kernelIttLi80ELi16ELi128ELNS_18Fp8KVCacheDataTypeE0ELb1EEEvPT_PKS2_PKT0_S8_ifPKiSA_iPKfiiiSC_SC_iiiii
; %bb.0:
	s_load_dword s9, s[4:5], 0x80
	s_load_dwordx2 s[0:1], s[4:5], 0x30
	s_load_dwordx2 s[30:31], s[4:5], 0x20
	s_mov_b32 s10, s7
	s_ashr_i32 s11, s7, 31
	s_lshl_b64 s[2:3], s[10:11], 2
	s_waitcnt lgkmcnt(0)
	s_add_u32 s0, s0, s2
	s_addc_u32 s1, s1, s3
	s_abs_i32 s2, s30
	v_cvt_f32_u32_e32 v1, s2
	s_sub_i32 s11, 0, s2
	s_abs_i32 s7, s9
	s_xor_b32 s3, s9, s30
	v_rcp_iflag_f32_e32 v1, v1
	s_ashr_i32 s3, s3, 31
	s_mov_b32 s43, 0
	v_mul_f32_e32 v1, 0x4f7ffffe, v1
	v_cvt_u32_f32_e32 v1, v1
	v_readfirstlane_b32 s12, v1
	s_mul_i32 s11, s11, s12
	s_mul_hi_u32 s11, s12, s11
	s_add_i32 s12, s12, s11
	s_mul_hi_u32 s11, s7, s12
	s_mul_i32 s12, s11, s2
	s_sub_i32 s7, s7, s12
	s_add_i32 s12, s11, 1
	s_sub_i32 s13, s7, s2
	s_cmp_ge_u32 s7, s2
	s_cselect_b32 s11, s12, s11
	s_cselect_b32 s7, s13, s7
	s_add_i32 s12, s11, 1
	s_cmp_ge_u32 s7, s2
	s_cselect_b32 s2, s12, s11
	s_xor_b32 s2, s2, s3
	s_sub_i32 s12, s2, s3
	s_abs_i32 s11, s12
	v_cvt_f32_u32_e32 v1, s11
	s_load_dwordx2 s[2:3], s[4:5], 0x40
	s_sub_i32 s7, 0, s11
	s_abs_i32 s22, s6
	v_rcp_iflag_f32_e32 v1, v1
	v_mul_f32_e32 v1, 0x4f7ffffe, v1
	v_cvt_u32_f32_e32 v1, v1
	v_readfirstlane_b32 s13, v1
	s_mul_i32 s7, s7, s13
	s_mul_hi_u32 s7, s13, s7
	s_add_i32 s13, s13, s7
	s_waitcnt lgkmcnt(0)
	s_cmp_eq_u64 s[2:3], 0
	s_mul_hi_u32 s23, s22, s13
	s_cbranch_scc1 .LBB74_2
; %bb.1:
	s_ashr_i32 s7, s6, 31
	s_lshl_b64 s[14:15], s[6:7], 2
	s_add_u32 s2, s2, s14
	s_addc_u32 s3, s3, s15
	s_load_dword s43, s[2:3], 0x0
.LBB74_2:
	s_load_dword s33, s[0:1], 0x0
	s_ashr_i32 s7, s12, 31
	s_load_dwordx4 s[12:15], s[4:5], 0x48
	s_ashr_i32 s2, s6, 31
	v_and_b32_e32 v1, 3, v0
	s_mul_i32 s20, s6, 0x50
	v_cmp_gt_u32_e32 vcc, 40, v0
	v_lshlrev_b32_e32 v2, 2, v0
	s_and_saveexec_b64 s[0:1], vcc
	s_cbranch_execz .LBB74_4
; %bb.3:
	s_load_dwordx2 s[16:17], s[4:5], 0x8
	s_waitcnt lgkmcnt(0)
	s_mul_i32 s18, s12, s10
	s_ashr_i32 s19, s18, 31
	s_lshl_b64 s[18:19], s[18:19], 1
	v_and_b32_e32 v4, 0x3fc, v0
	s_add_u32 s3, s16, s18
	s_addc_u32 s12, s17, s19
	s_ashr_i32 s21, s20, 31
	s_lshl_b64 s[16:17], s[20:21], 1
	s_add_u32 s16, s3, s16
	s_addc_u32 s17, s12, s17
	global_load_dword v3, v2, s[16:17]
	v_mad_u32_u24 v4, v1, 40, v4
	s_waitcnt vmcnt(0)
	ds_write_b32 v4, v3
.LBB74_4:
	s_or_b64 exec, exec, s[0:1]
	s_mul_i32 s1, s23, s11
	s_sub_i32 s1, s22, s1
	s_xor_b32 s0, s2, s7
	s_add_i32 s2, s23, 1
	s_sub_i32 s7, s1, s11
	s_load_dwordx4 s[16:19], s[4:5], 0x68
	s_load_dword s3, s[4:5], 0x78
	s_cmp_ge_u32 s1, s11
	s_cselect_b32 s2, s2, s23
	s_cselect_b32 s1, s7, s1
	s_add_i32 s7, s2, 1
	s_cmp_ge_u32 s1, s11
	s_cselect_b32 s1, s7, s2
	s_waitcnt lgkmcnt(0)
	s_abs_i32 s21, s19
	v_cvt_f32_u32_e32 v3, s21
	s_xor_b32 s1, s1, s0
	s_sub_i32 s2, s1, s0
	s_sub_i32 s0, 0, s21
	v_rcp_iflag_f32_e32 v3, v3
	s_add_i32 s11, s33, -1
	s_abs_i32 s7, s11
	v_mul_f32_e32 v3, 0x4f7ffffe, v3
	v_cvt_u32_f32_e32 v3, v3
	s_barrier
	v_readfirstlane_b32 s40, v3
	s_mul_i32 s0, s0, s40
	s_mul_hi_u32 s0, s40, s0
	s_add_i32 s40, s40, s0
	s_cmp_lt_i32 s3, 0
	s_mul_hi_u32 s12, s7, s40
	s_cbranch_scc0 .LBB74_6
; %bb.5:
	s_mul_i32 s0, s16, s30
	s_add_i32 s0, s2, s0
	s_mul_i32 s0, s0, s3
	s_sub_i32 s41, 1, s0
	s_mov_b64 s[0:1], 0
	s_branch .LBB74_7
.LBB74_6:
	s_mov_b64 s[0:1], -1
                                        ; implicit-def: $sgpr41
.LBB74_7:
	s_load_dwordx2 s[24:25], s[4:5], 0x28
	s_ashr_i32 s15, s11, 31
	s_andn2_b64 vcc, exec, s[0:1]
	s_ashr_i32 s19, s19, 31
	s_cbranch_vccnz .LBB74_9
; %bb.8:
	s_mul_i32 s0, s9, s16
	s_add_i32 s0, s0, s6
	s_mul_i32 s0, s0, s3
	s_add_i32 s41, s0, 1
.LBB74_9:
	s_load_dword s0, s[4:5], 0x38
	s_load_dwordx2 s[22:23], s[4:5], 0x0
	s_load_dwordx2 s[28:29], s[4:5], 0x18
	s_load_dword s11, s[4:5], 0x88
	s_xor_b32 s1, s15, s19
	s_waitcnt lgkmcnt(0)
	s_mul_i32 s26, s0, s10
	s_mul_i32 s0, s12, s21
	s_sub_i32 s0, s7, s0
	s_ashr_i32 s27, s26, 31
	s_add_i32 s3, s12, 1
	s_sub_i32 s6, s0, s21
	s_cmp_ge_u32 s0, s21
	s_cselect_b32 s3, s3, s12
	s_cselect_b32 s0, s6, s0
	s_add_i32 s6, s3, 1
	s_cmp_ge_u32 s0, s21
	s_cselect_b32 s0, s6, s3
	s_xor_b32 s0, s0, s1
	s_sub_i32 s12, s0, s1
	s_add_i32 s0, s33, 15
	s_ashr_i32 s1, s0, 31
	s_lshr_b32 s1, s1, 28
	s_add_i32 s0, s0, s1
	s_ashr_i32 s42, s0, 4
	v_lshrrev_b32_e32 v9, 6, v0
	v_cmp_le_i32_e64 s[0:1], s42, v9
	v_cmp_gt_i32_e32 vcc, s42, v9
	v_mov_b32_e32 v8, 0xff7fffff
	s_mul_i32 s14, s2, s14
	v_lshrrev_b32_e32 v3, 4, v0
	v_lshlrev_b32_e32 v10, 4, v9
	v_mbcnt_lo_u32_b32 v4, -1, 0
	s_and_saveexec_b64 s[34:35], vcc
	s_cbranch_execz .LBB74_21
; %bb.10:
	s_load_dwordx2 s[2:3], s[4:5], 0x10
	s_ashr_i32 s15, s14, 31
	s_sub_i32 s16, s12, s17
	s_lshl_b64 s[4:5], s[14:15], 1
	v_and_b32_e32 v2, 12, v2
	s_waitcnt lgkmcnt(0)
	s_add_u32 s2, s2, s4
	s_addc_u32 s3, s3, s5
	s_abs_i32 s15, s18
	v_cvt_f32_u32_e32 v5, s15
	v_mov_b32_e32 v7, s3
	s_sub_i32 s3, 0, s15
	s_lshl_b64 s[4:5], s[26:27], 2
	v_rcp_iflag_f32_e32 v6, v5
	v_bfe_u32 v5, v0, 2, 4
	s_add_u32 s4, s24, s4
	v_cmp_eq_u32_e32 vcc, 0, v1
	v_mul_f32_e32 v6, 0x4f7ffffe, v6
	v_cvt_u32_f32_e32 v8, v6
	v_lshlrev_b32_e32 v6, 4, v5
	s_addc_u32 s5, s25, s5
	v_mbcnt_hi_u32_b32 v17, -1, v4
	v_mul_lo_u32 v11, s3, v8
	v_add_co_u32_e64 v6, s[2:3], s2, v6
	v_addc_co_u32_e64 v7, s[2:3], 0, v7, s[2:3]
	v_mul_hi_u32 v12, v8, v11
	v_add_co_u32_e64 v6, s[2:3], v6, v2
	v_mul_u32_u24_e32 v11, 40, v1
	v_add_u32_e32 v12, v8, v12
	v_subrev_u32_e32 v8, s33, v5
	v_add_u32_e32 v14, 1, v8
	v_lshlrev_b32_e32 v8, 2, v5
	v_and_b32_e32 v1, 60, v3
	v_lshl_or_b32 v8, v9, 6, v8
	v_addc_co_u32_e64 v7, s[2:3], 0, v7, s[2:3]
	v_mov_b32_e32 v2, s5
	v_add_co_u32_e64 v1, s[4:5], s4, v1
	v_add_u32_e32 v15, 0xb0, v8
	v_and_b32_e32 v8, 64, v17
	s_mov_b32 s30, s13
	v_cmp_neq_f32_e64 s[2:3], s43, 0
	v_addc_co_u32_e64 v2, s[4:5], 0, v2, s[4:5]
	v_lshlrev_b32_e32 v13, 4, v9
	v_mov_b32_e32 v16, 0xff7fffff
	s_mov_b64 s[36:37], 0
	v_add_u32_e32 v18, 64, v8
	v_xor_b32_e32 v19, 2, v17
	v_xor_b32_e32 v20, 1, v17
	v_mov_b32_e32 v8, 0xff7fffff
	v_mov_b32_e32 v21, v9
	s_branch .LBB74_13
.LBB74_11:                              ;   in Loop: Header=BB74_13 Depth=1
	s_or_b64 exec, exec, s[38:39]
.LBB74_12:                              ;   in Loop: Header=BB74_13 Depth=1
	s_or_b64 exec, exec, s[6:7]
	v_add_co_u32_e64 v1, s[4:5], 8, v1
	v_add_u32_e32 v21, 2, v21
	v_addc_co_u32_e64 v2, s[4:5], 0, v2, s[4:5]
	v_cmp_le_i32_e64 s[4:5], s42, v21
	v_add_u32_e32 v13, 32, v13
	s_or_b64 s[36:37], s[4:5], s[36:37]
	v_add_u32_e32 v15, 0x80, v15
	s_andn2_b64 exec, exec, s[36:37]
	s_cbranch_execz .LBB74_20
.LBB74_13:                              ; =>This Inner Loop Header: Depth=1
	v_mul_hi_u32 v22, v13, s40
	s_waitcnt lgkmcnt(0)
	v_mul_lo_u32 v23, v22, s21
	v_add_u32_e32 v24, 1, v22
	v_sub_u32_e32 v23, v13, v23
	v_cmp_le_u32_e64 s[4:5], s21, v23
	v_cndmask_b32_e64 v22, v22, v24, s[4:5]
	v_subrev_u32_e32 v24, s21, v23
	v_cndmask_b32_e64 v23, v23, v24, s[4:5]
	v_add_u32_e32 v24, 1, v22
	v_cmp_le_u32_e64 s[4:5], s21, v23
	v_cndmask_b32_e64 v22, v22, v24, s[4:5]
	v_xor_b32_e32 v22, s19, v22
	v_subrev_u32_e32 v22, s19, v22
	v_add_u32_e32 v23, s41, v22
	v_sub_u32_e32 v24, 0, v23
	v_max_i32_e32 v24, v23, v24
	v_mul_hi_u32 v25, v24, v12
	v_ashrrev_i32_e32 v23, 31, v23
	v_cmp_ge_i32_e64 s[6:7], s16, v22
	v_mul_lo_u32 v25, v25, s15
	v_sub_u32_e32 v24, v24, v25
	v_subrev_u32_e32 v25, s15, v24
	v_cmp_le_u32_e64 s[4:5], s15, v24
	v_cndmask_b32_e64 v24, v24, v25, s[4:5]
	v_subrev_u32_e32 v25, s15, v24
	v_cmp_le_u32_e64 s[4:5], s15, v24
	v_cndmask_b32_e64 v24, v24, v25, s[4:5]
	v_xor_b32_e32 v24, v24, v23
	v_sub_u32_e32 v23, v24, v23
	v_cmp_ne_u32_e64 s[4:5], 0, v23
	s_and_b64 s[4:5], s[4:5], s[6:7]
	s_and_saveexec_b64 s[6:7], s[4:5]
	s_xor_b64 s[4:5], exec, s[6:7]
	s_cbranch_execz .LBB74_17
; %bb.14:                               ;   in Loop: Header=BB74_13 Depth=1
	s_and_saveexec_b64 s[6:7], vcc
; %bb.15:                               ;   in Loop: Header=BB74_13 Depth=1
	ds_write_b32 v15, v16
; %bb.16:                               ;   in Loop: Header=BB74_13 Depth=1
	s_or_b64 exec, exec, s[6:7]
.LBB74_17:                              ;   in Loop: Header=BB74_13 Depth=1
	s_andn2_saveexec_b64 s[6:7], s[4:5]
	s_cbranch_execz .LBB74_12
; %bb.18:                               ;   in Loop: Header=BB74_13 Depth=1
	global_load_dword v22, v[1:2], off
	s_waitcnt vmcnt(0)
	v_mad_i64_i32 v[22:23], s[4:5], v22, s30, 0
	v_lshlrev_b64 v[22:23], 1, v[22:23]
	v_add_co_u32_e64 v32, s[4:5], v6, v22
	v_addc_co_u32_e64 v33, s[4:5], v7, v23, s[4:5]
	global_load_dword v31, v[32:33], off
	global_load_dword v30, v[32:33], off offset:256
	global_load_dword v29, v[32:33], off offset:512
	;; [unrolled: 1-line block ×9, first 2 shown]
	ds_read_b32 v33, v11
	v_cmp_lt_i32_e64 s[4:5], v19, v18
	v_cndmask_b32_e64 v32, v17, v19, s[4:5]
	v_lshlrev_b32_e32 v32, 2, v32
	v_cmp_lt_i32_e64 s[4:5], v20, v18
	s_waitcnt lgkmcnt(0)
	v_lshrrev_b32_e32 v34, 16, v33
	v_and_b32_e32 v33, 0xffff, v33
	;;#ASMSTART
	v_cvt_f32_f16 v33, v33;
	;;#ASMEND
	;;#ASMSTART
	v_cvt_f32_f16 v34, v34;
	;;#ASMEND
	s_waitcnt vmcnt(9)
	v_lshrrev_b32_e32 v35, 16, v31
	v_and_b32_e32 v31, 0xffff, v31
	;;#ASMSTART
	v_cvt_f32_f16 v31, v31;
	;;#ASMEND
	;;#ASMSTART
	v_cvt_f32_f16 v35, v35;
	;;#ASMEND
	ds_read_b32 v36, v11 offset:4
	s_waitcnt vmcnt(8)
	v_and_b32_e32 v37, 0xffff, v30
	v_lshrrev_b32_e32 v38, 16, v30
	s_waitcnt vmcnt(7)
	v_lshrrev_b32_e32 v39, 16, v29
	v_and_b32_e32 v40, 0xffff, v29
	s_waitcnt lgkmcnt(0)
	v_lshrrev_b32_e32 v30, 16, v36
	v_and_b32_e32 v29, 0xffff, v36
	;;#ASMSTART
	v_cvt_f32_f16 v29, v29;
	;;#ASMEND
	;;#ASMSTART
	v_cvt_f32_f16 v30, v30;
	;;#ASMEND
	;; [unrolled: 3-line block ×4, first 2 shown]
	ds_read_b32 v38, v11 offset:8
	s_waitcnt vmcnt(6)
	v_lshrrev_b32_e32 v41, 16, v28
	v_and_b32_e32 v42, 0xffff, v28
	s_waitcnt vmcnt(5)
	v_lshrrev_b32_e32 v43, 16, v27
	v_and_b32_e32 v44, 0xffff, v27
	s_waitcnt lgkmcnt(0)
	v_lshrrev_b32_e32 v28, 16, v38
	v_and_b32_e32 v27, 0xffff, v38
	;;#ASMSTART
	v_cvt_f32_f16 v27, v27;
	;;#ASMEND
	;;#ASMSTART
	v_cvt_f32_f16 v28, v28;
	;;#ASMEND
	;;#ASMSTART
	v_cvt_f32_f16 v38, v40;
	;;#ASMEND
	;;#ASMSTART
	v_cvt_f32_f16 v39, v39;
	;;#ASMEND
	ds_read_b32 v40, v11 offset:12
	s_waitcnt vmcnt(4)
	v_lshrrev_b32_e32 v45, 16, v26
	v_and_b32_e32 v46, 0xffff, v26
	s_waitcnt vmcnt(3)
	v_lshrrev_b32_e32 v47, 16, v25
	v_and_b32_e32 v48, 0xffff, v25
	s_waitcnt lgkmcnt(0)
	v_lshrrev_b32_e32 v26, 16, v40
	v_and_b32_e32 v25, 0xffff, v40
	;;#ASMSTART
	v_cvt_f32_f16 v25, v25;
	;;#ASMEND
	;;#ASMSTART
	v_cvt_f32_f16 v26, v26;
	;;#ASMEND
	;; [unrolled: 3-line block ×4, first 2 shown]
	ds_read_b32 v42, v11 offset:16
	v_mul_f32_e32 v29, v29, v36
	s_waitcnt vmcnt(2)
	v_lshrrev_b32_e32 v49, 16, v24
	v_and_b32_e32 v50, 0xffff, v24
	v_fmac_f32_e32 v29, v33, v31
	s_waitcnt lgkmcnt(0)
	v_lshrrev_b32_e32 v31, 16, v42
	v_and_b32_e32 v24, 0xffff, v42
	;;#ASMSTART
	v_cvt_f32_f16 v24, v24;
	;;#ASMEND
	;;#ASMSTART
	v_cvt_f32_f16 v31, v31;
	;;#ASMEND
	;; [unrolled: 3-line block ×4, first 2 shown]
	ds_read_b32 v42, v11 offset:20
	v_mul_f32_e32 v30, v30, v37
	s_waitcnt vmcnt(1)
	v_lshrrev_b32_e32 v43, 16, v23
	v_and_b32_e32 v44, 0xffff, v23
	v_fmac_f32_e32 v30, v34, v35
	s_waitcnt lgkmcnt(0)
	v_lshrrev_b32_e32 v34, 16, v42
	v_and_b32_e32 v23, 0xffff, v42
	;;#ASMSTART
	v_cvt_f32_f16 v23, v23;
	;;#ASMEND
	;;#ASMSTART
	v_cvt_f32_f16 v34, v34;
	;;#ASMEND
	;; [unrolled: 3-line block ×4, first 2 shown]
	ds_read_b32 v42, v11 offset:24
	v_fmac_f32_e32 v29, v27, v38
	s_waitcnt vmcnt(0)
	v_lshrrev_b32_e32 v45, 16, v22
	v_and_b32_e32 v46, 0xffff, v22
	v_fmac_f32_e32 v30, v28, v39
	s_waitcnt lgkmcnt(0)
	v_lshrrev_b32_e32 v27, 16, v42
	v_and_b32_e32 v22, 0xffff, v42
	;;#ASMSTART
	v_cvt_f32_f16 v22, v22;
	;;#ASMEND
	;;#ASMSTART
	v_cvt_f32_f16 v27, v27;
	;;#ASMEND
	;;#ASMSTART
	v_cvt_f32_f16 v28, v48;
	;;#ASMEND
	;;#ASMSTART
	v_cvt_f32_f16 v38, v47;
	;;#ASMEND
	ds_read_b32 v39, v11 offset:28
	v_fmac_f32_e32 v29, v25, v40
	v_fmac_f32_e32 v30, v26, v41
	v_fmac_f32_e32 v29, v24, v33
	v_fmac_f32_e32 v30, v31, v36
	s_waitcnt lgkmcnt(0)
	v_lshrrev_b32_e32 v25, 16, v39
	v_and_b32_e32 v24, 0xffff, v39
	;;#ASMSTART
	v_cvt_f32_f16 v24, v24;
	;;#ASMEND
	;;#ASMSTART
	v_cvt_f32_f16 v25, v25;
	;;#ASMEND
	;;#ASMSTART
	v_cvt_f32_f16 v26, v50;
	;;#ASMEND
	;;#ASMSTART
	v_cvt_f32_f16 v31, v49;
	;;#ASMEND
	ds_read_b32 v33, v11 offset:32
	v_fmac_f32_e32 v29, v23, v35
	v_fmac_f32_e32 v30, v34, v37
	v_fmac_f32_e32 v29, v22, v28
	;; [unrolled: 20-line block ×3, first 2 shown]
	v_fmac_f32_e32 v30, v23, v28
	s_waitcnt lgkmcnt(0)
	v_lshrrev_b32_e32 v23, 16, v33
	v_and_b32_e32 v22, 0xffff, v33
	;;#ASMSTART
	v_cvt_f32_f16 v22, v22;
	;;#ASMEND
	;;#ASMSTART
	v_cvt_f32_f16 v23, v23;
	;;#ASMEND
	;; [unrolled: 3-line block ×4, first 2 shown]
	v_fmac_f32_e32 v29, v22, v24
	v_fmac_f32_e32 v30, v23, v25
	v_add_f32_e32 v22, v29, v30
	ds_bpermute_b32 v23, v32, v22
	v_cndmask_b32_e64 v24, v17, v20, s[4:5]
	s_waitcnt lgkmcnt(0)
	v_add_f32_e32 v22, v22, v23
	v_lshlrev_b32_e32 v23, 2, v24
	ds_bpermute_b32 v23, v23, v22
	s_and_saveexec_b64 s[38:39], vcc
	s_cbranch_execz .LBB74_11
; %bb.19:                               ;   in Loop: Header=BB74_13 Depth=1
	v_add_u32_e32 v24, v14, v13
	v_cvt_f32_i32_e32 v24, v24
	s_waitcnt lgkmcnt(0)
	v_add_f32_e32 v22, v22, v23
	v_add_u32_e32 v25, v5, v13
	v_cmp_gt_i32_e64 s[4:5], s33, v25
	v_mul_f32_e32 v23, s43, v24
	v_cndmask_b32_e64 v23, 0, v23, s[2:3]
	v_fmac_f32_e32 v23, s31, v22
	v_cndmask_b32_e64 v22, 0, v23, s[4:5]
	ds_write_b32 v15, v22
	v_max_f32_e32 v22, v8, v8
	v_max_f32_e32 v22, v22, v23
	v_cndmask_b32_e64 v8, v8, v22, s[4:5]
	s_branch .LBB74_11
.LBB74_20:
	s_or_b64 exec, exec, s[36:37]
.LBB74_21:
	s_or_b64 exec, exec, s[34:35]
	v_mbcnt_hi_u32_b32 v2, -1, v4
	v_and_b32_e32 v14, 64, v2
	v_add_u32_e32 v4, 64, v14
	v_xor_b32_e32 v1, 32, v2
	v_cmp_lt_i32_e32 vcc, v1, v4
	v_cndmask_b32_e32 v1, v2, v1, vcc
	v_lshlrev_b32_e32 v5, 2, v1
	ds_bpermute_b32 v1, v5, v8
	v_xor_b32_e32 v7, 16, v2
	v_max_f32_e32 v6, v8, v8
	v_cmp_lt_i32_e32 vcc, v7, v4
	v_xor_b32_e32 v8, 8, v2
	s_waitcnt lgkmcnt(0)
	v_max_f32_e32 v1, v1, v1
	v_max_f32_e32 v1, v6, v1
	v_cndmask_b32_e32 v6, v2, v7, vcc
	v_lshlrev_b32_e32 v6, 2, v6
	ds_bpermute_b32 v7, v6, v1
	v_cmp_lt_i32_e32 vcc, v8, v4
	v_xor_b32_e32 v11, 4, v2
	s_waitcnt lgkmcnt(0)
	v_max_f32_e32 v7, v7, v7
	v_max_f32_e32 v1, v1, v7
	v_cndmask_b32_e32 v7, v2, v8, vcc
	v_lshlrev_b32_e32 v12, 2, v7
	ds_bpermute_b32 v7, v12, v1
	v_cmp_lt_i32_e32 vcc, v11, v4
	s_waitcnt lgkmcnt(0)
	v_max_f32_e32 v7, v7, v7
	v_max_f32_e32 v8, v1, v7
	v_cndmask_b32_e32 v1, v2, v11, vcc
	v_lshlrev_b32_e32 v13, 2, v1
	ds_bpermute_b32 v11, v13, v8
	v_and_b32_e32 v1, 63, v0
	v_cmp_eq_u32_e32 vcc, 0, v1
	v_lshlrev_b32_e32 v7, 2, v9
	s_and_saveexec_b64 s[2:3], vcc
	s_cbranch_execz .LBB74_23
; %bb.22:
	s_waitcnt lgkmcnt(0)
	v_max_f32_e32 v11, v11, v11
	v_max_f32_e32 v8, v8, v8
	;; [unrolled: 1-line block ×3, first 2 shown]
	ds_write_b32 v7, v8 offset:160
.LBB74_23:
	s_or_b64 exec, exec, s[2:3]
	v_cmp_gt_u32_e64 s[2:3], 2, v1
	v_mov_b32_e32 v15, 0xff7fffff
	v_lshlrev_b32_e32 v8, 2, v1
	s_waitcnt lgkmcnt(0)
	s_barrier
	s_and_saveexec_b64 s[4:5], s[2:3]
; %bb.24:
	ds_read_b32 v15, v8 offset:160
; %bb.25:
	s_or_b64 exec, exec, s[4:5]
	v_xor_b32_e32 v11, 1, v2
	v_cmp_lt_i32_e64 s[4:5], v11, v4
	v_cndmask_b32_e64 v11, v2, v11, s[4:5]
	v_lshlrev_b32_e32 v11, 2, v11
	s_waitcnt lgkmcnt(0)
	ds_bpermute_b32 v16, v11, v15
	v_max_f32_e32 v15, v15, v15
	v_lshlrev_b32_e32 v14, 2, v14
	s_lshl_b32 s4, s42, 4
	s_min_i32 s15, s4, s33
	s_waitcnt lgkmcnt(0)
	v_max_f32_e32 v16, v16, v16
	v_max_f32_e32 v15, v15, v16
	ds_bpermute_b32 v15, v14, v15
	v_cmp_gt_i32_e64 s[4:5], s15, v0
	v_mov_b32_e32 v14, 0
	s_and_saveexec_b64 s[30:31], s[4:5]
	s_cbranch_execz .LBB74_29
; %bb.26:
	v_mov_b32_e32 v14, 0xb0
	v_lshl_add_u32 v16, v0, 2, v14
	v_mov_b32_e32 v14, 0
	s_mov_b64 s[34:35], 0
	v_mov_b32_e32 v17, v0
.LBB74_27:                              ; =>This Inner Loop Header: Depth=1
	ds_read_b32 v18, v16
	v_add_u32_e32 v17, 0x80, v17
	v_cmp_le_i32_e64 s[6:7], s15, v17
	s_or_b64 s[34:35], s[6:7], s[34:35]
	s_waitcnt lgkmcnt(0)
	v_sub_f32_e32 v18, v18, v15
	v_mul_f32_e32 v18, 0x3fb8aa3b, v18
	v_exp_f32_e32 v18, v18
	ds_write_b32 v16, v18
	v_add_f32_e32 v14, v14, v18
	v_add_u32_e32 v16, 0x200, v16
	s_andn2_b64 exec, exec, s[34:35]
	s_cbranch_execnz .LBB74_27
; %bb.28:
	s_or_b64 exec, exec, s[34:35]
.LBB74_29:
	s_or_b64 exec, exec, s[30:31]
	ds_bpermute_b32 v5, v5, v14
	s_waitcnt lgkmcnt(0)
	v_add_f32_e32 v5, v14, v5
	ds_bpermute_b32 v6, v6, v5
	s_waitcnt lgkmcnt(0)
	v_add_f32_e32 v5, v5, v6
	ds_bpermute_b32 v6, v12, v5
	v_xor_b32_e32 v12, 2, v2
	v_cmp_lt_i32_e64 s[6:7], v12, v4
	v_cndmask_b32_e64 v4, v2, v12, s[6:7]
	v_lshlrev_b32_e32 v4, 2, v4
	s_waitcnt lgkmcnt(0)
	v_add_f32_e32 v5, v5, v6
	ds_bpermute_b32 v6, v13, v5
	s_waitcnt lgkmcnt(0)
	v_add_f32_e32 v5, v5, v6
	ds_bpermute_b32 v4, v4, v5
	;; [unrolled: 3-line block ×3, first 2 shown]
	s_waitcnt lgkmcnt(0)
	v_add_f32_e32 v4, v4, v5
	s_and_saveexec_b64 s[6:7], vcc
; %bb.30:
	ds_write_b32 v7, v4 offset:168
; %bb.31:
	s_or_b64 exec, exec, s[6:7]
	s_waitcnt lgkmcnt(0)
	s_barrier
	s_and_saveexec_b64 s[6:7], s[2:3]
; %bb.32:
	ds_read_b32 v4, v8 offset:168
; %bb.33:
	s_or_b64 exec, exec, s[6:7]
	s_waitcnt lgkmcnt(0)
	ds_bpermute_b32 v5, v11, v4
	v_lshlrev_b32_e32 v2, 2, v2
	v_and_b32_e32 v2, 0x100, v2
	s_waitcnt lgkmcnt(0)
	v_add_f32_e32 v4, v4, v5
	ds_bpermute_b32 v2, v2, v4
	s_and_saveexec_b64 s[2:3], s[4:5]
	s_cbranch_execz .LBB74_36
; %bb.34:
	s_waitcnt lgkmcnt(0)
	v_add_f32_e32 v4, 0x358637bd, v2
	v_div_scale_f32 v2, s[4:5], v4, v4, 1.0
	v_div_scale_f32 v5, vcc, 1.0, v4, 1.0
	s_mov_b64 s[4:5], 0
	v_rcp_f32_e32 v6, v2
	v_fma_f32 v7, -v2, v6, 1.0
	v_fmac_f32_e32 v6, v7, v6
	v_mul_f32_e32 v7, v5, v6
	v_fma_f32 v8, -v2, v7, v5
	v_fmac_f32_e32 v7, v8, v6
	v_fma_f32 v2, -v2, v7, v5
	v_div_fmas_f32 v5, v2, v6, v7
	v_mov_b32_e32 v2, 0xb0
	v_lshl_add_u32 v2, v0, 2, v2
	v_div_fixup_f32 v4, v5, v4, 1.0
	v_mov_b32_e32 v5, v0
.LBB74_35:                              ; =>This Inner Loop Header: Depth=1
	ds_read_b32 v6, v2
	v_add_u32_e32 v5, 0x80, v5
	v_cmp_le_i32_e32 vcc, s15, v5
	s_or_b64 s[4:5], vcc, s[4:5]
	s_waitcnt lgkmcnt(0)
	v_mul_f32_e32 v6, v4, v6
	ds_write_b32 v2, v6
	v_add_u32_e32 v2, 0x200, v2
	s_andn2_b64 exec, exec, s[4:5]
	s_cbranch_execnz .LBB74_35
.LBB74_36:
	s_or_b64 exec, exec, s[2:3]
	v_lshrrev_b32_e32 v12, 1, v1
	s_waitcnt lgkmcnt(0)
	s_barrier
	s_and_saveexec_b64 s[2:3], s[0:1]
	s_xor_b64 s[0:1], exec, s[2:3]
; %bb.37:
	v_lshrrev_b32_e32 v12, 1, v1
                                        ; implicit-def: $vgpr10
                                        ; implicit-def: $vgpr9
                                        ; implicit-def: $vgpr3
; %bb.38:
	s_or_saveexec_b64 s[4:5], s[0:1]
	v_mov_b32_e32 v15, 0
	v_and_b32_e32 v13, 1, v0
	v_mov_b32_e32 v16, 0
	v_mov_b32_e32 v18, 0
	s_xor_b64 exec, exec, s[4:5]
	s_cbranch_execz .LBB74_52
; %bb.39:
	s_ashr_i32 s15, s14, 31
	s_sub_i32 s30, s12, s17
	s_lshl_b64 s[0:1], s[14:15], 1
	s_add_u32 s28, s28, s0
	s_addc_u32 s29, s29, s1
	s_abs_i32 s18, s18
	v_cvt_f32_u32_e32 v1, s18
	s_sub_i32 s1, 0, s18
	s_add_i32 s34, s42, -1
	s_lshl_b64 s[2:3], s[26:27], 2
	v_rcp_iflag_f32_e32 v1, v1
	s_add_u32 s2, s24, s2
	v_and_b32_e32 v3, 60, v3
	s_addc_u32 s3, s25, s3
	v_mul_f32_e32 v1, 0x4f7ffffe, v1
	v_cvt_u32_f32_e32 v1, v1
	v_lshlrev_b32_e32 v2, 3, v0
	v_or_b32_e32 v4, 64, v12
	s_movk_i32 s0, 0x50
	v_mul_lo_u32 v5, s1, v1
	v_and_b32_e32 v17, 8, v2
	v_cmp_gt_u32_e64 s[0:1], s0, v4
	v_lshl_or_b32 v2, v12, 4, v17
	v_mul_hi_u32 v5, v1, v5
	v_lshl_or_b32 v4, v4, 4, v17
	s_mov_b32 s31, s13
	v_mov_b32_e32 v14, 0
	v_add_u32_e32 v19, v1, v5
	v_mov_b32_e32 v1, s3
	v_add_co_u32_e32 v5, vcc, s2, v3
	v_addc_co_u32_e32 v6, vcc, 0, v1, vcc
	v_lshlrev_b32_e32 v1, 5, v13
	v_lshl_or_b32 v1, v9, 6, v1
	v_add_u32_e32 v20, 0xb0, v1
	s_mov_b64 s[6:7], 0
	v_lshlrev_b32_e32 v21, 1, v2
	s_mov_b32 s24, 0xffff
	v_lshlrev_b32_e32 v22, 1, v4
	v_mov_b32_e32 v18, 0
	v_mov_b32_e32 v16, 0
	;; [unrolled: 1-line block ×3, first 2 shown]
	s_branch .LBB74_43
.LBB74_40:                              ;   in Loop: Header=BB74_43 Depth=1
	s_or_b64 exec, exec, s[16:17]
	v_lshlrev_b32_e32 v23, 16, v32
	v_and_or_b32 v1, v1, s24, v23
	v_lshlrev_b32_e32 v23, 16, v31
	v_and_or_b32 v2, v2, s24, v23
	;; [unrolled: 2-line block ×3, first 2 shown]
	;;#ASMSTART
	v_pk_mul_f16 v1, v27, v1;

	;;#ASMEND
	;;#ASMSTART
	v_pk_mul_f16 v2, v28, v2;

	;;#ASMEND
	;; [unrolled: 4-line block ×4, first 2 shown]
	;;#ASMSTART
	v_pk_add_f16 v1, v1, v2;

	;;#ASMEND
	;;#ASMSTART
	v_pk_add_f16 v1, v1, v3;

	;;#ASMEND
	;;#ASMSTART
	v_pk_add_f16 v1, v1, v4;

	;;#ASMEND
	v_lshrrev_b32_e32 v2, 16, v1
	v_and_b32_e32 v1, 0xffff, v1
	;;#ASMSTART
	v_cvt_f32_f16 v1, v1;
	;;#ASMEND
	;;#ASMSTART
	v_cvt_f32_f16 v2, v2;
	;;#ASMEND
	v_add_f32_e32 v1, v1, v2
	v_add_f32_e32 v18, v18, v1
.LBB74_41:                              ;   in Loop: Header=BB74_43 Depth=1
	s_or_b64 exec, exec, s[14:15]
	v_add_f32_e32 v1, v24, v25
	v_add_f32_e32 v15, v15, v1
	;; [unrolled: 1-line block ×4, first 2 shown]
.LBB74_42:                              ;   in Loop: Header=BB74_43 Depth=1
	s_or_b64 exec, exec, s[12:13]
	v_add_co_u32_e32 v5, vcc, 8, v5
	v_add_u32_e32 v9, 2, v9
	v_addc_co_u32_e32 v6, vcc, 0, v6, vcc
	v_cmp_le_i32_e32 vcc, s42, v9
	v_add_u32_e32 v10, 32, v10
	s_or_b64 s[6:7], vcc, s[6:7]
	v_add_u32_e32 v20, 0x80, v20
	s_andn2_b64 exec, exec, s[6:7]
	s_cbranch_execz .LBB74_51
.LBB74_43:                              ; =>This Inner Loop Header: Depth=1
	v_mul_hi_u32 v1, v10, s40
	v_mul_lo_u32 v2, v1, s21
	v_add_u32_e32 v3, 1, v1
	v_sub_u32_e32 v2, v10, v2
	v_cmp_le_u32_e32 vcc, s21, v2
	v_cndmask_b32_e32 v1, v1, v3, vcc
	v_subrev_u32_e32 v3, s21, v2
	v_cndmask_b32_e32 v2, v2, v3, vcc
	v_add_u32_e32 v3, 1, v1
	v_cmp_le_u32_e32 vcc, s21, v2
	v_cndmask_b32_e32 v1, v1, v3, vcc
	v_xor_b32_e32 v1, s19, v1
	v_subrev_u32_e32 v1, s19, v1
	v_add_u32_e32 v2, s41, v1
	v_sub_u32_e32 v3, 0, v2
	v_max_i32_e32 v3, v2, v3
	v_mul_hi_u32 v4, v3, v19
	v_ashrrev_i32_e32 v2, 31, v2
	v_cmp_lt_i32_e64 s[2:3], s30, v1
	v_mul_lo_u32 v4, v4, s18
	v_sub_u32_e32 v3, v3, v4
	v_subrev_u32_e32 v4, s18, v3
	v_cmp_le_u32_e32 vcc, s18, v3
	v_cndmask_b32_e32 v3, v3, v4, vcc
	v_subrev_u32_e32 v4, s18, v3
	v_cmp_le_u32_e32 vcc, s18, v3
	v_cndmask_b32_e32 v3, v3, v4, vcc
	v_xor_b32_e32 v3, v3, v2
	v_sub_u32_e32 v2, v3, v2
	v_cmp_eq_u32_e32 vcc, 0, v2
	s_or_b64 s[2:3], vcc, s[2:3]
	s_and_saveexec_b64 s[12:13], s[2:3]
	s_cbranch_execz .LBB74_42
; %bb.44:                               ;   in Loop: Header=BB74_43 Depth=1
	global_load_dword v7, v[5:6], off
	ds_read2_b64 v[1:4], v20 offset1:1
	ds_read2_b64 v[31:34], v20 offset0:2 offset1:3
	v_mov_b32_e32 v8, s29
	v_add_u32_e32 v23, v17, v10
	s_waitcnt lgkmcnt(1)
	;;#ASMSTART
	v_cvt_f16_f32 v24, v1;

	;;#ASMEND
	;;#ASMSTART
	v_cvt_f16_f32 v25, v2;

	;;#ASMEND
	;; [unrolled: 4-line block ×4, first 2 shown]
	s_waitcnt lgkmcnt(0)
	;;#ASMSTART
	v_cvt_f16_f32 v29, v31;

	;;#ASMEND
	;;#ASMSTART
	v_cvt_f16_f32 v32, v32;

	;;#ASMEND
	;; [unrolled: 4-line block ×4, first 2 shown]
	s_waitcnt vmcnt(0)
	v_mad_i64_i32 v[1:2], s[2:3], v7, s31, 0
	v_cmp_eq_u32_e64 s[2:3], s34, v9
	v_lshlrev_b64 v[1:2], 1, v[1:2]
	v_add_co_u32_e32 v30, vcc, s28, v1
	v_addc_co_u32_e32 v31, vcc, v8, v2, vcc
	v_add_co_u32_e32 v7, vcc, v30, v21
	v_addc_co_u32_e32 v8, vcc, 0, v31, vcc
	global_load_dwordx4 v[1:4], v[7:8], off
	s_waitcnt vmcnt(0)
	v_lshrrev_b32_e32 v37, 16, v1
	v_lshrrev_b32_e32 v36, 16, v2
	;; [unrolled: 1-line block ×3, first 2 shown]
	s_and_saveexec_b64 s[14:15], s[2:3]
	s_cbranch_execz .LBB74_46
; %bb.45:                               ;   in Loop: Header=BB74_43 Depth=1
	v_cmp_gt_i32_e32 vcc, s33, v23
	v_add_u32_e32 v27, 1, v23
	v_cndmask_b32_e32 v1, 0, v1, vcc
	v_cmp_gt_i32_e32 vcc, s33, v27
	v_add_u32_e32 v27, 2, v23
	v_cndmask_b32_e32 v37, 0, v37, vcc
	;; [unrolled: 3-line block ×6, first 2 shown]
	v_cmp_gt_i32_e32 vcc, s33, v27
	v_add_u32_e32 v38, 7, v23
	v_cndmask_b32_sdwa v27, v14, v4, vcc dst_sel:DWORD dst_unused:UNUSED_PAD src0_sel:DWORD src1_sel:WORD_0
	v_and_b32_e32 v4, 0xffff0000, v4
	v_cmp_gt_i32_e32 vcc, s33, v38
	v_cndmask_b32_e32 v4, 0, v4, vcc
	v_or_b32_e32 v4, v27, v4
.LBB74_46:                              ;   in Loop: Header=BB74_43 Depth=1
	s_or_b64 exec, exec, s[14:15]
	v_and_b32_e32 v24, 0xffff, v24
	v_lshl_or_b32 v27, v25, 16, v24
	v_and_b32_e32 v24, 0xffff, v26
	v_lshl_or_b32 v28, v28, 16, v24
	;; [unrolled: 2-line block ×4, first 2 shown]
	v_lshlrev_b32_e32 v24, 16, v37
	v_and_or_b32 v1, v1, s24, v24
	v_lshlrev_b32_e32 v24, 16, v36
	v_and_or_b32 v2, v2, s24, v24
	;; [unrolled: 2-line block ×3, first 2 shown]
	;;#ASMSTART
	v_pk_mul_f16 v1, v27, v1;

	;;#ASMEND
	;;#ASMSTART
	v_pk_mul_f16 v2, v28, v2;

	;;#ASMEND
	;; [unrolled: 4-line block ×4, first 2 shown]
	;;#ASMSTART
	v_pk_add_f16 v1, v1, v2;

	;;#ASMEND
	;;#ASMSTART
	v_pk_add_f16 v1, v1, v3;

	;;#ASMEND
	;; [unrolled: 4-line block ×3, first 2 shown]
	v_lshrrev_b32_e32 v2, 16, v1
	v_and_b32_e32 v1, 0xffff, v1
	;;#ASMSTART
	v_cvt_f32_f16 v24, v1;
	;;#ASMEND
	;;#ASMSTART
	v_cvt_f32_f16 v25, v2;
	;;#ASMEND
	global_load_dwordx4 v[1:4], v[7:8], off offset:1024
	s_waitcnt vmcnt(0)
	v_lshrrev_b32_e32 v32, 16, v1
	v_lshrrev_b32_e32 v8, 16, v2
	v_lshrrev_b32_e32 v7, 16, v3
	s_and_saveexec_b64 s[14:15], s[2:3]
	s_cbranch_execz .LBB74_48
; %bb.47:                               ;   in Loop: Header=BB74_43 Depth=1
	v_cmp_gt_i32_e32 vcc, s33, v23
	v_add_u32_e32 v33, 1, v23
	v_cndmask_b32_e32 v1, 0, v1, vcc
	v_cmp_gt_i32_e32 vcc, s33, v33
	v_add_u32_e32 v33, 2, v23
	v_cndmask_b32_e32 v32, 0, v32, vcc
	;; [unrolled: 3-line block ×6, first 2 shown]
	v_cmp_gt_i32_e32 vcc, s33, v33
	v_add_u32_e32 v34, 7, v23
	v_cndmask_b32_sdwa v33, v14, v4, vcc dst_sel:DWORD dst_unused:UNUSED_PAD src0_sel:DWORD src1_sel:WORD_0
	v_and_b32_e32 v4, 0xffff0000, v4
	v_cmp_gt_i32_e32 vcc, s33, v34
	v_cndmask_b32_e32 v4, 0, v4, vcc
	v_or_b32_e32 v4, v33, v4
.LBB74_48:                              ;   in Loop: Header=BB74_43 Depth=1
	s_or_b64 exec, exec, s[14:15]
	v_lshlrev_b32_e32 v32, 16, v32
	v_and_or_b32 v1, v1, s24, v32
	v_lshlrev_b32_e32 v8, 16, v8
	v_lshlrev_b32_e32 v7, 16, v7
	v_and_or_b32 v2, v2, s24, v8
	v_and_or_b32 v3, v3, s24, v7
	;;#ASMSTART
	v_pk_mul_f16 v1, v27, v1;

	;;#ASMEND
	;;#ASMSTART
	v_pk_mul_f16 v2, v28, v2;

	;;#ASMEND
	;; [unrolled: 4-line block ×4, first 2 shown]
	;;#ASMSTART
	v_pk_add_f16 v1, v1, v2;

	;;#ASMEND
	;;#ASMSTART
	v_pk_add_f16 v1, v1, v3;

	;;#ASMEND
	;; [unrolled: 4-line block ×3, first 2 shown]
	v_lshrrev_b32_e32 v2, 16, v1
	v_and_b32_e32 v1, 0xffff, v1
	;;#ASMSTART
	v_cvt_f32_f16 v7, v1;
	;;#ASMEND
	;;#ASMSTART
	v_cvt_f32_f16 v8, v2;
	;;#ASMEND
	s_and_saveexec_b64 s[14:15], s[0:1]
	s_cbranch_execz .LBB74_41
; %bb.49:                               ;   in Loop: Header=BB74_43 Depth=1
	v_add_co_u32_e32 v1, vcc, v30, v22
	v_addc_co_u32_e32 v2, vcc, 0, v31, vcc
	global_load_dwordx4 v[1:4], v[1:2], off
	s_waitcnt vmcnt(0)
	v_lshrrev_b32_e32 v32, 16, v1
	v_lshrrev_b32_e32 v31, 16, v2
	v_lshrrev_b32_e32 v30, 16, v3
	s_and_saveexec_b64 s[16:17], s[2:3]
	s_cbranch_execz .LBB74_40
; %bb.50:                               ;   in Loop: Header=BB74_43 Depth=1
	v_cmp_gt_i32_e32 vcc, s33, v23
	v_add_u32_e32 v33, 1, v23
	v_cndmask_b32_e32 v1, 0, v1, vcc
	v_cmp_gt_i32_e32 vcc, s33, v33
	v_add_u32_e32 v33, 2, v23
	v_cndmask_b32_e32 v32, 0, v32, vcc
	;; [unrolled: 3-line block ×6, first 2 shown]
	v_cmp_gt_i32_e32 vcc, s33, v33
	v_add_u32_e32 v23, 7, v23
	v_cndmask_b32_sdwa v33, v14, v4, vcc dst_sel:DWORD dst_unused:UNUSED_PAD src0_sel:DWORD src1_sel:WORD_0
	v_and_b32_e32 v4, 0xffff0000, v4
	v_cmp_gt_i32_e32 vcc, s33, v23
	v_cndmask_b32_e32 v4, 0, v4, vcc
	v_or_b32_e32 v4, v33, v4
	s_branch .LBB74_40
.LBB74_51:
	s_or_b64 exec, exec, s[6:7]
.LBB74_52:
	s_or_b64 exec, exec, s[4:5]
	ds_bpermute_b32 v1, v11, v15
	ds_bpermute_b32 v4, v11, v18
	;; [unrolled: 1-line block ×3, first 2 shown]
	v_cmp_eq_u32_e32 vcc, 0, v13
	s_waitcnt lgkmcnt(0)
	v_add_f32_e32 v3, v15, v1
	v_add_f32_e32 v1, v18, v4
	v_and_b32_e32 v4, 0x3c0, v0
	v_add_f32_e32 v2, v16, v2
	v_cmp_eq_u32_e64 s[0:1], 64, v4
	s_barrier
	s_and_saveexec_b64 s[2:3], s[0:1]
	s_cbranch_execz .LBB74_57
; %bb.53:
	s_and_saveexec_b64 s[0:1], vcc
; %bb.54:
	v_mov_b32_e32 v4, 0xb0
	v_lshl_add_u32 v4, v12, 2, v4
	ds_write2_b32 v4, v3, v2 offset1:32
; %bb.55:
	s_or_b64 exec, exec, s[0:1]
	v_or_b32_e32 v4, 64, v12
	s_movk_i32 s0, 0x50
	v_cmp_gt_u32_e64 s[0:1], s0, v4
	s_and_b64 s[0:1], vcc, s[0:1]
	s_and_b64 exec, exec, s[0:1]
; %bb.56:
	v_mov_b32_e32 v4, 0xb0
	v_lshl_add_u32 v4, v12, 2, v4
	ds_write_b32 v4, v1 offset:256
.LBB74_57:
	s_or_b64 exec, exec, s[2:3]
	v_cmp_gt_u32_e64 s[0:1], 64, v0
	v_lshrrev_b32_e32 v0, 1, v0
	s_waitcnt lgkmcnt(0)
	s_barrier
	s_and_saveexec_b64 s[4:5], s[0:1]
	s_cbranch_execz .LBB74_65
; %bb.58:
	s_and_saveexec_b64 s[2:3], vcc
	s_cbranch_execz .LBB74_60
; %bb.59:
	v_mov_b32_e32 v4, 0xb0
	v_lshl_add_u32 v4, v0, 2, v4
	ds_read_b32 v4, v4
	s_waitcnt lgkmcnt(0)
	v_add_f32_e32 v3, v3, v4
.LBB74_60:
	s_or_b64 exec, exec, s[2:3]
	v_or_b32_e32 v4, 32, v0
	s_movk_i32 s6, 0x50
	v_cmp_gt_u32_e64 s[2:3], s6, v4
	s_and_b64 s[12:13], vcc, s[2:3]
	s_and_saveexec_b64 s[2:3], s[12:13]
	s_cbranch_execz .LBB74_62
; %bb.61:
	v_mov_b32_e32 v4, 0xb0
	v_lshl_add_u32 v4, v0, 2, v4
	ds_read_b32 v4, v4 offset:128
	s_waitcnt lgkmcnt(0)
	v_add_f32_e32 v2, v2, v4
.LBB74_62:
	s_or_b64 exec, exec, s[2:3]
	v_or_b32_e32 v4, 64, v0
	v_cmp_gt_u32_e64 s[2:3], s6, v4
	s_and_b64 s[6:7], vcc, s[2:3]
	s_and_saveexec_b64 s[2:3], s[6:7]
	s_cbranch_execz .LBB74_64
; %bb.63:
	v_mov_b32_e32 v4, 0xb0
	v_lshl_add_u32 v4, v0, 2, v4
	ds_read_b32 v4, v4 offset:256
	s_waitcnt lgkmcnt(0)
	v_add_f32_e32 v1, v1, v4
.LBB74_64:
	s_or_b64 exec, exec, s[2:3]
.LBB74_65:
	s_or_b64 exec, exec, s[4:5]
	s_barrier
	s_and_saveexec_b64 s[2:3], s[0:1]
	s_cbranch_execz .LBB74_72
; %bb.66:
	s_mul_i32 s0, s10, s11
	s_mul_i32 s0, s0, s9
	s_mulk_i32 s0, 0x50
	s_ashr_i32 s1, s0, 31
	s_lshl_b64 s[0:1], s[0:1], 1
	s_add_u32 s2, s22, s0
	s_mul_i32 s0, s11, s20
	s_addc_u32 s3, s23, s1
	s_ashr_i32 s1, s0, 31
	s_lshl_b64 s[0:1], s[0:1], 1
	s_add_u32 s2, s2, s0
	s_mul_i32 s0, s8, 0x50
	s_addc_u32 s3, s3, s1
	s_ashr_i32 s1, s0, 31
	s_lshl_b64 s[0:1], s[0:1], 1
	s_add_u32 s2, s2, s0
	s_movk_i32 s4, 0x50
	s_addc_u32 s3, s3, s1
	v_lshlrev_b32_e32 v4, 1, v0
	s_and_saveexec_b64 s[0:1], vcc
	s_cbranch_execz .LBB74_68
; %bb.67:
	;;#ASMSTART
	v_cvt_f16_f32 v3, v3;

	;;#ASMEND
	global_store_short v4, v3, s[2:3]
.LBB74_68:
	s_or_b64 exec, exec, s[0:1]
	v_or_b32_e32 v3, 32, v0
	v_cmp_gt_u32_e64 s[0:1], s4, v3
	s_and_b64 s[4:5], vcc, s[0:1]
	s_and_saveexec_b64 s[0:1], s[4:5]
	s_cbranch_execz .LBB74_70
; %bb.69:
	;;#ASMSTART
	v_cvt_f16_f32 v2, v2;

	;;#ASMEND
	global_store_short v4, v2, s[2:3] offset:64
.LBB74_70:
	s_or_b64 exec, exec, s[0:1]
	v_or_b32_e32 v0, 64, v0
	s_movk_i32 s0, 0x50
	v_cmp_gt_u32_e64 s[0:1], s0, v0
	s_and_b64 s[0:1], vcc, s[0:1]
	s_and_b64 exec, exec, s[0:1]
	s_cbranch_execz .LBB74_72
; %bb.71:
	;;#ASMSTART
	v_cvt_f16_f32 v0, v1;

	;;#ASMEND
	global_store_short v4, v0, s[2:3] offset:128
.LBB74_72:
	s_endpgm
	.section	.rodata,"a",@progbits
	.p2align	6, 0x0
	.amdhsa_kernel _ZN4vllm25paged_attention_v1_kernelIttLi80ELi16ELi128ELNS_18Fp8KVCacheDataTypeE0ELb1EEEvPT_PKS2_PKT0_S8_ifPKiSA_iPKfiiiSC_SC_iiiii
		.amdhsa_group_segment_fixed_size 176
		.amdhsa_private_segment_fixed_size 0
		.amdhsa_kernarg_size 384
		.amdhsa_user_sgpr_count 6
		.amdhsa_user_sgpr_private_segment_buffer 1
		.amdhsa_user_sgpr_dispatch_ptr 0
		.amdhsa_user_sgpr_queue_ptr 0
		.amdhsa_user_sgpr_kernarg_segment_ptr 1
		.amdhsa_user_sgpr_dispatch_id 0
		.amdhsa_user_sgpr_flat_scratch_init 0
		.amdhsa_user_sgpr_private_segment_size 0
		.amdhsa_uses_dynamic_stack 0
		.amdhsa_system_sgpr_private_segment_wavefront_offset 0
		.amdhsa_system_sgpr_workgroup_id_x 1
		.amdhsa_system_sgpr_workgroup_id_y 1
		.amdhsa_system_sgpr_workgroup_id_z 1
		.amdhsa_system_sgpr_workgroup_info 0
		.amdhsa_system_vgpr_workitem_id 0
		.amdhsa_next_free_vgpr 51
		.amdhsa_next_free_sgpr 44
		.amdhsa_reserve_vcc 1
		.amdhsa_reserve_flat_scratch 0
		.amdhsa_float_round_mode_32 0
		.amdhsa_float_round_mode_16_64 0
		.amdhsa_float_denorm_mode_32 3
		.amdhsa_float_denorm_mode_16_64 3
		.amdhsa_dx10_clamp 1
		.amdhsa_ieee_mode 1
		.amdhsa_fp16_overflow 0
		.amdhsa_exception_fp_ieee_invalid_op 0
		.amdhsa_exception_fp_denorm_src 0
		.amdhsa_exception_fp_ieee_div_zero 0
		.amdhsa_exception_fp_ieee_overflow 0
		.amdhsa_exception_fp_ieee_underflow 0
		.amdhsa_exception_fp_ieee_inexact 0
		.amdhsa_exception_int_div_zero 0
	.end_amdhsa_kernel
	.section	.text._ZN4vllm25paged_attention_v1_kernelIttLi80ELi16ELi128ELNS_18Fp8KVCacheDataTypeE0ELb1EEEvPT_PKS2_PKT0_S8_ifPKiSA_iPKfiiiSC_SC_iiiii,"axG",@progbits,_ZN4vllm25paged_attention_v1_kernelIttLi80ELi16ELi128ELNS_18Fp8KVCacheDataTypeE0ELb1EEEvPT_PKS2_PKT0_S8_ifPKiSA_iPKfiiiSC_SC_iiiii,comdat
.Lfunc_end74:
	.size	_ZN4vllm25paged_attention_v1_kernelIttLi80ELi16ELi128ELNS_18Fp8KVCacheDataTypeE0ELb1EEEvPT_PKS2_PKT0_S8_ifPKiSA_iPKfiiiSC_SC_iiiii, .Lfunc_end74-_ZN4vllm25paged_attention_v1_kernelIttLi80ELi16ELi128ELNS_18Fp8KVCacheDataTypeE0ELb1EEEvPT_PKS2_PKT0_S8_ifPKiSA_iPKfiiiSC_SC_iiiii
                                        ; -- End function
	.set _ZN4vllm25paged_attention_v1_kernelIttLi80ELi16ELi128ELNS_18Fp8KVCacheDataTypeE0ELb1EEEvPT_PKS2_PKT0_S8_ifPKiSA_iPKfiiiSC_SC_iiiii.num_vgpr, 51
	.set _ZN4vllm25paged_attention_v1_kernelIttLi80ELi16ELi128ELNS_18Fp8KVCacheDataTypeE0ELb1EEEvPT_PKS2_PKT0_S8_ifPKiSA_iPKfiiiSC_SC_iiiii.num_agpr, 0
	.set _ZN4vllm25paged_attention_v1_kernelIttLi80ELi16ELi128ELNS_18Fp8KVCacheDataTypeE0ELb1EEEvPT_PKS2_PKT0_S8_ifPKiSA_iPKfiiiSC_SC_iiiii.numbered_sgpr, 44
	.set _ZN4vllm25paged_attention_v1_kernelIttLi80ELi16ELi128ELNS_18Fp8KVCacheDataTypeE0ELb1EEEvPT_PKS2_PKT0_S8_ifPKiSA_iPKfiiiSC_SC_iiiii.num_named_barrier, 0
	.set _ZN4vllm25paged_attention_v1_kernelIttLi80ELi16ELi128ELNS_18Fp8KVCacheDataTypeE0ELb1EEEvPT_PKS2_PKT0_S8_ifPKiSA_iPKfiiiSC_SC_iiiii.private_seg_size, 0
	.set _ZN4vllm25paged_attention_v1_kernelIttLi80ELi16ELi128ELNS_18Fp8KVCacheDataTypeE0ELb1EEEvPT_PKS2_PKT0_S8_ifPKiSA_iPKfiiiSC_SC_iiiii.uses_vcc, 1
	.set _ZN4vllm25paged_attention_v1_kernelIttLi80ELi16ELi128ELNS_18Fp8KVCacheDataTypeE0ELb1EEEvPT_PKS2_PKT0_S8_ifPKiSA_iPKfiiiSC_SC_iiiii.uses_flat_scratch, 0
	.set _ZN4vllm25paged_attention_v1_kernelIttLi80ELi16ELi128ELNS_18Fp8KVCacheDataTypeE0ELb1EEEvPT_PKS2_PKT0_S8_ifPKiSA_iPKfiiiSC_SC_iiiii.has_dyn_sized_stack, 0
	.set _ZN4vllm25paged_attention_v1_kernelIttLi80ELi16ELi128ELNS_18Fp8KVCacheDataTypeE0ELb1EEEvPT_PKS2_PKT0_S8_ifPKiSA_iPKfiiiSC_SC_iiiii.has_recursion, 0
	.set _ZN4vllm25paged_attention_v1_kernelIttLi80ELi16ELi128ELNS_18Fp8KVCacheDataTypeE0ELb1EEEvPT_PKS2_PKT0_S8_ifPKiSA_iPKfiiiSC_SC_iiiii.has_indirect_call, 0
	.section	.AMDGPU.csdata,"",@progbits
; Kernel info:
; codeLenInByte = 5320
; TotalNumSgprs: 48
; NumVgprs: 51
; ScratchSize: 0
; MemoryBound: 0
; FloatMode: 240
; IeeeMode: 1
; LDSByteSize: 176 bytes/workgroup (compile time only)
; SGPRBlocks: 5
; VGPRBlocks: 12
; NumSGPRsForWavesPerEU: 48
; NumVGPRsForWavesPerEU: 51
; Occupancy: 4
; WaveLimiterHint : 1
; COMPUTE_PGM_RSRC2:SCRATCH_EN: 0
; COMPUTE_PGM_RSRC2:USER_SGPR: 6
; COMPUTE_PGM_RSRC2:TRAP_HANDLER: 0
; COMPUTE_PGM_RSRC2:TGID_X_EN: 1
; COMPUTE_PGM_RSRC2:TGID_Y_EN: 1
; COMPUTE_PGM_RSRC2:TGID_Z_EN: 1
; COMPUTE_PGM_RSRC2:TIDIG_COMP_CNT: 0
	.section	.text._ZN4vllm25paged_attention_v1_kernelIttLi96ELi16ELi128ELNS_18Fp8KVCacheDataTypeE0ELb1EEEvPT_PKS2_PKT0_S8_ifPKiSA_iPKfiiiSC_SC_iiiii,"axG",@progbits,_ZN4vllm25paged_attention_v1_kernelIttLi96ELi16ELi128ELNS_18Fp8KVCacheDataTypeE0ELb1EEEvPT_PKS2_PKT0_S8_ifPKiSA_iPKfiiiSC_SC_iiiii,comdat
	.protected	_ZN4vllm25paged_attention_v1_kernelIttLi96ELi16ELi128ELNS_18Fp8KVCacheDataTypeE0ELb1EEEvPT_PKS2_PKT0_S8_ifPKiSA_iPKfiiiSC_SC_iiiii ; -- Begin function _ZN4vllm25paged_attention_v1_kernelIttLi96ELi16ELi128ELNS_18Fp8KVCacheDataTypeE0ELb1EEEvPT_PKS2_PKT0_S8_ifPKiSA_iPKfiiiSC_SC_iiiii
	.globl	_ZN4vllm25paged_attention_v1_kernelIttLi96ELi16ELi128ELNS_18Fp8KVCacheDataTypeE0ELb1EEEvPT_PKS2_PKT0_S8_ifPKiSA_iPKfiiiSC_SC_iiiii
	.p2align	8
	.type	_ZN4vllm25paged_attention_v1_kernelIttLi96ELi16ELi128ELNS_18Fp8KVCacheDataTypeE0ELb1EEEvPT_PKS2_PKT0_S8_ifPKiSA_iPKfiiiSC_SC_iiiii,@function
_ZN4vllm25paged_attention_v1_kernelIttLi96ELi16ELi128ELNS_18Fp8KVCacheDataTypeE0ELb1EEEvPT_PKS2_PKT0_S8_ifPKiSA_iPKfiiiSC_SC_iiiii: ; @_ZN4vllm25paged_attention_v1_kernelIttLi96ELi16ELi128ELNS_18Fp8KVCacheDataTypeE0ELb1EEEvPT_PKS2_PKT0_S8_ifPKiSA_iPKfiiiSC_SC_iiiii
; %bb.0:
	s_load_dword s9, s[4:5], 0x80
	s_load_dwordx2 s[0:1], s[4:5], 0x30
	s_load_dwordx2 s[30:31], s[4:5], 0x20
	s_mov_b32 s10, s7
	s_ashr_i32 s11, s7, 31
	s_lshl_b64 s[2:3], s[10:11], 2
	s_waitcnt lgkmcnt(0)
	s_add_u32 s0, s0, s2
	s_addc_u32 s1, s1, s3
	s_abs_i32 s2, s30
	v_cvt_f32_u32_e32 v1, s2
	s_sub_i32 s11, 0, s2
	s_abs_i32 s7, s9
	s_xor_b32 s3, s9, s30
	v_rcp_iflag_f32_e32 v1, v1
	s_ashr_i32 s3, s3, 31
	s_mov_b32 s42, 0
	v_mul_f32_e32 v1, 0x4f7ffffe, v1
	v_cvt_u32_f32_e32 v1, v1
	v_readfirstlane_b32 s12, v1
	s_mul_i32 s11, s11, s12
	s_mul_hi_u32 s11, s12, s11
	s_add_i32 s12, s12, s11
	s_mul_hi_u32 s11, s7, s12
	s_mul_i32 s12, s11, s2
	s_sub_i32 s7, s7, s12
	s_add_i32 s12, s11, 1
	s_sub_i32 s13, s7, s2
	s_cmp_ge_u32 s7, s2
	s_cselect_b32 s11, s12, s11
	s_cselect_b32 s7, s13, s7
	s_add_i32 s12, s11, 1
	s_cmp_ge_u32 s7, s2
	s_cselect_b32 s2, s12, s11
	s_xor_b32 s2, s2, s3
	s_sub_i32 s12, s2, s3
	s_abs_i32 s11, s12
	v_cvt_f32_u32_e32 v1, s11
	s_load_dwordx2 s[2:3], s[4:5], 0x40
	s_sub_i32 s7, 0, s11
	s_abs_i32 s22, s6
	v_rcp_iflag_f32_e32 v1, v1
	v_mul_f32_e32 v1, 0x4f7ffffe, v1
	v_cvt_u32_f32_e32 v1, v1
	v_readfirstlane_b32 s13, v1
	s_mul_i32 s7, s7, s13
	s_mul_hi_u32 s7, s13, s7
	s_add_i32 s13, s13, s7
	s_waitcnt lgkmcnt(0)
	s_cmp_eq_u64 s[2:3], 0
	s_mul_hi_u32 s23, s22, s13
	s_cbranch_scc1 .LBB75_2
; %bb.1:
	s_ashr_i32 s7, s6, 31
	s_lshl_b64 s[14:15], s[6:7], 2
	s_add_u32 s2, s2, s14
	s_addc_u32 s3, s3, s15
	s_load_dword s42, s[2:3], 0x0
.LBB75_2:
	s_load_dword s33, s[0:1], 0x0
	s_ashr_i32 s7, s12, 31
	s_load_dwordx4 s[12:15], s[4:5], 0x48
	s_ashr_i32 s2, s6, 31
	v_and_b32_e32 v1, 3, v0
	s_mul_i32 s20, s6, 0x60
	v_cmp_gt_u32_e32 vcc, 48, v0
	v_lshlrev_b32_e32 v2, 2, v0
	s_and_saveexec_b64 s[0:1], vcc
	s_cbranch_execz .LBB75_4
; %bb.3:
	s_load_dwordx2 s[16:17], s[4:5], 0x8
	s_waitcnt lgkmcnt(0)
	s_mul_i32 s18, s12, s10
	s_ashr_i32 s19, s18, 31
	s_lshl_b64 s[18:19], s[18:19], 1
	v_and_b32_e32 v4, 0x3fc, v0
	s_add_u32 s3, s16, s18
	s_addc_u32 s12, s17, s19
	s_ashr_i32 s21, s20, 31
	s_lshl_b64 s[16:17], s[20:21], 1
	s_add_u32 s16, s3, s16
	s_addc_u32 s17, s12, s17
	global_load_dword v3, v2, s[16:17]
	v_mad_u32_u24 v4, v1, 48, v4
	s_waitcnt vmcnt(0)
	ds_write_b32 v4, v3
.LBB75_4:
	s_or_b64 exec, exec, s[0:1]
	s_mul_i32 s1, s23, s11
	s_sub_i32 s1, s22, s1
	s_xor_b32 s0, s2, s7
	s_add_i32 s2, s23, 1
	s_sub_i32 s7, s1, s11
	s_load_dwordx4 s[16:19], s[4:5], 0x68
	s_load_dword s3, s[4:5], 0x78
	s_cmp_ge_u32 s1, s11
	s_cselect_b32 s2, s2, s23
	s_cselect_b32 s1, s7, s1
	s_add_i32 s7, s2, 1
	s_cmp_ge_u32 s1, s11
	s_cselect_b32 s1, s7, s2
	s_waitcnt lgkmcnt(0)
	s_abs_i32 s21, s19
	v_cvt_f32_u32_e32 v3, s21
	s_xor_b32 s1, s1, s0
	s_sub_i32 s2, s1, s0
	s_sub_i32 s0, 0, s21
	v_rcp_iflag_f32_e32 v3, v3
	s_add_i32 s11, s33, -1
	s_abs_i32 s7, s11
	v_mul_f32_e32 v3, 0x4f7ffffe, v3
	v_cvt_u32_f32_e32 v3, v3
	s_barrier
	v_readfirstlane_b32 s40, v3
	s_mul_i32 s0, s0, s40
	s_mul_hi_u32 s0, s40, s0
	s_add_i32 s40, s40, s0
	s_cmp_lt_i32 s3, 0
	s_mul_hi_u32 s12, s7, s40
	s_cbranch_scc0 .LBB75_6
; %bb.5:
	s_mul_i32 s0, s16, s30
	s_add_i32 s0, s2, s0
	s_mul_i32 s0, s0, s3
	s_sub_i32 s41, 1, s0
	s_mov_b64 s[0:1], 0
	s_branch .LBB75_7
.LBB75_6:
	s_mov_b64 s[0:1], -1
                                        ; implicit-def: $sgpr41
.LBB75_7:
	s_load_dwordx2 s[24:25], s[4:5], 0x28
	s_ashr_i32 s15, s11, 31
	s_andn2_b64 vcc, exec, s[0:1]
	s_ashr_i32 s19, s19, 31
	s_cbranch_vccnz .LBB75_9
; %bb.8:
	s_mul_i32 s0, s9, s16
	s_add_i32 s0, s0, s6
	s_mul_i32 s0, s0, s3
	s_add_i32 s41, s0, 1
.LBB75_9:
	s_load_dword s0, s[4:5], 0x38
	s_load_dwordx2 s[22:23], s[4:5], 0x0
	s_load_dwordx2 s[28:29], s[4:5], 0x18
	s_load_dword s11, s[4:5], 0x88
	s_xor_b32 s1, s15, s19
	s_waitcnt lgkmcnt(0)
	s_mul_i32 s26, s0, s10
	s_mul_i32 s0, s12, s21
	s_sub_i32 s0, s7, s0
	s_ashr_i32 s27, s26, 31
	s_add_i32 s3, s12, 1
	s_sub_i32 s6, s0, s21
	s_cmp_ge_u32 s0, s21
	s_cselect_b32 s3, s3, s12
	s_cselect_b32 s0, s6, s0
	s_add_i32 s6, s3, 1
	s_cmp_ge_u32 s0, s21
	s_cselect_b32 s0, s6, s3
	s_xor_b32 s0, s0, s1
	s_sub_i32 s12, s0, s1
	s_add_i32 s0, s33, 15
	s_ashr_i32 s1, s0, 31
	s_lshr_b32 s1, s1, 28
	s_add_i32 s0, s0, s1
	s_ashr_i32 s16, s0, 4
	v_lshrrev_b32_e32 v9, 6, v0
	v_cmp_gt_i32_e64 s[0:1], s16, v9
	v_mov_b32_e32 v12, 0xff7fffff
	s_mul_i32 s14, s2, s14
	v_lshrrev_b32_e32 v5, 4, v0
	v_lshlrev_b32_e32 v10, 4, v9
	v_mbcnt_lo_u32_b32 v6, -1, 0
	s_and_saveexec_b64 s[34:35], s[0:1]
	s_cbranch_execz .LBB75_21
; %bb.10:
	s_load_dwordx2 s[2:3], s[4:5], 0x10
	s_ashr_i32 s15, s14, 31
	s_sub_i32 s30, s12, s17
	s_lshl_b64 s[4:5], s[14:15], 1
	v_bfe_u32 v7, v0, 2, 4
	s_waitcnt lgkmcnt(0)
	s_add_u32 s2, s2, s4
	s_addc_u32 s3, s3, s5
	s_abs_i32 s15, s18
	v_cvt_f32_u32_e32 v3, s15
	v_mov_b32_e32 v8, s3
	s_sub_i32 s3, 0, s15
	v_lshlrev_b32_e32 v4, 4, v7
	v_rcp_iflag_f32_e32 v3, v3
	s_lshl_b64 s[4:5], s[26:27], 2
	v_and_b32_e32 v2, 12, v2
	s_add_u32 s4, s24, s4
	v_mul_f32_e32 v3, 0x4f7ffffe, v3
	v_cvt_u32_f32_e32 v3, v3
	v_cmp_eq_u32_e32 vcc, 0, v1
	v_mul_u32_u24_e32 v13, 48, v1
	v_and_b32_e32 v1, 60, v5
	v_mul_lo_u32 v11, s3, v3
	v_add_co_u32_e64 v4, s[2:3], s2, v4
	v_addc_co_u32_e64 v12, s[2:3], 0, v8, s[2:3]
	v_mul_hi_u32 v14, v3, v11
	v_add_co_u32_e64 v8, s[2:3], v4, v2
	s_addc_u32 s5, s25, s5
	v_add_u32_e32 v14, v3, v14
	v_subrev_u32_e32 v3, s33, v7
	v_add_u32_e32 v16, 1, v3
	v_lshlrev_b32_e32 v3, 2, v7
	v_lshl_or_b32 v3, v9, 6, v3
	v_mbcnt_hi_u32_b32 v19, -1, v6
	v_addc_co_u32_e64 v11, s[2:3], 0, v12, s[2:3]
	v_mov_b32_e32 v2, s5
	v_add_co_u32_e64 v1, s[4:5], s4, v1
	v_add_u32_e32 v17, 0xd0, v3
	v_and_b32_e32 v3, 64, v19
	s_mov_b32 s43, s13
	v_cmp_neq_f32_e64 s[2:3], s42, 0
	v_addc_co_u32_e64 v2, s[4:5], 0, v2, s[4:5]
	v_lshlrev_b32_e32 v15, 4, v9
	v_mov_b32_e32 v18, 0xff7fffff
	s_mov_b64 s[36:37], 0
	v_add_u32_e32 v20, 64, v3
	v_xor_b32_e32 v21, 2, v19
	v_xor_b32_e32 v22, 1, v19
	v_mov_b32_e32 v12, 0xff7fffff
	v_mov_b32_e32 v23, v9
	s_branch .LBB75_13
.LBB75_11:                              ;   in Loop: Header=BB75_13 Depth=1
	s_or_b64 exec, exec, s[38:39]
.LBB75_12:                              ;   in Loop: Header=BB75_13 Depth=1
	s_or_b64 exec, exec, s[6:7]
	v_add_co_u32_e64 v1, s[4:5], 8, v1
	v_add_u32_e32 v23, 2, v23
	v_addc_co_u32_e64 v2, s[4:5], 0, v2, s[4:5]
	v_cmp_le_i32_e64 s[4:5], s16, v23
	v_add_u32_e32 v15, 32, v15
	s_or_b64 s[36:37], s[4:5], s[36:37]
	v_add_u32_e32 v17, 0x80, v17
	s_andn2_b64 exec, exec, s[36:37]
	s_cbranch_execz .LBB75_20
.LBB75_13:                              ; =>This Inner Loop Header: Depth=1
	v_mul_hi_u32 v3, v15, s40
	s_waitcnt lgkmcnt(0)
	v_mul_lo_u32 v4, v3, s21
	v_add_u32_e32 v24, 1, v3
	v_sub_u32_e32 v4, v15, v4
	v_cmp_le_u32_e64 s[4:5], s21, v4
	v_cndmask_b32_e64 v3, v3, v24, s[4:5]
	v_subrev_u32_e32 v24, s21, v4
	v_cndmask_b32_e64 v4, v4, v24, s[4:5]
	v_add_u32_e32 v24, 1, v3
	v_cmp_le_u32_e64 s[4:5], s21, v4
	v_cndmask_b32_e64 v3, v3, v24, s[4:5]
	v_xor_b32_e32 v3, s19, v3
	v_subrev_u32_e32 v3, s19, v3
	v_add_u32_e32 v4, s41, v3
	v_sub_u32_e32 v24, 0, v4
	v_max_i32_e32 v24, v4, v24
	v_mul_hi_u32 v25, v24, v14
	v_ashrrev_i32_e32 v4, 31, v4
	v_cmp_ge_i32_e64 s[6:7], s30, v3
	v_mul_lo_u32 v25, v25, s15
	v_sub_u32_e32 v24, v24, v25
	v_subrev_u32_e32 v25, s15, v24
	v_cmp_le_u32_e64 s[4:5], s15, v24
	v_cndmask_b32_e64 v24, v24, v25, s[4:5]
	v_subrev_u32_e32 v25, s15, v24
	v_cmp_le_u32_e64 s[4:5], s15, v24
	v_cndmask_b32_e64 v24, v24, v25, s[4:5]
	v_xor_b32_e32 v24, v24, v4
	v_sub_u32_e32 v4, v24, v4
	v_cmp_ne_u32_e64 s[4:5], 0, v4
	s_and_b64 s[4:5], s[4:5], s[6:7]
	s_and_saveexec_b64 s[6:7], s[4:5]
	s_xor_b64 s[4:5], exec, s[6:7]
	s_cbranch_execz .LBB75_17
; %bb.14:                               ;   in Loop: Header=BB75_13 Depth=1
	s_and_saveexec_b64 s[6:7], vcc
; %bb.15:                               ;   in Loop: Header=BB75_13 Depth=1
	ds_write_b32 v17, v18
; %bb.16:                               ;   in Loop: Header=BB75_13 Depth=1
	s_or_b64 exec, exec, s[6:7]
.LBB75_17:                              ;   in Loop: Header=BB75_13 Depth=1
	s_andn2_saveexec_b64 s[6:7], s[4:5]
	s_cbranch_execz .LBB75_12
; %bb.18:                               ;   in Loop: Header=BB75_13 Depth=1
	global_load_dword v3, v[1:2], off
	s_waitcnt vmcnt(0)
	v_mad_i64_i32 v[3:4], s[4:5], v3, s43, 0
	v_lshlrev_b64 v[3:4], 1, v[3:4]
	v_add_co_u32_e64 v3, s[4:5], v8, v3
	v_addc_co_u32_e64 v4, s[4:5], v11, v4, s[4:5]
	global_load_dword v31, v[3:4], off
	global_load_dword v30, v[3:4], off offset:256
	global_load_dword v29, v[3:4], off offset:512
	;; [unrolled: 1-line block ×10, first 2 shown]
	ds_read_b32 v34, v13
	global_load_dword v4, v[3:4], off offset:2816
	v_cmp_lt_i32_e64 s[4:5], v21, v20
	v_cndmask_b32_e64 v3, v19, v21, s[4:5]
	v_lshlrev_b32_e32 v3, 2, v3
	s_waitcnt lgkmcnt(0)
	v_lshrrev_b32_e32 v35, 16, v34
	v_and_b32_e32 v34, 0xffff, v34
	;;#ASMSTART
	v_cvt_f32_f16 v34, v34;
	;;#ASMEND
	;;#ASMSTART
	v_cvt_f32_f16 v35, v35;
	;;#ASMEND
	v_cmp_lt_i32_e64 s[4:5], v22, v20
	s_waitcnt vmcnt(11)
	v_lshrrev_b32_e32 v36, 16, v31
	v_and_b32_e32 v31, 0xffff, v31
	;;#ASMSTART
	v_cvt_f32_f16 v31, v31;
	;;#ASMEND
	;;#ASMSTART
	v_cvt_f32_f16 v36, v36;
	;;#ASMEND
	ds_read_b32 v38, v13 offset:4
	s_waitcnt vmcnt(10)
	v_and_b32_e32 v40, 0xffff, v30
	s_waitcnt vmcnt(9)
	v_lshrrev_b32_e32 v42, 16, v29
	v_and_b32_e32 v43, 0xffff, v29
	v_lshrrev_b32_e32 v30, 16, v30
	s_waitcnt lgkmcnt(0)
	v_lshrrev_b32_e32 v29, 16, v38
	v_and_b32_e32 v38, 0xffff, v38
	;;#ASMSTART
	v_cvt_f32_f16 v38, v38;
	;;#ASMEND
	;;#ASMSTART
	v_cvt_f32_f16 v39, v29;
	;;#ASMEND
	;;#ASMSTART
	v_cvt_f32_f16 v40, v40;
	;;#ASMEND
	;;#ASMSTART
	v_cvt_f32_f16 v41, v30;
	;;#ASMEND
	ds_read_b32 v29, v13 offset:8
	s_waitcnt vmcnt(8)
	v_lshrrev_b32_e32 v44, 16, v28
	v_and_b32_e32 v45, 0xffff, v28
	s_waitcnt vmcnt(7)
	v_lshrrev_b32_e32 v46, 16, v27
	v_and_b32_e32 v47, 0xffff, v27
	s_waitcnt lgkmcnt(0)
	v_lshrrev_b32_e32 v28, 16, v29
	v_and_b32_e32 v27, 0xffff, v29
	;;#ASMSTART
	v_cvt_f32_f16 v27, v27;
	;;#ASMEND
	;;#ASMSTART
	v_cvt_f32_f16 v28, v28;
	;;#ASMEND
	;;#ASMSTART
	v_cvt_f32_f16 v29, v43;
	;;#ASMEND
	;;#ASMSTART
	v_cvt_f32_f16 v30, v42;
	;;#ASMEND
	ds_read_b32 v42, v13 offset:12
	s_waitcnt vmcnt(6)
	v_lshrrev_b32_e32 v48, 16, v26
	v_and_b32_e32 v49, 0xffff, v26
	s_waitcnt vmcnt(5)
	v_lshrrev_b32_e32 v50, 16, v25
	v_and_b32_e32 v51, 0xffff, v25
	;; [unrolled: 22-line block ×3, first 2 shown]
	s_waitcnt lgkmcnt(0)
	v_lshrrev_b32_e32 v37, 16, v44
	v_and_b32_e32 v24, 0xffff, v44
	;;#ASMSTART
	v_cvt_f32_f16 v24, v24;
	;;#ASMEND
	;;#ASMSTART
	v_cvt_f32_f16 v37, v37;
	;;#ASMEND
	;; [unrolled: 3-line block ×4, first 2 shown]
	ds_read_b32 v46, v13 offset:20
	s_waitcnt vmcnt(2)
	v_lshrrev_b32_e32 v56, 16, v33
	v_and_b32_e32 v57, 0xffff, v33
	v_mul_f32_e32 v33, v38, v40
	v_mul_f32_e32 v38, v39, v41
	s_waitcnt lgkmcnt(0)
	v_lshrrev_b32_e32 v40, 16, v46
	v_and_b32_e32 v39, 0xffff, v46
	;;#ASMSTART
	v_cvt_f32_f16 v39, v39;
	;;#ASMEND
	;;#ASMSTART
	v_cvt_f32_f16 v40, v40;
	;;#ASMEND
	;; [unrolled: 3-line block ×4, first 2 shown]
	ds_read_b32 v47, v13 offset:24
	s_waitcnt vmcnt(1)
	v_lshrrev_b32_e32 v48, 16, v32
	v_and_b32_e32 v49, 0xffff, v32
	v_fmac_f32_e32 v33, v34, v31
	v_fmac_f32_e32 v38, v35, v36
	s_waitcnt lgkmcnt(0)
	v_lshrrev_b32_e32 v32, 16, v47
	v_and_b32_e32 v31, 0xffff, v47
	;;#ASMSTART
	v_cvt_f32_f16 v31, v31;
	;;#ASMEND
	;;#ASMSTART
	v_cvt_f32_f16 v32, v32;
	;;#ASMEND
	;; [unrolled: 3-line block ×4, first 2 shown]
	ds_read_b32 v36, v13 offset:28
	s_waitcnt vmcnt(0)
	v_lshrrev_b32_e32 v47, 16, v4
	v_and_b32_e32 v50, 0xffff, v4
	v_fmac_f32_e32 v33, v27, v29
	v_fmac_f32_e32 v38, v28, v30
	s_waitcnt lgkmcnt(0)
	v_lshrrev_b32_e32 v27, 16, v36
	v_and_b32_e32 v4, 0xffff, v36
	;;#ASMSTART
	v_cvt_f32_f16 v4, v4;
	;;#ASMEND
	;;#ASMSTART
	v_cvt_f32_f16 v27, v27;
	;;#ASMEND
	;;#ASMSTART
	v_cvt_f32_f16 v28, v53;
	;;#ASMEND
	;;#ASMSTART
	v_cvt_f32_f16 v29, v52;
	;;#ASMEND
	ds_read_b32 v30, v13 offset:32
	v_fmac_f32_e32 v33, v25, v42
	v_fmac_f32_e32 v33, v24, v44
	v_fmac_f32_e32 v38, v26, v43
	v_fmac_f32_e32 v38, v37, v45
	s_waitcnt lgkmcnt(0)
	v_lshrrev_b32_e32 v25, 16, v30
	v_and_b32_e32 v24, 0xffff, v30
	;;#ASMSTART
	v_cvt_f32_f16 v24, v24;
	;;#ASMEND
	;;#ASMSTART
	v_cvt_f32_f16 v25, v25;
	;;#ASMEND
	;;#ASMSTART
	v_cvt_f32_f16 v26, v55;
	;;#ASMEND
	;;#ASMSTART
	v_cvt_f32_f16 v30, v54;
	;;#ASMEND
	ds_read_b32 v36, v13 offset:36
	v_fmac_f32_e32 v33, v39, v41
	v_fmac_f32_e32 v38, v40, v46
	;; [unrolled: 20-line block ×4, first 2 shown]
	v_fmac_f32_e32 v33, v4, v25
	v_fmac_f32_e32 v38, v24, v26
	s_waitcnt lgkmcnt(0)
	v_lshrrev_b32_e32 v24, 16, v27
	v_and_b32_e32 v4, 0xffff, v27
	;;#ASMSTART
	v_cvt_f32_f16 v4, v4;
	;;#ASMEND
	;;#ASMSTART
	v_cvt_f32_f16 v24, v24;
	;;#ASMEND
	;; [unrolled: 3-line block ×4, first 2 shown]
	v_fmac_f32_e32 v33, v4, v25
	v_fmac_f32_e32 v38, v24, v26
	v_add_f32_e32 v4, v33, v38
	ds_bpermute_b32 v3, v3, v4
	v_cndmask_b32_e64 v24, v19, v22, s[4:5]
	s_waitcnt lgkmcnt(0)
	v_add_f32_e32 v3, v4, v3
	v_lshlrev_b32_e32 v4, 2, v24
	ds_bpermute_b32 v4, v4, v3
	s_and_saveexec_b64 s[38:39], vcc
	s_cbranch_execz .LBB75_11
; %bb.19:                               ;   in Loop: Header=BB75_13 Depth=1
	v_add_u32_e32 v24, v16, v15
	v_cvt_f32_i32_e32 v24, v24
	s_waitcnt lgkmcnt(0)
	v_add_f32_e32 v3, v3, v4
	v_add_u32_e32 v25, v7, v15
	v_cmp_gt_i32_e64 s[4:5], s33, v25
	v_mul_f32_e32 v4, s42, v24
	v_cndmask_b32_e64 v4, 0, v4, s[2:3]
	v_fmac_f32_e32 v4, s31, v3
	v_cndmask_b32_e64 v3, 0, v4, s[4:5]
	ds_write_b32 v17, v3
	v_max_f32_e32 v3, v12, v12
	v_max_f32_e32 v3, v3, v4
	v_cndmask_b32_e64 v12, v12, v3, s[4:5]
	s_branch .LBB75_11
.LBB75_20:
	s_or_b64 exec, exec, s[36:37]
.LBB75_21:
	s_or_b64 exec, exec, s[34:35]
	v_mbcnt_hi_u32_b32 v1, -1, v6
	v_and_b32_e32 v14, 64, v1
	v_add_u32_e32 v2, 64, v14
	v_xor_b32_e32 v3, 32, v1
	v_cmp_lt_i32_e32 vcc, v3, v2
	v_cndmask_b32_e32 v3, v1, v3, vcc
	v_lshlrev_b32_e32 v3, 2, v3
	s_waitcnt lgkmcnt(0)
	ds_bpermute_b32 v4, v3, v12
	v_xor_b32_e32 v7, 16, v1
	v_max_f32_e32 v6, v12, v12
	v_cmp_lt_i32_e32 vcc, v7, v2
	v_xor_b32_e32 v8, 8, v1
	s_waitcnt lgkmcnt(0)
	v_max_f32_e32 v4, v4, v4
	v_max_f32_e32 v6, v6, v4
	v_cndmask_b32_e32 v4, v1, v7, vcc
	v_lshlrev_b32_e32 v4, 2, v4
	ds_bpermute_b32 v7, v4, v6
	v_cmp_lt_i32_e32 vcc, v8, v2
	v_xor_b32_e32 v11, 4, v1
	s_waitcnt lgkmcnt(0)
	v_max_f32_e32 v7, v7, v7
	v_max_f32_e32 v6, v6, v7
	v_cndmask_b32_e32 v7, v1, v8, vcc
	v_lshlrev_b32_e32 v8, 2, v7
	ds_bpermute_b32 v7, v8, v6
	v_cmp_lt_i32_e32 vcc, v11, v2
	s_waitcnt lgkmcnt(0)
	v_max_f32_e32 v7, v7, v7
	v_max_f32_e32 v7, v6, v7
	v_cndmask_b32_e32 v6, v1, v11, vcc
	v_lshlrev_b32_e32 v13, 2, v6
	ds_bpermute_b32 v12, v13, v7
	v_and_b32_e32 v11, 63, v0
	v_cmp_eq_u32_e32 vcc, 0, v11
	v_lshlrev_b32_e32 v6, 2, v9
	s_and_saveexec_b64 s[2:3], vcc
	s_cbranch_execz .LBB75_23
; %bb.22:
	s_waitcnt lgkmcnt(0)
	v_max_f32_e32 v12, v12, v12
	v_max_f32_e32 v7, v7, v7
	;; [unrolled: 1-line block ×3, first 2 shown]
	ds_write_b32 v6, v7 offset:192
.LBB75_23:
	s_or_b64 exec, exec, s[2:3]
	v_cmp_gt_u32_e64 s[2:3], 2, v11
	v_mov_b32_e32 v15, 0xff7fffff
	v_lshlrev_b32_e32 v7, 2, v11
	s_waitcnt lgkmcnt(0)
	s_barrier
	s_and_saveexec_b64 s[4:5], s[2:3]
; %bb.24:
	ds_read_b32 v15, v7 offset:192
; %bb.25:
	s_or_b64 exec, exec, s[4:5]
	v_xor_b32_e32 v12, 1, v1
	v_cmp_lt_i32_e64 s[4:5], v12, v2
	v_cndmask_b32_e64 v12, v1, v12, s[4:5]
	v_lshlrev_b32_e32 v12, 2, v12
	s_waitcnt lgkmcnt(0)
	ds_bpermute_b32 v16, v12, v15
	v_max_f32_e32 v15, v15, v15
	v_lshlrev_b32_e32 v14, 2, v14
	s_lshl_b32 s4, s16, 4
	s_min_i32 s15, s4, s33
	s_waitcnt lgkmcnt(0)
	v_max_f32_e32 v16, v16, v16
	v_max_f32_e32 v15, v15, v16
	ds_bpermute_b32 v15, v14, v15
	v_cmp_gt_i32_e64 s[4:5], s15, v0
	v_mov_b32_e32 v14, 0
	s_and_saveexec_b64 s[30:31], s[4:5]
	s_cbranch_execz .LBB75_29
; %bb.26:
	v_mov_b32_e32 v14, 0xd0
	v_lshl_add_u32 v16, v0, 2, v14
	v_mov_b32_e32 v14, 0
	s_mov_b64 s[34:35], 0
	v_mov_b32_e32 v17, v0
.LBB75_27:                              ; =>This Inner Loop Header: Depth=1
	ds_read_b32 v18, v16
	v_add_u32_e32 v17, 0x80, v17
	v_cmp_le_i32_e64 s[6:7], s15, v17
	s_or_b64 s[34:35], s[6:7], s[34:35]
	s_waitcnt lgkmcnt(0)
	v_sub_f32_e32 v18, v18, v15
	v_mul_f32_e32 v18, 0x3fb8aa3b, v18
	v_exp_f32_e32 v18, v18
	ds_write_b32 v16, v18
	v_add_f32_e32 v14, v14, v18
	v_add_u32_e32 v16, 0x200, v16
	s_andn2_b64 exec, exec, s[34:35]
	s_cbranch_execnz .LBB75_27
; %bb.28:
	s_or_b64 exec, exec, s[34:35]
.LBB75_29:
	s_or_b64 exec, exec, s[30:31]
	ds_bpermute_b32 v3, v3, v14
	s_waitcnt lgkmcnt(0)
	v_add_f32_e32 v3, v14, v3
	ds_bpermute_b32 v4, v4, v3
	s_waitcnt lgkmcnt(0)
	v_add_f32_e32 v3, v3, v4
	ds_bpermute_b32 v4, v8, v3
	v_xor_b32_e32 v8, 2, v1
	v_cmp_lt_i32_e64 s[6:7], v8, v2
	v_cndmask_b32_e64 v2, v1, v8, s[6:7]
	v_lshlrev_b32_e32 v2, 2, v2
	s_waitcnt lgkmcnt(0)
	v_add_f32_e32 v3, v3, v4
	ds_bpermute_b32 v4, v13, v3
	s_waitcnt lgkmcnt(0)
	v_add_f32_e32 v3, v3, v4
	ds_bpermute_b32 v2, v2, v3
	;; [unrolled: 3-line block ×3, first 2 shown]
	s_waitcnt lgkmcnt(0)
	v_add_f32_e32 v2, v2, v3
	s_and_saveexec_b64 s[6:7], vcc
; %bb.30:
	ds_write_b32 v6, v2 offset:200
; %bb.31:
	s_or_b64 exec, exec, s[6:7]
	s_waitcnt lgkmcnt(0)
	s_barrier
	s_and_saveexec_b64 s[6:7], s[2:3]
; %bb.32:
	ds_read_b32 v2, v7 offset:200
; %bb.33:
	s_or_b64 exec, exec, s[6:7]
	s_waitcnt lgkmcnt(0)
	ds_bpermute_b32 v3, v12, v2
	v_lshlrev_b32_e32 v1, 2, v1
	v_and_b32_e32 v1, 0x100, v1
	s_waitcnt lgkmcnt(0)
	v_add_f32_e32 v2, v2, v3
	ds_bpermute_b32 v1, v1, v2
	s_and_saveexec_b64 s[2:3], s[4:5]
	s_cbranch_execz .LBB75_36
; %bb.34:
	s_waitcnt lgkmcnt(0)
	v_add_f32_e32 v2, 0x358637bd, v1
	v_div_scale_f32 v1, s[4:5], v2, v2, 1.0
	v_div_scale_f32 v3, vcc, 1.0, v2, 1.0
	s_mov_b64 s[4:5], 0
	v_rcp_f32_e32 v4, v1
	v_fma_f32 v6, -v1, v4, 1.0
	v_fmac_f32_e32 v4, v6, v4
	v_mul_f32_e32 v6, v3, v4
	v_fma_f32 v7, -v1, v6, v3
	v_fmac_f32_e32 v6, v7, v4
	v_fma_f32 v1, -v1, v6, v3
	v_div_fmas_f32 v3, v1, v4, v6
	v_mov_b32_e32 v1, 0xd0
	v_lshl_add_u32 v1, v0, 2, v1
	v_div_fixup_f32 v2, v3, v2, 1.0
	v_mov_b32_e32 v3, v0
.LBB75_35:                              ; =>This Inner Loop Header: Depth=1
	ds_read_b32 v4, v1
	v_add_u32_e32 v3, 0x80, v3
	v_cmp_le_i32_e32 vcc, s15, v3
	s_or_b64 s[4:5], vcc, s[4:5]
	s_waitcnt lgkmcnt(0)
	v_mul_f32_e32 v4, v2, v4
	ds_write_b32 v1, v4
	v_add_u32_e32 v1, 0x200, v1
	s_andn2_b64 exec, exec, s[4:5]
	s_cbranch_execnz .LBB75_35
.LBB75_36:
	s_or_b64 exec, exec, s[2:3]
	v_mov_b32_e32 v17, 0
	v_and_b32_e32 v13, 1, v0
	v_mov_b32_e32 v18, 0
	v_mov_b32_e32 v16, 0
	s_waitcnt lgkmcnt(0)
	s_barrier
	s_and_saveexec_b64 s[2:3], s[0:1]
	s_cbranch_execz .LBB75_48
; %bb.37:
	s_ashr_i32 s15, s14, 31
	s_sub_i32 s17, s12, s17
	s_lshl_b64 s[0:1], s[14:15], 1
	s_add_u32 s0, s28, s0
	s_addc_u32 s1, s29, s1
	s_abs_i32 s14, s18
	v_cvt_f32_u32_e32 v1, s14
	v_lshlrev_b32_e32 v2, 3, v0
	s_sub_i32 s4, 0, s14
	v_and_b32_e32 v15, 8, v2
	v_rcp_iflag_f32_e32 v1, v1
	v_lshlrev_b32_e32 v3, 4, v0
	v_and_b32_e32 v3, 0x3f0, v3
	s_add_i32 s18, s16, -1
	v_mul_f32_e32 v1, 0x4f7ffffe, v1
	v_cvt_u32_f32_e32 v1, v1
	v_mov_b32_e32 v4, s1
	v_add_co_u32_e32 v19, vcc, s0, v3
	v_mul_lo_u32 v2, s4, v1
	s_lshl_b64 s[0:1], s[26:27], 2
	v_addc_co_u32_e32 v20, vcc, 0, v4, vcc
	v_mul_hi_u32 v2, v1, v2
	s_add_u32 s0, s24, s0
	s_addc_u32 s1, s25, s1
	s_mov_b32 s15, s13
	v_add_u32_e32 v21, v1, v2
	v_and_b32_e32 v1, 60, v5
	v_add_co_u32_e32 v5, vcc, s0, v1
	v_lshlrev_b32_e32 v1, 5, v13
	v_mov_b32_e32 v2, s1
	v_lshl_or_b32 v1, v9, 6, v1
	v_mov_b32_e32 v14, 0
	v_addc_co_u32_e32 v6, vcc, 0, v2, vcc
	v_add_u32_e32 v22, 0xd0, v1
	s_mov_b64 s[4:5], 0
	s_mov_b32 s24, 0xffff
	v_mov_b32_e32 v16, 0
	v_mov_b32_e32 v18, 0
	;; [unrolled: 1-line block ×3, first 2 shown]
	s_branch .LBB75_40
.LBB75_38:                              ;   in Loop: Header=BB75_40 Depth=1
	s_or_b64 exec, exec, s[12:13]
	v_add_f32_e32 v23, v37, v38
	v_add_f32_e32 v18, v18, v23
	;; [unrolled: 1-line block ×4, first 2 shown]
	v_lshlrev_b32_e32 v23, 16, v39
	v_and_or_b32 v1, v1, s24, v23
	v_lshlrev_b32_e32 v8, 16, v8
	v_lshlrev_b32_e32 v7, 16, v7
	v_and_or_b32 v2, v2, s24, v8
	v_and_or_b32 v3, v3, s24, v7
	;;#ASMSTART
	v_pk_mul_f16 v1, v32, v1;

	;;#ASMEND
	;;#ASMSTART
	v_pk_mul_f16 v2, v33, v2;

	;;#ASMEND
	;; [unrolled: 4-line block ×4, first 2 shown]
	;;#ASMSTART
	v_pk_add_f16 v1, v1, v2;

	;;#ASMEND
	;;#ASMSTART
	v_pk_add_f16 v1, v1, v3;

	;;#ASMEND
	;; [unrolled: 4-line block ×3, first 2 shown]
	v_lshrrev_b32_e32 v2, 16, v1
	v_and_b32_e32 v1, 0xffff, v1
	;;#ASMSTART
	v_cvt_f32_f16 v1, v1;
	;;#ASMEND
	;;#ASMSTART
	v_cvt_f32_f16 v2, v2;
	;;#ASMEND
	v_add_f32_e32 v1, v1, v2
	v_add_f32_e32 v16, v16, v1
.LBB75_39:                              ;   in Loop: Header=BB75_40 Depth=1
	s_or_b64 exec, exec, s[6:7]
	v_add_co_u32_e32 v5, vcc, 8, v5
	v_add_u32_e32 v9, 2, v9
	v_addc_co_u32_e32 v6, vcc, 0, v6, vcc
	v_cmp_le_i32_e32 vcc, s16, v9
	v_add_u32_e32 v10, 32, v10
	s_or_b64 s[4:5], vcc, s[4:5]
	v_add_u32_e32 v22, 0x80, v22
	s_andn2_b64 exec, exec, s[4:5]
	s_cbranch_execz .LBB75_47
.LBB75_40:                              ; =>This Inner Loop Header: Depth=1
	v_mul_hi_u32 v1, v10, s40
	v_mul_lo_u32 v2, v1, s21
	v_add_u32_e32 v3, 1, v1
	v_sub_u32_e32 v2, v10, v2
	v_cmp_le_u32_e32 vcc, s21, v2
	v_cndmask_b32_e32 v1, v1, v3, vcc
	v_subrev_u32_e32 v3, s21, v2
	v_cndmask_b32_e32 v2, v2, v3, vcc
	v_add_u32_e32 v3, 1, v1
	v_cmp_le_u32_e32 vcc, s21, v2
	v_cndmask_b32_e32 v1, v1, v3, vcc
	v_xor_b32_e32 v1, s19, v1
	v_subrev_u32_e32 v1, s19, v1
	v_add_u32_e32 v2, s41, v1
	v_sub_u32_e32 v3, 0, v2
	v_max_i32_e32 v3, v2, v3
	v_mul_hi_u32 v4, v3, v21
	v_ashrrev_i32_e32 v2, 31, v2
	v_cmp_lt_i32_e64 s[0:1], s17, v1
	v_mul_lo_u32 v4, v4, s14
	v_sub_u32_e32 v3, v3, v4
	v_subrev_u32_e32 v4, s14, v3
	v_cmp_le_u32_e32 vcc, s14, v3
	v_cndmask_b32_e32 v3, v3, v4, vcc
	v_subrev_u32_e32 v4, s14, v3
	v_cmp_le_u32_e32 vcc, s14, v3
	v_cndmask_b32_e32 v3, v3, v4, vcc
	v_xor_b32_e32 v3, v3, v2
	v_sub_u32_e32 v2, v3, v2
	v_cmp_eq_u32_e32 vcc, 0, v2
	s_or_b64 s[0:1], vcc, s[0:1]
	s_and_saveexec_b64 s[6:7], s[0:1]
	s_cbranch_execz .LBB75_39
; %bb.41:                               ;   in Loop: Header=BB75_40 Depth=1
	global_load_dword v7, v[5:6], off
	ds_read2_b64 v[1:4], v22 offset1:1
	ds_read2_b64 v[23:26], v22 offset0:2 offset1:3
	s_waitcnt lgkmcnt(1)
	;;#ASMSTART
	v_cvt_f16_f32 v31, v1;

	;;#ASMEND
	;;#ASMSTART
	v_cvt_f16_f32 v32, v2;

	;;#ASMEND
	;;#ASMSTART
	v_cvt_f16_f32 v33, v3;

	;;#ASMEND
	;;#ASMSTART
	v_cvt_f16_f32 v34, v4;

	;;#ASMEND
	s_waitcnt lgkmcnt(0)
	;;#ASMSTART
	v_cvt_f16_f32 v35, v23;

	;;#ASMEND
	;;#ASMSTART
	v_cvt_f16_f32 v36, v24;

	;;#ASMEND
	;; [unrolled: 4-line block ×4, first 2 shown]
	v_add_u32_e32 v23, v15, v10
	v_add_u32_e32 v30, 1, v23
	;; [unrolled: 1-line block ×8, first 2 shown]
	s_waitcnt vmcnt(0)
	v_mad_i64_i32 v[1:2], s[0:1], v7, s15, 0
	v_cmp_eq_u32_e64 s[0:1], s18, v9
	v_lshlrev_b64 v[1:2], 1, v[1:2]
	v_add_co_u32_e32 v7, vcc, v19, v1
	v_addc_co_u32_e32 v8, vcc, v20, v2, vcc
	global_load_dwordx4 v[1:4], v[7:8], off
	s_waitcnt vmcnt(0)
	v_lshrrev_b32_e32 v41, 16, v1
	v_lshrrev_b32_e32 v40, 16, v2
	;; [unrolled: 1-line block ×3, first 2 shown]
	s_and_saveexec_b64 s[12:13], s[0:1]
	s_cbranch_execz .LBB75_43
; %bb.42:                               ;   in Loop: Header=BB75_40 Depth=1
	v_cmp_gt_i32_e32 vcc, s33, v23
	v_cndmask_b32_e32 v1, 0, v1, vcc
	v_cmp_gt_i32_e32 vcc, s33, v30
	v_cndmask_b32_e32 v41, 0, v41, vcc
	;; [unrolled: 2-line block ×6, first 2 shown]
	v_cmp_gt_i32_e32 vcc, s33, v25
	v_cndmask_b32_sdwa v42, v14, v4, vcc dst_sel:DWORD dst_unused:UNUSED_PAD src0_sel:DWORD src1_sel:WORD_0
	v_and_b32_e32 v4, 0xffff0000, v4
	v_cmp_gt_i32_e32 vcc, s33, v24
	v_cndmask_b32_e32 v4, 0, v4, vcc
	v_or_b32_e32 v4, v42, v4
.LBB75_43:                              ;   in Loop: Header=BB75_40 Depth=1
	s_or_b64 exec, exec, s[12:13]
	v_and_b32_e32 v31, 0xffff, v31
	v_lshl_or_b32 v32, v32, 16, v31
	v_and_b32_e32 v31, 0xffff, v33
	v_lshl_or_b32 v33, v34, 16, v31
	v_and_b32_e32 v31, 0xffff, v35
	v_lshlrev_b32_e32 v35, 16, v41
	v_and_or_b32 v1, v1, s24, v35
	v_lshlrev_b32_e32 v35, 16, v40
	v_and_or_b32 v2, v2, s24, v35
	v_lshlrev_b32_e32 v35, 16, v39
	v_lshl_or_b32 v34, v36, 16, v31
	v_and_b32_e32 v31, 0xffff, v37
	v_and_or_b32 v3, v3, s24, v35
	;;#ASMSTART
	v_pk_mul_f16 v1, v32, v1;

	;;#ASMEND
	v_lshl_or_b32 v31, v38, 16, v31
	;;#ASMSTART
	v_pk_mul_f16 v2, v33, v2;

	;;#ASMEND
	;;#ASMSTART
	v_pk_mul_f16 v3, v34, v3;

	;;#ASMEND
	;; [unrolled: 4-line block ×3, first 2 shown]
	;;#ASMSTART
	v_pk_add_f16 v1, v1, v2;

	;;#ASMEND
	;;#ASMSTART
	v_pk_add_f16 v1, v1, v3;

	;;#ASMEND
	;; [unrolled: 4-line block ×3, first 2 shown]
	v_lshrrev_b32_e32 v2, 16, v1
	v_and_b32_e32 v1, 0xffff, v1
	;;#ASMSTART
	v_cvt_f32_f16 v35, v1;
	;;#ASMEND
	;;#ASMSTART
	v_cvt_f32_f16 v36, v2;
	;;#ASMEND
	global_load_dwordx4 v[1:4], v[7:8], off offset:1024
	s_waitcnt vmcnt(0)
	v_lshrrev_b32_e32 v39, 16, v1
	v_lshrrev_b32_e32 v38, 16, v2
	;; [unrolled: 1-line block ×3, first 2 shown]
	s_and_saveexec_b64 s[12:13], s[0:1]
	s_cbranch_execz .LBB75_45
; %bb.44:                               ;   in Loop: Header=BB75_40 Depth=1
	v_cmp_gt_i32_e32 vcc, s33, v23
	v_cndmask_b32_e32 v1, 0, v1, vcc
	v_cmp_gt_i32_e32 vcc, s33, v30
	v_cndmask_b32_e32 v39, 0, v39, vcc
	;; [unrolled: 2-line block ×6, first 2 shown]
	v_cmp_gt_i32_e32 vcc, s33, v25
	v_cndmask_b32_sdwa v40, v14, v4, vcc dst_sel:DWORD dst_unused:UNUSED_PAD src0_sel:DWORD src1_sel:WORD_0
	v_and_b32_e32 v4, 0xffff0000, v4
	v_cmp_gt_i32_e32 vcc, s33, v24
	v_cndmask_b32_e32 v4, 0, v4, vcc
	v_or_b32_e32 v4, v40, v4
.LBB75_45:                              ;   in Loop: Header=BB75_40 Depth=1
	s_or_b64 exec, exec, s[12:13]
	v_lshlrev_b32_e32 v39, 16, v39
	v_and_or_b32 v1, v1, s24, v39
	v_lshlrev_b32_e32 v38, 16, v38
	v_lshlrev_b32_e32 v37, 16, v37
	v_and_or_b32 v2, v2, s24, v38
	v_and_or_b32 v3, v3, s24, v37
	;;#ASMSTART
	v_pk_mul_f16 v1, v32, v1;

	;;#ASMEND
	;;#ASMSTART
	v_pk_mul_f16 v2, v33, v2;

	;;#ASMEND
	;; [unrolled: 4-line block ×4, first 2 shown]
	;;#ASMSTART
	v_pk_add_f16 v1, v1, v2;

	;;#ASMEND
	;;#ASMSTART
	v_pk_add_f16 v1, v1, v3;

	;;#ASMEND
	;; [unrolled: 4-line block ×3, first 2 shown]
	v_lshrrev_b32_e32 v2, 16, v1
	v_and_b32_e32 v1, 0xffff, v1
	;;#ASMSTART
	v_cvt_f32_f16 v37, v1;
	;;#ASMEND
	;;#ASMSTART
	v_cvt_f32_f16 v38, v2;
	;;#ASMEND
	global_load_dwordx4 v[1:4], v[7:8], off offset:2048
	s_waitcnt vmcnt(0)
	v_lshrrev_b32_e32 v39, 16, v1
	v_lshrrev_b32_e32 v8, 16, v2
	;; [unrolled: 1-line block ×3, first 2 shown]
	s_and_saveexec_b64 s[12:13], s[0:1]
	s_cbranch_execz .LBB75_38
; %bb.46:                               ;   in Loop: Header=BB75_40 Depth=1
	v_cmp_gt_i32_e32 vcc, s33, v23
	v_cndmask_b32_e32 v1, 0, v1, vcc
	v_cmp_gt_i32_e32 vcc, s33, v30
	v_cndmask_b32_e32 v39, 0, v39, vcc
	v_cmp_gt_i32_e32 vcc, s33, v29
	v_cndmask_b32_e32 v2, 0, v2, vcc
	v_cmp_gt_i32_e32 vcc, s33, v28
	v_cndmask_b32_e32 v8, 0, v8, vcc
	v_cmp_gt_i32_e32 vcc, s33, v27
	v_cndmask_b32_e32 v3, 0, v3, vcc
	v_cmp_gt_i32_e32 vcc, s33, v26
	v_cndmask_b32_e32 v7, 0, v7, vcc
	v_cmp_gt_i32_e32 vcc, s33, v25
	v_cndmask_b32_sdwa v23, v14, v4, vcc dst_sel:DWORD dst_unused:UNUSED_PAD src0_sel:DWORD src1_sel:WORD_0
	v_and_b32_e32 v4, 0xffff0000, v4
	v_cmp_gt_i32_e32 vcc, s33, v24
	v_cndmask_b32_e32 v4, 0, v4, vcc
	v_or_b32_e32 v4, v23, v4
	s_branch .LBB75_38
.LBB75_47:
	s_or_b64 exec, exec, s[4:5]
.LBB75_48:
	s_or_b64 exec, exec, s[2:3]
	ds_bpermute_b32 v1, v12, v17
	ds_bpermute_b32 v4, v12, v16
	;; [unrolled: 1-line block ×3, first 2 shown]
	s_waitcnt lgkmcnt(0)
	s_barrier
	v_add_f32_e32 v3, v17, v1
	v_add_f32_e32 v1, v16, v4
	v_and_b32_e32 v4, 0x3c1, v0
	v_add_f32_e32 v2, v18, v2
	v_cmp_eq_u32_e32 vcc, 64, v4
	s_and_saveexec_b64 s[0:1], vcc
	s_cbranch_execz .LBB75_50
; %bb.49:
	v_mov_b32_e32 v5, 0xd0
	v_lshl_add_u32 v5, v11, 1, v5
	ds_write2_b32 v5, v3, v2 offset1:32
	ds_write_b32 v5, v1 offset:256
.LBB75_50:
	s_or_b64 exec, exec, s[0:1]
	v_cmp_gt_u32_e32 vcc, 64, v0
	v_lshrrev_b32_e32 v0, 1, v0
	s_waitcnt lgkmcnt(0)
	s_barrier
	s_and_saveexec_b64 s[0:1], vcc
	s_cbranch_execz .LBB75_56
; %bb.51:
	v_mov_b32_e32 v5, 0xd0
	v_cmp_eq_u32_e32 vcc, 0, v13
	v_lshl_add_u32 v5, v0, 2, v5
	s_and_saveexec_b64 s[2:3], vcc
	s_cbranch_execnz .LBB75_59
; %bb.52:
	s_or_b64 exec, exec, s[2:3]
	s_and_saveexec_b64 s[2:3], vcc
	s_cbranch_execnz .LBB75_60
.LBB75_53:
	s_or_b64 exec, exec, s[2:3]
	s_and_saveexec_b64 s[2:3], vcc
	s_cbranch_execz .LBB75_55
.LBB75_54:
	ds_read_b32 v5, v5 offset:256
	s_waitcnt lgkmcnt(0)
	v_add_f32_e32 v1, v1, v5
.LBB75_55:
	s_or_b64 exec, exec, s[2:3]
.LBB75_56:
	s_or_b64 exec, exec, s[0:1]
	v_cmp_eq_u32_e32 vcc, 0, v4
	s_barrier
	s_and_saveexec_b64 s[0:1], vcc
	s_cbranch_execz .LBB75_58
; %bb.57:
	s_mul_i32 s0, s10, s11
	s_mul_i32 s0, s0, s9
	s_mulk_i32 s0, 0x60
	s_ashr_i32 s1, s0, 31
	s_lshl_b64 s[0:1], s[0:1], 1
	s_add_u32 s2, s22, s0
	s_mul_i32 s0, s11, s20
	s_addc_u32 s3, s23, s1
	s_ashr_i32 s1, s0, 31
	s_lshl_b64 s[0:1], s[0:1], 1
	s_add_u32 s2, s2, s0
	s_mul_i32 s0, s8, 0x60
	s_addc_u32 s3, s3, s1
	s_ashr_i32 s1, s0, 31
	s_lshl_b64 s[0:1], s[0:1], 1
	s_add_u32 s0, s2, s0
	s_addc_u32 s1, s3, s1
	v_lshlrev_b32_e32 v0, 1, v0
	;;#ASMSTART
	v_cvt_f16_f32 v3, v3;

	;;#ASMEND
	global_store_short v0, v3, s[0:1]
	;;#ASMSTART
	v_cvt_f16_f32 v2, v2;

	;;#ASMEND
	global_store_short v0, v2, s[0:1] offset:64
	;;#ASMSTART
	v_cvt_f16_f32 v1, v1;

	;;#ASMEND
	global_store_short v0, v1, s[0:1] offset:128
.LBB75_58:
	s_endpgm
.LBB75_59:
	ds_read_b32 v6, v5
	s_waitcnt lgkmcnt(0)
	v_add_f32_e32 v3, v3, v6
	s_or_b64 exec, exec, s[2:3]
	s_and_saveexec_b64 s[2:3], vcc
	s_cbranch_execz .LBB75_53
.LBB75_60:
	ds_read_b32 v6, v5 offset:128
	s_waitcnt lgkmcnt(0)
	v_add_f32_e32 v2, v2, v6
	s_or_b64 exec, exec, s[2:3]
	s_and_saveexec_b64 s[2:3], vcc
	s_cbranch_execnz .LBB75_54
	s_branch .LBB75_55
	.section	.rodata,"a",@progbits
	.p2align	6, 0x0
	.amdhsa_kernel _ZN4vllm25paged_attention_v1_kernelIttLi96ELi16ELi128ELNS_18Fp8KVCacheDataTypeE0ELb1EEEvPT_PKS2_PKT0_S8_ifPKiSA_iPKfiiiSC_SC_iiiii
		.amdhsa_group_segment_fixed_size 208
		.amdhsa_private_segment_fixed_size 0
		.amdhsa_kernarg_size 384
		.amdhsa_user_sgpr_count 6
		.amdhsa_user_sgpr_private_segment_buffer 1
		.amdhsa_user_sgpr_dispatch_ptr 0
		.amdhsa_user_sgpr_queue_ptr 0
		.amdhsa_user_sgpr_kernarg_segment_ptr 1
		.amdhsa_user_sgpr_dispatch_id 0
		.amdhsa_user_sgpr_flat_scratch_init 0
		.amdhsa_user_sgpr_private_segment_size 0
		.amdhsa_uses_dynamic_stack 0
		.amdhsa_system_sgpr_private_segment_wavefront_offset 0
		.amdhsa_system_sgpr_workgroup_id_x 1
		.amdhsa_system_sgpr_workgroup_id_y 1
		.amdhsa_system_sgpr_workgroup_id_z 1
		.amdhsa_system_sgpr_workgroup_info 0
		.amdhsa_system_vgpr_workitem_id 0
		.amdhsa_next_free_vgpr 58
		.amdhsa_next_free_sgpr 44
		.amdhsa_reserve_vcc 1
		.amdhsa_reserve_flat_scratch 0
		.amdhsa_float_round_mode_32 0
		.amdhsa_float_round_mode_16_64 0
		.amdhsa_float_denorm_mode_32 3
		.amdhsa_float_denorm_mode_16_64 3
		.amdhsa_dx10_clamp 1
		.amdhsa_ieee_mode 1
		.amdhsa_fp16_overflow 0
		.amdhsa_exception_fp_ieee_invalid_op 0
		.amdhsa_exception_fp_denorm_src 0
		.amdhsa_exception_fp_ieee_div_zero 0
		.amdhsa_exception_fp_ieee_overflow 0
		.amdhsa_exception_fp_ieee_underflow 0
		.amdhsa_exception_fp_ieee_inexact 0
		.amdhsa_exception_int_div_zero 0
	.end_amdhsa_kernel
	.section	.text._ZN4vllm25paged_attention_v1_kernelIttLi96ELi16ELi128ELNS_18Fp8KVCacheDataTypeE0ELb1EEEvPT_PKS2_PKT0_S8_ifPKiSA_iPKfiiiSC_SC_iiiii,"axG",@progbits,_ZN4vllm25paged_attention_v1_kernelIttLi96ELi16ELi128ELNS_18Fp8KVCacheDataTypeE0ELb1EEEvPT_PKS2_PKT0_S8_ifPKiSA_iPKfiiiSC_SC_iiiii,comdat
.Lfunc_end75:
	.size	_ZN4vllm25paged_attention_v1_kernelIttLi96ELi16ELi128ELNS_18Fp8KVCacheDataTypeE0ELb1EEEvPT_PKS2_PKT0_S8_ifPKiSA_iPKfiiiSC_SC_iiiii, .Lfunc_end75-_ZN4vllm25paged_attention_v1_kernelIttLi96ELi16ELi128ELNS_18Fp8KVCacheDataTypeE0ELb1EEEvPT_PKS2_PKT0_S8_ifPKiSA_iPKfiiiSC_SC_iiiii
                                        ; -- End function
	.set _ZN4vllm25paged_attention_v1_kernelIttLi96ELi16ELi128ELNS_18Fp8KVCacheDataTypeE0ELb1EEEvPT_PKS2_PKT0_S8_ifPKiSA_iPKfiiiSC_SC_iiiii.num_vgpr, 58
	.set _ZN4vllm25paged_attention_v1_kernelIttLi96ELi16ELi128ELNS_18Fp8KVCacheDataTypeE0ELb1EEEvPT_PKS2_PKT0_S8_ifPKiSA_iPKfiiiSC_SC_iiiii.num_agpr, 0
	.set _ZN4vllm25paged_attention_v1_kernelIttLi96ELi16ELi128ELNS_18Fp8KVCacheDataTypeE0ELb1EEEvPT_PKS2_PKT0_S8_ifPKiSA_iPKfiiiSC_SC_iiiii.numbered_sgpr, 44
	.set _ZN4vllm25paged_attention_v1_kernelIttLi96ELi16ELi128ELNS_18Fp8KVCacheDataTypeE0ELb1EEEvPT_PKS2_PKT0_S8_ifPKiSA_iPKfiiiSC_SC_iiiii.num_named_barrier, 0
	.set _ZN4vllm25paged_attention_v1_kernelIttLi96ELi16ELi128ELNS_18Fp8KVCacheDataTypeE0ELb1EEEvPT_PKS2_PKT0_S8_ifPKiSA_iPKfiiiSC_SC_iiiii.private_seg_size, 0
	.set _ZN4vllm25paged_attention_v1_kernelIttLi96ELi16ELi128ELNS_18Fp8KVCacheDataTypeE0ELb1EEEvPT_PKS2_PKT0_S8_ifPKiSA_iPKfiiiSC_SC_iiiii.uses_vcc, 1
	.set _ZN4vllm25paged_attention_v1_kernelIttLi96ELi16ELi128ELNS_18Fp8KVCacheDataTypeE0ELb1EEEvPT_PKS2_PKT0_S8_ifPKiSA_iPKfiiiSC_SC_iiiii.uses_flat_scratch, 0
	.set _ZN4vllm25paged_attention_v1_kernelIttLi96ELi16ELi128ELNS_18Fp8KVCacheDataTypeE0ELb1EEEvPT_PKS2_PKT0_S8_ifPKiSA_iPKfiiiSC_SC_iiiii.has_dyn_sized_stack, 0
	.set _ZN4vllm25paged_attention_v1_kernelIttLi96ELi16ELi128ELNS_18Fp8KVCacheDataTypeE0ELb1EEEvPT_PKS2_PKT0_S8_ifPKiSA_iPKfiiiSC_SC_iiiii.has_recursion, 0
	.set _ZN4vllm25paged_attention_v1_kernelIttLi96ELi16ELi128ELNS_18Fp8KVCacheDataTypeE0ELb1EEEvPT_PKS2_PKT0_S8_ifPKiSA_iPKfiiiSC_SC_iiiii.has_indirect_call, 0
	.section	.AMDGPU.csdata,"",@progbits
; Kernel info:
; codeLenInByte = 5208
; TotalNumSgprs: 48
; NumVgprs: 58
; ScratchSize: 0
; MemoryBound: 0
; FloatMode: 240
; IeeeMode: 1
; LDSByteSize: 208 bytes/workgroup (compile time only)
; SGPRBlocks: 5
; VGPRBlocks: 14
; NumSGPRsForWavesPerEU: 48
; NumVGPRsForWavesPerEU: 58
; Occupancy: 4
; WaveLimiterHint : 1
; COMPUTE_PGM_RSRC2:SCRATCH_EN: 0
; COMPUTE_PGM_RSRC2:USER_SGPR: 6
; COMPUTE_PGM_RSRC2:TRAP_HANDLER: 0
; COMPUTE_PGM_RSRC2:TGID_X_EN: 1
; COMPUTE_PGM_RSRC2:TGID_Y_EN: 1
; COMPUTE_PGM_RSRC2:TGID_Z_EN: 1
; COMPUTE_PGM_RSRC2:TIDIG_COMP_CNT: 0
	.section	.text._ZN4vllm25paged_attention_v1_kernelIttLi112ELi16ELi128ELNS_18Fp8KVCacheDataTypeE0ELb1EEEvPT_PKS2_PKT0_S8_ifPKiSA_iPKfiiiSC_SC_iiiii,"axG",@progbits,_ZN4vllm25paged_attention_v1_kernelIttLi112ELi16ELi128ELNS_18Fp8KVCacheDataTypeE0ELb1EEEvPT_PKS2_PKT0_S8_ifPKiSA_iPKfiiiSC_SC_iiiii,comdat
	.protected	_ZN4vllm25paged_attention_v1_kernelIttLi112ELi16ELi128ELNS_18Fp8KVCacheDataTypeE0ELb1EEEvPT_PKS2_PKT0_S8_ifPKiSA_iPKfiiiSC_SC_iiiii ; -- Begin function _ZN4vllm25paged_attention_v1_kernelIttLi112ELi16ELi128ELNS_18Fp8KVCacheDataTypeE0ELb1EEEvPT_PKS2_PKT0_S8_ifPKiSA_iPKfiiiSC_SC_iiiii
	.globl	_ZN4vllm25paged_attention_v1_kernelIttLi112ELi16ELi128ELNS_18Fp8KVCacheDataTypeE0ELb1EEEvPT_PKS2_PKT0_S8_ifPKiSA_iPKfiiiSC_SC_iiiii
	.p2align	8
	.type	_ZN4vllm25paged_attention_v1_kernelIttLi112ELi16ELi128ELNS_18Fp8KVCacheDataTypeE0ELb1EEEvPT_PKS2_PKT0_S8_ifPKiSA_iPKfiiiSC_SC_iiiii,@function
_ZN4vllm25paged_attention_v1_kernelIttLi112ELi16ELi128ELNS_18Fp8KVCacheDataTypeE0ELb1EEEvPT_PKS2_PKT0_S8_ifPKiSA_iPKfiiiSC_SC_iiiii: ; @_ZN4vllm25paged_attention_v1_kernelIttLi112ELi16ELi128ELNS_18Fp8KVCacheDataTypeE0ELb1EEEvPT_PKS2_PKT0_S8_ifPKiSA_iPKfiiiSC_SC_iiiii
; %bb.0:
	s_load_dword s9, s[4:5], 0x80
	s_load_dwordx2 s[0:1], s[4:5], 0x30
	s_load_dwordx2 s[30:31], s[4:5], 0x20
	s_mov_b32 s10, s7
	s_ashr_i32 s11, s7, 31
	s_lshl_b64 s[2:3], s[10:11], 2
	s_waitcnt lgkmcnt(0)
	s_add_u32 s0, s0, s2
	s_addc_u32 s1, s1, s3
	s_abs_i32 s2, s30
	v_cvt_f32_u32_e32 v1, s2
	s_sub_i32 s11, 0, s2
	s_abs_i32 s7, s9
	s_xor_b32 s3, s9, s30
	v_rcp_iflag_f32_e32 v1, v1
	s_ashr_i32 s3, s3, 31
	s_mov_b32 s43, 0
	v_mul_f32_e32 v1, 0x4f7ffffe, v1
	v_cvt_u32_f32_e32 v1, v1
	v_readfirstlane_b32 s12, v1
	s_mul_i32 s11, s11, s12
	s_mul_hi_u32 s11, s12, s11
	s_add_i32 s12, s12, s11
	s_mul_hi_u32 s11, s7, s12
	s_mul_i32 s12, s11, s2
	s_sub_i32 s7, s7, s12
	s_add_i32 s12, s11, 1
	s_sub_i32 s13, s7, s2
	s_cmp_ge_u32 s7, s2
	s_cselect_b32 s11, s12, s11
	s_cselect_b32 s7, s13, s7
	s_add_i32 s12, s11, 1
	s_cmp_ge_u32 s7, s2
	s_cselect_b32 s2, s12, s11
	s_xor_b32 s2, s2, s3
	s_sub_i32 s12, s2, s3
	s_abs_i32 s11, s12
	v_cvt_f32_u32_e32 v1, s11
	s_load_dwordx2 s[2:3], s[4:5], 0x40
	s_sub_i32 s7, 0, s11
	s_abs_i32 s22, s6
	v_rcp_iflag_f32_e32 v1, v1
	v_mul_f32_e32 v1, 0x4f7ffffe, v1
	v_cvt_u32_f32_e32 v1, v1
	v_readfirstlane_b32 s13, v1
	s_mul_i32 s7, s7, s13
	s_mul_hi_u32 s7, s13, s7
	s_add_i32 s13, s13, s7
	s_waitcnt lgkmcnt(0)
	s_cmp_eq_u64 s[2:3], 0
	s_mul_hi_u32 s23, s22, s13
	s_cbranch_scc1 .LBB76_2
; %bb.1:
	s_ashr_i32 s7, s6, 31
	s_lshl_b64 s[14:15], s[6:7], 2
	s_add_u32 s2, s2, s14
	s_addc_u32 s3, s3, s15
	s_load_dword s43, s[2:3], 0x0
.LBB76_2:
	s_load_dword s33, s[0:1], 0x0
	s_ashr_i32 s7, s12, 31
	s_load_dwordx4 s[12:15], s[4:5], 0x48
	s_ashr_i32 s2, s6, 31
	v_and_b32_e32 v1, 3, v0
	s_mul_i32 s20, s6, 0x70
	v_cmp_gt_u32_e32 vcc, 56, v0
	v_lshlrev_b32_e32 v2, 2, v0
	s_and_saveexec_b64 s[0:1], vcc
	s_cbranch_execz .LBB76_4
; %bb.3:
	s_load_dwordx2 s[16:17], s[4:5], 0x8
	s_waitcnt lgkmcnt(0)
	s_mul_i32 s18, s12, s10
	s_ashr_i32 s19, s18, 31
	s_lshl_b64 s[18:19], s[18:19], 1
	v_and_b32_e32 v4, 0x3fc, v0
	s_add_u32 s3, s16, s18
	s_addc_u32 s12, s17, s19
	s_ashr_i32 s21, s20, 31
	s_lshl_b64 s[16:17], s[20:21], 1
	s_add_u32 s16, s3, s16
	s_addc_u32 s17, s12, s17
	global_load_dword v3, v2, s[16:17]
	v_mad_u32_u24 v4, v1, 56, v4
	s_waitcnt vmcnt(0)
	ds_write_b32 v4, v3
.LBB76_4:
	s_or_b64 exec, exec, s[0:1]
	s_mul_i32 s1, s23, s11
	s_sub_i32 s1, s22, s1
	s_xor_b32 s0, s2, s7
	s_add_i32 s2, s23, 1
	s_sub_i32 s7, s1, s11
	s_load_dwordx4 s[16:19], s[4:5], 0x68
	s_load_dword s3, s[4:5], 0x78
	s_cmp_ge_u32 s1, s11
	s_cselect_b32 s2, s2, s23
	s_cselect_b32 s1, s7, s1
	s_add_i32 s7, s2, 1
	s_cmp_ge_u32 s1, s11
	s_cselect_b32 s1, s7, s2
	s_waitcnt lgkmcnt(0)
	s_abs_i32 s21, s19
	v_cvt_f32_u32_e32 v3, s21
	s_xor_b32 s1, s1, s0
	s_sub_i32 s2, s1, s0
	s_sub_i32 s0, 0, s21
	v_rcp_iflag_f32_e32 v3, v3
	s_add_i32 s11, s33, -1
	s_abs_i32 s7, s11
	v_mul_f32_e32 v3, 0x4f7ffffe, v3
	v_cvt_u32_f32_e32 v3, v3
	s_barrier
	v_readfirstlane_b32 s40, v3
	s_mul_i32 s0, s0, s40
	s_mul_hi_u32 s0, s40, s0
	s_add_i32 s40, s40, s0
	s_cmp_lt_i32 s3, 0
	s_mul_hi_u32 s12, s7, s40
	s_cbranch_scc0 .LBB76_6
; %bb.5:
	s_mul_i32 s0, s16, s30
	s_add_i32 s0, s2, s0
	s_mul_i32 s0, s0, s3
	s_sub_i32 s41, 1, s0
	s_mov_b64 s[0:1], 0
	s_branch .LBB76_7
.LBB76_6:
	s_mov_b64 s[0:1], -1
                                        ; implicit-def: $sgpr41
.LBB76_7:
	s_load_dwordx2 s[24:25], s[4:5], 0x28
	s_ashr_i32 s15, s11, 31
	s_andn2_b64 vcc, exec, s[0:1]
	s_ashr_i32 s19, s19, 31
	s_cbranch_vccnz .LBB76_9
; %bb.8:
	s_mul_i32 s0, s9, s16
	s_add_i32 s0, s0, s6
	s_mul_i32 s0, s0, s3
	s_add_i32 s41, s0, 1
.LBB76_9:
	s_load_dword s0, s[4:5], 0x38
	s_load_dwordx2 s[22:23], s[4:5], 0x0
	s_load_dwordx2 s[28:29], s[4:5], 0x18
	s_load_dword s11, s[4:5], 0x88
	s_xor_b32 s1, s15, s19
	s_waitcnt lgkmcnt(0)
	s_mul_i32 s26, s0, s10
	s_mul_i32 s0, s12, s21
	s_sub_i32 s0, s7, s0
	s_ashr_i32 s27, s26, 31
	s_add_i32 s3, s12, 1
	s_sub_i32 s6, s0, s21
	s_cmp_ge_u32 s0, s21
	s_cselect_b32 s3, s3, s12
	s_cselect_b32 s0, s6, s0
	s_add_i32 s6, s3, 1
	s_cmp_ge_u32 s0, s21
	s_cselect_b32 s0, s6, s3
	s_xor_b32 s0, s0, s1
	s_sub_i32 s12, s0, s1
	s_add_i32 s0, s33, 15
	s_ashr_i32 s1, s0, 31
	s_lshr_b32 s1, s1, 28
	s_add_i32 s0, s0, s1
	s_ashr_i32 s42, s0, 4
	v_lshrrev_b32_e32 v9, 6, v0
	v_cmp_le_i32_e64 s[0:1], s42, v9
	v_cmp_gt_i32_e32 vcc, s42, v9
	v_mov_b32_e32 v12, 0xff7fffff
	s_mul_i32 s14, s2, s14
	v_lshrrev_b32_e32 v5, 4, v0
	v_lshlrev_b32_e32 v10, 4, v9
	v_mbcnt_lo_u32_b32 v6, -1, 0
	s_and_saveexec_b64 s[34:35], vcc
	s_cbranch_execz .LBB76_21
; %bb.10:
	s_load_dwordx2 s[2:3], s[4:5], 0x10
	s_ashr_i32 s15, s14, 31
	s_sub_i32 s16, s12, s17
	s_lshl_b64 s[4:5], s[14:15], 1
	v_bfe_u32 v7, v0, 2, 4
	s_waitcnt lgkmcnt(0)
	s_add_u32 s2, s2, s4
	s_addc_u32 s3, s3, s5
	s_abs_i32 s15, s18
	v_cvt_f32_u32_e32 v3, s15
	v_mov_b32_e32 v8, s3
	s_sub_i32 s3, 0, s15
	v_lshlrev_b32_e32 v4, 4, v7
	v_rcp_iflag_f32_e32 v3, v3
	s_lshl_b64 s[4:5], s[26:27], 2
	v_and_b32_e32 v2, 12, v2
	s_add_u32 s4, s24, s4
	v_mul_f32_e32 v3, 0x4f7ffffe, v3
	v_cvt_u32_f32_e32 v3, v3
	v_cmp_eq_u32_e32 vcc, 0, v1
	v_mul_u32_u24_e32 v13, 56, v1
	v_and_b32_e32 v1, 60, v5
	v_mul_lo_u32 v11, s3, v3
	v_add_co_u32_e64 v4, s[2:3], s2, v4
	v_addc_co_u32_e64 v12, s[2:3], 0, v8, s[2:3]
	v_mul_hi_u32 v14, v3, v11
	v_add_co_u32_e64 v8, s[2:3], v4, v2
	s_addc_u32 s5, s25, s5
	v_add_u32_e32 v14, v3, v14
	v_subrev_u32_e32 v3, s33, v7
	v_add_u32_e32 v16, 1, v3
	v_lshlrev_b32_e32 v3, 2, v7
	v_lshl_or_b32 v3, v9, 6, v3
	v_mbcnt_hi_u32_b32 v19, -1, v6
	v_addc_co_u32_e64 v11, s[2:3], 0, v12, s[2:3]
	v_mov_b32_e32 v2, s5
	v_add_co_u32_e64 v1, s[4:5], s4, v1
	v_add_u32_e32 v17, 0xf0, v3
	v_and_b32_e32 v3, 64, v19
	s_mov_b32 s30, s13
	v_cmp_neq_f32_e64 s[2:3], s43, 0
	v_addc_co_u32_e64 v2, s[4:5], 0, v2, s[4:5]
	v_lshlrev_b32_e32 v15, 4, v9
	v_mov_b32_e32 v18, 0xff7fffff
	s_mov_b64 s[36:37], 0
	v_add_u32_e32 v20, 64, v3
	v_xor_b32_e32 v21, 2, v19
	v_xor_b32_e32 v22, 1, v19
	v_mov_b32_e32 v12, 0xff7fffff
	v_mov_b32_e32 v23, v9
	s_branch .LBB76_13
.LBB76_11:                              ;   in Loop: Header=BB76_13 Depth=1
	s_or_b64 exec, exec, s[38:39]
.LBB76_12:                              ;   in Loop: Header=BB76_13 Depth=1
	s_or_b64 exec, exec, s[6:7]
	v_add_co_u32_e64 v1, s[4:5], 8, v1
	v_add_u32_e32 v23, 2, v23
	v_addc_co_u32_e64 v2, s[4:5], 0, v2, s[4:5]
	v_cmp_le_i32_e64 s[4:5], s42, v23
	v_add_u32_e32 v15, 32, v15
	s_or_b64 s[36:37], s[4:5], s[36:37]
	v_add_u32_e32 v17, 0x80, v17
	s_andn2_b64 exec, exec, s[36:37]
	s_cbranch_execz .LBB76_20
.LBB76_13:                              ; =>This Inner Loop Header: Depth=1
	v_mul_hi_u32 v3, v15, s40
	s_waitcnt lgkmcnt(0)
	v_mul_lo_u32 v4, v3, s21
	v_add_u32_e32 v24, 1, v3
	v_sub_u32_e32 v4, v15, v4
	v_cmp_le_u32_e64 s[4:5], s21, v4
	v_cndmask_b32_e64 v3, v3, v24, s[4:5]
	v_subrev_u32_e32 v24, s21, v4
	v_cndmask_b32_e64 v4, v4, v24, s[4:5]
	v_add_u32_e32 v24, 1, v3
	v_cmp_le_u32_e64 s[4:5], s21, v4
	v_cndmask_b32_e64 v3, v3, v24, s[4:5]
	v_xor_b32_e32 v3, s19, v3
	v_subrev_u32_e32 v3, s19, v3
	v_add_u32_e32 v4, s41, v3
	v_sub_u32_e32 v24, 0, v4
	v_max_i32_e32 v24, v4, v24
	v_mul_hi_u32 v25, v24, v14
	v_ashrrev_i32_e32 v4, 31, v4
	v_cmp_ge_i32_e64 s[6:7], s16, v3
	v_mul_lo_u32 v25, v25, s15
	v_sub_u32_e32 v24, v24, v25
	v_subrev_u32_e32 v25, s15, v24
	v_cmp_le_u32_e64 s[4:5], s15, v24
	v_cndmask_b32_e64 v24, v24, v25, s[4:5]
	v_subrev_u32_e32 v25, s15, v24
	v_cmp_le_u32_e64 s[4:5], s15, v24
	v_cndmask_b32_e64 v24, v24, v25, s[4:5]
	v_xor_b32_e32 v24, v24, v4
	v_sub_u32_e32 v4, v24, v4
	v_cmp_ne_u32_e64 s[4:5], 0, v4
	s_and_b64 s[4:5], s[4:5], s[6:7]
	s_and_saveexec_b64 s[6:7], s[4:5]
	s_xor_b64 s[4:5], exec, s[6:7]
	s_cbranch_execz .LBB76_17
; %bb.14:                               ;   in Loop: Header=BB76_13 Depth=1
	s_and_saveexec_b64 s[6:7], vcc
; %bb.15:                               ;   in Loop: Header=BB76_13 Depth=1
	ds_write_b32 v17, v18
; %bb.16:                               ;   in Loop: Header=BB76_13 Depth=1
	s_or_b64 exec, exec, s[6:7]
.LBB76_17:                              ;   in Loop: Header=BB76_13 Depth=1
	s_andn2_saveexec_b64 s[6:7], s[4:5]
	s_cbranch_execz .LBB76_12
; %bb.18:                               ;   in Loop: Header=BB76_13 Depth=1
	global_load_dword v3, v[1:2], off
	s_waitcnt vmcnt(0)
	v_mad_i64_i32 v[3:4], s[4:5], v3, s30, 0
	v_lshlrev_b64 v[3:4], 1, v[3:4]
	v_add_co_u32_e64 v3, s[4:5], v8, v3
	v_addc_co_u32_e64 v4, s[4:5], v11, v4, s[4:5]
	global_load_dword v34, v[3:4], off
	global_load_dword v33, v[3:4], off offset:256
	global_load_dword v32, v[3:4], off offset:512
	;; [unrolled: 1-line block ×11, first 2 shown]
	ds_read_b32 v36, v13
	v_cmp_lt_i32_e64 s[4:5], v21, v20
	v_cndmask_b32_e64 v35, v19, v21, s[4:5]
	v_lshlrev_b32_e32 v35, 2, v35
	v_cmp_lt_i32_e64 s[4:5], v22, v20
	s_waitcnt lgkmcnt(0)
	v_lshrrev_b32_e32 v38, 16, v36
	v_and_b32_e32 v39, 0xffff, v36
	global_load_dword v36, v[3:4], off offset:3072
	s_nop 0
	global_load_dword v3, v[3:4], off offset:3328
	;;#ASMSTART
	v_cvt_f32_f16 v39, v39;
	;;#ASMEND
	;;#ASMSTART
	v_cvt_f32_f16 v38, v38;
	;;#ASMEND
	s_waitcnt vmcnt(13)
	v_lshrrev_b32_e32 v4, 16, v34
	v_and_b32_e32 v34, 0xffff, v34
	;;#ASMSTART
	v_cvt_f32_f16 v40, v34;
	;;#ASMEND
	;;#ASMSTART
	v_cvt_f32_f16 v34, v4;
	;;#ASMEND
	ds_read_b32 v4, v13 offset:4
	s_waitcnt vmcnt(12)
	v_and_b32_e32 v42, 0xffff, v33
	s_waitcnt vmcnt(11)
	v_and_b32_e32 v45, 0xffff, v32
	v_lshrrev_b32_e32 v46, 16, v32
	v_lshrrev_b32_e32 v33, 16, v33
	s_waitcnt lgkmcnt(0)
	v_lshrrev_b32_e32 v32, 16, v4
	v_and_b32_e32 v4, 0xffff, v4
	;;#ASMSTART
	v_cvt_f32_f16 v4, v4;
	;;#ASMEND
	;;#ASMSTART
	v_cvt_f32_f16 v41, v32;
	;;#ASMEND
	;; [unrolled: 3-line block ×4, first 2 shown]
	ds_read_b32 v32, v13 offset:8
	s_waitcnt vmcnt(10)
	v_and_b32_e32 v33, 0xffff, v31
	v_lshrrev_b32_e32 v47, 16, v31
	s_waitcnt vmcnt(9)
	v_lshrrev_b32_e32 v48, 16, v30
	v_and_b32_e32 v49, 0xffff, v30
	s_waitcnt lgkmcnt(0)
	v_lshrrev_b32_e32 v30, 16, v32
	v_and_b32_e32 v31, 0xffff, v32
	;;#ASMSTART
	v_cvt_f32_f16 v44, v31;
	;;#ASMEND
	;;#ASMSTART
	v_cvt_f32_f16 v30, v30;
	;;#ASMEND
	;; [unrolled: 3-line block ×4, first 2 shown]
	ds_read_b32 v32, v13 offset:12
	s_waitcnt vmcnt(8)
	v_lshrrev_b32_e32 v50, 16, v29
	v_and_b32_e32 v51, 0xffff, v29
	s_waitcnt vmcnt(7)
	v_lshrrev_b32_e32 v52, 16, v28
	v_and_b32_e32 v53, 0xffff, v28
	s_waitcnt lgkmcnt(0)
	v_lshrrev_b32_e32 v29, 16, v32
	v_and_b32_e32 v28, 0xffff, v32
	;;#ASMSTART
	v_cvt_f32_f16 v28, v28;
	;;#ASMEND
	;;#ASMSTART
	v_cvt_f32_f16 v29, v29;
	;;#ASMEND
	;; [unrolled: 3-line block ×4, first 2 shown]
	ds_read_b32 v46, v13 offset:16
	s_waitcnt vmcnt(6)
	v_lshrrev_b32_e32 v54, 16, v27
	v_and_b32_e32 v55, 0xffff, v27
	s_waitcnt vmcnt(5)
	v_lshrrev_b32_e32 v56, 16, v26
	v_and_b32_e32 v57, 0xffff, v26
	s_waitcnt lgkmcnt(0)
	v_lshrrev_b32_e32 v27, 16, v46
	v_and_b32_e32 v26, 0xffff, v46
	;;#ASMSTART
	v_cvt_f32_f16 v26, v26;
	;;#ASMEND
	;;#ASMSTART
	v_cvt_f32_f16 v27, v27;
	;;#ASMEND
	;; [unrolled: 3-line block ×4, first 2 shown]
	ds_read_b32 v48, v13 offset:20
	v_mul_f32_e32 v4, v4, v42
	v_fmac_f32_e32 v4, v39, v40
	s_waitcnt vmcnt(4)
	v_lshrrev_b32_e32 v58, 16, v25
	v_and_b32_e32 v59, 0xffff, v25
	s_waitcnt lgkmcnt(0)
	v_and_b32_e32 v39, 0xffff, v48
	v_lshrrev_b32_e32 v25, 16, v48
	;;#ASMSTART
	v_cvt_f32_f16 v39, v39;
	;;#ASMEND
	;;#ASMSTART
	v_cvt_f32_f16 v40, v25;
	;;#ASMEND
	;; [unrolled: 3-line block ×4, first 2 shown]
	ds_read_b32 v49, v13 offset:24
	v_mul_f32_e32 v25, v41, v43
	s_waitcnt vmcnt(3)
	v_lshrrev_b32_e32 v50, 16, v24
	v_and_b32_e32 v51, 0xffff, v24
	v_fmac_f32_e32 v25, v38, v34
	s_waitcnt lgkmcnt(0)
	v_lshrrev_b32_e32 v34, 16, v49
	v_and_b32_e32 v24, 0xffff, v49
	;;#ASMSTART
	v_cvt_f32_f16 v24, v24;
	;;#ASMEND
	;;#ASMSTART
	v_cvt_f32_f16 v34, v34;
	;;#ASMEND
	;; [unrolled: 3-line block ×4, first 2 shown]
	ds_read_b32 v43, v13 offset:28
	v_fmac_f32_e32 v25, v30, v31
	v_fmac_f32_e32 v4, v44, v45
	s_waitcnt vmcnt(2)
	v_lshrrev_b32_e32 v45, 16, v37
	v_and_b32_e32 v49, 0xffff, v37
	s_waitcnt lgkmcnt(0)
	v_lshrrev_b32_e32 v31, 16, v43
	v_and_b32_e32 v30, 0xffff, v43
	;;#ASMSTART
	v_cvt_f32_f16 v30, v30;
	;;#ASMEND
	;;#ASMSTART
	v_cvt_f32_f16 v31, v31;
	;;#ASMEND
	;; [unrolled: 3-line block ×4, first 2 shown]
	ds_read_b32 v44, v13 offset:32
	v_fmac_f32_e32 v4, v28, v32
	v_fmac_f32_e32 v25, v29, v33
	s_waitcnt vmcnt(1)
	v_lshrrev_b32_e32 v52, 16, v36
	v_and_b32_e32 v53, 0xffff, v36
	s_waitcnt lgkmcnt(0)
	v_lshrrev_b32_e32 v29, 16, v44
	v_and_b32_e32 v28, 0xffff, v44
	;;#ASMSTART
	v_cvt_f32_f16 v28, v28;
	;;#ASMEND
	;;#ASMSTART
	v_cvt_f32_f16 v29, v29;
	;;#ASMEND
	;; [unrolled: 3-line block ×4, first 2 shown]
	ds_read_b32 v36, v13 offset:36
	s_waitcnt vmcnt(0)
	v_lshrrev_b32_e32 v54, 16, v3
	v_and_b32_e32 v55, 0xffff, v3
	v_fmac_f32_e32 v4, v26, v46
	v_fmac_f32_e32 v25, v27, v47
	s_waitcnt lgkmcnt(0)
	v_lshrrev_b32_e32 v26, 16, v36
	v_and_b32_e32 v3, 0xffff, v36
	;;#ASMSTART
	v_cvt_f32_f16 v3, v3;
	;;#ASMEND
	;;#ASMSTART
	v_cvt_f32_f16 v26, v26;
	;;#ASMEND
	;;#ASMSTART
	v_cvt_f32_f16 v27, v59;
	;;#ASMEND
	;;#ASMSTART
	v_cvt_f32_f16 v36, v58;
	;;#ASMEND
	ds_read_b32 v44, v13 offset:40
	v_fmac_f32_e32 v4, v39, v42
	v_fmac_f32_e32 v25, v40, v48
	v_fmac_f32_e32 v4, v24, v38
	v_fmac_f32_e32 v25, v34, v41
	s_waitcnt lgkmcnt(0)
	v_lshrrev_b32_e32 v34, 16, v44
	v_and_b32_e32 v24, 0xffff, v44
	;;#ASMSTART
	v_cvt_f32_f16 v24, v24;
	;;#ASMEND
	;;#ASMSTART
	v_cvt_f32_f16 v34, v34;
	;;#ASMEND
	;;#ASMSTART
	v_cvt_f32_f16 v38, v51;
	;;#ASMEND
	;;#ASMSTART
	v_cvt_f32_f16 v39, v50;
	;;#ASMEND
	ds_read_b32 v40, v13 offset:44
	v_fmac_f32_e32 v4, v30, v37
	v_fmac_f32_e32 v25, v31, v43
	;; [unrolled: 20-line block ×4, first 2 shown]
	v_fmac_f32_e32 v4, v3, v26
	v_fmac_f32_e32 v25, v24, v27
	s_waitcnt lgkmcnt(0)
	v_lshrrev_b32_e32 v24, 16, v32
	v_and_b32_e32 v3, 0xffff, v32
	;;#ASMSTART
	v_cvt_f32_f16 v3, v3;
	;;#ASMEND
	;;#ASMSTART
	v_cvt_f32_f16 v24, v24;
	;;#ASMEND
	;; [unrolled: 3-line block ×4, first 2 shown]
	v_fmac_f32_e32 v4, v3, v26
	v_fmac_f32_e32 v25, v24, v27
	v_add_f32_e32 v3, v4, v25
	ds_bpermute_b32 v4, v35, v3
	v_cndmask_b32_e64 v24, v19, v22, s[4:5]
	s_waitcnt lgkmcnt(0)
	v_add_f32_e32 v3, v3, v4
	v_lshlrev_b32_e32 v4, 2, v24
	ds_bpermute_b32 v4, v4, v3
	s_and_saveexec_b64 s[38:39], vcc
	s_cbranch_execz .LBB76_11
; %bb.19:                               ;   in Loop: Header=BB76_13 Depth=1
	v_add_u32_e32 v24, v16, v15
	v_cvt_f32_i32_e32 v24, v24
	s_waitcnt lgkmcnt(0)
	v_add_f32_e32 v3, v3, v4
	v_add_u32_e32 v25, v7, v15
	v_cmp_gt_i32_e64 s[4:5], s33, v25
	v_mul_f32_e32 v4, s43, v24
	v_cndmask_b32_e64 v4, 0, v4, s[2:3]
	v_fmac_f32_e32 v4, s31, v3
	v_cndmask_b32_e64 v3, 0, v4, s[4:5]
	ds_write_b32 v17, v3
	v_max_f32_e32 v3, v12, v12
	v_max_f32_e32 v3, v3, v4
	v_cndmask_b32_e64 v12, v12, v3, s[4:5]
	s_branch .LBB76_11
.LBB76_20:
	s_or_b64 exec, exec, s[36:37]
.LBB76_21:
	s_or_b64 exec, exec, s[34:35]
	v_mbcnt_hi_u32_b32 v2, -1, v6
	v_and_b32_e32 v14, 64, v2
	v_add_u32_e32 v3, 64, v14
	v_xor_b32_e32 v1, 32, v2
	v_cmp_lt_i32_e32 vcc, v1, v3
	v_cndmask_b32_e32 v1, v2, v1, vcc
	s_waitcnt lgkmcnt(0)
	v_lshlrev_b32_e32 v4, 2, v1
	ds_bpermute_b32 v1, v4, v12
	v_xor_b32_e32 v7, 16, v2
	v_max_f32_e32 v6, v12, v12
	v_cmp_lt_i32_e32 vcc, v7, v3
	v_xor_b32_e32 v8, 8, v2
	s_waitcnt lgkmcnt(0)
	v_max_f32_e32 v1, v1, v1
	v_max_f32_e32 v1, v6, v1
	v_cndmask_b32_e32 v6, v2, v7, vcc
	v_lshlrev_b32_e32 v6, 2, v6
	ds_bpermute_b32 v7, v6, v1
	v_cmp_lt_i32_e32 vcc, v8, v3
	v_xor_b32_e32 v11, 4, v2
	s_waitcnt lgkmcnt(0)
	v_max_f32_e32 v7, v7, v7
	v_max_f32_e32 v1, v1, v7
	v_cndmask_b32_e32 v7, v2, v8, vcc
	v_lshlrev_b32_e32 v12, 2, v7
	ds_bpermute_b32 v7, v12, v1
	v_cmp_lt_i32_e32 vcc, v11, v3
	s_waitcnt lgkmcnt(0)
	v_max_f32_e32 v7, v7, v7
	v_max_f32_e32 v8, v1, v7
	v_cndmask_b32_e32 v1, v2, v11, vcc
	v_lshlrev_b32_e32 v13, 2, v1
	ds_bpermute_b32 v11, v13, v8
	v_and_b32_e32 v1, 63, v0
	v_cmp_eq_u32_e32 vcc, 0, v1
	v_lshlrev_b32_e32 v7, 2, v9
	s_and_saveexec_b64 s[2:3], vcc
	s_cbranch_execz .LBB76_23
; %bb.22:
	s_waitcnt lgkmcnt(0)
	v_max_f32_e32 v11, v11, v11
	v_max_f32_e32 v8, v8, v8
	;; [unrolled: 1-line block ×3, first 2 shown]
	ds_write_b32 v7, v8 offset:224
.LBB76_23:
	s_or_b64 exec, exec, s[2:3]
	v_cmp_gt_u32_e64 s[2:3], 2, v1
	v_mov_b32_e32 v15, 0xff7fffff
	v_lshlrev_b32_e32 v8, 2, v1
	s_waitcnt lgkmcnt(0)
	s_barrier
	s_and_saveexec_b64 s[4:5], s[2:3]
; %bb.24:
	ds_read_b32 v15, v8 offset:224
; %bb.25:
	s_or_b64 exec, exec, s[4:5]
	v_xor_b32_e32 v11, 1, v2
	v_cmp_lt_i32_e64 s[4:5], v11, v3
	v_cndmask_b32_e64 v11, v2, v11, s[4:5]
	v_lshlrev_b32_e32 v11, 2, v11
	s_waitcnt lgkmcnt(0)
	ds_bpermute_b32 v16, v11, v15
	v_max_f32_e32 v15, v15, v15
	v_lshlrev_b32_e32 v14, 2, v14
	s_lshl_b32 s4, s42, 4
	s_min_i32 s15, s4, s33
	s_waitcnt lgkmcnt(0)
	v_max_f32_e32 v16, v16, v16
	v_max_f32_e32 v15, v15, v16
	ds_bpermute_b32 v15, v14, v15
	v_cmp_gt_i32_e64 s[4:5], s15, v0
	v_mov_b32_e32 v14, 0
	s_and_saveexec_b64 s[30:31], s[4:5]
	s_cbranch_execz .LBB76_29
; %bb.26:
	v_mov_b32_e32 v14, 0xf0
	v_lshl_add_u32 v16, v0, 2, v14
	v_mov_b32_e32 v14, 0
	s_mov_b64 s[34:35], 0
	v_mov_b32_e32 v17, v0
.LBB76_27:                              ; =>This Inner Loop Header: Depth=1
	ds_read_b32 v18, v16
	v_add_u32_e32 v17, 0x80, v17
	v_cmp_le_i32_e64 s[6:7], s15, v17
	s_or_b64 s[34:35], s[6:7], s[34:35]
	s_waitcnt lgkmcnt(0)
	v_sub_f32_e32 v18, v18, v15
	v_mul_f32_e32 v18, 0x3fb8aa3b, v18
	v_exp_f32_e32 v18, v18
	ds_write_b32 v16, v18
	v_add_f32_e32 v14, v14, v18
	v_add_u32_e32 v16, 0x200, v16
	s_andn2_b64 exec, exec, s[34:35]
	s_cbranch_execnz .LBB76_27
; %bb.28:
	s_or_b64 exec, exec, s[34:35]
.LBB76_29:
	s_or_b64 exec, exec, s[30:31]
	ds_bpermute_b32 v4, v4, v14
	s_waitcnt lgkmcnt(0)
	v_add_f32_e32 v4, v14, v4
	ds_bpermute_b32 v6, v6, v4
	s_waitcnt lgkmcnt(0)
	v_add_f32_e32 v4, v4, v6
	ds_bpermute_b32 v6, v12, v4
	v_xor_b32_e32 v12, 2, v2
	v_cmp_lt_i32_e64 s[6:7], v12, v3
	v_cndmask_b32_e64 v3, v2, v12, s[6:7]
	v_lshlrev_b32_e32 v3, 2, v3
	s_waitcnt lgkmcnt(0)
	v_add_f32_e32 v4, v4, v6
	ds_bpermute_b32 v6, v13, v4
	s_waitcnt lgkmcnt(0)
	v_add_f32_e32 v4, v4, v6
	ds_bpermute_b32 v3, v3, v4
	;; [unrolled: 3-line block ×3, first 2 shown]
	s_waitcnt lgkmcnt(0)
	v_add_f32_e32 v3, v3, v4
	s_and_saveexec_b64 s[6:7], vcc
; %bb.30:
	ds_write_b32 v7, v3 offset:232
; %bb.31:
	s_or_b64 exec, exec, s[6:7]
	s_waitcnt lgkmcnt(0)
	s_barrier
	s_and_saveexec_b64 s[6:7], s[2:3]
; %bb.32:
	ds_read_b32 v3, v8 offset:232
; %bb.33:
	s_or_b64 exec, exec, s[6:7]
	s_waitcnt lgkmcnt(0)
	ds_bpermute_b32 v4, v11, v3
	v_lshlrev_b32_e32 v2, 2, v2
	v_and_b32_e32 v2, 0x100, v2
	s_waitcnt lgkmcnt(0)
	v_add_f32_e32 v3, v3, v4
	ds_bpermute_b32 v2, v2, v3
	s_and_saveexec_b64 s[2:3], s[4:5]
	s_cbranch_execz .LBB76_36
; %bb.34:
	s_waitcnt lgkmcnt(0)
	v_add_f32_e32 v3, 0x358637bd, v2
	v_div_scale_f32 v2, s[4:5], v3, v3, 1.0
	v_div_scale_f32 v4, vcc, 1.0, v3, 1.0
	s_mov_b64 s[4:5], 0
	v_rcp_f32_e32 v6, v2
	v_fma_f32 v7, -v2, v6, 1.0
	v_fmac_f32_e32 v6, v7, v6
	v_mul_f32_e32 v7, v4, v6
	v_fma_f32 v8, -v2, v7, v4
	v_fmac_f32_e32 v7, v8, v6
	v_fma_f32 v2, -v2, v7, v4
	v_div_fmas_f32 v4, v2, v6, v7
	v_mov_b32_e32 v2, 0xf0
	v_lshl_add_u32 v2, v0, 2, v2
	v_div_fixup_f32 v3, v4, v3, 1.0
	v_mov_b32_e32 v4, v0
.LBB76_35:                              ; =>This Inner Loop Header: Depth=1
	ds_read_b32 v6, v2
	v_add_u32_e32 v4, 0x80, v4
	v_cmp_le_i32_e32 vcc, s15, v4
	s_or_b64 s[4:5], vcc, s[4:5]
	s_waitcnt lgkmcnt(0)
	v_mul_f32_e32 v6, v3, v6
	ds_write_b32 v2, v6
	v_add_u32_e32 v2, 0x200, v2
	s_andn2_b64 exec, exec, s[4:5]
	s_cbranch_execnz .LBB76_35
.LBB76_36:
	s_or_b64 exec, exec, s[2:3]
	v_lshrrev_b32_e32 v12, 1, v1
	s_waitcnt lgkmcnt(0)
	s_barrier
	s_and_saveexec_b64 s[2:3], s[0:1]
	s_xor_b64 s[0:1], exec, s[2:3]
; %bb.37:
	v_lshrrev_b32_e32 v12, 1, v1
                                        ; implicit-def: $vgpr10
                                        ; implicit-def: $vgpr9
                                        ; implicit-def: $vgpr5
; %bb.38:
	s_or_saveexec_b64 s[4:5], s[0:1]
	v_mov_b32_e32 v16, 0
	v_and_b32_e32 v13, 1, v0
	v_mov_b32_e32 v17, 0
	v_mov_b32_e32 v15, 0
	;; [unrolled: 1-line block ×3, first 2 shown]
	s_xor_b64 exec, exec, s[4:5]
	s_cbranch_execz .LBB76_54
; %bb.39:
	s_ashr_i32 s15, s14, 31
	s_sub_i32 s30, s12, s17
	s_lshl_b64 s[0:1], s[14:15], 1
	s_add_u32 s28, s28, s0
	s_addc_u32 s29, s29, s1
	s_abs_i32 s18, s18
	v_cvt_f32_u32_e32 v1, s18
	s_sub_i32 s1, 0, s18
	v_and_b32_e32 v4, 60, v5
	s_add_i32 s34, s42, -1
	v_rcp_iflag_f32_e32 v1, v1
	s_lshl_b64 s[2:3], s[26:27], 2
	s_add_u32 s2, s24, s2
	s_addc_u32 s3, s25, s3
	v_mul_f32_e32 v1, 0x4f7ffffe, v1
	v_cvt_u32_f32_e32 v1, v1
	v_lshlrev_b32_e32 v2, 3, v0
	v_or_b32_e32 v3, 0x60, v12
	s_movk_i32 s0, 0x70
	v_mul_lo_u32 v5, s1, v1
	v_and_b32_e32 v19, 8, v2
	v_cmp_gt_u32_e64 s[0:1], s0, v3
	v_lshl_or_b32 v2, v12, 4, v19
	v_mul_hi_u32 v5, v1, v5
	v_lshl_or_b32 v3, v3, 4, v19
	s_mov_b32 s31, s13
	v_mov_b32_e32 v14, 0
	v_add_u32_e32 v20, v1, v5
	v_mov_b32_e32 v1, s3
	v_add_co_u32_e32 v5, vcc, s2, v4
	v_addc_co_u32_e32 v6, vcc, 0, v1, vcc
	v_lshlrev_b32_e32 v1, 5, v13
	v_lshl_or_b32 v1, v9, 6, v1
	v_add_u32_e32 v21, 0xf0, v1
	s_mov_b64 s[6:7], 0
	v_lshlrev_b32_e32 v22, 1, v2
	s_mov_b32 s24, 0xffff
	v_lshlrev_b32_e32 v23, 1, v3
	v_mov_b32_e32 v18, 0
	v_mov_b32_e32 v15, 0
	;; [unrolled: 1-line block ×4, first 2 shown]
	s_branch .LBB76_43
.LBB76_40:                              ;   in Loop: Header=BB76_43 Depth=1
	s_or_b64 exec, exec, s[16:17]
	v_lshlrev_b32_e32 v24, 16, v35
	v_and_or_b32 v1, v1, s24, v24
	v_lshlrev_b32_e32 v24, 16, v32
	v_and_or_b32 v2, v2, s24, v24
	v_lshlrev_b32_e32 v24, 16, v31
	v_and_or_b32 v3, v3, s24, v24
	;;#ASMSTART
	v_pk_mul_f16 v1, v28, v1;

	;;#ASMEND
	;;#ASMSTART
	v_pk_mul_f16 v2, v29, v2;

	;;#ASMEND
	;; [unrolled: 4-line block ×4, first 2 shown]
	;;#ASMSTART
	v_pk_add_f16 v1, v1, v2;

	;;#ASMEND
	;;#ASMSTART
	v_pk_add_f16 v1, v1, v3;

	;;#ASMEND
	;; [unrolled: 4-line block ×3, first 2 shown]
	v_lshrrev_b32_e32 v2, 16, v1
	v_and_b32_e32 v1, 0xffff, v1
	;;#ASMSTART
	v_cvt_f32_f16 v1, v1;
	;;#ASMEND
	;;#ASMSTART
	v_cvt_f32_f16 v2, v2;
	;;#ASMEND
	v_add_f32_e32 v1, v1, v2
	v_add_f32_e32 v18, v18, v1
.LBB76_41:                              ;   in Loop: Header=BB76_43 Depth=1
	s_or_b64 exec, exec, s[14:15]
	v_add_f32_e32 v1, v33, v34
	v_add_f32_e32 v17, v17, v1
	;; [unrolled: 1-line block ×6, first 2 shown]
.LBB76_42:                              ;   in Loop: Header=BB76_43 Depth=1
	s_or_b64 exec, exec, s[12:13]
	v_add_co_u32_e32 v5, vcc, 8, v5
	v_add_u32_e32 v9, 2, v9
	v_addc_co_u32_e32 v6, vcc, 0, v6, vcc
	v_cmp_le_i32_e32 vcc, s42, v9
	v_add_u32_e32 v10, 32, v10
	s_or_b64 s[6:7], vcc, s[6:7]
	v_add_u32_e32 v21, 0x80, v21
	s_andn2_b64 exec, exec, s[6:7]
	s_cbranch_execz .LBB76_53
.LBB76_43:                              ; =>This Inner Loop Header: Depth=1
	v_mul_hi_u32 v1, v10, s40
	v_mul_lo_u32 v2, v1, s21
	v_add_u32_e32 v3, 1, v1
	v_sub_u32_e32 v2, v10, v2
	v_cmp_le_u32_e32 vcc, s21, v2
	v_cndmask_b32_e32 v1, v1, v3, vcc
	v_subrev_u32_e32 v3, s21, v2
	v_cndmask_b32_e32 v2, v2, v3, vcc
	v_add_u32_e32 v3, 1, v1
	v_cmp_le_u32_e32 vcc, s21, v2
	v_cndmask_b32_e32 v1, v1, v3, vcc
	v_xor_b32_e32 v1, s19, v1
	v_subrev_u32_e32 v1, s19, v1
	v_add_u32_e32 v2, s41, v1
	v_sub_u32_e32 v3, 0, v2
	v_max_i32_e32 v3, v2, v3
	v_mul_hi_u32 v4, v3, v20
	v_ashrrev_i32_e32 v2, 31, v2
	v_cmp_lt_i32_e64 s[2:3], s30, v1
	v_mul_lo_u32 v4, v4, s18
	v_sub_u32_e32 v3, v3, v4
	v_subrev_u32_e32 v4, s18, v3
	v_cmp_le_u32_e32 vcc, s18, v3
	v_cndmask_b32_e32 v3, v3, v4, vcc
	v_subrev_u32_e32 v4, s18, v3
	v_cmp_le_u32_e32 vcc, s18, v3
	v_cndmask_b32_e32 v3, v3, v4, vcc
	v_xor_b32_e32 v3, v3, v2
	v_sub_u32_e32 v2, v3, v2
	v_cmp_eq_u32_e32 vcc, 0, v2
	s_or_b64 s[2:3], vcc, s[2:3]
	s_and_saveexec_b64 s[12:13], s[2:3]
	s_cbranch_execz .LBB76_42
; %bb.44:                               ;   in Loop: Header=BB76_43 Depth=1
	global_load_dword v7, v[5:6], off
	ds_read2_b64 v[1:4], v21 offset1:1
	ds_read2_b64 v[32:35], v21 offset0:2 offset1:3
	v_mov_b32_e32 v8, s29
	v_add_u32_e32 v24, v19, v10
	s_waitcnt lgkmcnt(1)
	;;#ASMSTART
	v_cvt_f16_f32 v25, v1;

	;;#ASMEND
	;;#ASMSTART
	v_cvt_f16_f32 v26, v2;

	;;#ASMEND
	;; [unrolled: 4-line block ×4, first 2 shown]
	s_waitcnt lgkmcnt(0)
	;;#ASMSTART
	v_cvt_f16_f32 v30, v32;

	;;#ASMEND
	;;#ASMSTART
	v_cvt_f16_f32 v33, v33;

	;;#ASMEND
	;; [unrolled: 4-line block ×4, first 2 shown]
	s_waitcnt vmcnt(0)
	v_mad_i64_i32 v[1:2], s[2:3], v7, s31, 0
	v_cmp_eq_u32_e64 s[2:3], s34, v9
	v_lshlrev_b64 v[1:2], 1, v[1:2]
	v_add_co_u32_e32 v31, vcc, s28, v1
	v_addc_co_u32_e32 v32, vcc, v8, v2, vcc
	v_add_co_u32_e32 v7, vcc, v31, v22
	v_addc_co_u32_e32 v8, vcc, 0, v32, vcc
	global_load_dwordx4 v[1:4], v[7:8], off
	s_waitcnt vmcnt(0)
	v_lshrrev_b32_e32 v38, 16, v1
	v_lshrrev_b32_e32 v37, 16, v2
	;; [unrolled: 1-line block ×3, first 2 shown]
	s_and_saveexec_b64 s[14:15], s[2:3]
	s_cbranch_execz .LBB76_46
; %bb.45:                               ;   in Loop: Header=BB76_43 Depth=1
	v_cmp_gt_i32_e32 vcc, s33, v24
	v_add_u32_e32 v28, 1, v24
	v_cndmask_b32_e32 v1, 0, v1, vcc
	v_cmp_gt_i32_e32 vcc, s33, v28
	v_add_u32_e32 v28, 2, v24
	v_cndmask_b32_e32 v38, 0, v38, vcc
	;; [unrolled: 3-line block ×6, first 2 shown]
	v_cmp_gt_i32_e32 vcc, s33, v28
	v_add_u32_e32 v39, 7, v24
	v_cndmask_b32_sdwa v28, v14, v4, vcc dst_sel:DWORD dst_unused:UNUSED_PAD src0_sel:DWORD src1_sel:WORD_0
	v_and_b32_e32 v4, 0xffff0000, v4
	v_cmp_gt_i32_e32 vcc, s33, v39
	v_cndmask_b32_e32 v4, 0, v4, vcc
	v_or_b32_e32 v4, v28, v4
.LBB76_46:                              ;   in Loop: Header=BB76_43 Depth=1
	s_or_b64 exec, exec, s[14:15]
	v_and_b32_e32 v25, 0xffff, v25
	v_lshl_or_b32 v28, v26, 16, v25
	v_and_b32_e32 v25, 0xffff, v27
	v_lshl_or_b32 v29, v29, 16, v25
	;; [unrolled: 2-line block ×4, first 2 shown]
	v_lshlrev_b32_e32 v25, 16, v38
	v_and_or_b32 v1, v1, s24, v25
	v_lshlrev_b32_e32 v25, 16, v37
	v_and_or_b32 v2, v2, s24, v25
	;; [unrolled: 2-line block ×3, first 2 shown]
	;;#ASMSTART
	v_pk_mul_f16 v1, v28, v1;

	;;#ASMEND
	;;#ASMSTART
	v_pk_mul_f16 v2, v29, v2;

	;;#ASMEND
	;; [unrolled: 4-line block ×4, first 2 shown]
	;;#ASMSTART
	v_pk_add_f16 v1, v1, v2;

	;;#ASMEND
	;;#ASMSTART
	v_pk_add_f16 v1, v1, v3;

	;;#ASMEND
	;; [unrolled: 4-line block ×3, first 2 shown]
	v_lshrrev_b32_e32 v2, 16, v1
	v_and_b32_e32 v1, 0xffff, v1
	;;#ASMSTART
	v_cvt_f32_f16 v25, v1;
	;;#ASMEND
	;;#ASMSTART
	v_cvt_f32_f16 v26, v2;
	;;#ASMEND
	global_load_dwordx4 v[1:4], v[7:8], off offset:1024
	s_waitcnt vmcnt(0)
	v_lshrrev_b32_e32 v35, 16, v1
	v_lshrrev_b32_e32 v34, 16, v2
	;; [unrolled: 1-line block ×3, first 2 shown]
	s_and_saveexec_b64 s[14:15], s[2:3]
	s_cbranch_execz .LBB76_48
; %bb.47:                               ;   in Loop: Header=BB76_43 Depth=1
	v_cmp_gt_i32_e32 vcc, s33, v24
	v_add_u32_e32 v36, 1, v24
	v_cndmask_b32_e32 v1, 0, v1, vcc
	v_cmp_gt_i32_e32 vcc, s33, v36
	v_add_u32_e32 v36, 2, v24
	v_cndmask_b32_e32 v35, 0, v35, vcc
	;; [unrolled: 3-line block ×6, first 2 shown]
	v_cmp_gt_i32_e32 vcc, s33, v36
	v_add_u32_e32 v37, 7, v24
	v_cndmask_b32_sdwa v36, v14, v4, vcc dst_sel:DWORD dst_unused:UNUSED_PAD src0_sel:DWORD src1_sel:WORD_0
	v_and_b32_e32 v4, 0xffff0000, v4
	v_cmp_gt_i32_e32 vcc, s33, v37
	v_cndmask_b32_e32 v4, 0, v4, vcc
	v_or_b32_e32 v4, v36, v4
.LBB76_48:                              ;   in Loop: Header=BB76_43 Depth=1
	s_or_b64 exec, exec, s[14:15]
	v_lshlrev_b32_e32 v35, 16, v35
	v_and_or_b32 v1, v1, s24, v35
	v_lshlrev_b32_e32 v34, 16, v34
	v_lshlrev_b32_e32 v33, 16, v33
	v_and_or_b32 v2, v2, s24, v34
	v_and_or_b32 v3, v3, s24, v33
	;;#ASMSTART
	v_pk_mul_f16 v1, v28, v1;

	;;#ASMEND
	;;#ASMSTART
	v_pk_mul_f16 v2, v29, v2;

	;;#ASMEND
	;; [unrolled: 4-line block ×4, first 2 shown]
	;;#ASMSTART
	v_pk_add_f16 v1, v1, v2;

	;;#ASMEND
	;;#ASMSTART
	v_pk_add_f16 v1, v1, v3;

	;;#ASMEND
	;; [unrolled: 4-line block ×3, first 2 shown]
	v_lshrrev_b32_e32 v2, 16, v1
	v_and_b32_e32 v1, 0xffff, v1
	;;#ASMSTART
	v_cvt_f32_f16 v33, v1;
	;;#ASMEND
	;;#ASMSTART
	v_cvt_f32_f16 v34, v2;
	;;#ASMEND
	global_load_dwordx4 v[1:4], v[7:8], off offset:2048
	s_waitcnt vmcnt(0)
	v_lshrrev_b32_e32 v35, 16, v1
	v_lshrrev_b32_e32 v8, 16, v2
	;; [unrolled: 1-line block ×3, first 2 shown]
	s_and_saveexec_b64 s[14:15], s[2:3]
	s_cbranch_execz .LBB76_50
; %bb.49:                               ;   in Loop: Header=BB76_43 Depth=1
	v_cmp_gt_i32_e32 vcc, s33, v24
	v_add_u32_e32 v36, 1, v24
	v_cndmask_b32_e32 v1, 0, v1, vcc
	v_cmp_gt_i32_e32 vcc, s33, v36
	v_add_u32_e32 v36, 2, v24
	v_cndmask_b32_e32 v35, 0, v35, vcc
	v_cmp_gt_i32_e32 vcc, s33, v36
	v_add_u32_e32 v36, 3, v24
	v_cndmask_b32_e32 v2, 0, v2, vcc
	v_cmp_gt_i32_e32 vcc, s33, v36
	v_add_u32_e32 v36, 4, v24
	v_cndmask_b32_e32 v8, 0, v8, vcc
	v_cmp_gt_i32_e32 vcc, s33, v36
	v_add_u32_e32 v36, 5, v24
	v_cndmask_b32_e32 v3, 0, v3, vcc
	v_cmp_gt_i32_e32 vcc, s33, v36
	v_add_u32_e32 v36, 6, v24
	v_cndmask_b32_e32 v7, 0, v7, vcc
	v_cmp_gt_i32_e32 vcc, s33, v36
	v_add_u32_e32 v37, 7, v24
	v_cndmask_b32_sdwa v36, v14, v4, vcc dst_sel:DWORD dst_unused:UNUSED_PAD src0_sel:DWORD src1_sel:WORD_0
	v_and_b32_e32 v4, 0xffff0000, v4
	v_cmp_gt_i32_e32 vcc, s33, v37
	v_cndmask_b32_e32 v4, 0, v4, vcc
	v_or_b32_e32 v4, v36, v4
.LBB76_50:                              ;   in Loop: Header=BB76_43 Depth=1
	s_or_b64 exec, exec, s[14:15]
	v_lshlrev_b32_e32 v35, 16, v35
	v_and_or_b32 v1, v1, s24, v35
	v_lshlrev_b32_e32 v8, 16, v8
	v_lshlrev_b32_e32 v7, 16, v7
	v_and_or_b32 v2, v2, s24, v8
	v_and_or_b32 v3, v3, s24, v7
	;;#ASMSTART
	v_pk_mul_f16 v1, v28, v1;

	;;#ASMEND
	;;#ASMSTART
	v_pk_mul_f16 v2, v29, v2;

	;;#ASMEND
	;; [unrolled: 4-line block ×4, first 2 shown]
	;;#ASMSTART
	v_pk_add_f16 v1, v1, v2;

	;;#ASMEND
	;;#ASMSTART
	v_pk_add_f16 v1, v1, v3;

	;;#ASMEND
	;; [unrolled: 4-line block ×3, first 2 shown]
	v_lshrrev_b32_e32 v2, 16, v1
	v_and_b32_e32 v1, 0xffff, v1
	;;#ASMSTART
	v_cvt_f32_f16 v7, v1;
	;;#ASMEND
	;;#ASMSTART
	v_cvt_f32_f16 v8, v2;
	;;#ASMEND
	s_and_saveexec_b64 s[14:15], s[0:1]
	s_cbranch_execz .LBB76_41
; %bb.51:                               ;   in Loop: Header=BB76_43 Depth=1
	v_add_co_u32_e32 v1, vcc, v31, v23
	v_addc_co_u32_e32 v2, vcc, 0, v32, vcc
	global_load_dwordx4 v[1:4], v[1:2], off
	s_waitcnt vmcnt(0)
	v_lshrrev_b32_e32 v35, 16, v1
	v_lshrrev_b32_e32 v32, 16, v2
	;; [unrolled: 1-line block ×3, first 2 shown]
	s_and_saveexec_b64 s[16:17], s[2:3]
	s_cbranch_execz .LBB76_40
; %bb.52:                               ;   in Loop: Header=BB76_43 Depth=1
	v_cmp_gt_i32_e32 vcc, s33, v24
	v_add_u32_e32 v36, 1, v24
	v_cndmask_b32_e32 v1, 0, v1, vcc
	v_cmp_gt_i32_e32 vcc, s33, v36
	v_add_u32_e32 v36, 2, v24
	v_cndmask_b32_e32 v35, 0, v35, vcc
	;; [unrolled: 3-line block ×6, first 2 shown]
	v_cmp_gt_i32_e32 vcc, s33, v36
	v_add_u32_e32 v24, 7, v24
	v_cndmask_b32_sdwa v36, v14, v4, vcc dst_sel:DWORD dst_unused:UNUSED_PAD src0_sel:DWORD src1_sel:WORD_0
	v_and_b32_e32 v4, 0xffff0000, v4
	v_cmp_gt_i32_e32 vcc, s33, v24
	v_cndmask_b32_e32 v4, 0, v4, vcc
	v_or_b32_e32 v4, v36, v4
	s_branch .LBB76_40
.LBB76_53:
	s_or_b64 exec, exec, s[6:7]
.LBB76_54:
	s_or_b64 exec, exec, s[4:5]
	ds_bpermute_b32 v2, v11, v17
	ds_bpermute_b32 v5, v11, v15
	ds_bpermute_b32 v1, v11, v16
	ds_bpermute_b32 v6, v11, v18
	v_cmp_eq_u32_e32 vcc, 0, v13
	s_waitcnt lgkmcnt(3)
	v_add_f32_e32 v3, v17, v2
	s_waitcnt lgkmcnt(2)
	v_add_f32_e32 v2, v15, v5
	v_and_b32_e32 v5, 0x3c0, v0
	s_waitcnt lgkmcnt(1)
	v_add_f32_e32 v4, v16, v1
	s_waitcnt lgkmcnt(0)
	v_add_f32_e32 v1, v18, v6
	v_cmp_eq_u32_e64 s[0:1], 64, v5
	s_barrier
	s_and_saveexec_b64 s[2:3], s[0:1]
	s_cbranch_execz .LBB76_59
; %bb.55:
	s_and_saveexec_b64 s[0:1], vcc
	s_cbranch_execz .LBB76_57
; %bb.56:
	v_mov_b32_e32 v5, 0xf0
	v_lshl_add_u32 v5, v12, 2, v5
	ds_write2_b32 v5, v4, v3 offset1:32
	ds_write_b32 v5, v2 offset:256
.LBB76_57:
	s_or_b64 exec, exec, s[0:1]
	v_or_b32_e32 v5, 0x60, v12
	s_movk_i32 s0, 0x70
	v_cmp_gt_u32_e64 s[0:1], s0, v5
	s_and_b64 s[0:1], vcc, s[0:1]
	s_and_b64 exec, exec, s[0:1]
; %bb.58:
	v_mov_b32_e32 v5, 0xf0
	v_lshl_add_u32 v5, v12, 2, v5
	ds_write_b32 v5, v1 offset:384
.LBB76_59:
	s_or_b64 exec, exec, s[2:3]
	v_cmp_gt_u32_e64 s[0:1], 64, v0
	v_lshrrev_b32_e32 v0, 1, v0
	s_waitcnt lgkmcnt(0)
	s_barrier
	s_and_saveexec_b64 s[4:5], s[0:1]
	s_cbranch_execz .LBB76_69
; %bb.60:
	s_and_saveexec_b64 s[2:3], vcc
	s_cbranch_execz .LBB76_62
; %bb.61:
	v_mov_b32_e32 v5, 0xf0
	v_lshl_add_u32 v5, v0, 2, v5
	ds_read_b32 v5, v5
	s_waitcnt lgkmcnt(0)
	v_add_f32_e32 v4, v4, v5
.LBB76_62:
	s_or_b64 exec, exec, s[2:3]
	v_or_b32_e32 v5, 32, v0
	s_movk_i32 s6, 0x70
	v_cmp_gt_u32_e64 s[2:3], s6, v5
	s_and_b64 s[12:13], vcc, s[2:3]
	s_and_saveexec_b64 s[2:3], s[12:13]
	s_cbranch_execz .LBB76_64
; %bb.63:
	v_mov_b32_e32 v5, 0xf0
	v_lshl_add_u32 v5, v0, 2, v5
	ds_read_b32 v5, v5 offset:128
	s_waitcnt lgkmcnt(0)
	v_add_f32_e32 v3, v3, v5
.LBB76_64:
	s_or_b64 exec, exec, s[2:3]
	v_or_b32_e32 v5, 64, v0
	v_cmp_gt_u32_e64 s[2:3], s6, v5
	s_and_b64 s[6:7], vcc, s[2:3]
	s_and_saveexec_b64 s[2:3], s[6:7]
	s_cbranch_execz .LBB76_66
; %bb.65:
	v_mov_b32_e32 v5, 0xf0
	v_lshl_add_u32 v5, v0, 2, v5
	ds_read_b32 v5, v5 offset:256
	s_waitcnt lgkmcnt(0)
	v_add_f32_e32 v2, v2, v5
.LBB76_66:
	s_or_b64 exec, exec, s[2:3]
	v_or_b32_e32 v5, 0x60, v0
	s_movk_i32 s2, 0x70
	v_cmp_gt_u32_e64 s[2:3], s2, v5
	s_and_b64 s[6:7], vcc, s[2:3]
	s_and_saveexec_b64 s[2:3], s[6:7]
	s_cbranch_execz .LBB76_68
; %bb.67:
	v_mov_b32_e32 v5, 0xf0
	v_lshl_add_u32 v5, v0, 2, v5
	ds_read_b32 v5, v5 offset:384
	s_waitcnt lgkmcnt(0)
	v_add_f32_e32 v1, v1, v5
.LBB76_68:
	s_or_b64 exec, exec, s[2:3]
.LBB76_69:
	s_or_b64 exec, exec, s[4:5]
	s_barrier
	s_and_saveexec_b64 s[2:3], s[0:1]
	s_cbranch_execz .LBB76_78
; %bb.70:
	s_mul_i32 s0, s10, s11
	s_mul_i32 s0, s0, s9
	s_mulk_i32 s0, 0x70
	s_ashr_i32 s1, s0, 31
	s_lshl_b64 s[0:1], s[0:1], 1
	s_add_u32 s2, s22, s0
	s_mul_i32 s0, s11, s20
	s_addc_u32 s3, s23, s1
	s_ashr_i32 s1, s0, 31
	s_lshl_b64 s[0:1], s[0:1], 1
	s_add_u32 s2, s2, s0
	s_mul_i32 s0, s8, 0x70
	s_addc_u32 s3, s3, s1
	s_ashr_i32 s1, s0, 31
	s_lshl_b64 s[0:1], s[0:1], 1
	s_add_u32 s2, s2, s0
	s_movk_i32 s4, 0x70
	s_addc_u32 s3, s3, s1
	v_lshlrev_b32_e32 v5, 1, v0
	s_and_saveexec_b64 s[0:1], vcc
	s_cbranch_execz .LBB76_72
; %bb.71:
	;;#ASMSTART
	v_cvt_f16_f32 v4, v4;

	;;#ASMEND
	global_store_short v5, v4, s[2:3]
.LBB76_72:
	s_or_b64 exec, exec, s[0:1]
	v_or_b32_e32 v4, 32, v0
	v_cmp_gt_u32_e64 s[0:1], s4, v4
	s_and_b64 s[4:5], vcc, s[0:1]
	s_and_saveexec_b64 s[0:1], s[4:5]
	s_cbranch_execz .LBB76_74
; %bb.73:
	;;#ASMSTART
	v_cvt_f16_f32 v3, v3;

	;;#ASMEND
	global_store_short v5, v3, s[2:3] offset:64
.LBB76_74:
	s_or_b64 exec, exec, s[0:1]
	v_or_b32_e32 v3, 64, v0
	s_movk_i32 s4, 0x70
	v_cmp_gt_u32_e64 s[0:1], s4, v3
	s_and_b64 s[6:7], vcc, s[0:1]
	s_and_saveexec_b64 s[0:1], s[6:7]
	s_cbranch_execz .LBB76_76
; %bb.75:
	;;#ASMSTART
	v_cvt_f16_f32 v2, v2;

	;;#ASMEND
	global_store_short v5, v2, s[2:3] offset:128
.LBB76_76:
	s_or_b64 exec, exec, s[0:1]
	v_or_b32_e32 v0, 0x60, v0
	v_cmp_gt_u32_e64 s[0:1], s4, v0
	s_and_b64 s[0:1], vcc, s[0:1]
	s_and_b64 exec, exec, s[0:1]
	s_cbranch_execz .LBB76_78
; %bb.77:
	;;#ASMSTART
	v_cvt_f16_f32 v0, v1;

	;;#ASMEND
	global_store_short v5, v0, s[2:3] offset:192
.LBB76_78:
	s_endpgm
	.section	.rodata,"a",@progbits
	.p2align	6, 0x0
	.amdhsa_kernel _ZN4vllm25paged_attention_v1_kernelIttLi112ELi16ELi128ELNS_18Fp8KVCacheDataTypeE0ELb1EEEvPT_PKS2_PKT0_S8_ifPKiSA_iPKfiiiSC_SC_iiiii
		.amdhsa_group_segment_fixed_size 240
		.amdhsa_private_segment_fixed_size 0
		.amdhsa_kernarg_size 384
		.amdhsa_user_sgpr_count 6
		.amdhsa_user_sgpr_private_segment_buffer 1
		.amdhsa_user_sgpr_dispatch_ptr 0
		.amdhsa_user_sgpr_queue_ptr 0
		.amdhsa_user_sgpr_kernarg_segment_ptr 1
		.amdhsa_user_sgpr_dispatch_id 0
		.amdhsa_user_sgpr_flat_scratch_init 0
		.amdhsa_user_sgpr_private_segment_size 0
		.amdhsa_uses_dynamic_stack 0
		.amdhsa_system_sgpr_private_segment_wavefront_offset 0
		.amdhsa_system_sgpr_workgroup_id_x 1
		.amdhsa_system_sgpr_workgroup_id_y 1
		.amdhsa_system_sgpr_workgroup_id_z 1
		.amdhsa_system_sgpr_workgroup_info 0
		.amdhsa_system_vgpr_workitem_id 0
		.amdhsa_next_free_vgpr 60
		.amdhsa_next_free_sgpr 44
		.amdhsa_reserve_vcc 1
		.amdhsa_reserve_flat_scratch 0
		.amdhsa_float_round_mode_32 0
		.amdhsa_float_round_mode_16_64 0
		.amdhsa_float_denorm_mode_32 3
		.amdhsa_float_denorm_mode_16_64 3
		.amdhsa_dx10_clamp 1
		.amdhsa_ieee_mode 1
		.amdhsa_fp16_overflow 0
		.amdhsa_exception_fp_ieee_invalid_op 0
		.amdhsa_exception_fp_denorm_src 0
		.amdhsa_exception_fp_ieee_div_zero 0
		.amdhsa_exception_fp_ieee_overflow 0
		.amdhsa_exception_fp_ieee_underflow 0
		.amdhsa_exception_fp_ieee_inexact 0
		.amdhsa_exception_int_div_zero 0
	.end_amdhsa_kernel
	.section	.text._ZN4vllm25paged_attention_v1_kernelIttLi112ELi16ELi128ELNS_18Fp8KVCacheDataTypeE0ELb1EEEvPT_PKS2_PKT0_S8_ifPKiSA_iPKfiiiSC_SC_iiiii,"axG",@progbits,_ZN4vllm25paged_attention_v1_kernelIttLi112ELi16ELi128ELNS_18Fp8KVCacheDataTypeE0ELb1EEEvPT_PKS2_PKT0_S8_ifPKiSA_iPKfiiiSC_SC_iiiii,comdat
.Lfunc_end76:
	.size	_ZN4vllm25paged_attention_v1_kernelIttLi112ELi16ELi128ELNS_18Fp8KVCacheDataTypeE0ELb1EEEvPT_PKS2_PKT0_S8_ifPKiSA_iPKfiiiSC_SC_iiiii, .Lfunc_end76-_ZN4vllm25paged_attention_v1_kernelIttLi112ELi16ELi128ELNS_18Fp8KVCacheDataTypeE0ELb1EEEvPT_PKS2_PKT0_S8_ifPKiSA_iPKfiiiSC_SC_iiiii
                                        ; -- End function
	.set _ZN4vllm25paged_attention_v1_kernelIttLi112ELi16ELi128ELNS_18Fp8KVCacheDataTypeE0ELb1EEEvPT_PKS2_PKT0_S8_ifPKiSA_iPKfiiiSC_SC_iiiii.num_vgpr, 60
	.set _ZN4vllm25paged_attention_v1_kernelIttLi112ELi16ELi128ELNS_18Fp8KVCacheDataTypeE0ELb1EEEvPT_PKS2_PKT0_S8_ifPKiSA_iPKfiiiSC_SC_iiiii.num_agpr, 0
	.set _ZN4vllm25paged_attention_v1_kernelIttLi112ELi16ELi128ELNS_18Fp8KVCacheDataTypeE0ELb1EEEvPT_PKS2_PKT0_S8_ifPKiSA_iPKfiiiSC_SC_iiiii.numbered_sgpr, 44
	.set _ZN4vllm25paged_attention_v1_kernelIttLi112ELi16ELi128ELNS_18Fp8KVCacheDataTypeE0ELb1EEEvPT_PKS2_PKT0_S8_ifPKiSA_iPKfiiiSC_SC_iiiii.num_named_barrier, 0
	.set _ZN4vllm25paged_attention_v1_kernelIttLi112ELi16ELi128ELNS_18Fp8KVCacheDataTypeE0ELb1EEEvPT_PKS2_PKT0_S8_ifPKiSA_iPKfiiiSC_SC_iiiii.private_seg_size, 0
	.set _ZN4vllm25paged_attention_v1_kernelIttLi112ELi16ELi128ELNS_18Fp8KVCacheDataTypeE0ELb1EEEvPT_PKS2_PKT0_S8_ifPKiSA_iPKfiiiSC_SC_iiiii.uses_vcc, 1
	.set _ZN4vllm25paged_attention_v1_kernelIttLi112ELi16ELi128ELNS_18Fp8KVCacheDataTypeE0ELb1EEEvPT_PKS2_PKT0_S8_ifPKiSA_iPKfiiiSC_SC_iiiii.uses_flat_scratch, 0
	.set _ZN4vllm25paged_attention_v1_kernelIttLi112ELi16ELi128ELNS_18Fp8KVCacheDataTypeE0ELb1EEEvPT_PKS2_PKT0_S8_ifPKiSA_iPKfiiiSC_SC_iiiii.has_dyn_sized_stack, 0
	.set _ZN4vllm25paged_attention_v1_kernelIttLi112ELi16ELi128ELNS_18Fp8KVCacheDataTypeE0ELb1EEEvPT_PKS2_PKT0_S8_ifPKiSA_iPKfiiiSC_SC_iiiii.has_recursion, 0
	.set _ZN4vllm25paged_attention_v1_kernelIttLi112ELi16ELi128ELNS_18Fp8KVCacheDataTypeE0ELb1EEEvPT_PKS2_PKT0_S8_ifPKiSA_iPKfiiiSC_SC_iiiii.has_indirect_call, 0
	.section	.AMDGPU.csdata,"",@progbits
; Kernel info:
; codeLenInByte = 6120
; TotalNumSgprs: 48
; NumVgprs: 60
; ScratchSize: 0
; MemoryBound: 0
; FloatMode: 240
; IeeeMode: 1
; LDSByteSize: 240 bytes/workgroup (compile time only)
; SGPRBlocks: 5
; VGPRBlocks: 14
; NumSGPRsForWavesPerEU: 48
; NumVGPRsForWavesPerEU: 60
; Occupancy: 4
; WaveLimiterHint : 1
; COMPUTE_PGM_RSRC2:SCRATCH_EN: 0
; COMPUTE_PGM_RSRC2:USER_SGPR: 6
; COMPUTE_PGM_RSRC2:TRAP_HANDLER: 0
; COMPUTE_PGM_RSRC2:TGID_X_EN: 1
; COMPUTE_PGM_RSRC2:TGID_Y_EN: 1
; COMPUTE_PGM_RSRC2:TGID_Z_EN: 1
; COMPUTE_PGM_RSRC2:TIDIG_COMP_CNT: 0
	.section	.text._ZN4vllm25paged_attention_v1_kernelIttLi120ELi16ELi128ELNS_18Fp8KVCacheDataTypeE0ELb1EEEvPT_PKS2_PKT0_S8_ifPKiSA_iPKfiiiSC_SC_iiiii,"axG",@progbits,_ZN4vllm25paged_attention_v1_kernelIttLi120ELi16ELi128ELNS_18Fp8KVCacheDataTypeE0ELb1EEEvPT_PKS2_PKT0_S8_ifPKiSA_iPKfiiiSC_SC_iiiii,comdat
	.protected	_ZN4vllm25paged_attention_v1_kernelIttLi120ELi16ELi128ELNS_18Fp8KVCacheDataTypeE0ELb1EEEvPT_PKS2_PKT0_S8_ifPKiSA_iPKfiiiSC_SC_iiiii ; -- Begin function _ZN4vllm25paged_attention_v1_kernelIttLi120ELi16ELi128ELNS_18Fp8KVCacheDataTypeE0ELb1EEEvPT_PKS2_PKT0_S8_ifPKiSA_iPKfiiiSC_SC_iiiii
	.globl	_ZN4vllm25paged_attention_v1_kernelIttLi120ELi16ELi128ELNS_18Fp8KVCacheDataTypeE0ELb1EEEvPT_PKS2_PKT0_S8_ifPKiSA_iPKfiiiSC_SC_iiiii
	.p2align	8
	.type	_ZN4vllm25paged_attention_v1_kernelIttLi120ELi16ELi128ELNS_18Fp8KVCacheDataTypeE0ELb1EEEvPT_PKS2_PKT0_S8_ifPKiSA_iPKfiiiSC_SC_iiiii,@function
_ZN4vllm25paged_attention_v1_kernelIttLi120ELi16ELi128ELNS_18Fp8KVCacheDataTypeE0ELb1EEEvPT_PKS2_PKT0_S8_ifPKiSA_iPKfiiiSC_SC_iiiii: ; @_ZN4vllm25paged_attention_v1_kernelIttLi120ELi16ELi128ELNS_18Fp8KVCacheDataTypeE0ELb1EEEvPT_PKS2_PKT0_S8_ifPKiSA_iPKfiiiSC_SC_iiiii
; %bb.0:
	s_load_dword s9, s[4:5], 0x80
	s_load_dwordx2 s[0:1], s[4:5], 0x30
	s_load_dwordx2 s[30:31], s[4:5], 0x20
	s_mov_b32 s10, s7
	s_ashr_i32 s11, s7, 31
	s_lshl_b64 s[2:3], s[10:11], 2
	s_waitcnt lgkmcnt(0)
	s_add_u32 s0, s0, s2
	s_addc_u32 s1, s1, s3
	s_abs_i32 s2, s30
	v_cvt_f32_u32_e32 v1, s2
	s_sub_i32 s11, 0, s2
	s_abs_i32 s7, s9
	s_xor_b32 s3, s9, s30
	v_rcp_iflag_f32_e32 v1, v1
	s_ashr_i32 s3, s3, 31
	s_mov_b32 s43, 0
	v_mul_f32_e32 v1, 0x4f7ffffe, v1
	v_cvt_u32_f32_e32 v1, v1
	v_readfirstlane_b32 s12, v1
	s_mul_i32 s11, s11, s12
	s_mul_hi_u32 s11, s12, s11
	s_add_i32 s12, s12, s11
	s_mul_hi_u32 s11, s7, s12
	s_mul_i32 s12, s11, s2
	s_sub_i32 s7, s7, s12
	s_add_i32 s12, s11, 1
	s_sub_i32 s13, s7, s2
	s_cmp_ge_u32 s7, s2
	s_cselect_b32 s11, s12, s11
	s_cselect_b32 s7, s13, s7
	s_add_i32 s12, s11, 1
	s_cmp_ge_u32 s7, s2
	s_cselect_b32 s2, s12, s11
	s_xor_b32 s2, s2, s3
	s_sub_i32 s12, s2, s3
	s_abs_i32 s11, s12
	v_cvt_f32_u32_e32 v1, s11
	s_load_dwordx2 s[2:3], s[4:5], 0x40
	s_sub_i32 s7, 0, s11
	s_abs_i32 s22, s6
	v_rcp_iflag_f32_e32 v1, v1
	v_mul_f32_e32 v1, 0x4f7ffffe, v1
	v_cvt_u32_f32_e32 v1, v1
	v_readfirstlane_b32 s13, v1
	s_mul_i32 s7, s7, s13
	s_mul_hi_u32 s7, s13, s7
	s_add_i32 s13, s13, s7
	s_waitcnt lgkmcnt(0)
	s_cmp_eq_u64 s[2:3], 0
	s_mul_hi_u32 s23, s22, s13
	s_cbranch_scc1 .LBB77_2
; %bb.1:
	s_ashr_i32 s7, s6, 31
	s_lshl_b64 s[14:15], s[6:7], 2
	s_add_u32 s2, s2, s14
	s_addc_u32 s3, s3, s15
	s_load_dword s43, s[2:3], 0x0
.LBB77_2:
	s_load_dword s33, s[0:1], 0x0
	s_ashr_i32 s7, s12, 31
	s_load_dwordx4 s[12:15], s[4:5], 0x48
	s_ashr_i32 s2, s6, 31
	v_and_b32_e32 v1, 3, v0
	s_mul_i32 s20, s6, 0x78
	v_cmp_gt_u32_e32 vcc, 60, v0
	v_lshlrev_b32_e32 v2, 2, v0
	s_and_saveexec_b64 s[0:1], vcc
	s_cbranch_execz .LBB77_4
; %bb.3:
	s_load_dwordx2 s[16:17], s[4:5], 0x8
	s_waitcnt lgkmcnt(0)
	s_mul_i32 s18, s12, s10
	s_ashr_i32 s19, s18, 31
	s_lshl_b64 s[18:19], s[18:19], 1
	v_and_b32_e32 v4, 0x3fc, v0
	s_add_u32 s3, s16, s18
	s_addc_u32 s12, s17, s19
	s_ashr_i32 s21, s20, 31
	s_lshl_b64 s[16:17], s[20:21], 1
	s_add_u32 s16, s3, s16
	s_addc_u32 s17, s12, s17
	global_load_dword v3, v2, s[16:17]
	v_mad_u32_u24 v4, v1, 60, v4
	s_waitcnt vmcnt(0)
	ds_write_b32 v4, v3
.LBB77_4:
	s_or_b64 exec, exec, s[0:1]
	s_mul_i32 s1, s23, s11
	s_sub_i32 s1, s22, s1
	s_xor_b32 s0, s2, s7
	s_add_i32 s2, s23, 1
	s_sub_i32 s7, s1, s11
	s_load_dwordx4 s[16:19], s[4:5], 0x68
	s_load_dword s3, s[4:5], 0x78
	s_cmp_ge_u32 s1, s11
	s_cselect_b32 s2, s2, s23
	s_cselect_b32 s1, s7, s1
	s_add_i32 s7, s2, 1
	s_cmp_ge_u32 s1, s11
	s_cselect_b32 s1, s7, s2
	s_waitcnt lgkmcnt(0)
	s_abs_i32 s21, s19
	v_cvt_f32_u32_e32 v3, s21
	s_xor_b32 s1, s1, s0
	s_sub_i32 s2, s1, s0
	s_sub_i32 s0, 0, s21
	v_rcp_iflag_f32_e32 v3, v3
	s_add_i32 s11, s33, -1
	s_abs_i32 s7, s11
	v_mul_f32_e32 v3, 0x4f7ffffe, v3
	v_cvt_u32_f32_e32 v3, v3
	s_barrier
	v_readfirstlane_b32 s40, v3
	s_mul_i32 s0, s0, s40
	s_mul_hi_u32 s0, s40, s0
	s_add_i32 s40, s40, s0
	s_cmp_lt_i32 s3, 0
	s_mul_hi_u32 s12, s7, s40
	s_cbranch_scc0 .LBB77_6
; %bb.5:
	s_mul_i32 s0, s16, s30
	s_add_i32 s0, s2, s0
	s_mul_i32 s0, s0, s3
	s_sub_i32 s41, 1, s0
	s_mov_b64 s[0:1], 0
	s_branch .LBB77_7
.LBB77_6:
	s_mov_b64 s[0:1], -1
                                        ; implicit-def: $sgpr41
.LBB77_7:
	s_load_dwordx2 s[24:25], s[4:5], 0x28
	s_ashr_i32 s15, s11, 31
	s_andn2_b64 vcc, exec, s[0:1]
	s_ashr_i32 s19, s19, 31
	s_cbranch_vccnz .LBB77_9
; %bb.8:
	s_mul_i32 s0, s9, s16
	s_add_i32 s0, s0, s6
	s_mul_i32 s0, s0, s3
	s_add_i32 s41, s0, 1
.LBB77_9:
	s_load_dword s0, s[4:5], 0x38
	s_load_dwordx2 s[22:23], s[4:5], 0x0
	s_load_dwordx2 s[28:29], s[4:5], 0x18
	s_load_dword s11, s[4:5], 0x88
	s_xor_b32 s1, s15, s19
	s_waitcnt lgkmcnt(0)
	s_mul_i32 s26, s0, s10
	s_mul_i32 s0, s12, s21
	s_sub_i32 s0, s7, s0
	s_ashr_i32 s27, s26, 31
	s_add_i32 s3, s12, 1
	s_sub_i32 s6, s0, s21
	s_cmp_ge_u32 s0, s21
	s_cselect_b32 s3, s3, s12
	s_cselect_b32 s0, s6, s0
	s_add_i32 s6, s3, 1
	s_cmp_ge_u32 s0, s21
	s_cselect_b32 s0, s6, s3
	s_xor_b32 s0, s0, s1
	s_sub_i32 s12, s0, s1
	s_add_i32 s0, s33, 15
	s_ashr_i32 s1, s0, 31
	s_lshr_b32 s1, s1, 28
	s_add_i32 s0, s0, s1
	s_ashr_i32 s42, s0, 4
	v_lshrrev_b32_e32 v9, 6, v0
	v_cmp_le_i32_e64 s[0:1], s42, v9
	v_cmp_gt_i32_e32 vcc, s42, v9
	v_mov_b32_e32 v12, 0xff7fffff
	s_mul_i32 s14, s2, s14
	v_lshrrev_b32_e32 v5, 4, v0
	v_lshlrev_b32_e32 v10, 4, v9
	v_mbcnt_lo_u32_b32 v6, -1, 0
	s_and_saveexec_b64 s[34:35], vcc
	s_cbranch_execz .LBB77_21
; %bb.10:
	s_load_dwordx2 s[2:3], s[4:5], 0x10
	s_ashr_i32 s15, s14, 31
	s_sub_i32 s16, s12, s17
	s_lshl_b64 s[4:5], s[14:15], 1
	v_bfe_u32 v7, v0, 2, 4
	s_waitcnt lgkmcnt(0)
	s_add_u32 s2, s2, s4
	s_addc_u32 s3, s3, s5
	s_abs_i32 s15, s18
	v_cvt_f32_u32_e32 v3, s15
	v_mov_b32_e32 v8, s3
	s_sub_i32 s3, 0, s15
	v_lshlrev_b32_e32 v4, 4, v7
	v_rcp_iflag_f32_e32 v3, v3
	s_lshl_b64 s[4:5], s[26:27], 2
	v_and_b32_e32 v2, 12, v2
	s_add_u32 s4, s24, s4
	v_mul_f32_e32 v3, 0x4f7ffffe, v3
	v_cvt_u32_f32_e32 v3, v3
	v_cmp_eq_u32_e32 vcc, 0, v1
	v_mul_u32_u24_e32 v13, 60, v1
	v_and_b32_e32 v1, 60, v5
	v_mul_lo_u32 v11, s3, v3
	v_add_co_u32_e64 v4, s[2:3], s2, v4
	v_addc_co_u32_e64 v12, s[2:3], 0, v8, s[2:3]
	v_mul_hi_u32 v14, v3, v11
	v_add_co_u32_e64 v8, s[2:3], v4, v2
	s_addc_u32 s5, s25, s5
	v_add_u32_e32 v14, v3, v14
	v_subrev_u32_e32 v3, s33, v7
	v_add_u32_e32 v16, 1, v3
	v_lshlrev_b32_e32 v3, 2, v7
	v_lshl_or_b32 v3, v9, 6, v3
	v_mbcnt_hi_u32_b32 v19, -1, v6
	v_addc_co_u32_e64 v11, s[2:3], 0, v12, s[2:3]
	v_mov_b32_e32 v2, s5
	v_add_co_u32_e64 v1, s[4:5], s4, v1
	v_add_u32_e32 v17, 0x100, v3
	v_and_b32_e32 v3, 64, v19
	s_mov_b32 s30, s13
	v_cmp_neq_f32_e64 s[2:3], s43, 0
	v_addc_co_u32_e64 v2, s[4:5], 0, v2, s[4:5]
	v_lshlrev_b32_e32 v15, 4, v9
	v_mov_b32_e32 v18, 0xff7fffff
	s_mov_b64 s[36:37], 0
	v_add_u32_e32 v20, 64, v3
	v_xor_b32_e32 v21, 2, v19
	v_xor_b32_e32 v22, 1, v19
	v_mov_b32_e32 v12, 0xff7fffff
	v_mov_b32_e32 v23, v9
	s_branch .LBB77_13
.LBB77_11:                              ;   in Loop: Header=BB77_13 Depth=1
	s_or_b64 exec, exec, s[38:39]
.LBB77_12:                              ;   in Loop: Header=BB77_13 Depth=1
	s_or_b64 exec, exec, s[6:7]
	v_add_co_u32_e64 v1, s[4:5], 8, v1
	v_add_u32_e32 v23, 2, v23
	v_addc_co_u32_e64 v2, s[4:5], 0, v2, s[4:5]
	v_cmp_le_i32_e64 s[4:5], s42, v23
	v_add_u32_e32 v15, 32, v15
	s_or_b64 s[36:37], s[4:5], s[36:37]
	v_add_u32_e32 v17, 0x80, v17
	s_andn2_b64 exec, exec, s[36:37]
	s_cbranch_execz .LBB77_20
.LBB77_13:                              ; =>This Inner Loop Header: Depth=1
	v_mul_hi_u32 v3, v15, s40
	s_waitcnt lgkmcnt(0)
	v_mul_lo_u32 v4, v3, s21
	v_add_u32_e32 v24, 1, v3
	v_sub_u32_e32 v4, v15, v4
	v_cmp_le_u32_e64 s[4:5], s21, v4
	v_cndmask_b32_e64 v3, v3, v24, s[4:5]
	v_subrev_u32_e32 v24, s21, v4
	v_cndmask_b32_e64 v4, v4, v24, s[4:5]
	v_add_u32_e32 v24, 1, v3
	v_cmp_le_u32_e64 s[4:5], s21, v4
	v_cndmask_b32_e64 v3, v3, v24, s[4:5]
	v_xor_b32_e32 v3, s19, v3
	v_subrev_u32_e32 v3, s19, v3
	v_add_u32_e32 v4, s41, v3
	v_sub_u32_e32 v24, 0, v4
	v_max_i32_e32 v24, v4, v24
	v_mul_hi_u32 v25, v24, v14
	v_ashrrev_i32_e32 v4, 31, v4
	v_cmp_ge_i32_e64 s[6:7], s16, v3
	v_mul_lo_u32 v25, v25, s15
	v_sub_u32_e32 v24, v24, v25
	v_subrev_u32_e32 v25, s15, v24
	v_cmp_le_u32_e64 s[4:5], s15, v24
	v_cndmask_b32_e64 v24, v24, v25, s[4:5]
	v_subrev_u32_e32 v25, s15, v24
	v_cmp_le_u32_e64 s[4:5], s15, v24
	v_cndmask_b32_e64 v24, v24, v25, s[4:5]
	v_xor_b32_e32 v24, v24, v4
	v_sub_u32_e32 v4, v24, v4
	v_cmp_ne_u32_e64 s[4:5], 0, v4
	s_and_b64 s[4:5], s[4:5], s[6:7]
	s_and_saveexec_b64 s[6:7], s[4:5]
	s_xor_b64 s[4:5], exec, s[6:7]
	s_cbranch_execz .LBB77_17
; %bb.14:                               ;   in Loop: Header=BB77_13 Depth=1
	s_and_saveexec_b64 s[6:7], vcc
; %bb.15:                               ;   in Loop: Header=BB77_13 Depth=1
	ds_write_b32 v17, v18
; %bb.16:                               ;   in Loop: Header=BB77_13 Depth=1
	s_or_b64 exec, exec, s[6:7]
.LBB77_17:                              ;   in Loop: Header=BB77_13 Depth=1
	s_andn2_saveexec_b64 s[6:7], s[4:5]
	s_cbranch_execz .LBB77_12
; %bb.18:                               ;   in Loop: Header=BB77_13 Depth=1
	global_load_dword v3, v[1:2], off
	s_waitcnt vmcnt(0)
	v_mad_i64_i32 v[3:4], s[4:5], v3, s30, 0
	v_lshlrev_b64 v[3:4], 1, v[3:4]
	v_add_co_u32_e64 v3, s[4:5], v8, v3
	v_addc_co_u32_e64 v4, s[4:5], v11, v4, s[4:5]
	global_load_dword v34, v[3:4], off
	global_load_dword v33, v[3:4], off offset:256
	global_load_dword v32, v[3:4], off offset:512
	;; [unrolled: 1-line block ×11, first 2 shown]
	ds_read_b32 v36, v13
	v_cmp_lt_i32_e64 s[4:5], v21, v20
	v_cndmask_b32_e64 v35, v19, v21, s[4:5]
	v_lshlrev_b32_e32 v35, 2, v35
	v_cmp_lt_i32_e64 s[4:5], v22, v20
	s_waitcnt lgkmcnt(0)
	v_lshrrev_b32_e32 v39, 16, v36
	v_and_b32_e32 v40, 0xffff, v36
	global_load_dword v37, v[3:4], off offset:3072
	global_load_dword v36, v[3:4], off offset:3328
	s_nop 0
	global_load_dword v3, v[3:4], off offset:3584
	;;#ASMSTART
	v_cvt_f32_f16 v40, v40;
	;;#ASMEND
	;;#ASMSTART
	v_cvt_f32_f16 v39, v39;
	;;#ASMEND
	s_waitcnt vmcnt(14)
	v_lshrrev_b32_e32 v4, 16, v34
	v_and_b32_e32 v34, 0xffff, v34
	;;#ASMSTART
	v_cvt_f32_f16 v41, v34;
	;;#ASMEND
	;;#ASMSTART
	v_cvt_f32_f16 v34, v4;
	;;#ASMEND
	ds_read_b32 v4, v13 offset:4
	s_waitcnt vmcnt(13)
	v_and_b32_e32 v42, 0xffff, v33
	v_lshrrev_b32_e32 v43, 16, v33
	s_waitcnt vmcnt(12)
	v_and_b32_e32 v44, 0xffff, v32
	v_lshrrev_b32_e32 v45, 16, v32
	s_waitcnt lgkmcnt(0)
	v_lshrrev_b32_e32 v32, 16, v4
	v_and_b32_e32 v4, 0xffff, v4
	;;#ASMSTART
	v_cvt_f32_f16 v4, v4;
	;;#ASMEND
	;;#ASMSTART
	v_cvt_f32_f16 v32, v32;
	;;#ASMEND
	;; [unrolled: 3-line block ×4, first 2 shown]
	ds_read_b32 v43, v13 offset:8
	s_waitcnt vmcnt(11)
	v_and_b32_e32 v46, 0xffff, v31
	v_lshrrev_b32_e32 v47, 16, v31
	s_waitcnt vmcnt(10)
	v_and_b32_e32 v48, 0xffff, v30
	v_lshrrev_b32_e32 v49, 16, v30
	s_waitcnt lgkmcnt(0)
	v_lshrrev_b32_e32 v30, 16, v43
	v_and_b32_e32 v31, 0xffff, v43
	;;#ASMSTART
	v_cvt_f32_f16 v43, v31;
	;;#ASMEND
	;;#ASMSTART
	v_cvt_f32_f16 v30, v30;
	;;#ASMEND
	;; [unrolled: 3-line block ×4, first 2 shown]
	ds_read_b32 v45, v13 offset:12
	s_waitcnt vmcnt(9)
	v_lshrrev_b32_e32 v50, 16, v29
	v_and_b32_e32 v51, 0xffff, v29
	s_waitcnt vmcnt(8)
	v_lshrrev_b32_e32 v52, 16, v28
	v_and_b32_e32 v53, 0xffff, v28
	s_waitcnt lgkmcnt(0)
	v_lshrrev_b32_e32 v28, 16, v45
	v_and_b32_e32 v29, 0xffff, v45
	;;#ASMSTART
	v_cvt_f32_f16 v45, v29;
	;;#ASMEND
	;;#ASMSTART
	v_cvt_f32_f16 v28, v28;
	;;#ASMEND
	;; [unrolled: 3-line block ×4, first 2 shown]
	ds_read_b32 v47, v13 offset:16
	s_waitcnt vmcnt(7)
	v_lshrrev_b32_e32 v54, 16, v27
	v_and_b32_e32 v55, 0xffff, v27
	v_mul_f32_e32 v4, v4, v33
	s_waitcnt vmcnt(6)
	v_lshrrev_b32_e32 v56, 16, v26
	s_waitcnt lgkmcnt(0)
	v_lshrrev_b32_e32 v33, 16, v47
	v_and_b32_e32 v27, 0xffff, v47
	;;#ASMSTART
	v_cvt_f32_f16 v27, v27;
	;;#ASMEND
	;;#ASMSTART
	v_cvt_f32_f16 v33, v33;
	;;#ASMEND
	;; [unrolled: 3-line block ×4, first 2 shown]
	ds_read_b32 v49, v13 offset:20
	v_and_b32_e32 v57, 0xffff, v26
	v_mul_f32_e32 v26, v32, v42
	v_fmac_f32_e32 v4, v40, v41
	s_waitcnt vmcnt(5)
	v_lshrrev_b32_e32 v58, 16, v25
	s_waitcnt lgkmcnt(0)
	v_lshrrev_b32_e32 v40, 16, v49
	v_and_b32_e32 v32, 0xffff, v49
	;;#ASMSTART
	v_cvt_f32_f16 v32, v32;
	;;#ASMEND
	;;#ASMSTART
	v_cvt_f32_f16 v40, v40;
	;;#ASMEND
	;; [unrolled: 3-line block ×4, first 2 shown]
	ds_read_b32 v49, v13 offset:24
	v_and_b32_e32 v50, 0xffff, v25
	v_fmac_f32_e32 v26, v39, v34
	v_fmac_f32_e32 v4, v43, v44
	s_waitcnt vmcnt(4)
	v_lshrrev_b32_e32 v51, 16, v24
	s_waitcnt lgkmcnt(0)
	v_lshrrev_b32_e32 v34, 16, v49
	v_and_b32_e32 v25, 0xffff, v49
	;;#ASMSTART
	v_cvt_f32_f16 v25, v25;
	;;#ASMEND
	;;#ASMSTART
	v_cvt_f32_f16 v34, v34;
	;;#ASMEND
	;; [unrolled: 3-line block ×4, first 2 shown]
	ds_read_b32 v44, v13 offset:28
	v_and_b32_e32 v49, 0xffff, v24
	v_fmac_f32_e32 v26, v30, v31
	s_waitcnt vmcnt(3)
	v_lshrrev_b32_e32 v52, 16, v38
	v_and_b32_e32 v53, 0xffff, v38
	s_waitcnt lgkmcnt(0)
	v_lshrrev_b32_e32 v30, 16, v44
	v_and_b32_e32 v24, 0xffff, v44
	;;#ASMSTART
	v_cvt_f32_f16 v24, v24;
	;;#ASMEND
	;;#ASMSTART
	v_cvt_f32_f16 v30, v30;
	;;#ASMEND
	;; [unrolled: 3-line block ×4, first 2 shown]
	ds_read_b32 v44, v13 offset:32
	v_fmac_f32_e32 v26, v28, v29
	v_fmac_f32_e32 v4, v45, v46
	s_waitcnt vmcnt(2)
	v_lshrrev_b32_e32 v54, 16, v37
	v_and_b32_e32 v55, 0xffff, v37
	s_waitcnt lgkmcnt(0)
	v_lshrrev_b32_e32 v29, 16, v44
	v_and_b32_e32 v28, 0xffff, v44
	;;#ASMSTART
	v_cvt_f32_f16 v28, v28;
	;;#ASMEND
	;;#ASMSTART
	v_cvt_f32_f16 v29, v29;
	;;#ASMEND
	;; [unrolled: 3-line block ×4, first 2 shown]
	ds_read_b32 v45, v13 offset:36
	v_fmac_f32_e32 v4, v27, v47
	v_fmac_f32_e32 v26, v33, v48
	s_waitcnt vmcnt(1)
	v_lshrrev_b32_e32 v56, 16, v36
	v_and_b32_e32 v57, 0xffff, v36
	s_waitcnt lgkmcnt(0)
	v_lshrrev_b32_e32 v33, 16, v45
	v_and_b32_e32 v27, 0xffff, v45
	;;#ASMSTART
	v_cvt_f32_f16 v27, v27;
	;;#ASMEND
	;;#ASMSTART
	v_cvt_f32_f16 v33, v33;
	;;#ASMEND
	;; [unrolled: 3-line block ×4, first 2 shown]
	ds_read_b32 v46, v13 offset:40
	s_waitcnt vmcnt(0)
	v_lshrrev_b32_e32 v47, 16, v3
	v_and_b32_e32 v48, 0xffff, v3
	v_fmac_f32_e32 v4, v32, v41
	v_fmac_f32_e32 v26, v40, v42
	s_waitcnt lgkmcnt(0)
	v_lshrrev_b32_e32 v32, 16, v46
	v_and_b32_e32 v3, 0xffff, v46
	;;#ASMSTART
	v_cvt_f32_f16 v3, v3;
	;;#ASMEND
	;;#ASMSTART
	v_cvt_f32_f16 v32, v32;
	;;#ASMEND
	;;#ASMSTART
	v_cvt_f32_f16 v40, v49;
	;;#ASMEND
	;;#ASMSTART
	v_cvt_f32_f16 v41, v51;
	;;#ASMEND
	ds_read_b32 v42, v13 offset:44
	v_fmac_f32_e32 v4, v25, v39
	v_fmac_f32_e32 v26, v34, v43
	v_fmac_f32_e32 v4, v24, v31
	v_fmac_f32_e32 v26, v30, v38
	s_waitcnt lgkmcnt(0)
	v_lshrrev_b32_e32 v25, 16, v42
	v_and_b32_e32 v24, 0xffff, v42
	;;#ASMSTART
	v_cvt_f32_f16 v24, v24;
	;;#ASMEND
	;;#ASMSTART
	v_cvt_f32_f16 v25, v25;
	;;#ASMEND
	;;#ASMSTART
	v_cvt_f32_f16 v30, v53;
	;;#ASMEND
	;;#ASMSTART
	v_cvt_f32_f16 v31, v52;
	;;#ASMEND
	ds_read_b32 v34, v13 offset:48
	v_fmac_f32_e32 v4, v28, v37
	v_fmac_f32_e32 v26, v29, v44
	;; [unrolled: 20-line block ×4, first 2 shown]
	v_fmac_f32_e32 v4, v3, v25
	v_fmac_f32_e32 v26, v24, v30
	s_waitcnt lgkmcnt(0)
	v_lshrrev_b32_e32 v24, 16, v31
	v_and_b32_e32 v3, 0xffff, v31
	;;#ASMSTART
	v_cvt_f32_f16 v3, v3;
	;;#ASMEND
	;;#ASMSTART
	v_cvt_f32_f16 v24, v24;
	;;#ASMEND
	;; [unrolled: 3-line block ×4, first 2 shown]
	v_fmac_f32_e32 v4, v3, v25
	v_fmac_f32_e32 v26, v24, v27
	v_add_f32_e32 v3, v4, v26
	ds_bpermute_b32 v4, v35, v3
	v_cndmask_b32_e64 v24, v19, v22, s[4:5]
	s_waitcnt lgkmcnt(0)
	v_add_f32_e32 v3, v3, v4
	v_lshlrev_b32_e32 v4, 2, v24
	ds_bpermute_b32 v4, v4, v3
	s_and_saveexec_b64 s[38:39], vcc
	s_cbranch_execz .LBB77_11
; %bb.19:                               ;   in Loop: Header=BB77_13 Depth=1
	v_add_u32_e32 v24, v16, v15
	v_cvt_f32_i32_e32 v24, v24
	s_waitcnt lgkmcnt(0)
	v_add_f32_e32 v3, v3, v4
	v_add_u32_e32 v25, v7, v15
	v_cmp_gt_i32_e64 s[4:5], s33, v25
	v_mul_f32_e32 v4, s43, v24
	v_cndmask_b32_e64 v4, 0, v4, s[2:3]
	v_fmac_f32_e32 v4, s31, v3
	v_cndmask_b32_e64 v3, 0, v4, s[4:5]
	ds_write_b32 v17, v3
	v_max_f32_e32 v3, v12, v12
	v_max_f32_e32 v3, v3, v4
	v_cndmask_b32_e64 v12, v12, v3, s[4:5]
	s_branch .LBB77_11
.LBB77_20:
	s_or_b64 exec, exec, s[36:37]
.LBB77_21:
	s_or_b64 exec, exec, s[34:35]
	v_mbcnt_hi_u32_b32 v2, -1, v6
	v_and_b32_e32 v14, 64, v2
	v_add_u32_e32 v3, 64, v14
	v_xor_b32_e32 v1, 32, v2
	v_cmp_lt_i32_e32 vcc, v1, v3
	v_cndmask_b32_e32 v1, v2, v1, vcc
	s_waitcnt lgkmcnt(0)
	v_lshlrev_b32_e32 v4, 2, v1
	ds_bpermute_b32 v1, v4, v12
	v_xor_b32_e32 v7, 16, v2
	v_max_f32_e32 v6, v12, v12
	v_cmp_lt_i32_e32 vcc, v7, v3
	v_xor_b32_e32 v8, 8, v2
	s_waitcnt lgkmcnt(0)
	v_max_f32_e32 v1, v1, v1
	v_max_f32_e32 v1, v6, v1
	v_cndmask_b32_e32 v6, v2, v7, vcc
	v_lshlrev_b32_e32 v6, 2, v6
	ds_bpermute_b32 v7, v6, v1
	v_cmp_lt_i32_e32 vcc, v8, v3
	v_xor_b32_e32 v11, 4, v2
	s_waitcnt lgkmcnt(0)
	v_max_f32_e32 v7, v7, v7
	v_max_f32_e32 v1, v1, v7
	v_cndmask_b32_e32 v7, v2, v8, vcc
	v_lshlrev_b32_e32 v12, 2, v7
	ds_bpermute_b32 v7, v12, v1
	v_cmp_lt_i32_e32 vcc, v11, v3
	s_waitcnt lgkmcnt(0)
	v_max_f32_e32 v7, v7, v7
	v_max_f32_e32 v8, v1, v7
	v_cndmask_b32_e32 v1, v2, v11, vcc
	v_lshlrev_b32_e32 v13, 2, v1
	ds_bpermute_b32 v11, v13, v8
	v_and_b32_e32 v1, 63, v0
	v_cmp_eq_u32_e32 vcc, 0, v1
	v_lshlrev_b32_e32 v7, 2, v9
	s_and_saveexec_b64 s[2:3], vcc
	s_cbranch_execz .LBB77_23
; %bb.22:
	s_waitcnt lgkmcnt(0)
	v_max_f32_e32 v11, v11, v11
	v_max_f32_e32 v8, v8, v8
	;; [unrolled: 1-line block ×3, first 2 shown]
	ds_write_b32 v7, v8 offset:240
.LBB77_23:
	s_or_b64 exec, exec, s[2:3]
	v_cmp_gt_u32_e64 s[2:3], 2, v1
	v_mov_b32_e32 v15, 0xff7fffff
	v_lshlrev_b32_e32 v8, 2, v1
	s_waitcnt lgkmcnt(0)
	s_barrier
	s_and_saveexec_b64 s[4:5], s[2:3]
; %bb.24:
	ds_read_b32 v15, v8 offset:240
; %bb.25:
	s_or_b64 exec, exec, s[4:5]
	v_xor_b32_e32 v11, 1, v2
	v_cmp_lt_i32_e64 s[4:5], v11, v3
	v_cndmask_b32_e64 v11, v2, v11, s[4:5]
	v_lshlrev_b32_e32 v11, 2, v11
	s_waitcnt lgkmcnt(0)
	ds_bpermute_b32 v16, v11, v15
	v_max_f32_e32 v15, v15, v15
	v_lshlrev_b32_e32 v14, 2, v14
	s_lshl_b32 s4, s42, 4
	s_min_i32 s15, s4, s33
	s_waitcnt lgkmcnt(0)
	v_max_f32_e32 v16, v16, v16
	v_max_f32_e32 v15, v15, v16
	ds_bpermute_b32 v15, v14, v15
	v_cmp_gt_i32_e64 s[4:5], s15, v0
	v_mov_b32_e32 v14, 0
	s_and_saveexec_b64 s[30:31], s[4:5]
	s_cbranch_execz .LBB77_29
; %bb.26:
	v_mov_b32_e32 v14, 0x100
	v_lshl_add_u32 v16, v0, 2, v14
	v_mov_b32_e32 v14, 0
	s_mov_b64 s[34:35], 0
	v_mov_b32_e32 v17, v0
.LBB77_27:                              ; =>This Inner Loop Header: Depth=1
	ds_read_b32 v18, v16
	v_add_u32_e32 v17, 0x80, v17
	v_cmp_le_i32_e64 s[6:7], s15, v17
	s_or_b64 s[34:35], s[6:7], s[34:35]
	s_waitcnt lgkmcnt(0)
	v_sub_f32_e32 v18, v18, v15
	v_mul_f32_e32 v18, 0x3fb8aa3b, v18
	v_exp_f32_e32 v18, v18
	ds_write_b32 v16, v18
	v_add_f32_e32 v14, v14, v18
	v_add_u32_e32 v16, 0x200, v16
	s_andn2_b64 exec, exec, s[34:35]
	s_cbranch_execnz .LBB77_27
; %bb.28:
	s_or_b64 exec, exec, s[34:35]
.LBB77_29:
	s_or_b64 exec, exec, s[30:31]
	ds_bpermute_b32 v4, v4, v14
	s_waitcnt lgkmcnt(0)
	v_add_f32_e32 v4, v14, v4
	ds_bpermute_b32 v6, v6, v4
	s_waitcnt lgkmcnt(0)
	v_add_f32_e32 v4, v4, v6
	ds_bpermute_b32 v6, v12, v4
	v_xor_b32_e32 v12, 2, v2
	v_cmp_lt_i32_e64 s[6:7], v12, v3
	v_cndmask_b32_e64 v3, v2, v12, s[6:7]
	v_lshlrev_b32_e32 v3, 2, v3
	s_waitcnt lgkmcnt(0)
	v_add_f32_e32 v4, v4, v6
	ds_bpermute_b32 v6, v13, v4
	s_waitcnt lgkmcnt(0)
	v_add_f32_e32 v4, v4, v6
	ds_bpermute_b32 v3, v3, v4
	;; [unrolled: 3-line block ×3, first 2 shown]
	s_waitcnt lgkmcnt(0)
	v_add_f32_e32 v3, v3, v4
	s_and_saveexec_b64 s[6:7], vcc
; %bb.30:
	ds_write_b32 v7, v3 offset:248
; %bb.31:
	s_or_b64 exec, exec, s[6:7]
	s_waitcnt lgkmcnt(0)
	s_barrier
	s_and_saveexec_b64 s[6:7], s[2:3]
; %bb.32:
	ds_read_b32 v3, v8 offset:248
; %bb.33:
	s_or_b64 exec, exec, s[6:7]
	s_waitcnt lgkmcnt(0)
	ds_bpermute_b32 v4, v11, v3
	v_lshlrev_b32_e32 v2, 2, v2
	v_and_b32_e32 v2, 0x100, v2
	s_waitcnt lgkmcnt(0)
	v_add_f32_e32 v3, v3, v4
	ds_bpermute_b32 v2, v2, v3
	s_and_saveexec_b64 s[2:3], s[4:5]
	s_cbranch_execz .LBB77_36
; %bb.34:
	s_waitcnt lgkmcnt(0)
	v_add_f32_e32 v3, 0x358637bd, v2
	v_div_scale_f32 v2, s[4:5], v3, v3, 1.0
	v_div_scale_f32 v4, vcc, 1.0, v3, 1.0
	s_mov_b64 s[4:5], 0
	v_rcp_f32_e32 v6, v2
	v_fma_f32 v7, -v2, v6, 1.0
	v_fmac_f32_e32 v6, v7, v6
	v_mul_f32_e32 v7, v4, v6
	v_fma_f32 v8, -v2, v7, v4
	v_fmac_f32_e32 v7, v8, v6
	v_fma_f32 v2, -v2, v7, v4
	v_div_fmas_f32 v4, v2, v6, v7
	v_mov_b32_e32 v2, 0x100
	v_lshl_add_u32 v2, v0, 2, v2
	v_div_fixup_f32 v3, v4, v3, 1.0
	v_mov_b32_e32 v4, v0
.LBB77_35:                              ; =>This Inner Loop Header: Depth=1
	ds_read_b32 v6, v2
	v_add_u32_e32 v4, 0x80, v4
	v_cmp_le_i32_e32 vcc, s15, v4
	s_or_b64 s[4:5], vcc, s[4:5]
	s_waitcnt lgkmcnt(0)
	v_mul_f32_e32 v6, v3, v6
	ds_write_b32 v2, v6
	v_add_u32_e32 v2, 0x200, v2
	s_andn2_b64 exec, exec, s[4:5]
	s_cbranch_execnz .LBB77_35
.LBB77_36:
	s_or_b64 exec, exec, s[2:3]
	v_lshrrev_b32_e32 v12, 1, v1
	s_waitcnt lgkmcnt(0)
	s_barrier
	s_and_saveexec_b64 s[2:3], s[0:1]
	s_xor_b64 s[0:1], exec, s[2:3]
; %bb.37:
	v_lshrrev_b32_e32 v12, 1, v1
                                        ; implicit-def: $vgpr10
                                        ; implicit-def: $vgpr9
                                        ; implicit-def: $vgpr5
; %bb.38:
	s_or_saveexec_b64 s[4:5], s[0:1]
	v_mov_b32_e32 v16, 0
	v_and_b32_e32 v13, 1, v0
	v_mov_b32_e32 v17, 0
	v_mov_b32_e32 v15, 0
	;; [unrolled: 1-line block ×3, first 2 shown]
	s_xor_b64 exec, exec, s[4:5]
	s_cbranch_execz .LBB77_54
; %bb.39:
	s_ashr_i32 s15, s14, 31
	s_sub_i32 s30, s12, s17
	s_lshl_b64 s[0:1], s[14:15], 1
	s_add_u32 s28, s28, s0
	s_addc_u32 s29, s29, s1
	s_abs_i32 s18, s18
	v_cvt_f32_u32_e32 v1, s18
	s_sub_i32 s1, 0, s18
	v_and_b32_e32 v4, 60, v5
	s_add_i32 s34, s42, -1
	v_rcp_iflag_f32_e32 v1, v1
	s_lshl_b64 s[2:3], s[26:27], 2
	s_add_u32 s2, s24, s2
	s_addc_u32 s3, s25, s3
	v_mul_f32_e32 v1, 0x4f7ffffe, v1
	v_cvt_u32_f32_e32 v1, v1
	v_lshlrev_b32_e32 v2, 3, v0
	v_or_b32_e32 v3, 0x60, v12
	s_movk_i32 s0, 0x78
	v_mul_lo_u32 v5, s1, v1
	v_and_b32_e32 v19, 8, v2
	v_cmp_gt_u32_e64 s[0:1], s0, v3
	v_lshl_or_b32 v2, v12, 4, v19
	v_mul_hi_u32 v5, v1, v5
	v_lshl_or_b32 v3, v3, 4, v19
	s_mov_b32 s31, s13
	v_mov_b32_e32 v14, 0
	v_add_u32_e32 v20, v1, v5
	v_mov_b32_e32 v1, s3
	v_add_co_u32_e32 v5, vcc, s2, v4
	v_addc_co_u32_e32 v6, vcc, 0, v1, vcc
	v_lshlrev_b32_e32 v1, 5, v13
	v_lshl_or_b32 v1, v9, 6, v1
	v_add_u32_e32 v21, 0x100, v1
	s_mov_b64 s[6:7], 0
	v_lshlrev_b32_e32 v22, 1, v2
	s_mov_b32 s24, 0xffff
	v_lshlrev_b32_e32 v23, 1, v3
	v_mov_b32_e32 v18, 0
	v_mov_b32_e32 v15, 0
	;; [unrolled: 1-line block ×4, first 2 shown]
	s_branch .LBB77_43
.LBB77_40:                              ;   in Loop: Header=BB77_43 Depth=1
	s_or_b64 exec, exec, s[16:17]
	v_lshlrev_b32_e32 v24, 16, v35
	v_and_or_b32 v1, v1, s24, v24
	v_lshlrev_b32_e32 v24, 16, v32
	v_and_or_b32 v2, v2, s24, v24
	v_lshlrev_b32_e32 v24, 16, v31
	v_and_or_b32 v3, v3, s24, v24
	;;#ASMSTART
	v_pk_mul_f16 v1, v28, v1;

	;;#ASMEND
	;;#ASMSTART
	v_pk_mul_f16 v2, v29, v2;

	;;#ASMEND
	;; [unrolled: 4-line block ×4, first 2 shown]
	;;#ASMSTART
	v_pk_add_f16 v1, v1, v2;

	;;#ASMEND
	;;#ASMSTART
	v_pk_add_f16 v1, v1, v3;

	;;#ASMEND
	;; [unrolled: 4-line block ×3, first 2 shown]
	v_lshrrev_b32_e32 v2, 16, v1
	v_and_b32_e32 v1, 0xffff, v1
	;;#ASMSTART
	v_cvt_f32_f16 v1, v1;
	;;#ASMEND
	;;#ASMSTART
	v_cvt_f32_f16 v2, v2;
	;;#ASMEND
	v_add_f32_e32 v1, v1, v2
	v_add_f32_e32 v18, v18, v1
.LBB77_41:                              ;   in Loop: Header=BB77_43 Depth=1
	s_or_b64 exec, exec, s[14:15]
	v_add_f32_e32 v1, v33, v34
	v_add_f32_e32 v17, v17, v1
	;; [unrolled: 1-line block ×6, first 2 shown]
.LBB77_42:                              ;   in Loop: Header=BB77_43 Depth=1
	s_or_b64 exec, exec, s[12:13]
	v_add_co_u32_e32 v5, vcc, 8, v5
	v_add_u32_e32 v9, 2, v9
	v_addc_co_u32_e32 v6, vcc, 0, v6, vcc
	v_cmp_le_i32_e32 vcc, s42, v9
	v_add_u32_e32 v10, 32, v10
	s_or_b64 s[6:7], vcc, s[6:7]
	v_add_u32_e32 v21, 0x80, v21
	s_andn2_b64 exec, exec, s[6:7]
	s_cbranch_execz .LBB77_53
.LBB77_43:                              ; =>This Inner Loop Header: Depth=1
	v_mul_hi_u32 v1, v10, s40
	v_mul_lo_u32 v2, v1, s21
	v_add_u32_e32 v3, 1, v1
	v_sub_u32_e32 v2, v10, v2
	v_cmp_le_u32_e32 vcc, s21, v2
	v_cndmask_b32_e32 v1, v1, v3, vcc
	v_subrev_u32_e32 v3, s21, v2
	v_cndmask_b32_e32 v2, v2, v3, vcc
	v_add_u32_e32 v3, 1, v1
	v_cmp_le_u32_e32 vcc, s21, v2
	v_cndmask_b32_e32 v1, v1, v3, vcc
	v_xor_b32_e32 v1, s19, v1
	v_subrev_u32_e32 v1, s19, v1
	v_add_u32_e32 v2, s41, v1
	v_sub_u32_e32 v3, 0, v2
	v_max_i32_e32 v3, v2, v3
	v_mul_hi_u32 v4, v3, v20
	v_ashrrev_i32_e32 v2, 31, v2
	v_cmp_lt_i32_e64 s[2:3], s30, v1
	v_mul_lo_u32 v4, v4, s18
	v_sub_u32_e32 v3, v3, v4
	v_subrev_u32_e32 v4, s18, v3
	v_cmp_le_u32_e32 vcc, s18, v3
	v_cndmask_b32_e32 v3, v3, v4, vcc
	v_subrev_u32_e32 v4, s18, v3
	v_cmp_le_u32_e32 vcc, s18, v3
	v_cndmask_b32_e32 v3, v3, v4, vcc
	v_xor_b32_e32 v3, v3, v2
	v_sub_u32_e32 v2, v3, v2
	v_cmp_eq_u32_e32 vcc, 0, v2
	s_or_b64 s[2:3], vcc, s[2:3]
	s_and_saveexec_b64 s[12:13], s[2:3]
	s_cbranch_execz .LBB77_42
; %bb.44:                               ;   in Loop: Header=BB77_43 Depth=1
	global_load_dword v7, v[5:6], off
	ds_read2_b64 v[1:4], v21 offset1:1
	ds_read2_b64 v[32:35], v21 offset0:2 offset1:3
	v_mov_b32_e32 v8, s29
	v_add_u32_e32 v24, v19, v10
	s_waitcnt lgkmcnt(1)
	;;#ASMSTART
	v_cvt_f16_f32 v25, v1;

	;;#ASMEND
	;;#ASMSTART
	v_cvt_f16_f32 v26, v2;

	;;#ASMEND
	;; [unrolled: 4-line block ×4, first 2 shown]
	s_waitcnt lgkmcnt(0)
	;;#ASMSTART
	v_cvt_f16_f32 v30, v32;

	;;#ASMEND
	;;#ASMSTART
	v_cvt_f16_f32 v33, v33;

	;;#ASMEND
	;; [unrolled: 4-line block ×4, first 2 shown]
	s_waitcnt vmcnt(0)
	v_mad_i64_i32 v[1:2], s[2:3], v7, s31, 0
	v_cmp_eq_u32_e64 s[2:3], s34, v9
	v_lshlrev_b64 v[1:2], 1, v[1:2]
	v_add_co_u32_e32 v31, vcc, s28, v1
	v_addc_co_u32_e32 v32, vcc, v8, v2, vcc
	v_add_co_u32_e32 v7, vcc, v31, v22
	v_addc_co_u32_e32 v8, vcc, 0, v32, vcc
	global_load_dwordx4 v[1:4], v[7:8], off
	s_waitcnt vmcnt(0)
	v_lshrrev_b32_e32 v38, 16, v1
	v_lshrrev_b32_e32 v37, 16, v2
	;; [unrolled: 1-line block ×3, first 2 shown]
	s_and_saveexec_b64 s[14:15], s[2:3]
	s_cbranch_execz .LBB77_46
; %bb.45:                               ;   in Loop: Header=BB77_43 Depth=1
	v_cmp_gt_i32_e32 vcc, s33, v24
	v_add_u32_e32 v28, 1, v24
	v_cndmask_b32_e32 v1, 0, v1, vcc
	v_cmp_gt_i32_e32 vcc, s33, v28
	v_add_u32_e32 v28, 2, v24
	v_cndmask_b32_e32 v38, 0, v38, vcc
	;; [unrolled: 3-line block ×6, first 2 shown]
	v_cmp_gt_i32_e32 vcc, s33, v28
	v_add_u32_e32 v39, 7, v24
	v_cndmask_b32_sdwa v28, v14, v4, vcc dst_sel:DWORD dst_unused:UNUSED_PAD src0_sel:DWORD src1_sel:WORD_0
	v_and_b32_e32 v4, 0xffff0000, v4
	v_cmp_gt_i32_e32 vcc, s33, v39
	v_cndmask_b32_e32 v4, 0, v4, vcc
	v_or_b32_e32 v4, v28, v4
.LBB77_46:                              ;   in Loop: Header=BB77_43 Depth=1
	s_or_b64 exec, exec, s[14:15]
	v_and_b32_e32 v25, 0xffff, v25
	v_lshl_or_b32 v28, v26, 16, v25
	v_and_b32_e32 v25, 0xffff, v27
	v_lshl_or_b32 v29, v29, 16, v25
	;; [unrolled: 2-line block ×4, first 2 shown]
	v_lshlrev_b32_e32 v25, 16, v38
	v_and_or_b32 v1, v1, s24, v25
	v_lshlrev_b32_e32 v25, 16, v37
	v_and_or_b32 v2, v2, s24, v25
	;; [unrolled: 2-line block ×3, first 2 shown]
	;;#ASMSTART
	v_pk_mul_f16 v1, v28, v1;

	;;#ASMEND
	;;#ASMSTART
	v_pk_mul_f16 v2, v29, v2;

	;;#ASMEND
	;; [unrolled: 4-line block ×4, first 2 shown]
	;;#ASMSTART
	v_pk_add_f16 v1, v1, v2;

	;;#ASMEND
	;;#ASMSTART
	v_pk_add_f16 v1, v1, v3;

	;;#ASMEND
	;; [unrolled: 4-line block ×3, first 2 shown]
	v_lshrrev_b32_e32 v2, 16, v1
	v_and_b32_e32 v1, 0xffff, v1
	;;#ASMSTART
	v_cvt_f32_f16 v25, v1;
	;;#ASMEND
	;;#ASMSTART
	v_cvt_f32_f16 v26, v2;
	;;#ASMEND
	global_load_dwordx4 v[1:4], v[7:8], off offset:1024
	s_waitcnt vmcnt(0)
	v_lshrrev_b32_e32 v35, 16, v1
	v_lshrrev_b32_e32 v34, 16, v2
	;; [unrolled: 1-line block ×3, first 2 shown]
	s_and_saveexec_b64 s[14:15], s[2:3]
	s_cbranch_execz .LBB77_48
; %bb.47:                               ;   in Loop: Header=BB77_43 Depth=1
	v_cmp_gt_i32_e32 vcc, s33, v24
	v_add_u32_e32 v36, 1, v24
	v_cndmask_b32_e32 v1, 0, v1, vcc
	v_cmp_gt_i32_e32 vcc, s33, v36
	v_add_u32_e32 v36, 2, v24
	v_cndmask_b32_e32 v35, 0, v35, vcc
	;; [unrolled: 3-line block ×6, first 2 shown]
	v_cmp_gt_i32_e32 vcc, s33, v36
	v_add_u32_e32 v37, 7, v24
	v_cndmask_b32_sdwa v36, v14, v4, vcc dst_sel:DWORD dst_unused:UNUSED_PAD src0_sel:DWORD src1_sel:WORD_0
	v_and_b32_e32 v4, 0xffff0000, v4
	v_cmp_gt_i32_e32 vcc, s33, v37
	v_cndmask_b32_e32 v4, 0, v4, vcc
	v_or_b32_e32 v4, v36, v4
.LBB77_48:                              ;   in Loop: Header=BB77_43 Depth=1
	s_or_b64 exec, exec, s[14:15]
	v_lshlrev_b32_e32 v35, 16, v35
	v_and_or_b32 v1, v1, s24, v35
	v_lshlrev_b32_e32 v34, 16, v34
	v_lshlrev_b32_e32 v33, 16, v33
	v_and_or_b32 v2, v2, s24, v34
	v_and_or_b32 v3, v3, s24, v33
	;;#ASMSTART
	v_pk_mul_f16 v1, v28, v1;

	;;#ASMEND
	;;#ASMSTART
	v_pk_mul_f16 v2, v29, v2;

	;;#ASMEND
	;; [unrolled: 4-line block ×4, first 2 shown]
	;;#ASMSTART
	v_pk_add_f16 v1, v1, v2;

	;;#ASMEND
	;;#ASMSTART
	v_pk_add_f16 v1, v1, v3;

	;;#ASMEND
	;; [unrolled: 4-line block ×3, first 2 shown]
	v_lshrrev_b32_e32 v2, 16, v1
	v_and_b32_e32 v1, 0xffff, v1
	;;#ASMSTART
	v_cvt_f32_f16 v33, v1;
	;;#ASMEND
	;;#ASMSTART
	v_cvt_f32_f16 v34, v2;
	;;#ASMEND
	global_load_dwordx4 v[1:4], v[7:8], off offset:2048
	s_waitcnt vmcnt(0)
	v_lshrrev_b32_e32 v35, 16, v1
	v_lshrrev_b32_e32 v8, 16, v2
	;; [unrolled: 1-line block ×3, first 2 shown]
	s_and_saveexec_b64 s[14:15], s[2:3]
	s_cbranch_execz .LBB77_50
; %bb.49:                               ;   in Loop: Header=BB77_43 Depth=1
	v_cmp_gt_i32_e32 vcc, s33, v24
	v_add_u32_e32 v36, 1, v24
	v_cndmask_b32_e32 v1, 0, v1, vcc
	v_cmp_gt_i32_e32 vcc, s33, v36
	v_add_u32_e32 v36, 2, v24
	v_cndmask_b32_e32 v35, 0, v35, vcc
	v_cmp_gt_i32_e32 vcc, s33, v36
	v_add_u32_e32 v36, 3, v24
	v_cndmask_b32_e32 v2, 0, v2, vcc
	v_cmp_gt_i32_e32 vcc, s33, v36
	v_add_u32_e32 v36, 4, v24
	v_cndmask_b32_e32 v8, 0, v8, vcc
	v_cmp_gt_i32_e32 vcc, s33, v36
	v_add_u32_e32 v36, 5, v24
	v_cndmask_b32_e32 v3, 0, v3, vcc
	v_cmp_gt_i32_e32 vcc, s33, v36
	v_add_u32_e32 v36, 6, v24
	v_cndmask_b32_e32 v7, 0, v7, vcc
	v_cmp_gt_i32_e32 vcc, s33, v36
	v_add_u32_e32 v37, 7, v24
	v_cndmask_b32_sdwa v36, v14, v4, vcc dst_sel:DWORD dst_unused:UNUSED_PAD src0_sel:DWORD src1_sel:WORD_0
	v_and_b32_e32 v4, 0xffff0000, v4
	v_cmp_gt_i32_e32 vcc, s33, v37
	v_cndmask_b32_e32 v4, 0, v4, vcc
	v_or_b32_e32 v4, v36, v4
.LBB77_50:                              ;   in Loop: Header=BB77_43 Depth=1
	s_or_b64 exec, exec, s[14:15]
	v_lshlrev_b32_e32 v35, 16, v35
	v_and_or_b32 v1, v1, s24, v35
	v_lshlrev_b32_e32 v8, 16, v8
	v_lshlrev_b32_e32 v7, 16, v7
	v_and_or_b32 v2, v2, s24, v8
	v_and_or_b32 v3, v3, s24, v7
	;;#ASMSTART
	v_pk_mul_f16 v1, v28, v1;

	;;#ASMEND
	;;#ASMSTART
	v_pk_mul_f16 v2, v29, v2;

	;;#ASMEND
	;; [unrolled: 4-line block ×4, first 2 shown]
	;;#ASMSTART
	v_pk_add_f16 v1, v1, v2;

	;;#ASMEND
	;;#ASMSTART
	v_pk_add_f16 v1, v1, v3;

	;;#ASMEND
	;; [unrolled: 4-line block ×3, first 2 shown]
	v_lshrrev_b32_e32 v2, 16, v1
	v_and_b32_e32 v1, 0xffff, v1
	;;#ASMSTART
	v_cvt_f32_f16 v7, v1;
	;;#ASMEND
	;;#ASMSTART
	v_cvt_f32_f16 v8, v2;
	;;#ASMEND
	s_and_saveexec_b64 s[14:15], s[0:1]
	s_cbranch_execz .LBB77_41
; %bb.51:                               ;   in Loop: Header=BB77_43 Depth=1
	v_add_co_u32_e32 v1, vcc, v31, v23
	v_addc_co_u32_e32 v2, vcc, 0, v32, vcc
	global_load_dwordx4 v[1:4], v[1:2], off
	s_waitcnt vmcnt(0)
	v_lshrrev_b32_e32 v35, 16, v1
	v_lshrrev_b32_e32 v32, 16, v2
	;; [unrolled: 1-line block ×3, first 2 shown]
	s_and_saveexec_b64 s[16:17], s[2:3]
	s_cbranch_execz .LBB77_40
; %bb.52:                               ;   in Loop: Header=BB77_43 Depth=1
	v_cmp_gt_i32_e32 vcc, s33, v24
	v_add_u32_e32 v36, 1, v24
	v_cndmask_b32_e32 v1, 0, v1, vcc
	v_cmp_gt_i32_e32 vcc, s33, v36
	v_add_u32_e32 v36, 2, v24
	v_cndmask_b32_e32 v35, 0, v35, vcc
	v_cmp_gt_i32_e32 vcc, s33, v36
	v_add_u32_e32 v36, 3, v24
	v_cndmask_b32_e32 v2, 0, v2, vcc
	v_cmp_gt_i32_e32 vcc, s33, v36
	v_add_u32_e32 v36, 4, v24
	v_cndmask_b32_e32 v32, 0, v32, vcc
	v_cmp_gt_i32_e32 vcc, s33, v36
	v_add_u32_e32 v36, 5, v24
	v_cndmask_b32_e32 v3, 0, v3, vcc
	v_cmp_gt_i32_e32 vcc, s33, v36
	v_add_u32_e32 v36, 6, v24
	v_cndmask_b32_e32 v31, 0, v31, vcc
	v_cmp_gt_i32_e32 vcc, s33, v36
	v_add_u32_e32 v24, 7, v24
	v_cndmask_b32_sdwa v36, v14, v4, vcc dst_sel:DWORD dst_unused:UNUSED_PAD src0_sel:DWORD src1_sel:WORD_0
	v_and_b32_e32 v4, 0xffff0000, v4
	v_cmp_gt_i32_e32 vcc, s33, v24
	v_cndmask_b32_e32 v4, 0, v4, vcc
	v_or_b32_e32 v4, v36, v4
	s_branch .LBB77_40
.LBB77_53:
	s_or_b64 exec, exec, s[6:7]
.LBB77_54:
	s_or_b64 exec, exec, s[4:5]
	ds_bpermute_b32 v2, v11, v17
	ds_bpermute_b32 v5, v11, v15
	;; [unrolled: 1-line block ×4, first 2 shown]
	v_cmp_eq_u32_e32 vcc, 0, v13
	s_waitcnt lgkmcnt(3)
	v_add_f32_e32 v3, v17, v2
	s_waitcnt lgkmcnt(2)
	v_add_f32_e32 v2, v15, v5
	v_and_b32_e32 v5, 0x3c0, v0
	s_waitcnt lgkmcnt(1)
	v_add_f32_e32 v4, v16, v1
	s_waitcnt lgkmcnt(0)
	v_add_f32_e32 v1, v18, v6
	v_cmp_eq_u32_e64 s[0:1], 64, v5
	s_barrier
	s_and_saveexec_b64 s[2:3], s[0:1]
	s_cbranch_execz .LBB77_59
; %bb.55:
	s_and_saveexec_b64 s[0:1], vcc
	s_cbranch_execz .LBB77_57
; %bb.56:
	v_mov_b32_e32 v5, 0x100
	v_lshl_add_u32 v5, v12, 2, v5
	ds_write2_b32 v5, v4, v3 offset1:32
	ds_write_b32 v5, v2 offset:256
.LBB77_57:
	s_or_b64 exec, exec, s[0:1]
	v_or_b32_e32 v5, 0x60, v12
	s_movk_i32 s0, 0x78
	v_cmp_gt_u32_e64 s[0:1], s0, v5
	s_and_b64 s[0:1], vcc, s[0:1]
	s_and_b64 exec, exec, s[0:1]
; %bb.58:
	v_mov_b32_e32 v5, 0x100
	v_lshl_add_u32 v5, v12, 2, v5
	ds_write_b32 v5, v1 offset:384
.LBB77_59:
	s_or_b64 exec, exec, s[2:3]
	v_cmp_gt_u32_e64 s[0:1], 64, v0
	v_lshrrev_b32_e32 v0, 1, v0
	s_waitcnt lgkmcnt(0)
	s_barrier
	s_and_saveexec_b64 s[4:5], s[0:1]
	s_cbranch_execz .LBB77_69
; %bb.60:
	s_and_saveexec_b64 s[2:3], vcc
	s_cbranch_execz .LBB77_62
; %bb.61:
	v_mov_b32_e32 v5, 0x100
	v_lshl_add_u32 v5, v0, 2, v5
	ds_read_b32 v5, v5
	s_waitcnt lgkmcnt(0)
	v_add_f32_e32 v4, v4, v5
.LBB77_62:
	s_or_b64 exec, exec, s[2:3]
	v_or_b32_e32 v5, 32, v0
	s_movk_i32 s6, 0x78
	v_cmp_gt_u32_e64 s[2:3], s6, v5
	s_and_b64 s[12:13], vcc, s[2:3]
	s_and_saveexec_b64 s[2:3], s[12:13]
	s_cbranch_execz .LBB77_64
; %bb.63:
	v_mov_b32_e32 v5, 0x100
	v_lshl_add_u32 v5, v0, 2, v5
	ds_read_b32 v5, v5 offset:128
	s_waitcnt lgkmcnt(0)
	v_add_f32_e32 v3, v3, v5
.LBB77_64:
	s_or_b64 exec, exec, s[2:3]
	v_or_b32_e32 v5, 64, v0
	v_cmp_gt_u32_e64 s[2:3], s6, v5
	s_and_b64 s[6:7], vcc, s[2:3]
	s_and_saveexec_b64 s[2:3], s[6:7]
	s_cbranch_execz .LBB77_66
; %bb.65:
	v_mov_b32_e32 v5, 0x100
	v_lshl_add_u32 v5, v0, 2, v5
	ds_read_b32 v5, v5 offset:256
	s_waitcnt lgkmcnt(0)
	v_add_f32_e32 v2, v2, v5
.LBB77_66:
	s_or_b64 exec, exec, s[2:3]
	v_or_b32_e32 v5, 0x60, v0
	s_movk_i32 s2, 0x78
	v_cmp_gt_u32_e64 s[2:3], s2, v5
	s_and_b64 s[6:7], vcc, s[2:3]
	s_and_saveexec_b64 s[2:3], s[6:7]
	s_cbranch_execz .LBB77_68
; %bb.67:
	v_mov_b32_e32 v5, 0x100
	v_lshl_add_u32 v5, v0, 2, v5
	ds_read_b32 v5, v5 offset:384
	s_waitcnt lgkmcnt(0)
	v_add_f32_e32 v1, v1, v5
.LBB77_68:
	s_or_b64 exec, exec, s[2:3]
.LBB77_69:
	s_or_b64 exec, exec, s[4:5]
	s_barrier
	s_and_saveexec_b64 s[2:3], s[0:1]
	s_cbranch_execz .LBB77_78
; %bb.70:
	s_mul_i32 s0, s10, s11
	s_mul_i32 s0, s0, s9
	s_mulk_i32 s0, 0x78
	s_ashr_i32 s1, s0, 31
	s_lshl_b64 s[0:1], s[0:1], 1
	s_add_u32 s2, s22, s0
	s_mul_i32 s0, s11, s20
	s_addc_u32 s3, s23, s1
	s_ashr_i32 s1, s0, 31
	s_lshl_b64 s[0:1], s[0:1], 1
	s_add_u32 s2, s2, s0
	s_mul_i32 s0, s8, 0x78
	s_addc_u32 s3, s3, s1
	s_ashr_i32 s1, s0, 31
	s_lshl_b64 s[0:1], s[0:1], 1
	s_add_u32 s2, s2, s0
	s_movk_i32 s4, 0x78
	s_addc_u32 s3, s3, s1
	v_lshlrev_b32_e32 v5, 1, v0
	s_and_saveexec_b64 s[0:1], vcc
	s_cbranch_execz .LBB77_72
; %bb.71:
	;;#ASMSTART
	v_cvt_f16_f32 v4, v4;

	;;#ASMEND
	global_store_short v5, v4, s[2:3]
.LBB77_72:
	s_or_b64 exec, exec, s[0:1]
	v_or_b32_e32 v4, 32, v0
	v_cmp_gt_u32_e64 s[0:1], s4, v4
	s_and_b64 s[4:5], vcc, s[0:1]
	s_and_saveexec_b64 s[0:1], s[4:5]
	s_cbranch_execz .LBB77_74
; %bb.73:
	;;#ASMSTART
	v_cvt_f16_f32 v3, v3;

	;;#ASMEND
	global_store_short v5, v3, s[2:3] offset:64
.LBB77_74:
	s_or_b64 exec, exec, s[0:1]
	v_or_b32_e32 v3, 64, v0
	s_movk_i32 s4, 0x78
	v_cmp_gt_u32_e64 s[0:1], s4, v3
	s_and_b64 s[6:7], vcc, s[0:1]
	s_and_saveexec_b64 s[0:1], s[6:7]
	s_cbranch_execz .LBB77_76
; %bb.75:
	;;#ASMSTART
	v_cvt_f16_f32 v2, v2;

	;;#ASMEND
	global_store_short v5, v2, s[2:3] offset:128
.LBB77_76:
	s_or_b64 exec, exec, s[0:1]
	v_or_b32_e32 v0, 0x60, v0
	v_cmp_gt_u32_e64 s[0:1], s4, v0
	s_and_b64 s[0:1], vcc, s[0:1]
	s_and_b64 exec, exec, s[0:1]
	s_cbranch_execz .LBB77_78
; %bb.77:
	;;#ASMSTART
	v_cvt_f16_f32 v0, v1;

	;;#ASMEND
	global_store_short v5, v0, s[2:3] offset:192
.LBB77_78:
	s_endpgm
	.section	.rodata,"a",@progbits
	.p2align	6, 0x0
	.amdhsa_kernel _ZN4vllm25paged_attention_v1_kernelIttLi120ELi16ELi128ELNS_18Fp8KVCacheDataTypeE0ELb1EEEvPT_PKS2_PKT0_S8_ifPKiSA_iPKfiiiSC_SC_iiiii
		.amdhsa_group_segment_fixed_size 256
		.amdhsa_private_segment_fixed_size 0
		.amdhsa_kernarg_size 384
		.amdhsa_user_sgpr_count 6
		.amdhsa_user_sgpr_private_segment_buffer 1
		.amdhsa_user_sgpr_dispatch_ptr 0
		.amdhsa_user_sgpr_queue_ptr 0
		.amdhsa_user_sgpr_kernarg_segment_ptr 1
		.amdhsa_user_sgpr_dispatch_id 0
		.amdhsa_user_sgpr_flat_scratch_init 0
		.amdhsa_user_sgpr_private_segment_size 0
		.amdhsa_uses_dynamic_stack 0
		.amdhsa_system_sgpr_private_segment_wavefront_offset 0
		.amdhsa_system_sgpr_workgroup_id_x 1
		.amdhsa_system_sgpr_workgroup_id_y 1
		.amdhsa_system_sgpr_workgroup_id_z 1
		.amdhsa_system_sgpr_workgroup_info 0
		.amdhsa_system_vgpr_workitem_id 0
		.amdhsa_next_free_vgpr 59
		.amdhsa_next_free_sgpr 44
		.amdhsa_reserve_vcc 1
		.amdhsa_reserve_flat_scratch 0
		.amdhsa_float_round_mode_32 0
		.amdhsa_float_round_mode_16_64 0
		.amdhsa_float_denorm_mode_32 3
		.amdhsa_float_denorm_mode_16_64 3
		.amdhsa_dx10_clamp 1
		.amdhsa_ieee_mode 1
		.amdhsa_fp16_overflow 0
		.amdhsa_exception_fp_ieee_invalid_op 0
		.amdhsa_exception_fp_denorm_src 0
		.amdhsa_exception_fp_ieee_div_zero 0
		.amdhsa_exception_fp_ieee_overflow 0
		.amdhsa_exception_fp_ieee_underflow 0
		.amdhsa_exception_fp_ieee_inexact 0
		.amdhsa_exception_int_div_zero 0
	.end_amdhsa_kernel
	.section	.text._ZN4vllm25paged_attention_v1_kernelIttLi120ELi16ELi128ELNS_18Fp8KVCacheDataTypeE0ELb1EEEvPT_PKS2_PKT0_S8_ifPKiSA_iPKfiiiSC_SC_iiiii,"axG",@progbits,_ZN4vllm25paged_attention_v1_kernelIttLi120ELi16ELi128ELNS_18Fp8KVCacheDataTypeE0ELb1EEEvPT_PKS2_PKT0_S8_ifPKiSA_iPKfiiiSC_SC_iiiii,comdat
.Lfunc_end77:
	.size	_ZN4vllm25paged_attention_v1_kernelIttLi120ELi16ELi128ELNS_18Fp8KVCacheDataTypeE0ELb1EEEvPT_PKS2_PKT0_S8_ifPKiSA_iPKfiiiSC_SC_iiiii, .Lfunc_end77-_ZN4vllm25paged_attention_v1_kernelIttLi120ELi16ELi128ELNS_18Fp8KVCacheDataTypeE0ELb1EEEvPT_PKS2_PKT0_S8_ifPKiSA_iPKfiiiSC_SC_iiiii
                                        ; -- End function
	.set _ZN4vllm25paged_attention_v1_kernelIttLi120ELi16ELi128ELNS_18Fp8KVCacheDataTypeE0ELb1EEEvPT_PKS2_PKT0_S8_ifPKiSA_iPKfiiiSC_SC_iiiii.num_vgpr, 59
	.set _ZN4vllm25paged_attention_v1_kernelIttLi120ELi16ELi128ELNS_18Fp8KVCacheDataTypeE0ELb1EEEvPT_PKS2_PKT0_S8_ifPKiSA_iPKfiiiSC_SC_iiiii.num_agpr, 0
	.set _ZN4vllm25paged_attention_v1_kernelIttLi120ELi16ELi128ELNS_18Fp8KVCacheDataTypeE0ELb1EEEvPT_PKS2_PKT0_S8_ifPKiSA_iPKfiiiSC_SC_iiiii.numbered_sgpr, 44
	.set _ZN4vllm25paged_attention_v1_kernelIttLi120ELi16ELi128ELNS_18Fp8KVCacheDataTypeE0ELb1EEEvPT_PKS2_PKT0_S8_ifPKiSA_iPKfiiiSC_SC_iiiii.num_named_barrier, 0
	.set _ZN4vllm25paged_attention_v1_kernelIttLi120ELi16ELi128ELNS_18Fp8KVCacheDataTypeE0ELb1EEEvPT_PKS2_PKT0_S8_ifPKiSA_iPKfiiiSC_SC_iiiii.private_seg_size, 0
	.set _ZN4vllm25paged_attention_v1_kernelIttLi120ELi16ELi128ELNS_18Fp8KVCacheDataTypeE0ELb1EEEvPT_PKS2_PKT0_S8_ifPKiSA_iPKfiiiSC_SC_iiiii.uses_vcc, 1
	.set _ZN4vllm25paged_attention_v1_kernelIttLi120ELi16ELi128ELNS_18Fp8KVCacheDataTypeE0ELb1EEEvPT_PKS2_PKT0_S8_ifPKiSA_iPKfiiiSC_SC_iiiii.uses_flat_scratch, 0
	.set _ZN4vllm25paged_attention_v1_kernelIttLi120ELi16ELi128ELNS_18Fp8KVCacheDataTypeE0ELb1EEEvPT_PKS2_PKT0_S8_ifPKiSA_iPKfiiiSC_SC_iiiii.has_dyn_sized_stack, 0
	.set _ZN4vllm25paged_attention_v1_kernelIttLi120ELi16ELi128ELNS_18Fp8KVCacheDataTypeE0ELb1EEEvPT_PKS2_PKT0_S8_ifPKiSA_iPKfiiiSC_SC_iiiii.has_recursion, 0
	.set _ZN4vllm25paged_attention_v1_kernelIttLi120ELi16ELi128ELNS_18Fp8KVCacheDataTypeE0ELb1EEEvPT_PKS2_PKT0_S8_ifPKiSA_iPKfiiiSC_SC_iiiii.has_indirect_call, 0
	.section	.AMDGPU.csdata,"",@progbits
; Kernel info:
; codeLenInByte = 6208
; TotalNumSgprs: 48
; NumVgprs: 59
; ScratchSize: 0
; MemoryBound: 0
; FloatMode: 240
; IeeeMode: 1
; LDSByteSize: 256 bytes/workgroup (compile time only)
; SGPRBlocks: 5
; VGPRBlocks: 14
; NumSGPRsForWavesPerEU: 48
; NumVGPRsForWavesPerEU: 59
; Occupancy: 4
; WaveLimiterHint : 1
; COMPUTE_PGM_RSRC2:SCRATCH_EN: 0
; COMPUTE_PGM_RSRC2:USER_SGPR: 6
; COMPUTE_PGM_RSRC2:TRAP_HANDLER: 0
; COMPUTE_PGM_RSRC2:TGID_X_EN: 1
; COMPUTE_PGM_RSRC2:TGID_Y_EN: 1
; COMPUTE_PGM_RSRC2:TGID_Z_EN: 1
; COMPUTE_PGM_RSRC2:TIDIG_COMP_CNT: 0
	.section	.text._ZN4vllm25paged_attention_v1_kernelIttLi128ELi16ELi128ELNS_18Fp8KVCacheDataTypeE0ELb1EEEvPT_PKS2_PKT0_S8_ifPKiSA_iPKfiiiSC_SC_iiiii,"axG",@progbits,_ZN4vllm25paged_attention_v1_kernelIttLi128ELi16ELi128ELNS_18Fp8KVCacheDataTypeE0ELb1EEEvPT_PKS2_PKT0_S8_ifPKiSA_iPKfiiiSC_SC_iiiii,comdat
	.protected	_ZN4vllm25paged_attention_v1_kernelIttLi128ELi16ELi128ELNS_18Fp8KVCacheDataTypeE0ELb1EEEvPT_PKS2_PKT0_S8_ifPKiSA_iPKfiiiSC_SC_iiiii ; -- Begin function _ZN4vllm25paged_attention_v1_kernelIttLi128ELi16ELi128ELNS_18Fp8KVCacheDataTypeE0ELb1EEEvPT_PKS2_PKT0_S8_ifPKiSA_iPKfiiiSC_SC_iiiii
	.globl	_ZN4vllm25paged_attention_v1_kernelIttLi128ELi16ELi128ELNS_18Fp8KVCacheDataTypeE0ELb1EEEvPT_PKS2_PKT0_S8_ifPKiSA_iPKfiiiSC_SC_iiiii
	.p2align	8
	.type	_ZN4vllm25paged_attention_v1_kernelIttLi128ELi16ELi128ELNS_18Fp8KVCacheDataTypeE0ELb1EEEvPT_PKS2_PKT0_S8_ifPKiSA_iPKfiiiSC_SC_iiiii,@function
_ZN4vllm25paged_attention_v1_kernelIttLi128ELi16ELi128ELNS_18Fp8KVCacheDataTypeE0ELb1EEEvPT_PKS2_PKT0_S8_ifPKiSA_iPKfiiiSC_SC_iiiii: ; @_ZN4vllm25paged_attention_v1_kernelIttLi128ELi16ELi128ELNS_18Fp8KVCacheDataTypeE0ELb1EEEvPT_PKS2_PKT0_S8_ifPKiSA_iPKfiiiSC_SC_iiiii
; %bb.0:
	s_load_dword s9, s[4:5], 0x80
	s_load_dwordx2 s[0:1], s[4:5], 0x30
	s_load_dwordx2 s[34:35], s[4:5], 0x20
	s_mov_b32 s20, s7
	s_ashr_i32 s21, s7, 31
	s_lshl_b64 s[2:3], s[20:21], 2
	s_waitcnt lgkmcnt(0)
	s_add_u32 s0, s0, s2
	s_addc_u32 s1, s1, s3
	s_abs_i32 s2, s34
	v_cvt_f32_u32_e32 v1, s2
	s_sub_i32 s10, 0, s2
	s_abs_i32 s7, s9
	s_xor_b32 s3, s9, s34
	v_rcp_iflag_f32_e32 v1, v1
	s_ashr_i32 s3, s3, 31
	s_mov_b32 s44, 0
	v_mul_f32_e32 v1, 0x4f7ffffe, v1
	v_cvt_u32_f32_e32 v1, v1
	v_readfirstlane_b32 s11, v1
	s_mul_i32 s10, s10, s11
	s_mul_hi_u32 s10, s11, s10
	s_add_i32 s11, s11, s10
	s_mul_hi_u32 s10, s7, s11
	s_mul_i32 s11, s10, s2
	s_sub_i32 s7, s7, s11
	s_add_i32 s11, s10, 1
	s_sub_i32 s12, s7, s2
	s_cmp_ge_u32 s7, s2
	s_cselect_b32 s10, s11, s10
	s_cselect_b32 s7, s12, s7
	s_add_i32 s11, s10, 1
	s_cmp_ge_u32 s7, s2
	s_cselect_b32 s2, s11, s10
	s_xor_b32 s2, s2, s3
	s_sub_i32 s11, s2, s3
	s_abs_i32 s10, s11
	v_cvt_f32_u32_e32 v1, s10
	s_load_dwordx2 s[2:3], s[4:5], 0x40
	s_sub_i32 s7, 0, s10
	s_abs_i32 s24, s6
	v_rcp_iflag_f32_e32 v1, v1
	v_mul_f32_e32 v1, 0x4f7ffffe, v1
	v_cvt_u32_f32_e32 v1, v1
	v_readfirstlane_b32 s12, v1
	s_mul_i32 s7, s7, s12
	s_mul_hi_u32 s7, s12, s7
	s_add_i32 s12, s12, s7
	s_waitcnt lgkmcnt(0)
	s_cmp_eq_u64 s[2:3], 0
	s_mul_hi_u32 s25, s24, s12
	s_cbranch_scc1 .LBB78_2
; %bb.1:
	s_ashr_i32 s7, s6, 31
	s_lshl_b64 s[12:13], s[6:7], 2
	s_add_u32 s2, s2, s12
	s_addc_u32 s3, s3, s13
	s_load_dword s44, s[2:3], 0x0
.LBB78_2:
	s_load_dword s21, s[0:1], 0x0
	s_load_dwordx4 s[12:15], s[4:5], 0x48
	s_ashr_i32 s7, s6, 31
	s_ashr_i32 s26, s11, 31
	v_and_b32_e32 v1, 3, v0
	s_lshl_b32 s22, s6, 7
	v_cmp_gt_u32_e64 s[0:1], 64, v0
	v_lshlrev_b32_e32 v2, 2, v0
	s_and_saveexec_b64 s[2:3], s[0:1]
	s_cbranch_execz .LBB78_4
; %bb.3:
	s_load_dwordx2 s[16:17], s[4:5], 0x8
	s_waitcnt lgkmcnt(0)
	s_mul_i32 s18, s12, s20
	s_ashr_i32 s19, s18, 31
	s_lshl_b64 s[18:19], s[18:19], 1
	v_and_b32_e32 v4, 0x3fc, v0
	s_add_u32 s11, s16, s18
	s_addc_u32 s12, s17, s19
	s_ashr_i32 s23, s22, 31
	s_lshl_b64 s[16:17], s[22:23], 1
	s_add_u32 s16, s11, s16
	s_addc_u32 s17, s12, s17
	global_load_dword v3, v2, s[16:17]
	v_lshl_add_u32 v4, v1, 6, v4
	s_waitcnt vmcnt(0)
	ds_write_b32 v4, v3
.LBB78_4:
	s_or_b64 exec, exec, s[2:3]
	s_mul_i32 s3, s25, s10
	s_sub_i32 s3, s24, s3
	s_xor_b32 s2, s7, s26
	s_add_i32 s7, s25, 1
	s_waitcnt lgkmcnt(0)
	s_sub_i32 s12, s3, s10
	s_load_dwordx4 s[16:19], s[4:5], 0x68
	s_load_dword s11, s[4:5], 0x78
	s_cmp_ge_u32 s3, s10
	s_cselect_b32 s7, s7, s25
	s_cselect_b32 s3, s12, s3
	s_add_i32 s12, s7, 1
	s_cmp_ge_u32 s3, s10
	s_cselect_b32 s3, s12, s7
	s_waitcnt lgkmcnt(0)
	s_abs_i32 s23, s19
	v_cvt_f32_u32_e32 v3, s23
	s_xor_b32 s3, s3, s2
	s_sub_i32 s7, s3, s2
	s_sub_i32 s2, 0, s23
	v_rcp_iflag_f32_e32 v3, v3
	s_add_i32 s15, s21, -1
	s_abs_i32 s10, s15
	v_mul_f32_e32 v3, 0x4f7ffffe, v3
	v_cvt_u32_f32_e32 v3, v3
	s_barrier
	v_readfirstlane_b32 s33, v3
	s_mul_i32 s2, s2, s33
	s_mul_hi_u32 s2, s33, s2
	s_add_i32 s33, s33, s2
	s_cmp_lt_i32 s11, 0
	s_mul_hi_u32 s12, s10, s33
	s_cbranch_scc0 .LBB78_6
; %bb.5:
	s_mul_i32 s2, s16, s34
	s_add_i32 s2, s7, s2
	s_mul_i32 s2, s2, s11
	s_sub_i32 s42, 1, s2
	s_mov_b64 s[2:3], 0
	s_branch .LBB78_7
.LBB78_6:
	s_mov_b64 s[2:3], -1
                                        ; implicit-def: $sgpr42
.LBB78_7:
	s_load_dwordx2 s[26:27], s[4:5], 0x28
	s_ashr_i32 s15, s15, 31
	s_andn2_b64 vcc, exec, s[2:3]
	s_ashr_i32 s19, s19, 31
	s_cbranch_vccnz .LBB78_9
; %bb.8:
	s_mul_i32 s2, s9, s16
	s_add_i32 s2, s2, s6
	s_mul_i32 s2, s2, s11
	s_add_i32 s42, s2, 1
.LBB78_9:
	s_load_dword s2, s[4:5], 0x38
	s_load_dwordx2 s[24:25], s[4:5], 0x0
	s_load_dwordx2 s[30:31], s[4:5], 0x18
	s_load_dword s16, s[4:5], 0x88
	s_xor_b32 s3, s15, s19
	s_waitcnt lgkmcnt(0)
	s_mul_i32 s28, s2, s20
	s_mul_i32 s2, s12, s23
	s_sub_i32 s2, s10, s2
	s_ashr_i32 s29, s28, 31
	s_add_i32 s6, s12, 1
	s_sub_i32 s10, s2, s23
	s_cmp_ge_u32 s2, s23
	s_cselect_b32 s6, s6, s12
	s_cselect_b32 s2, s10, s2
	s_add_i32 s10, s6, 1
	s_cmp_ge_u32 s2, s23
	s_cselect_b32 s2, s10, s6
	s_xor_b32 s2, s2, s3
	s_sub_i32 s12, s2, s3
	s_add_i32 s2, s21, 15
	s_ashr_i32 s3, s2, 31
	s_lshr_b32 s3, s3, 28
	s_add_i32 s2, s2, s3
	s_ashr_i32 s43, s2, 4
	v_lshrrev_b32_e32 v9, 6, v0
	v_cmp_gt_i32_e64 s[2:3], s43, v9
	v_mov_b32_e32 v12, 0xff7fffff
	s_mul_i32 s14, s7, s14
	v_lshrrev_b32_e32 v5, 4, v0
	v_lshlrev_b32_e32 v10, 4, v9
	v_mbcnt_lo_u32_b32 v6, -1, 0
	s_and_saveexec_b64 s[36:37], s[2:3]
	s_cbranch_execz .LBB78_21
; %bb.10:
	s_load_dwordx2 s[4:5], s[4:5], 0x10
	s_ashr_i32 s15, s14, 31
	s_sub_i32 s34, s12, s17
	s_lshl_b64 s[6:7], s[14:15], 1
	v_bfe_u32 v7, v0, 2, 4
	s_waitcnt lgkmcnt(0)
	s_add_u32 s4, s4, s6
	s_addc_u32 s5, s5, s7
	s_abs_i32 s15, s18
	v_cvt_f32_u32_e32 v3, s15
	v_mov_b32_e32 v8, s5
	s_sub_i32 s5, 0, s15
	v_lshlrev_b32_e32 v4, 4, v7
	v_rcp_iflag_f32_e32 v3, v3
	s_lshl_b64 s[6:7], s[28:29], 2
	v_and_b32_e32 v2, 12, v2
	s_add_u32 s6, s26, s6
	v_mul_f32_e32 v3, 0x4f7ffffe, v3
	v_cvt_u32_f32_e32 v3, v3
	v_cmp_eq_u32_e32 vcc, 0, v1
	v_lshlrev_b32_e32 v13, 6, v1
	v_and_b32_e32 v1, 60, v5
	v_mul_lo_u32 v11, s5, v3
	v_add_co_u32_e64 v4, s[4:5], s4, v4
	v_addc_co_u32_e64 v12, s[4:5], 0, v8, s[4:5]
	v_mul_hi_u32 v14, v3, v11
	v_add_co_u32_e64 v8, s[4:5], v4, v2
	s_addc_u32 s7, s27, s7
	v_add_u32_e32 v14, v3, v14
	v_subrev_u32_e32 v3, s21, v7
	v_add_u32_e32 v16, 1, v3
	v_lshlrev_b32_e32 v3, 2, v7
	v_lshl_or_b32 v3, v9, 6, v3
	v_mbcnt_hi_u32_b32 v19, -1, v6
	v_addc_co_u32_e64 v11, s[4:5], 0, v12, s[4:5]
	v_mov_b32_e32 v2, s7
	v_add_co_u32_e64 v1, s[6:7], s6, v1
	v_add_u32_e32 v17, 0x110, v3
	v_and_b32_e32 v3, 64, v19
	s_mov_b32 s45, s13
	v_cmp_neq_f32_e64 s[4:5], s44, 0
	v_addc_co_u32_e64 v2, s[6:7], 0, v2, s[6:7]
	v_lshlrev_b32_e32 v15, 4, v9
	v_mov_b32_e32 v18, 0xff7fffff
	s_mov_b64 s[38:39], 0
	v_add_u32_e32 v20, 64, v3
	v_xor_b32_e32 v21, 2, v19
	v_xor_b32_e32 v22, 1, v19
	v_mov_b32_e32 v12, 0xff7fffff
	v_mov_b32_e32 v23, v9
	s_branch .LBB78_13
.LBB78_11:                              ;   in Loop: Header=BB78_13 Depth=1
	s_or_b64 exec, exec, s[40:41]
.LBB78_12:                              ;   in Loop: Header=BB78_13 Depth=1
	s_or_b64 exec, exec, s[10:11]
	v_add_co_u32_e64 v1, s[6:7], 8, v1
	v_add_u32_e32 v23, 2, v23
	v_addc_co_u32_e64 v2, s[6:7], 0, v2, s[6:7]
	v_cmp_le_i32_e64 s[6:7], s43, v23
	v_add_u32_e32 v15, 32, v15
	s_or_b64 s[38:39], s[6:7], s[38:39]
	v_add_u32_e32 v17, 0x80, v17
	s_andn2_b64 exec, exec, s[38:39]
	s_cbranch_execz .LBB78_20
.LBB78_13:                              ; =>This Inner Loop Header: Depth=1
	v_mul_hi_u32 v3, v15, s33
	s_waitcnt lgkmcnt(0)
	v_mul_lo_u32 v4, v3, s23
	v_add_u32_e32 v24, 1, v3
	v_sub_u32_e32 v4, v15, v4
	v_cmp_le_u32_e64 s[6:7], s23, v4
	v_cndmask_b32_e64 v3, v3, v24, s[6:7]
	v_subrev_u32_e32 v24, s23, v4
	v_cndmask_b32_e64 v4, v4, v24, s[6:7]
	v_add_u32_e32 v24, 1, v3
	v_cmp_le_u32_e64 s[6:7], s23, v4
	v_cndmask_b32_e64 v3, v3, v24, s[6:7]
	v_xor_b32_e32 v3, s19, v3
	v_subrev_u32_e32 v3, s19, v3
	v_add_u32_e32 v4, s42, v3
	v_sub_u32_e32 v24, 0, v4
	v_max_i32_e32 v24, v4, v24
	v_mul_hi_u32 v25, v24, v14
	v_ashrrev_i32_e32 v4, 31, v4
	v_cmp_ge_i32_e64 s[10:11], s34, v3
	v_mul_lo_u32 v25, v25, s15
	v_sub_u32_e32 v24, v24, v25
	v_subrev_u32_e32 v25, s15, v24
	v_cmp_le_u32_e64 s[6:7], s15, v24
	v_cndmask_b32_e64 v24, v24, v25, s[6:7]
	v_subrev_u32_e32 v25, s15, v24
	v_cmp_le_u32_e64 s[6:7], s15, v24
	v_cndmask_b32_e64 v24, v24, v25, s[6:7]
	v_xor_b32_e32 v24, v24, v4
	v_sub_u32_e32 v4, v24, v4
	v_cmp_ne_u32_e64 s[6:7], 0, v4
	s_and_b64 s[6:7], s[6:7], s[10:11]
	s_and_saveexec_b64 s[10:11], s[6:7]
	s_xor_b64 s[6:7], exec, s[10:11]
	s_cbranch_execz .LBB78_17
; %bb.14:                               ;   in Loop: Header=BB78_13 Depth=1
	s_and_saveexec_b64 s[10:11], vcc
; %bb.15:                               ;   in Loop: Header=BB78_13 Depth=1
	ds_write_b32 v17, v18
; %bb.16:                               ;   in Loop: Header=BB78_13 Depth=1
	s_or_b64 exec, exec, s[10:11]
.LBB78_17:                              ;   in Loop: Header=BB78_13 Depth=1
	s_andn2_saveexec_b64 s[10:11], s[6:7]
	s_cbranch_execz .LBB78_12
; %bb.18:                               ;   in Loop: Header=BB78_13 Depth=1
	global_load_dword v3, v[1:2], off
	s_waitcnt vmcnt(0)
	v_mad_i64_i32 v[3:4], s[6:7], v3, s45, 0
	v_lshlrev_b64 v[3:4], 1, v[3:4]
	v_add_co_u32_e64 v3, s[6:7], v8, v3
	v_addc_co_u32_e64 v4, s[6:7], v11, v4, s[6:7]
	global_load_dword v34, v[3:4], off
	global_load_dword v33, v[3:4], off offset:256
	global_load_dword v32, v[3:4], off offset:512
	global_load_dword v31, v[3:4], off offset:768
	global_load_dword v30, v[3:4], off offset:1024
	global_load_dword v28, v[3:4], off offset:1280
	global_load_dword v29, v[3:4], off offset:1536
	global_load_dword v27, v[3:4], off offset:1792
	global_load_dword v26, v[3:4], off offset:2048
	global_load_dword v25, v[3:4], off offset:2304
	global_load_dword v24, v[3:4], off offset:2560
	ds_read_b32 v36, v13
	v_cmp_lt_i32_e64 s[6:7], v21, v20
	v_cndmask_b32_e64 v35, v19, v21, s[6:7]
	v_lshlrev_b32_e32 v35, 2, v35
	v_cmp_lt_i32_e64 s[6:7], v22, v20
	s_waitcnt lgkmcnt(0)
	v_lshrrev_b32_e32 v41, 16, v36
	v_and_b32_e32 v40, 0xffff, v36
	global_load_dword v39, v[3:4], off offset:2816
	global_load_dword v38, v[3:4], off offset:3072
	;; [unrolled: 1-line block ×4, first 2 shown]
	s_nop 0
	global_load_dword v3, v[3:4], off offset:3840
	;;#ASMSTART
	v_cvt_f32_f16 v40, v40;
	;;#ASMEND
	;;#ASMSTART
	v_cvt_f32_f16 v41, v41;
	;;#ASMEND
	s_waitcnt vmcnt(15)
	v_lshrrev_b32_e32 v4, 16, v34
	v_and_b32_e32 v34, 0xffff, v34
	;;#ASMSTART
	v_cvt_f32_f16 v34, v34;
	;;#ASMEND
	;;#ASMSTART
	v_cvt_f32_f16 v42, v4;
	;;#ASMEND
	ds_read_b32 v4, v13 offset:4
	s_waitcnt vmcnt(14)
	v_and_b32_e32 v43, 0xffff, v33
	v_lshrrev_b32_e32 v44, 16, v33
	s_waitcnt vmcnt(13)
	v_and_b32_e32 v46, 0xffff, v32
	v_lshrrev_b32_e32 v47, 16, v32
	s_waitcnt lgkmcnt(0)
	v_lshrrev_b32_e32 v32, 16, v4
	v_and_b32_e32 v4, 0xffff, v4
	;;#ASMSTART
	v_cvt_f32_f16 v4, v4;
	;;#ASMEND
	;;#ASMSTART
	v_cvt_f32_f16 v32, v32;
	;;#ASMEND
	;; [unrolled: 3-line block ×4, first 2 shown]
	ds_read_b32 v44, v13 offset:8
	s_waitcnt vmcnt(11)
	v_and_b32_e32 v52, 0xffff, v30
	v_lshrrev_b32_e32 v53, 16, v30
	v_and_b32_e32 v50, 0xffff, v31
	s_waitcnt vmcnt(10)
	v_and_b32_e32 v54, 0xffff, v28
	s_waitcnt lgkmcnt(0)
	v_lshrrev_b32_e32 v30, 16, v44
	v_and_b32_e32 v44, 0xffff, v44
	;;#ASMSTART
	v_cvt_f32_f16 v44, v44;
	;;#ASMEND
	;;#ASMSTART
	v_cvt_f32_f16 v45, v30;
	;;#ASMEND
	;; [unrolled: 3-line block ×4, first 2 shown]
	ds_read_b32 v30, v13 offset:12
	v_lshrrev_b32_e32 v55, 16, v28
	v_lshrrev_b32_e32 v31, 16, v31
	s_waitcnt vmcnt(9)
	v_lshrrev_b32_e32 v56, 16, v29
	v_and_b32_e32 v57, 0xffff, v29
	s_waitcnt lgkmcnt(0)
	v_lshrrev_b32_e32 v28, 16, v30
	v_and_b32_e32 v29, 0xffff, v30
	;;#ASMSTART
	v_cvt_f32_f16 v48, v29;
	;;#ASMEND
	;;#ASMSTART
	v_cvt_f32_f16 v49, v28;
	;;#ASMEND
	;; [unrolled: 3-line block ×4, first 2 shown]
	ds_read_b32 v28, v13 offset:16
	s_waitcnt vmcnt(8)
	v_lshrrev_b32_e32 v58, 16, v27
	v_and_b32_e32 v59, 0xffff, v27
	v_mul_f32_e32 v4, v4, v33
	v_mul_f32_e32 v27, v32, v43
	s_waitcnt lgkmcnt(0)
	v_lshrrev_b32_e32 v29, 16, v28
	v_and_b32_e32 v28, 0xffff, v28
	;;#ASMSTART
	v_cvt_f32_f16 v33, v28;
	;;#ASMEND
	;;#ASMSTART
	v_cvt_f32_f16 v28, v29;
	;;#ASMEND
	;; [unrolled: 3-line block ×4, first 2 shown]
	ds_read_b32 v29, v13 offset:20
	s_waitcnt vmcnt(7)
	v_lshrrev_b32_e32 v52, 16, v26
	v_and_b32_e32 v53, 0xffff, v26
	v_fmac_f32_e32 v4, v40, v34
	v_fmac_f32_e32 v27, v41, v42
	s_waitcnt lgkmcnt(0)
	v_lshrrev_b32_e32 v31, 16, v29
	v_and_b32_e32 v26, 0xffff, v29
	;;#ASMSTART
	v_cvt_f32_f16 v26, v26;
	;;#ASMEND
	;;#ASMSTART
	v_cvt_f32_f16 v29, v31;
	;;#ASMEND
	;; [unrolled: 3-line block ×4, first 2 shown]
	ds_read_b32 v34, v13 offset:24
	s_waitcnt vmcnt(6)
	v_lshrrev_b32_e32 v54, 16, v25
	v_and_b32_e32 v55, 0xffff, v25
	s_waitcnt vmcnt(5)
	v_lshrrev_b32_e32 v60, 16, v24
	v_fmac_f32_e32 v4, v44, v46
	s_waitcnt lgkmcnt(0)
	v_lshrrev_b32_e32 v40, 16, v34
	v_and_b32_e32 v25, 0xffff, v34
	;;#ASMSTART
	v_cvt_f32_f16 v25, v25;
	;;#ASMEND
	;;#ASMSTART
	v_cvt_f32_f16 v34, v40;
	;;#ASMEND
	;; [unrolled: 3-line block ×4, first 2 shown]
	ds_read_b32 v42, v13 offset:28
	v_and_b32_e32 v56, 0xffff, v24
	v_fmac_f32_e32 v27, v45, v47
	s_waitcnt vmcnt(4)
	v_lshrrev_b32_e32 v57, 16, v39
	v_fmac_f32_e32 v4, v48, v50
	s_waitcnt lgkmcnt(0)
	v_lshrrev_b32_e32 v44, 16, v42
	v_and_b32_e32 v24, 0xffff, v42
	;;#ASMSTART
	v_cvt_f32_f16 v24, v24;
	;;#ASMEND
	;;#ASMSTART
	v_cvt_f32_f16 v42, v44;
	;;#ASMEND
	;; [unrolled: 3-line block ×4, first 2 shown]
	ds_read_b32 v46, v13 offset:32
	v_and_b32_e32 v50, 0xffff, v39
	s_waitcnt vmcnt(3)
	v_lshrrev_b32_e32 v58, 16, v38
	v_and_b32_e32 v59, 0xffff, v38
	v_fmac_f32_e32 v27, v49, v51
	s_waitcnt lgkmcnt(0)
	v_lshrrev_b32_e32 v39, 16, v46
	v_and_b32_e32 v38, 0xffff, v46
	;;#ASMSTART
	v_cvt_f32_f16 v38, v38;
	;;#ASMEND
	;;#ASMSTART
	v_cvt_f32_f16 v39, v39;
	;;#ASMEND
	;; [unrolled: 3-line block ×4, first 2 shown]
	ds_read_b32 v48, v13 offset:36
	v_fmac_f32_e32 v27, v28, v30
	v_fmac_f32_e32 v4, v33, v43
	s_waitcnt vmcnt(2)
	v_lshrrev_b32_e32 v49, 16, v37
	v_and_b32_e32 v51, 0xffff, v37
	s_waitcnt lgkmcnt(0)
	v_lshrrev_b32_e32 v30, 16, v48
	v_and_b32_e32 v28, 0xffff, v48
	;;#ASMSTART
	v_cvt_f32_f16 v28, v28;
	;;#ASMEND
	;;#ASMSTART
	v_cvt_f32_f16 v30, v30;
	;;#ASMEND
	;; [unrolled: 3-line block ×4, first 2 shown]
	ds_read_b32 v43, v13 offset:40
	v_fmac_f32_e32 v4, v26, v31
	v_fmac_f32_e32 v27, v29, v32
	s_waitcnt vmcnt(1)
	v_lshrrev_b32_e32 v48, 16, v36
	v_and_b32_e32 v52, 0xffff, v36
	s_waitcnt lgkmcnt(0)
	v_lshrrev_b32_e32 v29, 16, v43
	v_and_b32_e32 v26, 0xffff, v43
	;;#ASMSTART
	v_cvt_f32_f16 v26, v26;
	;;#ASMEND
	;;#ASMSTART
	v_cvt_f32_f16 v29, v29;
	;;#ASMEND
	;; [unrolled: 3-line block ×4, first 2 shown]
	ds_read_b32 v36, v13 offset:44
	s_waitcnt vmcnt(0)
	v_lshrrev_b32_e32 v43, 16, v3
	v_and_b32_e32 v53, 0xffff, v3
	v_fmac_f32_e32 v4, v25, v40
	v_fmac_f32_e32 v27, v34, v41
	s_waitcnt lgkmcnt(0)
	v_lshrrev_b32_e32 v25, 16, v36
	v_and_b32_e32 v3, 0xffff, v36
	;;#ASMSTART
	v_cvt_f32_f16 v3, v3;
	;;#ASMEND
	;;#ASMSTART
	v_cvt_f32_f16 v25, v25;
	;;#ASMEND
	;;#ASMSTART
	v_cvt_f32_f16 v34, v50;
	;;#ASMEND
	;;#ASMSTART
	v_cvt_f32_f16 v36, v57;
	;;#ASMEND
	ds_read_b32 v40, v13 offset:48
	v_fmac_f32_e32 v4, v24, v44
	v_fmac_f32_e32 v27, v42, v45
	v_fmac_f32_e32 v4, v38, v46
	v_fmac_f32_e32 v27, v39, v47
	s_waitcnt lgkmcnt(0)
	v_lshrrev_b32_e32 v38, 16, v40
	v_and_b32_e32 v24, 0xffff, v40
	;;#ASMSTART
	v_cvt_f32_f16 v24, v24;
	;;#ASMEND
	;;#ASMSTART
	v_cvt_f32_f16 v38, v38;
	;;#ASMEND
	;;#ASMSTART
	v_cvt_f32_f16 v39, v59;
	;;#ASMEND
	;;#ASMSTART
	v_cvt_f32_f16 v40, v58;
	;;#ASMEND
	ds_read_b32 v41, v13 offset:52
	v_fmac_f32_e32 v4, v28, v33
	v_fmac_f32_e32 v27, v30, v37
	v_fmac_f32_e32 v4, v26, v31
	v_fmac_f32_e32 v27, v29, v32
	s_waitcnt lgkmcnt(0)
	v_lshrrev_b32_e32 v28, 16, v41
	v_and_b32_e32 v26, 0xffff, v41
	;;#ASMSTART
	v_cvt_f32_f16 v26, v26;
	;;#ASMEND
	;;#ASMSTART
	v_cvt_f32_f16 v28, v28;
	;;#ASMEND
	;;#ASMSTART
	v_cvt_f32_f16 v29, v51;
	;;#ASMEND
	;;#ASMSTART
	v_cvt_f32_f16 v30, v49;
	;;#ASMEND
	ds_read_b32 v31, v13 offset:56
	v_fmac_f32_e32 v4, v3, v34
	v_fmac_f32_e32 v4, v24, v39
	v_fmac_f32_e32 v27, v25, v36
	v_fmac_f32_e32 v27, v38, v40
	s_waitcnt lgkmcnt(0)
	v_lshrrev_b32_e32 v24, 16, v31
	v_and_b32_e32 v3, 0xffff, v31
	;;#ASMSTART
	v_cvt_f32_f16 v3, v3;
	;;#ASMEND
	;;#ASMSTART
	v_cvt_f32_f16 v24, v24;
	;;#ASMEND
	;;#ASMSTART
	v_cvt_f32_f16 v25, v52;
	;;#ASMEND
	;;#ASMSTART
	v_cvt_f32_f16 v31, v48;
	;;#ASMEND
	ds_read_b32 v32, v13 offset:60
	v_fmac_f32_e32 v4, v26, v29
	v_fmac_f32_e32 v27, v28, v30
	v_fmac_f32_e32 v4, v3, v25
	v_fmac_f32_e32 v27, v24, v31
	s_waitcnt lgkmcnt(0)
	v_lshrrev_b32_e32 v24, 16, v32
	v_and_b32_e32 v3, 0xffff, v32
	;;#ASMSTART
	v_cvt_f32_f16 v3, v3;
	;;#ASMEND
	;;#ASMSTART
	v_cvt_f32_f16 v24, v24;
	;;#ASMEND
	;; [unrolled: 3-line block ×4, first 2 shown]
	v_fmac_f32_e32 v4, v3, v25
	v_fmac_f32_e32 v27, v24, v26
	v_add_f32_e32 v3, v4, v27
	ds_bpermute_b32 v4, v35, v3
	v_cndmask_b32_e64 v24, v19, v22, s[6:7]
	s_waitcnt lgkmcnt(0)
	v_add_f32_e32 v3, v3, v4
	v_lshlrev_b32_e32 v4, 2, v24
	ds_bpermute_b32 v4, v4, v3
	s_and_saveexec_b64 s[40:41], vcc
	s_cbranch_execz .LBB78_11
; %bb.19:                               ;   in Loop: Header=BB78_13 Depth=1
	v_add_u32_e32 v24, v16, v15
	v_cvt_f32_i32_e32 v24, v24
	s_waitcnt lgkmcnt(0)
	v_add_f32_e32 v3, v3, v4
	v_add_u32_e32 v25, v7, v15
	v_cmp_gt_i32_e64 s[6:7], s21, v25
	v_mul_f32_e32 v4, s44, v24
	v_cndmask_b32_e64 v4, 0, v4, s[4:5]
	v_fmac_f32_e32 v4, s35, v3
	v_cndmask_b32_e64 v3, 0, v4, s[6:7]
	ds_write_b32 v17, v3
	v_max_f32_e32 v3, v12, v12
	v_max_f32_e32 v3, v3, v4
	v_cndmask_b32_e64 v12, v12, v3, s[6:7]
	s_branch .LBB78_11
.LBB78_20:
	s_or_b64 exec, exec, s[38:39]
.LBB78_21:
	s_or_b64 exec, exec, s[36:37]
	v_mbcnt_hi_u32_b32 v1, -1, v6
	v_and_b32_e32 v14, 64, v1
	v_add_u32_e32 v2, 64, v14
	v_xor_b32_e32 v3, 32, v1
	v_cmp_lt_i32_e32 vcc, v3, v2
	v_cndmask_b32_e32 v3, v1, v3, vcc
	v_lshlrev_b32_e32 v3, 2, v3
	s_waitcnt lgkmcnt(0)
	ds_bpermute_b32 v4, v3, v12
	v_xor_b32_e32 v7, 16, v1
	v_max_f32_e32 v6, v12, v12
	v_cmp_lt_i32_e32 vcc, v7, v2
	v_xor_b32_e32 v8, 8, v1
	s_waitcnt lgkmcnt(0)
	v_max_f32_e32 v4, v4, v4
	v_max_f32_e32 v6, v6, v4
	v_cndmask_b32_e32 v4, v1, v7, vcc
	v_lshlrev_b32_e32 v4, 2, v4
	ds_bpermute_b32 v7, v4, v6
	v_cmp_lt_i32_e32 vcc, v8, v2
	v_xor_b32_e32 v11, 4, v1
	s_waitcnt lgkmcnt(0)
	v_max_f32_e32 v7, v7, v7
	v_max_f32_e32 v6, v6, v7
	v_cndmask_b32_e32 v7, v1, v8, vcc
	v_lshlrev_b32_e32 v8, 2, v7
	ds_bpermute_b32 v7, v8, v6
	v_cmp_lt_i32_e32 vcc, v11, v2
	s_waitcnt lgkmcnt(0)
	v_max_f32_e32 v7, v7, v7
	v_max_f32_e32 v7, v6, v7
	v_cndmask_b32_e32 v6, v1, v11, vcc
	v_lshlrev_b32_e32 v13, 2, v6
	ds_bpermute_b32 v12, v13, v7
	v_and_b32_e32 v11, 63, v0
	v_cmp_eq_u32_e32 vcc, 0, v11
	v_lshlrev_b32_e32 v6, 2, v9
	s_and_saveexec_b64 s[4:5], vcc
	s_cbranch_execz .LBB78_23
; %bb.22:
	s_waitcnt lgkmcnt(0)
	v_max_f32_e32 v12, v12, v12
	v_max_f32_e32 v7, v7, v7
	;; [unrolled: 1-line block ×3, first 2 shown]
	ds_write_b32 v6, v7 offset:256
.LBB78_23:
	s_or_b64 exec, exec, s[4:5]
	v_cmp_gt_u32_e64 s[4:5], 2, v11
	v_mov_b32_e32 v15, 0xff7fffff
	v_lshlrev_b32_e32 v7, 2, v11
	s_waitcnt lgkmcnt(0)
	s_barrier
	s_and_saveexec_b64 s[6:7], s[4:5]
; %bb.24:
	ds_read_b32 v15, v7 offset:256
; %bb.25:
	s_or_b64 exec, exec, s[6:7]
	v_xor_b32_e32 v12, 1, v1
	v_cmp_lt_i32_e64 s[6:7], v12, v2
	v_cndmask_b32_e64 v12, v1, v12, s[6:7]
	v_lshlrev_b32_e32 v12, 2, v12
	s_waitcnt lgkmcnt(0)
	ds_bpermute_b32 v16, v12, v15
	v_max_f32_e32 v15, v15, v15
	v_lshlrev_b32_e32 v14, 2, v14
	s_lshl_b32 s6, s43, 4
	s_min_i32 s15, s6, s21
	s_waitcnt lgkmcnt(0)
	v_max_f32_e32 v16, v16, v16
	v_max_f32_e32 v15, v15, v16
	ds_bpermute_b32 v15, v14, v15
	v_cmp_gt_i32_e64 s[6:7], s15, v0
	v_mov_b32_e32 v14, 0
	s_and_saveexec_b64 s[34:35], s[6:7]
	s_cbranch_execz .LBB78_29
; %bb.26:
	v_mov_b32_e32 v14, 0x110
	v_lshl_add_u32 v16, v0, 2, v14
	v_mov_b32_e32 v14, 0
	s_mov_b64 s[36:37], 0
	v_mov_b32_e32 v17, v0
.LBB78_27:                              ; =>This Inner Loop Header: Depth=1
	ds_read_b32 v18, v16
	v_add_u32_e32 v17, 0x80, v17
	v_cmp_le_i32_e64 s[10:11], s15, v17
	s_or_b64 s[36:37], s[10:11], s[36:37]
	s_waitcnt lgkmcnt(0)
	v_sub_f32_e32 v18, v18, v15
	v_mul_f32_e32 v18, 0x3fb8aa3b, v18
	v_exp_f32_e32 v18, v18
	ds_write_b32 v16, v18
	v_add_f32_e32 v14, v14, v18
	v_add_u32_e32 v16, 0x200, v16
	s_andn2_b64 exec, exec, s[36:37]
	s_cbranch_execnz .LBB78_27
; %bb.28:
	s_or_b64 exec, exec, s[36:37]
.LBB78_29:
	s_or_b64 exec, exec, s[34:35]
	ds_bpermute_b32 v3, v3, v14
	s_waitcnt lgkmcnt(0)
	v_add_f32_e32 v3, v14, v3
	ds_bpermute_b32 v4, v4, v3
	s_waitcnt lgkmcnt(0)
	v_add_f32_e32 v3, v3, v4
	ds_bpermute_b32 v4, v8, v3
	v_xor_b32_e32 v8, 2, v1
	v_cmp_lt_i32_e64 s[10:11], v8, v2
	v_cndmask_b32_e64 v2, v1, v8, s[10:11]
	v_lshlrev_b32_e32 v2, 2, v2
	s_waitcnt lgkmcnt(0)
	v_add_f32_e32 v3, v3, v4
	ds_bpermute_b32 v4, v13, v3
	s_waitcnt lgkmcnt(0)
	v_add_f32_e32 v3, v3, v4
	ds_bpermute_b32 v2, v2, v3
	;; [unrolled: 3-line block ×3, first 2 shown]
	s_waitcnt lgkmcnt(0)
	v_add_f32_e32 v2, v2, v3
	s_and_saveexec_b64 s[10:11], vcc
; %bb.30:
	ds_write_b32 v6, v2 offset:264
; %bb.31:
	s_or_b64 exec, exec, s[10:11]
	s_waitcnt lgkmcnt(0)
	s_barrier
	s_and_saveexec_b64 s[10:11], s[4:5]
; %bb.32:
	ds_read_b32 v2, v7 offset:264
; %bb.33:
	s_or_b64 exec, exec, s[10:11]
	s_waitcnt lgkmcnt(0)
	ds_bpermute_b32 v3, v12, v2
	v_lshlrev_b32_e32 v1, 2, v1
	v_and_b32_e32 v1, 0x100, v1
	s_waitcnt lgkmcnt(0)
	v_add_f32_e32 v2, v2, v3
	ds_bpermute_b32 v1, v1, v2
	s_and_saveexec_b64 s[4:5], s[6:7]
	s_cbranch_execz .LBB78_36
; %bb.34:
	s_waitcnt lgkmcnt(0)
	v_add_f32_e32 v2, 0x358637bd, v1
	v_div_scale_f32 v1, s[6:7], v2, v2, 1.0
	v_div_scale_f32 v3, vcc, 1.0, v2, 1.0
	s_mov_b64 s[6:7], 0
	v_rcp_f32_e32 v4, v1
	v_fma_f32 v6, -v1, v4, 1.0
	v_fmac_f32_e32 v4, v6, v4
	v_mul_f32_e32 v6, v3, v4
	v_fma_f32 v7, -v1, v6, v3
	v_fmac_f32_e32 v6, v7, v4
	v_fma_f32 v1, -v1, v6, v3
	v_div_fmas_f32 v3, v1, v4, v6
	v_mov_b32_e32 v1, 0x110
	v_lshl_add_u32 v1, v0, 2, v1
	v_div_fixup_f32 v2, v3, v2, 1.0
	v_mov_b32_e32 v3, v0
.LBB78_35:                              ; =>This Inner Loop Header: Depth=1
	ds_read_b32 v4, v1
	v_add_u32_e32 v3, 0x80, v3
	v_cmp_le_i32_e32 vcc, s15, v3
	s_or_b64 s[6:7], vcc, s[6:7]
	s_waitcnt lgkmcnt(0)
	v_mul_f32_e32 v4, v2, v4
	ds_write_b32 v1, v4
	v_add_u32_e32 v1, 0x200, v1
	s_andn2_b64 exec, exec, s[6:7]
	s_cbranch_execnz .LBB78_35
.LBB78_36:
	s_or_b64 exec, exec, s[4:5]
	v_mov_b32_e32 v17, 0
	v_and_b32_e32 v13, 1, v0
	v_mov_b32_e32 v19, 0
	v_mov_b32_e32 v16, 0
	v_mov_b32_e32 v14, 0
	s_waitcnt lgkmcnt(0)
	s_barrier
	s_and_saveexec_b64 s[4:5], s[2:3]
	s_cbranch_execz .LBB78_50
; %bb.37:
	s_ashr_i32 s15, s14, 31
	s_sub_i32 s17, s12, s17
	s_lshl_b64 s[2:3], s[14:15], 1
	s_add_u32 s2, s30, s2
	s_addc_u32 s3, s31, s3
	s_abs_i32 s14, s18
	v_cvt_f32_u32_e32 v1, s14
	v_lshlrev_b32_e32 v2, 3, v0
	s_sub_i32 s6, 0, s14
	v_and_b32_e32 v18, 8, v2
	v_rcp_iflag_f32_e32 v1, v1
	v_lshlrev_b32_e32 v3, 4, v0
	v_and_b32_e32 v3, 0x3f0, v3
	s_add_i32 s18, s43, -1
	v_mul_f32_e32 v1, 0x4f7ffffe, v1
	v_cvt_u32_f32_e32 v1, v1
	v_mov_b32_e32 v4, s3
	v_add_co_u32_e32 v20, vcc, s2, v3
	v_mul_lo_u32 v2, s6, v1
	s_lshl_b64 s[2:3], s[28:29], 2
	v_addc_co_u32_e32 v21, vcc, 0, v4, vcc
	v_mul_hi_u32 v2, v1, v2
	s_add_u32 s2, s26, s2
	s_addc_u32 s3, s27, s3
	s_mov_b32 s15, s13
	v_add_u32_e32 v22, v1, v2
	v_and_b32_e32 v1, 60, v5
	v_add_co_u32_e32 v5, vcc, s2, v1
	v_lshlrev_b32_e32 v1, 5, v13
	v_mov_b32_e32 v2, s3
	v_lshl_or_b32 v1, v9, 6, v1
	v_mov_b32_e32 v15, 0
	v_addc_co_u32_e32 v6, vcc, 0, v2, vcc
	v_add_u32_e32 v23, 0x110, v1
	s_mov_b64 s[6:7], 0
	s_mov_b32 s26, 0xffff
	v_mov_b32_e32 v14, 0
	v_mov_b32_e32 v16, 0
	v_mov_b32_e32 v19, 0
	v_mov_b32_e32 v17, 0
	s_branch .LBB78_40
.LBB78_38:                              ;   in Loop: Header=BB78_40 Depth=1
	s_or_b64 exec, exec, s[12:13]
	v_add_f32_e32 v24, v40, v41
	v_add_f32_e32 v16, v16, v24
	;; [unrolled: 1-line block ×6, first 2 shown]
	v_lshlrev_b32_e32 v24, 16, v42
	v_and_or_b32 v1, v1, s26, v24
	v_lshlrev_b32_e32 v8, 16, v8
	v_lshlrev_b32_e32 v7, 16, v7
	v_and_or_b32 v2, v2, s26, v8
	v_and_or_b32 v3, v3, s26, v7
	;;#ASMSTART
	v_pk_mul_f16 v1, v33, v1;

	;;#ASMEND
	;;#ASMSTART
	v_pk_mul_f16 v2, v34, v2;

	;;#ASMEND
	;; [unrolled: 4-line block ×4, first 2 shown]
	;;#ASMSTART
	v_pk_add_f16 v1, v1, v2;

	;;#ASMEND
	;;#ASMSTART
	v_pk_add_f16 v1, v1, v3;

	;;#ASMEND
	;;#ASMSTART
	v_pk_add_f16 v1, v1, v4;

	;;#ASMEND
	v_lshrrev_b32_e32 v2, 16, v1
	v_and_b32_e32 v1, 0xffff, v1
	;;#ASMSTART
	v_cvt_f32_f16 v1, v1;
	;;#ASMEND
	;;#ASMSTART
	v_cvt_f32_f16 v2, v2;
	;;#ASMEND
	v_add_f32_e32 v1, v1, v2
	v_add_f32_e32 v14, v14, v1
.LBB78_39:                              ;   in Loop: Header=BB78_40 Depth=1
	s_or_b64 exec, exec, s[10:11]
	v_add_co_u32_e32 v5, vcc, 8, v5
	v_add_u32_e32 v9, 2, v9
	v_addc_co_u32_e32 v6, vcc, 0, v6, vcc
	v_cmp_le_i32_e32 vcc, s43, v9
	v_add_u32_e32 v10, 32, v10
	s_or_b64 s[6:7], vcc, s[6:7]
	v_add_u32_e32 v23, 0x80, v23
	s_andn2_b64 exec, exec, s[6:7]
	s_cbranch_execz .LBB78_49
.LBB78_40:                              ; =>This Inner Loop Header: Depth=1
	v_mul_hi_u32 v1, v10, s33
	v_mul_lo_u32 v2, v1, s23
	v_add_u32_e32 v3, 1, v1
	v_sub_u32_e32 v2, v10, v2
	v_cmp_le_u32_e32 vcc, s23, v2
	v_cndmask_b32_e32 v1, v1, v3, vcc
	v_subrev_u32_e32 v3, s23, v2
	v_cndmask_b32_e32 v2, v2, v3, vcc
	v_add_u32_e32 v3, 1, v1
	v_cmp_le_u32_e32 vcc, s23, v2
	v_cndmask_b32_e32 v1, v1, v3, vcc
	v_xor_b32_e32 v1, s19, v1
	v_subrev_u32_e32 v1, s19, v1
	v_add_u32_e32 v2, s42, v1
	v_sub_u32_e32 v3, 0, v2
	v_max_i32_e32 v3, v2, v3
	v_mul_hi_u32 v4, v3, v22
	v_ashrrev_i32_e32 v2, 31, v2
	v_cmp_lt_i32_e64 s[2:3], s17, v1
	v_mul_lo_u32 v4, v4, s14
	v_sub_u32_e32 v3, v3, v4
	v_subrev_u32_e32 v4, s14, v3
	v_cmp_le_u32_e32 vcc, s14, v3
	v_cndmask_b32_e32 v3, v3, v4, vcc
	v_subrev_u32_e32 v4, s14, v3
	v_cmp_le_u32_e32 vcc, s14, v3
	v_cndmask_b32_e32 v3, v3, v4, vcc
	v_xor_b32_e32 v3, v3, v2
	v_sub_u32_e32 v2, v3, v2
	v_cmp_eq_u32_e32 vcc, 0, v2
	s_or_b64 s[2:3], vcc, s[2:3]
	s_and_saveexec_b64 s[10:11], s[2:3]
	s_cbranch_execz .LBB78_39
; %bb.41:                               ;   in Loop: Header=BB78_40 Depth=1
	global_load_dword v7, v[5:6], off
	ds_read2_b64 v[1:4], v23 offset1:1
	ds_read2_b64 v[24:27], v23 offset0:2 offset1:3
	s_waitcnt lgkmcnt(1)
	;;#ASMSTART
	v_cvt_f16_f32 v32, v1;

	;;#ASMEND
	;;#ASMSTART
	v_cvt_f16_f32 v33, v2;

	;;#ASMEND
	;;#ASMSTART
	v_cvt_f16_f32 v34, v3;

	;;#ASMEND
	;;#ASMSTART
	v_cvt_f16_f32 v35, v4;

	;;#ASMEND
	s_waitcnt lgkmcnt(0)
	;;#ASMSTART
	v_cvt_f16_f32 v36, v24;

	;;#ASMEND
	;;#ASMSTART
	v_cvt_f16_f32 v37, v25;

	;;#ASMEND
	;; [unrolled: 4-line block ×4, first 2 shown]
	v_add_u32_e32 v24, v18, v10
	v_add_u32_e32 v31, 1, v24
	;; [unrolled: 1-line block ×8, first 2 shown]
	s_waitcnt vmcnt(0)
	v_mad_i64_i32 v[1:2], s[2:3], v7, s15, 0
	v_cmp_eq_u32_e64 s[2:3], s18, v9
	v_lshlrev_b64 v[1:2], 1, v[1:2]
	v_add_co_u32_e32 v7, vcc, v20, v1
	v_addc_co_u32_e32 v8, vcc, v21, v2, vcc
	global_load_dwordx4 v[1:4], v[7:8], off
	s_waitcnt vmcnt(0)
	v_lshrrev_b32_e32 v42, 16, v1
	v_lshrrev_b32_e32 v41, 16, v2
	;; [unrolled: 1-line block ×3, first 2 shown]
	s_and_saveexec_b64 s[12:13], s[2:3]
	s_cbranch_execz .LBB78_43
; %bb.42:                               ;   in Loop: Header=BB78_40 Depth=1
	v_cmp_gt_i32_e32 vcc, s21, v24
	v_cndmask_b32_e32 v1, 0, v1, vcc
	v_cmp_gt_i32_e32 vcc, s21, v31
	v_cndmask_b32_e32 v42, 0, v42, vcc
	;; [unrolled: 2-line block ×6, first 2 shown]
	v_cmp_gt_i32_e32 vcc, s21, v26
	v_cndmask_b32_sdwa v43, v15, v4, vcc dst_sel:DWORD dst_unused:UNUSED_PAD src0_sel:DWORD src1_sel:WORD_0
	v_and_b32_e32 v4, 0xffff0000, v4
	v_cmp_gt_i32_e32 vcc, s21, v25
	v_cndmask_b32_e32 v4, 0, v4, vcc
	v_or_b32_e32 v4, v43, v4
.LBB78_43:                              ;   in Loop: Header=BB78_40 Depth=1
	s_or_b64 exec, exec, s[12:13]
	v_and_b32_e32 v32, 0xffff, v32
	v_lshl_or_b32 v33, v33, 16, v32
	v_and_b32_e32 v32, 0xffff, v34
	v_lshl_or_b32 v34, v35, 16, v32
	v_and_b32_e32 v32, 0xffff, v36
	v_lshlrev_b32_e32 v36, 16, v42
	v_and_or_b32 v1, v1, s26, v36
	v_lshlrev_b32_e32 v36, 16, v41
	v_and_or_b32 v2, v2, s26, v36
	v_lshlrev_b32_e32 v36, 16, v40
	v_lshl_or_b32 v35, v37, 16, v32
	v_and_b32_e32 v32, 0xffff, v38
	v_and_or_b32 v3, v3, s26, v36
	;;#ASMSTART
	v_pk_mul_f16 v1, v33, v1;

	;;#ASMEND
	v_lshl_or_b32 v32, v39, 16, v32
	;;#ASMSTART
	v_pk_mul_f16 v2, v34, v2;

	;;#ASMEND
	;;#ASMSTART
	v_pk_mul_f16 v3, v35, v3;

	;;#ASMEND
	;; [unrolled: 4-line block ×3, first 2 shown]
	;;#ASMSTART
	v_pk_add_f16 v1, v1, v2;

	;;#ASMEND
	;;#ASMSTART
	v_pk_add_f16 v1, v1, v3;

	;;#ASMEND
	;; [unrolled: 4-line block ×3, first 2 shown]
	v_lshrrev_b32_e32 v2, 16, v1
	v_and_b32_e32 v1, 0xffff, v1
	;;#ASMSTART
	v_cvt_f32_f16 v36, v1;
	;;#ASMEND
	;;#ASMSTART
	v_cvt_f32_f16 v37, v2;
	;;#ASMEND
	global_load_dwordx4 v[1:4], v[7:8], off offset:1024
	s_waitcnt vmcnt(0)
	v_lshrrev_b32_e32 v40, 16, v1
	v_lshrrev_b32_e32 v39, 16, v2
	;; [unrolled: 1-line block ×3, first 2 shown]
	s_and_saveexec_b64 s[12:13], s[2:3]
	s_cbranch_execz .LBB78_45
; %bb.44:                               ;   in Loop: Header=BB78_40 Depth=1
	v_cmp_gt_i32_e32 vcc, s21, v24
	v_cndmask_b32_e32 v1, 0, v1, vcc
	v_cmp_gt_i32_e32 vcc, s21, v31
	v_cndmask_b32_e32 v40, 0, v40, vcc
	;; [unrolled: 2-line block ×6, first 2 shown]
	v_cmp_gt_i32_e32 vcc, s21, v26
	v_cndmask_b32_sdwa v41, v15, v4, vcc dst_sel:DWORD dst_unused:UNUSED_PAD src0_sel:DWORD src1_sel:WORD_0
	v_and_b32_e32 v4, 0xffff0000, v4
	v_cmp_gt_i32_e32 vcc, s21, v25
	v_cndmask_b32_e32 v4, 0, v4, vcc
	v_or_b32_e32 v4, v41, v4
.LBB78_45:                              ;   in Loop: Header=BB78_40 Depth=1
	s_or_b64 exec, exec, s[12:13]
	v_lshlrev_b32_e32 v40, 16, v40
	v_and_or_b32 v1, v1, s26, v40
	v_lshlrev_b32_e32 v39, 16, v39
	v_lshlrev_b32_e32 v38, 16, v38
	v_and_or_b32 v2, v2, s26, v39
	v_and_or_b32 v3, v3, s26, v38
	;;#ASMSTART
	v_pk_mul_f16 v1, v33, v1;

	;;#ASMEND
	;;#ASMSTART
	v_pk_mul_f16 v2, v34, v2;

	;;#ASMEND
	;; [unrolled: 4-line block ×4, first 2 shown]
	;;#ASMSTART
	v_pk_add_f16 v1, v1, v2;

	;;#ASMEND
	;;#ASMSTART
	v_pk_add_f16 v1, v1, v3;

	;;#ASMEND
	;; [unrolled: 4-line block ×3, first 2 shown]
	v_lshrrev_b32_e32 v2, 16, v1
	v_and_b32_e32 v1, 0xffff, v1
	;;#ASMSTART
	v_cvt_f32_f16 v38, v1;
	;;#ASMEND
	;;#ASMSTART
	v_cvt_f32_f16 v39, v2;
	;;#ASMEND
	global_load_dwordx4 v[1:4], v[7:8], off offset:2048
	s_waitcnt vmcnt(0)
	v_lshrrev_b32_e32 v42, 16, v1
	v_lshrrev_b32_e32 v41, 16, v2
	;; [unrolled: 1-line block ×3, first 2 shown]
	s_and_saveexec_b64 s[12:13], s[2:3]
	s_cbranch_execz .LBB78_47
; %bb.46:                               ;   in Loop: Header=BB78_40 Depth=1
	v_cmp_gt_i32_e32 vcc, s21, v24
	v_cndmask_b32_e32 v1, 0, v1, vcc
	v_cmp_gt_i32_e32 vcc, s21, v31
	v_cndmask_b32_e32 v42, 0, v42, vcc
	;; [unrolled: 2-line block ×6, first 2 shown]
	v_cmp_gt_i32_e32 vcc, s21, v26
	v_cndmask_b32_sdwa v43, v15, v4, vcc dst_sel:DWORD dst_unused:UNUSED_PAD src0_sel:DWORD src1_sel:WORD_0
	v_and_b32_e32 v4, 0xffff0000, v4
	v_cmp_gt_i32_e32 vcc, s21, v25
	v_cndmask_b32_e32 v4, 0, v4, vcc
	v_or_b32_e32 v4, v43, v4
.LBB78_47:                              ;   in Loop: Header=BB78_40 Depth=1
	s_or_b64 exec, exec, s[12:13]
	v_lshlrev_b32_e32 v42, 16, v42
	v_and_or_b32 v1, v1, s26, v42
	v_lshlrev_b32_e32 v41, 16, v41
	v_lshlrev_b32_e32 v40, 16, v40
	v_and_or_b32 v2, v2, s26, v41
	v_and_or_b32 v3, v3, s26, v40
	;;#ASMSTART
	v_pk_mul_f16 v1, v33, v1;

	;;#ASMEND
	;;#ASMSTART
	v_pk_mul_f16 v2, v34, v2;

	;;#ASMEND
	;; [unrolled: 4-line block ×4, first 2 shown]
	;;#ASMSTART
	v_pk_add_f16 v1, v1, v2;

	;;#ASMEND
	;;#ASMSTART
	v_pk_add_f16 v1, v1, v3;

	;;#ASMEND
	;; [unrolled: 4-line block ×3, first 2 shown]
	v_lshrrev_b32_e32 v2, 16, v1
	v_and_b32_e32 v1, 0xffff, v1
	;;#ASMSTART
	v_cvt_f32_f16 v40, v1;
	;;#ASMEND
	;;#ASMSTART
	v_cvt_f32_f16 v41, v2;
	;;#ASMEND
	global_load_dwordx4 v[1:4], v[7:8], off offset:3072
	s_waitcnt vmcnt(0)
	v_lshrrev_b32_e32 v42, 16, v1
	v_lshrrev_b32_e32 v8, 16, v2
	;; [unrolled: 1-line block ×3, first 2 shown]
	s_and_saveexec_b64 s[12:13], s[2:3]
	s_cbranch_execz .LBB78_38
; %bb.48:                               ;   in Loop: Header=BB78_40 Depth=1
	v_cmp_gt_i32_e32 vcc, s21, v24
	v_cndmask_b32_e32 v1, 0, v1, vcc
	v_cmp_gt_i32_e32 vcc, s21, v31
	v_cndmask_b32_e32 v42, 0, v42, vcc
	;; [unrolled: 2-line block ×6, first 2 shown]
	v_cmp_gt_i32_e32 vcc, s21, v26
	v_cndmask_b32_sdwa v24, v15, v4, vcc dst_sel:DWORD dst_unused:UNUSED_PAD src0_sel:DWORD src1_sel:WORD_0
	v_and_b32_e32 v4, 0xffff0000, v4
	v_cmp_gt_i32_e32 vcc, s21, v25
	v_cndmask_b32_e32 v4, 0, v4, vcc
	v_or_b32_e32 v4, v24, v4
	s_branch .LBB78_38
.LBB78_49:
	s_or_b64 exec, exec, s[6:7]
.LBB78_50:
	s_or_b64 exec, exec, s[4:5]
	ds_bpermute_b32 v2, v12, v19
	ds_bpermute_b32 v5, v12, v16
	;; [unrolled: 1-line block ×4, first 2 shown]
	s_waitcnt lgkmcnt(0)
	v_add_f32_e32 v3, v19, v2
	v_add_f32_e32 v2, v16, v5
	v_and_b32_e32 v5, 0x3c1, v0
	v_add_f32_e32 v4, v17, v1
	v_add_f32_e32 v1, v14, v6
	v_cmp_eq_u32_e32 vcc, 64, v5
	s_barrier
	s_and_saveexec_b64 s[2:3], vcc
	s_cbranch_execz .LBB78_52
; %bb.51:
	v_mov_b32_e32 v6, 0x110
	v_lshl_add_u32 v6, v11, 1, v6
	ds_write2_b32 v6, v4, v3 offset1:32
	ds_write2_b32 v6, v2, v1 offset0:64 offset1:96
.LBB78_52:
	s_or_b64 exec, exec, s[2:3]
	v_lshrrev_b32_e32 v0, 1, v0
	s_waitcnt lgkmcnt(0)
	s_barrier
	s_and_saveexec_b64 s[2:3], s[0:1]
	s_cbranch_execz .LBB78_59
; %bb.53:
	v_mov_b32_e32 v6, 0x110
	v_cmp_eq_u32_e32 vcc, 0, v13
	v_lshl_add_u32 v6, v0, 2, v6
	s_and_saveexec_b64 s[0:1], vcc
	s_cbranch_execnz .LBB78_62
; %bb.54:
	s_or_b64 exec, exec, s[0:1]
	s_and_saveexec_b64 s[0:1], vcc
	s_cbranch_execnz .LBB78_63
.LBB78_55:
	s_or_b64 exec, exec, s[0:1]
	s_and_saveexec_b64 s[0:1], vcc
	s_cbranch_execnz .LBB78_64
.LBB78_56:
	s_or_b64 exec, exec, s[0:1]
	s_and_saveexec_b64 s[0:1], vcc
	s_cbranch_execz .LBB78_58
.LBB78_57:
	ds_read_b32 v6, v6 offset:384
	s_waitcnt lgkmcnt(0)
	v_add_f32_e32 v1, v1, v6
.LBB78_58:
	s_or_b64 exec, exec, s[0:1]
.LBB78_59:
	s_or_b64 exec, exec, s[2:3]
	v_cmp_eq_u32_e32 vcc, 0, v5
	s_barrier
	s_and_saveexec_b64 s[0:1], vcc
	s_cbranch_execz .LBB78_61
; %bb.60:
	s_mul_i32 s0, s20, s16
	s_mul_i32 s0, s0, s9
	s_lshl_b32 s0, s0, 7
	s_ashr_i32 s1, s0, 31
	s_lshl_b64 s[0:1], s[0:1], 1
	s_add_u32 s2, s24, s0
	s_mul_i32 s0, s16, s22
	s_addc_u32 s3, s25, s1
	s_ashr_i32 s1, s0, 31
	s_lshl_b64 s[0:1], s[0:1], 1
	s_add_u32 s2, s2, s0
	s_addc_u32 s3, s3, s1
	s_lshl_b32 s0, s8, 7
	s_ashr_i32 s1, s0, 31
	s_lshl_b64 s[0:1], s[0:1], 1
	s_add_u32 s0, s2, s0
	s_addc_u32 s1, s3, s1
	v_lshlrev_b32_e32 v0, 1, v0
	;;#ASMSTART
	v_cvt_f16_f32 v4, v4;

	;;#ASMEND
	global_store_short v0, v4, s[0:1]
	;;#ASMSTART
	v_cvt_f16_f32 v3, v3;

	;;#ASMEND
	global_store_short v0, v3, s[0:1] offset:64
	;;#ASMSTART
	v_cvt_f16_f32 v2, v2;

	;;#ASMEND
	global_store_short v0, v2, s[0:1] offset:128
	;;#ASMSTART
	v_cvt_f16_f32 v1, v1;

	;;#ASMEND
	global_store_short v0, v1, s[0:1] offset:192
.LBB78_61:
	s_endpgm
.LBB78_62:
	ds_read_b32 v7, v6
	s_waitcnt lgkmcnt(0)
	v_add_f32_e32 v4, v4, v7
	s_or_b64 exec, exec, s[0:1]
	s_and_saveexec_b64 s[0:1], vcc
	s_cbranch_execz .LBB78_55
.LBB78_63:
	ds_read_b32 v7, v6 offset:128
	s_waitcnt lgkmcnt(0)
	v_add_f32_e32 v3, v3, v7
	s_or_b64 exec, exec, s[0:1]
	s_and_saveexec_b64 s[0:1], vcc
	s_cbranch_execz .LBB78_56
.LBB78_64:
	ds_read_b32 v7, v6 offset:256
	s_waitcnt lgkmcnt(0)
	v_add_f32_e32 v2, v2, v7
	s_or_b64 exec, exec, s[0:1]
	s_and_saveexec_b64 s[0:1], vcc
	s_cbranch_execnz .LBB78_57
	s_branch .LBB78_58
	.section	.rodata,"a",@progbits
	.p2align	6, 0x0
	.amdhsa_kernel _ZN4vllm25paged_attention_v1_kernelIttLi128ELi16ELi128ELNS_18Fp8KVCacheDataTypeE0ELb1EEEvPT_PKS2_PKT0_S8_ifPKiSA_iPKfiiiSC_SC_iiiii
		.amdhsa_group_segment_fixed_size 272
		.amdhsa_private_segment_fixed_size 0
		.amdhsa_kernarg_size 384
		.amdhsa_user_sgpr_count 6
		.amdhsa_user_sgpr_private_segment_buffer 1
		.amdhsa_user_sgpr_dispatch_ptr 0
		.amdhsa_user_sgpr_queue_ptr 0
		.amdhsa_user_sgpr_kernarg_segment_ptr 1
		.amdhsa_user_sgpr_dispatch_id 0
		.amdhsa_user_sgpr_flat_scratch_init 0
		.amdhsa_user_sgpr_private_segment_size 0
		.amdhsa_uses_dynamic_stack 0
		.amdhsa_system_sgpr_private_segment_wavefront_offset 0
		.amdhsa_system_sgpr_workgroup_id_x 1
		.amdhsa_system_sgpr_workgroup_id_y 1
		.amdhsa_system_sgpr_workgroup_id_z 1
		.amdhsa_system_sgpr_workgroup_info 0
		.amdhsa_system_vgpr_workitem_id 0
		.amdhsa_next_free_vgpr 61
		.amdhsa_next_free_sgpr 46
		.amdhsa_reserve_vcc 1
		.amdhsa_reserve_flat_scratch 0
		.amdhsa_float_round_mode_32 0
		.amdhsa_float_round_mode_16_64 0
		.amdhsa_float_denorm_mode_32 3
		.amdhsa_float_denorm_mode_16_64 3
		.amdhsa_dx10_clamp 1
		.amdhsa_ieee_mode 1
		.amdhsa_fp16_overflow 0
		.amdhsa_exception_fp_ieee_invalid_op 0
		.amdhsa_exception_fp_denorm_src 0
		.amdhsa_exception_fp_ieee_div_zero 0
		.amdhsa_exception_fp_ieee_overflow 0
		.amdhsa_exception_fp_ieee_underflow 0
		.amdhsa_exception_fp_ieee_inexact 0
		.amdhsa_exception_int_div_zero 0
	.end_amdhsa_kernel
	.section	.text._ZN4vllm25paged_attention_v1_kernelIttLi128ELi16ELi128ELNS_18Fp8KVCacheDataTypeE0ELb1EEEvPT_PKS2_PKT0_S8_ifPKiSA_iPKfiiiSC_SC_iiiii,"axG",@progbits,_ZN4vllm25paged_attention_v1_kernelIttLi128ELi16ELi128ELNS_18Fp8KVCacheDataTypeE0ELb1EEEvPT_PKS2_PKT0_S8_ifPKiSA_iPKfiiiSC_SC_iiiii,comdat
.Lfunc_end78:
	.size	_ZN4vllm25paged_attention_v1_kernelIttLi128ELi16ELi128ELNS_18Fp8KVCacheDataTypeE0ELb1EEEvPT_PKS2_PKT0_S8_ifPKiSA_iPKfiiiSC_SC_iiiii, .Lfunc_end78-_ZN4vllm25paged_attention_v1_kernelIttLi128ELi16ELi128ELNS_18Fp8KVCacheDataTypeE0ELb1EEEvPT_PKS2_PKT0_S8_ifPKiSA_iPKfiiiSC_SC_iiiii
                                        ; -- End function
	.set _ZN4vllm25paged_attention_v1_kernelIttLi128ELi16ELi128ELNS_18Fp8KVCacheDataTypeE0ELb1EEEvPT_PKS2_PKT0_S8_ifPKiSA_iPKfiiiSC_SC_iiiii.num_vgpr, 61
	.set _ZN4vllm25paged_attention_v1_kernelIttLi128ELi16ELi128ELNS_18Fp8KVCacheDataTypeE0ELb1EEEvPT_PKS2_PKT0_S8_ifPKiSA_iPKfiiiSC_SC_iiiii.num_agpr, 0
	.set _ZN4vllm25paged_attention_v1_kernelIttLi128ELi16ELi128ELNS_18Fp8KVCacheDataTypeE0ELb1EEEvPT_PKS2_PKT0_S8_ifPKiSA_iPKfiiiSC_SC_iiiii.numbered_sgpr, 46
	.set _ZN4vllm25paged_attention_v1_kernelIttLi128ELi16ELi128ELNS_18Fp8KVCacheDataTypeE0ELb1EEEvPT_PKS2_PKT0_S8_ifPKiSA_iPKfiiiSC_SC_iiiii.num_named_barrier, 0
	.set _ZN4vllm25paged_attention_v1_kernelIttLi128ELi16ELi128ELNS_18Fp8KVCacheDataTypeE0ELb1EEEvPT_PKS2_PKT0_S8_ifPKiSA_iPKfiiiSC_SC_iiiii.private_seg_size, 0
	.set _ZN4vllm25paged_attention_v1_kernelIttLi128ELi16ELi128ELNS_18Fp8KVCacheDataTypeE0ELb1EEEvPT_PKS2_PKT0_S8_ifPKiSA_iPKfiiiSC_SC_iiiii.uses_vcc, 1
	.set _ZN4vllm25paged_attention_v1_kernelIttLi128ELi16ELi128ELNS_18Fp8KVCacheDataTypeE0ELb1EEEvPT_PKS2_PKT0_S8_ifPKiSA_iPKfiiiSC_SC_iiiii.uses_flat_scratch, 0
	.set _ZN4vllm25paged_attention_v1_kernelIttLi128ELi16ELi128ELNS_18Fp8KVCacheDataTypeE0ELb1EEEvPT_PKS2_PKT0_S8_ifPKiSA_iPKfiiiSC_SC_iiiii.has_dyn_sized_stack, 0
	.set _ZN4vllm25paged_attention_v1_kernelIttLi128ELi16ELi128ELNS_18Fp8KVCacheDataTypeE0ELb1EEEvPT_PKS2_PKT0_S8_ifPKiSA_iPKfiiiSC_SC_iiiii.has_recursion, 0
	.set _ZN4vllm25paged_attention_v1_kernelIttLi128ELi16ELi128ELNS_18Fp8KVCacheDataTypeE0ELb1EEEvPT_PKS2_PKT0_S8_ifPKiSA_iPKfiiiSC_SC_iiiii.has_indirect_call, 0
	.section	.AMDGPU.csdata,"",@progbits
; Kernel info:
; codeLenInByte = 5876
; TotalNumSgprs: 50
; NumVgprs: 61
; ScratchSize: 0
; MemoryBound: 0
; FloatMode: 240
; IeeeMode: 1
; LDSByteSize: 272 bytes/workgroup (compile time only)
; SGPRBlocks: 6
; VGPRBlocks: 15
; NumSGPRsForWavesPerEU: 50
; NumVGPRsForWavesPerEU: 61
; Occupancy: 4
; WaveLimiterHint : 1
; COMPUTE_PGM_RSRC2:SCRATCH_EN: 0
; COMPUTE_PGM_RSRC2:USER_SGPR: 6
; COMPUTE_PGM_RSRC2:TRAP_HANDLER: 0
; COMPUTE_PGM_RSRC2:TGID_X_EN: 1
; COMPUTE_PGM_RSRC2:TGID_Y_EN: 1
; COMPUTE_PGM_RSRC2:TGID_Z_EN: 1
; COMPUTE_PGM_RSRC2:TIDIG_COMP_CNT: 0
	.section	.text._ZN4vllm25paged_attention_v1_kernelIttLi192ELi16ELi128ELNS_18Fp8KVCacheDataTypeE0ELb1EEEvPT_PKS2_PKT0_S8_ifPKiSA_iPKfiiiSC_SC_iiiii,"axG",@progbits,_ZN4vllm25paged_attention_v1_kernelIttLi192ELi16ELi128ELNS_18Fp8KVCacheDataTypeE0ELb1EEEvPT_PKS2_PKT0_S8_ifPKiSA_iPKfiiiSC_SC_iiiii,comdat
	.protected	_ZN4vllm25paged_attention_v1_kernelIttLi192ELi16ELi128ELNS_18Fp8KVCacheDataTypeE0ELb1EEEvPT_PKS2_PKT0_S8_ifPKiSA_iPKfiiiSC_SC_iiiii ; -- Begin function _ZN4vllm25paged_attention_v1_kernelIttLi192ELi16ELi128ELNS_18Fp8KVCacheDataTypeE0ELb1EEEvPT_PKS2_PKT0_S8_ifPKiSA_iPKfiiiSC_SC_iiiii
	.globl	_ZN4vllm25paged_attention_v1_kernelIttLi192ELi16ELi128ELNS_18Fp8KVCacheDataTypeE0ELb1EEEvPT_PKS2_PKT0_S8_ifPKiSA_iPKfiiiSC_SC_iiiii
	.p2align	8
	.type	_ZN4vllm25paged_attention_v1_kernelIttLi192ELi16ELi128ELNS_18Fp8KVCacheDataTypeE0ELb1EEEvPT_PKS2_PKT0_S8_ifPKiSA_iPKfiiiSC_SC_iiiii,@function
_ZN4vllm25paged_attention_v1_kernelIttLi192ELi16ELi128ELNS_18Fp8KVCacheDataTypeE0ELb1EEEvPT_PKS2_PKT0_S8_ifPKiSA_iPKfiiiSC_SC_iiiii: ; @_ZN4vllm25paged_attention_v1_kernelIttLi192ELi16ELi128ELNS_18Fp8KVCacheDataTypeE0ELb1EEEvPT_PKS2_PKT0_S8_ifPKiSA_iPKfiiiSC_SC_iiiii
; %bb.0:
	s_load_dword s9, s[4:5], 0x80
	s_load_dwordx2 s[0:1], s[4:5], 0x30
	s_load_dwordx2 s[30:31], s[4:5], 0x20
	s_mov_b32 s10, s7
	s_ashr_i32 s11, s7, 31
	s_lshl_b64 s[2:3], s[10:11], 2
	s_waitcnt lgkmcnt(0)
	s_add_u32 s0, s0, s2
	s_addc_u32 s1, s1, s3
	s_abs_i32 s2, s30
	v_cvt_f32_u32_e32 v1, s2
	s_sub_i32 s11, 0, s2
	s_abs_i32 s7, s9
	s_xor_b32 s3, s9, s30
	v_rcp_iflag_f32_e32 v1, v1
	s_ashr_i32 s3, s3, 31
	s_mov_b32 s42, 0
	v_mul_f32_e32 v1, 0x4f7ffffe, v1
	v_cvt_u32_f32_e32 v1, v1
	v_readfirstlane_b32 s12, v1
	s_mul_i32 s11, s11, s12
	s_mul_hi_u32 s11, s12, s11
	s_add_i32 s12, s12, s11
	s_mul_hi_u32 s11, s7, s12
	s_mul_i32 s12, s11, s2
	s_sub_i32 s7, s7, s12
	s_add_i32 s12, s11, 1
	s_sub_i32 s13, s7, s2
	s_cmp_ge_u32 s7, s2
	s_cselect_b32 s11, s12, s11
	s_cselect_b32 s7, s13, s7
	s_add_i32 s12, s11, 1
	s_cmp_ge_u32 s7, s2
	s_cselect_b32 s2, s12, s11
	s_xor_b32 s2, s2, s3
	s_sub_i32 s12, s2, s3
	s_abs_i32 s11, s12
	v_cvt_f32_u32_e32 v1, s11
	s_load_dwordx2 s[2:3], s[4:5], 0x40
	s_sub_i32 s7, 0, s11
	s_abs_i32 s22, s6
	v_rcp_iflag_f32_e32 v1, v1
	v_mul_f32_e32 v1, 0x4f7ffffe, v1
	v_cvt_u32_f32_e32 v1, v1
	v_readfirstlane_b32 s13, v1
	s_mul_i32 s7, s7, s13
	s_mul_hi_u32 s7, s13, s7
	s_add_i32 s13, s13, s7
	s_waitcnt lgkmcnt(0)
	s_cmp_eq_u64 s[2:3], 0
	s_mul_hi_u32 s23, s22, s13
	s_cbranch_scc1 .LBB79_2
; %bb.1:
	s_ashr_i32 s7, s6, 31
	s_lshl_b64 s[14:15], s[6:7], 2
	s_add_u32 s2, s2, s14
	s_addc_u32 s3, s3, s15
	s_load_dword s42, s[2:3], 0x0
.LBB79_2:
	s_load_dword s33, s[0:1], 0x0
	s_ashr_i32 s7, s12, 31
	s_load_dwordx4 s[12:15], s[4:5], 0x48
	s_movk_i32 s3, 0x60
	s_ashr_i32 s2, s6, 31
	v_and_b32_e32 v1, 3, v0
	s_mul_i32 s20, s6, 0xc0
	v_cmp_gt_u32_e32 vcc, s3, v0
	v_lshlrev_b32_e32 v2, 2, v0
	s_and_saveexec_b64 s[0:1], vcc
	s_cbranch_execz .LBB79_4
; %bb.3:
	s_load_dwordx2 s[16:17], s[4:5], 0x8
	s_waitcnt lgkmcnt(0)
	s_mul_i32 s18, s12, s10
	s_ashr_i32 s19, s18, 31
	s_lshl_b64 s[18:19], s[18:19], 1
	v_and_b32_e32 v4, 0x3fc, v0
	s_add_u32 s12, s16, s18
	s_addc_u32 s15, s17, s19
	s_ashr_i32 s21, s20, 31
	s_lshl_b64 s[16:17], s[20:21], 1
	s_add_u32 s16, s12, s16
	s_addc_u32 s17, s15, s17
	global_load_dword v3, v2, s[16:17]
	v_mad_u32_u24 v4, v1, s3, v4
	s_waitcnt vmcnt(0)
	ds_write_b32 v4, v3
.LBB79_4:
	s_or_b64 exec, exec, s[0:1]
	s_mul_i32 s1, s23, s11
	s_sub_i32 s1, s22, s1
	s_xor_b32 s0, s2, s7
	s_add_i32 s2, s23, 1
	s_sub_i32 s7, s1, s11
	s_load_dwordx4 s[16:19], s[4:5], 0x68
	s_load_dword s3, s[4:5], 0x78
	s_cmp_ge_u32 s1, s11
	s_cselect_b32 s2, s2, s23
	s_cselect_b32 s1, s7, s1
	s_add_i32 s7, s2, 1
	s_cmp_ge_u32 s1, s11
	s_cselect_b32 s1, s7, s2
	s_waitcnt lgkmcnt(0)
	s_abs_i32 s21, s19
	v_cvt_f32_u32_e32 v3, s21
	s_xor_b32 s1, s1, s0
	s_sub_i32 s2, s1, s0
	s_sub_i32 s0, 0, s21
	v_rcp_iflag_f32_e32 v3, v3
	s_add_i32 s11, s33, -1
	s_abs_i32 s7, s11
	v_mul_f32_e32 v3, 0x4f7ffffe, v3
	v_cvt_u32_f32_e32 v3, v3
	s_barrier
	v_readfirstlane_b32 s40, v3
	s_mul_i32 s0, s0, s40
	s_mul_hi_u32 s0, s40, s0
	s_add_i32 s40, s40, s0
	s_cmp_lt_i32 s3, 0
	s_mul_hi_u32 s12, s7, s40
	s_cbranch_scc0 .LBB79_6
; %bb.5:
	s_mul_i32 s0, s16, s30
	s_add_i32 s0, s2, s0
	s_mul_i32 s0, s0, s3
	s_sub_i32 s41, 1, s0
	s_mov_b64 s[0:1], 0
	s_branch .LBB79_7
.LBB79_6:
	s_mov_b64 s[0:1], -1
                                        ; implicit-def: $sgpr41
.LBB79_7:
	s_load_dwordx2 s[24:25], s[4:5], 0x28
	s_ashr_i32 s15, s11, 31
	s_andn2_b64 vcc, exec, s[0:1]
	s_ashr_i32 s19, s19, 31
	s_cbranch_vccnz .LBB79_9
; %bb.8:
	s_mul_i32 s0, s9, s16
	s_add_i32 s0, s0, s6
	s_mul_i32 s0, s0, s3
	s_add_i32 s41, s0, 1
.LBB79_9:
	s_load_dword s0, s[4:5], 0x38
	s_load_dwordx2 s[22:23], s[4:5], 0x0
	s_load_dwordx2 s[28:29], s[4:5], 0x18
	s_load_dword s11, s[4:5], 0x88
	s_xor_b32 s1, s15, s19
	s_waitcnt lgkmcnt(0)
	s_mul_i32 s26, s0, s10
	s_mul_i32 s0, s12, s21
	s_sub_i32 s0, s7, s0
	s_ashr_i32 s27, s26, 31
	s_add_i32 s3, s12, 1
	s_sub_i32 s6, s0, s21
	s_cmp_ge_u32 s0, s21
	s_cselect_b32 s3, s3, s12
	s_cselect_b32 s0, s6, s0
	s_add_i32 s6, s3, 1
	s_cmp_ge_u32 s0, s21
	s_cselect_b32 s0, s6, s3
	s_xor_b32 s0, s0, s1
	s_sub_i32 s12, s0, s1
	s_add_i32 s0, s33, 15
	s_ashr_i32 s1, s0, 31
	s_lshr_b32 s1, s1, 28
	s_add_i32 s0, s0, s1
	s_ashr_i32 s16, s0, 4
	v_lshrrev_b32_e32 v9, 6, v0
	v_cmp_gt_i32_e64 s[0:1], s16, v9
	v_mov_b32_e32 v11, 0xff7fffff
	s_mul_i32 s14, s2, s14
	v_lshrrev_b32_e32 v3, 4, v0
	v_lshlrev_b32_e32 v10, 4, v9
	v_mbcnt_lo_u32_b32 v4, -1, 0
	s_and_saveexec_b64 s[34:35], s[0:1]
	s_cbranch_execz .LBB79_21
; %bb.10:
	s_load_dwordx2 s[2:3], s[4:5], 0x10
	s_ashr_i32 s15, s14, 31
	s_sub_i32 s30, s12, s17
	s_lshl_b64 s[4:5], s[14:15], 1
	v_and_b32_e32 v2, 12, v2
	s_waitcnt lgkmcnt(0)
	s_add_u32 s2, s2, s4
	s_addc_u32 s3, s3, s5
	s_abs_i32 s15, s18
	v_cvt_f32_u32_e32 v5, s15
	v_mov_b32_e32 v7, s3
	s_sub_i32 s3, 0, s15
	s_lshl_b64 s[4:5], s[26:27], 2
	v_rcp_iflag_f32_e32 v6, v5
	v_bfe_u32 v5, v0, 2, 4
	s_add_u32 s4, s24, s4
	v_cmp_eq_u32_e32 vcc, 0, v1
	v_mul_f32_e32 v6, 0x4f7ffffe, v6
	v_cvt_u32_f32_e32 v11, v6
	v_lshlrev_b32_e32 v6, 4, v5
	s_addc_u32 s5, s25, s5
	v_mbcnt_hi_u32_b32 v17, -1, v4
	v_mul_lo_u32 v8, s3, v11
	v_add_co_u32_e64 v6, s[2:3], s2, v6
	v_addc_co_u32_e64 v7, s[2:3], 0, v7, s[2:3]
	v_mul_hi_u32 v12, v11, v8
	v_add_co_u32_e64 v6, s[2:3], v6, v2
	v_mul_u32_u24_e32 v8, 0x60, v1
	v_add_u32_e32 v12, v11, v12
	v_subrev_u32_e32 v11, s33, v5
	v_add_u32_e32 v14, 1, v11
	v_lshlrev_b32_e32 v11, 2, v5
	v_and_b32_e32 v1, 60, v3
	v_lshl_or_b32 v11, v9, 6, v11
	v_addc_co_u32_e64 v7, s[2:3], 0, v7, s[2:3]
	v_mov_b32_e32 v2, s5
	v_add_co_u32_e64 v1, s[4:5], s4, v1
	v_add_u32_e32 v15, 0x190, v11
	v_and_b32_e32 v11, 64, v17
	s_mov_b32 s43, s13
	v_cmp_neq_f32_e64 s[2:3], s42, 0
	v_addc_co_u32_e64 v2, s[4:5], 0, v2, s[4:5]
	v_lshlrev_b32_e32 v13, 4, v9
	v_mov_b32_e32 v16, 0xff7fffff
	s_mov_b64 s[36:37], 0
	s_movk_i32 s44, 0x1000
	v_add_u32_e32 v18, 64, v11
	v_xor_b32_e32 v19, 2, v17
	v_xor_b32_e32 v20, 1, v17
	v_mov_b32_e32 v11, 0xff7fffff
	v_mov_b32_e32 v21, v9
	s_branch .LBB79_13
.LBB79_11:                              ;   in Loop: Header=BB79_13 Depth=1
	s_or_b64 exec, exec, s[38:39]
.LBB79_12:                              ;   in Loop: Header=BB79_13 Depth=1
	s_or_b64 exec, exec, s[6:7]
	v_add_co_u32_e64 v1, s[4:5], 8, v1
	v_add_u32_e32 v21, 2, v21
	v_addc_co_u32_e64 v2, s[4:5], 0, v2, s[4:5]
	v_cmp_le_i32_e64 s[4:5], s16, v21
	v_add_u32_e32 v13, 32, v13
	s_or_b64 s[36:37], s[4:5], s[36:37]
	v_add_u32_e32 v15, 0x80, v15
	s_andn2_b64 exec, exec, s[36:37]
	s_cbranch_execz .LBB79_20
.LBB79_13:                              ; =>This Inner Loop Header: Depth=1
	v_mul_hi_u32 v22, v13, s40
	s_waitcnt lgkmcnt(0)
	v_mul_lo_u32 v23, v22, s21
	v_add_u32_e32 v24, 1, v22
	v_sub_u32_e32 v23, v13, v23
	v_cmp_le_u32_e64 s[4:5], s21, v23
	v_cndmask_b32_e64 v22, v22, v24, s[4:5]
	v_subrev_u32_e32 v24, s21, v23
	v_cndmask_b32_e64 v23, v23, v24, s[4:5]
	v_add_u32_e32 v24, 1, v22
	v_cmp_le_u32_e64 s[4:5], s21, v23
	v_cndmask_b32_e64 v22, v22, v24, s[4:5]
	v_xor_b32_e32 v22, s19, v22
	v_subrev_u32_e32 v22, s19, v22
	v_add_u32_e32 v23, s41, v22
	v_sub_u32_e32 v24, 0, v23
	v_max_i32_e32 v24, v23, v24
	v_mul_hi_u32 v25, v24, v12
	v_ashrrev_i32_e32 v23, 31, v23
	v_cmp_ge_i32_e64 s[6:7], s30, v22
	v_mul_lo_u32 v25, v25, s15
	v_sub_u32_e32 v24, v24, v25
	v_subrev_u32_e32 v25, s15, v24
	v_cmp_le_u32_e64 s[4:5], s15, v24
	v_cndmask_b32_e64 v24, v24, v25, s[4:5]
	v_subrev_u32_e32 v25, s15, v24
	v_cmp_le_u32_e64 s[4:5], s15, v24
	v_cndmask_b32_e64 v24, v24, v25, s[4:5]
	v_xor_b32_e32 v24, v24, v23
	v_sub_u32_e32 v23, v24, v23
	v_cmp_ne_u32_e64 s[4:5], 0, v23
	s_and_b64 s[4:5], s[4:5], s[6:7]
	s_and_saveexec_b64 s[6:7], s[4:5]
	s_xor_b64 s[4:5], exec, s[6:7]
	s_cbranch_execz .LBB79_17
; %bb.14:                               ;   in Loop: Header=BB79_13 Depth=1
	s_and_saveexec_b64 s[6:7], vcc
; %bb.15:                               ;   in Loop: Header=BB79_13 Depth=1
	ds_write_b32 v15, v16
; %bb.16:                               ;   in Loop: Header=BB79_13 Depth=1
	s_or_b64 exec, exec, s[6:7]
.LBB79_17:                              ;   in Loop: Header=BB79_13 Depth=1
	s_andn2_saveexec_b64 s[6:7], s[4:5]
	s_cbranch_execz .LBB79_12
; %bb.18:                               ;   in Loop: Header=BB79_13 Depth=1
	global_load_dword v22, v[1:2], off
	s_waitcnt vmcnt(0)
	v_mad_i64_i32 v[22:23], s[4:5], v22, s43, 0
	v_lshlrev_b64 v[22:23], 1, v[22:23]
	v_add_co_u32_e64 v22, s[4:5], v6, v22
	v_addc_co_u32_e64 v23, s[4:5], v7, v23, s[4:5]
	global_load_dword v48, v[22:23], off
	global_load_dword v39, v[22:23], off offset:256
	global_load_dword v43, v[22:23], off offset:512
	;; [unrolled: 1-line block ×5, first 2 shown]
	ds_read_b32 v24, v8
	global_load_dword v41, v[22:23], off offset:1536
	global_load_dword v40, v[22:23], off offset:1792
	v_add_co_u32_e64 v46, s[4:5], s44, v22
	v_addc_co_u32_e64 v47, s[4:5], 0, v23, s[4:5]
	s_waitcnt lgkmcnt(0)
	v_lshrrev_b32_e32 v50, 16, v24
	v_and_b32_e32 v49, 0xffff, v24
	global_load_dword v38, v[22:23], off offset:2048
	global_load_dword v37, v[22:23], off offset:2304
	;; [unrolled: 1-line block ×8, first 2 shown]
	global_load_dword v30, v[46:47], off
	global_load_dword v29, v[46:47], off offset:256
	global_load_dword v28, v[46:47], off offset:512
	;; [unrolled: 1-line block ×7, first 2 shown]
	;;#ASMSTART
	v_cvt_f32_f16 v49, v49;
	;;#ASMEND
	;;#ASMSTART
	v_cvt_f32_f16 v46, v50;
	;;#ASMEND
	v_cmp_lt_i32_e64 s[4:5], v19, v18
	s_waitcnt vmcnt(23)
	v_lshrrev_b32_e32 v22, 16, v48
	v_and_b32_e32 v47, 0xffff, v48
	;;#ASMSTART
	v_cvt_f32_f16 v50, v47;
	;;#ASMEND
	;;#ASMSTART
	v_cvt_f32_f16 v47, v22;
	;;#ASMEND
	ds_read_b32 v22, v8 offset:4
	s_waitcnt vmcnt(22)
	v_and_b32_e32 v51, 0xffff, v39
	v_lshrrev_b32_e32 v39, 16, v39
	s_waitcnt vmcnt(8)
	v_and_b32_e32 v52, 0xffff, v31
	s_waitcnt vmcnt(7)
	v_and_b32_e32 v53, 0xffff, v30
	s_waitcnt lgkmcnt(0)
	v_lshrrev_b32_e32 v48, 16, v22
	v_and_b32_e32 v22, 0xffff, v22
	;;#ASMSTART
	v_cvt_f32_f16 v22, v22;
	;;#ASMEND
	;;#ASMSTART
	v_cvt_f32_f16 v48, v48;
	;;#ASMEND
	;; [unrolled: 3-line block ×3, first 2 shown]
	v_mul_f32_e32 v22, v22, v51
	v_fmac_f32_e32 v22, v49, v50
	;;#ASMSTART
	v_cvt_f32_f16 v39, v39;
	;;#ASMEND
	ds_read_b32 v49, v8 offset:8
	v_mul_f32_e32 v39, v48, v39
	v_fmac_f32_e32 v39, v46, v47
	v_and_b32_e32 v47, 0xffff, v43
	v_lshrrev_b32_e32 v50, 16, v43
	s_waitcnt lgkmcnt(0)
	v_lshrrev_b32_e32 v46, 16, v49
	v_and_b32_e32 v43, 0xffff, v49
	;;#ASMSTART
	v_cvt_f32_f16 v43, v43;
	;;#ASMEND
	;;#ASMSTART
	v_cvt_f32_f16 v46, v46;
	;;#ASMEND
	;; [unrolled: 3-line block ×4, first 2 shown]
	v_fmac_f32_e32 v22, v43, v47
	ds_read_b32 v47, v8 offset:12
	v_cndmask_b32_e64 v48, v17, v19, s[4:5]
	v_lshlrev_b32_e32 v43, 2, v48
	v_and_b32_e32 v48, 0xffff, v45
	v_lshrrev_b32_e32 v50, 16, v45
	v_fmac_f32_e32 v39, v46, v49
	s_waitcnt lgkmcnt(0)
	v_lshrrev_b32_e32 v46, 16, v47
	v_and_b32_e32 v45, 0xffff, v47
	;;#ASMSTART
	v_cvt_f32_f16 v45, v45;
	;;#ASMEND
	;;#ASMSTART
	v_cvt_f32_f16 v46, v46;
	;;#ASMEND
	;; [unrolled: 3-line block ×4, first 2 shown]
	ds_read_b32 v49, v8 offset:16
	v_fmac_f32_e32 v22, v45, v47
	v_and_b32_e32 v47, 0xffff, v42
	v_lshrrev_b32_e32 v50, 16, v42
	v_fmac_f32_e32 v39, v46, v48
	s_waitcnt lgkmcnt(0)
	v_lshrrev_b32_e32 v45, 16, v49
	v_and_b32_e32 v42, 0xffff, v49
	;;#ASMSTART
	v_cvt_f32_f16 v42, v42;
	;;#ASMEND
	;;#ASMSTART
	v_cvt_f32_f16 v45, v45;
	;;#ASMEND
	;;#ASMSTART
	v_cvt_f32_f16 v46, v47;
	;;#ASMEND
	;;#ASMSTART
	v_cvt_f32_f16 v47, v50;
	;;#ASMEND
	ds_read_b32 v48, v8 offset:20
	v_and_b32_e32 v49, 0xffff, v44
	v_lshrrev_b32_e32 v50, 16, v44
	v_fmac_f32_e32 v22, v42, v46
	v_fmac_f32_e32 v39, v45, v47
	s_waitcnt lgkmcnt(0)
	v_lshrrev_b32_e32 v44, 16, v48
	v_and_b32_e32 v42, 0xffff, v48
	;;#ASMSTART
	v_cvt_f32_f16 v42, v42;
	;;#ASMEND
	;;#ASMSTART
	v_cvt_f32_f16 v44, v44;
	;;#ASMEND
	;; [unrolled: 3-line block ×4, first 2 shown]
	ds_read_b32 v47, v8 offset:24
	v_and_b32_e32 v48, 0xffff, v41
	v_lshrrev_b32_e32 v49, 16, v41
	v_fmac_f32_e32 v22, v42, v45
	v_and_b32_e32 v50, 0xffff, v40
	s_waitcnt lgkmcnt(0)
	v_lshrrev_b32_e32 v42, 16, v47
	v_and_b32_e32 v41, 0xffff, v47
	;;#ASMSTART
	v_cvt_f32_f16 v41, v41;
	;;#ASMEND
	;;#ASMSTART
	v_cvt_f32_f16 v42, v42;
	;;#ASMEND
	;; [unrolled: 3-line block ×4, first 2 shown]
	ds_read_b32 v48, v8 offset:28
	v_lshrrev_b32_e32 v49, 16, v40
	v_fmac_f32_e32 v22, v41, v45
	v_fmac_f32_e32 v39, v44, v46
	v_and_b32_e32 v51, 0xffff, v38
	s_waitcnt lgkmcnt(0)
	v_lshrrev_b32_e32 v41, 16, v48
	v_and_b32_e32 v40, 0xffff, v48
	;;#ASMSTART
	v_cvt_f32_f16 v40, v40;
	;;#ASMEND
	;;#ASMSTART
	v_cvt_f32_f16 v41, v41;
	;;#ASMEND
	;; [unrolled: 3-line block ×4, first 2 shown]
	ds_read_b32 v46, v8 offset:32
	v_lshrrev_b32_e32 v48, 16, v38
	v_and_b32_e32 v49, 0xffff, v37
	v_lshrrev_b32_e32 v50, 16, v37
	v_fmac_f32_e32 v39, v42, v47
	s_waitcnt lgkmcnt(0)
	v_lshrrev_b32_e32 v38, 16, v46
	v_and_b32_e32 v37, 0xffff, v46
	;;#ASMSTART
	v_cvt_f32_f16 v37, v37;
	;;#ASMEND
	;;#ASMSTART
	v_cvt_f32_f16 v38, v38;
	;;#ASMEND
	;; [unrolled: 3-line block ×4, first 2 shown]
	ds_read_b32 v47, v8 offset:36
	v_fmac_f32_e32 v22, v40, v44
	v_and_b32_e32 v48, 0xffff, v36
	v_lshrrev_b32_e32 v51, 16, v36
	v_fmac_f32_e32 v39, v41, v45
	s_waitcnt lgkmcnt(0)
	v_lshrrev_b32_e32 v40, 16, v47
	v_and_b32_e32 v36, 0xffff, v47
	;;#ASMSTART
	v_cvt_f32_f16 v36, v36;
	;;#ASMEND
	;;#ASMSTART
	v_cvt_f32_f16 v40, v40;
	;;#ASMEND
	;; [unrolled: 3-line block ×4, first 2 shown]
	ds_read_b32 v45, v8 offset:40
	v_and_b32_e32 v47, 0xffff, v35
	v_lshrrev_b32_e32 v49, 16, v35
	v_fmac_f32_e32 v22, v37, v42
	v_fmac_f32_e32 v39, v38, v46
	s_waitcnt lgkmcnt(0)
	v_lshrrev_b32_e32 v37, 16, v45
	v_and_b32_e32 v35, 0xffff, v45
	;;#ASMSTART
	v_cvt_f32_f16 v35, v35;
	;;#ASMEND
	;;#ASMSTART
	v_cvt_f32_f16 v37, v37;
	;;#ASMEND
	;; [unrolled: 3-line block ×4, first 2 shown]
	ds_read_b32 v45, v8 offset:44
	v_and_b32_e32 v48, 0xffff, v34
	v_lshrrev_b32_e32 v50, 16, v34
	v_fmac_f32_e32 v22, v36, v41
	v_and_b32_e32 v51, 0xffff, v33
	s_waitcnt lgkmcnt(0)
	v_lshrrev_b32_e32 v36, 16, v45
	v_and_b32_e32 v34, 0xffff, v45
	;;#ASMSTART
	v_cvt_f32_f16 v34, v34;
	;;#ASMEND
	;;#ASMSTART
	v_cvt_f32_f16 v36, v36;
	;;#ASMEND
	;; [unrolled: 3-line block ×4, first 2 shown]
	ds_read_b32 v46, v8 offset:48
	v_lshrrev_b32_e32 v47, 16, v33
	v_fmac_f32_e32 v22, v35, v38
	v_fmac_f32_e32 v39, v40, v44
	v_lshrrev_b32_e32 v49, 16, v32
	s_waitcnt lgkmcnt(0)
	v_lshrrev_b32_e32 v33, 16, v46
	v_and_b32_e32 v35, 0xffff, v46
	;;#ASMSTART
	v_cvt_f32_f16 v35, v35;
	;;#ASMEND
	;;#ASMSTART
	v_cvt_f32_f16 v38, v33;
	;;#ASMEND
	;; [unrolled: 3-line block ×4, first 2 shown]
	ds_read_b32 v33, v8 offset:52
	v_and_b32_e32 v48, 0xffff, v32
	v_lshrrev_b32_e32 v50, 16, v31
	v_fmac_f32_e32 v39, v37, v42
	v_fmac_f32_e32 v22, v34, v41
	s_waitcnt lgkmcnt(0)
	v_lshrrev_b32_e32 v32, 16, v33
	v_and_b32_e32 v31, 0xffff, v33
	;;#ASMSTART
	v_cvt_f32_f16 v31, v31;
	;;#ASMEND
	;;#ASMSTART
	v_cvt_f32_f16 v42, v32;
	;;#ASMEND
	;;#ASMSTART
	v_cvt_f32_f16 v46, v51;
	;;#ASMEND
	;;#ASMSTART
	v_cvt_f32_f16 v47, v47;
	;;#ASMEND
	ds_read_b32 v32, v8 offset:56
	v_lshrrev_b32_e32 v51, 16, v30
	v_fmac_f32_e32 v39, v36, v45
	s_waitcnt vmcnt(6)
	v_lshrrev_b32_e32 v45, 16, v29
	v_fmac_f32_e32 v22, v35, v40
	s_waitcnt lgkmcnt(0)
	v_lshrrev_b32_e32 v30, 16, v32
	v_and_b32_e32 v32, 0xffff, v32
	;;#ASMSTART
	v_cvt_f32_f16 v34, v32;
	;;#ASMEND
	;;#ASMSTART
	v_cvt_f32_f16 v32, v30;
	;;#ASMEND
	;; [unrolled: 3-line block ×4, first 2 shown]
	ds_read_b32 v30, v8 offset:60
	v_and_b32_e32 v48, 0xffff, v29
	v_fmac_f32_e32 v39, v38, v44
	s_waitcnt vmcnt(5)
	v_lshrrev_b32_e32 v49, 16, v28
	v_fmac_f32_e32 v22, v31, v46
	s_waitcnt lgkmcnt(0)
	v_lshrrev_b32_e32 v29, 16, v30
	v_and_b32_e32 v30, 0xffff, v30
	;;#ASMSTART
	v_cvt_f32_f16 v40, v30;
	;;#ASMEND
	;;#ASMSTART
	v_cvt_f32_f16 v37, v29;
	;;#ASMEND
	;; [unrolled: 3-line block ×4, first 2 shown]
	ds_read_b32 v29, v8 offset:64
	v_and_b32_e32 v50, 0xffff, v28
	s_waitcnt vmcnt(4)
	v_lshrrev_b32_e32 v52, 16, v27
	v_and_b32_e32 v46, 0xffff, v27
	v_fmac_f32_e32 v22, v34, v36
	s_waitcnt lgkmcnt(0)
	v_lshrrev_b32_e32 v30, 16, v29
	v_and_b32_e32 v28, 0xffff, v29
	;;#ASMSTART
	v_cvt_f32_f16 v28, v28;
	;;#ASMEND
	;;#ASMSTART
	v_cvt_f32_f16 v29, v30;
	;;#ASMEND
	;; [unrolled: 3-line block ×4, first 2 shown]
	ds_read_b32 v35, v8 offset:68
	v_fmac_f32_e32 v39, v42, v47
	s_waitcnt vmcnt(3)
	v_lshrrev_b32_e32 v42, 16, v26
	v_and_b32_e32 v47, 0xffff, v26
	s_waitcnt vmcnt(2)
	v_lshrrev_b32_e32 v26, 16, v25
	s_waitcnt lgkmcnt(0)
	v_lshrrev_b32_e32 v34, 16, v35
	v_and_b32_e32 v27, 0xffff, v35
	;;#ASMSTART
	v_cvt_f32_f16 v27, v27;
	;;#ASMEND
	;;#ASMSTART
	v_cvt_f32_f16 v34, v34;
	;;#ASMEND
	;; [unrolled: 3-line block ×4, first 2 shown]
	ds_read_b32 v44, v8 offset:72
	v_and_b32_e32 v48, 0xffff, v25
	v_fmac_f32_e32 v39, v32, v33
	v_fmac_f32_e32 v39, v37, v38
	;; [unrolled: 1-line block ×3, first 2 shown]
	s_waitcnt lgkmcnt(0)
	v_lshrrev_b32_e32 v32, 16, v44
	v_and_b32_e32 v25, 0xffff, v44
	;;#ASMSTART
	v_cvt_f32_f16 v25, v25;
	;;#ASMEND
	;;#ASMSTART
	v_cvt_f32_f16 v32, v32;
	;;#ASMEND
	;; [unrolled: 3-line block ×4, first 2 shown]
	ds_read_b32 v45, v8 offset:76
	s_waitcnt vmcnt(1)
	v_lshrrev_b32_e32 v49, 16, v24
	v_and_b32_e32 v50, 0xffff, v24
	v_fmac_f32_e32 v22, v28, v30
	v_fmac_f32_e32 v39, v29, v31
	s_waitcnt lgkmcnt(0)
	v_lshrrev_b32_e32 v37, 16, v45
	v_and_b32_e32 v24, 0xffff, v45
	;;#ASMSTART
	v_cvt_f32_f16 v24, v24;
	;;#ASMEND
	;;#ASMSTART
	v_cvt_f32_f16 v37, v37;
	;;#ASMEND
	;; [unrolled: 3-line block ×4, first 2 shown]
	ds_read_b32 v41, v8 offset:80
	s_waitcnt vmcnt(0)
	v_lshrrev_b32_e32 v45, 16, v23
	v_and_b32_e32 v46, 0xffff, v23
	v_fmac_f32_e32 v22, v27, v35
	v_fmac_f32_e32 v39, v34, v36
	s_waitcnt lgkmcnt(0)
	v_lshrrev_b32_e32 v28, 16, v41
	v_and_b32_e32 v23, 0xffff, v41
	;;#ASMSTART
	v_cvt_f32_f16 v23, v23;
	;;#ASMEND
	;;#ASMSTART
	v_cvt_f32_f16 v28, v28;
	;;#ASMEND
	;;#ASMSTART
	v_cvt_f32_f16 v29, v47;
	;;#ASMEND
	;;#ASMSTART
	v_cvt_f32_f16 v30, v42;
	;;#ASMEND
	ds_read_b32 v31, v8 offset:84
	v_fmac_f32_e32 v22, v25, v33
	v_fmac_f32_e32 v39, v32, v44
	v_fmac_f32_e32 v22, v24, v38
	v_fmac_f32_e32 v39, v37, v40
	s_waitcnt lgkmcnt(0)
	v_lshrrev_b32_e32 v27, 16, v31
	v_and_b32_e32 v25, 0xffff, v31
	;;#ASMSTART
	v_cvt_f32_f16 v25, v25;
	;;#ASMEND
	;;#ASMSTART
	v_cvt_f32_f16 v27, v27;
	;;#ASMEND
	;;#ASMSTART
	v_cvt_f32_f16 v31, v48;
	;;#ASMEND
	;;#ASMSTART
	v_cvt_f32_f16 v26, v26;
	;;#ASMEND
	ds_read_b32 v32, v8 offset:88
	v_fmac_f32_e32 v22, v23, v29
	v_fmac_f32_e32 v39, v28, v30
	;; [unrolled: 20-line block ×3, first 2 shown]
	v_cmp_lt_i32_e64 s[4:5], v20, v18
	s_waitcnt lgkmcnt(0)
	v_lshrrev_b32_e32 v24, 16, v30
	v_and_b32_e32 v23, 0xffff, v30
	;;#ASMSTART
	v_cvt_f32_f16 v23, v23;
	;;#ASMEND
	;;#ASMSTART
	v_cvt_f32_f16 v24, v24;
	;;#ASMEND
	;; [unrolled: 3-line block ×4, first 2 shown]
	v_fmac_f32_e32 v22, v23, v25
	v_fmac_f32_e32 v39, v24, v26
	v_add_f32_e32 v22, v22, v39
	ds_bpermute_b32 v23, v43, v22
	v_cndmask_b32_e64 v24, v17, v20, s[4:5]
	s_waitcnt lgkmcnt(0)
	v_add_f32_e32 v22, v22, v23
	v_lshlrev_b32_e32 v23, 2, v24
	ds_bpermute_b32 v23, v23, v22
	s_and_saveexec_b64 s[38:39], vcc
	s_cbranch_execz .LBB79_11
; %bb.19:                               ;   in Loop: Header=BB79_13 Depth=1
	v_add_u32_e32 v24, v14, v13
	v_cvt_f32_i32_e32 v24, v24
	s_waitcnt lgkmcnt(0)
	v_add_f32_e32 v22, v22, v23
	v_add_u32_e32 v25, v5, v13
	v_cmp_gt_i32_e64 s[4:5], s33, v25
	v_mul_f32_e32 v23, s42, v24
	v_cndmask_b32_e64 v23, 0, v23, s[2:3]
	v_fmac_f32_e32 v23, s31, v22
	v_cndmask_b32_e64 v22, 0, v23, s[4:5]
	ds_write_b32 v15, v22
	v_max_f32_e32 v22, v11, v11
	v_max_f32_e32 v22, v22, v23
	v_cndmask_b32_e64 v11, v11, v22, s[4:5]
	s_branch .LBB79_11
.LBB79_20:
	s_or_b64 exec, exec, s[36:37]
.LBB79_21:
	s_or_b64 exec, exec, s[34:35]
	v_mbcnt_hi_u32_b32 v1, -1, v4
	v_and_b32_e32 v14, 64, v1
	v_add_u32_e32 v2, 64, v14
	v_xor_b32_e32 v4, 32, v1
	v_cmp_lt_i32_e32 vcc, v4, v2
	v_cndmask_b32_e32 v4, v1, v4, vcc
	v_lshlrev_b32_e32 v4, 2, v4
	ds_bpermute_b32 v5, v4, v11
	v_xor_b32_e32 v7, 16, v1
	v_max_f32_e32 v6, v11, v11
	v_cmp_lt_i32_e32 vcc, v7, v2
	v_xor_b32_e32 v8, 8, v1
	s_waitcnt lgkmcnt(0)
	v_max_f32_e32 v5, v5, v5
	v_max_f32_e32 v6, v6, v5
	v_cndmask_b32_e32 v5, v1, v7, vcc
	v_lshlrev_b32_e32 v5, 2, v5
	ds_bpermute_b32 v7, v5, v6
	v_cmp_lt_i32_e32 vcc, v8, v2
	v_xor_b32_e32 v11, 4, v1
	s_waitcnt lgkmcnt(0)
	v_max_f32_e32 v7, v7, v7
	v_max_f32_e32 v6, v6, v7
	v_cndmask_b32_e32 v7, v1, v8, vcc
	v_lshlrev_b32_e32 v8, 2, v7
	ds_bpermute_b32 v7, v8, v6
	v_cmp_lt_i32_e32 vcc, v11, v2
	s_waitcnt lgkmcnt(0)
	v_max_f32_e32 v7, v7, v7
	v_max_f32_e32 v7, v6, v7
	v_cndmask_b32_e32 v6, v1, v11, vcc
	v_lshlrev_b32_e32 v13, 2, v6
	ds_bpermute_b32 v12, v13, v7
	v_and_b32_e32 v11, 63, v0
	v_cmp_eq_u32_e32 vcc, 0, v11
	v_lshlrev_b32_e32 v6, 2, v9
	s_and_saveexec_b64 s[2:3], vcc
	s_cbranch_execz .LBB79_23
; %bb.22:
	s_waitcnt lgkmcnt(0)
	v_max_f32_e32 v12, v12, v12
	v_max_f32_e32 v7, v7, v7
	;; [unrolled: 1-line block ×3, first 2 shown]
	ds_write_b32 v6, v7 offset:384
.LBB79_23:
	s_or_b64 exec, exec, s[2:3]
	v_cmp_gt_u32_e64 s[2:3], 2, v11
	v_mov_b32_e32 v15, 0xff7fffff
	v_lshlrev_b32_e32 v7, 2, v11
	s_waitcnt lgkmcnt(0)
	s_barrier
	s_and_saveexec_b64 s[4:5], s[2:3]
; %bb.24:
	ds_read_b32 v15, v7 offset:384
; %bb.25:
	s_or_b64 exec, exec, s[4:5]
	v_xor_b32_e32 v12, 1, v1
	v_cmp_lt_i32_e64 s[4:5], v12, v2
	v_cndmask_b32_e64 v12, v1, v12, s[4:5]
	v_lshlrev_b32_e32 v12, 2, v12
	s_waitcnt lgkmcnt(0)
	ds_bpermute_b32 v16, v12, v15
	v_max_f32_e32 v15, v15, v15
	v_lshlrev_b32_e32 v14, 2, v14
	s_lshl_b32 s4, s16, 4
	s_min_i32 s15, s4, s33
	s_waitcnt lgkmcnt(0)
	v_max_f32_e32 v16, v16, v16
	v_max_f32_e32 v15, v15, v16
	ds_bpermute_b32 v15, v14, v15
	v_cmp_gt_i32_e64 s[4:5], s15, v0
	v_mov_b32_e32 v14, 0
	s_and_saveexec_b64 s[30:31], s[4:5]
	s_cbranch_execz .LBB79_29
; %bb.26:
	v_mov_b32_e32 v14, 0x190
	v_lshl_add_u32 v16, v0, 2, v14
	v_mov_b32_e32 v14, 0
	s_mov_b64 s[34:35], 0
	v_mov_b32_e32 v17, v0
.LBB79_27:                              ; =>This Inner Loop Header: Depth=1
	ds_read_b32 v18, v16
	v_add_u32_e32 v17, 0x80, v17
	v_cmp_le_i32_e64 s[6:7], s15, v17
	s_or_b64 s[34:35], s[6:7], s[34:35]
	s_waitcnt lgkmcnt(0)
	v_sub_f32_e32 v18, v18, v15
	v_mul_f32_e32 v18, 0x3fb8aa3b, v18
	v_exp_f32_e32 v18, v18
	ds_write_b32 v16, v18
	v_add_f32_e32 v14, v14, v18
	v_add_u32_e32 v16, 0x200, v16
	s_andn2_b64 exec, exec, s[34:35]
	s_cbranch_execnz .LBB79_27
; %bb.28:
	s_or_b64 exec, exec, s[34:35]
.LBB79_29:
	s_or_b64 exec, exec, s[30:31]
	ds_bpermute_b32 v4, v4, v14
	s_waitcnt lgkmcnt(0)
	v_add_f32_e32 v4, v14, v4
	ds_bpermute_b32 v5, v5, v4
	s_waitcnt lgkmcnt(0)
	v_add_f32_e32 v4, v4, v5
	ds_bpermute_b32 v5, v8, v4
	v_xor_b32_e32 v8, 2, v1
	v_cmp_lt_i32_e64 s[6:7], v8, v2
	v_cndmask_b32_e64 v2, v1, v8, s[6:7]
	v_lshlrev_b32_e32 v2, 2, v2
	s_waitcnt lgkmcnt(0)
	v_add_f32_e32 v4, v4, v5
	ds_bpermute_b32 v5, v13, v4
	s_waitcnt lgkmcnt(0)
	v_add_f32_e32 v4, v4, v5
	ds_bpermute_b32 v2, v2, v4
	;; [unrolled: 3-line block ×3, first 2 shown]
	s_waitcnt lgkmcnt(0)
	v_add_f32_e32 v2, v2, v4
	s_and_saveexec_b64 s[6:7], vcc
; %bb.30:
	ds_write_b32 v6, v2 offset:392
; %bb.31:
	s_or_b64 exec, exec, s[6:7]
	s_waitcnt lgkmcnt(0)
	s_barrier
	s_and_saveexec_b64 s[6:7], s[2:3]
; %bb.32:
	ds_read_b32 v2, v7 offset:392
; %bb.33:
	s_or_b64 exec, exec, s[6:7]
	s_waitcnt lgkmcnt(0)
	ds_bpermute_b32 v4, v12, v2
	v_lshlrev_b32_e32 v1, 2, v1
	v_and_b32_e32 v1, 0x100, v1
	s_waitcnt lgkmcnt(0)
	v_add_f32_e32 v2, v2, v4
	ds_bpermute_b32 v1, v1, v2
	s_and_saveexec_b64 s[2:3], s[4:5]
	s_cbranch_execz .LBB79_36
; %bb.34:
	s_waitcnt lgkmcnt(0)
	v_add_f32_e32 v2, 0x358637bd, v1
	v_div_scale_f32 v1, s[4:5], v2, v2, 1.0
	v_div_scale_f32 v4, vcc, 1.0, v2, 1.0
	s_mov_b64 s[4:5], 0
	v_rcp_f32_e32 v5, v1
	v_fma_f32 v6, -v1, v5, 1.0
	v_fmac_f32_e32 v5, v6, v5
	v_mul_f32_e32 v6, v4, v5
	v_fma_f32 v7, -v1, v6, v4
	v_fmac_f32_e32 v6, v7, v5
	v_fma_f32 v1, -v1, v6, v4
	v_div_fmas_f32 v4, v1, v5, v6
	v_mov_b32_e32 v1, 0x190
	v_lshl_add_u32 v1, v0, 2, v1
	v_div_fixup_f32 v2, v4, v2, 1.0
	v_mov_b32_e32 v4, v0
.LBB79_35:                              ; =>This Inner Loop Header: Depth=1
	ds_read_b32 v5, v1
	v_add_u32_e32 v4, 0x80, v4
	v_cmp_le_i32_e32 vcc, s15, v4
	s_or_b64 s[4:5], vcc, s[4:5]
	s_waitcnt lgkmcnt(0)
	v_mul_f32_e32 v5, v2, v5
	ds_write_b32 v1, v5
	v_add_u32_e32 v1, 0x200, v1
	s_andn2_b64 exec, exec, s[4:5]
	s_cbranch_execnz .LBB79_35
.LBB79_36:
	s_or_b64 exec, exec, s[2:3]
	v_mov_b32_e32 v19, 0
	v_and_b32_e32 v13, 1, v0
	v_mov_b32_e32 v18, 0
	v_mov_b32_e32 v17, 0
	;; [unrolled: 1-line block ×5, first 2 shown]
	s_waitcnt lgkmcnt(0)
	s_barrier
	s_and_saveexec_b64 s[2:3], s[0:1]
	s_cbranch_execz .LBB79_54
; %bb.37:
	s_ashr_i32 s15, s14, 31
	s_sub_i32 s17, s12, s17
	s_lshl_b64 s[0:1], s[14:15], 1
	s_add_u32 s0, s28, s0
	s_addc_u32 s1, s29, s1
	s_abs_i32 s14, s18
	v_cvt_f32_u32_e32 v1, s14
	v_lshlrev_b32_e32 v2, 3, v0
	s_sub_i32 s4, 0, s14
	v_and_b32_e32 v21, 8, v2
	v_rcp_iflag_f32_e32 v1, v1
	v_lshlrev_b32_e32 v4, 4, v0
	v_and_b32_e32 v4, 0x3f0, v4
	s_add_i32 s18, s16, -1
	v_mul_f32_e32 v1, 0x4f7ffffe, v1
	v_cvt_u32_f32_e32 v1, v1
	v_mov_b32_e32 v5, s1
	v_add_co_u32_e32 v22, vcc, s0, v4
	v_mul_lo_u32 v2, s4, v1
	s_lshl_b64 s[0:1], s[26:27], 2
	v_addc_co_u32_e32 v23, vcc, 0, v5, vcc
	v_mul_hi_u32 v2, v1, v2
	s_add_u32 s0, s24, s0
	s_addc_u32 s1, s25, s1
	s_mov_b32 s15, s13
	v_add_u32_e32 v24, v1, v2
	v_and_b32_e32 v1, 60, v3
	v_add_co_u32_e32 v5, vcc, s0, v1
	v_lshlrev_b32_e32 v1, 5, v13
	v_mov_b32_e32 v2, s1
	v_lshl_or_b32 v1, v9, 6, v1
	v_mov_b32_e32 v20, 0
	v_addc_co_u32_e32 v6, vcc, 0, v2, vcc
	v_add_u32_e32 v25, 0x190, v1
	s_mov_b64 s[4:5], 0
	s_mov_b32 s24, 0xffff
	v_mov_b32_e32 v14, 0
	v_mov_b32_e32 v15, 0
	;; [unrolled: 1-line block ×6, first 2 shown]
	s_branch .LBB79_40
.LBB79_38:                              ;   in Loop: Header=BB79_40 Depth=1
	s_or_b64 exec, exec, s[12:13]
	v_add_f32_e32 v26, v46, v47
	v_add_f32_e32 v15, v15, v26
	;; [unrolled: 1-line block ×10, first 2 shown]
	v_lshlrev_b32_e32 v26, 16, v48
	v_and_or_b32 v1, v1, s24, v26
	v_lshlrev_b32_e32 v8, 16, v8
	v_lshlrev_b32_e32 v7, 16, v7
	v_and_or_b32 v2, v2, s24, v8
	v_and_or_b32 v3, v3, s24, v7
	;;#ASMSTART
	v_pk_mul_f16 v1, v35, v1;

	;;#ASMEND
	;;#ASMSTART
	v_pk_mul_f16 v2, v36, v2;

	;;#ASMEND
	;; [unrolled: 4-line block ×4, first 2 shown]
	;;#ASMSTART
	v_pk_add_f16 v1, v1, v2;

	;;#ASMEND
	;;#ASMSTART
	v_pk_add_f16 v1, v1, v3;

	;;#ASMEND
	;; [unrolled: 4-line block ×3, first 2 shown]
	v_lshrrev_b32_e32 v2, 16, v1
	v_and_b32_e32 v1, 0xffff, v1
	;;#ASMSTART
	v_cvt_f32_f16 v1, v1;
	;;#ASMEND
	;;#ASMSTART
	v_cvt_f32_f16 v2, v2;
	;;#ASMEND
	v_add_f32_e32 v1, v1, v2
	v_add_f32_e32 v14, v14, v1
.LBB79_39:                              ;   in Loop: Header=BB79_40 Depth=1
	s_or_b64 exec, exec, s[6:7]
	v_add_co_u32_e32 v5, vcc, 8, v5
	v_add_u32_e32 v9, 2, v9
	v_addc_co_u32_e32 v6, vcc, 0, v6, vcc
	v_cmp_le_i32_e32 vcc, s16, v9
	v_add_u32_e32 v10, 32, v10
	s_or_b64 s[4:5], vcc, s[4:5]
	v_add_u32_e32 v25, 0x80, v25
	s_andn2_b64 exec, exec, s[4:5]
	s_cbranch_execz .LBB79_53
.LBB79_40:                              ; =>This Inner Loop Header: Depth=1
	v_mul_hi_u32 v1, v10, s40
	v_mul_lo_u32 v2, v1, s21
	v_add_u32_e32 v3, 1, v1
	v_sub_u32_e32 v2, v10, v2
	v_cmp_le_u32_e32 vcc, s21, v2
	v_cndmask_b32_e32 v1, v1, v3, vcc
	v_subrev_u32_e32 v3, s21, v2
	v_cndmask_b32_e32 v2, v2, v3, vcc
	v_add_u32_e32 v3, 1, v1
	v_cmp_le_u32_e32 vcc, s21, v2
	v_cndmask_b32_e32 v1, v1, v3, vcc
	v_xor_b32_e32 v1, s19, v1
	v_subrev_u32_e32 v1, s19, v1
	v_add_u32_e32 v2, s41, v1
	v_sub_u32_e32 v3, 0, v2
	v_max_i32_e32 v3, v2, v3
	v_mul_hi_u32 v4, v3, v24
	v_ashrrev_i32_e32 v2, 31, v2
	v_cmp_lt_i32_e64 s[0:1], s17, v1
	v_mul_lo_u32 v4, v4, s14
	v_sub_u32_e32 v3, v3, v4
	v_subrev_u32_e32 v4, s14, v3
	v_cmp_le_u32_e32 vcc, s14, v3
	v_cndmask_b32_e32 v3, v3, v4, vcc
	v_subrev_u32_e32 v4, s14, v3
	v_cmp_le_u32_e32 vcc, s14, v3
	v_cndmask_b32_e32 v3, v3, v4, vcc
	v_xor_b32_e32 v3, v3, v2
	v_sub_u32_e32 v2, v3, v2
	v_cmp_eq_u32_e32 vcc, 0, v2
	s_or_b64 s[0:1], vcc, s[0:1]
	s_and_saveexec_b64 s[6:7], s[0:1]
	s_cbranch_execz .LBB79_39
; %bb.41:                               ;   in Loop: Header=BB79_40 Depth=1
	global_load_dword v7, v[5:6], off
	ds_read2_b64 v[1:4], v25 offset1:1
	ds_read2_b64 v[26:29], v25 offset0:2 offset1:3
	s_waitcnt lgkmcnt(1)
	;;#ASMSTART
	v_cvt_f16_f32 v34, v1;

	;;#ASMEND
	;;#ASMSTART
	v_cvt_f16_f32 v35, v2;

	;;#ASMEND
	;; [unrolled: 4-line block ×4, first 2 shown]
	s_waitcnt lgkmcnt(0)
	;;#ASMSTART
	v_cvt_f16_f32 v38, v26;

	;;#ASMEND
	;;#ASMSTART
	v_cvt_f16_f32 v39, v27;

	;;#ASMEND
	;;#ASMSTART
	v_cvt_f16_f32 v40, v28;

	;;#ASMEND
	;;#ASMSTART
	v_cvt_f16_f32 v41, v29;

	;;#ASMEND
	v_add_u32_e32 v26, v21, v10
	v_add_u32_e32 v33, 1, v26
	;; [unrolled: 1-line block ×8, first 2 shown]
	s_waitcnt vmcnt(0)
	v_mad_i64_i32 v[1:2], s[0:1], v7, s15, 0
	v_cmp_eq_u32_e64 s[0:1], s18, v9
	v_lshlrev_b64 v[1:2], 1, v[1:2]
	v_add_co_u32_e32 v7, vcc, v22, v1
	v_addc_co_u32_e32 v8, vcc, v23, v2, vcc
	global_load_dwordx4 v[1:4], v[7:8], off
	s_waitcnt vmcnt(0)
	v_lshrrev_b32_e32 v44, 16, v1
	v_lshrrev_b32_e32 v43, 16, v2
	v_lshrrev_b32_e32 v42, 16, v3
	s_and_saveexec_b64 s[12:13], s[0:1]
	s_cbranch_execz .LBB79_43
; %bb.42:                               ;   in Loop: Header=BB79_40 Depth=1
	v_cmp_gt_i32_e32 vcc, s33, v26
	v_cndmask_b32_e32 v1, 0, v1, vcc
	v_cmp_gt_i32_e32 vcc, s33, v33
	v_cndmask_b32_e32 v44, 0, v44, vcc
	;; [unrolled: 2-line block ×6, first 2 shown]
	v_cmp_gt_i32_e32 vcc, s33, v28
	v_cndmask_b32_sdwa v45, v20, v4, vcc dst_sel:DWORD dst_unused:UNUSED_PAD src0_sel:DWORD src1_sel:WORD_0
	v_and_b32_e32 v4, 0xffff0000, v4
	v_cmp_gt_i32_e32 vcc, s33, v27
	v_cndmask_b32_e32 v4, 0, v4, vcc
	v_or_b32_e32 v4, v45, v4
.LBB79_43:                              ;   in Loop: Header=BB79_40 Depth=1
	s_or_b64 exec, exec, s[12:13]
	v_and_b32_e32 v34, 0xffff, v34
	v_lshl_or_b32 v35, v35, 16, v34
	v_and_b32_e32 v34, 0xffff, v36
	v_lshl_or_b32 v36, v37, 16, v34
	v_and_b32_e32 v34, 0xffff, v38
	v_lshlrev_b32_e32 v38, 16, v44
	v_and_or_b32 v1, v1, s24, v38
	v_lshlrev_b32_e32 v38, 16, v43
	v_and_or_b32 v2, v2, s24, v38
	v_lshlrev_b32_e32 v38, 16, v42
	v_lshl_or_b32 v37, v39, 16, v34
	v_and_b32_e32 v34, 0xffff, v40
	v_and_or_b32 v3, v3, s24, v38
	;;#ASMSTART
	v_pk_mul_f16 v1, v35, v1;

	;;#ASMEND
	v_lshl_or_b32 v34, v41, 16, v34
	;;#ASMSTART
	v_pk_mul_f16 v2, v36, v2;

	;;#ASMEND
	;;#ASMSTART
	v_pk_mul_f16 v3, v37, v3;

	;;#ASMEND
	;; [unrolled: 4-line block ×3, first 2 shown]
	;;#ASMSTART
	v_pk_add_f16 v1, v1, v2;

	;;#ASMEND
	;;#ASMSTART
	v_pk_add_f16 v1, v1, v3;

	;;#ASMEND
	;; [unrolled: 4-line block ×3, first 2 shown]
	v_lshrrev_b32_e32 v2, 16, v1
	v_and_b32_e32 v1, 0xffff, v1
	;;#ASMSTART
	v_cvt_f32_f16 v38, v1;
	;;#ASMEND
	;;#ASMSTART
	v_cvt_f32_f16 v39, v2;
	;;#ASMEND
	global_load_dwordx4 v[1:4], v[7:8], off offset:1024
	s_waitcnt vmcnt(0)
	v_lshrrev_b32_e32 v42, 16, v1
	v_lshrrev_b32_e32 v41, 16, v2
	;; [unrolled: 1-line block ×3, first 2 shown]
	s_and_saveexec_b64 s[12:13], s[0:1]
	s_cbranch_execz .LBB79_45
; %bb.44:                               ;   in Loop: Header=BB79_40 Depth=1
	v_cmp_gt_i32_e32 vcc, s33, v26
	v_cndmask_b32_e32 v1, 0, v1, vcc
	v_cmp_gt_i32_e32 vcc, s33, v33
	v_cndmask_b32_e32 v42, 0, v42, vcc
	;; [unrolled: 2-line block ×6, first 2 shown]
	v_cmp_gt_i32_e32 vcc, s33, v28
	v_cndmask_b32_sdwa v43, v20, v4, vcc dst_sel:DWORD dst_unused:UNUSED_PAD src0_sel:DWORD src1_sel:WORD_0
	v_and_b32_e32 v4, 0xffff0000, v4
	v_cmp_gt_i32_e32 vcc, s33, v27
	v_cndmask_b32_e32 v4, 0, v4, vcc
	v_or_b32_e32 v4, v43, v4
.LBB79_45:                              ;   in Loop: Header=BB79_40 Depth=1
	s_or_b64 exec, exec, s[12:13]
	v_lshlrev_b32_e32 v42, 16, v42
	v_and_or_b32 v1, v1, s24, v42
	v_lshlrev_b32_e32 v41, 16, v41
	v_lshlrev_b32_e32 v40, 16, v40
	v_and_or_b32 v2, v2, s24, v41
	v_and_or_b32 v3, v3, s24, v40
	;;#ASMSTART
	v_pk_mul_f16 v1, v35, v1;

	;;#ASMEND
	;;#ASMSTART
	v_pk_mul_f16 v2, v36, v2;

	;;#ASMEND
	;; [unrolled: 4-line block ×4, first 2 shown]
	;;#ASMSTART
	v_pk_add_f16 v1, v1, v2;

	;;#ASMEND
	;;#ASMSTART
	v_pk_add_f16 v1, v1, v3;

	;;#ASMEND
	;; [unrolled: 4-line block ×3, first 2 shown]
	v_lshrrev_b32_e32 v2, 16, v1
	v_and_b32_e32 v1, 0xffff, v1
	;;#ASMSTART
	v_cvt_f32_f16 v40, v1;
	;;#ASMEND
	;;#ASMSTART
	v_cvt_f32_f16 v41, v2;
	;;#ASMEND
	global_load_dwordx4 v[1:4], v[7:8], off offset:2048
	s_waitcnt vmcnt(0)
	v_lshrrev_b32_e32 v44, 16, v1
	v_lshrrev_b32_e32 v43, 16, v2
	;; [unrolled: 1-line block ×3, first 2 shown]
	s_and_saveexec_b64 s[12:13], s[0:1]
	s_cbranch_execz .LBB79_47
; %bb.46:                               ;   in Loop: Header=BB79_40 Depth=1
	v_cmp_gt_i32_e32 vcc, s33, v26
	v_cndmask_b32_e32 v1, 0, v1, vcc
	v_cmp_gt_i32_e32 vcc, s33, v33
	v_cndmask_b32_e32 v44, 0, v44, vcc
	;; [unrolled: 2-line block ×6, first 2 shown]
	v_cmp_gt_i32_e32 vcc, s33, v28
	v_cndmask_b32_sdwa v45, v20, v4, vcc dst_sel:DWORD dst_unused:UNUSED_PAD src0_sel:DWORD src1_sel:WORD_0
	v_and_b32_e32 v4, 0xffff0000, v4
	v_cmp_gt_i32_e32 vcc, s33, v27
	v_cndmask_b32_e32 v4, 0, v4, vcc
	v_or_b32_e32 v4, v45, v4
.LBB79_47:                              ;   in Loop: Header=BB79_40 Depth=1
	s_or_b64 exec, exec, s[12:13]
	v_lshlrev_b32_e32 v44, 16, v44
	v_and_or_b32 v1, v1, s24, v44
	v_lshlrev_b32_e32 v43, 16, v43
	v_lshlrev_b32_e32 v42, 16, v42
	v_and_or_b32 v2, v2, s24, v43
	v_and_or_b32 v3, v3, s24, v42
	;;#ASMSTART
	v_pk_mul_f16 v1, v35, v1;

	;;#ASMEND
	;;#ASMSTART
	v_pk_mul_f16 v2, v36, v2;

	;;#ASMEND
	;; [unrolled: 4-line block ×4, first 2 shown]
	;;#ASMSTART
	v_pk_add_f16 v1, v1, v2;

	;;#ASMEND
	;;#ASMSTART
	v_pk_add_f16 v1, v1, v3;

	;;#ASMEND
	;; [unrolled: 4-line block ×3, first 2 shown]
	v_lshrrev_b32_e32 v2, 16, v1
	v_and_b32_e32 v1, 0xffff, v1
	;;#ASMSTART
	v_cvt_f32_f16 v42, v1;
	;;#ASMEND
	;;#ASMSTART
	v_cvt_f32_f16 v43, v2;
	;;#ASMEND
	global_load_dwordx4 v[1:4], v[7:8], off offset:3072
	s_waitcnt vmcnt(0)
	v_lshrrev_b32_e32 v46, 16, v1
	v_lshrrev_b32_e32 v45, 16, v2
	;; [unrolled: 1-line block ×3, first 2 shown]
	s_and_saveexec_b64 s[12:13], s[0:1]
	s_cbranch_execz .LBB79_49
; %bb.48:                               ;   in Loop: Header=BB79_40 Depth=1
	v_cmp_gt_i32_e32 vcc, s33, v26
	v_cndmask_b32_e32 v1, 0, v1, vcc
	v_cmp_gt_i32_e32 vcc, s33, v33
	v_cndmask_b32_e32 v46, 0, v46, vcc
	;; [unrolled: 2-line block ×6, first 2 shown]
	v_cmp_gt_i32_e32 vcc, s33, v28
	v_cndmask_b32_sdwa v47, v20, v4, vcc dst_sel:DWORD dst_unused:UNUSED_PAD src0_sel:DWORD src1_sel:WORD_0
	v_and_b32_e32 v4, 0xffff0000, v4
	v_cmp_gt_i32_e32 vcc, s33, v27
	v_cndmask_b32_e32 v4, 0, v4, vcc
	v_or_b32_e32 v4, v47, v4
.LBB79_49:                              ;   in Loop: Header=BB79_40 Depth=1
	s_or_b64 exec, exec, s[12:13]
	v_lshlrev_b32_e32 v46, 16, v46
	v_and_or_b32 v1, v1, s24, v46
	v_lshlrev_b32_e32 v45, 16, v45
	v_lshlrev_b32_e32 v44, 16, v44
	v_and_or_b32 v2, v2, s24, v45
	v_and_or_b32 v3, v3, s24, v44
	;;#ASMSTART
	v_pk_mul_f16 v1, v35, v1;

	;;#ASMEND
	;;#ASMSTART
	v_pk_mul_f16 v2, v36, v2;

	;;#ASMEND
	;; [unrolled: 4-line block ×4, first 2 shown]
	;;#ASMSTART
	v_pk_add_f16 v1, v1, v2;

	;;#ASMEND
	;;#ASMSTART
	v_pk_add_f16 v1, v1, v3;

	;;#ASMEND
	;; [unrolled: 4-line block ×3, first 2 shown]
	v_lshrrev_b32_e32 v2, 16, v1
	v_and_b32_e32 v1, 0xffff, v1
	;;#ASMSTART
	v_cvt_f32_f16 v44, v1;
	;;#ASMEND
	v_add_co_u32_e32 v1, vcc, 0x1000, v7
	;;#ASMSTART
	v_cvt_f32_f16 v45, v2;
	;;#ASMEND
	v_addc_co_u32_e32 v2, vcc, 0, v8, vcc
	global_load_dwordx4 v[1:4], v[1:2], off
	s_waitcnt vmcnt(0)
	v_lshrrev_b32_e32 v48, 16, v1
	v_lshrrev_b32_e32 v47, 16, v2
	;; [unrolled: 1-line block ×3, first 2 shown]
	s_and_saveexec_b64 s[12:13], s[0:1]
	s_cbranch_execz .LBB79_51
; %bb.50:                               ;   in Loop: Header=BB79_40 Depth=1
	v_cmp_gt_i32_e32 vcc, s33, v26
	v_cndmask_b32_e32 v1, 0, v1, vcc
	v_cmp_gt_i32_e32 vcc, s33, v33
	v_cndmask_b32_e32 v48, 0, v48, vcc
	;; [unrolled: 2-line block ×6, first 2 shown]
	v_cmp_gt_i32_e32 vcc, s33, v28
	v_cndmask_b32_sdwa v49, v20, v4, vcc dst_sel:DWORD dst_unused:UNUSED_PAD src0_sel:DWORD src1_sel:WORD_0
	v_and_b32_e32 v4, 0xffff0000, v4
	v_cmp_gt_i32_e32 vcc, s33, v27
	v_cndmask_b32_e32 v4, 0, v4, vcc
	v_or_b32_e32 v4, v49, v4
.LBB79_51:                              ;   in Loop: Header=BB79_40 Depth=1
	s_or_b64 exec, exec, s[12:13]
	v_lshlrev_b32_e32 v48, 16, v48
	v_and_or_b32 v1, v1, s24, v48
	v_lshlrev_b32_e32 v47, 16, v47
	v_lshlrev_b32_e32 v46, 16, v46
	v_and_or_b32 v2, v2, s24, v47
	v_and_or_b32 v3, v3, s24, v46
	;;#ASMSTART
	v_pk_mul_f16 v1, v35, v1;

	;;#ASMEND
	;;#ASMSTART
	v_pk_mul_f16 v2, v36, v2;

	;;#ASMEND
	;; [unrolled: 4-line block ×4, first 2 shown]
	;;#ASMSTART
	v_pk_add_f16 v1, v1, v2;

	;;#ASMEND
	;;#ASMSTART
	v_pk_add_f16 v1, v1, v3;

	;;#ASMEND
	;; [unrolled: 4-line block ×3, first 2 shown]
	v_lshrrev_b32_e32 v2, 16, v1
	v_and_b32_e32 v1, 0xffff, v1
	;;#ASMSTART
	v_cvt_f32_f16 v46, v1;
	;;#ASMEND
	v_add_co_u32_e32 v1, vcc, 0x1000, v7
	;;#ASMSTART
	v_cvt_f32_f16 v47, v2;
	;;#ASMEND
	v_addc_co_u32_e32 v2, vcc, 0, v8, vcc
	global_load_dwordx4 v[1:4], v[1:2], off offset:1024
	s_waitcnt vmcnt(0)
	v_lshrrev_b32_e32 v48, 16, v1
	v_lshrrev_b32_e32 v8, 16, v2
	;; [unrolled: 1-line block ×3, first 2 shown]
	s_and_saveexec_b64 s[12:13], s[0:1]
	s_cbranch_execz .LBB79_38
; %bb.52:                               ;   in Loop: Header=BB79_40 Depth=1
	v_cmp_gt_i32_e32 vcc, s33, v26
	v_cndmask_b32_e32 v1, 0, v1, vcc
	v_cmp_gt_i32_e32 vcc, s33, v33
	v_cndmask_b32_e32 v48, 0, v48, vcc
	;; [unrolled: 2-line block ×6, first 2 shown]
	v_cmp_gt_i32_e32 vcc, s33, v28
	v_cndmask_b32_sdwa v26, v20, v4, vcc dst_sel:DWORD dst_unused:UNUSED_PAD src0_sel:DWORD src1_sel:WORD_0
	v_and_b32_e32 v4, 0xffff0000, v4
	v_cmp_gt_i32_e32 vcc, s33, v27
	v_cndmask_b32_e32 v4, 0, v4, vcc
	v_or_b32_e32 v4, v26, v4
	s_branch .LBB79_38
.LBB79_53:
	s_or_b64 exec, exec, s[4:5]
.LBB79_54:
	s_or_b64 exec, exec, s[2:3]
	ds_bpermute_b32 v1, v12, v19
	ds_bpermute_b32 v3, v12, v17
	;; [unrolled: 1-line block ×5, first 2 shown]
	s_waitcnt lgkmcnt(4)
	v_add_f32_e32 v5, v19, v1
	ds_bpermute_b32 v1, v12, v14
	s_waitcnt lgkmcnt(4)
	v_add_f32_e32 v4, v17, v3
	s_waitcnt lgkmcnt(3)
	v_add_f32_e32 v3, v16, v7
	v_and_b32_e32 v7, 0x3c1, v0
	s_waitcnt lgkmcnt(2)
	v_add_f32_e32 v6, v18, v2
	s_waitcnt lgkmcnt(1)
	v_add_f32_e32 v2, v15, v8
	;; [unrolled: 2-line block ×3, first 2 shown]
	v_cmp_eq_u32_e32 vcc, 64, v7
	s_barrier
	s_and_saveexec_b64 s[0:1], vcc
	s_cbranch_execz .LBB79_56
; %bb.55:
	v_mov_b32_e32 v8, 0x190
	v_lshl_add_u32 v8, v11, 1, v8
	ds_write2_b32 v8, v5, v6 offset1:32
	ds_write2_b32 v8, v4, v3 offset0:64 offset1:96
	ds_write2_b32 v8, v2, v1 offset0:128 offset1:160
.LBB79_56:
	s_or_b64 exec, exec, s[0:1]
	v_cmp_gt_u32_e32 vcc, 64, v0
	v_lshrrev_b32_e32 v0, 1, v0
	s_waitcnt lgkmcnt(0)
	s_barrier
	s_and_saveexec_b64 s[0:1], vcc
	s_cbranch_execz .LBB79_65
; %bb.57:
	v_mov_b32_e32 v8, 0x190
	v_cmp_eq_u32_e32 vcc, 0, v13
	v_lshl_add_u32 v8, v0, 2, v8
	s_and_saveexec_b64 s[2:3], vcc
	s_cbranch_execnz .LBB79_68
; %bb.58:
	s_or_b64 exec, exec, s[2:3]
	s_and_saveexec_b64 s[2:3], vcc
	s_cbranch_execnz .LBB79_69
.LBB79_59:
	s_or_b64 exec, exec, s[2:3]
	s_and_saveexec_b64 s[2:3], vcc
	s_cbranch_execnz .LBB79_70
.LBB79_60:
	s_or_b64 exec, exec, s[2:3]
	s_and_saveexec_b64 s[2:3], vcc
	s_cbranch_execnz .LBB79_71
.LBB79_61:
	s_or_b64 exec, exec, s[2:3]
	s_and_saveexec_b64 s[2:3], vcc
	s_cbranch_execnz .LBB79_72
.LBB79_62:
	s_or_b64 exec, exec, s[2:3]
	s_and_saveexec_b64 s[2:3], vcc
	s_cbranch_execz .LBB79_64
.LBB79_63:
	ds_read_b32 v8, v8 offset:640
	s_waitcnt lgkmcnt(0)
	v_add_f32_e32 v1, v1, v8
.LBB79_64:
	s_or_b64 exec, exec, s[2:3]
.LBB79_65:
	s_or_b64 exec, exec, s[0:1]
	v_cmp_eq_u32_e32 vcc, 0, v7
	s_barrier
	s_and_saveexec_b64 s[0:1], vcc
	s_cbranch_execz .LBB79_67
; %bb.66:
	s_mul_i32 s0, s10, s11
	s_mul_i32 s0, s0, s9
	s_mulk_i32 s0, 0xc0
	s_ashr_i32 s1, s0, 31
	s_lshl_b64 s[0:1], s[0:1], 1
	s_add_u32 s2, s22, s0
	s_mul_i32 s0, s11, s20
	s_addc_u32 s3, s23, s1
	s_ashr_i32 s1, s0, 31
	s_lshl_b64 s[0:1], s[0:1], 1
	s_add_u32 s2, s2, s0
	s_mul_i32 s0, s8, 0xc0
	s_addc_u32 s3, s3, s1
	s_ashr_i32 s1, s0, 31
	s_lshl_b64 s[0:1], s[0:1], 1
	s_add_u32 s0, s2, s0
	s_addc_u32 s1, s3, s1
	v_lshlrev_b32_e32 v0, 1, v0
	;;#ASMSTART
	v_cvt_f16_f32 v5, v5;

	;;#ASMEND
	global_store_short v0, v5, s[0:1]
	;;#ASMSTART
	v_cvt_f16_f32 v5, v6;

	;;#ASMEND
	global_store_short v0, v5, s[0:1] offset:64
	;;#ASMSTART
	v_cvt_f16_f32 v4, v4;

	;;#ASMEND
	global_store_short v0, v4, s[0:1] offset:128
	;; [unrolled: 5-line block ×5, first 2 shown]
.LBB79_67:
	s_endpgm
.LBB79_68:
	ds_read_b32 v9, v8
	s_waitcnt lgkmcnt(0)
	v_add_f32_e32 v5, v5, v9
	s_or_b64 exec, exec, s[2:3]
	s_and_saveexec_b64 s[2:3], vcc
	s_cbranch_execz .LBB79_59
.LBB79_69:
	ds_read_b32 v9, v8 offset:128
	s_waitcnt lgkmcnt(0)
	v_add_f32_e32 v6, v6, v9
	s_or_b64 exec, exec, s[2:3]
	s_and_saveexec_b64 s[2:3], vcc
	s_cbranch_execz .LBB79_60
.LBB79_70:
	ds_read_b32 v9, v8 offset:256
	s_waitcnt lgkmcnt(0)
	v_add_f32_e32 v4, v4, v9
	s_or_b64 exec, exec, s[2:3]
	s_and_saveexec_b64 s[2:3], vcc
	s_cbranch_execz .LBB79_61
.LBB79_71:
	ds_read_b32 v9, v8 offset:384
	s_waitcnt lgkmcnt(0)
	v_add_f32_e32 v3, v3, v9
	s_or_b64 exec, exec, s[2:3]
	s_and_saveexec_b64 s[2:3], vcc
	s_cbranch_execz .LBB79_62
.LBB79_72:
	ds_read_b32 v9, v8 offset:512
	s_waitcnt lgkmcnt(0)
	v_add_f32_e32 v2, v2, v9
	s_or_b64 exec, exec, s[2:3]
	s_and_saveexec_b64 s[2:3], vcc
	s_cbranch_execnz .LBB79_63
	s_branch .LBB79_64
	.section	.rodata,"a",@progbits
	.p2align	6, 0x0
	.amdhsa_kernel _ZN4vllm25paged_attention_v1_kernelIttLi192ELi16ELi128ELNS_18Fp8KVCacheDataTypeE0ELb1EEEvPT_PKS2_PKT0_S8_ifPKiSA_iPKfiiiSC_SC_iiiii
		.amdhsa_group_segment_fixed_size 400
		.amdhsa_private_segment_fixed_size 0
		.amdhsa_kernarg_size 384
		.amdhsa_user_sgpr_count 6
		.amdhsa_user_sgpr_private_segment_buffer 1
		.amdhsa_user_sgpr_dispatch_ptr 0
		.amdhsa_user_sgpr_queue_ptr 0
		.amdhsa_user_sgpr_kernarg_segment_ptr 1
		.amdhsa_user_sgpr_dispatch_id 0
		.amdhsa_user_sgpr_flat_scratch_init 0
		.amdhsa_user_sgpr_private_segment_size 0
		.amdhsa_uses_dynamic_stack 0
		.amdhsa_system_sgpr_private_segment_wavefront_offset 0
		.amdhsa_system_sgpr_workgroup_id_x 1
		.amdhsa_system_sgpr_workgroup_id_y 1
		.amdhsa_system_sgpr_workgroup_id_z 1
		.amdhsa_system_sgpr_workgroup_info 0
		.amdhsa_system_vgpr_workitem_id 0
		.amdhsa_next_free_vgpr 54
		.amdhsa_next_free_sgpr 45
		.amdhsa_reserve_vcc 1
		.amdhsa_reserve_flat_scratch 0
		.amdhsa_float_round_mode_32 0
		.amdhsa_float_round_mode_16_64 0
		.amdhsa_float_denorm_mode_32 3
		.amdhsa_float_denorm_mode_16_64 3
		.amdhsa_dx10_clamp 1
		.amdhsa_ieee_mode 1
		.amdhsa_fp16_overflow 0
		.amdhsa_exception_fp_ieee_invalid_op 0
		.amdhsa_exception_fp_denorm_src 0
		.amdhsa_exception_fp_ieee_div_zero 0
		.amdhsa_exception_fp_ieee_overflow 0
		.amdhsa_exception_fp_ieee_underflow 0
		.amdhsa_exception_fp_ieee_inexact 0
		.amdhsa_exception_int_div_zero 0
	.end_amdhsa_kernel
	.section	.text._ZN4vllm25paged_attention_v1_kernelIttLi192ELi16ELi128ELNS_18Fp8KVCacheDataTypeE0ELb1EEEvPT_PKS2_PKT0_S8_ifPKiSA_iPKfiiiSC_SC_iiiii,"axG",@progbits,_ZN4vllm25paged_attention_v1_kernelIttLi192ELi16ELi128ELNS_18Fp8KVCacheDataTypeE0ELb1EEEvPT_PKS2_PKT0_S8_ifPKiSA_iPKfiiiSC_SC_iiiii,comdat
.Lfunc_end79:
	.size	_ZN4vllm25paged_attention_v1_kernelIttLi192ELi16ELi128ELNS_18Fp8KVCacheDataTypeE0ELb1EEEvPT_PKS2_PKT0_S8_ifPKiSA_iPKfiiiSC_SC_iiiii, .Lfunc_end79-_ZN4vllm25paged_attention_v1_kernelIttLi192ELi16ELi128ELNS_18Fp8KVCacheDataTypeE0ELb1EEEvPT_PKS2_PKT0_S8_ifPKiSA_iPKfiiiSC_SC_iiiii
                                        ; -- End function
	.set _ZN4vllm25paged_attention_v1_kernelIttLi192ELi16ELi128ELNS_18Fp8KVCacheDataTypeE0ELb1EEEvPT_PKS2_PKT0_S8_ifPKiSA_iPKfiiiSC_SC_iiiii.num_vgpr, 54
	.set _ZN4vllm25paged_attention_v1_kernelIttLi192ELi16ELi128ELNS_18Fp8KVCacheDataTypeE0ELb1EEEvPT_PKS2_PKT0_S8_ifPKiSA_iPKfiiiSC_SC_iiiii.num_agpr, 0
	.set _ZN4vllm25paged_attention_v1_kernelIttLi192ELi16ELi128ELNS_18Fp8KVCacheDataTypeE0ELb1EEEvPT_PKS2_PKT0_S8_ifPKiSA_iPKfiiiSC_SC_iiiii.numbered_sgpr, 45
	.set _ZN4vllm25paged_attention_v1_kernelIttLi192ELi16ELi128ELNS_18Fp8KVCacheDataTypeE0ELb1EEEvPT_PKS2_PKT0_S8_ifPKiSA_iPKfiiiSC_SC_iiiii.num_named_barrier, 0
	.set _ZN4vllm25paged_attention_v1_kernelIttLi192ELi16ELi128ELNS_18Fp8KVCacheDataTypeE0ELb1EEEvPT_PKS2_PKT0_S8_ifPKiSA_iPKfiiiSC_SC_iiiii.private_seg_size, 0
	.set _ZN4vllm25paged_attention_v1_kernelIttLi192ELi16ELi128ELNS_18Fp8KVCacheDataTypeE0ELb1EEEvPT_PKS2_PKT0_S8_ifPKiSA_iPKfiiiSC_SC_iiiii.uses_vcc, 1
	.set _ZN4vllm25paged_attention_v1_kernelIttLi192ELi16ELi128ELNS_18Fp8KVCacheDataTypeE0ELb1EEEvPT_PKS2_PKT0_S8_ifPKiSA_iPKfiiiSC_SC_iiiii.uses_flat_scratch, 0
	.set _ZN4vllm25paged_attention_v1_kernelIttLi192ELi16ELi128ELNS_18Fp8KVCacheDataTypeE0ELb1EEEvPT_PKS2_PKT0_S8_ifPKiSA_iPKfiiiSC_SC_iiiii.has_dyn_sized_stack, 0
	.set _ZN4vllm25paged_attention_v1_kernelIttLi192ELi16ELi128ELNS_18Fp8KVCacheDataTypeE0ELb1EEEvPT_PKS2_PKT0_S8_ifPKiSA_iPKfiiiSC_SC_iiiii.has_recursion, 0
	.set _ZN4vllm25paged_attention_v1_kernelIttLi192ELi16ELi128ELNS_18Fp8KVCacheDataTypeE0ELb1EEEvPT_PKS2_PKT0_S8_ifPKiSA_iPKfiiiSC_SC_iiiii.has_indirect_call, 0
	.section	.AMDGPU.csdata,"",@progbits
; Kernel info:
; codeLenInByte = 7248
; TotalNumSgprs: 49
; NumVgprs: 54
; ScratchSize: 0
; MemoryBound: 0
; FloatMode: 240
; IeeeMode: 1
; LDSByteSize: 400 bytes/workgroup (compile time only)
; SGPRBlocks: 6
; VGPRBlocks: 13
; NumSGPRsForWavesPerEU: 49
; NumVGPRsForWavesPerEU: 54
; Occupancy: 4
; WaveLimiterHint : 1
; COMPUTE_PGM_RSRC2:SCRATCH_EN: 0
; COMPUTE_PGM_RSRC2:USER_SGPR: 6
; COMPUTE_PGM_RSRC2:TRAP_HANDLER: 0
; COMPUTE_PGM_RSRC2:TGID_X_EN: 1
; COMPUTE_PGM_RSRC2:TGID_Y_EN: 1
; COMPUTE_PGM_RSRC2:TGID_Z_EN: 1
; COMPUTE_PGM_RSRC2:TIDIG_COMP_CNT: 0
	.section	.text._ZN4vllm25paged_attention_v1_kernelIttLi256ELi16ELi128ELNS_18Fp8KVCacheDataTypeE0ELb1EEEvPT_PKS2_PKT0_S8_ifPKiSA_iPKfiiiSC_SC_iiiii,"axG",@progbits,_ZN4vllm25paged_attention_v1_kernelIttLi256ELi16ELi128ELNS_18Fp8KVCacheDataTypeE0ELb1EEEvPT_PKS2_PKT0_S8_ifPKiSA_iPKfiiiSC_SC_iiiii,comdat
	.protected	_ZN4vllm25paged_attention_v1_kernelIttLi256ELi16ELi128ELNS_18Fp8KVCacheDataTypeE0ELb1EEEvPT_PKS2_PKT0_S8_ifPKiSA_iPKfiiiSC_SC_iiiii ; -- Begin function _ZN4vllm25paged_attention_v1_kernelIttLi256ELi16ELi128ELNS_18Fp8KVCacheDataTypeE0ELb1EEEvPT_PKS2_PKT0_S8_ifPKiSA_iPKfiiiSC_SC_iiiii
	.globl	_ZN4vllm25paged_attention_v1_kernelIttLi256ELi16ELi128ELNS_18Fp8KVCacheDataTypeE0ELb1EEEvPT_PKS2_PKT0_S8_ifPKiSA_iPKfiiiSC_SC_iiiii
	.p2align	8
	.type	_ZN4vllm25paged_attention_v1_kernelIttLi256ELi16ELi128ELNS_18Fp8KVCacheDataTypeE0ELb1EEEvPT_PKS2_PKT0_S8_ifPKiSA_iPKfiiiSC_SC_iiiii,@function
_ZN4vllm25paged_attention_v1_kernelIttLi256ELi16ELi128ELNS_18Fp8KVCacheDataTypeE0ELb1EEEvPT_PKS2_PKT0_S8_ifPKiSA_iPKfiiiSC_SC_iiiii: ; @_ZN4vllm25paged_attention_v1_kernelIttLi256ELi16ELi128ELNS_18Fp8KVCacheDataTypeE0ELb1EEEvPT_PKS2_PKT0_S8_ifPKiSA_iPKfiiiSC_SC_iiiii
; %bb.0:
	s_load_dword s9, s[4:5], 0x80
	s_load_dwordx2 s[0:1], s[4:5], 0x30
	s_load_dwordx2 s[30:31], s[4:5], 0x20
	s_mov_b32 s10, s7
	s_ashr_i32 s11, s7, 31
	s_lshl_b64 s[2:3], s[10:11], 2
	s_waitcnt lgkmcnt(0)
	s_add_u32 s0, s0, s2
	s_addc_u32 s1, s1, s3
	s_abs_i32 s2, s30
	v_cvt_f32_u32_e32 v1, s2
	s_sub_i32 s11, 0, s2
	s_abs_i32 s7, s9
	s_xor_b32 s3, s9, s30
	v_rcp_iflag_f32_e32 v1, v1
	s_ashr_i32 s3, s3, 31
	s_mov_b32 s42, 0
	v_mul_f32_e32 v1, 0x4f7ffffe, v1
	v_cvt_u32_f32_e32 v1, v1
	v_readfirstlane_b32 s12, v1
	s_mul_i32 s11, s11, s12
	s_mul_hi_u32 s11, s12, s11
	s_add_i32 s12, s12, s11
	s_mul_hi_u32 s11, s7, s12
	s_mul_i32 s12, s11, s2
	s_sub_i32 s7, s7, s12
	s_add_i32 s12, s11, 1
	s_sub_i32 s13, s7, s2
	s_cmp_ge_u32 s7, s2
	s_cselect_b32 s11, s12, s11
	s_cselect_b32 s7, s13, s7
	s_add_i32 s12, s11, 1
	s_cmp_ge_u32 s7, s2
	s_cselect_b32 s2, s12, s11
	s_xor_b32 s2, s2, s3
	s_sub_i32 s12, s2, s3
	s_abs_i32 s11, s12
	v_cvt_f32_u32_e32 v1, s11
	s_load_dwordx2 s[2:3], s[4:5], 0x40
	s_sub_i32 s7, 0, s11
	s_abs_i32 s22, s6
	v_rcp_iflag_f32_e32 v1, v1
	v_mul_f32_e32 v1, 0x4f7ffffe, v1
	v_cvt_u32_f32_e32 v1, v1
	v_readfirstlane_b32 s13, v1
	s_mul_i32 s7, s7, s13
	s_mul_hi_u32 s7, s13, s7
	s_add_i32 s13, s13, s7
	s_waitcnt lgkmcnt(0)
	s_cmp_eq_u64 s[2:3], 0
	s_mul_hi_u32 s23, s22, s13
	s_cbranch_scc1 .LBB80_2
; %bb.1:
	s_ashr_i32 s7, s6, 31
	s_lshl_b64 s[14:15], s[6:7], 2
	s_add_u32 s2, s2, s14
	s_addc_u32 s3, s3, s15
	s_load_dword s42, s[2:3], 0x0
.LBB80_2:
	s_load_dword s33, s[0:1], 0x0
	s_ashr_i32 s7, s12, 31
	s_load_dwordx4 s[12:15], s[4:5], 0x48
	s_movk_i32 s0, 0x80
	s_ashr_i32 s2, s6, 31
	v_and_b32_e32 v1, 3, v0
	s_lshl_b32 s20, s6, 8
	v_cmp_gt_u32_e32 vcc, s0, v0
	v_lshlrev_b32_e32 v2, 2, v0
	s_and_saveexec_b64 s[0:1], vcc
	s_cbranch_execz .LBB80_4
; %bb.3:
	s_load_dwordx2 s[16:17], s[4:5], 0x8
	s_waitcnt lgkmcnt(0)
	s_mul_i32 s18, s12, s10
	s_ashr_i32 s19, s18, 31
	s_lshl_b64 s[18:19], s[18:19], 1
	v_and_b32_e32 v4, 0x3fc, v0
	s_add_u32 s3, s16, s18
	s_addc_u32 s12, s17, s19
	s_ashr_i32 s21, s20, 31
	s_lshl_b64 s[16:17], s[20:21], 1
	s_add_u32 s16, s3, s16
	s_addc_u32 s17, s12, s17
	global_load_dword v3, v2, s[16:17]
	v_lshl_add_u32 v4, v1, 7, v4
	s_waitcnt vmcnt(0)
	ds_write_b32 v4, v3
.LBB80_4:
	s_or_b64 exec, exec, s[0:1]
	s_mul_i32 s1, s23, s11
	s_sub_i32 s1, s22, s1
	s_xor_b32 s0, s2, s7
	s_add_i32 s2, s23, 1
	s_sub_i32 s7, s1, s11
	s_load_dwordx4 s[16:19], s[4:5], 0x68
	s_load_dword s3, s[4:5], 0x78
	s_cmp_ge_u32 s1, s11
	s_cselect_b32 s2, s2, s23
	s_cselect_b32 s1, s7, s1
	s_add_i32 s7, s2, 1
	s_cmp_ge_u32 s1, s11
	s_cselect_b32 s1, s7, s2
	s_waitcnt lgkmcnt(0)
	s_abs_i32 s21, s19
	v_cvt_f32_u32_e32 v3, s21
	s_xor_b32 s1, s1, s0
	s_sub_i32 s2, s1, s0
	s_sub_i32 s0, 0, s21
	v_rcp_iflag_f32_e32 v3, v3
	s_add_i32 s11, s33, -1
	s_abs_i32 s7, s11
	v_mul_f32_e32 v3, 0x4f7ffffe, v3
	v_cvt_u32_f32_e32 v3, v3
	s_barrier
	v_readfirstlane_b32 s40, v3
	s_mul_i32 s0, s0, s40
	s_mul_hi_u32 s0, s40, s0
	s_add_i32 s40, s40, s0
	s_cmp_lt_i32 s3, 0
	s_mul_hi_u32 s12, s7, s40
	s_cbranch_scc0 .LBB80_6
; %bb.5:
	s_mul_i32 s0, s16, s30
	s_add_i32 s0, s2, s0
	s_mul_i32 s0, s0, s3
	s_sub_i32 s41, 1, s0
	s_mov_b64 s[0:1], 0
	s_branch .LBB80_7
.LBB80_6:
	s_mov_b64 s[0:1], -1
                                        ; implicit-def: $sgpr41
.LBB80_7:
	s_load_dwordx2 s[24:25], s[4:5], 0x28
	s_ashr_i32 s15, s11, 31
	s_andn2_b64 vcc, exec, s[0:1]
	s_ashr_i32 s19, s19, 31
	s_cbranch_vccnz .LBB80_9
; %bb.8:
	s_mul_i32 s0, s9, s16
	s_add_i32 s0, s0, s6
	s_mul_i32 s0, s0, s3
	s_add_i32 s41, s0, 1
.LBB80_9:
	s_load_dword s0, s[4:5], 0x38
	s_load_dwordx2 s[22:23], s[4:5], 0x0
	s_load_dwordx2 s[28:29], s[4:5], 0x18
	s_load_dword s11, s[4:5], 0x88
	s_xor_b32 s1, s15, s19
	s_waitcnt lgkmcnt(0)
	s_mul_i32 s26, s0, s10
	s_mul_i32 s0, s12, s21
	s_sub_i32 s0, s7, s0
	s_ashr_i32 s27, s26, 31
	s_add_i32 s3, s12, 1
	s_sub_i32 s6, s0, s21
	s_cmp_ge_u32 s0, s21
	s_cselect_b32 s3, s3, s12
	s_cselect_b32 s0, s6, s0
	s_add_i32 s6, s3, 1
	s_cmp_ge_u32 s0, s21
	s_cselect_b32 s0, s6, s3
	s_xor_b32 s0, s0, s1
	s_sub_i32 s12, s0, s1
	s_add_i32 s0, s33, 15
	s_ashr_i32 s1, s0, 31
	s_lshr_b32 s1, s1, 28
	s_add_i32 s0, s0, s1
	s_ashr_i32 s16, s0, 4
	v_lshrrev_b32_e32 v9, 6, v0
	v_cmp_gt_i32_e64 s[0:1], s16, v9
	v_mov_b32_e32 v11, 0xff7fffff
	s_mul_i32 s14, s2, s14
	v_lshrrev_b32_e32 v3, 4, v0
	v_lshlrev_b32_e32 v10, 4, v9
	v_mbcnt_lo_u32_b32 v4, -1, 0
	s_and_saveexec_b64 s[34:35], s[0:1]
	s_cbranch_execz .LBB80_21
; %bb.10:
	s_load_dwordx2 s[2:3], s[4:5], 0x10
	s_ashr_i32 s15, s14, 31
	s_sub_i32 s30, s12, s17
	s_lshl_b64 s[4:5], s[14:15], 1
	v_and_b32_e32 v2, 12, v2
	s_waitcnt lgkmcnt(0)
	s_add_u32 s2, s2, s4
	s_addc_u32 s3, s3, s5
	s_abs_i32 s15, s18
	v_cvt_f32_u32_e32 v5, s15
	v_mov_b32_e32 v7, s3
	s_sub_i32 s3, 0, s15
	s_lshl_b64 s[4:5], s[26:27], 2
	v_rcp_iflag_f32_e32 v6, v5
	v_bfe_u32 v5, v0, 2, 4
	s_add_u32 s4, s24, s4
	v_cmp_eq_u32_e32 vcc, 0, v1
	v_mul_f32_e32 v6, 0x4f7ffffe, v6
	v_cvt_u32_f32_e32 v11, v6
	v_lshlrev_b32_e32 v6, 4, v5
	s_addc_u32 s5, s25, s5
	v_mbcnt_hi_u32_b32 v17, -1, v4
	v_mul_lo_u32 v8, s3, v11
	v_add_co_u32_e64 v6, s[2:3], s2, v6
	v_addc_co_u32_e64 v7, s[2:3], 0, v7, s[2:3]
	v_mul_hi_u32 v12, v11, v8
	v_add_co_u32_e64 v6, s[2:3], v6, v2
	v_lshlrev_b32_e32 v8, 7, v1
	v_add_u32_e32 v12, v11, v12
	v_subrev_u32_e32 v11, s33, v5
	v_add_u32_e32 v14, 1, v11
	v_lshlrev_b32_e32 v11, 2, v5
	v_and_b32_e32 v1, 60, v3
	v_lshl_or_b32 v11, v9, 6, v11
	v_addc_co_u32_e64 v7, s[2:3], 0, v7, s[2:3]
	v_mov_b32_e32 v2, s5
	v_add_co_u32_e64 v1, s[4:5], s4, v1
	v_add_u32_e32 v15, 0x210, v11
	v_and_b32_e32 v11, 64, v17
	s_mov_b32 s43, s13
	v_cmp_neq_f32_e64 s[2:3], s42, 0
	v_addc_co_u32_e64 v2, s[4:5], 0, v2, s[4:5]
	v_lshlrev_b32_e32 v13, 4, v9
	v_mov_b32_e32 v16, 0xff7fffff
	s_mov_b64 s[36:37], 0
	s_movk_i32 s44, 0x1000
	v_add_u32_e32 v18, 64, v11
	v_xor_b32_e32 v19, 2, v17
	v_xor_b32_e32 v20, 1, v17
	v_mov_b32_e32 v11, 0xff7fffff
	v_mov_b32_e32 v21, v9
	s_branch .LBB80_13
.LBB80_11:                              ;   in Loop: Header=BB80_13 Depth=1
	s_or_b64 exec, exec, s[38:39]
.LBB80_12:                              ;   in Loop: Header=BB80_13 Depth=1
	s_or_b64 exec, exec, s[6:7]
	v_add_co_u32_e64 v1, s[4:5], 8, v1
	v_add_u32_e32 v21, 2, v21
	v_addc_co_u32_e64 v2, s[4:5], 0, v2, s[4:5]
	v_cmp_le_i32_e64 s[4:5], s16, v21
	v_add_u32_e32 v13, 32, v13
	s_or_b64 s[36:37], s[4:5], s[36:37]
	v_add_u32_e32 v15, 0x80, v15
	s_andn2_b64 exec, exec, s[36:37]
	s_cbranch_execz .LBB80_20
.LBB80_13:                              ; =>This Inner Loop Header: Depth=1
	v_mul_hi_u32 v22, v13, s40
	s_waitcnt lgkmcnt(0)
	v_mul_lo_u32 v23, v22, s21
	v_add_u32_e32 v24, 1, v22
	v_sub_u32_e32 v23, v13, v23
	v_cmp_le_u32_e64 s[4:5], s21, v23
	v_cndmask_b32_e64 v22, v22, v24, s[4:5]
	v_subrev_u32_e32 v24, s21, v23
	v_cndmask_b32_e64 v23, v23, v24, s[4:5]
	v_add_u32_e32 v24, 1, v22
	v_cmp_le_u32_e64 s[4:5], s21, v23
	v_cndmask_b32_e64 v22, v22, v24, s[4:5]
	v_xor_b32_e32 v22, s19, v22
	v_subrev_u32_e32 v22, s19, v22
	v_add_u32_e32 v23, s41, v22
	v_sub_u32_e32 v24, 0, v23
	v_max_i32_e32 v24, v23, v24
	v_mul_hi_u32 v25, v24, v12
	v_ashrrev_i32_e32 v23, 31, v23
	v_cmp_ge_i32_e64 s[6:7], s30, v22
	v_mul_lo_u32 v25, v25, s15
	v_sub_u32_e32 v24, v24, v25
	v_subrev_u32_e32 v25, s15, v24
	v_cmp_le_u32_e64 s[4:5], s15, v24
	v_cndmask_b32_e64 v24, v24, v25, s[4:5]
	v_subrev_u32_e32 v25, s15, v24
	v_cmp_le_u32_e64 s[4:5], s15, v24
	v_cndmask_b32_e64 v24, v24, v25, s[4:5]
	v_xor_b32_e32 v24, v24, v23
	v_sub_u32_e32 v23, v24, v23
	v_cmp_ne_u32_e64 s[4:5], 0, v23
	s_and_b64 s[4:5], s[4:5], s[6:7]
	s_and_saveexec_b64 s[6:7], s[4:5]
	s_xor_b64 s[4:5], exec, s[6:7]
	s_cbranch_execz .LBB80_17
; %bb.14:                               ;   in Loop: Header=BB80_13 Depth=1
	s_and_saveexec_b64 s[6:7], vcc
; %bb.15:                               ;   in Loop: Header=BB80_13 Depth=1
	ds_write_b32 v15, v16
; %bb.16:                               ;   in Loop: Header=BB80_13 Depth=1
	s_or_b64 exec, exec, s[6:7]
.LBB80_17:                              ;   in Loop: Header=BB80_13 Depth=1
	s_andn2_saveexec_b64 s[6:7], s[4:5]
	s_cbranch_execz .LBB80_12
; %bb.18:                               ;   in Loop: Header=BB80_13 Depth=1
	global_load_dword v22, v[1:2], off
	s_waitcnt vmcnt(0)
	v_mad_i64_i32 v[22:23], s[4:5], v22, s43, 0
	v_lshlrev_b64 v[22:23], 1, v[22:23]
	v_add_co_u32_e64 v22, s[4:5], v6, v22
	v_addc_co_u32_e64 v23, s[4:5], v7, v23, s[4:5]
	global_load_dword v26, v[22:23], off
	global_load_dword v28, v[22:23], off offset:256
	global_load_dword v53, v[22:23], off offset:512
	global_load_dword v52, v[22:23], off offset:768
	global_load_dword v51, v[22:23], off offset:1024
	global_load_dword v50, v[22:23], off offset:1280
	global_load_dword v49, v[22:23], off offset:1536
	global_load_dword v48, v[22:23], off offset:1792
	v_add_co_u32_e64 v54, s[4:5], s44, v22
	v_addc_co_u32_e64 v55, s[4:5], 0, v23, s[4:5]
	global_load_dword v47, v[22:23], off offset:2048
	global_load_dword v46, v[22:23], off offset:2304
	;; [unrolled: 1-line block ×8, first 2 shown]
	global_load_dword v39, v[54:55], off
	global_load_dword v38, v[54:55], off offset:256
	global_load_dword v37, v[54:55], off offset:512
	global_load_dword v36, v[54:55], off offset:768
	global_load_dword v35, v[54:55], off offset:1024
	global_load_dword v34, v[54:55], off offset:1280
	global_load_dword v33, v[54:55], off offset:1536
	global_load_dword v32, v[54:55], off offset:1792
	global_load_dword v31, v[54:55], off offset:2048
	global_load_dword v30, v[54:55], off offset:2304
	global_load_dword v29, v[54:55], off offset:2560
	global_load_dword v27, v[54:55], off offset:2816
	global_load_dword v25, v[54:55], off offset:3072
	global_load_dword v24, v[54:55], off offset:3328
	global_load_dword v23, v[54:55], off offset:3584
	global_load_dword v22, v[54:55], off offset:3840
	ds_read_b32 v54, v8
	v_cmp_lt_i32_e64 s[4:5], v19, v18
	s_waitcnt lgkmcnt(0)
	v_lshrrev_b32_e32 v55, 16, v54
	v_and_b32_e32 v54, 0xffff, v54
	;;#ASMSTART
	v_cvt_f32_f16 v54, v54;
	;;#ASMEND
	;;#ASMSTART
	v_cvt_f32_f16 v55, v55;
	;;#ASMEND
	s_waitcnt vmcnt(31)
	v_lshrrev_b32_e32 v57, 16, v26
	v_and_b32_e32 v26, 0xffff, v26
	;;#ASMSTART
	v_cvt_f32_f16 v56, v26;
	;;#ASMEND
	;;#ASMSTART
	v_cvt_f32_f16 v57, v57;
	;;#ASMEND
	ds_read_b32 v26, v8 offset:4
	s_waitcnt vmcnt(30)
	v_and_b32_e32 v59, 0xffff, v28
	v_lshrrev_b32_e32 v28, 16, v28
	s_waitcnt lgkmcnt(0)
	v_lshrrev_b32_e32 v58, 16, v26
	v_and_b32_e32 v26, 0xffff, v26
	;;#ASMSTART
	v_cvt_f32_f16 v26, v26;
	;;#ASMEND
	;;#ASMSTART
	v_cvt_f32_f16 v58, v58;
	;;#ASMEND
	;; [unrolled: 3-line block ×3, first 2 shown]
	v_mul_f32_e32 v26, v26, v59
	v_fmac_f32_e32 v26, v54, v56
	;;#ASMSTART
	v_cvt_f32_f16 v28, v28;
	;;#ASMEND
	ds_read_b32 v54, v8 offset:8
	v_mul_f32_e32 v28, v58, v28
	v_fmac_f32_e32 v28, v55, v57
	s_waitcnt vmcnt(29)
	v_and_b32_e32 v56, 0xffff, v53
	v_lshrrev_b32_e32 v53, 16, v53
	s_waitcnt lgkmcnt(0)
	v_lshrrev_b32_e32 v55, 16, v54
	v_and_b32_e32 v54, 0xffff, v54
	;;#ASMSTART
	v_cvt_f32_f16 v54, v54;
	;;#ASMEND
	;;#ASMSTART
	v_cvt_f32_f16 v55, v55;
	;;#ASMEND
	;;#ASMSTART
	v_cvt_f32_f16 v56, v56;
	;;#ASMEND
	;;#ASMSTART
	v_cvt_f32_f16 v53, v53;
	;;#ASMEND
	v_fmac_f32_e32 v28, v55, v53
	ds_read_b32 v53, v8 offset:12
	v_fmac_f32_e32 v26, v54, v56
	s_waitcnt vmcnt(28)
	v_and_b32_e32 v55, 0xffff, v52
	v_lshrrev_b32_e32 v52, 16, v52
	s_waitcnt lgkmcnt(0)
	v_lshrrev_b32_e32 v54, 16, v53
	v_and_b32_e32 v53, 0xffff, v53
	;;#ASMSTART
	v_cvt_f32_f16 v53, v53;
	;;#ASMEND
	;;#ASMSTART
	v_cvt_f32_f16 v54, v54;
	;;#ASMEND
	;;#ASMSTART
	v_cvt_f32_f16 v55, v55;
	;;#ASMEND
	;;#ASMSTART
	v_cvt_f32_f16 v52, v52;
	;;#ASMEND
	v_fmac_f32_e32 v28, v54, v52
	ds_read_b32 v52, v8 offset:16
	v_fmac_f32_e32 v26, v53, v55
	s_waitcnt vmcnt(27)
	v_and_b32_e32 v54, 0xffff, v51
	v_lshrrev_b32_e32 v51, 16, v51
	s_waitcnt lgkmcnt(0)
	v_lshrrev_b32_e32 v53, 16, v52
	v_and_b32_e32 v52, 0xffff, v52
	;;#ASMSTART
	v_cvt_f32_f16 v52, v52;
	;;#ASMEND
	;;#ASMSTART
	v_cvt_f32_f16 v53, v53;
	;;#ASMEND
	;;#ASMSTART
	v_cvt_f32_f16 v54, v54;
	;;#ASMEND
	;;#ASMSTART
	v_cvt_f32_f16 v51, v51;
	;;#ASMEND
	v_fmac_f32_e32 v28, v53, v51
	ds_read_b32 v51, v8 offset:20
	v_fmac_f32_e32 v26, v52, v54
	s_waitcnt vmcnt(26)
	v_and_b32_e32 v53, 0xffff, v50
	v_lshrrev_b32_e32 v50, 16, v50
	s_waitcnt lgkmcnt(0)
	v_lshrrev_b32_e32 v52, 16, v51
	v_and_b32_e32 v51, 0xffff, v51
	;;#ASMSTART
	v_cvt_f32_f16 v51, v51;
	;;#ASMEND
	;;#ASMSTART
	v_cvt_f32_f16 v52, v52;
	;;#ASMEND
	;;#ASMSTART
	v_cvt_f32_f16 v53, v53;
	;;#ASMEND
	;;#ASMSTART
	v_cvt_f32_f16 v50, v50;
	;;#ASMEND
	v_fmac_f32_e32 v28, v52, v50
	ds_read_b32 v50, v8 offset:24
	v_fmac_f32_e32 v26, v51, v53
	s_waitcnt vmcnt(25)
	v_and_b32_e32 v52, 0xffff, v49
	v_lshrrev_b32_e32 v49, 16, v49
	s_waitcnt lgkmcnt(0)
	v_lshrrev_b32_e32 v51, 16, v50
	v_and_b32_e32 v50, 0xffff, v50
	;;#ASMSTART
	v_cvt_f32_f16 v50, v50;
	;;#ASMEND
	;;#ASMSTART
	v_cvt_f32_f16 v51, v51;
	;;#ASMEND
	;;#ASMSTART
	v_cvt_f32_f16 v52, v52;
	;;#ASMEND
	;;#ASMSTART
	v_cvt_f32_f16 v49, v49;
	;;#ASMEND
	v_fmac_f32_e32 v28, v51, v49
	ds_read_b32 v49, v8 offset:28
	v_fmac_f32_e32 v26, v50, v52
	s_waitcnt vmcnt(24)
	v_and_b32_e32 v51, 0xffff, v48
	v_lshrrev_b32_e32 v48, 16, v48
	s_waitcnt vmcnt(13)
	v_lshrrev_b32_e32 v52, 16, v37
	s_waitcnt lgkmcnt(0)
	v_lshrrev_b32_e32 v50, 16, v49
	v_and_b32_e32 v49, 0xffff, v49
	;;#ASMSTART
	v_cvt_f32_f16 v49, v49;
	;;#ASMEND
	;;#ASMSTART
	v_cvt_f32_f16 v50, v50;
	;;#ASMEND
	;; [unrolled: 3-line block ×4, first 2 shown]
	v_fmac_f32_e32 v28, v50, v48
	ds_read_b32 v48, v8 offset:32
	v_fmac_f32_e32 v26, v49, v51
	v_and_b32_e32 v50, 0xffff, v47
	v_lshrrev_b32_e32 v47, 16, v47
	s_waitcnt lgkmcnt(0)
	v_lshrrev_b32_e32 v49, 16, v48
	v_and_b32_e32 v48, 0xffff, v48
	;;#ASMSTART
	v_cvt_f32_f16 v48, v48;
	;;#ASMEND
	;;#ASMSTART
	v_cvt_f32_f16 v49, v49;
	;;#ASMEND
	;; [unrolled: 3-line block ×3, first 2 shown]
	v_fmac_f32_e32 v26, v48, v50
	;;#ASMSTART
	v_cvt_f32_f16 v47, v47;
	;;#ASMEND
	ds_read_b32 v48, v8 offset:36
	v_fmac_f32_e32 v28, v49, v47
	v_and_b32_e32 v49, 0xffff, v46
	v_lshrrev_b32_e32 v50, 16, v46
	s_waitcnt lgkmcnt(0)
	v_and_b32_e32 v46, 0xffff, v48
	v_lshrrev_b32_e32 v47, 16, v48
	;;#ASMSTART
	v_cvt_f32_f16 v46, v46;
	;;#ASMEND
	;;#ASMSTART
	v_cvt_f32_f16 v47, v47;
	;;#ASMEND
	;; [unrolled: 3-line block ×4, first 2 shown]
	v_fmac_f32_e32 v26, v46, v48
	ds_read_b32 v46, v8 offset:40
	v_and_b32_e32 v48, 0xffff, v45
	v_lshrrev_b32_e32 v50, 16, v45
	v_fmac_f32_e32 v28, v47, v49
	s_waitcnt lgkmcnt(0)
	v_lshrrev_b32_e32 v47, 16, v46
	v_and_b32_e32 v45, 0xffff, v46
	;;#ASMSTART
	v_cvt_f32_f16 v45, v45;
	;;#ASMEND
	;;#ASMSTART
	v_cvt_f32_f16 v46, v47;
	;;#ASMEND
	;;#ASMSTART
	v_cvt_f32_f16 v47, v48;
	;;#ASMEND
	;;#ASMSTART
	v_cvt_f32_f16 v48, v50;
	;;#ASMEND
	ds_read_b32 v49, v8 offset:44
	v_fmac_f32_e32 v26, v45, v47
	v_and_b32_e32 v47, 0xffff, v44
	v_lshrrev_b32_e32 v50, 16, v44
	v_fmac_f32_e32 v28, v46, v48
	s_waitcnt lgkmcnt(0)
	v_lshrrev_b32_e32 v45, 16, v49
	v_and_b32_e32 v44, 0xffff, v49
	;;#ASMSTART
	v_cvt_f32_f16 v44, v44;
	;;#ASMEND
	;;#ASMSTART
	v_cvt_f32_f16 v45, v45;
	;;#ASMEND
	;; [unrolled: 3-line block ×4, first 2 shown]
	ds_read_b32 v48, v8 offset:48
	v_and_b32_e32 v49, 0xffff, v43
	v_lshrrev_b32_e32 v50, 16, v43
	v_fmac_f32_e32 v26, v44, v46
	v_fmac_f32_e32 v28, v45, v47
	s_waitcnt lgkmcnt(0)
	v_lshrrev_b32_e32 v44, 16, v48
	v_and_b32_e32 v43, 0xffff, v48
	;;#ASMSTART
	v_cvt_f32_f16 v43, v43;
	;;#ASMEND
	;;#ASMSTART
	v_cvt_f32_f16 v44, v44;
	;;#ASMEND
	;; [unrolled: 3-line block ×4, first 2 shown]
	ds_read_b32 v49, v8 offset:52
	v_and_b32_e32 v45, 0xffff, v42
	v_lshrrev_b32_e32 v47, 16, v42
	v_fmac_f32_e32 v26, v43, v46
	v_lshrrev_b32_e32 v50, 16, v41
	s_waitcnt lgkmcnt(0)
	v_lshrrev_b32_e32 v43, 16, v49
	v_and_b32_e32 v42, 0xffff, v49
	;;#ASMSTART
	v_cvt_f32_f16 v42, v42;
	;;#ASMEND
	;;#ASMSTART
	v_cvt_f32_f16 v43, v43;
	;;#ASMEND
	;; [unrolled: 3-line block ×4, first 2 shown]
	ds_read_b32 v47, v8 offset:56
	v_and_b32_e32 v49, 0xffff, v41
	v_fmac_f32_e32 v28, v44, v48
	v_fmac_f32_e32 v26, v42, v45
	v_and_b32_e32 v45, 0xffff, v40
	s_waitcnt lgkmcnt(0)
	v_lshrrev_b32_e32 v44, 16, v47
	v_and_b32_e32 v41, 0xffff, v47
	;;#ASMSTART
	v_cvt_f32_f16 v41, v41;
	;;#ASMEND
	;;#ASMSTART
	v_cvt_f32_f16 v44, v44;
	;;#ASMEND
	;; [unrolled: 3-line block ×4, first 2 shown]
	ds_read_b32 v49, v8 offset:60
	v_lshrrev_b32_e32 v50, 16, v40
	v_fmac_f32_e32 v28, v43, v46
	v_fmac_f32_e32 v26, v41, v47
	;; [unrolled: 1-line block ×3, first 2 shown]
	s_waitcnt lgkmcnt(0)
	v_lshrrev_b32_e32 v42, 16, v49
	v_and_b32_e32 v40, 0xffff, v49
	;;#ASMSTART
	v_cvt_f32_f16 v40, v40;
	;;#ASMEND
	;;#ASMSTART
	v_cvt_f32_f16 v42, v42;
	;;#ASMEND
	;; [unrolled: 3-line block ×4, first 2 shown]
	ds_read_b32 v46, v8 offset:64
	v_and_b32_e32 v49, 0xffff, v39
	v_lshrrev_b32_e32 v50, 16, v39
	v_and_b32_e32 v44, 0xffff, v38
	v_lshrrev_b32_e32 v38, 16, v38
	s_waitcnt lgkmcnt(0)
	v_lshrrev_b32_e32 v41, 16, v46
	v_and_b32_e32 v39, 0xffff, v46
	;;#ASMSTART
	v_cvt_f32_f16 v39, v39;
	;;#ASMEND
	;;#ASMSTART
	v_cvt_f32_f16 v47, v41;
	;;#ASMEND
	;; [unrolled: 3-line block ×4, first 2 shown]
	ds_read_b32 v41, v8 offset:68
	v_fmac_f32_e32 v26, v40, v43
	v_fmac_f32_e32 v28, v42, v45
	;; [unrolled: 1-line block ×3, first 2 shown]
	s_waitcnt vmcnt(12)
	v_and_b32_e32 v42, 0xffff, v36
	s_waitcnt lgkmcnt(0)
	v_lshrrev_b32_e32 v40, 16, v41
	v_and_b32_e32 v41, 0xffff, v41
	;;#ASMSTART
	v_cvt_f32_f16 v43, v41;
	;;#ASMEND
	;;#ASMSTART
	v_cvt_f32_f16 v41, v40;
	;;#ASMEND
	;; [unrolled: 3-line block ×4, first 2 shown]
	ds_read_b32 v38, v8 offset:72
	v_and_b32_e32 v40, 0xffff, v37
	v_lshrrev_b32_e32 v36, 16, v36
	v_fmac_f32_e32 v28, v47, v50
	s_waitcnt vmcnt(11)
	v_and_b32_e32 v45, 0xffff, v35
	s_waitcnt lgkmcnt(0)
	v_lshrrev_b32_e32 v37, 16, v38
	v_and_b32_e32 v38, 0xffff, v38
	;;#ASMSTART
	v_cvt_f32_f16 v48, v38;
	;;#ASMEND
	;;#ASMSTART
	v_cvt_f32_f16 v37, v37;
	;;#ASMEND
	;;#ASMSTART
	v_cvt_f32_f16 v51, v40;
	;;#ASMEND
	;;#ASMSTART
	v_cvt_f32_f16 v38, v52;
	;;#ASMEND
	ds_read_b32 v40, v8 offset:76
	v_lshrrev_b32_e32 v35, 16, v35
	v_fmac_f32_e32 v26, v43, v44
	v_fmac_f32_e32 v28, v41, v46
	s_waitcnt vmcnt(10)
	v_lshrrev_b32_e32 v41, 16, v34
	s_waitcnt lgkmcnt(0)
	v_lshrrev_b32_e32 v39, 16, v40
	v_and_b32_e32 v40, 0xffff, v40
	;;#ASMSTART
	v_cvt_f32_f16 v49, v40;
	;;#ASMEND
	;;#ASMSTART
	v_cvt_f32_f16 v39, v39;
	;;#ASMEND
	;; [unrolled: 3-line block ×4, first 2 shown]
	ds_read_b32 v36, v8 offset:80
	v_fmac_f32_e32 v26, v48, v51
	s_waitcnt vmcnt(9)
	v_and_b32_e32 v48, 0xffff, v33
	v_fmac_f32_e32 v28, v37, v38
	v_fmac_f32_e32 v26, v49, v50
	s_waitcnt lgkmcnt(0)
	v_lshrrev_b32_e32 v42, 16, v36
	v_and_b32_e32 v36, 0xffff, v36
	;;#ASMSTART
	v_cvt_f32_f16 v44, v36;
	;;#ASMEND
	;;#ASMSTART
	v_cvt_f32_f16 v42, v42;
	;;#ASMEND
	;; [unrolled: 3-line block ×4, first 2 shown]
	ds_read_b32 v35, v8 offset:84
	v_and_b32_e32 v36, 0xffff, v34
	s_waitcnt vmcnt(8)
	v_and_b32_e32 v49, 0xffff, v32
	v_fmac_f32_e32 v28, v39, v40
	s_waitcnt vmcnt(7)
	v_and_b32_e32 v50, 0xffff, v31
	s_waitcnt lgkmcnt(0)
	v_lshrrev_b32_e32 v34, 16, v35
	v_and_b32_e32 v35, 0xffff, v35
	;;#ASMSTART
	v_cvt_f32_f16 v46, v35;
	;;#ASMEND
	;;#ASMSTART
	v_cvt_f32_f16 v34, v34;
	;;#ASMEND
	;;#ASMSTART
	v_cvt_f32_f16 v47, v36;
	;;#ASMEND
	;;#ASMSTART
	v_cvt_f32_f16 v35, v41;
	;;#ASMEND
	ds_read_b32 v36, v8 offset:88
	v_lshrrev_b32_e32 v41, 16, v33
	v_fmac_f32_e32 v26, v44, v45
	v_fmac_f32_e32 v28, v42, v43
	s_waitcnt vmcnt(6)
	v_and_b32_e32 v43, 0xffff, v30
	s_waitcnt lgkmcnt(0)
	v_lshrrev_b32_e32 v37, 16, v36
	v_and_b32_e32 v33, 0xffff, v36
	;;#ASMSTART
	v_cvt_f32_f16 v33, v33;
	;;#ASMEND
	;;#ASMSTART
	v_cvt_f32_f16 v36, v37;
	;;#ASMEND
	;; [unrolled: 3-line block ×4, first 2 shown]
	ds_read_b32 v41, v8 offset:92
	v_lshrrev_b32_e32 v48, 16, v32
	v_fmac_f32_e32 v26, v46, v47
	v_fmac_f32_e32 v28, v34, v35
	;; [unrolled: 1-line block ×3, first 2 shown]
	s_waitcnt lgkmcnt(0)
	v_lshrrev_b32_e32 v39, 16, v41
	v_and_b32_e32 v32, 0xffff, v41
	;;#ASMSTART
	v_cvt_f32_f16 v32, v32;
	;;#ASMEND
	;;#ASMSTART
	v_cvt_f32_f16 v39, v39;
	;;#ASMEND
	;; [unrolled: 3-line block ×4, first 2 shown]
	ds_read_b32 v48, v8 offset:96
	v_lshrrev_b32_e32 v49, 16, v31
	v_fmac_f32_e32 v28, v36, v38
	s_waitcnt vmcnt(4)
	v_lshrrev_b32_e32 v37, 16, v27
	v_and_b32_e32 v27, 0xffff, v27
	s_waitcnt lgkmcnt(0)
	v_lshrrev_b32_e32 v44, 16, v48
	v_and_b32_e32 v31, 0xffff, v48
	;;#ASMSTART
	v_cvt_f32_f16 v31, v31;
	;;#ASMEND
	;;#ASMSTART
	v_cvt_f32_f16 v44, v44;
	;;#ASMEND
	;; [unrolled: 3-line block ×4, first 2 shown]
	ds_read_b32 v49, v8 offset:100
	v_lshrrev_b32_e32 v50, 16, v30
	v_fmac_f32_e32 v26, v32, v40
	v_fmac_f32_e32 v26, v31, v45
	;; [unrolled: 1-line block ×3, first 2 shown]
	s_waitcnt lgkmcnt(0)
	v_lshrrev_b32_e32 v42, 16, v49
	v_and_b32_e32 v30, 0xffff, v49
	;;#ASMSTART
	v_cvt_f32_f16 v30, v30;
	;;#ASMEND
	;;#ASMSTART
	v_cvt_f32_f16 v42, v42;
	;;#ASMEND
	;; [unrolled: 3-line block ×4, first 2 shown]
	ds_read_b32 v47, v8 offset:104
	v_fmac_f32_e32 v28, v44, v48
	v_fmac_f32_e32 v26, v30, v43
	;; [unrolled: 1-line block ×3, first 2 shown]
	s_waitcnt lgkmcnt(0)
	v_lshrrev_b32_e32 v35, 16, v47
	v_and_b32_e32 v34, 0xffff, v47
	v_lshrrev_b32_e32 v47, 16, v29
	v_and_b32_e32 v29, 0xffff, v29
	;;#ASMSTART
	v_cvt_f32_f16 v34, v34;
	;;#ASMEND
	;;#ASMSTART
	v_cvt_f32_f16 v35, v35;
	;;#ASMEND
	;; [unrolled: 3-line block ×4, first 2 shown]
	ds_read_b32 v49, v8 offset:108
	v_fmac_f32_e32 v26, v34, v29
	s_waitcnt vmcnt(2)
	v_lshrrev_b32_e32 v34, 16, v24
	v_and_b32_e32 v24, 0xffff, v24
	v_fmac_f32_e32 v28, v35, v47
	s_waitcnt lgkmcnt(0)
	v_lshrrev_b32_e32 v36, 16, v49
	v_and_b32_e32 v33, 0xffff, v49
	;;#ASMSTART
	v_cvt_f32_f16 v33, v33;
	;;#ASMEND
	;;#ASMSTART
	v_cvt_f32_f16 v36, v36;
	;;#ASMEND
	;; [unrolled: 3-line block ×4, first 2 shown]
	ds_read_b32 v38, v8 offset:112
	v_fmac_f32_e32 v26, v33, v27
	v_fmac_f32_e32 v28, v36, v37
	s_waitcnt lgkmcnt(0)
	v_lshrrev_b32_e32 v32, 16, v38
	v_and_b32_e32 v31, 0xffff, v38
	v_lshrrev_b32_e32 v38, 16, v25
	v_and_b32_e32 v25, 0xffff, v25
	;;#ASMSTART
	v_cvt_f32_f16 v31, v31;
	;;#ASMEND
	;;#ASMSTART
	v_cvt_f32_f16 v32, v32;
	;;#ASMEND
	;; [unrolled: 3-line block ×4, first 2 shown]
	ds_read_b32 v39, v8 offset:116
	v_fmac_f32_e32 v26, v31, v25
	s_waitcnt vmcnt(1)
	v_lshrrev_b32_e32 v31, 16, v23
	v_and_b32_e32 v23, 0xffff, v23
	v_fmac_f32_e32 v28, v32, v38
	s_waitcnt lgkmcnt(0)
	v_lshrrev_b32_e32 v30, 16, v39
	v_and_b32_e32 v29, 0xffff, v39
	;;#ASMSTART
	v_cvt_f32_f16 v29, v29;
	;;#ASMEND
	;;#ASMSTART
	v_cvt_f32_f16 v30, v30;
	;;#ASMEND
	;; [unrolled: 3-line block ×4, first 2 shown]
	ds_read_b32 v35, v8 offset:120
	v_fmac_f32_e32 v26, v29, v24
	v_fmac_f32_e32 v28, v30, v34
	s_waitcnt lgkmcnt(0)
	v_lshrrev_b32_e32 v27, 16, v35
	v_and_b32_e32 v25, 0xffff, v35
	;;#ASMSTART
	v_cvt_f32_f16 v25, v25;
	;;#ASMEND
	;;#ASMSTART
	v_cvt_f32_f16 v27, v27;
	;;#ASMEND
	;; [unrolled: 3-line block ×4, first 2 shown]
	ds_read_b32 v32, v8 offset:124
	v_fmac_f32_e32 v26, v25, v23
	v_fmac_f32_e32 v28, v27, v31
	s_waitcnt vmcnt(0)
	v_lshrrev_b32_e32 v25, 16, v22
	v_and_b32_e32 v22, 0xffff, v22
	s_waitcnt lgkmcnt(0)
	v_and_b32_e32 v23, 0xffff, v32
	v_lshrrev_b32_e32 v24, 16, v32
	;;#ASMSTART
	v_cvt_f32_f16 v23, v23;
	;;#ASMEND
	;;#ASMSTART
	v_cvt_f32_f16 v24, v24;
	;;#ASMEND
	;; [unrolled: 3-line block ×4, first 2 shown]
	v_fmac_f32_e32 v26, v23, v22
	v_fmac_f32_e32 v28, v24, v25
	v_cndmask_b32_e64 v23, v17, v19, s[4:5]
	v_add_f32_e32 v22, v26, v28
	v_lshlrev_b32_e32 v23, 2, v23
	ds_bpermute_b32 v23, v23, v22
	v_cmp_lt_i32_e64 s[4:5], v20, v18
	s_waitcnt lgkmcnt(0)
	v_add_f32_e32 v22, v22, v23
	v_cndmask_b32_e64 v23, v17, v20, s[4:5]
	v_lshlrev_b32_e32 v23, 2, v23
	ds_bpermute_b32 v23, v23, v22
	s_and_saveexec_b64 s[38:39], vcc
	s_cbranch_execz .LBB80_11
; %bb.19:                               ;   in Loop: Header=BB80_13 Depth=1
	v_add_u32_e32 v24, v14, v13
	v_cvt_f32_i32_e32 v24, v24
	s_waitcnt lgkmcnt(0)
	v_add_f32_e32 v22, v22, v23
	v_add_u32_e32 v25, v5, v13
	v_cmp_gt_i32_e64 s[4:5], s33, v25
	v_mul_f32_e32 v23, s42, v24
	v_cndmask_b32_e64 v23, 0, v23, s[2:3]
	v_fmac_f32_e32 v23, s31, v22
	v_cndmask_b32_e64 v22, 0, v23, s[4:5]
	ds_write_b32 v15, v22
	v_max_f32_e32 v22, v11, v11
	v_max_f32_e32 v22, v22, v23
	v_cndmask_b32_e64 v11, v11, v22, s[4:5]
	s_branch .LBB80_11
.LBB80_20:
	s_or_b64 exec, exec, s[36:37]
.LBB80_21:
	s_or_b64 exec, exec, s[34:35]
	v_mbcnt_hi_u32_b32 v1, -1, v4
	v_and_b32_e32 v14, 64, v1
	v_add_u32_e32 v2, 64, v14
	v_xor_b32_e32 v4, 32, v1
	v_cmp_lt_i32_e32 vcc, v4, v2
	v_cndmask_b32_e32 v4, v1, v4, vcc
	v_lshlrev_b32_e32 v4, 2, v4
	ds_bpermute_b32 v5, v4, v11
	v_xor_b32_e32 v7, 16, v1
	v_max_f32_e32 v6, v11, v11
	v_cmp_lt_i32_e32 vcc, v7, v2
	v_xor_b32_e32 v8, 8, v1
	s_waitcnt lgkmcnt(0)
	v_max_f32_e32 v5, v5, v5
	v_max_f32_e32 v6, v6, v5
	v_cndmask_b32_e32 v5, v1, v7, vcc
	v_lshlrev_b32_e32 v5, 2, v5
	ds_bpermute_b32 v7, v5, v6
	v_cmp_lt_i32_e32 vcc, v8, v2
	v_xor_b32_e32 v11, 4, v1
	s_waitcnt lgkmcnt(0)
	v_max_f32_e32 v7, v7, v7
	v_max_f32_e32 v6, v6, v7
	v_cndmask_b32_e32 v7, v1, v8, vcc
	v_lshlrev_b32_e32 v8, 2, v7
	ds_bpermute_b32 v7, v8, v6
	v_cmp_lt_i32_e32 vcc, v11, v2
	s_waitcnt lgkmcnt(0)
	v_max_f32_e32 v7, v7, v7
	v_max_f32_e32 v7, v6, v7
	v_cndmask_b32_e32 v6, v1, v11, vcc
	v_lshlrev_b32_e32 v13, 2, v6
	ds_bpermute_b32 v12, v13, v7
	v_and_b32_e32 v11, 63, v0
	v_cmp_eq_u32_e32 vcc, 0, v11
	v_lshlrev_b32_e32 v6, 2, v9
	s_and_saveexec_b64 s[2:3], vcc
	s_cbranch_execz .LBB80_23
; %bb.22:
	s_waitcnt lgkmcnt(0)
	v_max_f32_e32 v12, v12, v12
	v_max_f32_e32 v7, v7, v7
	;; [unrolled: 1-line block ×3, first 2 shown]
	ds_write_b32 v6, v7 offset:512
.LBB80_23:
	s_or_b64 exec, exec, s[2:3]
	v_cmp_gt_u32_e64 s[2:3], 2, v11
	v_mov_b32_e32 v15, 0xff7fffff
	v_lshlrev_b32_e32 v7, 2, v11
	s_waitcnt lgkmcnt(0)
	s_barrier
	s_and_saveexec_b64 s[4:5], s[2:3]
; %bb.24:
	ds_read_b32 v15, v7 offset:512
; %bb.25:
	s_or_b64 exec, exec, s[4:5]
	v_xor_b32_e32 v12, 1, v1
	v_cmp_lt_i32_e64 s[4:5], v12, v2
	v_cndmask_b32_e64 v12, v1, v12, s[4:5]
	v_lshlrev_b32_e32 v12, 2, v12
	s_waitcnt lgkmcnt(0)
	ds_bpermute_b32 v16, v12, v15
	v_max_f32_e32 v15, v15, v15
	v_lshlrev_b32_e32 v14, 2, v14
	s_lshl_b32 s4, s16, 4
	s_min_i32 s15, s4, s33
	s_waitcnt lgkmcnt(0)
	v_max_f32_e32 v16, v16, v16
	v_max_f32_e32 v15, v15, v16
	ds_bpermute_b32 v15, v14, v15
	v_cmp_gt_i32_e64 s[4:5], s15, v0
	v_mov_b32_e32 v14, 0
	s_and_saveexec_b64 s[30:31], s[4:5]
	s_cbranch_execz .LBB80_29
; %bb.26:
	v_mov_b32_e32 v14, 0x210
	v_lshl_add_u32 v16, v0, 2, v14
	v_mov_b32_e32 v14, 0
	s_mov_b64 s[34:35], 0
	v_mov_b32_e32 v17, v0
.LBB80_27:                              ; =>This Inner Loop Header: Depth=1
	ds_read_b32 v18, v16
	v_add_u32_e32 v17, 0x80, v17
	v_cmp_le_i32_e64 s[6:7], s15, v17
	s_or_b64 s[34:35], s[6:7], s[34:35]
	s_waitcnt lgkmcnt(0)
	v_sub_f32_e32 v18, v18, v15
	v_mul_f32_e32 v18, 0x3fb8aa3b, v18
	v_exp_f32_e32 v18, v18
	ds_write_b32 v16, v18
	v_add_f32_e32 v14, v14, v18
	v_add_u32_e32 v16, 0x200, v16
	s_andn2_b64 exec, exec, s[34:35]
	s_cbranch_execnz .LBB80_27
; %bb.28:
	s_or_b64 exec, exec, s[34:35]
.LBB80_29:
	s_or_b64 exec, exec, s[30:31]
	ds_bpermute_b32 v4, v4, v14
	s_waitcnt lgkmcnt(0)
	v_add_f32_e32 v4, v14, v4
	ds_bpermute_b32 v5, v5, v4
	s_waitcnt lgkmcnt(0)
	v_add_f32_e32 v4, v4, v5
	ds_bpermute_b32 v5, v8, v4
	v_xor_b32_e32 v8, 2, v1
	v_cmp_lt_i32_e64 s[6:7], v8, v2
	v_cndmask_b32_e64 v2, v1, v8, s[6:7]
	v_lshlrev_b32_e32 v2, 2, v2
	s_waitcnt lgkmcnt(0)
	v_add_f32_e32 v4, v4, v5
	ds_bpermute_b32 v5, v13, v4
	s_waitcnt lgkmcnt(0)
	v_add_f32_e32 v4, v4, v5
	ds_bpermute_b32 v2, v2, v4
	;; [unrolled: 3-line block ×3, first 2 shown]
	s_waitcnt lgkmcnt(0)
	v_add_f32_e32 v2, v2, v4
	s_and_saveexec_b64 s[6:7], vcc
; %bb.30:
	ds_write_b32 v6, v2 offset:520
; %bb.31:
	s_or_b64 exec, exec, s[6:7]
	s_waitcnt lgkmcnt(0)
	s_barrier
	s_and_saveexec_b64 s[6:7], s[2:3]
; %bb.32:
	ds_read_b32 v2, v7 offset:520
; %bb.33:
	s_or_b64 exec, exec, s[6:7]
	s_waitcnt lgkmcnt(0)
	ds_bpermute_b32 v4, v12, v2
	v_lshlrev_b32_e32 v1, 2, v1
	v_and_b32_e32 v1, 0x100, v1
	s_waitcnt lgkmcnt(0)
	v_add_f32_e32 v2, v2, v4
	ds_bpermute_b32 v1, v1, v2
	s_and_saveexec_b64 s[2:3], s[4:5]
	s_cbranch_execz .LBB80_36
; %bb.34:
	s_waitcnt lgkmcnt(0)
	v_add_f32_e32 v2, 0x358637bd, v1
	v_div_scale_f32 v1, s[4:5], v2, v2, 1.0
	v_div_scale_f32 v4, vcc, 1.0, v2, 1.0
	s_mov_b64 s[4:5], 0
	v_rcp_f32_e32 v5, v1
	v_fma_f32 v6, -v1, v5, 1.0
	v_fmac_f32_e32 v5, v6, v5
	v_mul_f32_e32 v6, v4, v5
	v_fma_f32 v7, -v1, v6, v4
	v_fmac_f32_e32 v6, v7, v5
	v_fma_f32 v1, -v1, v6, v4
	v_div_fmas_f32 v4, v1, v5, v6
	v_mov_b32_e32 v1, 0x210
	v_lshl_add_u32 v1, v0, 2, v1
	v_div_fixup_f32 v2, v4, v2, 1.0
	v_mov_b32_e32 v4, v0
.LBB80_35:                              ; =>This Inner Loop Header: Depth=1
	ds_read_b32 v5, v1
	v_add_u32_e32 v4, 0x80, v4
	v_cmp_le_i32_e32 vcc, s15, v4
	s_or_b64 s[4:5], vcc, s[4:5]
	s_waitcnt lgkmcnt(0)
	v_mul_f32_e32 v5, v2, v5
	ds_write_b32 v1, v5
	v_add_u32_e32 v1, 0x200, v1
	s_andn2_b64 exec, exec, s[4:5]
	s_cbranch_execnz .LBB80_35
.LBB80_36:
	s_or_b64 exec, exec, s[2:3]
	v_mov_b32_e32 v20, 0
	v_and_b32_e32 v13, 1, v0
	v_mov_b32_e32 v21, 0
	v_mov_b32_e32 v19, 0
	;; [unrolled: 1-line block ×7, first 2 shown]
	s_waitcnt lgkmcnt(0)
	s_barrier
	s_and_saveexec_b64 s[2:3], s[0:1]
	s_cbranch_execz .LBB80_58
; %bb.37:
	s_ashr_i32 s15, s14, 31
	s_sub_i32 s17, s12, s17
	s_lshl_b64 s[0:1], s[14:15], 1
	s_add_u32 s0, s28, s0
	s_addc_u32 s1, s29, s1
	s_abs_i32 s14, s18
	v_cvt_f32_u32_e32 v1, s14
	v_lshlrev_b32_e32 v2, 3, v0
	s_sub_i32 s4, 0, s14
	v_and_b32_e32 v23, 8, v2
	v_rcp_iflag_f32_e32 v1, v1
	v_lshlrev_b32_e32 v4, 4, v0
	v_and_b32_e32 v4, 0x3f0, v4
	s_add_i32 s18, s16, -1
	v_mul_f32_e32 v1, 0x4f7ffffe, v1
	v_cvt_u32_f32_e32 v1, v1
	v_mov_b32_e32 v5, s1
	v_add_co_u32_e32 v24, vcc, s0, v4
	v_mul_lo_u32 v2, s4, v1
	s_lshl_b64 s[0:1], s[26:27], 2
	v_addc_co_u32_e32 v25, vcc, 0, v5, vcc
	v_mul_hi_u32 v2, v1, v2
	s_add_u32 s0, s24, s0
	s_addc_u32 s1, s25, s1
	s_mov_b32 s15, s13
	v_add_u32_e32 v26, v1, v2
	v_and_b32_e32 v1, 60, v3
	v_add_co_u32_e32 v5, vcc, s0, v1
	v_lshlrev_b32_e32 v1, 5, v13
	v_mov_b32_e32 v2, s1
	v_lshl_or_b32 v1, v9, 6, v1
	v_mov_b32_e32 v22, 0
	v_addc_co_u32_e32 v6, vcc, 0, v2, vcc
	v_add_u32_e32 v27, 0x210, v1
	s_mov_b64 s[4:5], 0
	s_mov_b32 s24, 0xffff
	v_mov_b32_e32 v14, 0
	v_mov_b32_e32 v15, 0
	;; [unrolled: 1-line block ×8, first 2 shown]
	s_branch .LBB80_40
.LBB80_38:                              ;   in Loop: Header=BB80_40 Depth=1
	s_or_b64 exec, exec, s[12:13]
	v_add_f32_e32 v28, v52, v54
	v_add_f32_e32 v15, v15, v28
	;; [unrolled: 1-line block ×14, first 2 shown]
	v_lshlrev_b32_e32 v28, 16, v53
	v_and_or_b32 v1, v1, s24, v28
	v_lshlrev_b32_e32 v8, 16, v8
	v_lshlrev_b32_e32 v7, 16, v7
	v_and_or_b32 v2, v2, s24, v8
	v_and_or_b32 v3, v3, s24, v7
	;;#ASMSTART
	v_pk_mul_f16 v1, v37, v1;

	;;#ASMEND
	;;#ASMSTART
	v_pk_mul_f16 v2, v38, v2;

	;;#ASMEND
	;; [unrolled: 4-line block ×4, first 2 shown]
	;;#ASMSTART
	v_pk_add_f16 v1, v1, v2;

	;;#ASMEND
	;;#ASMSTART
	v_pk_add_f16 v1, v1, v3;

	;;#ASMEND
	;; [unrolled: 4-line block ×3, first 2 shown]
	v_lshrrev_b32_e32 v2, 16, v1
	v_and_b32_e32 v1, 0xffff, v1
	;;#ASMSTART
	v_cvt_f32_f16 v1, v1;
	;;#ASMEND
	;;#ASMSTART
	v_cvt_f32_f16 v2, v2;
	;;#ASMEND
	v_add_f32_e32 v1, v1, v2
	v_add_f32_e32 v14, v14, v1
.LBB80_39:                              ;   in Loop: Header=BB80_40 Depth=1
	s_or_b64 exec, exec, s[6:7]
	v_add_co_u32_e32 v5, vcc, 8, v5
	v_add_u32_e32 v9, 2, v9
	v_addc_co_u32_e32 v6, vcc, 0, v6, vcc
	v_cmp_le_i32_e32 vcc, s16, v9
	v_add_u32_e32 v10, 32, v10
	s_or_b64 s[4:5], vcc, s[4:5]
	v_add_u32_e32 v27, 0x80, v27
	s_andn2_b64 exec, exec, s[4:5]
	s_cbranch_execz .LBB80_57
.LBB80_40:                              ; =>This Inner Loop Header: Depth=1
	v_mul_hi_u32 v1, v10, s40
	v_mul_lo_u32 v2, v1, s21
	v_add_u32_e32 v3, 1, v1
	v_sub_u32_e32 v2, v10, v2
	v_cmp_le_u32_e32 vcc, s21, v2
	v_cndmask_b32_e32 v1, v1, v3, vcc
	v_subrev_u32_e32 v3, s21, v2
	v_cndmask_b32_e32 v2, v2, v3, vcc
	v_add_u32_e32 v3, 1, v1
	v_cmp_le_u32_e32 vcc, s21, v2
	v_cndmask_b32_e32 v1, v1, v3, vcc
	v_xor_b32_e32 v1, s19, v1
	v_subrev_u32_e32 v1, s19, v1
	v_add_u32_e32 v2, s41, v1
	v_sub_u32_e32 v3, 0, v2
	v_max_i32_e32 v3, v2, v3
	v_mul_hi_u32 v4, v3, v26
	v_ashrrev_i32_e32 v2, 31, v2
	v_cmp_lt_i32_e64 s[0:1], s17, v1
	v_mul_lo_u32 v4, v4, s14
	v_sub_u32_e32 v3, v3, v4
	v_subrev_u32_e32 v4, s14, v3
	v_cmp_le_u32_e32 vcc, s14, v3
	v_cndmask_b32_e32 v3, v3, v4, vcc
	v_subrev_u32_e32 v4, s14, v3
	v_cmp_le_u32_e32 vcc, s14, v3
	v_cndmask_b32_e32 v3, v3, v4, vcc
	v_xor_b32_e32 v3, v3, v2
	v_sub_u32_e32 v2, v3, v2
	v_cmp_eq_u32_e32 vcc, 0, v2
	s_or_b64 s[0:1], vcc, s[0:1]
	s_and_saveexec_b64 s[6:7], s[0:1]
	s_cbranch_execz .LBB80_39
; %bb.41:                               ;   in Loop: Header=BB80_40 Depth=1
	global_load_dword v7, v[5:6], off
	ds_read2_b64 v[1:4], v27 offset1:1
	ds_read2_b64 v[28:31], v27 offset0:2 offset1:3
	s_waitcnt lgkmcnt(1)
	;;#ASMSTART
	v_cvt_f16_f32 v36, v1;

	;;#ASMEND
	;;#ASMSTART
	v_cvt_f16_f32 v37, v2;

	;;#ASMEND
	;; [unrolled: 4-line block ×4, first 2 shown]
	s_waitcnt lgkmcnt(0)
	;;#ASMSTART
	v_cvt_f16_f32 v40, v28;

	;;#ASMEND
	;;#ASMSTART
	v_cvt_f16_f32 v41, v29;

	;;#ASMEND
	;; [unrolled: 4-line block ×4, first 2 shown]
	v_add_u32_e32 v28, v23, v10
	v_add_u32_e32 v35, 1, v28
	;; [unrolled: 1-line block ×8, first 2 shown]
	s_waitcnt vmcnt(0)
	v_mad_i64_i32 v[1:2], s[0:1], v7, s15, 0
	v_cmp_eq_u32_e64 s[0:1], s18, v9
	v_lshlrev_b64 v[1:2], 1, v[1:2]
	v_add_co_u32_e32 v7, vcc, v24, v1
	v_addc_co_u32_e32 v8, vcc, v25, v2, vcc
	global_load_dwordx4 v[1:4], v[7:8], off
	s_waitcnt vmcnt(0)
	v_lshrrev_b32_e32 v46, 16, v1
	v_lshrrev_b32_e32 v45, 16, v2
	;; [unrolled: 1-line block ×3, first 2 shown]
	s_and_saveexec_b64 s[12:13], s[0:1]
	s_cbranch_execz .LBB80_43
; %bb.42:                               ;   in Loop: Header=BB80_40 Depth=1
	v_cmp_gt_i32_e32 vcc, s33, v28
	v_cndmask_b32_e32 v1, 0, v1, vcc
	v_cmp_gt_i32_e32 vcc, s33, v35
	v_cndmask_b32_e32 v46, 0, v46, vcc
	;; [unrolled: 2-line block ×6, first 2 shown]
	v_cmp_gt_i32_e32 vcc, s33, v30
	v_cndmask_b32_sdwa v47, v22, v4, vcc dst_sel:DWORD dst_unused:UNUSED_PAD src0_sel:DWORD src1_sel:WORD_0
	v_and_b32_e32 v4, 0xffff0000, v4
	v_cmp_gt_i32_e32 vcc, s33, v29
	v_cndmask_b32_e32 v4, 0, v4, vcc
	v_or_b32_e32 v4, v47, v4
.LBB80_43:                              ;   in Loop: Header=BB80_40 Depth=1
	s_or_b64 exec, exec, s[12:13]
	v_and_b32_e32 v36, 0xffff, v36
	v_lshl_or_b32 v37, v37, 16, v36
	v_and_b32_e32 v36, 0xffff, v38
	v_lshl_or_b32 v38, v39, 16, v36
	v_and_b32_e32 v36, 0xffff, v40
	v_lshlrev_b32_e32 v40, 16, v46
	v_and_or_b32 v1, v1, s24, v40
	v_lshlrev_b32_e32 v40, 16, v45
	v_and_or_b32 v2, v2, s24, v40
	v_lshlrev_b32_e32 v40, 16, v44
	v_lshl_or_b32 v39, v41, 16, v36
	v_and_b32_e32 v36, 0xffff, v42
	v_and_or_b32 v3, v3, s24, v40
	;;#ASMSTART
	v_pk_mul_f16 v1, v37, v1;

	;;#ASMEND
	v_lshl_or_b32 v36, v43, 16, v36
	;;#ASMSTART
	v_pk_mul_f16 v2, v38, v2;

	;;#ASMEND
	;;#ASMSTART
	v_pk_mul_f16 v3, v39, v3;

	;;#ASMEND
	;; [unrolled: 4-line block ×3, first 2 shown]
	;;#ASMSTART
	v_pk_add_f16 v1, v1, v2;

	;;#ASMEND
	;;#ASMSTART
	v_pk_add_f16 v1, v1, v3;

	;;#ASMEND
	;; [unrolled: 4-line block ×3, first 2 shown]
	v_lshrrev_b32_e32 v2, 16, v1
	v_and_b32_e32 v1, 0xffff, v1
	;;#ASMSTART
	v_cvt_f32_f16 v40, v1;
	;;#ASMEND
	;;#ASMSTART
	v_cvt_f32_f16 v41, v2;
	;;#ASMEND
	global_load_dwordx4 v[1:4], v[7:8], off offset:1024
	s_waitcnt vmcnt(0)
	v_lshrrev_b32_e32 v44, 16, v1
	v_lshrrev_b32_e32 v43, 16, v2
	;; [unrolled: 1-line block ×3, first 2 shown]
	s_and_saveexec_b64 s[12:13], s[0:1]
	s_cbranch_execz .LBB80_45
; %bb.44:                               ;   in Loop: Header=BB80_40 Depth=1
	v_cmp_gt_i32_e32 vcc, s33, v28
	v_cndmask_b32_e32 v1, 0, v1, vcc
	v_cmp_gt_i32_e32 vcc, s33, v35
	v_cndmask_b32_e32 v44, 0, v44, vcc
	;; [unrolled: 2-line block ×6, first 2 shown]
	v_cmp_gt_i32_e32 vcc, s33, v30
	v_cndmask_b32_sdwa v45, v22, v4, vcc dst_sel:DWORD dst_unused:UNUSED_PAD src0_sel:DWORD src1_sel:WORD_0
	v_and_b32_e32 v4, 0xffff0000, v4
	v_cmp_gt_i32_e32 vcc, s33, v29
	v_cndmask_b32_e32 v4, 0, v4, vcc
	v_or_b32_e32 v4, v45, v4
.LBB80_45:                              ;   in Loop: Header=BB80_40 Depth=1
	s_or_b64 exec, exec, s[12:13]
	v_lshlrev_b32_e32 v44, 16, v44
	v_and_or_b32 v1, v1, s24, v44
	v_lshlrev_b32_e32 v43, 16, v43
	v_lshlrev_b32_e32 v42, 16, v42
	v_and_or_b32 v2, v2, s24, v43
	v_and_or_b32 v3, v3, s24, v42
	;;#ASMSTART
	v_pk_mul_f16 v1, v37, v1;

	;;#ASMEND
	;;#ASMSTART
	v_pk_mul_f16 v2, v38, v2;

	;;#ASMEND
	;; [unrolled: 4-line block ×4, first 2 shown]
	;;#ASMSTART
	v_pk_add_f16 v1, v1, v2;

	;;#ASMEND
	;;#ASMSTART
	v_pk_add_f16 v1, v1, v3;

	;;#ASMEND
	;; [unrolled: 4-line block ×3, first 2 shown]
	v_lshrrev_b32_e32 v2, 16, v1
	v_and_b32_e32 v1, 0xffff, v1
	;;#ASMSTART
	v_cvt_f32_f16 v42, v1;
	;;#ASMEND
	;;#ASMSTART
	v_cvt_f32_f16 v43, v2;
	;;#ASMEND
	global_load_dwordx4 v[1:4], v[7:8], off offset:2048
	s_waitcnt vmcnt(0)
	v_lshrrev_b32_e32 v46, 16, v1
	v_lshrrev_b32_e32 v45, 16, v2
	v_lshrrev_b32_e32 v44, 16, v3
	s_and_saveexec_b64 s[12:13], s[0:1]
	s_cbranch_execz .LBB80_47
; %bb.46:                               ;   in Loop: Header=BB80_40 Depth=1
	v_cmp_gt_i32_e32 vcc, s33, v28
	v_cndmask_b32_e32 v1, 0, v1, vcc
	v_cmp_gt_i32_e32 vcc, s33, v35
	v_cndmask_b32_e32 v46, 0, v46, vcc
	;; [unrolled: 2-line block ×6, first 2 shown]
	v_cmp_gt_i32_e32 vcc, s33, v30
	v_cndmask_b32_sdwa v47, v22, v4, vcc dst_sel:DWORD dst_unused:UNUSED_PAD src0_sel:DWORD src1_sel:WORD_0
	v_and_b32_e32 v4, 0xffff0000, v4
	v_cmp_gt_i32_e32 vcc, s33, v29
	v_cndmask_b32_e32 v4, 0, v4, vcc
	v_or_b32_e32 v4, v47, v4
.LBB80_47:                              ;   in Loop: Header=BB80_40 Depth=1
	s_or_b64 exec, exec, s[12:13]
	v_lshlrev_b32_e32 v46, 16, v46
	v_and_or_b32 v1, v1, s24, v46
	v_lshlrev_b32_e32 v45, 16, v45
	v_lshlrev_b32_e32 v44, 16, v44
	v_and_or_b32 v2, v2, s24, v45
	v_and_or_b32 v3, v3, s24, v44
	;;#ASMSTART
	v_pk_mul_f16 v1, v37, v1;

	;;#ASMEND
	;;#ASMSTART
	v_pk_mul_f16 v2, v38, v2;

	;;#ASMEND
	;; [unrolled: 4-line block ×4, first 2 shown]
	;;#ASMSTART
	v_pk_add_f16 v1, v1, v2;

	;;#ASMEND
	;;#ASMSTART
	v_pk_add_f16 v1, v1, v3;

	;;#ASMEND
	;; [unrolled: 4-line block ×3, first 2 shown]
	v_lshrrev_b32_e32 v2, 16, v1
	v_and_b32_e32 v1, 0xffff, v1
	;;#ASMSTART
	v_cvt_f32_f16 v44, v1;
	;;#ASMEND
	;;#ASMSTART
	v_cvt_f32_f16 v45, v2;
	;;#ASMEND
	global_load_dwordx4 v[1:4], v[7:8], off offset:3072
	s_waitcnt vmcnt(0)
	v_lshrrev_b32_e32 v48, 16, v1
	v_lshrrev_b32_e32 v47, 16, v2
	;; [unrolled: 1-line block ×3, first 2 shown]
	s_and_saveexec_b64 s[12:13], s[0:1]
	s_cbranch_execz .LBB80_49
; %bb.48:                               ;   in Loop: Header=BB80_40 Depth=1
	v_cmp_gt_i32_e32 vcc, s33, v28
	v_cndmask_b32_e32 v1, 0, v1, vcc
	v_cmp_gt_i32_e32 vcc, s33, v35
	v_cndmask_b32_e32 v48, 0, v48, vcc
	;; [unrolled: 2-line block ×6, first 2 shown]
	v_cmp_gt_i32_e32 vcc, s33, v30
	v_cndmask_b32_sdwa v49, v22, v4, vcc dst_sel:DWORD dst_unused:UNUSED_PAD src0_sel:DWORD src1_sel:WORD_0
	v_and_b32_e32 v4, 0xffff0000, v4
	v_cmp_gt_i32_e32 vcc, s33, v29
	v_cndmask_b32_e32 v4, 0, v4, vcc
	v_or_b32_e32 v4, v49, v4
.LBB80_49:                              ;   in Loop: Header=BB80_40 Depth=1
	s_or_b64 exec, exec, s[12:13]
	v_lshlrev_b32_e32 v48, 16, v48
	v_and_or_b32 v1, v1, s24, v48
	v_lshlrev_b32_e32 v47, 16, v47
	v_lshlrev_b32_e32 v46, 16, v46
	v_and_or_b32 v2, v2, s24, v47
	v_and_or_b32 v3, v3, s24, v46
	;;#ASMSTART
	v_pk_mul_f16 v1, v37, v1;

	;;#ASMEND
	;;#ASMSTART
	v_pk_mul_f16 v2, v38, v2;

	;;#ASMEND
	;; [unrolled: 4-line block ×4, first 2 shown]
	;;#ASMSTART
	v_pk_add_f16 v1, v1, v2;

	;;#ASMEND
	;;#ASMSTART
	v_pk_add_f16 v1, v1, v3;

	;;#ASMEND
	;;#ASMSTART
	v_pk_add_f16 v1, v1, v4;

	;;#ASMEND
	v_lshrrev_b32_e32 v2, 16, v1
	v_and_b32_e32 v1, 0xffff, v1
	;;#ASMSTART
	v_cvt_f32_f16 v46, v1;
	;;#ASMEND
	v_add_co_u32_e32 v1, vcc, 0x1000, v7
	;;#ASMSTART
	v_cvt_f32_f16 v47, v2;
	;;#ASMEND
	v_addc_co_u32_e32 v2, vcc, 0, v8, vcc
	global_load_dwordx4 v[1:4], v[1:2], off
	s_waitcnt vmcnt(0)
	v_lshrrev_b32_e32 v50, 16, v1
	v_lshrrev_b32_e32 v49, 16, v2
	;; [unrolled: 1-line block ×3, first 2 shown]
	s_and_saveexec_b64 s[12:13], s[0:1]
	s_cbranch_execz .LBB80_51
; %bb.50:                               ;   in Loop: Header=BB80_40 Depth=1
	v_cmp_gt_i32_e32 vcc, s33, v28
	v_cndmask_b32_e32 v1, 0, v1, vcc
	v_cmp_gt_i32_e32 vcc, s33, v35
	v_cndmask_b32_e32 v50, 0, v50, vcc
	;; [unrolled: 2-line block ×6, first 2 shown]
	v_cmp_gt_i32_e32 vcc, s33, v30
	v_cndmask_b32_sdwa v51, v22, v4, vcc dst_sel:DWORD dst_unused:UNUSED_PAD src0_sel:DWORD src1_sel:WORD_0
	v_and_b32_e32 v4, 0xffff0000, v4
	v_cmp_gt_i32_e32 vcc, s33, v29
	v_cndmask_b32_e32 v4, 0, v4, vcc
	v_or_b32_e32 v4, v51, v4
.LBB80_51:                              ;   in Loop: Header=BB80_40 Depth=1
	s_or_b64 exec, exec, s[12:13]
	v_lshlrev_b32_e32 v50, 16, v50
	v_and_or_b32 v1, v1, s24, v50
	v_lshlrev_b32_e32 v49, 16, v49
	v_lshlrev_b32_e32 v48, 16, v48
	v_and_or_b32 v2, v2, s24, v49
	v_and_or_b32 v3, v3, s24, v48
	;;#ASMSTART
	v_pk_mul_f16 v1, v37, v1;

	;;#ASMEND
	;;#ASMSTART
	v_pk_mul_f16 v2, v38, v2;

	;;#ASMEND
	;; [unrolled: 4-line block ×4, first 2 shown]
	;;#ASMSTART
	v_pk_add_f16 v1, v1, v2;

	;;#ASMEND
	;;#ASMSTART
	v_pk_add_f16 v1, v1, v3;

	;;#ASMEND
	;; [unrolled: 4-line block ×3, first 2 shown]
	v_lshrrev_b32_e32 v2, 16, v1
	v_and_b32_e32 v1, 0xffff, v1
	;;#ASMSTART
	v_cvt_f32_f16 v48, v1;
	;;#ASMEND
	v_add_co_u32_e32 v1, vcc, 0x1000, v7
	;;#ASMSTART
	v_cvt_f32_f16 v49, v2;
	;;#ASMEND
	v_addc_co_u32_e32 v2, vcc, 0, v8, vcc
	global_load_dwordx4 v[1:4], v[1:2], off offset:1024
	s_waitcnt vmcnt(0)
	v_lshrrev_b32_e32 v52, 16, v1
	v_lshrrev_b32_e32 v51, 16, v2
	;; [unrolled: 1-line block ×3, first 2 shown]
	s_and_saveexec_b64 s[12:13], s[0:1]
	s_cbranch_execz .LBB80_53
; %bb.52:                               ;   in Loop: Header=BB80_40 Depth=1
	v_cmp_gt_i32_e32 vcc, s33, v28
	v_cndmask_b32_e32 v1, 0, v1, vcc
	v_cmp_gt_i32_e32 vcc, s33, v35
	v_cndmask_b32_e32 v52, 0, v52, vcc
	v_cmp_gt_i32_e32 vcc, s33, v34
	v_cndmask_b32_e32 v2, 0, v2, vcc
	v_cmp_gt_i32_e32 vcc, s33, v33
	v_cndmask_b32_e32 v51, 0, v51, vcc
	v_cmp_gt_i32_e32 vcc, s33, v32
	v_cndmask_b32_e32 v3, 0, v3, vcc
	v_cmp_gt_i32_e32 vcc, s33, v31
	v_cndmask_b32_e32 v50, 0, v50, vcc
	v_cmp_gt_i32_e32 vcc, s33, v30
	v_cndmask_b32_sdwa v53, v22, v4, vcc dst_sel:DWORD dst_unused:UNUSED_PAD src0_sel:DWORD src1_sel:WORD_0
	v_and_b32_e32 v4, 0xffff0000, v4
	v_cmp_gt_i32_e32 vcc, s33, v29
	v_cndmask_b32_e32 v4, 0, v4, vcc
	v_or_b32_e32 v4, v53, v4
.LBB80_53:                              ;   in Loop: Header=BB80_40 Depth=1
	s_or_b64 exec, exec, s[12:13]
	v_lshlrev_b32_e32 v52, 16, v52
	v_and_or_b32 v1, v1, s24, v52
	v_lshlrev_b32_e32 v51, 16, v51
	v_lshlrev_b32_e32 v50, 16, v50
	v_and_or_b32 v2, v2, s24, v51
	v_and_or_b32 v3, v3, s24, v50
	;;#ASMSTART
	v_pk_mul_f16 v1, v37, v1;

	;;#ASMEND
	;;#ASMSTART
	v_pk_mul_f16 v2, v38, v2;

	;;#ASMEND
	;; [unrolled: 4-line block ×4, first 2 shown]
	;;#ASMSTART
	v_pk_add_f16 v1, v1, v2;

	;;#ASMEND
	;;#ASMSTART
	v_pk_add_f16 v1, v1, v3;

	;;#ASMEND
	;; [unrolled: 4-line block ×3, first 2 shown]
	v_lshrrev_b32_e32 v2, 16, v1
	v_and_b32_e32 v1, 0xffff, v1
	;;#ASMSTART
	v_cvt_f32_f16 v50, v1;
	;;#ASMEND
	v_add_co_u32_e32 v1, vcc, 0x1000, v7
	;;#ASMSTART
	v_cvt_f32_f16 v51, v2;
	;;#ASMEND
	v_addc_co_u32_e32 v2, vcc, 0, v8, vcc
	global_load_dwordx4 v[1:4], v[1:2], off offset:2048
	s_waitcnt vmcnt(0)
	v_lshrrev_b32_e32 v54, 16, v1
	v_lshrrev_b32_e32 v53, 16, v2
	;; [unrolled: 1-line block ×3, first 2 shown]
	s_and_saveexec_b64 s[12:13], s[0:1]
	s_cbranch_execz .LBB80_55
; %bb.54:                               ;   in Loop: Header=BB80_40 Depth=1
	v_cmp_gt_i32_e32 vcc, s33, v28
	v_cndmask_b32_e32 v1, 0, v1, vcc
	v_cmp_gt_i32_e32 vcc, s33, v35
	v_cndmask_b32_e32 v54, 0, v54, vcc
	;; [unrolled: 2-line block ×6, first 2 shown]
	v_cmp_gt_i32_e32 vcc, s33, v30
	v_cndmask_b32_sdwa v55, v22, v4, vcc dst_sel:DWORD dst_unused:UNUSED_PAD src0_sel:DWORD src1_sel:WORD_0
	v_and_b32_e32 v4, 0xffff0000, v4
	v_cmp_gt_i32_e32 vcc, s33, v29
	v_cndmask_b32_e32 v4, 0, v4, vcc
	v_or_b32_e32 v4, v55, v4
.LBB80_55:                              ;   in Loop: Header=BB80_40 Depth=1
	s_or_b64 exec, exec, s[12:13]
	v_lshlrev_b32_e32 v54, 16, v54
	v_and_or_b32 v1, v1, s24, v54
	v_lshlrev_b32_e32 v53, 16, v53
	v_lshlrev_b32_e32 v52, 16, v52
	v_and_or_b32 v2, v2, s24, v53
	v_and_or_b32 v3, v3, s24, v52
	;;#ASMSTART
	v_pk_mul_f16 v1, v37, v1;

	;;#ASMEND
	;;#ASMSTART
	v_pk_mul_f16 v2, v38, v2;

	;;#ASMEND
	;;#ASMSTART
	v_pk_mul_f16 v3, v39, v3;

	;;#ASMEND
	;;#ASMSTART
	v_pk_mul_f16 v4, v36, v4;

	;;#ASMEND
	;;#ASMSTART
	v_pk_add_f16 v1, v1, v2;

	;;#ASMEND
	;;#ASMSTART
	v_pk_add_f16 v1, v1, v3;

	;;#ASMEND
	;; [unrolled: 4-line block ×3, first 2 shown]
	v_lshrrev_b32_e32 v2, 16, v1
	v_and_b32_e32 v1, 0xffff, v1
	;;#ASMSTART
	v_cvt_f32_f16 v52, v1;
	;;#ASMEND
	v_add_co_u32_e32 v1, vcc, 0x1000, v7
	;;#ASMSTART
	v_cvt_f32_f16 v54, v2;
	;;#ASMEND
	v_addc_co_u32_e32 v2, vcc, 0, v8, vcc
	global_load_dwordx4 v[1:4], v[1:2], off offset:3072
	s_waitcnt vmcnt(0)
	v_lshrrev_b32_e32 v53, 16, v1
	v_lshrrev_b32_e32 v8, 16, v2
	;; [unrolled: 1-line block ×3, first 2 shown]
	s_and_saveexec_b64 s[12:13], s[0:1]
	s_cbranch_execz .LBB80_38
; %bb.56:                               ;   in Loop: Header=BB80_40 Depth=1
	v_cmp_gt_i32_e32 vcc, s33, v28
	v_cndmask_b32_e32 v1, 0, v1, vcc
	v_cmp_gt_i32_e32 vcc, s33, v35
	v_cndmask_b32_e32 v53, 0, v53, vcc
	;; [unrolled: 2-line block ×6, first 2 shown]
	v_cmp_gt_i32_e32 vcc, s33, v30
	v_cndmask_b32_sdwa v28, v22, v4, vcc dst_sel:DWORD dst_unused:UNUSED_PAD src0_sel:DWORD src1_sel:WORD_0
	v_and_b32_e32 v4, 0xffff0000, v4
	v_cmp_gt_i32_e32 vcc, s33, v29
	v_cndmask_b32_e32 v4, 0, v4, vcc
	v_or_b32_e32 v4, v28, v4
	s_branch .LBB80_38
.LBB80_57:
	s_or_b64 exec, exec, s[4:5]
.LBB80_58:
	s_or_b64 exec, exec, s[2:3]
	ds_bpermute_b32 v2, v12, v21
	ds_bpermute_b32 v3, v12, v19
	;; [unrolled: 1-line block ×5, first 2 shown]
	s_waitcnt lgkmcnt(4)
	v_add_f32_e32 v4, v21, v2
	s_waitcnt lgkmcnt(3)
	v_add_f32_e32 v2, v19, v3
	ds_bpermute_b32 v3, v12, v17
	s_waitcnt lgkmcnt(3)
	v_add_f32_e32 v6, v20, v1
	ds_bpermute_b32 v1, v12, v18
	ds_bpermute_b32 v10, v12, v14
	s_waitcnt lgkmcnt(3)
	v_add_f32_e32 v5, v16, v5
	s_waitcnt lgkmcnt(2)
	v_add_f32_e32 v7, v17, v3
	v_add_f32_e32 v3, v15, v9
	v_and_b32_e32 v9, 0x3c1, v0
	s_waitcnt lgkmcnt(1)
	v_add_f32_e32 v8, v18, v1
	s_waitcnt lgkmcnt(0)
	v_add_f32_e32 v1, v14, v10
	v_cmp_eq_u32_e32 vcc, 64, v9
	s_barrier
	s_and_saveexec_b64 s[0:1], vcc
	s_cbranch_execz .LBB80_60
; %bb.59:
	v_mov_b32_e32 v10, 0x210
	v_lshl_add_u32 v10, v11, 1, v10
	ds_write2_b32 v10, v6, v4 offset1:32
	ds_write2_b32 v10, v2, v8 offset0:64 offset1:96
	ds_write2_b32 v10, v7, v5 offset0:128 offset1:160
	;; [unrolled: 1-line block ×3, first 2 shown]
.LBB80_60:
	s_or_b64 exec, exec, s[0:1]
	v_cmp_gt_u32_e32 vcc, 64, v0
	v_lshrrev_b32_e32 v0, 1, v0
	s_waitcnt lgkmcnt(0)
	s_barrier
	s_and_saveexec_b64 s[0:1], vcc
	s_cbranch_execz .LBB80_71
; %bb.61:
	v_mov_b32_e32 v10, 0x210
	v_cmp_eq_u32_e32 vcc, 0, v13
	v_lshl_add_u32 v10, v0, 2, v10
	s_and_saveexec_b64 s[2:3], vcc
	s_cbranch_execnz .LBB80_74
; %bb.62:
	s_or_b64 exec, exec, s[2:3]
	s_and_saveexec_b64 s[2:3], vcc
	s_cbranch_execnz .LBB80_75
.LBB80_63:
	s_or_b64 exec, exec, s[2:3]
	s_and_saveexec_b64 s[2:3], vcc
	s_cbranch_execnz .LBB80_76
.LBB80_64:
	s_or_b64 exec, exec, s[2:3]
	s_and_saveexec_b64 s[2:3], vcc
	s_cbranch_execnz .LBB80_77
.LBB80_65:
	s_or_b64 exec, exec, s[2:3]
	s_and_saveexec_b64 s[2:3], vcc
	s_cbranch_execnz .LBB80_78
.LBB80_66:
	s_or_b64 exec, exec, s[2:3]
	s_and_saveexec_b64 s[2:3], vcc
	s_cbranch_execnz .LBB80_79
.LBB80_67:
	s_or_b64 exec, exec, s[2:3]
	s_and_saveexec_b64 s[2:3], vcc
	s_cbranch_execnz .LBB80_80
.LBB80_68:
	s_or_b64 exec, exec, s[2:3]
	s_and_saveexec_b64 s[2:3], vcc
	s_cbranch_execz .LBB80_70
.LBB80_69:
	ds_read_b32 v10, v10 offset:896
	s_waitcnt lgkmcnt(0)
	v_add_f32_e32 v1, v1, v10
.LBB80_70:
	s_or_b64 exec, exec, s[2:3]
.LBB80_71:
	s_or_b64 exec, exec, s[0:1]
	v_cmp_eq_u32_e32 vcc, 0, v9
	s_barrier
	s_and_saveexec_b64 s[0:1], vcc
	s_cbranch_execz .LBB80_73
; %bb.72:
	s_mul_i32 s0, s10, s11
	s_mul_i32 s0, s0, s9
	s_lshl_b32 s0, s0, 8
	s_ashr_i32 s1, s0, 31
	s_lshl_b64 s[0:1], s[0:1], 1
	s_add_u32 s2, s22, s0
	s_mul_i32 s0, s11, s20
	s_addc_u32 s3, s23, s1
	s_ashr_i32 s1, s0, 31
	s_lshl_b64 s[0:1], s[0:1], 1
	s_add_u32 s2, s2, s0
	s_addc_u32 s3, s3, s1
	s_lshl_b32 s0, s8, 8
	s_ashr_i32 s1, s0, 31
	s_lshl_b64 s[0:1], s[0:1], 1
	s_add_u32 s0, s2, s0
	s_addc_u32 s1, s3, s1
	v_lshlrev_b32_e32 v0, 1, v0
	;;#ASMSTART
	v_cvt_f16_f32 v6, v6;

	;;#ASMEND
	global_store_short v0, v6, s[0:1]
	;;#ASMSTART
	v_cvt_f16_f32 v4, v4;

	;;#ASMEND
	global_store_short v0, v4, s[0:1] offset:64
	;;#ASMSTART
	v_cvt_f16_f32 v2, v2;

	;;#ASMEND
	global_store_short v0, v2, s[0:1] offset:128
	;;#ASMSTART
	v_cvt_f16_f32 v2, v8;

	;;#ASMEND
	global_store_short v0, v2, s[0:1] offset:192
	;;#ASMSTART
	v_cvt_f16_f32 v2, v7;

	;;#ASMEND
	global_store_short v0, v2, s[0:1] offset:256
	;;#ASMSTART
	v_cvt_f16_f32 v2, v5;

	;;#ASMEND
	global_store_short v0, v2, s[0:1] offset:320
	;;#ASMSTART
	v_cvt_f16_f32 v2, v3;

	;;#ASMEND
	global_store_short v0, v2, s[0:1] offset:384
	;;#ASMSTART
	v_cvt_f16_f32 v1, v1;

	;;#ASMEND
	global_store_short v0, v1, s[0:1] offset:448
.LBB80_73:
	s_endpgm
.LBB80_74:
	ds_read_b32 v11, v10
	s_waitcnt lgkmcnt(0)
	v_add_f32_e32 v6, v6, v11
	s_or_b64 exec, exec, s[2:3]
	s_and_saveexec_b64 s[2:3], vcc
	s_cbranch_execz .LBB80_63
.LBB80_75:
	ds_read_b32 v11, v10 offset:128
	s_waitcnt lgkmcnt(0)
	v_add_f32_e32 v4, v4, v11
	s_or_b64 exec, exec, s[2:3]
	s_and_saveexec_b64 s[2:3], vcc
	s_cbranch_execz .LBB80_64
.LBB80_76:
	ds_read_b32 v11, v10 offset:256
	s_waitcnt lgkmcnt(0)
	v_add_f32_e32 v2, v2, v11
	s_or_b64 exec, exec, s[2:3]
	s_and_saveexec_b64 s[2:3], vcc
	s_cbranch_execz .LBB80_65
.LBB80_77:
	ds_read_b32 v11, v10 offset:384
	s_waitcnt lgkmcnt(0)
	v_add_f32_e32 v8, v8, v11
	s_or_b64 exec, exec, s[2:3]
	s_and_saveexec_b64 s[2:3], vcc
	s_cbranch_execz .LBB80_66
.LBB80_78:
	ds_read_b32 v11, v10 offset:512
	s_waitcnt lgkmcnt(0)
	v_add_f32_e32 v7, v7, v11
	s_or_b64 exec, exec, s[2:3]
	s_and_saveexec_b64 s[2:3], vcc
	s_cbranch_execz .LBB80_67
.LBB80_79:
	ds_read_b32 v11, v10 offset:640
	s_waitcnt lgkmcnt(0)
	v_add_f32_e32 v5, v5, v11
	s_or_b64 exec, exec, s[2:3]
	s_and_saveexec_b64 s[2:3], vcc
	s_cbranch_execz .LBB80_68
.LBB80_80:
	ds_read_b32 v11, v10 offset:768
	s_waitcnt lgkmcnt(0)
	v_add_f32_e32 v3, v3, v11
	s_or_b64 exec, exec, s[2:3]
	s_and_saveexec_b64 s[2:3], vcc
	s_cbranch_execnz .LBB80_69
	s_branch .LBB80_70
	.section	.rodata,"a",@progbits
	.p2align	6, 0x0
	.amdhsa_kernel _ZN4vllm25paged_attention_v1_kernelIttLi256ELi16ELi128ELNS_18Fp8KVCacheDataTypeE0ELb1EEEvPT_PKS2_PKT0_S8_ifPKiSA_iPKfiiiSC_SC_iiiii
		.amdhsa_group_segment_fixed_size 528
		.amdhsa_private_segment_fixed_size 0
		.amdhsa_kernarg_size 384
		.amdhsa_user_sgpr_count 6
		.amdhsa_user_sgpr_private_segment_buffer 1
		.amdhsa_user_sgpr_dispatch_ptr 0
		.amdhsa_user_sgpr_queue_ptr 0
		.amdhsa_user_sgpr_kernarg_segment_ptr 1
		.amdhsa_user_sgpr_dispatch_id 0
		.amdhsa_user_sgpr_flat_scratch_init 0
		.amdhsa_user_sgpr_private_segment_size 0
		.amdhsa_uses_dynamic_stack 0
		.amdhsa_system_sgpr_private_segment_wavefront_offset 0
		.amdhsa_system_sgpr_workgroup_id_x 1
		.amdhsa_system_sgpr_workgroup_id_y 1
		.amdhsa_system_sgpr_workgroup_id_z 1
		.amdhsa_system_sgpr_workgroup_info 0
		.amdhsa_system_vgpr_workitem_id 0
		.amdhsa_next_free_vgpr 60
		.amdhsa_next_free_sgpr 45
		.amdhsa_reserve_vcc 1
		.amdhsa_reserve_flat_scratch 0
		.amdhsa_float_round_mode_32 0
		.amdhsa_float_round_mode_16_64 0
		.amdhsa_float_denorm_mode_32 3
		.amdhsa_float_denorm_mode_16_64 3
		.amdhsa_dx10_clamp 1
		.amdhsa_ieee_mode 1
		.amdhsa_fp16_overflow 0
		.amdhsa_exception_fp_ieee_invalid_op 0
		.amdhsa_exception_fp_denorm_src 0
		.amdhsa_exception_fp_ieee_div_zero 0
		.amdhsa_exception_fp_ieee_overflow 0
		.amdhsa_exception_fp_ieee_underflow 0
		.amdhsa_exception_fp_ieee_inexact 0
		.amdhsa_exception_int_div_zero 0
	.end_amdhsa_kernel
	.section	.text._ZN4vllm25paged_attention_v1_kernelIttLi256ELi16ELi128ELNS_18Fp8KVCacheDataTypeE0ELb1EEEvPT_PKS2_PKT0_S8_ifPKiSA_iPKfiiiSC_SC_iiiii,"axG",@progbits,_ZN4vllm25paged_attention_v1_kernelIttLi256ELi16ELi128ELNS_18Fp8KVCacheDataTypeE0ELb1EEEvPT_PKS2_PKT0_S8_ifPKiSA_iPKfiiiSC_SC_iiiii,comdat
.Lfunc_end80:
	.size	_ZN4vllm25paged_attention_v1_kernelIttLi256ELi16ELi128ELNS_18Fp8KVCacheDataTypeE0ELb1EEEvPT_PKS2_PKT0_S8_ifPKiSA_iPKfiiiSC_SC_iiiii, .Lfunc_end80-_ZN4vllm25paged_attention_v1_kernelIttLi256ELi16ELi128ELNS_18Fp8KVCacheDataTypeE0ELb1EEEvPT_PKS2_PKT0_S8_ifPKiSA_iPKfiiiSC_SC_iiiii
                                        ; -- End function
	.set _ZN4vllm25paged_attention_v1_kernelIttLi256ELi16ELi128ELNS_18Fp8KVCacheDataTypeE0ELb1EEEvPT_PKS2_PKT0_S8_ifPKiSA_iPKfiiiSC_SC_iiiii.num_vgpr, 60
	.set _ZN4vllm25paged_attention_v1_kernelIttLi256ELi16ELi128ELNS_18Fp8KVCacheDataTypeE0ELb1EEEvPT_PKS2_PKT0_S8_ifPKiSA_iPKfiiiSC_SC_iiiii.num_agpr, 0
	.set _ZN4vllm25paged_attention_v1_kernelIttLi256ELi16ELi128ELNS_18Fp8KVCacheDataTypeE0ELb1EEEvPT_PKS2_PKT0_S8_ifPKiSA_iPKfiiiSC_SC_iiiii.numbered_sgpr, 45
	.set _ZN4vllm25paged_attention_v1_kernelIttLi256ELi16ELi128ELNS_18Fp8KVCacheDataTypeE0ELb1EEEvPT_PKS2_PKT0_S8_ifPKiSA_iPKfiiiSC_SC_iiiii.num_named_barrier, 0
	.set _ZN4vllm25paged_attention_v1_kernelIttLi256ELi16ELi128ELNS_18Fp8KVCacheDataTypeE0ELb1EEEvPT_PKS2_PKT0_S8_ifPKiSA_iPKfiiiSC_SC_iiiii.private_seg_size, 0
	.set _ZN4vllm25paged_attention_v1_kernelIttLi256ELi16ELi128ELNS_18Fp8KVCacheDataTypeE0ELb1EEEvPT_PKS2_PKT0_S8_ifPKiSA_iPKfiiiSC_SC_iiiii.uses_vcc, 1
	.set _ZN4vllm25paged_attention_v1_kernelIttLi256ELi16ELi128ELNS_18Fp8KVCacheDataTypeE0ELb1EEEvPT_PKS2_PKT0_S8_ifPKiSA_iPKfiiiSC_SC_iiiii.uses_flat_scratch, 0
	.set _ZN4vllm25paged_attention_v1_kernelIttLi256ELi16ELi128ELNS_18Fp8KVCacheDataTypeE0ELb1EEEvPT_PKS2_PKT0_S8_ifPKiSA_iPKfiiiSC_SC_iiiii.has_dyn_sized_stack, 0
	.set _ZN4vllm25paged_attention_v1_kernelIttLi256ELi16ELi128ELNS_18Fp8KVCacheDataTypeE0ELb1EEEvPT_PKS2_PKT0_S8_ifPKiSA_iPKfiiiSC_SC_iiiii.has_recursion, 0
	.set _ZN4vllm25paged_attention_v1_kernelIttLi256ELi16ELi128ELNS_18Fp8KVCacheDataTypeE0ELb1EEEvPT_PKS2_PKT0_S8_ifPKiSA_iPKfiiiSC_SC_iiiii.has_indirect_call, 0
	.section	.AMDGPU.csdata,"",@progbits
; Kernel info:
; codeLenInByte = 8620
; TotalNumSgprs: 49
; NumVgprs: 60
; ScratchSize: 0
; MemoryBound: 0
; FloatMode: 240
; IeeeMode: 1
; LDSByteSize: 528 bytes/workgroup (compile time only)
; SGPRBlocks: 6
; VGPRBlocks: 14
; NumSGPRsForWavesPerEU: 49
; NumVGPRsForWavesPerEU: 60
; Occupancy: 4
; WaveLimiterHint : 1
; COMPUTE_PGM_RSRC2:SCRATCH_EN: 0
; COMPUTE_PGM_RSRC2:USER_SGPR: 6
; COMPUTE_PGM_RSRC2:TRAP_HANDLER: 0
; COMPUTE_PGM_RSRC2:TGID_X_EN: 1
; COMPUTE_PGM_RSRC2:TGID_Y_EN: 1
; COMPUTE_PGM_RSRC2:TGID_Z_EN: 1
; COMPUTE_PGM_RSRC2:TIDIG_COMP_CNT: 0
	.section	.text._ZN4vllm25paged_attention_v1_kernelIttLi32ELi16ELi128ELNS_18Fp8KVCacheDataTypeE0ELb0EEEvPT_PKS2_PKT0_S8_ifPKiSA_iPKfiiiSC_SC_iiiii,"axG",@progbits,_ZN4vllm25paged_attention_v1_kernelIttLi32ELi16ELi128ELNS_18Fp8KVCacheDataTypeE0ELb0EEEvPT_PKS2_PKT0_S8_ifPKiSA_iPKfiiiSC_SC_iiiii,comdat
	.protected	_ZN4vllm25paged_attention_v1_kernelIttLi32ELi16ELi128ELNS_18Fp8KVCacheDataTypeE0ELb0EEEvPT_PKS2_PKT0_S8_ifPKiSA_iPKfiiiSC_SC_iiiii ; -- Begin function _ZN4vllm25paged_attention_v1_kernelIttLi32ELi16ELi128ELNS_18Fp8KVCacheDataTypeE0ELb0EEEvPT_PKS2_PKT0_S8_ifPKiSA_iPKfiiiSC_SC_iiiii
	.globl	_ZN4vllm25paged_attention_v1_kernelIttLi32ELi16ELi128ELNS_18Fp8KVCacheDataTypeE0ELb0EEEvPT_PKS2_PKT0_S8_ifPKiSA_iPKfiiiSC_SC_iiiii
	.p2align	8
	.type	_ZN4vllm25paged_attention_v1_kernelIttLi32ELi16ELi128ELNS_18Fp8KVCacheDataTypeE0ELb0EEEvPT_PKS2_PKT0_S8_ifPKiSA_iPKfiiiSC_SC_iiiii,@function
_ZN4vllm25paged_attention_v1_kernelIttLi32ELi16ELi128ELNS_18Fp8KVCacheDataTypeE0ELb0EEEvPT_PKS2_PKT0_S8_ifPKiSA_iPKfiiiSC_SC_iiiii: ; @_ZN4vllm25paged_attention_v1_kernelIttLi32ELi16ELi128ELNS_18Fp8KVCacheDataTypeE0ELb0EEEvPT_PKS2_PKT0_S8_ifPKiSA_iPKfiiiSC_SC_iiiii
; %bb.0:
	s_load_dword s9, s[4:5], 0x80
	s_load_dwordx2 s[0:1], s[4:5], 0x30
	s_load_dwordx2 s[26:27], s[4:5], 0x20
	s_mov_b32 s10, s7
	s_ashr_i32 s11, s7, 31
	s_lshl_b64 s[2:3], s[10:11], 2
	s_waitcnt lgkmcnt(0)
	s_add_u32 s0, s0, s2
	s_addc_u32 s1, s1, s3
	s_abs_i32 s2, s26
	v_cvt_f32_u32_e32 v1, s2
	s_sub_i32 s11, 0, s2
	s_abs_i32 s7, s9
	s_xor_b32 s3, s9, s26
	v_rcp_iflag_f32_e32 v1, v1
	s_ashr_i32 s3, s3, 31
	s_mov_b32 s26, 0
	v_mul_f32_e32 v1, 0x4f7ffffe, v1
	v_cvt_u32_f32_e32 v1, v1
	v_readfirstlane_b32 s12, v1
	s_mul_i32 s11, s11, s12
	s_mul_hi_u32 s11, s12, s11
	s_add_i32 s12, s12, s11
	s_mul_hi_u32 s11, s7, s12
	s_mul_i32 s12, s11, s2
	s_sub_i32 s7, s7, s12
	s_add_i32 s12, s11, 1
	s_sub_i32 s13, s7, s2
	s_cmp_ge_u32 s7, s2
	s_cselect_b32 s11, s12, s11
	s_cselect_b32 s7, s13, s7
	s_add_i32 s12, s11, 1
	s_cmp_ge_u32 s7, s2
	s_cselect_b32 s2, s12, s11
	s_xor_b32 s2, s2, s3
	s_sub_i32 s12, s2, s3
	s_abs_i32 s18, s12
	v_cvt_f32_u32_e32 v1, s18
	s_load_dwordx2 s[2:3], s[4:5], 0x40
	s_sub_i32 s7, 0, s18
	s_abs_i32 s19, s6
	v_rcp_iflag_f32_e32 v1, v1
	v_mul_f32_e32 v1, 0x4f7ffffe, v1
	v_cvt_u32_f32_e32 v1, v1
	v_readfirstlane_b32 s11, v1
	s_mul_i32 s7, s7, s11
	s_mul_hi_u32 s7, s11, s7
	s_add_i32 s11, s11, s7
	s_waitcnt lgkmcnt(0)
	s_cmp_eq_u64 s[2:3], 0
	s_mul_hi_u32 s22, s19, s11
	s_cbranch_scc1 .LBB81_2
; %bb.1:
	s_ashr_i32 s7, s6, 31
	s_lshl_b64 s[14:15], s[6:7], 2
	s_add_u32 s2, s2, s14
	s_addc_u32 s3, s3, s15
	s_load_dword s26, s[2:3], 0x0
.LBB81_2:
	s_load_dword s11, s[0:1], 0x0
	s_ashr_i32 s3, s12, 31
	s_load_dwordx4 s[12:15], s[4:5], 0x48
	s_ashr_i32 s2, s6, 31
	v_and_b32_e32 v1, 3, v0
	s_lshl_b32 s16, s6, 5
	v_cmp_gt_u32_e32 vcc, 16, v0
	v_lshlrev_b32_e32 v2, 2, v0
	s_and_saveexec_b64 s[0:1], vcc
	s_cbranch_execz .LBB81_4
; %bb.3:
	s_load_dwordx2 s[6:7], s[4:5], 0x8
	s_waitcnt lgkmcnt(0)
	s_mul_i32 s20, s12, s10
	s_ashr_i32 s21, s20, 31
	s_lshl_b64 s[20:21], s[20:21], 1
	v_and_b32_e32 v4, 0x3fc, v0
	s_add_u32 s12, s6, s20
	s_addc_u32 s15, s7, s21
	s_ashr_i32 s17, s16, 31
	s_lshl_b64 s[6:7], s[16:17], 1
	s_add_u32 s6, s12, s6
	s_addc_u32 s7, s15, s7
	global_load_dword v3, v2, s[6:7]
	v_lshl_add_u32 v4, v1, 4, v4
	s_waitcnt vmcnt(0)
	ds_write_b32 v4, v3
.LBB81_4:
	s_or_b64 exec, exec, s[0:1]
	s_waitcnt lgkmcnt(0)
	s_add_i32 s1, s11, 15
	s_ashr_i32 s6, s1, 31
	s_lshr_b32 s6, s6, 28
	s_add_i32 s1, s1, s6
	s_ashr_i32 s17, s1, 4
	s_xor_b32 s1, s2, s3
	s_mul_i32 s2, s22, s18
	s_sub_i32 s2, s19, s2
	s_add_i32 s3, s22, 1
	s_sub_i32 s6, s2, s18
	s_load_dwordx2 s[20:21], s[4:5], 0x28
	s_load_dword s0, s[4:5], 0x38
	s_cmp_ge_u32 s2, s18
	s_cselect_b32 s3, s3, s22
	s_cselect_b32 s2, s6, s2
	s_add_i32 s6, s3, 1
	s_cmp_ge_u32 s2, s18
	s_cselect_b32 s2, s6, s3
	v_lshrrev_b32_e32 v7, 6, v0
	s_xor_b32 s2, s2, s1
	s_waitcnt lgkmcnt(0)
	s_mul_i32 s22, s0, s10
	s_sub_i32 s15, s2, s1
	s_ashr_i32 s23, s22, 31
	v_cmp_gt_i32_e64 s[0:1], s17, v7
	v_cmp_le_i32_e32 vcc, s17, v7
	v_mbcnt_lo_u32_b32 v14, -1, 0
	s_barrier
                                        ; implicit-def: $vgpr4
                                        ; implicit-def: $vgpr6
                                        ; implicit-def: $vgpr5
	s_and_saveexec_b64 s[2:3], vcc
	s_xor_b64 s[2:3], exec, s[2:3]
; %bb.5:
	v_mbcnt_hi_u32_b32 v4, -1, v14
	v_and_b32_e32 v6, 64, v4
	v_add_u32_e32 v5, 64, v6
                                        ; implicit-def: $vgpr2
                                        ; implicit-def: $vgpr1
                                        ; implicit-def: $vgpr14
; %bb.6:
	s_or_saveexec_b64 s[6:7], s[2:3]
	s_load_dwordx2 s[18:19], s[4:5], 0x0
	s_load_dwordx2 s[24:25], s[4:5], 0x18
	s_load_dword s12, s[4:5], 0x88
	v_mov_b32_e32 v8, 0xff7fffff
	s_mul_i32 s14, s15, s14
	v_lshrrev_b32_e32 v3, 4, v0
	s_xor_b64 exec, exec, s[6:7]
	s_cbranch_execz .LBB81_12
; %bb.7:
	s_load_dwordx2 s[2:3], s[4:5], 0x10
	s_ashr_i32 s15, s14, 31
	s_lshl_b64 s[4:5], s[14:15], 1
	v_bfe_u32 v4, v0, 2, 4
	v_lshlrev_b32_e32 v5, 4, v4
	s_waitcnt lgkmcnt(0)
	s_add_u32 s2, s2, s4
	s_addc_u32 s3, s3, s5
	v_mov_b32_e32 v6, s3
	v_add_co_u32_e32 v5, vcc, s2, v5
	v_addc_co_u32_e32 v6, vcc, 0, v6, vcc
	v_and_b32_e32 v2, 12, v2
	v_add_co_u32_e32 v9, vcc, v5, v2
	v_addc_co_u32_e32 v10, vcc, 0, v6, vcc
	v_lshlrev_b32_e32 v11, 4, v1
	v_cmp_eq_u32_e32 vcc, 0, v1
	s_sub_i32 s15, 1, s11
	v_lshlrev_b32_e32 v1, 2, v4
	s_lshl_b64 s[4:5], s[22:23], 2
	v_lshl_or_b32 v1, v7, 6, v1
	s_add_u32 s4, s20, s4
	v_lshl_or_b32 v12, v7, 4, v4
	v_add_u32_e32 v13, 0x50, v1
	v_and_b32_e32 v1, 60, v3
	s_addc_u32 s5, s21, s5
	v_mbcnt_hi_u32_b32 v4, -1, v14
	v_mov_b32_e32 v2, s5
	v_add_co_u32_e64 v1, s[4:5], s4, v1
	v_and_b32_e32 v6, 64, v4
	s_mov_b32 s33, s13
	v_cmp_neq_f32_e64 s[2:3], s26, 0
	v_addc_co_u32_e64 v2, s[4:5], 0, v2, s[4:5]
	v_mov_b32_e32 v8, 0xff7fffff
	s_mov_b64 s[28:29], 0
	v_add_u32_e32 v5, 64, v6
	v_xor_b32_e32 v14, 2, v4
	v_xor_b32_e32 v15, 1, v4
	v_mov_b32_e32 v16, v7
	s_branch .LBB81_9
.LBB81_8:                               ;   in Loop: Header=BB81_9 Depth=1
	s_or_b64 exec, exec, s[30:31]
	v_add_u32_e32 v16, 2, v16
	v_cmp_le_i32_e64 s[4:5], s17, v16
	s_or_b64 s[28:29], s[4:5], s[28:29]
	v_add_co_u32_e64 v1, s[4:5], 8, v1
	v_add_u32_e32 v12, 32, v12
	v_add_u32_e32 v13, 0x80, v13
	v_addc_co_u32_e64 v2, s[4:5], 0, v2, s[4:5]
	s_andn2_b64 exec, exec, s[28:29]
	s_cbranch_execz .LBB81_11
.LBB81_9:                               ; =>This Inner Loop Header: Depth=1
	global_load_dword v17, v[1:2], off
	s_waitcnt vmcnt(0) lgkmcnt(0)
	v_mad_i64_i32 v[17:18], s[4:5], v17, s33, 0
	v_lshlrev_b64 v[17:18], 1, v[17:18]
	v_add_co_u32_e64 v19, s[4:5], v9, v17
	v_addc_co_u32_e64 v20, s[4:5], v10, v18, s[4:5]
	global_load_dword v18, v[19:20], off
	global_load_dword v21, v[19:20], off offset:256
	global_load_dword v22, v[19:20], off offset:512
	;; [unrolled: 1-line block ×3, first 2 shown]
	ds_read_b32 v19, v11
	v_cmp_lt_i32_e64 s[4:5], v14, v5
	v_cndmask_b32_e64 v20, v4, v14, s[4:5]
	v_lshlrev_b32_e32 v20, 2, v20
	v_cmp_lt_i32_e64 s[4:5], v15, v5
	s_waitcnt lgkmcnt(0)
	v_lshrrev_b32_e32 v23, 16, v19
	v_and_b32_e32 v19, 0xffff, v19
	;;#ASMSTART
	v_cvt_f32_f16 v19, v19;
	;;#ASMEND
	;;#ASMSTART
	v_cvt_f32_f16 v23, v23;
	;;#ASMEND
	s_waitcnt vmcnt(3)
	v_lshrrev_b32_e32 v24, 16, v18
	v_and_b32_e32 v18, 0xffff, v18
	;;#ASMSTART
	v_cvt_f32_f16 v18, v18;
	;;#ASMEND
	;;#ASMSTART
	v_cvt_f32_f16 v24, v24;
	;;#ASMEND
	ds_read_b32 v25, v11 offset:4
	s_waitcnt vmcnt(2)
	v_and_b32_e32 v26, 0xffff, v21
	v_lshrrev_b32_e32 v27, 16, v21
	s_waitcnt vmcnt(1)
	v_lshrrev_b32_e32 v28, 16, v22
	v_and_b32_e32 v29, 0xffff, v22
	s_waitcnt lgkmcnt(0)
	v_lshrrev_b32_e32 v22, 16, v25
	v_and_b32_e32 v21, 0xffff, v25
	;;#ASMSTART
	v_cvt_f32_f16 v21, v21;
	;;#ASMEND
	;;#ASMSTART
	v_cvt_f32_f16 v22, v22;
	;;#ASMEND
	;; [unrolled: 3-line block ×4, first 2 shown]
	ds_read_b32 v27, v11 offset:8
	s_waitcnt vmcnt(0)
	v_lshrrev_b32_e32 v30, 16, v17
	v_and_b32_e32 v31, 0xffff, v17
	v_mul_f32_e32 v17, v21, v25
	v_mul_f32_e32 v21, v22, v26
	s_waitcnt lgkmcnt(0)
	v_lshrrev_b32_e32 v25, 16, v27
	v_and_b32_e32 v22, 0xffff, v27
	;;#ASMSTART
	v_cvt_f32_f16 v22, v22;
	;;#ASMEND
	;;#ASMSTART
	v_cvt_f32_f16 v25, v25;
	;;#ASMEND
	;; [unrolled: 3-line block ×4, first 2 shown]
	ds_read_b32 v28, v11 offset:12
	v_fmac_f32_e32 v17, v19, v18
	v_fmac_f32_e32 v21, v23, v24
	;; [unrolled: 1-line block ×4, first 2 shown]
	s_waitcnt lgkmcnt(0)
	v_lshrrev_b32_e32 v19, 16, v28
	v_and_b32_e32 v18, 0xffff, v28
	;;#ASMSTART
	v_cvt_f32_f16 v18, v18;
	;;#ASMEND
	;;#ASMSTART
	v_cvt_f32_f16 v19, v19;
	;;#ASMEND
	;; [unrolled: 3-line block ×4, first 2 shown]
	v_fmac_f32_e32 v17, v18, v22
	v_fmac_f32_e32 v21, v19, v23
	v_add_f32_e32 v17, v17, v21
	ds_bpermute_b32 v18, v20, v17
	v_cndmask_b32_e64 v19, v4, v15, s[4:5]
	s_waitcnt lgkmcnt(0)
	v_add_f32_e32 v17, v17, v18
	v_lshlrev_b32_e32 v18, 2, v19
	ds_bpermute_b32 v18, v18, v17
	s_and_saveexec_b64 s[30:31], vcc
	s_cbranch_execz .LBB81_8
; %bb.10:                               ;   in Loop: Header=BB81_9 Depth=1
	v_add_u32_e32 v19, s15, v12
	v_cvt_f32_i32_e32 v19, v19
	s_waitcnt lgkmcnt(0)
	v_add_f32_e32 v17, v17, v18
	v_cmp_gt_i32_e64 s[4:5], s11, v12
	v_max_f32_e32 v18, v8, v8
	v_mul_f32_e32 v19, s26, v19
	v_cndmask_b32_e64 v19, 0, v19, s[2:3]
	v_fmac_f32_e32 v19, s27, v17
	v_cndmask_b32_e64 v17, 0, v19, s[4:5]
	ds_write_b32 v13, v17
	v_max_f32_e32 v17, v18, v19
	v_cndmask_b32_e64 v8, v8, v17, s[4:5]
	s_branch .LBB81_8
.LBB81_11:
	s_or_b64 exec, exec, s[28:29]
.LBB81_12:
	s_or_b64 exec, exec, s[6:7]
	v_xor_b32_e32 v1, 32, v4
	v_cmp_lt_i32_e32 vcc, v1, v5
	v_cndmask_b32_e32 v1, v4, v1, vcc
	v_lshlrev_b32_e32 v1, 2, v1
	ds_bpermute_b32 v2, v1, v8
	v_xor_b32_e32 v9, 16, v4
	v_max_f32_e32 v8, v8, v8
	v_cmp_lt_i32_e32 vcc, v9, v5
	v_xor_b32_e32 v10, 8, v4
	s_waitcnt lgkmcnt(0)
	v_max_f32_e32 v2, v2, v2
	v_max_f32_e32 v8, v8, v2
	v_cndmask_b32_e32 v2, v4, v9, vcc
	v_lshlrev_b32_e32 v2, 2, v2
	ds_bpermute_b32 v9, v2, v8
	v_cmp_lt_i32_e32 vcc, v10, v5
	s_waitcnt lgkmcnt(0)
	v_max_f32_e32 v9, v9, v9
	v_max_f32_e32 v8, v8, v9
	v_cndmask_b32_e32 v9, v4, v10, vcc
	v_lshlrev_b32_e32 v12, 2, v9
	ds_bpermute_b32 v9, v12, v8
	v_xor_b32_e32 v10, 4, v4
	v_cmp_lt_i32_e32 vcc, v10, v5
	s_waitcnt lgkmcnt(0)
	v_max_f32_e32 v9, v9, v9
	v_max_f32_e32 v9, v8, v9
	v_cndmask_b32_e32 v8, v4, v10, vcc
	v_lshlrev_b32_e32 v13, 2, v8
	ds_bpermute_b32 v11, v13, v9
	v_and_b32_e32 v8, 63, v0
	v_cmp_eq_u32_e32 vcc, 0, v8
	v_lshlrev_b32_e32 v10, 2, v7
	s_and_saveexec_b64 s[2:3], vcc
	s_cbranch_execz .LBB81_14
; %bb.13:
	s_waitcnt lgkmcnt(0)
	v_max_f32_e32 v11, v11, v11
	v_max_f32_e32 v9, v9, v9
	;; [unrolled: 1-line block ×3, first 2 shown]
	ds_write_b32 v10, v9 offset:64
.LBB81_14:
	s_or_b64 exec, exec, s[2:3]
	v_cmp_gt_u32_e64 s[2:3], 2, v8
	v_mov_b32_e32 v14, 0xff7fffff
	s_waitcnt lgkmcnt(0)
	v_lshlrev_b32_e32 v11, 2, v8
	s_barrier
	s_and_saveexec_b64 s[4:5], s[2:3]
; %bb.15:
	ds_read_b32 v14, v11 offset:64
; %bb.16:
	s_or_b64 exec, exec, s[4:5]
	v_xor_b32_e32 v9, 1, v4
	v_cmp_lt_i32_e64 s[4:5], v9, v5
	v_cndmask_b32_e64 v9, v4, v9, s[4:5]
	v_lshlrev_b32_e32 v9, 2, v9
	s_waitcnt lgkmcnt(0)
	ds_bpermute_b32 v15, v9, v14
	v_max_f32_e32 v14, v14, v14
	v_lshlrev_b32_e32 v6, 2, v6
	s_lshl_b32 s4, s17, 4
	s_min_i32 s15, s4, s11
	s_waitcnt lgkmcnt(0)
	v_max_f32_e32 v15, v15, v15
	v_max_f32_e32 v14, v14, v15
	ds_bpermute_b32 v14, v6, v14
	v_cmp_gt_i32_e64 s[4:5], s15, v0
	v_mov_b32_e32 v6, 0
	s_and_saveexec_b64 s[26:27], s[4:5]
	s_cbranch_execz .LBB81_20
; %bb.17:
	v_mov_b32_e32 v6, 0x50
	v_lshl_add_u32 v15, v0, 2, v6
	v_mov_b32_e32 v6, 0
	s_mov_b64 s[28:29], 0
	v_mov_b32_e32 v16, v0
.LBB81_18:                              ; =>This Inner Loop Header: Depth=1
	ds_read_b32 v17, v15
	v_add_u32_e32 v16, 0x80, v16
	v_cmp_le_i32_e64 s[6:7], s15, v16
	s_or_b64 s[28:29], s[6:7], s[28:29]
	s_waitcnt lgkmcnt(0)
	v_sub_f32_e32 v17, v17, v14
	v_mul_f32_e32 v17, 0x3fb8aa3b, v17
	v_exp_f32_e32 v17, v17
	ds_write_b32 v15, v17
	v_add_f32_e32 v6, v6, v17
	v_add_u32_e32 v15, 0x200, v15
	s_andn2_b64 exec, exec, s[28:29]
	s_cbranch_execnz .LBB81_18
; %bb.19:
	s_or_b64 exec, exec, s[28:29]
.LBB81_20:
	s_or_b64 exec, exec, s[26:27]
	ds_bpermute_b32 v1, v1, v6
	s_waitcnt lgkmcnt(0)
	v_add_f32_e32 v1, v6, v1
	ds_bpermute_b32 v2, v2, v1
	v_xor_b32_e32 v6, 2, v4
	v_cmp_lt_i32_e64 s[6:7], v6, v5
	v_cndmask_b32_e64 v5, v4, v6, s[6:7]
	s_waitcnt lgkmcnt(0)
	v_add_f32_e32 v1, v1, v2
	ds_bpermute_b32 v2, v12, v1
	s_waitcnt lgkmcnt(0)
	v_add_f32_e32 v1, v1, v2
	ds_bpermute_b32 v2, v13, v1
	s_waitcnt lgkmcnt(0)
	v_add_f32_e32 v1, v1, v2
	v_lshlrev_b32_e32 v2, 2, v5
	ds_bpermute_b32 v2, v2, v1
	s_waitcnt lgkmcnt(0)
	v_add_f32_e32 v1, v1, v2
	ds_bpermute_b32 v2, v9, v1
	s_waitcnt lgkmcnt(0)
	v_add_f32_e32 v1, v1, v2
	s_and_saveexec_b64 s[6:7], vcc
; %bb.21:
	ds_write_b32 v10, v1 offset:72
; %bb.22:
	s_or_b64 exec, exec, s[6:7]
	s_waitcnt lgkmcnt(0)
	s_barrier
	s_and_saveexec_b64 s[6:7], s[2:3]
; %bb.23:
	ds_read_b32 v1, v11 offset:72
; %bb.24:
	s_or_b64 exec, exec, s[6:7]
	s_waitcnt lgkmcnt(0)
	ds_bpermute_b32 v2, v9, v1
	v_lshlrev_b32_e32 v4, 2, v4
	s_waitcnt lgkmcnt(0)
	v_add_f32_e32 v1, v1, v2
	v_and_b32_e32 v2, 0xffffff00, v4
	ds_bpermute_b32 v1, v2, v1
	s_and_saveexec_b64 s[2:3], s[4:5]
	s_cbranch_execz .LBB81_27
; %bb.25:
	s_waitcnt lgkmcnt(0)
	v_add_f32_e32 v2, 0x358637bd, v1
	v_div_scale_f32 v1, s[4:5], v2, v2, 1.0
	v_div_scale_f32 v4, vcc, 1.0, v2, 1.0
	s_mov_b64 s[4:5], 0
	v_rcp_f32_e32 v5, v1
	v_fma_f32 v6, -v1, v5, 1.0
	v_fmac_f32_e32 v5, v6, v5
	v_mul_f32_e32 v6, v4, v5
	v_fma_f32 v10, -v1, v6, v4
	v_fmac_f32_e32 v6, v10, v5
	v_fma_f32 v1, -v1, v6, v4
	v_div_fmas_f32 v4, v1, v5, v6
	v_mov_b32_e32 v1, 0x50
	v_lshl_add_u32 v1, v0, 2, v1
	v_div_fixup_f32 v2, v4, v2, 1.0
	v_mov_b32_e32 v4, v0
.LBB81_26:                              ; =>This Inner Loop Header: Depth=1
	ds_read_b32 v5, v1
	v_add_u32_e32 v4, 0x80, v4
	v_cmp_le_i32_e32 vcc, s15, v4
	s_or_b64 s[4:5], vcc, s[4:5]
	s_waitcnt lgkmcnt(0)
	v_mul_f32_e32 v5, v2, v5
	ds_write_b32 v1, v5
	v_add_u32_e32 v1, 0x200, v1
	s_andn2_b64 exec, exec, s[4:5]
	s_cbranch_execnz .LBB81_26
.LBB81_27:
	s_or_b64 exec, exec, s[2:3]
	v_mov_b32_e32 v13, 0
	s_waitcnt lgkmcnt(0)
	s_barrier
	s_and_saveexec_b64 s[2:3], s[0:1]
	s_cbranch_execz .LBB81_33
; %bb.28:
	s_ashr_i32 s15, s14, 31
	s_lshl_b64 s[0:1], s[14:15], 1
	v_lshlrev_b32_e32 v2, 4, v0
	v_lshlrev_b32_e32 v1, 3, v0
	s_add_u32 s0, s24, s0
	v_and_b32_e32 v2, 0x3f0, v2
	v_and_b32_e32 v1, 8, v1
	v_add_co_u32_e32 v11, vcc, s0, v2
	v_lshlrev_b32_e32 v2, 4, v7
	s_addc_u32 s1, s25, s1
	v_or3_b32 v14, v2, v1, 7
	v_and_b32_e32 v1, 1, v0
	v_mov_b32_e32 v4, s1
	s_add_i32 s7, s17, -1
	v_lshlrev_b32_e32 v1, 5, v1
	s_lshl_b64 s[0:1], s[22:23], 2
	v_lshl_or_b32 v1, v7, 6, v1
	s_add_u32 s0, s20, s0
	v_addc_co_u32_e32 v12, vcc, 0, v4, vcc
	v_add_u32_e32 v15, 0x50, v1
	v_and_b32_e32 v1, 60, v3
	s_addc_u32 s1, s21, s1
	v_mov_b32_e32 v2, s1
	v_add_co_u32_e32 v5, vcc, s0, v1
	s_mov_b32 s6, s13
	v_mov_b32_e32 v10, 0
	v_addc_co_u32_e32 v6, vcc, 0, v2, vcc
	s_mov_b64 s[0:1], 0
	s_mov_b32 s13, 0xffff
	v_mov_b32_e32 v13, 0
	s_branch .LBB81_30
.LBB81_29:                              ;   in Loop: Header=BB81_30 Depth=1
	s_or_b64 exec, exec, s[4:5]
	v_and_b32_e32 v16, 0xffff, v16
	v_lshl_or_b32 v16, v17, 16, v16
	v_and_b32_e32 v17, 0xffff, v18
	v_and_b32_e32 v18, 0xffff, v20
	v_lshlrev_b32_e32 v20, 16, v26
	v_and_or_b32 v1, v1, s13, v20
	v_lshlrev_b32_e32 v20, 16, v25
	v_and_or_b32 v2, v2, s13, v20
	v_lshlrev_b32_e32 v20, 16, v24
	v_lshl_or_b32 v17, v19, 16, v17
	v_and_b32_e32 v19, 0xffff, v22
	v_and_or_b32 v3, v3, s13, v20
	;;#ASMSTART
	v_pk_mul_f16 v1, v16, v1;

	;;#ASMEND
	v_lshl_or_b32 v18, v21, 16, v18
	v_lshl_or_b32 v19, v23, 16, v19
	;;#ASMSTART
	v_pk_mul_f16 v2, v17, v2;

	;;#ASMEND
	;;#ASMSTART
	v_pk_mul_f16 v3, v18, v3;

	;;#ASMEND
	;; [unrolled: 4-line block ×3, first 2 shown]
	;;#ASMSTART
	v_pk_add_f16 v1, v1, v2;

	;;#ASMEND
	;;#ASMSTART
	v_pk_add_f16 v1, v1, v3;

	;;#ASMEND
	;; [unrolled: 4-line block ×3, first 2 shown]
	v_lshrrev_b32_e32 v2, 16, v1
	v_and_b32_e32 v1, 0xffff, v1
	v_add_u32_e32 v7, 2, v7
	;;#ASMSTART
	v_cvt_f32_f16 v1, v1;
	;;#ASMEND
	v_cmp_le_i32_e32 vcc, s17, v7
	;;#ASMSTART
	v_cvt_f32_f16 v2, v2;
	;;#ASMEND
	v_add_f32_e32 v1, v1, v2
	s_or_b64 s[0:1], vcc, s[0:1]
	v_add_co_u32_e32 v5, vcc, 8, v5
	v_add_f32_e32 v13, v13, v1
	v_add_u32_e32 v14, 32, v14
	v_add_u32_e32 v15, 0x80, v15
	v_addc_co_u32_e32 v6, vcc, 0, v6, vcc
	s_andn2_b64 exec, exec, s[0:1]
	s_cbranch_execz .LBB81_32
.LBB81_30:                              ; =>This Inner Loop Header: Depth=1
	global_load_dword v24, v[5:6], off
	ds_read2_b64 v[1:4], v15 offset1:1
	ds_read2_b64 v[20:23], v15 offset0:2 offset1:3
	s_waitcnt lgkmcnt(1)
	;;#ASMSTART
	v_cvt_f16_f32 v16, v1;

	;;#ASMEND
	;;#ASMSTART
	v_cvt_f16_f32 v17, v2;

	;;#ASMEND
	;;#ASMSTART
	v_cvt_f16_f32 v18, v3;

	;;#ASMEND
	;;#ASMSTART
	v_cvt_f16_f32 v19, v4;

	;;#ASMEND
	s_waitcnt lgkmcnt(0)
	;;#ASMSTART
	v_cvt_f16_f32 v20, v20;

	;;#ASMEND
	;;#ASMSTART
	v_cvt_f16_f32 v21, v21;

	;;#ASMEND
	;; [unrolled: 4-line block ×4, first 2 shown]
	s_waitcnt vmcnt(0)
	v_mad_i64_i32 v[1:2], s[4:5], v24, s6, 0
	v_lshlrev_b64 v[1:2], 1, v[1:2]
	v_add_co_u32_e32 v1, vcc, v11, v1
	v_addc_co_u32_e32 v2, vcc, v12, v2, vcc
	global_load_dwordx4 v[1:4], v[1:2], off
	v_cmp_eq_u32_e32 vcc, s7, v7
	s_waitcnt vmcnt(0)
	v_lshrrev_b32_e32 v26, 16, v1
	v_lshrrev_b32_e32 v25, 16, v2
	;; [unrolled: 1-line block ×3, first 2 shown]
	s_and_saveexec_b64 s[4:5], vcc
	s_cbranch_execz .LBB81_29
; %bb.31:                               ;   in Loop: Header=BB81_30 Depth=1
	v_add_u32_e32 v27, -7, v14
	v_cmp_gt_i32_e32 vcc, s11, v27
	v_add_u32_e32 v27, -6, v14
	v_cndmask_b32_e32 v1, 0, v1, vcc
	v_cmp_gt_i32_e32 vcc, s11, v27
	v_add_u32_e32 v27, -5, v14
	v_cndmask_b32_e32 v26, 0, v26, vcc
	;; [unrolled: 3-line block ×6, first 2 shown]
	v_cmp_gt_i32_e32 vcc, s11, v27
	v_cndmask_b32_sdwa v27, v10, v4, vcc dst_sel:DWORD dst_unused:UNUSED_PAD src0_sel:DWORD src1_sel:WORD_0
	v_and_b32_e32 v4, 0xffff0000, v4
	v_cmp_gt_i32_e32 vcc, s11, v14
	v_cndmask_b32_e32 v4, 0, v4, vcc
	v_or_b32_e32 v4, v27, v4
	s_branch .LBB81_29
.LBB81_32:
	s_or_b64 exec, exec, s[0:1]
.LBB81_33:
	s_or_b64 exec, exec, s[2:3]
	ds_bpermute_b32 v1, v9, v13
	v_and_b32_e32 v2, 0x3c1, v0
	v_cmp_eq_u32_e32 vcc, 64, v2
	s_waitcnt lgkmcnt(0)
	s_barrier
	v_add_f32_e32 v1, v13, v1
	s_and_saveexec_b64 s[0:1], vcc
; %bb.34:
	v_mov_b32_e32 v3, 0x50
	v_lshl_add_u32 v3, v8, 1, v3
	ds_write_b32 v3, v1
; %bb.35:
	s_or_b64 exec, exec, s[0:1]
	v_lshrrev_b32_e32 v0, 1, v0
	v_cmp_eq_u32_e32 vcc, 0, v2
	s_waitcnt lgkmcnt(0)
	s_barrier
	s_and_saveexec_b64 s[0:1], vcc
	s_cbranch_execz .LBB81_37
; %bb.36:
	v_mov_b32_e32 v2, 0x50
	v_lshl_add_u32 v2, v0, 2, v2
	ds_read_b32 v2, v2
	s_waitcnt lgkmcnt(0)
	v_add_f32_e32 v1, v1, v2
.LBB81_37:
	s_or_b64 exec, exec, s[0:1]
	s_barrier
	s_and_saveexec_b64 s[0:1], vcc
	s_cbranch_execz .LBB81_39
; %bb.38:
	s_mul_i32 s0, s10, s12
	s_mul_i32 s0, s0, s9
	s_lshl_b32 s0, s0, 5
	s_ashr_i32 s1, s0, 31
	s_lshl_b64 s[0:1], s[0:1], 1
	s_add_u32 s2, s18, s0
	s_mul_i32 s0, s12, s16
	s_addc_u32 s3, s19, s1
	s_ashr_i32 s1, s0, 31
	s_lshl_b64 s[0:1], s[0:1], 1
	s_add_u32 s2, s2, s0
	s_addc_u32 s3, s3, s1
	s_lshl_b32 s0, s8, 5
	s_ashr_i32 s1, s0, 31
	s_lshl_b64 s[0:1], s[0:1], 1
	s_add_u32 s0, s2, s0
	s_addc_u32 s1, s3, s1
	v_lshlrev_b32_e32 v0, 1, v0
	;;#ASMSTART
	v_cvt_f16_f32 v1, v1;

	;;#ASMEND
	global_store_short v0, v1, s[0:1]
.LBB81_39:
	s_endpgm
	.section	.rodata,"a",@progbits
	.p2align	6, 0x0
	.amdhsa_kernel _ZN4vllm25paged_attention_v1_kernelIttLi32ELi16ELi128ELNS_18Fp8KVCacheDataTypeE0ELb0EEEvPT_PKS2_PKT0_S8_ifPKiSA_iPKfiiiSC_SC_iiiii
		.amdhsa_group_segment_fixed_size 80
		.amdhsa_private_segment_fixed_size 0
		.amdhsa_kernarg_size 384
		.amdhsa_user_sgpr_count 6
		.amdhsa_user_sgpr_private_segment_buffer 1
		.amdhsa_user_sgpr_dispatch_ptr 0
		.amdhsa_user_sgpr_queue_ptr 0
		.amdhsa_user_sgpr_kernarg_segment_ptr 1
		.amdhsa_user_sgpr_dispatch_id 0
		.amdhsa_user_sgpr_flat_scratch_init 0
		.amdhsa_user_sgpr_private_segment_size 0
		.amdhsa_uses_dynamic_stack 0
		.amdhsa_system_sgpr_private_segment_wavefront_offset 0
		.amdhsa_system_sgpr_workgroup_id_x 1
		.amdhsa_system_sgpr_workgroup_id_y 1
		.amdhsa_system_sgpr_workgroup_id_z 1
		.amdhsa_system_sgpr_workgroup_info 0
		.amdhsa_system_vgpr_workitem_id 0
		.amdhsa_next_free_vgpr 32
		.amdhsa_next_free_sgpr 34
		.amdhsa_reserve_vcc 1
		.amdhsa_reserve_flat_scratch 0
		.amdhsa_float_round_mode_32 0
		.amdhsa_float_round_mode_16_64 0
		.amdhsa_float_denorm_mode_32 3
		.amdhsa_float_denorm_mode_16_64 3
		.amdhsa_dx10_clamp 1
		.amdhsa_ieee_mode 1
		.amdhsa_fp16_overflow 0
		.amdhsa_exception_fp_ieee_invalid_op 0
		.amdhsa_exception_fp_denorm_src 0
		.amdhsa_exception_fp_ieee_div_zero 0
		.amdhsa_exception_fp_ieee_overflow 0
		.amdhsa_exception_fp_ieee_underflow 0
		.amdhsa_exception_fp_ieee_inexact 0
		.amdhsa_exception_int_div_zero 0
	.end_amdhsa_kernel
	.section	.text._ZN4vllm25paged_attention_v1_kernelIttLi32ELi16ELi128ELNS_18Fp8KVCacheDataTypeE0ELb0EEEvPT_PKS2_PKT0_S8_ifPKiSA_iPKfiiiSC_SC_iiiii,"axG",@progbits,_ZN4vllm25paged_attention_v1_kernelIttLi32ELi16ELi128ELNS_18Fp8KVCacheDataTypeE0ELb0EEEvPT_PKS2_PKT0_S8_ifPKiSA_iPKfiiiSC_SC_iiiii,comdat
.Lfunc_end81:
	.size	_ZN4vllm25paged_attention_v1_kernelIttLi32ELi16ELi128ELNS_18Fp8KVCacheDataTypeE0ELb0EEEvPT_PKS2_PKT0_S8_ifPKiSA_iPKfiiiSC_SC_iiiii, .Lfunc_end81-_ZN4vllm25paged_attention_v1_kernelIttLi32ELi16ELi128ELNS_18Fp8KVCacheDataTypeE0ELb0EEEvPT_PKS2_PKT0_S8_ifPKiSA_iPKfiiiSC_SC_iiiii
                                        ; -- End function
	.set _ZN4vllm25paged_attention_v1_kernelIttLi32ELi16ELi128ELNS_18Fp8KVCacheDataTypeE0ELb0EEEvPT_PKS2_PKT0_S8_ifPKiSA_iPKfiiiSC_SC_iiiii.num_vgpr, 32
	.set _ZN4vllm25paged_attention_v1_kernelIttLi32ELi16ELi128ELNS_18Fp8KVCacheDataTypeE0ELb0EEEvPT_PKS2_PKT0_S8_ifPKiSA_iPKfiiiSC_SC_iiiii.num_agpr, 0
	.set _ZN4vllm25paged_attention_v1_kernelIttLi32ELi16ELi128ELNS_18Fp8KVCacheDataTypeE0ELb0EEEvPT_PKS2_PKT0_S8_ifPKiSA_iPKfiiiSC_SC_iiiii.numbered_sgpr, 34
	.set _ZN4vllm25paged_attention_v1_kernelIttLi32ELi16ELi128ELNS_18Fp8KVCacheDataTypeE0ELb0EEEvPT_PKS2_PKT0_S8_ifPKiSA_iPKfiiiSC_SC_iiiii.num_named_barrier, 0
	.set _ZN4vllm25paged_attention_v1_kernelIttLi32ELi16ELi128ELNS_18Fp8KVCacheDataTypeE0ELb0EEEvPT_PKS2_PKT0_S8_ifPKiSA_iPKfiiiSC_SC_iiiii.private_seg_size, 0
	.set _ZN4vllm25paged_attention_v1_kernelIttLi32ELi16ELi128ELNS_18Fp8KVCacheDataTypeE0ELb0EEEvPT_PKS2_PKT0_S8_ifPKiSA_iPKfiiiSC_SC_iiiii.uses_vcc, 1
	.set _ZN4vllm25paged_attention_v1_kernelIttLi32ELi16ELi128ELNS_18Fp8KVCacheDataTypeE0ELb0EEEvPT_PKS2_PKT0_S8_ifPKiSA_iPKfiiiSC_SC_iiiii.uses_flat_scratch, 0
	.set _ZN4vllm25paged_attention_v1_kernelIttLi32ELi16ELi128ELNS_18Fp8KVCacheDataTypeE0ELb0EEEvPT_PKS2_PKT0_S8_ifPKiSA_iPKfiiiSC_SC_iiiii.has_dyn_sized_stack, 0
	.set _ZN4vllm25paged_attention_v1_kernelIttLi32ELi16ELi128ELNS_18Fp8KVCacheDataTypeE0ELb0EEEvPT_PKS2_PKT0_S8_ifPKiSA_iPKfiiiSC_SC_iiiii.has_recursion, 0
	.set _ZN4vllm25paged_attention_v1_kernelIttLi32ELi16ELi128ELNS_18Fp8KVCacheDataTypeE0ELb0EEEvPT_PKS2_PKT0_S8_ifPKiSA_iPKfiiiSC_SC_iiiii.has_indirect_call, 0
	.section	.AMDGPU.csdata,"",@progbits
; Kernel info:
; codeLenInByte = 3124
; TotalNumSgprs: 38
; NumVgprs: 32
; ScratchSize: 0
; MemoryBound: 0
; FloatMode: 240
; IeeeMode: 1
; LDSByteSize: 80 bytes/workgroup (compile time only)
; SGPRBlocks: 4
; VGPRBlocks: 7
; NumSGPRsForWavesPerEU: 38
; NumVGPRsForWavesPerEU: 32
; Occupancy: 8
; WaveLimiterHint : 1
; COMPUTE_PGM_RSRC2:SCRATCH_EN: 0
; COMPUTE_PGM_RSRC2:USER_SGPR: 6
; COMPUTE_PGM_RSRC2:TRAP_HANDLER: 0
; COMPUTE_PGM_RSRC2:TGID_X_EN: 1
; COMPUTE_PGM_RSRC2:TGID_Y_EN: 1
; COMPUTE_PGM_RSRC2:TGID_Z_EN: 1
; COMPUTE_PGM_RSRC2:TIDIG_COMP_CNT: 0
	.section	.text._ZN4vllm25paged_attention_v1_kernelIttLi64ELi16ELi128ELNS_18Fp8KVCacheDataTypeE0ELb0EEEvPT_PKS2_PKT0_S8_ifPKiSA_iPKfiiiSC_SC_iiiii,"axG",@progbits,_ZN4vllm25paged_attention_v1_kernelIttLi64ELi16ELi128ELNS_18Fp8KVCacheDataTypeE0ELb0EEEvPT_PKS2_PKT0_S8_ifPKiSA_iPKfiiiSC_SC_iiiii,comdat
	.protected	_ZN4vllm25paged_attention_v1_kernelIttLi64ELi16ELi128ELNS_18Fp8KVCacheDataTypeE0ELb0EEEvPT_PKS2_PKT0_S8_ifPKiSA_iPKfiiiSC_SC_iiiii ; -- Begin function _ZN4vllm25paged_attention_v1_kernelIttLi64ELi16ELi128ELNS_18Fp8KVCacheDataTypeE0ELb0EEEvPT_PKS2_PKT0_S8_ifPKiSA_iPKfiiiSC_SC_iiiii
	.globl	_ZN4vllm25paged_attention_v1_kernelIttLi64ELi16ELi128ELNS_18Fp8KVCacheDataTypeE0ELb0EEEvPT_PKS2_PKT0_S8_ifPKiSA_iPKfiiiSC_SC_iiiii
	.p2align	8
	.type	_ZN4vllm25paged_attention_v1_kernelIttLi64ELi16ELi128ELNS_18Fp8KVCacheDataTypeE0ELb0EEEvPT_PKS2_PKT0_S8_ifPKiSA_iPKfiiiSC_SC_iiiii,@function
_ZN4vllm25paged_attention_v1_kernelIttLi64ELi16ELi128ELNS_18Fp8KVCacheDataTypeE0ELb0EEEvPT_PKS2_PKT0_S8_ifPKiSA_iPKfiiiSC_SC_iiiii: ; @_ZN4vllm25paged_attention_v1_kernelIttLi64ELi16ELi128ELNS_18Fp8KVCacheDataTypeE0ELb0EEEvPT_PKS2_PKT0_S8_ifPKiSA_iPKfiiiSC_SC_iiiii
; %bb.0:
	s_load_dword s9, s[4:5], 0x80
	s_load_dwordx2 s[0:1], s[4:5], 0x30
	s_load_dwordx2 s[26:27], s[4:5], 0x20
	s_mov_b32 s10, s7
	s_ashr_i32 s11, s7, 31
	s_lshl_b64 s[2:3], s[10:11], 2
	s_waitcnt lgkmcnt(0)
	s_add_u32 s0, s0, s2
	s_addc_u32 s1, s1, s3
	s_abs_i32 s2, s26
	v_cvt_f32_u32_e32 v1, s2
	s_sub_i32 s11, 0, s2
	s_abs_i32 s7, s9
	s_xor_b32 s3, s9, s26
	v_rcp_iflag_f32_e32 v1, v1
	s_ashr_i32 s3, s3, 31
	s_mov_b32 s26, 0
	v_mul_f32_e32 v1, 0x4f7ffffe, v1
	v_cvt_u32_f32_e32 v1, v1
	v_readfirstlane_b32 s12, v1
	s_mul_i32 s11, s11, s12
	s_mul_hi_u32 s11, s12, s11
	s_add_i32 s12, s12, s11
	s_mul_hi_u32 s11, s7, s12
	s_mul_i32 s12, s11, s2
	s_sub_i32 s7, s7, s12
	s_add_i32 s12, s11, 1
	s_sub_i32 s13, s7, s2
	s_cmp_ge_u32 s7, s2
	s_cselect_b32 s11, s12, s11
	s_cselect_b32 s7, s13, s7
	s_add_i32 s12, s11, 1
	s_cmp_ge_u32 s7, s2
	s_cselect_b32 s2, s12, s11
	s_xor_b32 s2, s2, s3
	s_sub_i32 s12, s2, s3
	s_abs_i32 s11, s12
	v_cvt_f32_u32_e32 v1, s11
	s_load_dwordx2 s[2:3], s[4:5], 0x40
	s_sub_i32 s7, 0, s11
	s_abs_i32 s18, s6
	v_rcp_iflag_f32_e32 v1, v1
	v_mul_f32_e32 v1, 0x4f7ffffe, v1
	v_cvt_u32_f32_e32 v1, v1
	v_readfirstlane_b32 s13, v1
	s_mul_i32 s7, s7, s13
	s_mul_hi_u32 s7, s13, s7
	s_add_i32 s13, s13, s7
	s_waitcnt lgkmcnt(0)
	s_cmp_eq_u64 s[2:3], 0
	s_mul_hi_u32 s19, s18, s13
	s_cbranch_scc1 .LBB82_2
; %bb.1:
	s_ashr_i32 s7, s6, 31
	s_lshl_b64 s[14:15], s[6:7], 2
	s_add_u32 s2, s2, s14
	s_addc_u32 s3, s3, s15
	s_load_dword s26, s[2:3], 0x0
.LBB82_2:
	s_load_dword s33, s[0:1], 0x0
	s_ashr_i32 s3, s12, 31
	s_load_dwordx4 s[12:15], s[4:5], 0x48
	s_ashr_i32 s2, s6, 31
	v_and_b32_e32 v1, 3, v0
	s_lshl_b32 s16, s6, 6
	v_cmp_gt_u32_e32 vcc, 32, v0
	v_lshlrev_b32_e32 v2, 2, v0
	s_and_saveexec_b64 s[0:1], vcc
	s_cbranch_execz .LBB82_4
; %bb.3:
	s_load_dwordx2 s[6:7], s[4:5], 0x8
	s_waitcnt lgkmcnt(0)
	s_mul_i32 s20, s12, s10
	s_ashr_i32 s21, s20, 31
	s_lshl_b64 s[20:21], s[20:21], 1
	v_and_b32_e32 v4, 0x3fc, v0
	s_add_u32 s12, s6, s20
	s_addc_u32 s15, s7, s21
	s_ashr_i32 s17, s16, 31
	s_lshl_b64 s[6:7], s[16:17], 1
	s_add_u32 s6, s12, s6
	s_addc_u32 s7, s15, s7
	global_load_dword v3, v2, s[6:7]
	v_lshl_add_u32 v4, v1, 5, v4
	s_waitcnt vmcnt(0)
	ds_write_b32 v4, v3
.LBB82_4:
	s_or_b64 exec, exec, s[0:1]
	s_waitcnt lgkmcnt(0)
	s_add_i32 s1, s33, 15
	s_ashr_i32 s6, s1, 31
	s_lshr_b32 s6, s6, 28
	s_add_i32 s1, s1, s6
	s_ashr_i32 s12, s1, 4
	s_xor_b32 s1, s2, s3
	s_mul_i32 s2, s19, s11
	s_sub_i32 s2, s18, s2
	s_add_i32 s3, s19, 1
	s_sub_i32 s6, s2, s11
	s_load_dwordx2 s[20:21], s[4:5], 0x28
	s_load_dword s0, s[4:5], 0x38
	s_cmp_ge_u32 s2, s11
	s_cselect_b32 s3, s3, s19
	s_cselect_b32 s2, s6, s2
	s_add_i32 s6, s3, 1
	s_cmp_ge_u32 s2, s11
	s_cselect_b32 s2, s6, s3
	v_lshrrev_b32_e32 v9, 6, v0
	s_xor_b32 s2, s2, s1
	s_waitcnt lgkmcnt(0)
	s_mul_i32 s22, s0, s10
	s_sub_i32 s15, s2, s1
	s_ashr_i32 s23, s22, 31
	v_cmp_gt_i32_e64 s[0:1], s12, v9
	v_cmp_le_i32_e32 vcc, s12, v9
	v_mbcnt_lo_u32_b32 v14, -1, 0
	s_barrier
                                        ; implicit-def: $vgpr4
                                        ; implicit-def: $vgpr6
                                        ; implicit-def: $vgpr5
	s_and_saveexec_b64 s[2:3], vcc
	s_xor_b64 s[2:3], exec, s[2:3]
; %bb.5:
	v_mbcnt_hi_u32_b32 v4, -1, v14
	v_and_b32_e32 v6, 64, v4
	v_add_u32_e32 v5, 64, v6
                                        ; implicit-def: $vgpr2
                                        ; implicit-def: $vgpr1
                                        ; implicit-def: $vgpr14
; %bb.6:
	s_or_saveexec_b64 s[6:7], s[2:3]
	s_load_dwordx2 s[18:19], s[4:5], 0x0
	s_load_dwordx2 s[24:25], s[4:5], 0x18
	s_load_dword s11, s[4:5], 0x88
	v_mov_b32_e32 v7, 0xff7fffff
	s_mul_i32 s14, s15, s14
	v_lshrrev_b32_e32 v3, 4, v0
	s_xor_b64 exec, exec, s[6:7]
	s_cbranch_execz .LBB82_12
; %bb.7:
	s_load_dwordx2 s[2:3], s[4:5], 0x10
	s_ashr_i32 s15, s14, 31
	s_lshl_b64 s[4:5], s[14:15], 1
	v_bfe_u32 v4, v0, 2, 4
	v_lshlrev_b32_e32 v5, 4, v4
	s_waitcnt lgkmcnt(0)
	s_add_u32 s2, s2, s4
	s_addc_u32 s3, s3, s5
	v_mov_b32_e32 v6, s3
	v_add_co_u32_e32 v5, vcc, s2, v5
	v_addc_co_u32_e32 v6, vcc, 0, v6, vcc
	v_and_b32_e32 v2, 12, v2
	v_add_co_u32_e32 v8, vcc, v5, v2
	v_addc_co_u32_e32 v10, vcc, 0, v6, vcc
	v_lshlrev_b32_e32 v11, 5, v1
	v_cmp_eq_u32_e32 vcc, 0, v1
	s_sub_i32 s15, 1, s33
	v_lshlrev_b32_e32 v1, 2, v4
	s_lshl_b64 s[4:5], s[22:23], 2
	v_lshl_or_b32 v1, v9, 6, v1
	s_add_u32 s4, s20, s4
	v_lshl_or_b32 v12, v9, 4, v4
	v_add_u32_e32 v13, 0x90, v1
	v_and_b32_e32 v1, 60, v3
	s_addc_u32 s5, s21, s5
	v_mbcnt_hi_u32_b32 v4, -1, v14
	v_mov_b32_e32 v2, s5
	v_add_co_u32_e64 v1, s[4:5], s4, v1
	v_and_b32_e32 v6, 64, v4
	s_mov_b32 s17, s13
	v_cmp_neq_f32_e64 s[2:3], s26, 0
	v_addc_co_u32_e64 v2, s[4:5], 0, v2, s[4:5]
	v_mov_b32_e32 v7, 0xff7fffff
	s_mov_b64 s[28:29], 0
	v_add_u32_e32 v5, 64, v6
	v_xor_b32_e32 v14, 2, v4
	v_xor_b32_e32 v15, 1, v4
	v_mov_b32_e32 v16, v9
	s_branch .LBB82_9
.LBB82_8:                               ;   in Loop: Header=BB82_9 Depth=1
	s_or_b64 exec, exec, s[30:31]
	v_add_u32_e32 v16, 2, v16
	v_cmp_le_i32_e64 s[4:5], s12, v16
	s_or_b64 s[28:29], s[4:5], s[28:29]
	v_add_co_u32_e64 v1, s[4:5], 8, v1
	v_add_u32_e32 v12, 32, v12
	v_add_u32_e32 v13, 0x80, v13
	v_addc_co_u32_e64 v2, s[4:5], 0, v2, s[4:5]
	s_andn2_b64 exec, exec, s[28:29]
	s_cbranch_execz .LBB82_11
.LBB82_9:                               ; =>This Inner Loop Header: Depth=1
	global_load_dword v17, v[1:2], off
	s_waitcnt vmcnt(0) lgkmcnt(0)
	v_mad_i64_i32 v[17:18], s[4:5], v17, s17, 0
	v_lshlrev_b64 v[17:18], 1, v[17:18]
	v_add_co_u32_e64 v25, s[4:5], v8, v17
	v_addc_co_u32_e64 v26, s[4:5], v10, v18, s[4:5]
	global_load_dword v24, v[25:26], off
	global_load_dword v23, v[25:26], off offset:256
	global_load_dword v22, v[25:26], off offset:512
	;; [unrolled: 1-line block ×7, first 2 shown]
	ds_read_b32 v25, v11
	v_cmp_lt_i32_e64 s[4:5], v14, v5
	v_cndmask_b32_e64 v26, v4, v14, s[4:5]
	v_lshlrev_b32_e32 v26, 2, v26
	v_cmp_lt_i32_e64 s[4:5], v15, v5
	s_waitcnt lgkmcnt(0)
	v_lshrrev_b32_e32 v27, 16, v25
	v_and_b32_e32 v25, 0xffff, v25
	;;#ASMSTART
	v_cvt_f32_f16 v25, v25;
	;;#ASMEND
	;;#ASMSTART
	v_cvt_f32_f16 v27, v27;
	;;#ASMEND
	s_waitcnt vmcnt(7)
	v_lshrrev_b32_e32 v28, 16, v24
	v_and_b32_e32 v24, 0xffff, v24
	;;#ASMSTART
	v_cvt_f32_f16 v24, v24;
	;;#ASMEND
	;;#ASMSTART
	v_cvt_f32_f16 v28, v28;
	;;#ASMEND
	ds_read_b32 v29, v11 offset:4
	s_waitcnt vmcnt(6)
	v_and_b32_e32 v30, 0xffff, v23
	v_lshrrev_b32_e32 v31, 16, v23
	s_waitcnt vmcnt(5)
	v_lshrrev_b32_e32 v32, 16, v22
	v_and_b32_e32 v33, 0xffff, v22
	s_waitcnt lgkmcnt(0)
	v_lshrrev_b32_e32 v23, 16, v29
	v_and_b32_e32 v22, 0xffff, v29
	;;#ASMSTART
	v_cvt_f32_f16 v22, v22;
	;;#ASMEND
	;;#ASMSTART
	v_cvt_f32_f16 v23, v23;
	;;#ASMEND
	;;#ASMSTART
	v_cvt_f32_f16 v29, v30;
	;;#ASMEND
	;;#ASMSTART
	v_cvt_f32_f16 v30, v31;
	;;#ASMEND
	ds_read_b32 v31, v11 offset:8
	s_waitcnt vmcnt(4)
	v_lshrrev_b32_e32 v34, 16, v21
	v_and_b32_e32 v35, 0xffff, v21
	s_waitcnt vmcnt(3)
	v_lshrrev_b32_e32 v36, 16, v20
	v_and_b32_e32 v37, 0xffff, v20
	s_waitcnt lgkmcnt(0)
	v_lshrrev_b32_e32 v21, 16, v31
	v_and_b32_e32 v20, 0xffff, v31
	;;#ASMSTART
	v_cvt_f32_f16 v20, v20;
	;;#ASMEND
	;;#ASMSTART
	v_cvt_f32_f16 v21, v21;
	;;#ASMEND
	;;#ASMSTART
	v_cvt_f32_f16 v31, v33;
	;;#ASMEND
	;;#ASMSTART
	v_cvt_f32_f16 v32, v32;
	;;#ASMEND
	ds_read_b32 v33, v11 offset:12
	s_waitcnt vmcnt(2)
	v_lshrrev_b32_e32 v38, 16, v19
	v_and_b32_e32 v39, 0xffff, v19
	;; [unrolled: 22-line block ×3, first 2 shown]
	v_mul_f32_e32 v17, v22, v29
	v_mul_f32_e32 v22, v23, v30
	s_waitcnt lgkmcnt(0)
	v_lshrrev_b32_e32 v29, 16, v35
	v_and_b32_e32 v23, 0xffff, v35
	;;#ASMSTART
	v_cvt_f32_f16 v23, v23;
	;;#ASMEND
	;;#ASMSTART
	v_cvt_f32_f16 v29, v29;
	;;#ASMEND
	;;#ASMSTART
	v_cvt_f32_f16 v30, v37;
	;;#ASMEND
	;;#ASMSTART
	v_cvt_f32_f16 v35, v36;
	;;#ASMEND
	ds_read_b32 v36, v11 offset:20
	v_fmac_f32_e32 v17, v25, v24
	v_fmac_f32_e32 v22, v27, v28
	v_fmac_f32_e32 v17, v20, v31
	v_fmac_f32_e32 v22, v21, v32
	s_waitcnt lgkmcnt(0)
	v_lshrrev_b32_e32 v21, 16, v36
	v_and_b32_e32 v20, 0xffff, v36
	;;#ASMSTART
	v_cvt_f32_f16 v20, v20;
	;;#ASMEND
	;;#ASMSTART
	v_cvt_f32_f16 v21, v21;
	;;#ASMEND
	;;#ASMSTART
	v_cvt_f32_f16 v24, v39;
	;;#ASMEND
	;;#ASMSTART
	v_cvt_f32_f16 v25, v38;
	;;#ASMEND
	ds_read_b32 v27, v11 offset:24
	v_fmac_f32_e32 v17, v18, v33
	v_fmac_f32_e32 v22, v19, v34
	v_fmac_f32_e32 v17, v23, v30
	v_fmac_f32_e32 v22, v29, v35
	;; [unrolled: 20-line block ×3, first 2 shown]
	s_waitcnt lgkmcnt(0)
	v_lshrrev_b32_e32 v19, 16, v28
	v_and_b32_e32 v18, 0xffff, v28
	;;#ASMSTART
	v_cvt_f32_f16 v18, v18;
	;;#ASMEND
	;;#ASMSTART
	v_cvt_f32_f16 v19, v19;
	;;#ASMEND
	;; [unrolled: 3-line block ×4, first 2 shown]
	v_fmac_f32_e32 v17, v18, v20
	v_fmac_f32_e32 v22, v19, v21
	v_add_f32_e32 v17, v17, v22
	ds_bpermute_b32 v18, v26, v17
	v_cndmask_b32_e64 v19, v4, v15, s[4:5]
	s_waitcnt lgkmcnt(0)
	v_add_f32_e32 v17, v17, v18
	v_lshlrev_b32_e32 v18, 2, v19
	ds_bpermute_b32 v18, v18, v17
	s_and_saveexec_b64 s[30:31], vcc
	s_cbranch_execz .LBB82_8
; %bb.10:                               ;   in Loop: Header=BB82_9 Depth=1
	v_add_u32_e32 v19, s15, v12
	v_cvt_f32_i32_e32 v19, v19
	s_waitcnt lgkmcnt(0)
	v_add_f32_e32 v17, v17, v18
	v_cmp_gt_i32_e64 s[4:5], s33, v12
	v_max_f32_e32 v18, v7, v7
	v_mul_f32_e32 v19, s26, v19
	v_cndmask_b32_e64 v19, 0, v19, s[2:3]
	v_fmac_f32_e32 v19, s27, v17
	v_cndmask_b32_e64 v17, 0, v19, s[4:5]
	ds_write_b32 v13, v17
	v_max_f32_e32 v17, v18, v19
	v_cndmask_b32_e64 v7, v7, v17, s[4:5]
	s_branch .LBB82_8
.LBB82_11:
	s_or_b64 exec, exec, s[28:29]
.LBB82_12:
	s_or_b64 exec, exec, s[6:7]
	v_xor_b32_e32 v1, 32, v4
	v_cmp_lt_i32_e32 vcc, v1, v5
	v_cndmask_b32_e32 v1, v4, v1, vcc
	v_lshlrev_b32_e32 v1, 2, v1
	ds_bpermute_b32 v2, v1, v7
	v_xor_b32_e32 v8, 16, v4
	v_max_f32_e32 v7, v7, v7
	v_cmp_lt_i32_e32 vcc, v8, v5
	v_xor_b32_e32 v10, 8, v4
	s_waitcnt lgkmcnt(0)
	v_max_f32_e32 v2, v2, v2
	v_max_f32_e32 v7, v7, v2
	v_cndmask_b32_e32 v2, v4, v8, vcc
	v_lshlrev_b32_e32 v2, 2, v2
	ds_bpermute_b32 v8, v2, v7
	v_cmp_lt_i32_e32 vcc, v10, v5
	s_waitcnt lgkmcnt(0)
	v_max_f32_e32 v8, v8, v8
	v_max_f32_e32 v7, v7, v8
	v_cndmask_b32_e32 v8, v4, v10, vcc
	v_lshlrev_b32_e32 v12, 2, v8
	ds_bpermute_b32 v8, v12, v7
	v_xor_b32_e32 v10, 4, v4
	v_cmp_lt_i32_e32 vcc, v10, v5
	s_waitcnt lgkmcnt(0)
	v_max_f32_e32 v8, v8, v8
	v_max_f32_e32 v8, v7, v8
	v_cndmask_b32_e32 v7, v4, v10, vcc
	v_lshlrev_b32_e32 v13, 2, v7
	ds_bpermute_b32 v11, v13, v8
	v_and_b32_e32 v10, 63, v0
	v_cmp_eq_u32_e32 vcc, 0, v10
	v_lshlrev_b32_e32 v7, 2, v9
	s_and_saveexec_b64 s[2:3], vcc
	s_cbranch_execz .LBB82_14
; %bb.13:
	s_waitcnt lgkmcnt(0)
	v_max_f32_e32 v11, v11, v11
	v_max_f32_e32 v8, v8, v8
	v_max_f32_e32 v8, v8, v11
	ds_write_b32 v7, v8 offset:128
.LBB82_14:
	s_or_b64 exec, exec, s[2:3]
	v_cmp_gt_u32_e64 s[2:3], 2, v10
	v_mov_b32_e32 v14, 0xff7fffff
	v_lshlrev_b32_e32 v8, 2, v10
	s_waitcnt lgkmcnt(0)
	s_barrier
	s_and_saveexec_b64 s[4:5], s[2:3]
; %bb.15:
	ds_read_b32 v14, v8 offset:128
; %bb.16:
	s_or_b64 exec, exec, s[4:5]
	v_xor_b32_e32 v11, 1, v4
	v_cmp_lt_i32_e64 s[4:5], v11, v5
	v_cndmask_b32_e64 v11, v4, v11, s[4:5]
	v_lshlrev_b32_e32 v11, 2, v11
	s_waitcnt lgkmcnt(0)
	ds_bpermute_b32 v15, v11, v14
	v_max_f32_e32 v14, v14, v14
	v_lshlrev_b32_e32 v6, 2, v6
	s_lshl_b32 s4, s12, 4
	s_min_i32 s15, s4, s33
	s_waitcnt lgkmcnt(0)
	v_max_f32_e32 v15, v15, v15
	v_max_f32_e32 v14, v14, v15
	ds_bpermute_b32 v14, v6, v14
	v_cmp_gt_i32_e64 s[4:5], s15, v0
	v_mov_b32_e32 v6, 0
	s_and_saveexec_b64 s[26:27], s[4:5]
	s_cbranch_execz .LBB82_20
; %bb.17:
	v_mov_b32_e32 v6, 0x90
	v_lshl_add_u32 v15, v0, 2, v6
	v_mov_b32_e32 v6, 0
	s_mov_b64 s[28:29], 0
	v_mov_b32_e32 v16, v0
.LBB82_18:                              ; =>This Inner Loop Header: Depth=1
	ds_read_b32 v17, v15
	v_add_u32_e32 v16, 0x80, v16
	v_cmp_le_i32_e64 s[6:7], s15, v16
	s_or_b64 s[28:29], s[6:7], s[28:29]
	s_waitcnt lgkmcnt(0)
	v_sub_f32_e32 v17, v17, v14
	v_mul_f32_e32 v17, 0x3fb8aa3b, v17
	v_exp_f32_e32 v17, v17
	ds_write_b32 v15, v17
	v_add_f32_e32 v6, v6, v17
	v_add_u32_e32 v15, 0x200, v15
	s_andn2_b64 exec, exec, s[28:29]
	s_cbranch_execnz .LBB82_18
; %bb.19:
	s_or_b64 exec, exec, s[28:29]
.LBB82_20:
	s_or_b64 exec, exec, s[26:27]
	ds_bpermute_b32 v1, v1, v6
	s_waitcnt lgkmcnt(0)
	v_add_f32_e32 v1, v6, v1
	ds_bpermute_b32 v2, v2, v1
	v_xor_b32_e32 v6, 2, v4
	v_cmp_lt_i32_e64 s[6:7], v6, v5
	v_cndmask_b32_e64 v5, v4, v6, s[6:7]
	s_waitcnt lgkmcnt(0)
	v_add_f32_e32 v1, v1, v2
	ds_bpermute_b32 v2, v12, v1
	s_waitcnt lgkmcnt(0)
	v_add_f32_e32 v1, v1, v2
	ds_bpermute_b32 v2, v13, v1
	s_waitcnt lgkmcnt(0)
	v_add_f32_e32 v1, v1, v2
	v_lshlrev_b32_e32 v2, 2, v5
	ds_bpermute_b32 v2, v2, v1
	s_waitcnt lgkmcnt(0)
	v_add_f32_e32 v1, v1, v2
	ds_bpermute_b32 v2, v11, v1
	s_waitcnt lgkmcnt(0)
	v_add_f32_e32 v1, v1, v2
	s_and_saveexec_b64 s[6:7], vcc
; %bb.21:
	ds_write_b32 v7, v1 offset:136
; %bb.22:
	s_or_b64 exec, exec, s[6:7]
	s_waitcnt lgkmcnt(0)
	s_barrier
	s_and_saveexec_b64 s[6:7], s[2:3]
; %bb.23:
	ds_read_b32 v1, v8 offset:136
; %bb.24:
	s_or_b64 exec, exec, s[6:7]
	s_waitcnt lgkmcnt(0)
	ds_bpermute_b32 v2, v11, v1
	v_lshlrev_b32_e32 v4, 2, v4
	s_waitcnt lgkmcnt(0)
	v_add_f32_e32 v1, v1, v2
	v_and_b32_e32 v2, 0xffffff00, v4
	ds_bpermute_b32 v1, v2, v1
	s_and_saveexec_b64 s[2:3], s[4:5]
	s_cbranch_execz .LBB82_27
; %bb.25:
	s_waitcnt lgkmcnt(0)
	v_add_f32_e32 v2, 0x358637bd, v1
	v_div_scale_f32 v1, s[4:5], v2, v2, 1.0
	v_div_scale_f32 v4, vcc, 1.0, v2, 1.0
	s_mov_b64 s[4:5], 0
	v_rcp_f32_e32 v5, v1
	v_fma_f32 v6, -v1, v5, 1.0
	v_fmac_f32_e32 v5, v6, v5
	v_mul_f32_e32 v6, v4, v5
	v_fma_f32 v7, -v1, v6, v4
	v_fmac_f32_e32 v6, v7, v5
	v_fma_f32 v1, -v1, v6, v4
	v_div_fmas_f32 v4, v1, v5, v6
	v_mov_b32_e32 v1, 0x90
	v_lshl_add_u32 v1, v0, 2, v1
	v_div_fixup_f32 v2, v4, v2, 1.0
	v_mov_b32_e32 v4, v0
.LBB82_26:                              ; =>This Inner Loop Header: Depth=1
	ds_read_b32 v5, v1
	v_add_u32_e32 v4, 0x80, v4
	v_cmp_le_i32_e32 vcc, s15, v4
	s_or_b64 s[4:5], vcc, s[4:5]
	s_waitcnt lgkmcnt(0)
	v_mul_f32_e32 v5, v2, v5
	ds_write_b32 v1, v5
	v_add_u32_e32 v1, 0x200, v1
	s_andn2_b64 exec, exec, s[4:5]
	s_cbranch_execnz .LBB82_26
.LBB82_27:
	s_or_b64 exec, exec, s[2:3]
	v_mov_b32_e32 v14, 0
	v_and_b32_e32 v12, 1, v0
	v_mov_b32_e32 v15, 0
	s_waitcnt lgkmcnt(0)
	s_barrier
	s_and_saveexec_b64 s[2:3], s[0:1]
	s_cbranch_execz .LBB82_35
; %bb.28:
	s_ashr_i32 s15, s14, 31
	s_lshl_b64 s[0:1], s[14:15], 1
	v_lshlrev_b32_e32 v2, 4, v0
	v_lshlrev_b32_e32 v1, 3, v0
	s_add_u32 s0, s24, s0
	v_and_b32_e32 v2, 0x3f0, v2
	v_and_b32_e32 v1, 8, v1
	s_addc_u32 s1, s25, s1
	v_add_co_u32_e32 v16, vcc, s0, v2
	v_lshlrev_b32_e32 v2, 4, v9
	s_add_i32 s14, s12, -1
	v_mov_b32_e32 v4, s1
	v_or3_b32 v18, v2, v1, 7
	v_lshlrev_b32_e32 v1, 5, v12
	s_lshl_b64 s[0:1], s[22:23], 2
	v_lshl_or_b32 v1, v9, 6, v1
	s_add_u32 s0, s20, s0
	v_addc_co_u32_e32 v17, vcc, 0, v4, vcc
	v_add_u32_e32 v19, 0x90, v1
	v_and_b32_e32 v1, 60, v3
	s_addc_u32 s1, s21, s1
	v_mov_b32_e32 v2, s1
	v_add_co_u32_e32 v5, vcc, s0, v1
	v_mov_b32_e32 v13, 0
	v_addc_co_u32_e32 v6, vcc, 0, v2, vcc
	s_mov_b64 s[4:5], 0
	s_mov_b32 s15, 0xffff
	v_mov_b32_e32 v15, 0
	v_mov_b32_e32 v14, 0
	s_branch .LBB82_30
.LBB82_29:                              ;   in Loop: Header=BB82_30 Depth=1
	s_or_b64 exec, exec, s[6:7]
	v_add_f32_e32 v20, v31, v32
	v_add_f32_e32 v14, v14, v20
	v_lshlrev_b32_e32 v20, 16, v33
	v_and_or_b32 v1, v1, s15, v20
	v_lshlrev_b32_e32 v8, 16, v8
	v_lshlrev_b32_e32 v7, 16, v7
	v_and_or_b32 v2, v2, s15, v8
	v_and_or_b32 v3, v3, s15, v7
	;;#ASMSTART
	v_pk_mul_f16 v1, v27, v1;

	;;#ASMEND
	;;#ASMSTART
	v_pk_mul_f16 v2, v28, v2;

	;;#ASMEND
	;; [unrolled: 4-line block ×4, first 2 shown]
	;;#ASMSTART
	v_pk_add_f16 v1, v1, v2;

	;;#ASMEND
	;;#ASMSTART
	v_pk_add_f16 v1, v1, v3;

	;;#ASMEND
	;; [unrolled: 4-line block ×3, first 2 shown]
	v_lshrrev_b32_e32 v2, 16, v1
	v_and_b32_e32 v1, 0xffff, v1
	v_add_u32_e32 v9, 2, v9
	;;#ASMSTART
	v_cvt_f32_f16 v1, v1;
	;;#ASMEND
	v_cmp_le_i32_e32 vcc, s12, v9
	;;#ASMSTART
	v_cvt_f32_f16 v2, v2;
	;;#ASMEND
	v_add_f32_e32 v1, v1, v2
	s_or_b64 s[4:5], vcc, s[4:5]
	v_add_co_u32_e32 v5, vcc, 8, v5
	v_add_f32_e32 v15, v15, v1
	v_add_u32_e32 v18, 32, v18
	v_add_u32_e32 v19, 0x80, v19
	v_addc_co_u32_e32 v6, vcc, 0, v6, vcc
	s_andn2_b64 exec, exec, s[4:5]
	s_cbranch_execz .LBB82_34
.LBB82_30:                              ; =>This Inner Loop Header: Depth=1
	global_load_dword v7, v[5:6], off
	ds_read2_b64 v[1:4], v19 offset1:1
	ds_read2_b64 v[20:23], v19 offset0:2 offset1:3
	v_add_u32_e32 v25, -7, v18
	v_add_u32_e32 v26, -6, v18
	s_waitcnt lgkmcnt(1)
	;;#ASMSTART
	v_cvt_f16_f32 v27, v1;

	;;#ASMEND
	;;#ASMSTART
	v_cvt_f16_f32 v28, v2;

	;;#ASMEND
	;; [unrolled: 4-line block ×4, first 2 shown]
	s_waitcnt lgkmcnt(0)
	;;#ASMSTART
	v_cvt_f16_f32 v31, v20;

	;;#ASMEND
	;;#ASMSTART
	v_cvt_f16_f32 v32, v21;

	;;#ASMEND
	;; [unrolled: 4-line block ×4, first 2 shown]
	v_add_u32_e32 v24, -5, v18
	v_add_u32_e32 v22, -4, v18
	;; [unrolled: 1-line block ×5, first 2 shown]
	s_waitcnt vmcnt(0)
	v_mad_i64_i32 v[1:2], s[0:1], v7, s13, 0
	v_cmp_eq_u32_e64 s[0:1], s14, v9
	v_lshlrev_b64 v[1:2], 1, v[1:2]
	v_add_co_u32_e32 v7, vcc, v16, v1
	v_addc_co_u32_e32 v8, vcc, v17, v2, vcc
	global_load_dwordx4 v[1:4], v[7:8], off
	s_waitcnt vmcnt(0)
	v_lshrrev_b32_e32 v37, 16, v1
	v_lshrrev_b32_e32 v36, 16, v2
	v_lshrrev_b32_e32 v35, 16, v3
	s_and_saveexec_b64 s[6:7], s[0:1]
	s_cbranch_execz .LBB82_32
; %bb.31:                               ;   in Loop: Header=BB82_30 Depth=1
	v_cmp_gt_i32_e32 vcc, s33, v25
	v_cndmask_b32_e32 v1, 0, v1, vcc
	v_cmp_gt_i32_e32 vcc, s33, v26
	v_cndmask_b32_e32 v37, 0, v37, vcc
	;; [unrolled: 2-line block ×6, first 2 shown]
	v_cmp_gt_i32_e32 vcc, s33, v23
	v_cndmask_b32_sdwa v38, v13, v4, vcc dst_sel:DWORD dst_unused:UNUSED_PAD src0_sel:DWORD src1_sel:WORD_0
	v_and_b32_e32 v4, 0xffff0000, v4
	v_cmp_gt_i32_e32 vcc, s33, v18
	v_cndmask_b32_e32 v4, 0, v4, vcc
	v_or_b32_e32 v4, v38, v4
.LBB82_32:                              ;   in Loop: Header=BB82_30 Depth=1
	s_or_b64 exec, exec, s[6:7]
	v_and_b32_e32 v27, 0xffff, v27
	v_lshl_or_b32 v27, v28, 16, v27
	v_and_b32_e32 v28, 0xffff, v29
	v_and_b32_e32 v29, 0xffff, v31
	v_lshlrev_b32_e32 v31, 16, v37
	v_and_or_b32 v1, v1, s15, v31
	v_lshlrev_b32_e32 v31, 16, v36
	v_and_or_b32 v2, v2, s15, v31
	v_lshlrev_b32_e32 v31, 16, v35
	v_lshl_or_b32 v28, v30, 16, v28
	v_and_b32_e32 v30, 0xffff, v33
	v_and_or_b32 v3, v3, s15, v31
	;;#ASMSTART
	v_pk_mul_f16 v1, v27, v1;

	;;#ASMEND
	v_lshl_or_b32 v29, v32, 16, v29
	v_lshl_or_b32 v30, v34, 16, v30
	;;#ASMSTART
	v_pk_mul_f16 v2, v28, v2;

	;;#ASMEND
	;;#ASMSTART
	v_pk_mul_f16 v3, v29, v3;

	;;#ASMEND
	;; [unrolled: 4-line block ×3, first 2 shown]
	;;#ASMSTART
	v_pk_add_f16 v1, v1, v2;

	;;#ASMEND
	;;#ASMSTART
	v_pk_add_f16 v1, v1, v3;

	;;#ASMEND
	;; [unrolled: 4-line block ×3, first 2 shown]
	v_lshrrev_b32_e32 v2, 16, v1
	v_and_b32_e32 v1, 0xffff, v1
	;;#ASMSTART
	v_cvt_f32_f16 v31, v1;
	;;#ASMEND
	;;#ASMSTART
	v_cvt_f32_f16 v32, v2;
	;;#ASMEND
	global_load_dwordx4 v[1:4], v[7:8], off offset:1024
	s_waitcnt vmcnt(0)
	v_lshrrev_b32_e32 v33, 16, v1
	v_lshrrev_b32_e32 v8, 16, v2
	;; [unrolled: 1-line block ×3, first 2 shown]
	s_and_saveexec_b64 s[6:7], s[0:1]
	s_cbranch_execz .LBB82_29
; %bb.33:                               ;   in Loop: Header=BB82_30 Depth=1
	v_cmp_gt_i32_e32 vcc, s33, v25
	v_cndmask_b32_e32 v1, 0, v1, vcc
	v_cmp_gt_i32_e32 vcc, s33, v26
	v_cndmask_b32_e32 v33, 0, v33, vcc
	;; [unrolled: 2-line block ×6, first 2 shown]
	v_cmp_gt_i32_e32 vcc, s33, v23
	v_cndmask_b32_sdwa v20, v13, v4, vcc dst_sel:DWORD dst_unused:UNUSED_PAD src0_sel:DWORD src1_sel:WORD_0
	v_and_b32_e32 v4, 0xffff0000, v4
	v_cmp_gt_i32_e32 vcc, s33, v18
	v_cndmask_b32_e32 v4, 0, v4, vcc
	v_or_b32_e32 v4, v20, v4
	s_branch .LBB82_29
.LBB82_34:
	s_or_b64 exec, exec, s[4:5]
.LBB82_35:
	s_or_b64 exec, exec, s[2:3]
	ds_bpermute_b32 v1, v11, v14
	ds_bpermute_b32 v3, v11, v15
	s_waitcnt lgkmcnt(0)
	s_barrier
	v_add_f32_e32 v2, v14, v1
	v_add_f32_e32 v1, v15, v3
	v_and_b32_e32 v3, 0x3c1, v0
	v_cmp_eq_u32_e32 vcc, 64, v3
	s_and_saveexec_b64 s[0:1], vcc
; %bb.36:
	v_mov_b32_e32 v4, 0x90
	v_lshl_add_u32 v4, v10, 1, v4
	ds_write2_b32 v4, v2, v1 offset1:32
; %bb.37:
	s_or_b64 exec, exec, s[0:1]
	v_cmp_gt_u32_e32 vcc, 64, v0
	v_lshrrev_b32_e32 v0, 1, v0
	s_waitcnt lgkmcnt(0)
	s_barrier
	s_and_saveexec_b64 s[0:1], vcc
	s_cbranch_execz .LBB82_43
; %bb.38:
	v_mov_b32_e32 v4, 0x90
	v_cmp_eq_u32_e32 vcc, 0, v12
	v_lshl_add_u32 v4, v0, 2, v4
	s_and_saveexec_b64 s[2:3], vcc
	s_cbranch_execz .LBB82_40
; %bb.39:
	ds_read_b32 v5, v4
	s_waitcnt lgkmcnt(0)
	v_add_f32_e32 v2, v2, v5
.LBB82_40:
	s_or_b64 exec, exec, s[2:3]
	s_and_saveexec_b64 s[2:3], vcc
	s_cbranch_execz .LBB82_42
; %bb.41:
	ds_read_b32 v4, v4 offset:128
	s_waitcnt lgkmcnt(0)
	v_add_f32_e32 v1, v1, v4
.LBB82_42:
	s_or_b64 exec, exec, s[2:3]
.LBB82_43:
	s_or_b64 exec, exec, s[0:1]
	v_cmp_eq_u32_e32 vcc, 0, v3
	s_barrier
	s_and_saveexec_b64 s[0:1], vcc
	s_cbranch_execz .LBB82_45
; %bb.44:
	s_mul_i32 s0, s10, s11
	s_mul_i32 s0, s0, s9
	s_lshl_b32 s0, s0, 6
	s_ashr_i32 s1, s0, 31
	s_lshl_b64 s[0:1], s[0:1], 1
	s_add_u32 s2, s18, s0
	s_mul_i32 s0, s11, s16
	s_addc_u32 s3, s19, s1
	s_ashr_i32 s1, s0, 31
	s_lshl_b64 s[0:1], s[0:1], 1
	s_add_u32 s2, s2, s0
	s_addc_u32 s3, s3, s1
	s_lshl_b32 s0, s8, 6
	s_ashr_i32 s1, s0, 31
	s_lshl_b64 s[0:1], s[0:1], 1
	s_add_u32 s0, s2, s0
	s_addc_u32 s1, s3, s1
	v_lshlrev_b32_e32 v0, 1, v0
	;;#ASMSTART
	v_cvt_f16_f32 v2, v2;

	;;#ASMEND
	global_store_short v0, v2, s[0:1]
	;;#ASMSTART
	v_cvt_f16_f32 v1, v1;

	;;#ASMEND
	global_store_short v0, v1, s[0:1] offset:64
.LBB82_45:
	s_endpgm
	.section	.rodata,"a",@progbits
	.p2align	6, 0x0
	.amdhsa_kernel _ZN4vllm25paged_attention_v1_kernelIttLi64ELi16ELi128ELNS_18Fp8KVCacheDataTypeE0ELb0EEEvPT_PKS2_PKT0_S8_ifPKiSA_iPKfiiiSC_SC_iiiii
		.amdhsa_group_segment_fixed_size 144
		.amdhsa_private_segment_fixed_size 0
		.amdhsa_kernarg_size 384
		.amdhsa_user_sgpr_count 6
		.amdhsa_user_sgpr_private_segment_buffer 1
		.amdhsa_user_sgpr_dispatch_ptr 0
		.amdhsa_user_sgpr_queue_ptr 0
		.amdhsa_user_sgpr_kernarg_segment_ptr 1
		.amdhsa_user_sgpr_dispatch_id 0
		.amdhsa_user_sgpr_flat_scratch_init 0
		.amdhsa_user_sgpr_private_segment_size 0
		.amdhsa_uses_dynamic_stack 0
		.amdhsa_system_sgpr_private_segment_wavefront_offset 0
		.amdhsa_system_sgpr_workgroup_id_x 1
		.amdhsa_system_sgpr_workgroup_id_y 1
		.amdhsa_system_sgpr_workgroup_id_z 1
		.amdhsa_system_sgpr_workgroup_info 0
		.amdhsa_system_vgpr_workitem_id 0
		.amdhsa_next_free_vgpr 44
		.amdhsa_next_free_sgpr 34
		.amdhsa_reserve_vcc 1
		.amdhsa_reserve_flat_scratch 0
		.amdhsa_float_round_mode_32 0
		.amdhsa_float_round_mode_16_64 0
		.amdhsa_float_denorm_mode_32 3
		.amdhsa_float_denorm_mode_16_64 3
		.amdhsa_dx10_clamp 1
		.amdhsa_ieee_mode 1
		.amdhsa_fp16_overflow 0
		.amdhsa_exception_fp_ieee_invalid_op 0
		.amdhsa_exception_fp_denorm_src 0
		.amdhsa_exception_fp_ieee_div_zero 0
		.amdhsa_exception_fp_ieee_overflow 0
		.amdhsa_exception_fp_ieee_underflow 0
		.amdhsa_exception_fp_ieee_inexact 0
		.amdhsa_exception_int_div_zero 0
	.end_amdhsa_kernel
	.section	.text._ZN4vllm25paged_attention_v1_kernelIttLi64ELi16ELi128ELNS_18Fp8KVCacheDataTypeE0ELb0EEEvPT_PKS2_PKT0_S8_ifPKiSA_iPKfiiiSC_SC_iiiii,"axG",@progbits,_ZN4vllm25paged_attention_v1_kernelIttLi64ELi16ELi128ELNS_18Fp8KVCacheDataTypeE0ELb0EEEvPT_PKS2_PKT0_S8_ifPKiSA_iPKfiiiSC_SC_iiiii,comdat
.Lfunc_end82:
	.size	_ZN4vllm25paged_attention_v1_kernelIttLi64ELi16ELi128ELNS_18Fp8KVCacheDataTypeE0ELb0EEEvPT_PKS2_PKT0_S8_ifPKiSA_iPKfiiiSC_SC_iiiii, .Lfunc_end82-_ZN4vllm25paged_attention_v1_kernelIttLi64ELi16ELi128ELNS_18Fp8KVCacheDataTypeE0ELb0EEEvPT_PKS2_PKT0_S8_ifPKiSA_iPKfiiiSC_SC_iiiii
                                        ; -- End function
	.set _ZN4vllm25paged_attention_v1_kernelIttLi64ELi16ELi128ELNS_18Fp8KVCacheDataTypeE0ELb0EEEvPT_PKS2_PKT0_S8_ifPKiSA_iPKfiiiSC_SC_iiiii.num_vgpr, 44
	.set _ZN4vllm25paged_attention_v1_kernelIttLi64ELi16ELi128ELNS_18Fp8KVCacheDataTypeE0ELb0EEEvPT_PKS2_PKT0_S8_ifPKiSA_iPKfiiiSC_SC_iiiii.num_agpr, 0
	.set _ZN4vllm25paged_attention_v1_kernelIttLi64ELi16ELi128ELNS_18Fp8KVCacheDataTypeE0ELb0EEEvPT_PKS2_PKT0_S8_ifPKiSA_iPKfiiiSC_SC_iiiii.numbered_sgpr, 34
	.set _ZN4vllm25paged_attention_v1_kernelIttLi64ELi16ELi128ELNS_18Fp8KVCacheDataTypeE0ELb0EEEvPT_PKS2_PKT0_S8_ifPKiSA_iPKfiiiSC_SC_iiiii.num_named_barrier, 0
	.set _ZN4vllm25paged_attention_v1_kernelIttLi64ELi16ELi128ELNS_18Fp8KVCacheDataTypeE0ELb0EEEvPT_PKS2_PKT0_S8_ifPKiSA_iPKfiiiSC_SC_iiiii.private_seg_size, 0
	.set _ZN4vllm25paged_attention_v1_kernelIttLi64ELi16ELi128ELNS_18Fp8KVCacheDataTypeE0ELb0EEEvPT_PKS2_PKT0_S8_ifPKiSA_iPKfiiiSC_SC_iiiii.uses_vcc, 1
	.set _ZN4vllm25paged_attention_v1_kernelIttLi64ELi16ELi128ELNS_18Fp8KVCacheDataTypeE0ELb0EEEvPT_PKS2_PKT0_S8_ifPKiSA_iPKfiiiSC_SC_iiiii.uses_flat_scratch, 0
	.set _ZN4vllm25paged_attention_v1_kernelIttLi64ELi16ELi128ELNS_18Fp8KVCacheDataTypeE0ELb0EEEvPT_PKS2_PKT0_S8_ifPKiSA_iPKfiiiSC_SC_iiiii.has_dyn_sized_stack, 0
	.set _ZN4vllm25paged_attention_v1_kernelIttLi64ELi16ELi128ELNS_18Fp8KVCacheDataTypeE0ELb0EEEvPT_PKS2_PKT0_S8_ifPKiSA_iPKfiiiSC_SC_iiiii.has_recursion, 0
	.set _ZN4vllm25paged_attention_v1_kernelIttLi64ELi16ELi128ELNS_18Fp8KVCacheDataTypeE0ELb0EEEvPT_PKS2_PKT0_S8_ifPKiSA_iPKfiiiSC_SC_iiiii.has_indirect_call, 0
	.section	.AMDGPU.csdata,"",@progbits
; Kernel info:
; codeLenInByte = 3804
; TotalNumSgprs: 38
; NumVgprs: 44
; ScratchSize: 0
; MemoryBound: 0
; FloatMode: 240
; IeeeMode: 1
; LDSByteSize: 144 bytes/workgroup (compile time only)
; SGPRBlocks: 4
; VGPRBlocks: 10
; NumSGPRsForWavesPerEU: 38
; NumVGPRsForWavesPerEU: 44
; Occupancy: 5
; WaveLimiterHint : 1
; COMPUTE_PGM_RSRC2:SCRATCH_EN: 0
; COMPUTE_PGM_RSRC2:USER_SGPR: 6
; COMPUTE_PGM_RSRC2:TRAP_HANDLER: 0
; COMPUTE_PGM_RSRC2:TGID_X_EN: 1
; COMPUTE_PGM_RSRC2:TGID_Y_EN: 1
; COMPUTE_PGM_RSRC2:TGID_Z_EN: 1
; COMPUTE_PGM_RSRC2:TIDIG_COMP_CNT: 0
	.section	.text._ZN4vllm25paged_attention_v1_kernelIttLi80ELi16ELi128ELNS_18Fp8KVCacheDataTypeE0ELb0EEEvPT_PKS2_PKT0_S8_ifPKiSA_iPKfiiiSC_SC_iiiii,"axG",@progbits,_ZN4vllm25paged_attention_v1_kernelIttLi80ELi16ELi128ELNS_18Fp8KVCacheDataTypeE0ELb0EEEvPT_PKS2_PKT0_S8_ifPKiSA_iPKfiiiSC_SC_iiiii,comdat
	.protected	_ZN4vllm25paged_attention_v1_kernelIttLi80ELi16ELi128ELNS_18Fp8KVCacheDataTypeE0ELb0EEEvPT_PKS2_PKT0_S8_ifPKiSA_iPKfiiiSC_SC_iiiii ; -- Begin function _ZN4vllm25paged_attention_v1_kernelIttLi80ELi16ELi128ELNS_18Fp8KVCacheDataTypeE0ELb0EEEvPT_PKS2_PKT0_S8_ifPKiSA_iPKfiiiSC_SC_iiiii
	.globl	_ZN4vllm25paged_attention_v1_kernelIttLi80ELi16ELi128ELNS_18Fp8KVCacheDataTypeE0ELb0EEEvPT_PKS2_PKT0_S8_ifPKiSA_iPKfiiiSC_SC_iiiii
	.p2align	8
	.type	_ZN4vllm25paged_attention_v1_kernelIttLi80ELi16ELi128ELNS_18Fp8KVCacheDataTypeE0ELb0EEEvPT_PKS2_PKT0_S8_ifPKiSA_iPKfiiiSC_SC_iiiii,@function
_ZN4vllm25paged_attention_v1_kernelIttLi80ELi16ELi128ELNS_18Fp8KVCacheDataTypeE0ELb0EEEvPT_PKS2_PKT0_S8_ifPKiSA_iPKfiiiSC_SC_iiiii: ; @_ZN4vllm25paged_attention_v1_kernelIttLi80ELi16ELi128ELNS_18Fp8KVCacheDataTypeE0ELb0EEEvPT_PKS2_PKT0_S8_ifPKiSA_iPKfiiiSC_SC_iiiii
; %bb.0:
	s_load_dword s9, s[4:5], 0x80
	s_load_dwordx2 s[0:1], s[4:5], 0x30
	s_load_dwordx2 s[26:27], s[4:5], 0x20
	s_mov_b32 s10, s7
	s_ashr_i32 s11, s7, 31
	s_lshl_b64 s[2:3], s[10:11], 2
	s_waitcnt lgkmcnt(0)
	s_add_u32 s0, s0, s2
	s_addc_u32 s1, s1, s3
	s_abs_i32 s2, s26
	v_cvt_f32_u32_e32 v1, s2
	s_sub_i32 s11, 0, s2
	s_abs_i32 s7, s9
	s_xor_b32 s3, s9, s26
	v_rcp_iflag_f32_e32 v1, v1
	s_ashr_i32 s3, s3, 31
	s_mov_b32 s26, 0
	v_mul_f32_e32 v1, 0x4f7ffffe, v1
	v_cvt_u32_f32_e32 v1, v1
	v_readfirstlane_b32 s12, v1
	s_mul_i32 s11, s11, s12
	s_mul_hi_u32 s11, s12, s11
	s_add_i32 s12, s12, s11
	s_mul_hi_u32 s11, s7, s12
	s_mul_i32 s12, s11, s2
	s_sub_i32 s7, s7, s12
	s_add_i32 s12, s11, 1
	s_sub_i32 s13, s7, s2
	s_cmp_ge_u32 s7, s2
	s_cselect_b32 s11, s12, s11
	s_cselect_b32 s7, s13, s7
	s_add_i32 s12, s11, 1
	s_cmp_ge_u32 s7, s2
	s_cselect_b32 s2, s12, s11
	s_xor_b32 s2, s2, s3
	s_sub_i32 s12, s2, s3
	s_abs_i32 s11, s12
	v_cvt_f32_u32_e32 v1, s11
	s_load_dwordx2 s[2:3], s[4:5], 0x40
	s_sub_i32 s7, 0, s11
	s_abs_i32 s18, s6
	v_rcp_iflag_f32_e32 v1, v1
	v_mul_f32_e32 v1, 0x4f7ffffe, v1
	v_cvt_u32_f32_e32 v1, v1
	v_readfirstlane_b32 s13, v1
	s_mul_i32 s7, s7, s13
	s_mul_hi_u32 s7, s13, s7
	s_add_i32 s13, s13, s7
	s_waitcnt lgkmcnt(0)
	s_cmp_eq_u64 s[2:3], 0
	s_mul_hi_u32 s19, s18, s13
	s_cbranch_scc1 .LBB83_2
; %bb.1:
	s_ashr_i32 s7, s6, 31
	s_lshl_b64 s[14:15], s[6:7], 2
	s_add_u32 s2, s2, s14
	s_addc_u32 s3, s3, s15
	s_load_dword s26, s[2:3], 0x0
.LBB83_2:
	s_load_dword s33, s[0:1], 0x0
	s_ashr_i32 s3, s12, 31
	s_load_dwordx4 s[12:15], s[4:5], 0x48
	s_ashr_i32 s2, s6, 31
	v_and_b32_e32 v1, 3, v0
	s_mul_i32 s16, s6, 0x50
	v_cmp_gt_u32_e32 vcc, 40, v0
	v_lshlrev_b32_e32 v2, 2, v0
	s_and_saveexec_b64 s[0:1], vcc
	s_cbranch_execz .LBB83_4
; %bb.3:
	s_load_dwordx2 s[6:7], s[4:5], 0x8
	s_waitcnt lgkmcnt(0)
	s_mul_i32 s20, s12, s10
	s_ashr_i32 s21, s20, 31
	s_lshl_b64 s[20:21], s[20:21], 1
	v_and_b32_e32 v4, 0x3fc, v0
	s_add_u32 s12, s6, s20
	s_addc_u32 s15, s7, s21
	s_ashr_i32 s17, s16, 31
	s_lshl_b64 s[6:7], s[16:17], 1
	s_add_u32 s6, s12, s6
	s_addc_u32 s7, s15, s7
	global_load_dword v3, v2, s[6:7]
	v_mad_u32_u24 v4, v1, 40, v4
	s_waitcnt vmcnt(0)
	ds_write_b32 v4, v3
.LBB83_4:
	s_or_b64 exec, exec, s[0:1]
	s_waitcnt lgkmcnt(0)
	s_add_i32 s1, s33, 15
	s_ashr_i32 s6, s1, 31
	s_lshr_b32 s6, s6, 28
	s_add_i32 s1, s1, s6
	s_ashr_i32 s17, s1, 4
	s_xor_b32 s1, s2, s3
	s_mul_i32 s2, s19, s11
	s_sub_i32 s2, s18, s2
	s_add_i32 s3, s19, 1
	s_sub_i32 s6, s2, s11
	s_load_dwordx2 s[20:21], s[4:5], 0x28
	s_load_dword s0, s[4:5], 0x38
	s_cmp_ge_u32 s2, s11
	s_cselect_b32 s3, s3, s19
	s_cselect_b32 s2, s6, s2
	s_add_i32 s6, s3, 1
	s_cmp_ge_u32 s2, s11
	s_cselect_b32 s2, s6, s3
	v_lshrrev_b32_e32 v9, 6, v0
	s_xor_b32 s2, s2, s1
	s_waitcnt lgkmcnt(0)
	s_mul_i32 s22, s0, s10
	s_sub_i32 s12, s2, s1
	s_ashr_i32 s23, s22, 31
	v_cmp_le_i32_e64 s[0:1], s17, v9
	v_mbcnt_lo_u32_b32 v14, -1, 0
	s_barrier
                                        ; implicit-def: $vgpr4
                                        ; implicit-def: $vgpr6
                                        ; implicit-def: $vgpr5
	s_and_saveexec_b64 s[2:3], s[0:1]
	s_xor_b64 s[2:3], exec, s[2:3]
; %bb.5:
	v_mbcnt_hi_u32_b32 v4, -1, v14
	v_and_b32_e32 v6, 64, v4
	v_add_u32_e32 v5, 64, v6
                                        ; implicit-def: $vgpr2
                                        ; implicit-def: $vgpr1
                                        ; implicit-def: $vgpr14
; %bb.6:
	s_or_saveexec_b64 s[6:7], s[2:3]
	s_load_dwordx2 s[18:19], s[4:5], 0x0
	s_load_dwordx2 s[24:25], s[4:5], 0x18
	s_load_dword s11, s[4:5], 0x88
	v_mov_b32_e32 v7, 0xff7fffff
	s_mul_i32 s14, s12, s14
	v_lshrrev_b32_e32 v3, 4, v0
	s_xor_b64 exec, exec, s[6:7]
	s_cbranch_execz .LBB83_12
; %bb.7:
	s_load_dwordx2 s[2:3], s[4:5], 0x10
	s_ashr_i32 s15, s14, 31
	s_lshl_b64 s[4:5], s[14:15], 1
	v_bfe_u32 v4, v0, 2, 4
	v_lshlrev_b32_e32 v5, 4, v4
	s_waitcnt lgkmcnt(0)
	s_add_u32 s2, s2, s4
	s_addc_u32 s3, s3, s5
	v_mov_b32_e32 v6, s3
	v_add_co_u32_e32 v5, vcc, s2, v5
	v_addc_co_u32_e32 v6, vcc, 0, v6, vcc
	v_and_b32_e32 v2, 12, v2
	v_add_co_u32_e32 v8, vcc, v5, v2
	v_addc_co_u32_e32 v10, vcc, 0, v6, vcc
	v_mul_u32_u24_e32 v11, 40, v1
	v_cmp_eq_u32_e32 vcc, 0, v1
	s_sub_i32 s15, 1, s33
	v_lshlrev_b32_e32 v1, 2, v4
	s_lshl_b64 s[4:5], s[22:23], 2
	v_lshl_or_b32 v1, v9, 6, v1
	s_add_u32 s4, s20, s4
	v_lshl_or_b32 v12, v9, 4, v4
	v_add_u32_e32 v13, 0xb0, v1
	v_and_b32_e32 v1, 60, v3
	s_addc_u32 s5, s21, s5
	v_mbcnt_hi_u32_b32 v4, -1, v14
	v_mov_b32_e32 v2, s5
	v_add_co_u32_e64 v1, s[4:5], s4, v1
	v_and_b32_e32 v6, 64, v4
	s_mov_b32 s12, s13
	v_cmp_neq_f32_e64 s[2:3], s26, 0
	v_addc_co_u32_e64 v2, s[4:5], 0, v2, s[4:5]
	v_mov_b32_e32 v7, 0xff7fffff
	s_mov_b64 s[28:29], 0
	v_add_u32_e32 v5, 64, v6
	v_xor_b32_e32 v14, 2, v4
	v_xor_b32_e32 v15, 1, v4
	v_mov_b32_e32 v16, v9
	s_branch .LBB83_9
.LBB83_8:                               ;   in Loop: Header=BB83_9 Depth=1
	s_or_b64 exec, exec, s[30:31]
	v_add_u32_e32 v16, 2, v16
	v_cmp_le_i32_e64 s[4:5], s17, v16
	s_or_b64 s[28:29], s[4:5], s[28:29]
	v_add_co_u32_e64 v1, s[4:5], 8, v1
	v_add_u32_e32 v12, 32, v12
	v_add_u32_e32 v13, 0x80, v13
	v_addc_co_u32_e64 v2, s[4:5], 0, v2, s[4:5]
	s_andn2_b64 exec, exec, s[28:29]
	s_cbranch_execz .LBB83_11
.LBB83_9:                               ; =>This Inner Loop Header: Depth=1
	global_load_dword v17, v[1:2], off
	s_waitcnt vmcnt(0) lgkmcnt(0)
	v_mad_i64_i32 v[17:18], s[4:5], v17, s12, 0
	v_lshlrev_b64 v[17:18], 1, v[17:18]
	v_add_co_u32_e64 v27, s[4:5], v8, v17
	v_addc_co_u32_e64 v28, s[4:5], v10, v18, s[4:5]
	global_load_dword v26, v[27:28], off
	global_load_dword v25, v[27:28], off offset:256
	global_load_dword v24, v[27:28], off offset:512
	;; [unrolled: 1-line block ×9, first 2 shown]
	ds_read_b32 v27, v11
	v_cmp_lt_i32_e64 s[4:5], v14, v5
	v_cndmask_b32_e64 v28, v4, v14, s[4:5]
	v_lshlrev_b32_e32 v28, 2, v28
	v_cmp_lt_i32_e64 s[4:5], v15, v5
	s_waitcnt lgkmcnt(0)
	v_lshrrev_b32_e32 v29, 16, v27
	v_and_b32_e32 v27, 0xffff, v27
	;;#ASMSTART
	v_cvt_f32_f16 v27, v27;
	;;#ASMEND
	;;#ASMSTART
	v_cvt_f32_f16 v29, v29;
	;;#ASMEND
	s_waitcnt vmcnt(9)
	v_lshrrev_b32_e32 v30, 16, v26
	v_and_b32_e32 v26, 0xffff, v26
	;;#ASMSTART
	v_cvt_f32_f16 v26, v26;
	;;#ASMEND
	;;#ASMSTART
	v_cvt_f32_f16 v30, v30;
	;;#ASMEND
	ds_read_b32 v31, v11 offset:4
	s_waitcnt vmcnt(8)
	v_and_b32_e32 v32, 0xffff, v25
	v_lshrrev_b32_e32 v33, 16, v25
	s_waitcnt vmcnt(7)
	v_and_b32_e32 v34, 0xffff, v24
	v_lshrrev_b32_e32 v35, 16, v24
	s_waitcnt lgkmcnt(0)
	v_lshrrev_b32_e32 v25, 16, v31
	v_and_b32_e32 v24, 0xffff, v31
	;;#ASMSTART
	v_cvt_f32_f16 v24, v24;
	;;#ASMEND
	;;#ASMSTART
	v_cvt_f32_f16 v25, v25;
	;;#ASMEND
	;; [unrolled: 3-line block ×4, first 2 shown]
	ds_read_b32 v33, v11 offset:8
	s_waitcnt vmcnt(6)
	v_and_b32_e32 v36, 0xffff, v23
	v_lshrrev_b32_e32 v37, 16, v23
	s_waitcnt vmcnt(5)
	v_lshrrev_b32_e32 v38, 16, v22
	v_and_b32_e32 v39, 0xffff, v22
	s_waitcnt lgkmcnt(0)
	v_lshrrev_b32_e32 v23, 16, v33
	v_and_b32_e32 v22, 0xffff, v33
	;;#ASMSTART
	v_cvt_f32_f16 v22, v22;
	;;#ASMEND
	;;#ASMSTART
	v_cvt_f32_f16 v23, v23;
	;;#ASMEND
	;; [unrolled: 3-line block ×4, first 2 shown]
	ds_read_b32 v35, v11 offset:12
	s_waitcnt vmcnt(4)
	v_lshrrev_b32_e32 v40, 16, v21
	v_and_b32_e32 v41, 0xffff, v21
	s_waitcnt vmcnt(3)
	v_lshrrev_b32_e32 v42, 16, v20
	v_and_b32_e32 v43, 0xffff, v20
	s_waitcnt lgkmcnt(0)
	v_lshrrev_b32_e32 v21, 16, v35
	v_and_b32_e32 v20, 0xffff, v35
	;;#ASMSTART
	v_cvt_f32_f16 v20, v20;
	;;#ASMEND
	;;#ASMSTART
	v_cvt_f32_f16 v21, v21;
	;;#ASMEND
	;; [unrolled: 3-line block ×4, first 2 shown]
	ds_read_b32 v37, v11 offset:16
	v_mul_f32_e32 v24, v24, v31
	s_waitcnt vmcnt(2)
	v_lshrrev_b32_e32 v44, 16, v19
	v_and_b32_e32 v45, 0xffff, v19
	v_fmac_f32_e32 v24, v27, v26
	s_waitcnt lgkmcnt(0)
	v_lshrrev_b32_e32 v26, 16, v37
	v_and_b32_e32 v19, 0xffff, v37
	;;#ASMSTART
	v_cvt_f32_f16 v19, v19;
	;;#ASMEND
	;;#ASMSTART
	v_cvt_f32_f16 v26, v26;
	;;#ASMEND
	;; [unrolled: 3-line block ×4, first 2 shown]
	ds_read_b32 v37, v11 offset:20
	v_mul_f32_e32 v25, v25, v32
	s_waitcnt vmcnt(1)
	v_lshrrev_b32_e32 v38, 16, v18
	v_and_b32_e32 v39, 0xffff, v18
	v_fmac_f32_e32 v25, v29, v30
	s_waitcnt lgkmcnt(0)
	v_lshrrev_b32_e32 v29, 16, v37
	v_and_b32_e32 v18, 0xffff, v37
	;;#ASMSTART
	v_cvt_f32_f16 v18, v18;
	;;#ASMEND
	;;#ASMSTART
	v_cvt_f32_f16 v29, v29;
	;;#ASMEND
	;; [unrolled: 3-line block ×4, first 2 shown]
	ds_read_b32 v37, v11 offset:24
	v_fmac_f32_e32 v24, v22, v33
	s_waitcnt vmcnt(0)
	v_lshrrev_b32_e32 v40, 16, v17
	v_and_b32_e32 v41, 0xffff, v17
	v_fmac_f32_e32 v25, v23, v34
	s_waitcnt lgkmcnt(0)
	v_lshrrev_b32_e32 v22, 16, v37
	v_and_b32_e32 v17, 0xffff, v37
	;;#ASMSTART
	v_cvt_f32_f16 v17, v17;
	;;#ASMEND
	;;#ASMSTART
	v_cvt_f32_f16 v22, v22;
	;;#ASMEND
	;;#ASMSTART
	v_cvt_f32_f16 v23, v43;
	;;#ASMEND
	;;#ASMSTART
	v_cvt_f32_f16 v33, v42;
	;;#ASMEND
	ds_read_b32 v34, v11 offset:28
	v_fmac_f32_e32 v24, v20, v35
	v_fmac_f32_e32 v25, v21, v36
	v_fmac_f32_e32 v24, v19, v27
	v_fmac_f32_e32 v25, v26, v31
	s_waitcnt lgkmcnt(0)
	v_lshrrev_b32_e32 v20, 16, v34
	v_and_b32_e32 v19, 0xffff, v34
	;;#ASMSTART
	v_cvt_f32_f16 v19, v19;
	;;#ASMEND
	;;#ASMSTART
	v_cvt_f32_f16 v20, v20;
	;;#ASMEND
	;;#ASMSTART
	v_cvt_f32_f16 v21, v45;
	;;#ASMEND
	;;#ASMSTART
	v_cvt_f32_f16 v26, v44;
	;;#ASMEND
	ds_read_b32 v27, v11 offset:32
	v_fmac_f32_e32 v24, v18, v30
	v_fmac_f32_e32 v25, v29, v32
	v_fmac_f32_e32 v24, v17, v23
	;; [unrolled: 20-line block ×3, first 2 shown]
	v_fmac_f32_e32 v25, v18, v23
	s_waitcnt lgkmcnt(0)
	v_lshrrev_b32_e32 v18, 16, v27
	v_and_b32_e32 v17, 0xffff, v27
	;;#ASMSTART
	v_cvt_f32_f16 v17, v17;
	;;#ASMEND
	;;#ASMSTART
	v_cvt_f32_f16 v18, v18;
	;;#ASMEND
	;; [unrolled: 3-line block ×4, first 2 shown]
	v_fmac_f32_e32 v24, v17, v19
	v_fmac_f32_e32 v25, v18, v20
	v_add_f32_e32 v17, v24, v25
	ds_bpermute_b32 v18, v28, v17
	v_cndmask_b32_e64 v19, v4, v15, s[4:5]
	s_waitcnt lgkmcnt(0)
	v_add_f32_e32 v17, v17, v18
	v_lshlrev_b32_e32 v18, 2, v19
	ds_bpermute_b32 v18, v18, v17
	s_and_saveexec_b64 s[30:31], vcc
	s_cbranch_execz .LBB83_8
; %bb.10:                               ;   in Loop: Header=BB83_9 Depth=1
	v_add_u32_e32 v19, s15, v12
	v_cvt_f32_i32_e32 v19, v19
	s_waitcnt lgkmcnt(0)
	v_add_f32_e32 v17, v17, v18
	v_cmp_gt_i32_e64 s[4:5], s33, v12
	v_max_f32_e32 v18, v7, v7
	v_mul_f32_e32 v19, s26, v19
	v_cndmask_b32_e64 v19, 0, v19, s[2:3]
	v_fmac_f32_e32 v19, s27, v17
	v_cndmask_b32_e64 v17, 0, v19, s[4:5]
	ds_write_b32 v13, v17
	v_max_f32_e32 v17, v18, v19
	v_cndmask_b32_e64 v7, v7, v17, s[4:5]
	s_branch .LBB83_8
.LBB83_11:
	s_or_b64 exec, exec, s[28:29]
.LBB83_12:
	s_or_b64 exec, exec, s[6:7]
	v_xor_b32_e32 v1, 32, v4
	v_cmp_lt_i32_e32 vcc, v1, v5
	v_cndmask_b32_e32 v1, v4, v1, vcc
	v_lshlrev_b32_e32 v2, 2, v1
	ds_bpermute_b32 v1, v2, v7
	v_xor_b32_e32 v8, 16, v4
	v_max_f32_e32 v7, v7, v7
	v_cmp_lt_i32_e32 vcc, v8, v5
	v_xor_b32_e32 v10, 8, v4
	s_waitcnt lgkmcnt(0)
	v_max_f32_e32 v1, v1, v1
	v_max_f32_e32 v1, v7, v1
	v_cndmask_b32_e32 v7, v4, v8, vcc
	v_lshlrev_b32_e32 v7, 2, v7
	ds_bpermute_b32 v8, v7, v1
	v_cmp_lt_i32_e32 vcc, v10, v5
	v_xor_b32_e32 v11, 4, v4
	s_waitcnt lgkmcnt(0)
	v_max_f32_e32 v8, v8, v8
	v_max_f32_e32 v1, v1, v8
	v_cndmask_b32_e32 v8, v4, v10, vcc
	v_lshlrev_b32_e32 v12, 2, v8
	ds_bpermute_b32 v8, v12, v1
	v_cmp_lt_i32_e32 vcc, v11, v5
	s_waitcnt lgkmcnt(0)
	v_max_f32_e32 v8, v8, v8
	v_max_f32_e32 v10, v1, v8
	v_cndmask_b32_e32 v1, v4, v11, vcc
	v_lshlrev_b32_e32 v13, 2, v1
	ds_bpermute_b32 v11, v13, v10
	v_and_b32_e32 v1, 63, v0
	v_cmp_eq_u32_e32 vcc, 0, v1
	v_lshlrev_b32_e32 v8, 2, v9
	s_and_saveexec_b64 s[2:3], vcc
	s_cbranch_execz .LBB83_14
; %bb.13:
	s_waitcnt lgkmcnt(0)
	v_max_f32_e32 v11, v11, v11
	v_max_f32_e32 v10, v10, v10
	;; [unrolled: 1-line block ×3, first 2 shown]
	ds_write_b32 v8, v10 offset:160
.LBB83_14:
	s_or_b64 exec, exec, s[2:3]
	v_cmp_gt_u32_e64 s[2:3], 2, v1
	v_mov_b32_e32 v14, 0xff7fffff
	s_waitcnt lgkmcnt(0)
	v_lshlrev_b32_e32 v11, 2, v1
	s_barrier
	s_and_saveexec_b64 s[4:5], s[2:3]
; %bb.15:
	ds_read_b32 v14, v11 offset:160
; %bb.16:
	s_or_b64 exec, exec, s[4:5]
	v_xor_b32_e32 v10, 1, v4
	v_cmp_lt_i32_e64 s[4:5], v10, v5
	v_cndmask_b32_e64 v10, v4, v10, s[4:5]
	v_lshlrev_b32_e32 v10, 2, v10
	s_waitcnt lgkmcnt(0)
	ds_bpermute_b32 v15, v10, v14
	v_max_f32_e32 v14, v14, v14
	v_lshlrev_b32_e32 v6, 2, v6
	s_lshl_b32 s4, s17, 4
	s_min_i32 s12, s4, s33
	s_waitcnt lgkmcnt(0)
	v_max_f32_e32 v15, v15, v15
	v_max_f32_e32 v14, v14, v15
	ds_bpermute_b32 v14, v6, v14
	v_cmp_gt_i32_e64 s[4:5], s12, v0
	v_mov_b32_e32 v6, 0
	s_and_saveexec_b64 s[26:27], s[4:5]
	s_cbranch_execz .LBB83_20
; %bb.17:
	v_mov_b32_e32 v6, 0xb0
	v_lshl_add_u32 v15, v0, 2, v6
	v_mov_b32_e32 v6, 0
	s_mov_b64 s[28:29], 0
	v_mov_b32_e32 v16, v0
.LBB83_18:                              ; =>This Inner Loop Header: Depth=1
	ds_read_b32 v17, v15
	v_add_u32_e32 v16, 0x80, v16
	v_cmp_le_i32_e64 s[6:7], s12, v16
	s_or_b64 s[28:29], s[6:7], s[28:29]
	s_waitcnt lgkmcnt(0)
	v_sub_f32_e32 v17, v17, v14
	v_mul_f32_e32 v17, 0x3fb8aa3b, v17
	v_exp_f32_e32 v17, v17
	ds_write_b32 v15, v17
	v_add_f32_e32 v6, v6, v17
	v_add_u32_e32 v15, 0x200, v15
	s_andn2_b64 exec, exec, s[28:29]
	s_cbranch_execnz .LBB83_18
; %bb.19:
	s_or_b64 exec, exec, s[28:29]
.LBB83_20:
	s_or_b64 exec, exec, s[26:27]
	ds_bpermute_b32 v2, v2, v6
	s_waitcnt lgkmcnt(0)
	v_add_f32_e32 v2, v6, v2
	ds_bpermute_b32 v6, v7, v2
	v_xor_b32_e32 v7, 2, v4
	v_cmp_lt_i32_e64 s[6:7], v7, v5
	v_cndmask_b32_e64 v5, v4, v7, s[6:7]
	v_lshlrev_b32_e32 v5, 2, v5
	s_waitcnt lgkmcnt(0)
	v_add_f32_e32 v2, v2, v6
	ds_bpermute_b32 v6, v12, v2
	s_waitcnt lgkmcnt(0)
	v_add_f32_e32 v2, v2, v6
	ds_bpermute_b32 v6, v13, v2
	;; [unrolled: 3-line block ×4, first 2 shown]
	s_waitcnt lgkmcnt(0)
	v_add_f32_e32 v2, v2, v5
	s_and_saveexec_b64 s[6:7], vcc
; %bb.21:
	ds_write_b32 v8, v2 offset:168
; %bb.22:
	s_or_b64 exec, exec, s[6:7]
	s_waitcnt lgkmcnt(0)
	s_barrier
	s_and_saveexec_b64 s[6:7], s[2:3]
; %bb.23:
	ds_read_b32 v2, v11 offset:168
; %bb.24:
	s_or_b64 exec, exec, s[6:7]
	s_waitcnt lgkmcnt(0)
	ds_bpermute_b32 v5, v10, v2
	v_lshlrev_b32_e32 v4, 2, v4
	v_and_b32_e32 v4, 0xffffff00, v4
	s_waitcnt lgkmcnt(0)
	v_add_f32_e32 v2, v2, v5
	ds_bpermute_b32 v2, v4, v2
	s_and_saveexec_b64 s[2:3], s[4:5]
	s_cbranch_execz .LBB83_27
; %bb.25:
	s_waitcnt lgkmcnt(0)
	v_add_f32_e32 v4, 0x358637bd, v2
	v_div_scale_f32 v2, s[4:5], v4, v4, 1.0
	v_div_scale_f32 v5, vcc, 1.0, v4, 1.0
	s_mov_b64 s[4:5], 0
	v_rcp_f32_e32 v6, v2
	v_fma_f32 v7, -v2, v6, 1.0
	v_fmac_f32_e32 v6, v7, v6
	v_mul_f32_e32 v7, v5, v6
	v_fma_f32 v8, -v2, v7, v5
	v_fmac_f32_e32 v7, v8, v6
	v_fma_f32 v2, -v2, v7, v5
	v_div_fmas_f32 v5, v2, v6, v7
	v_mov_b32_e32 v2, 0xb0
	v_lshl_add_u32 v2, v0, 2, v2
	v_div_fixup_f32 v4, v5, v4, 1.0
	v_mov_b32_e32 v5, v0
.LBB83_26:                              ; =>This Inner Loop Header: Depth=1
	ds_read_b32 v6, v2
	v_add_u32_e32 v5, 0x80, v5
	v_cmp_le_i32_e32 vcc, s12, v5
	s_or_b64 s[4:5], vcc, s[4:5]
	s_waitcnt lgkmcnt(0)
	v_mul_f32_e32 v6, v4, v6
	ds_write_b32 v2, v6
	v_add_u32_e32 v2, 0x200, v2
	s_andn2_b64 exec, exec, s[4:5]
	s_cbranch_execnz .LBB83_26
.LBB83_27:
	s_or_b64 exec, exec, s[2:3]
	v_lshrrev_b32_e32 v11, 1, v1
	s_waitcnt lgkmcnt(0)
	s_barrier
	s_and_saveexec_b64 s[2:3], s[0:1]
	s_xor_b64 s[0:1], exec, s[2:3]
; %bb.28:
	v_lshrrev_b32_e32 v11, 1, v1
                                        ; implicit-def: $vgpr9
                                        ; implicit-def: $vgpr3
; %bb.29:
	s_or_saveexec_b64 s[4:5], s[0:1]
	v_mov_b32_e32 v14, 0
	v_and_b32_e32 v12, 1, v0
	v_mov_b32_e32 v15, 0
	v_mov_b32_e32 v16, 0
	s_xor_b64 exec, exec, s[4:5]
	s_cbranch_execz .LBB83_41
; %bb.30:
	s_ashr_i32 s15, s14, 31
	v_lshlrev_b32_e32 v1, 3, v0
	s_lshl_b64 s[0:1], s[14:15], 1
	v_and_b32_e32 v1, 8, v1
	s_add_u32 s24, s24, s0
	v_or_b32_e32 v4, 64, v11
	s_movk_i32 s0, 0x50
	v_lshlrev_b32_e32 v5, 4, v9
	s_addc_u32 s12, s25, s1
	s_add_i32 s25, s17, -1
	v_lshl_or_b32 v2, v11, 4, v1
	v_cmp_gt_u32_e64 s[0:1], s0, v4
	v_lshl_or_b32 v4, v4, 4, v1
	v_or3_b32 v17, v5, v1, 7
	v_lshlrev_b32_e32 v1, 5, v12
	s_lshl_b64 s[2:3], s[22:23], 2
	v_lshl_or_b32 v1, v9, 6, v1
	s_add_u32 s2, s20, s2
	v_add_u32_e32 v18, 0xb0, v1
	v_and_b32_e32 v1, 60, v3
	s_addc_u32 s3, s21, s3
	v_mov_b32_e32 v3, s3
	v_add_co_u32_e32 v5, vcc, s2, v1
	s_mov_b32 s26, s13
	v_mov_b32_e32 v13, 0
	v_addc_co_u32_e32 v6, vcc, 0, v3, vcc
	s_mov_b64 s[6:7], 0
	v_mov_b32_e32 v19, s12
	v_lshlrev_b32_e32 v20, 1, v2
	s_mov_b32 s20, 0xffff
	v_lshlrev_b32_e32 v21, 1, v4
	v_mov_b32_e32 v16, 0
	v_mov_b32_e32 v15, 0
	;; [unrolled: 1-line block ×3, first 2 shown]
	s_branch .LBB83_33
.LBB83_31:                              ;   in Loop: Header=BB83_33 Depth=1
	s_or_b64 exec, exec, s[14:15]
	v_lshlrev_b32_e32 v22, 16, v31
	v_and_or_b32 v1, v1, s20, v22
	v_lshlrev_b32_e32 v22, 16, v30
	v_and_or_b32 v2, v2, s20, v22
	;; [unrolled: 2-line block ×3, first 2 shown]
	;;#ASMSTART
	v_pk_mul_f16 v1, v26, v1;

	;;#ASMEND
	;;#ASMSTART
	v_pk_mul_f16 v2, v27, v2;

	;;#ASMEND
	;; [unrolled: 4-line block ×4, first 2 shown]
	;;#ASMSTART
	v_pk_add_f16 v1, v1, v2;

	;;#ASMEND
	;;#ASMSTART
	v_pk_add_f16 v1, v1, v3;

	;;#ASMEND
	;;#ASMSTART
	v_pk_add_f16 v1, v1, v4;

	;;#ASMEND
	v_lshrrev_b32_e32 v2, 16, v1
	v_and_b32_e32 v1, 0xffff, v1
	;;#ASMSTART
	v_cvt_f32_f16 v1, v1;
	;;#ASMEND
	;;#ASMSTART
	v_cvt_f32_f16 v2, v2;
	;;#ASMEND
	v_add_f32_e32 v1, v1, v2
	v_add_f32_e32 v16, v16, v1
.LBB83_32:                              ;   in Loop: Header=BB83_33 Depth=1
	s_or_b64 exec, exec, s[12:13]
	v_add_u32_e32 v9, 2, v9
	v_add_f32_e32 v1, v7, v8
	v_cmp_le_i32_e32 vcc, s17, v9
	v_add_f32_e32 v15, v15, v1
	v_add_f32_e32 v1, v23, v24
	s_or_b64 s[6:7], vcc, s[6:7]
	v_add_co_u32_e32 v5, vcc, 8, v5
	v_add_f32_e32 v14, v14, v1
	v_add_u32_e32 v17, 32, v17
	v_add_u32_e32 v18, 0x80, v18
	v_addc_co_u32_e32 v6, vcc, 0, v6, vcc
	s_andn2_b64 exec, exec, s[6:7]
	s_cbranch_execz .LBB83_40
.LBB83_33:                              ; =>This Inner Loop Header: Depth=1
	global_load_dword v7, v[5:6], off
	ds_read2_b64 v[1:4], v18 offset1:1
	ds_read2_b64 v[30:33], v18 offset0:2 offset1:3
	v_add_u32_e32 v22, -7, v17
	s_waitcnt lgkmcnt(1)
	;;#ASMSTART
	v_cvt_f16_f32 v23, v1;

	;;#ASMEND
	;;#ASMSTART
	v_cvt_f16_f32 v24, v2;

	;;#ASMEND
	;; [unrolled: 4-line block ×4, first 2 shown]
	s_waitcnt lgkmcnt(0)
	;;#ASMSTART
	v_cvt_f16_f32 v28, v30;

	;;#ASMEND
	;;#ASMSTART
	v_cvt_f16_f32 v31, v31;

	;;#ASMEND
	;; [unrolled: 4-line block ×4, first 2 shown]
	s_waitcnt vmcnt(0)
	v_mad_i64_i32 v[1:2], s[2:3], v7, s26, 0
	v_cmp_eq_u32_e64 s[2:3], s25, v9
	v_lshlrev_b64 v[1:2], 1, v[1:2]
	v_add_co_u32_e32 v29, vcc, s24, v1
	v_addc_co_u32_e32 v30, vcc, v19, v2, vcc
	v_add_co_u32_e32 v7, vcc, v29, v20
	v_addc_co_u32_e32 v8, vcc, 0, v30, vcc
	global_load_dwordx4 v[1:4], v[7:8], off
	s_waitcnt vmcnt(0)
	v_lshrrev_b32_e32 v36, 16, v1
	v_lshrrev_b32_e32 v35, 16, v2
	;; [unrolled: 1-line block ×3, first 2 shown]
	s_and_saveexec_b64 s[12:13], s[2:3]
	s_cbranch_execz .LBB83_35
; %bb.34:                               ;   in Loop: Header=BB83_33 Depth=1
	v_cmp_gt_i32_e32 vcc, s33, v22
	v_add_u32_e32 v26, -6, v17
	v_cndmask_b32_e32 v1, 0, v1, vcc
	v_cmp_gt_i32_e32 vcc, s33, v26
	v_add_u32_e32 v26, -5, v17
	v_cndmask_b32_e32 v36, 0, v36, vcc
	;; [unrolled: 3-line block ×6, first 2 shown]
	v_cmp_gt_i32_e32 vcc, s33, v26
	v_cndmask_b32_sdwa v26, v13, v4, vcc dst_sel:DWORD dst_unused:UNUSED_PAD src0_sel:DWORD src1_sel:WORD_0
	v_and_b32_e32 v4, 0xffff0000, v4
	v_cmp_gt_i32_e32 vcc, s33, v17
	v_cndmask_b32_e32 v4, 0, v4, vcc
	v_or_b32_e32 v4, v26, v4
.LBB83_35:                              ;   in Loop: Header=BB83_33 Depth=1
	s_or_b64 exec, exec, s[12:13]
	v_and_b32_e32 v23, 0xffff, v23
	v_lshl_or_b32 v26, v24, 16, v23
	v_and_b32_e32 v23, 0xffff, v25
	v_lshl_or_b32 v27, v27, 16, v23
	;; [unrolled: 2-line block ×4, first 2 shown]
	v_lshlrev_b32_e32 v23, 16, v36
	v_and_or_b32 v1, v1, s20, v23
	v_lshlrev_b32_e32 v23, 16, v35
	v_and_or_b32 v2, v2, s20, v23
	;; [unrolled: 2-line block ×3, first 2 shown]
	;;#ASMSTART
	v_pk_mul_f16 v1, v26, v1;

	;;#ASMEND
	;;#ASMSTART
	v_pk_mul_f16 v2, v27, v2;

	;;#ASMEND
	;; [unrolled: 4-line block ×4, first 2 shown]
	;;#ASMSTART
	v_pk_add_f16 v1, v1, v2;

	;;#ASMEND
	;;#ASMSTART
	v_pk_add_f16 v1, v1, v3;

	;;#ASMEND
	;; [unrolled: 4-line block ×3, first 2 shown]
	v_lshrrev_b32_e32 v2, 16, v1
	v_and_b32_e32 v1, 0xffff, v1
	;;#ASMSTART
	v_cvt_f32_f16 v23, v1;
	;;#ASMEND
	;;#ASMSTART
	v_cvt_f32_f16 v24, v2;
	;;#ASMEND
	global_load_dwordx4 v[1:4], v[7:8], off offset:1024
	s_waitcnt vmcnt(0)
	v_lshrrev_b32_e32 v31, 16, v1
	v_lshrrev_b32_e32 v8, 16, v2
	v_lshrrev_b32_e32 v7, 16, v3
	s_and_saveexec_b64 s[12:13], s[2:3]
	s_cbranch_execz .LBB83_37
; %bb.36:                               ;   in Loop: Header=BB83_33 Depth=1
	v_cmp_gt_i32_e32 vcc, s33, v22
	v_add_u32_e32 v32, -6, v17
	v_cndmask_b32_e32 v1, 0, v1, vcc
	v_cmp_gt_i32_e32 vcc, s33, v32
	v_add_u32_e32 v32, -5, v17
	v_cndmask_b32_e32 v31, 0, v31, vcc
	;; [unrolled: 3-line block ×6, first 2 shown]
	v_cmp_gt_i32_e32 vcc, s33, v32
	v_cndmask_b32_sdwa v32, v13, v4, vcc dst_sel:DWORD dst_unused:UNUSED_PAD src0_sel:DWORD src1_sel:WORD_0
	v_and_b32_e32 v4, 0xffff0000, v4
	v_cmp_gt_i32_e32 vcc, s33, v17
	v_cndmask_b32_e32 v4, 0, v4, vcc
	v_or_b32_e32 v4, v32, v4
.LBB83_37:                              ;   in Loop: Header=BB83_33 Depth=1
	s_or_b64 exec, exec, s[12:13]
	v_lshlrev_b32_e32 v31, 16, v31
	v_and_or_b32 v1, v1, s20, v31
	v_lshlrev_b32_e32 v8, 16, v8
	v_lshlrev_b32_e32 v7, 16, v7
	v_and_or_b32 v2, v2, s20, v8
	v_and_or_b32 v3, v3, s20, v7
	;;#ASMSTART
	v_pk_mul_f16 v1, v26, v1;

	;;#ASMEND
	;;#ASMSTART
	v_pk_mul_f16 v2, v27, v2;

	;;#ASMEND
	;; [unrolled: 4-line block ×4, first 2 shown]
	;;#ASMSTART
	v_pk_add_f16 v1, v1, v2;

	;;#ASMEND
	;;#ASMSTART
	v_pk_add_f16 v1, v1, v3;

	;;#ASMEND
	;; [unrolled: 4-line block ×3, first 2 shown]
	v_lshrrev_b32_e32 v2, 16, v1
	v_and_b32_e32 v1, 0xffff, v1
	;;#ASMSTART
	v_cvt_f32_f16 v7, v1;
	;;#ASMEND
	;;#ASMSTART
	v_cvt_f32_f16 v8, v2;
	;;#ASMEND
	s_and_saveexec_b64 s[12:13], s[0:1]
	s_cbranch_execz .LBB83_32
; %bb.38:                               ;   in Loop: Header=BB83_33 Depth=1
	v_add_co_u32_e32 v1, vcc, v29, v21
	v_addc_co_u32_e32 v2, vcc, 0, v30, vcc
	global_load_dwordx4 v[1:4], v[1:2], off
	s_waitcnt vmcnt(0)
	v_lshrrev_b32_e32 v31, 16, v1
	v_lshrrev_b32_e32 v30, 16, v2
	;; [unrolled: 1-line block ×3, first 2 shown]
	s_and_saveexec_b64 s[14:15], s[2:3]
	s_cbranch_execz .LBB83_31
; %bb.39:                               ;   in Loop: Header=BB83_33 Depth=1
	v_cmp_gt_i32_e32 vcc, s33, v22
	v_add_u32_e32 v22, -6, v17
	v_cndmask_b32_e32 v1, 0, v1, vcc
	v_cmp_gt_i32_e32 vcc, s33, v22
	v_add_u32_e32 v22, -5, v17
	v_cndmask_b32_e32 v31, 0, v31, vcc
	;; [unrolled: 3-line block ×6, first 2 shown]
	v_cmp_gt_i32_e32 vcc, s33, v22
	v_cndmask_b32_sdwa v22, v13, v4, vcc dst_sel:DWORD dst_unused:UNUSED_PAD src0_sel:DWORD src1_sel:WORD_0
	v_and_b32_e32 v4, 0xffff0000, v4
	v_cmp_gt_i32_e32 vcc, s33, v17
	v_cndmask_b32_e32 v4, 0, v4, vcc
	v_or_b32_e32 v4, v22, v4
	s_branch .LBB83_31
.LBB83_40:
	s_or_b64 exec, exec, s[6:7]
.LBB83_41:
	s_or_b64 exec, exec, s[4:5]
	ds_bpermute_b32 v1, v10, v14
	ds_bpermute_b32 v4, v10, v16
	;; [unrolled: 1-line block ×3, first 2 shown]
	v_cmp_eq_u32_e32 vcc, 0, v12
	s_waitcnt lgkmcnt(0)
	v_add_f32_e32 v3, v14, v1
	v_add_f32_e32 v1, v16, v4
	v_and_b32_e32 v4, 0x3c0, v0
	v_add_f32_e32 v2, v15, v2
	v_cmp_eq_u32_e64 s[0:1], 64, v4
	s_barrier
	s_and_saveexec_b64 s[2:3], s[0:1]
	s_cbranch_execz .LBB83_46
; %bb.42:
	s_and_saveexec_b64 s[0:1], vcc
; %bb.43:
	v_mov_b32_e32 v4, 0xb0
	v_lshl_add_u32 v4, v11, 2, v4
	ds_write2_b32 v4, v3, v2 offset1:32
; %bb.44:
	s_or_b64 exec, exec, s[0:1]
	v_or_b32_e32 v4, 64, v11
	s_movk_i32 s0, 0x50
	v_cmp_gt_u32_e64 s[0:1], s0, v4
	s_and_b64 s[0:1], vcc, s[0:1]
	s_and_b64 exec, exec, s[0:1]
; %bb.45:
	v_mov_b32_e32 v4, 0xb0
	v_lshl_add_u32 v4, v11, 2, v4
	ds_write_b32 v4, v1 offset:256
.LBB83_46:
	s_or_b64 exec, exec, s[2:3]
	v_cmp_gt_u32_e64 s[0:1], 64, v0
	v_lshrrev_b32_e32 v0, 1, v0
	s_waitcnt lgkmcnt(0)
	s_barrier
	s_and_saveexec_b64 s[4:5], s[0:1]
	s_cbranch_execz .LBB83_54
; %bb.47:
	s_and_saveexec_b64 s[2:3], vcc
	s_cbranch_execz .LBB83_49
; %bb.48:
	v_mov_b32_e32 v4, 0xb0
	v_lshl_add_u32 v4, v0, 2, v4
	ds_read_b32 v4, v4
	s_waitcnt lgkmcnt(0)
	v_add_f32_e32 v3, v3, v4
.LBB83_49:
	s_or_b64 exec, exec, s[2:3]
	v_or_b32_e32 v4, 32, v0
	s_movk_i32 s6, 0x50
	v_cmp_gt_u32_e64 s[2:3], s6, v4
	s_and_b64 s[12:13], vcc, s[2:3]
	s_and_saveexec_b64 s[2:3], s[12:13]
	s_cbranch_execz .LBB83_51
; %bb.50:
	v_mov_b32_e32 v4, 0xb0
	v_lshl_add_u32 v4, v0, 2, v4
	ds_read_b32 v4, v4 offset:128
	s_waitcnt lgkmcnt(0)
	v_add_f32_e32 v2, v2, v4
.LBB83_51:
	s_or_b64 exec, exec, s[2:3]
	v_or_b32_e32 v4, 64, v0
	v_cmp_gt_u32_e64 s[2:3], s6, v4
	s_and_b64 s[6:7], vcc, s[2:3]
	s_and_saveexec_b64 s[2:3], s[6:7]
	s_cbranch_execz .LBB83_53
; %bb.52:
	v_mov_b32_e32 v4, 0xb0
	v_lshl_add_u32 v4, v0, 2, v4
	ds_read_b32 v4, v4 offset:256
	s_waitcnt lgkmcnt(0)
	v_add_f32_e32 v1, v1, v4
.LBB83_53:
	s_or_b64 exec, exec, s[2:3]
.LBB83_54:
	s_or_b64 exec, exec, s[4:5]
	s_barrier
	s_and_saveexec_b64 s[2:3], s[0:1]
	s_cbranch_execz .LBB83_61
; %bb.55:
	s_mul_i32 s0, s10, s11
	s_mul_i32 s0, s0, s9
	s_mulk_i32 s0, 0x50
	s_ashr_i32 s1, s0, 31
	s_lshl_b64 s[0:1], s[0:1], 1
	s_add_u32 s2, s18, s0
	s_mul_i32 s0, s11, s16
	s_addc_u32 s3, s19, s1
	s_ashr_i32 s1, s0, 31
	s_lshl_b64 s[0:1], s[0:1], 1
	s_add_u32 s2, s2, s0
	s_mul_i32 s0, s8, 0x50
	s_addc_u32 s3, s3, s1
	s_ashr_i32 s1, s0, 31
	s_lshl_b64 s[0:1], s[0:1], 1
	s_add_u32 s2, s2, s0
	s_movk_i32 s4, 0x50
	s_addc_u32 s3, s3, s1
	v_lshlrev_b32_e32 v4, 1, v0
	s_and_saveexec_b64 s[0:1], vcc
	s_cbranch_execz .LBB83_57
; %bb.56:
	;;#ASMSTART
	v_cvt_f16_f32 v3, v3;

	;;#ASMEND
	global_store_short v4, v3, s[2:3]
.LBB83_57:
	s_or_b64 exec, exec, s[0:1]
	v_or_b32_e32 v3, 32, v0
	v_cmp_gt_u32_e64 s[0:1], s4, v3
	s_and_b64 s[4:5], vcc, s[0:1]
	s_and_saveexec_b64 s[0:1], s[4:5]
	s_cbranch_execz .LBB83_59
; %bb.58:
	;;#ASMSTART
	v_cvt_f16_f32 v2, v2;

	;;#ASMEND
	global_store_short v4, v2, s[2:3] offset:64
.LBB83_59:
	s_or_b64 exec, exec, s[0:1]
	v_or_b32_e32 v0, 64, v0
	s_movk_i32 s0, 0x50
	v_cmp_gt_u32_e64 s[0:1], s0, v0
	s_and_b64 s[0:1], vcc, s[0:1]
	s_and_b64 exec, exec, s[0:1]
	s_cbranch_execz .LBB83_61
; %bb.60:
	;;#ASMSTART
	v_cvt_f16_f32 v0, v1;

	;;#ASMEND
	global_store_short v4, v0, s[2:3] offset:128
.LBB83_61:
	s_endpgm
	.section	.rodata,"a",@progbits
	.p2align	6, 0x0
	.amdhsa_kernel _ZN4vllm25paged_attention_v1_kernelIttLi80ELi16ELi128ELNS_18Fp8KVCacheDataTypeE0ELb0EEEvPT_PKS2_PKT0_S8_ifPKiSA_iPKfiiiSC_SC_iiiii
		.amdhsa_group_segment_fixed_size 176
		.amdhsa_private_segment_fixed_size 0
		.amdhsa_kernarg_size 384
		.amdhsa_user_sgpr_count 6
		.amdhsa_user_sgpr_private_segment_buffer 1
		.amdhsa_user_sgpr_dispatch_ptr 0
		.amdhsa_user_sgpr_queue_ptr 0
		.amdhsa_user_sgpr_kernarg_segment_ptr 1
		.amdhsa_user_sgpr_dispatch_id 0
		.amdhsa_user_sgpr_flat_scratch_init 0
		.amdhsa_user_sgpr_private_segment_size 0
		.amdhsa_uses_dynamic_stack 0
		.amdhsa_system_sgpr_private_segment_wavefront_offset 0
		.amdhsa_system_sgpr_workgroup_id_x 1
		.amdhsa_system_sgpr_workgroup_id_y 1
		.amdhsa_system_sgpr_workgroup_id_z 1
		.amdhsa_system_sgpr_workgroup_info 0
		.amdhsa_system_vgpr_workitem_id 0
		.amdhsa_next_free_vgpr 46
		.amdhsa_next_free_sgpr 34
		.amdhsa_reserve_vcc 1
		.amdhsa_reserve_flat_scratch 0
		.amdhsa_float_round_mode_32 0
		.amdhsa_float_round_mode_16_64 0
		.amdhsa_float_denorm_mode_32 3
		.amdhsa_float_denorm_mode_16_64 3
		.amdhsa_dx10_clamp 1
		.amdhsa_ieee_mode 1
		.amdhsa_fp16_overflow 0
		.amdhsa_exception_fp_ieee_invalid_op 0
		.amdhsa_exception_fp_denorm_src 0
		.amdhsa_exception_fp_ieee_div_zero 0
		.amdhsa_exception_fp_ieee_overflow 0
		.amdhsa_exception_fp_ieee_underflow 0
		.amdhsa_exception_fp_ieee_inexact 0
		.amdhsa_exception_int_div_zero 0
	.end_amdhsa_kernel
	.section	.text._ZN4vllm25paged_attention_v1_kernelIttLi80ELi16ELi128ELNS_18Fp8KVCacheDataTypeE0ELb0EEEvPT_PKS2_PKT0_S8_ifPKiSA_iPKfiiiSC_SC_iiiii,"axG",@progbits,_ZN4vllm25paged_attention_v1_kernelIttLi80ELi16ELi128ELNS_18Fp8KVCacheDataTypeE0ELb0EEEvPT_PKS2_PKT0_S8_ifPKiSA_iPKfiiiSC_SC_iiiii,comdat
.Lfunc_end83:
	.size	_ZN4vllm25paged_attention_v1_kernelIttLi80ELi16ELi128ELNS_18Fp8KVCacheDataTypeE0ELb0EEEvPT_PKS2_PKT0_S8_ifPKiSA_iPKfiiiSC_SC_iiiii, .Lfunc_end83-_ZN4vllm25paged_attention_v1_kernelIttLi80ELi16ELi128ELNS_18Fp8KVCacheDataTypeE0ELb0EEEvPT_PKS2_PKT0_S8_ifPKiSA_iPKfiiiSC_SC_iiiii
                                        ; -- End function
	.set _ZN4vllm25paged_attention_v1_kernelIttLi80ELi16ELi128ELNS_18Fp8KVCacheDataTypeE0ELb0EEEvPT_PKS2_PKT0_S8_ifPKiSA_iPKfiiiSC_SC_iiiii.num_vgpr, 46
	.set _ZN4vllm25paged_attention_v1_kernelIttLi80ELi16ELi128ELNS_18Fp8KVCacheDataTypeE0ELb0EEEvPT_PKS2_PKT0_S8_ifPKiSA_iPKfiiiSC_SC_iiiii.num_agpr, 0
	.set _ZN4vllm25paged_attention_v1_kernelIttLi80ELi16ELi128ELNS_18Fp8KVCacheDataTypeE0ELb0EEEvPT_PKS2_PKT0_S8_ifPKiSA_iPKfiiiSC_SC_iiiii.numbered_sgpr, 34
	.set _ZN4vllm25paged_attention_v1_kernelIttLi80ELi16ELi128ELNS_18Fp8KVCacheDataTypeE0ELb0EEEvPT_PKS2_PKT0_S8_ifPKiSA_iPKfiiiSC_SC_iiiii.num_named_barrier, 0
	.set _ZN4vllm25paged_attention_v1_kernelIttLi80ELi16ELi128ELNS_18Fp8KVCacheDataTypeE0ELb0EEEvPT_PKS2_PKT0_S8_ifPKiSA_iPKfiiiSC_SC_iiiii.private_seg_size, 0
	.set _ZN4vllm25paged_attention_v1_kernelIttLi80ELi16ELi128ELNS_18Fp8KVCacheDataTypeE0ELb0EEEvPT_PKS2_PKT0_S8_ifPKiSA_iPKfiiiSC_SC_iiiii.uses_vcc, 1
	.set _ZN4vllm25paged_attention_v1_kernelIttLi80ELi16ELi128ELNS_18Fp8KVCacheDataTypeE0ELb0EEEvPT_PKS2_PKT0_S8_ifPKiSA_iPKfiiiSC_SC_iiiii.uses_flat_scratch, 0
	.set _ZN4vllm25paged_attention_v1_kernelIttLi80ELi16ELi128ELNS_18Fp8KVCacheDataTypeE0ELb0EEEvPT_PKS2_PKT0_S8_ifPKiSA_iPKfiiiSC_SC_iiiii.has_dyn_sized_stack, 0
	.set _ZN4vllm25paged_attention_v1_kernelIttLi80ELi16ELi128ELNS_18Fp8KVCacheDataTypeE0ELb0EEEvPT_PKS2_PKT0_S8_ifPKiSA_iPKfiiiSC_SC_iiiii.has_recursion, 0
	.set _ZN4vllm25paged_attention_v1_kernelIttLi80ELi16ELi128ELNS_18Fp8KVCacheDataTypeE0ELb0EEEvPT_PKS2_PKT0_S8_ifPKiSA_iPKfiiiSC_SC_iiiii.has_indirect_call, 0
	.section	.AMDGPU.csdata,"",@progbits
; Kernel info:
; codeLenInByte = 4616
; TotalNumSgprs: 38
; NumVgprs: 46
; ScratchSize: 0
; MemoryBound: 0
; FloatMode: 240
; IeeeMode: 1
; LDSByteSize: 176 bytes/workgroup (compile time only)
; SGPRBlocks: 4
; VGPRBlocks: 11
; NumSGPRsForWavesPerEU: 38
; NumVGPRsForWavesPerEU: 46
; Occupancy: 5
; WaveLimiterHint : 1
; COMPUTE_PGM_RSRC2:SCRATCH_EN: 0
; COMPUTE_PGM_RSRC2:USER_SGPR: 6
; COMPUTE_PGM_RSRC2:TRAP_HANDLER: 0
; COMPUTE_PGM_RSRC2:TGID_X_EN: 1
; COMPUTE_PGM_RSRC2:TGID_Y_EN: 1
; COMPUTE_PGM_RSRC2:TGID_Z_EN: 1
; COMPUTE_PGM_RSRC2:TIDIG_COMP_CNT: 0
	.section	.text._ZN4vllm25paged_attention_v1_kernelIttLi96ELi16ELi128ELNS_18Fp8KVCacheDataTypeE0ELb0EEEvPT_PKS2_PKT0_S8_ifPKiSA_iPKfiiiSC_SC_iiiii,"axG",@progbits,_ZN4vllm25paged_attention_v1_kernelIttLi96ELi16ELi128ELNS_18Fp8KVCacheDataTypeE0ELb0EEEvPT_PKS2_PKT0_S8_ifPKiSA_iPKfiiiSC_SC_iiiii,comdat
	.protected	_ZN4vllm25paged_attention_v1_kernelIttLi96ELi16ELi128ELNS_18Fp8KVCacheDataTypeE0ELb0EEEvPT_PKS2_PKT0_S8_ifPKiSA_iPKfiiiSC_SC_iiiii ; -- Begin function _ZN4vllm25paged_attention_v1_kernelIttLi96ELi16ELi128ELNS_18Fp8KVCacheDataTypeE0ELb0EEEvPT_PKS2_PKT0_S8_ifPKiSA_iPKfiiiSC_SC_iiiii
	.globl	_ZN4vllm25paged_attention_v1_kernelIttLi96ELi16ELi128ELNS_18Fp8KVCacheDataTypeE0ELb0EEEvPT_PKS2_PKT0_S8_ifPKiSA_iPKfiiiSC_SC_iiiii
	.p2align	8
	.type	_ZN4vllm25paged_attention_v1_kernelIttLi96ELi16ELi128ELNS_18Fp8KVCacheDataTypeE0ELb0EEEvPT_PKS2_PKT0_S8_ifPKiSA_iPKfiiiSC_SC_iiiii,@function
_ZN4vllm25paged_attention_v1_kernelIttLi96ELi16ELi128ELNS_18Fp8KVCacheDataTypeE0ELb0EEEvPT_PKS2_PKT0_S8_ifPKiSA_iPKfiiiSC_SC_iiiii: ; @_ZN4vllm25paged_attention_v1_kernelIttLi96ELi16ELi128ELNS_18Fp8KVCacheDataTypeE0ELb0EEEvPT_PKS2_PKT0_S8_ifPKiSA_iPKfiiiSC_SC_iiiii
; %bb.0:
	s_load_dword s9, s[4:5], 0x80
	s_load_dwordx2 s[0:1], s[4:5], 0x30
	s_load_dwordx2 s[26:27], s[4:5], 0x20
	s_mov_b32 s10, s7
	s_ashr_i32 s11, s7, 31
	s_lshl_b64 s[2:3], s[10:11], 2
	s_waitcnt lgkmcnt(0)
	s_add_u32 s0, s0, s2
	s_addc_u32 s1, s1, s3
	s_abs_i32 s2, s26
	v_cvt_f32_u32_e32 v1, s2
	s_sub_i32 s11, 0, s2
	s_abs_i32 s7, s9
	s_xor_b32 s3, s9, s26
	v_rcp_iflag_f32_e32 v1, v1
	s_ashr_i32 s3, s3, 31
	s_mov_b32 s26, 0
	v_mul_f32_e32 v1, 0x4f7ffffe, v1
	v_cvt_u32_f32_e32 v1, v1
	v_readfirstlane_b32 s12, v1
	s_mul_i32 s11, s11, s12
	s_mul_hi_u32 s11, s12, s11
	s_add_i32 s12, s12, s11
	s_mul_hi_u32 s11, s7, s12
	s_mul_i32 s12, s11, s2
	s_sub_i32 s7, s7, s12
	s_add_i32 s12, s11, 1
	s_sub_i32 s13, s7, s2
	s_cmp_ge_u32 s7, s2
	s_cselect_b32 s11, s12, s11
	s_cselect_b32 s7, s13, s7
	s_add_i32 s12, s11, 1
	s_cmp_ge_u32 s7, s2
	s_cselect_b32 s2, s12, s11
	s_xor_b32 s2, s2, s3
	s_sub_i32 s12, s2, s3
	s_abs_i32 s11, s12
	v_cvt_f32_u32_e32 v1, s11
	s_load_dwordx2 s[2:3], s[4:5], 0x40
	s_sub_i32 s7, 0, s11
	s_abs_i32 s18, s6
	v_rcp_iflag_f32_e32 v1, v1
	v_mul_f32_e32 v1, 0x4f7ffffe, v1
	v_cvt_u32_f32_e32 v1, v1
	v_readfirstlane_b32 s13, v1
	s_mul_i32 s7, s7, s13
	s_mul_hi_u32 s7, s13, s7
	s_add_i32 s13, s13, s7
	s_waitcnt lgkmcnt(0)
	s_cmp_eq_u64 s[2:3], 0
	s_mul_hi_u32 s19, s18, s13
	s_cbranch_scc1 .LBB84_2
; %bb.1:
	s_ashr_i32 s7, s6, 31
	s_lshl_b64 s[14:15], s[6:7], 2
	s_add_u32 s2, s2, s14
	s_addc_u32 s3, s3, s15
	s_load_dword s26, s[2:3], 0x0
.LBB84_2:
	s_load_dword s33, s[0:1], 0x0
	s_ashr_i32 s3, s12, 31
	s_load_dwordx4 s[12:15], s[4:5], 0x48
	s_ashr_i32 s2, s6, 31
	v_and_b32_e32 v1, 3, v0
	s_mul_i32 s16, s6, 0x60
	v_cmp_gt_u32_e32 vcc, 48, v0
	v_lshlrev_b32_e32 v2, 2, v0
	s_and_saveexec_b64 s[0:1], vcc
	s_cbranch_execz .LBB84_4
; %bb.3:
	s_load_dwordx2 s[6:7], s[4:5], 0x8
	s_waitcnt lgkmcnt(0)
	s_mul_i32 s20, s12, s10
	s_ashr_i32 s21, s20, 31
	s_lshl_b64 s[20:21], s[20:21], 1
	v_and_b32_e32 v4, 0x3fc, v0
	s_add_u32 s12, s6, s20
	s_addc_u32 s15, s7, s21
	s_ashr_i32 s17, s16, 31
	s_lshl_b64 s[6:7], s[16:17], 1
	s_add_u32 s6, s12, s6
	s_addc_u32 s7, s15, s7
	global_load_dword v3, v2, s[6:7]
	v_mad_u32_u24 v4, v1, 48, v4
	s_waitcnt vmcnt(0)
	ds_write_b32 v4, v3
.LBB84_4:
	s_or_b64 exec, exec, s[0:1]
	s_waitcnt lgkmcnt(0)
	s_add_i32 s1, s33, 15
	s_ashr_i32 s6, s1, 31
	s_lshr_b32 s6, s6, 28
	s_add_i32 s1, s1, s6
	s_ashr_i32 s12, s1, 4
	s_xor_b32 s1, s2, s3
	s_mul_i32 s2, s19, s11
	s_sub_i32 s2, s18, s2
	s_add_i32 s3, s19, 1
	s_sub_i32 s6, s2, s11
	s_load_dwordx2 s[20:21], s[4:5], 0x28
	s_load_dword s0, s[4:5], 0x38
	s_cmp_ge_u32 s2, s11
	s_cselect_b32 s3, s3, s19
	s_cselect_b32 s2, s6, s2
	s_add_i32 s6, s3, 1
	s_cmp_ge_u32 s2, s11
	s_cselect_b32 s2, s6, s3
	v_lshrrev_b32_e32 v9, 6, v0
	s_xor_b32 s2, s2, s1
	s_waitcnt lgkmcnt(0)
	s_mul_i32 s22, s0, s10
	s_sub_i32 s15, s2, s1
	s_ashr_i32 s23, s22, 31
	v_cmp_gt_i32_e64 s[0:1], s12, v9
	v_cmp_le_i32_e32 vcc, s12, v9
	v_mbcnt_lo_u32_b32 v14, -1, 0
	s_barrier
                                        ; implicit-def: $vgpr4
                                        ; implicit-def: $vgpr6
                                        ; implicit-def: $vgpr5
	s_and_saveexec_b64 s[2:3], vcc
	s_xor_b64 s[2:3], exec, s[2:3]
; %bb.5:
	v_mbcnt_hi_u32_b32 v4, -1, v14
	v_and_b32_e32 v6, 64, v4
	v_add_u32_e32 v5, 64, v6
                                        ; implicit-def: $vgpr2
                                        ; implicit-def: $vgpr1
                                        ; implicit-def: $vgpr14
; %bb.6:
	s_or_saveexec_b64 s[6:7], s[2:3]
	s_load_dwordx2 s[18:19], s[4:5], 0x0
	s_load_dwordx2 s[24:25], s[4:5], 0x18
	s_load_dword s11, s[4:5], 0x88
	v_mov_b32_e32 v7, 0xff7fffff
	s_mul_i32 s14, s15, s14
	v_lshrrev_b32_e32 v3, 4, v0
	s_xor_b64 exec, exec, s[6:7]
	s_cbranch_execz .LBB84_12
; %bb.7:
	s_load_dwordx2 s[2:3], s[4:5], 0x10
	s_ashr_i32 s15, s14, 31
	s_lshl_b64 s[4:5], s[14:15], 1
	v_bfe_u32 v4, v0, 2, 4
	v_lshlrev_b32_e32 v5, 4, v4
	s_waitcnt lgkmcnt(0)
	s_add_u32 s2, s2, s4
	s_addc_u32 s3, s3, s5
	v_mov_b32_e32 v6, s3
	v_add_co_u32_e32 v5, vcc, s2, v5
	v_addc_co_u32_e32 v6, vcc, 0, v6, vcc
	v_and_b32_e32 v2, 12, v2
	v_add_co_u32_e32 v8, vcc, v5, v2
	v_addc_co_u32_e32 v10, vcc, 0, v6, vcc
	v_mul_u32_u24_e32 v11, 48, v1
	v_cmp_eq_u32_e32 vcc, 0, v1
	s_sub_i32 s15, 1, s33
	v_lshlrev_b32_e32 v1, 2, v4
	s_lshl_b64 s[4:5], s[22:23], 2
	v_lshl_or_b32 v1, v9, 6, v1
	s_add_u32 s4, s20, s4
	v_lshl_or_b32 v12, v9, 4, v4
	v_add_u32_e32 v13, 0xd0, v1
	v_and_b32_e32 v1, 60, v3
	s_addc_u32 s5, s21, s5
	v_mbcnt_hi_u32_b32 v4, -1, v14
	v_mov_b32_e32 v2, s5
	v_add_co_u32_e64 v1, s[4:5], s4, v1
	v_and_b32_e32 v6, 64, v4
	s_mov_b32 s17, s13
	v_cmp_neq_f32_e64 s[2:3], s26, 0
	v_addc_co_u32_e64 v2, s[4:5], 0, v2, s[4:5]
	v_mov_b32_e32 v7, 0xff7fffff
	s_mov_b64 s[28:29], 0
	v_add_u32_e32 v5, 64, v6
	v_xor_b32_e32 v14, 2, v4
	v_xor_b32_e32 v15, 1, v4
	v_mov_b32_e32 v16, v9
	s_branch .LBB84_9
.LBB84_8:                               ;   in Loop: Header=BB84_9 Depth=1
	s_or_b64 exec, exec, s[30:31]
	v_add_u32_e32 v16, 2, v16
	v_cmp_le_i32_e64 s[4:5], s12, v16
	s_or_b64 s[28:29], s[4:5], s[28:29]
	v_add_co_u32_e64 v1, s[4:5], 8, v1
	v_add_u32_e32 v12, 32, v12
	v_add_u32_e32 v13, 0x80, v13
	v_addc_co_u32_e64 v2, s[4:5], 0, v2, s[4:5]
	s_andn2_b64 exec, exec, s[28:29]
	s_cbranch_execz .LBB84_11
.LBB84_9:                               ; =>This Inner Loop Header: Depth=1
	global_load_dword v17, v[1:2], off
	s_waitcnt vmcnt(0) lgkmcnt(0)
	v_mad_i64_i32 v[17:18], s[4:5], v17, s17, 0
	v_lshlrev_b64 v[17:18], 1, v[17:18]
	v_add_co_u32_e64 v30, s[4:5], v8, v17
	v_addc_co_u32_e64 v31, s[4:5], v10, v18, s[4:5]
	global_load_dword v28, v[30:31], off
	global_load_dword v27, v[30:31], off offset:256
	global_load_dword v26, v[30:31], off offset:512
	;; [unrolled: 1-line block ×11, first 2 shown]
	ds_read_b32 v29, v11
	v_cmp_lt_i32_e64 s[4:5], v14, v5
	v_cndmask_b32_e64 v30, v4, v14, s[4:5]
	v_lshlrev_b32_e32 v30, 2, v30
	v_cmp_lt_i32_e64 s[4:5], v15, v5
	s_waitcnt lgkmcnt(0)
	v_lshrrev_b32_e32 v31, 16, v29
	v_and_b32_e32 v29, 0xffff, v29
	;;#ASMSTART
	v_cvt_f32_f16 v29, v29;
	;;#ASMEND
	;;#ASMSTART
	v_cvt_f32_f16 v31, v31;
	;;#ASMEND
	s_waitcnt vmcnt(11)
	v_lshrrev_b32_e32 v32, 16, v28
	v_and_b32_e32 v28, 0xffff, v28
	;;#ASMSTART
	v_cvt_f32_f16 v28, v28;
	;;#ASMEND
	;;#ASMSTART
	v_cvt_f32_f16 v32, v32;
	;;#ASMEND
	ds_read_b32 v33, v11 offset:4
	s_waitcnt vmcnt(10)
	v_and_b32_e32 v34, 0xffff, v27
	v_lshrrev_b32_e32 v35, 16, v27
	s_waitcnt vmcnt(9)
	v_and_b32_e32 v36, 0xffff, v26
	v_lshrrev_b32_e32 v37, 16, v26
	s_waitcnt lgkmcnt(0)
	v_lshrrev_b32_e32 v27, 16, v33
	v_and_b32_e32 v26, 0xffff, v33
	;;#ASMSTART
	v_cvt_f32_f16 v26, v26;
	;;#ASMEND
	;;#ASMSTART
	v_cvt_f32_f16 v27, v27;
	;;#ASMEND
	;; [unrolled: 3-line block ×4, first 2 shown]
	ds_read_b32 v35, v11 offset:8
	s_waitcnt vmcnt(8)
	v_and_b32_e32 v38, 0xffff, v25
	v_lshrrev_b32_e32 v39, 16, v25
	s_waitcnt vmcnt(7)
	v_and_b32_e32 v40, 0xffff, v24
	v_lshrrev_b32_e32 v41, 16, v24
	s_waitcnt lgkmcnt(0)
	v_lshrrev_b32_e32 v25, 16, v35
	v_and_b32_e32 v24, 0xffff, v35
	;;#ASMSTART
	v_cvt_f32_f16 v24, v24;
	;;#ASMEND
	;;#ASMSTART
	v_cvt_f32_f16 v25, v25;
	;;#ASMEND
	;; [unrolled: 3-line block ×4, first 2 shown]
	ds_read_b32 v37, v11 offset:12
	s_waitcnt vmcnt(6)
	v_and_b32_e32 v42, 0xffff, v23
	v_lshrrev_b32_e32 v43, 16, v23
	s_waitcnt vmcnt(5)
	v_lshrrev_b32_e32 v44, 16, v22
	v_and_b32_e32 v45, 0xffff, v22
	s_waitcnt lgkmcnt(0)
	v_lshrrev_b32_e32 v23, 16, v37
	v_and_b32_e32 v22, 0xffff, v37
	;;#ASMSTART
	v_cvt_f32_f16 v22, v22;
	;;#ASMEND
	;;#ASMSTART
	v_cvt_f32_f16 v23, v23;
	;;#ASMEND
	;; [unrolled: 3-line block ×4, first 2 shown]
	ds_read_b32 v39, v11 offset:16
	s_waitcnt vmcnt(4)
	v_lshrrev_b32_e32 v46, 16, v21
	v_and_b32_e32 v47, 0xffff, v21
	s_waitcnt vmcnt(3)
	v_lshrrev_b32_e32 v48, 16, v20
	v_and_b32_e32 v49, 0xffff, v20
	s_waitcnt lgkmcnt(0)
	v_lshrrev_b32_e32 v21, 16, v39
	v_and_b32_e32 v20, 0xffff, v39
	;;#ASMSTART
	v_cvt_f32_f16 v20, v20;
	;;#ASMEND
	;;#ASMSTART
	v_cvt_f32_f16 v21, v21;
	;;#ASMEND
	;; [unrolled: 3-line block ×4, first 2 shown]
	ds_read_b32 v41, v11 offset:20
	s_waitcnt vmcnt(2)
	v_lshrrev_b32_e32 v50, 16, v19
	v_and_b32_e32 v51, 0xffff, v19
	v_mul_f32_e32 v19, v26, v33
	v_mul_f32_e32 v26, v27, v34
	s_waitcnt lgkmcnt(0)
	v_lshrrev_b32_e32 v33, 16, v41
	v_and_b32_e32 v27, 0xffff, v41
	;;#ASMSTART
	v_cvt_f32_f16 v27, v27;
	;;#ASMEND
	;;#ASMSTART
	v_cvt_f32_f16 v33, v33;
	;;#ASMEND
	;; [unrolled: 3-line block ×4, first 2 shown]
	ds_read_b32 v42, v11 offset:24
	s_waitcnt vmcnt(1)
	v_lshrrev_b32_e32 v43, 16, v18
	v_and_b32_e32 v52, 0xffff, v18
	v_fmac_f32_e32 v19, v29, v28
	v_fmac_f32_e32 v26, v31, v32
	s_waitcnt lgkmcnt(0)
	v_lshrrev_b32_e32 v28, 16, v42
	v_and_b32_e32 v18, 0xffff, v42
	;;#ASMSTART
	v_cvt_f32_f16 v18, v18;
	;;#ASMEND
	;;#ASMSTART
	v_cvt_f32_f16 v28, v28;
	;;#ASMEND
	;; [unrolled: 3-line block ×4, first 2 shown]
	ds_read_b32 v32, v11 offset:28
	s_waitcnt vmcnt(0)
	v_lshrrev_b32_e32 v42, 16, v17
	v_and_b32_e32 v44, 0xffff, v17
	v_fmac_f32_e32 v19, v24, v35
	v_fmac_f32_e32 v26, v25, v36
	s_waitcnt lgkmcnt(0)
	v_lshrrev_b32_e32 v24, 16, v32
	v_and_b32_e32 v17, 0xffff, v32
	;;#ASMSTART
	v_cvt_f32_f16 v17, v17;
	;;#ASMEND
	;;#ASMSTART
	v_cvt_f32_f16 v24, v24;
	;;#ASMEND
	;;#ASMSTART
	v_cvt_f32_f16 v25, v47;
	;;#ASMEND
	;;#ASMSTART
	v_cvt_f32_f16 v32, v46;
	;;#ASMEND
	ds_read_b32 v35, v11 offset:32
	v_fmac_f32_e32 v19, v22, v37
	v_fmac_f32_e32 v26, v23, v38
	v_fmac_f32_e32 v19, v20, v39
	v_fmac_f32_e32 v26, v21, v40
	s_waitcnt lgkmcnt(0)
	v_lshrrev_b32_e32 v21, 16, v35
	v_and_b32_e32 v20, 0xffff, v35
	;;#ASMSTART
	v_cvt_f32_f16 v20, v20;
	;;#ASMEND
	;;#ASMSTART
	v_cvt_f32_f16 v21, v21;
	;;#ASMEND
	;;#ASMSTART
	v_cvt_f32_f16 v22, v49;
	;;#ASMEND
	;;#ASMSTART
	v_cvt_f32_f16 v23, v48;
	;;#ASMEND
	ds_read_b32 v35, v11 offset:36
	v_fmac_f32_e32 v19, v27, v34
	v_fmac_f32_e32 v26, v33, v41
	;; [unrolled: 20-line block ×4, first 2 shown]
	v_fmac_f32_e32 v19, v17, v21
	v_fmac_f32_e32 v26, v20, v22
	s_waitcnt lgkmcnt(0)
	v_lshrrev_b32_e32 v18, 16, v23
	v_and_b32_e32 v17, 0xffff, v23
	;;#ASMSTART
	v_cvt_f32_f16 v17, v17;
	;;#ASMEND
	;;#ASMSTART
	v_cvt_f32_f16 v18, v18;
	;;#ASMEND
	;; [unrolled: 3-line block ×4, first 2 shown]
	v_fmac_f32_e32 v19, v17, v20
	v_fmac_f32_e32 v26, v18, v21
	v_add_f32_e32 v17, v19, v26
	ds_bpermute_b32 v18, v30, v17
	v_cndmask_b32_e64 v19, v4, v15, s[4:5]
	s_waitcnt lgkmcnt(0)
	v_add_f32_e32 v17, v17, v18
	v_lshlrev_b32_e32 v18, 2, v19
	ds_bpermute_b32 v18, v18, v17
	s_and_saveexec_b64 s[30:31], vcc
	s_cbranch_execz .LBB84_8
; %bb.10:                               ;   in Loop: Header=BB84_9 Depth=1
	v_add_u32_e32 v19, s15, v12
	v_cvt_f32_i32_e32 v19, v19
	s_waitcnt lgkmcnt(0)
	v_add_f32_e32 v17, v17, v18
	v_cmp_gt_i32_e64 s[4:5], s33, v12
	v_max_f32_e32 v18, v7, v7
	v_mul_f32_e32 v19, s26, v19
	v_cndmask_b32_e64 v19, 0, v19, s[2:3]
	v_fmac_f32_e32 v19, s27, v17
	v_cndmask_b32_e64 v17, 0, v19, s[4:5]
	ds_write_b32 v13, v17
	v_max_f32_e32 v17, v18, v19
	v_cndmask_b32_e64 v7, v7, v17, s[4:5]
	s_branch .LBB84_8
.LBB84_11:
	s_or_b64 exec, exec, s[28:29]
.LBB84_12:
	s_or_b64 exec, exec, s[6:7]
	v_xor_b32_e32 v1, 32, v4
	v_cmp_lt_i32_e32 vcc, v1, v5
	v_cndmask_b32_e32 v1, v4, v1, vcc
	v_lshlrev_b32_e32 v1, 2, v1
	ds_bpermute_b32 v2, v1, v7
	v_xor_b32_e32 v8, 16, v4
	v_max_f32_e32 v7, v7, v7
	v_cmp_lt_i32_e32 vcc, v8, v5
	v_xor_b32_e32 v10, 8, v4
	s_waitcnt lgkmcnt(0)
	v_max_f32_e32 v2, v2, v2
	v_max_f32_e32 v7, v7, v2
	v_cndmask_b32_e32 v2, v4, v8, vcc
	v_lshlrev_b32_e32 v2, 2, v2
	ds_bpermute_b32 v8, v2, v7
	v_cmp_lt_i32_e32 vcc, v10, v5
	s_waitcnt lgkmcnt(0)
	v_max_f32_e32 v8, v8, v8
	v_max_f32_e32 v7, v7, v8
	v_cndmask_b32_e32 v8, v4, v10, vcc
	v_lshlrev_b32_e32 v12, 2, v8
	ds_bpermute_b32 v8, v12, v7
	v_xor_b32_e32 v10, 4, v4
	v_cmp_lt_i32_e32 vcc, v10, v5
	s_waitcnt lgkmcnt(0)
	v_max_f32_e32 v8, v8, v8
	v_max_f32_e32 v8, v7, v8
	v_cndmask_b32_e32 v7, v4, v10, vcc
	v_lshlrev_b32_e32 v13, 2, v7
	ds_bpermute_b32 v11, v13, v8
	v_and_b32_e32 v10, 63, v0
	v_cmp_eq_u32_e32 vcc, 0, v10
	v_lshlrev_b32_e32 v7, 2, v9
	s_and_saveexec_b64 s[2:3], vcc
	s_cbranch_execz .LBB84_14
; %bb.13:
	s_waitcnt lgkmcnt(0)
	v_max_f32_e32 v11, v11, v11
	v_max_f32_e32 v8, v8, v8
	;; [unrolled: 1-line block ×3, first 2 shown]
	ds_write_b32 v7, v8 offset:192
.LBB84_14:
	s_or_b64 exec, exec, s[2:3]
	v_cmp_gt_u32_e64 s[2:3], 2, v10
	v_mov_b32_e32 v14, 0xff7fffff
	v_lshlrev_b32_e32 v8, 2, v10
	s_waitcnt lgkmcnt(0)
	s_barrier
	s_and_saveexec_b64 s[4:5], s[2:3]
; %bb.15:
	ds_read_b32 v14, v8 offset:192
; %bb.16:
	s_or_b64 exec, exec, s[4:5]
	v_xor_b32_e32 v11, 1, v4
	v_cmp_lt_i32_e64 s[4:5], v11, v5
	v_cndmask_b32_e64 v11, v4, v11, s[4:5]
	v_lshlrev_b32_e32 v11, 2, v11
	s_waitcnt lgkmcnt(0)
	ds_bpermute_b32 v15, v11, v14
	v_max_f32_e32 v14, v14, v14
	v_lshlrev_b32_e32 v6, 2, v6
	s_lshl_b32 s4, s12, 4
	s_min_i32 s15, s4, s33
	s_waitcnt lgkmcnt(0)
	v_max_f32_e32 v15, v15, v15
	v_max_f32_e32 v14, v14, v15
	ds_bpermute_b32 v14, v6, v14
	v_cmp_gt_i32_e64 s[4:5], s15, v0
	v_mov_b32_e32 v6, 0
	s_and_saveexec_b64 s[26:27], s[4:5]
	s_cbranch_execz .LBB84_20
; %bb.17:
	v_mov_b32_e32 v6, 0xd0
	v_lshl_add_u32 v15, v0, 2, v6
	v_mov_b32_e32 v6, 0
	s_mov_b64 s[28:29], 0
	v_mov_b32_e32 v16, v0
.LBB84_18:                              ; =>This Inner Loop Header: Depth=1
	ds_read_b32 v17, v15
	v_add_u32_e32 v16, 0x80, v16
	v_cmp_le_i32_e64 s[6:7], s15, v16
	s_or_b64 s[28:29], s[6:7], s[28:29]
	s_waitcnt lgkmcnt(0)
	v_sub_f32_e32 v17, v17, v14
	v_mul_f32_e32 v17, 0x3fb8aa3b, v17
	v_exp_f32_e32 v17, v17
	ds_write_b32 v15, v17
	v_add_f32_e32 v6, v6, v17
	v_add_u32_e32 v15, 0x200, v15
	s_andn2_b64 exec, exec, s[28:29]
	s_cbranch_execnz .LBB84_18
; %bb.19:
	s_or_b64 exec, exec, s[28:29]
.LBB84_20:
	s_or_b64 exec, exec, s[26:27]
	ds_bpermute_b32 v1, v1, v6
	s_waitcnt lgkmcnt(0)
	v_add_f32_e32 v1, v6, v1
	ds_bpermute_b32 v2, v2, v1
	v_xor_b32_e32 v6, 2, v4
	v_cmp_lt_i32_e64 s[6:7], v6, v5
	v_cndmask_b32_e64 v5, v4, v6, s[6:7]
	s_waitcnt lgkmcnt(0)
	v_add_f32_e32 v1, v1, v2
	ds_bpermute_b32 v2, v12, v1
	s_waitcnt lgkmcnt(0)
	v_add_f32_e32 v1, v1, v2
	ds_bpermute_b32 v2, v13, v1
	s_waitcnt lgkmcnt(0)
	v_add_f32_e32 v1, v1, v2
	v_lshlrev_b32_e32 v2, 2, v5
	ds_bpermute_b32 v2, v2, v1
	s_waitcnt lgkmcnt(0)
	v_add_f32_e32 v1, v1, v2
	ds_bpermute_b32 v2, v11, v1
	s_waitcnt lgkmcnt(0)
	v_add_f32_e32 v1, v1, v2
	s_and_saveexec_b64 s[6:7], vcc
; %bb.21:
	ds_write_b32 v7, v1 offset:200
; %bb.22:
	s_or_b64 exec, exec, s[6:7]
	s_waitcnt lgkmcnt(0)
	s_barrier
	s_and_saveexec_b64 s[6:7], s[2:3]
; %bb.23:
	ds_read_b32 v1, v8 offset:200
; %bb.24:
	s_or_b64 exec, exec, s[6:7]
	s_waitcnt lgkmcnt(0)
	ds_bpermute_b32 v2, v11, v1
	v_lshlrev_b32_e32 v4, 2, v4
	s_waitcnt lgkmcnt(0)
	v_add_f32_e32 v1, v1, v2
	v_and_b32_e32 v2, 0xffffff00, v4
	ds_bpermute_b32 v1, v2, v1
	s_and_saveexec_b64 s[2:3], s[4:5]
	s_cbranch_execz .LBB84_27
; %bb.25:
	s_waitcnt lgkmcnt(0)
	v_add_f32_e32 v2, 0x358637bd, v1
	v_div_scale_f32 v1, s[4:5], v2, v2, 1.0
	v_div_scale_f32 v4, vcc, 1.0, v2, 1.0
	s_mov_b64 s[4:5], 0
	v_rcp_f32_e32 v5, v1
	v_fma_f32 v6, -v1, v5, 1.0
	v_fmac_f32_e32 v5, v6, v5
	v_mul_f32_e32 v6, v4, v5
	v_fma_f32 v7, -v1, v6, v4
	v_fmac_f32_e32 v6, v7, v5
	v_fma_f32 v1, -v1, v6, v4
	v_div_fmas_f32 v4, v1, v5, v6
	v_mov_b32_e32 v1, 0xd0
	v_lshl_add_u32 v1, v0, 2, v1
	v_div_fixup_f32 v2, v4, v2, 1.0
	v_mov_b32_e32 v4, v0
.LBB84_26:                              ; =>This Inner Loop Header: Depth=1
	ds_read_b32 v5, v1
	v_add_u32_e32 v4, 0x80, v4
	v_cmp_le_i32_e32 vcc, s15, v4
	s_or_b64 s[4:5], vcc, s[4:5]
	s_waitcnt lgkmcnt(0)
	v_mul_f32_e32 v5, v2, v5
	ds_write_b32 v1, v5
	v_add_u32_e32 v1, 0x200, v1
	s_andn2_b64 exec, exec, s[4:5]
	s_cbranch_execnz .LBB84_26
.LBB84_27:
	s_or_b64 exec, exec, s[2:3]
	v_mov_b32_e32 v14, 0
	v_and_b32_e32 v12, 1, v0
	v_mov_b32_e32 v16, 0
	v_mov_b32_e32 v15, 0
	s_waitcnt lgkmcnt(0)
	s_barrier
	s_and_saveexec_b64 s[2:3], s[0:1]
	s_cbranch_execz .LBB84_37
; %bb.28:
	s_ashr_i32 s15, s14, 31
	s_lshl_b64 s[0:1], s[14:15], 1
	v_lshlrev_b32_e32 v2, 4, v0
	v_lshlrev_b32_e32 v1, 3, v0
	s_add_u32 s0, s24, s0
	v_and_b32_e32 v2, 0x3f0, v2
	v_and_b32_e32 v1, 8, v1
	s_addc_u32 s1, s25, s1
	v_add_co_u32_e32 v17, vcc, s0, v2
	v_lshlrev_b32_e32 v2, 4, v9
	s_add_i32 s14, s12, -1
	v_mov_b32_e32 v4, s1
	v_or3_b32 v19, v2, v1, 7
	v_lshlrev_b32_e32 v1, 5, v12
	s_lshl_b64 s[0:1], s[22:23], 2
	v_lshl_or_b32 v1, v9, 6, v1
	s_add_u32 s0, s20, s0
	v_addc_co_u32_e32 v18, vcc, 0, v4, vcc
	v_add_u32_e32 v20, 0xd0, v1
	v_and_b32_e32 v1, 60, v3
	s_addc_u32 s1, s21, s1
	v_mov_b32_e32 v2, s1
	v_add_co_u32_e32 v5, vcc, s0, v1
	v_mov_b32_e32 v13, 0
	v_addc_co_u32_e32 v6, vcc, 0, v2, vcc
	s_mov_b64 s[4:5], 0
	s_mov_b32 s15, 0xffff
	v_mov_b32_e32 v15, 0
	v_mov_b32_e32 v16, 0
	;; [unrolled: 1-line block ×3, first 2 shown]
	s_branch .LBB84_30
.LBB84_29:                              ;   in Loop: Header=BB84_30 Depth=1
	s_or_b64 exec, exec, s[6:7]
	v_add_f32_e32 v21, v34, v35
	v_add_f32_e32 v16, v16, v21
	v_add_f32_e32 v21, v32, v33
	v_add_f32_e32 v14, v14, v21
	v_lshlrev_b32_e32 v21, 16, v36
	v_and_or_b32 v1, v1, s15, v21
	v_lshlrev_b32_e32 v8, 16, v8
	v_lshlrev_b32_e32 v7, 16, v7
	v_and_or_b32 v2, v2, s15, v8
	v_and_or_b32 v3, v3, s15, v7
	;;#ASMSTART
	v_pk_mul_f16 v1, v28, v1;

	;;#ASMEND
	;;#ASMSTART
	v_pk_mul_f16 v2, v29, v2;

	;;#ASMEND
	;; [unrolled: 4-line block ×4, first 2 shown]
	;;#ASMSTART
	v_pk_add_f16 v1, v1, v2;

	;;#ASMEND
	;;#ASMSTART
	v_pk_add_f16 v1, v1, v3;

	;;#ASMEND
	;; [unrolled: 4-line block ×3, first 2 shown]
	v_lshrrev_b32_e32 v2, 16, v1
	v_and_b32_e32 v1, 0xffff, v1
	v_add_u32_e32 v9, 2, v9
	;;#ASMSTART
	v_cvt_f32_f16 v1, v1;
	;;#ASMEND
	v_cmp_le_i32_e32 vcc, s12, v9
	;;#ASMSTART
	v_cvt_f32_f16 v2, v2;
	;;#ASMEND
	v_add_f32_e32 v1, v1, v2
	s_or_b64 s[4:5], vcc, s[4:5]
	v_add_co_u32_e32 v5, vcc, 8, v5
	v_add_f32_e32 v15, v15, v1
	v_add_u32_e32 v19, 32, v19
	v_add_u32_e32 v20, 0x80, v20
	v_addc_co_u32_e32 v6, vcc, 0, v6, vcc
	s_andn2_b64 exec, exec, s[4:5]
	s_cbranch_execz .LBB84_36
.LBB84_30:                              ; =>This Inner Loop Header: Depth=1
	global_load_dword v7, v[5:6], off
	ds_read2_b64 v[1:4], v20 offset1:1
	ds_read2_b64 v[21:24], v20 offset0:2 offset1:3
	v_add_u32_e32 v27, -6, v19
	v_add_u32_e32 v26, -5, v19
	s_waitcnt lgkmcnt(1)
	;;#ASMSTART
	v_cvt_f16_f32 v28, v1;

	;;#ASMEND
	;;#ASMSTART
	v_cvt_f16_f32 v29, v2;

	;;#ASMEND
	;; [unrolled: 4-line block ×4, first 2 shown]
	s_waitcnt lgkmcnt(0)
	;;#ASMSTART
	v_cvt_f16_f32 v32, v21;

	;;#ASMEND
	;;#ASMSTART
	v_cvt_f16_f32 v33, v22;

	;;#ASMEND
	;; [unrolled: 4-line block ×4, first 2 shown]
	v_add_u32_e32 v21, -7, v19
	v_add_u32_e32 v24, -4, v19
	;; [unrolled: 1-line block ×5, first 2 shown]
	s_waitcnt vmcnt(0)
	v_mad_i64_i32 v[1:2], s[0:1], v7, s13, 0
	v_cmp_eq_u32_e64 s[0:1], s14, v9
	v_lshlrev_b64 v[1:2], 1, v[1:2]
	v_add_co_u32_e32 v7, vcc, v17, v1
	v_addc_co_u32_e32 v8, vcc, v18, v2, vcc
	global_load_dwordx4 v[1:4], v[7:8], off
	s_waitcnt vmcnt(0)
	v_lshrrev_b32_e32 v38, 16, v1
	v_lshrrev_b32_e32 v37, 16, v2
	;; [unrolled: 1-line block ×3, first 2 shown]
	s_and_saveexec_b64 s[6:7], s[0:1]
	s_cbranch_execz .LBB84_32
; %bb.31:                               ;   in Loop: Header=BB84_30 Depth=1
	v_cmp_gt_i32_e32 vcc, s33, v21
	v_cndmask_b32_e32 v1, 0, v1, vcc
	v_cmp_gt_i32_e32 vcc, s33, v27
	v_cndmask_b32_e32 v38, 0, v38, vcc
	v_cmp_gt_i32_e32 vcc, s33, v26
	v_cndmask_b32_e32 v2, 0, v2, vcc
	v_cmp_gt_i32_e32 vcc, s33, v24
	v_cndmask_b32_e32 v37, 0, v37, vcc
	v_cmp_gt_i32_e32 vcc, s33, v23
	v_cndmask_b32_e32 v3, 0, v3, vcc
	v_cmp_gt_i32_e32 vcc, s33, v22
	v_cndmask_b32_e32 v36, 0, v36, vcc
	v_cmp_gt_i32_e32 vcc, s33, v25
	v_cndmask_b32_sdwa v39, v13, v4, vcc dst_sel:DWORD dst_unused:UNUSED_PAD src0_sel:DWORD src1_sel:WORD_0
	v_and_b32_e32 v4, 0xffff0000, v4
	v_cmp_gt_i32_e32 vcc, s33, v19
	v_cndmask_b32_e32 v4, 0, v4, vcc
	v_or_b32_e32 v4, v39, v4
.LBB84_32:                              ;   in Loop: Header=BB84_30 Depth=1
	s_or_b64 exec, exec, s[6:7]
	v_and_b32_e32 v28, 0xffff, v28
	v_lshl_or_b32 v28, v29, 16, v28
	v_and_b32_e32 v29, 0xffff, v30
	v_and_b32_e32 v30, 0xffff, v32
	v_lshlrev_b32_e32 v32, 16, v38
	v_and_or_b32 v1, v1, s15, v32
	v_lshlrev_b32_e32 v32, 16, v37
	v_and_or_b32 v2, v2, s15, v32
	v_lshlrev_b32_e32 v32, 16, v36
	v_lshl_or_b32 v29, v31, 16, v29
	v_and_b32_e32 v31, 0xffff, v34
	v_and_or_b32 v3, v3, s15, v32
	;;#ASMSTART
	v_pk_mul_f16 v1, v28, v1;

	;;#ASMEND
	v_lshl_or_b32 v30, v33, 16, v30
	v_lshl_or_b32 v31, v35, 16, v31
	;;#ASMSTART
	v_pk_mul_f16 v2, v29, v2;

	;;#ASMEND
	;;#ASMSTART
	v_pk_mul_f16 v3, v30, v3;

	;;#ASMEND
	;; [unrolled: 4-line block ×3, first 2 shown]
	;;#ASMSTART
	v_pk_add_f16 v1, v1, v2;

	;;#ASMEND
	;;#ASMSTART
	v_pk_add_f16 v1, v1, v3;

	;;#ASMEND
	;; [unrolled: 4-line block ×3, first 2 shown]
	v_lshrrev_b32_e32 v2, 16, v1
	v_and_b32_e32 v1, 0xffff, v1
	;;#ASMSTART
	v_cvt_f32_f16 v32, v1;
	;;#ASMEND
	;;#ASMSTART
	v_cvt_f32_f16 v33, v2;
	;;#ASMEND
	global_load_dwordx4 v[1:4], v[7:8], off offset:1024
	s_waitcnt vmcnt(0)
	v_lshrrev_b32_e32 v36, 16, v1
	v_lshrrev_b32_e32 v35, 16, v2
	;; [unrolled: 1-line block ×3, first 2 shown]
	s_and_saveexec_b64 s[6:7], s[0:1]
	s_cbranch_execz .LBB84_34
; %bb.33:                               ;   in Loop: Header=BB84_30 Depth=1
	v_cmp_gt_i32_e32 vcc, s33, v21
	v_cndmask_b32_e32 v1, 0, v1, vcc
	v_cmp_gt_i32_e32 vcc, s33, v27
	v_cndmask_b32_e32 v36, 0, v36, vcc
	;; [unrolled: 2-line block ×6, first 2 shown]
	v_cmp_gt_i32_e32 vcc, s33, v25
	v_cndmask_b32_sdwa v37, v13, v4, vcc dst_sel:DWORD dst_unused:UNUSED_PAD src0_sel:DWORD src1_sel:WORD_0
	v_and_b32_e32 v4, 0xffff0000, v4
	v_cmp_gt_i32_e32 vcc, s33, v19
	v_cndmask_b32_e32 v4, 0, v4, vcc
	v_or_b32_e32 v4, v37, v4
.LBB84_34:                              ;   in Loop: Header=BB84_30 Depth=1
	s_or_b64 exec, exec, s[6:7]
	v_lshlrev_b32_e32 v36, 16, v36
	v_and_or_b32 v1, v1, s15, v36
	v_lshlrev_b32_e32 v35, 16, v35
	v_lshlrev_b32_e32 v34, 16, v34
	v_and_or_b32 v2, v2, s15, v35
	v_and_or_b32 v3, v3, s15, v34
	;;#ASMSTART
	v_pk_mul_f16 v1, v28, v1;

	;;#ASMEND
	;;#ASMSTART
	v_pk_mul_f16 v2, v29, v2;

	;;#ASMEND
	;; [unrolled: 4-line block ×4, first 2 shown]
	;;#ASMSTART
	v_pk_add_f16 v1, v1, v2;

	;;#ASMEND
	;;#ASMSTART
	v_pk_add_f16 v1, v1, v3;

	;;#ASMEND
	;; [unrolled: 4-line block ×3, first 2 shown]
	v_lshrrev_b32_e32 v2, 16, v1
	v_and_b32_e32 v1, 0xffff, v1
	;;#ASMSTART
	v_cvt_f32_f16 v34, v1;
	;;#ASMEND
	;;#ASMSTART
	v_cvt_f32_f16 v35, v2;
	;;#ASMEND
	global_load_dwordx4 v[1:4], v[7:8], off offset:2048
	s_waitcnt vmcnt(0)
	v_lshrrev_b32_e32 v36, 16, v1
	v_lshrrev_b32_e32 v8, 16, v2
	;; [unrolled: 1-line block ×3, first 2 shown]
	s_and_saveexec_b64 s[6:7], s[0:1]
	s_cbranch_execz .LBB84_29
; %bb.35:                               ;   in Loop: Header=BB84_30 Depth=1
	v_cmp_gt_i32_e32 vcc, s33, v21
	v_cndmask_b32_e32 v1, 0, v1, vcc
	v_cmp_gt_i32_e32 vcc, s33, v27
	v_cndmask_b32_e32 v36, 0, v36, vcc
	;; [unrolled: 2-line block ×6, first 2 shown]
	v_cmp_gt_i32_e32 vcc, s33, v25
	v_cndmask_b32_sdwa v21, v13, v4, vcc dst_sel:DWORD dst_unused:UNUSED_PAD src0_sel:DWORD src1_sel:WORD_0
	v_and_b32_e32 v4, 0xffff0000, v4
	v_cmp_gt_i32_e32 vcc, s33, v19
	v_cndmask_b32_e32 v4, 0, v4, vcc
	v_or_b32_e32 v4, v21, v4
	s_branch .LBB84_29
.LBB84_36:
	s_or_b64 exec, exec, s[4:5]
.LBB84_37:
	s_or_b64 exec, exec, s[2:3]
	ds_bpermute_b32 v1, v11, v14
	ds_bpermute_b32 v4, v11, v15
	;; [unrolled: 1-line block ×3, first 2 shown]
	s_waitcnt lgkmcnt(0)
	s_barrier
	v_add_f32_e32 v3, v14, v1
	v_add_f32_e32 v1, v15, v4
	v_and_b32_e32 v4, 0x3c1, v0
	v_add_f32_e32 v2, v16, v2
	v_cmp_eq_u32_e32 vcc, 64, v4
	s_and_saveexec_b64 s[0:1], vcc
	s_cbranch_execz .LBB84_39
; %bb.38:
	v_mov_b32_e32 v5, 0xd0
	v_lshl_add_u32 v5, v10, 1, v5
	ds_write2_b32 v5, v3, v2 offset1:32
	ds_write_b32 v5, v1 offset:256
.LBB84_39:
	s_or_b64 exec, exec, s[0:1]
	v_cmp_gt_u32_e32 vcc, 64, v0
	v_lshrrev_b32_e32 v0, 1, v0
	s_waitcnt lgkmcnt(0)
	s_barrier
	s_and_saveexec_b64 s[0:1], vcc
	s_cbranch_execz .LBB84_45
; %bb.40:
	v_mov_b32_e32 v5, 0xd0
	v_cmp_eq_u32_e32 vcc, 0, v12
	v_lshl_add_u32 v5, v0, 2, v5
	s_and_saveexec_b64 s[2:3], vcc
	s_cbranch_execnz .LBB84_48
; %bb.41:
	s_or_b64 exec, exec, s[2:3]
	s_and_saveexec_b64 s[2:3], vcc
	s_cbranch_execnz .LBB84_49
.LBB84_42:
	s_or_b64 exec, exec, s[2:3]
	s_and_saveexec_b64 s[2:3], vcc
	s_cbranch_execz .LBB84_44
.LBB84_43:
	ds_read_b32 v5, v5 offset:256
	s_waitcnt lgkmcnt(0)
	v_add_f32_e32 v1, v1, v5
.LBB84_44:
	s_or_b64 exec, exec, s[2:3]
.LBB84_45:
	s_or_b64 exec, exec, s[0:1]
	v_cmp_eq_u32_e32 vcc, 0, v4
	s_barrier
	s_and_saveexec_b64 s[0:1], vcc
	s_cbranch_execz .LBB84_47
; %bb.46:
	s_mul_i32 s0, s10, s11
	s_mul_i32 s0, s0, s9
	s_mulk_i32 s0, 0x60
	s_ashr_i32 s1, s0, 31
	s_lshl_b64 s[0:1], s[0:1], 1
	s_add_u32 s2, s18, s0
	s_mul_i32 s0, s11, s16
	s_addc_u32 s3, s19, s1
	s_ashr_i32 s1, s0, 31
	s_lshl_b64 s[0:1], s[0:1], 1
	s_add_u32 s2, s2, s0
	s_mul_i32 s0, s8, 0x60
	s_addc_u32 s3, s3, s1
	s_ashr_i32 s1, s0, 31
	s_lshl_b64 s[0:1], s[0:1], 1
	s_add_u32 s0, s2, s0
	s_addc_u32 s1, s3, s1
	v_lshlrev_b32_e32 v0, 1, v0
	;;#ASMSTART
	v_cvt_f16_f32 v3, v3;

	;;#ASMEND
	global_store_short v0, v3, s[0:1]
	;;#ASMSTART
	v_cvt_f16_f32 v2, v2;

	;;#ASMEND
	global_store_short v0, v2, s[0:1] offset:64
	;;#ASMSTART
	v_cvt_f16_f32 v1, v1;

	;;#ASMEND
	global_store_short v0, v1, s[0:1] offset:128
.LBB84_47:
	s_endpgm
.LBB84_48:
	ds_read_b32 v6, v5
	s_waitcnt lgkmcnt(0)
	v_add_f32_e32 v3, v3, v6
	s_or_b64 exec, exec, s[2:3]
	s_and_saveexec_b64 s[2:3], vcc
	s_cbranch_execz .LBB84_42
.LBB84_49:
	ds_read_b32 v6, v5 offset:128
	s_waitcnt lgkmcnt(0)
	v_add_f32_e32 v2, v2, v6
	s_or_b64 exec, exec, s[2:3]
	s_and_saveexec_b64 s[2:3], vcc
	s_cbranch_execnz .LBB84_43
	s_branch .LBB84_44
	.section	.rodata,"a",@progbits
	.p2align	6, 0x0
	.amdhsa_kernel _ZN4vllm25paged_attention_v1_kernelIttLi96ELi16ELi128ELNS_18Fp8KVCacheDataTypeE0ELb0EEEvPT_PKS2_PKT0_S8_ifPKiSA_iPKfiiiSC_SC_iiiii
		.amdhsa_group_segment_fixed_size 208
		.amdhsa_private_segment_fixed_size 0
		.amdhsa_kernarg_size 384
		.amdhsa_user_sgpr_count 6
		.amdhsa_user_sgpr_private_segment_buffer 1
		.amdhsa_user_sgpr_dispatch_ptr 0
		.amdhsa_user_sgpr_queue_ptr 0
		.amdhsa_user_sgpr_kernarg_segment_ptr 1
		.amdhsa_user_sgpr_dispatch_id 0
		.amdhsa_user_sgpr_flat_scratch_init 0
		.amdhsa_user_sgpr_private_segment_size 0
		.amdhsa_uses_dynamic_stack 0
		.amdhsa_system_sgpr_private_segment_wavefront_offset 0
		.amdhsa_system_sgpr_workgroup_id_x 1
		.amdhsa_system_sgpr_workgroup_id_y 1
		.amdhsa_system_sgpr_workgroup_id_z 1
		.amdhsa_system_sgpr_workgroup_info 0
		.amdhsa_system_vgpr_workitem_id 0
		.amdhsa_next_free_vgpr 53
		.amdhsa_next_free_sgpr 34
		.amdhsa_reserve_vcc 1
		.amdhsa_reserve_flat_scratch 0
		.amdhsa_float_round_mode_32 0
		.amdhsa_float_round_mode_16_64 0
		.amdhsa_float_denorm_mode_32 3
		.amdhsa_float_denorm_mode_16_64 3
		.amdhsa_dx10_clamp 1
		.amdhsa_ieee_mode 1
		.amdhsa_fp16_overflow 0
		.amdhsa_exception_fp_ieee_invalid_op 0
		.amdhsa_exception_fp_denorm_src 0
		.amdhsa_exception_fp_ieee_div_zero 0
		.amdhsa_exception_fp_ieee_overflow 0
		.amdhsa_exception_fp_ieee_underflow 0
		.amdhsa_exception_fp_ieee_inexact 0
		.amdhsa_exception_int_div_zero 0
	.end_amdhsa_kernel
	.section	.text._ZN4vllm25paged_attention_v1_kernelIttLi96ELi16ELi128ELNS_18Fp8KVCacheDataTypeE0ELb0EEEvPT_PKS2_PKT0_S8_ifPKiSA_iPKfiiiSC_SC_iiiii,"axG",@progbits,_ZN4vllm25paged_attention_v1_kernelIttLi96ELi16ELi128ELNS_18Fp8KVCacheDataTypeE0ELb0EEEvPT_PKS2_PKT0_S8_ifPKiSA_iPKfiiiSC_SC_iiiii,comdat
.Lfunc_end84:
	.size	_ZN4vllm25paged_attention_v1_kernelIttLi96ELi16ELi128ELNS_18Fp8KVCacheDataTypeE0ELb0EEEvPT_PKS2_PKT0_S8_ifPKiSA_iPKfiiiSC_SC_iiiii, .Lfunc_end84-_ZN4vllm25paged_attention_v1_kernelIttLi96ELi16ELi128ELNS_18Fp8KVCacheDataTypeE0ELb0EEEvPT_PKS2_PKT0_S8_ifPKiSA_iPKfiiiSC_SC_iiiii
                                        ; -- End function
	.set _ZN4vllm25paged_attention_v1_kernelIttLi96ELi16ELi128ELNS_18Fp8KVCacheDataTypeE0ELb0EEEvPT_PKS2_PKT0_S8_ifPKiSA_iPKfiiiSC_SC_iiiii.num_vgpr, 53
	.set _ZN4vllm25paged_attention_v1_kernelIttLi96ELi16ELi128ELNS_18Fp8KVCacheDataTypeE0ELb0EEEvPT_PKS2_PKT0_S8_ifPKiSA_iPKfiiiSC_SC_iiiii.num_agpr, 0
	.set _ZN4vllm25paged_attention_v1_kernelIttLi96ELi16ELi128ELNS_18Fp8KVCacheDataTypeE0ELb0EEEvPT_PKS2_PKT0_S8_ifPKiSA_iPKfiiiSC_SC_iiiii.numbered_sgpr, 34
	.set _ZN4vllm25paged_attention_v1_kernelIttLi96ELi16ELi128ELNS_18Fp8KVCacheDataTypeE0ELb0EEEvPT_PKS2_PKT0_S8_ifPKiSA_iPKfiiiSC_SC_iiiii.num_named_barrier, 0
	.set _ZN4vllm25paged_attention_v1_kernelIttLi96ELi16ELi128ELNS_18Fp8KVCacheDataTypeE0ELb0EEEvPT_PKS2_PKT0_S8_ifPKiSA_iPKfiiiSC_SC_iiiii.private_seg_size, 0
	.set _ZN4vllm25paged_attention_v1_kernelIttLi96ELi16ELi128ELNS_18Fp8KVCacheDataTypeE0ELb0EEEvPT_PKS2_PKT0_S8_ifPKiSA_iPKfiiiSC_SC_iiiii.uses_vcc, 1
	.set _ZN4vllm25paged_attention_v1_kernelIttLi96ELi16ELi128ELNS_18Fp8KVCacheDataTypeE0ELb0EEEvPT_PKS2_PKT0_S8_ifPKiSA_iPKfiiiSC_SC_iiiii.uses_flat_scratch, 0
	.set _ZN4vllm25paged_attention_v1_kernelIttLi96ELi16ELi128ELNS_18Fp8KVCacheDataTypeE0ELb0EEEvPT_PKS2_PKT0_S8_ifPKiSA_iPKfiiiSC_SC_iiiii.has_dyn_sized_stack, 0
	.set _ZN4vllm25paged_attention_v1_kernelIttLi96ELi16ELi128ELNS_18Fp8KVCacheDataTypeE0ELb0EEEvPT_PKS2_PKT0_S8_ifPKiSA_iPKfiiiSC_SC_iiiii.has_recursion, 0
	.set _ZN4vllm25paged_attention_v1_kernelIttLi96ELi16ELi128ELNS_18Fp8KVCacheDataTypeE0ELb0EEEvPT_PKS2_PKT0_S8_ifPKiSA_iPKfiiiSC_SC_iiiii.has_indirect_call, 0
	.section	.AMDGPU.csdata,"",@progbits
; Kernel info:
; codeLenInByte = 4512
; TotalNumSgprs: 38
; NumVgprs: 53
; ScratchSize: 0
; MemoryBound: 0
; FloatMode: 240
; IeeeMode: 1
; LDSByteSize: 208 bytes/workgroup (compile time only)
; SGPRBlocks: 4
; VGPRBlocks: 13
; NumSGPRsForWavesPerEU: 38
; NumVGPRsForWavesPerEU: 53
; Occupancy: 4
; WaveLimiterHint : 1
; COMPUTE_PGM_RSRC2:SCRATCH_EN: 0
; COMPUTE_PGM_RSRC2:USER_SGPR: 6
; COMPUTE_PGM_RSRC2:TRAP_HANDLER: 0
; COMPUTE_PGM_RSRC2:TGID_X_EN: 1
; COMPUTE_PGM_RSRC2:TGID_Y_EN: 1
; COMPUTE_PGM_RSRC2:TGID_Z_EN: 1
; COMPUTE_PGM_RSRC2:TIDIG_COMP_CNT: 0
	.section	.text._ZN4vllm25paged_attention_v1_kernelIttLi112ELi16ELi128ELNS_18Fp8KVCacheDataTypeE0ELb0EEEvPT_PKS2_PKT0_S8_ifPKiSA_iPKfiiiSC_SC_iiiii,"axG",@progbits,_ZN4vllm25paged_attention_v1_kernelIttLi112ELi16ELi128ELNS_18Fp8KVCacheDataTypeE0ELb0EEEvPT_PKS2_PKT0_S8_ifPKiSA_iPKfiiiSC_SC_iiiii,comdat
	.protected	_ZN4vllm25paged_attention_v1_kernelIttLi112ELi16ELi128ELNS_18Fp8KVCacheDataTypeE0ELb0EEEvPT_PKS2_PKT0_S8_ifPKiSA_iPKfiiiSC_SC_iiiii ; -- Begin function _ZN4vllm25paged_attention_v1_kernelIttLi112ELi16ELi128ELNS_18Fp8KVCacheDataTypeE0ELb0EEEvPT_PKS2_PKT0_S8_ifPKiSA_iPKfiiiSC_SC_iiiii
	.globl	_ZN4vllm25paged_attention_v1_kernelIttLi112ELi16ELi128ELNS_18Fp8KVCacheDataTypeE0ELb0EEEvPT_PKS2_PKT0_S8_ifPKiSA_iPKfiiiSC_SC_iiiii
	.p2align	8
	.type	_ZN4vllm25paged_attention_v1_kernelIttLi112ELi16ELi128ELNS_18Fp8KVCacheDataTypeE0ELb0EEEvPT_PKS2_PKT0_S8_ifPKiSA_iPKfiiiSC_SC_iiiii,@function
_ZN4vllm25paged_attention_v1_kernelIttLi112ELi16ELi128ELNS_18Fp8KVCacheDataTypeE0ELb0EEEvPT_PKS2_PKT0_S8_ifPKiSA_iPKfiiiSC_SC_iiiii: ; @_ZN4vllm25paged_attention_v1_kernelIttLi112ELi16ELi128ELNS_18Fp8KVCacheDataTypeE0ELb0EEEvPT_PKS2_PKT0_S8_ifPKiSA_iPKfiiiSC_SC_iiiii
; %bb.0:
	s_load_dword s9, s[4:5], 0x80
	s_load_dwordx2 s[0:1], s[4:5], 0x30
	s_load_dwordx2 s[26:27], s[4:5], 0x20
	s_mov_b32 s10, s7
	s_ashr_i32 s11, s7, 31
	s_lshl_b64 s[2:3], s[10:11], 2
	s_waitcnt lgkmcnt(0)
	s_add_u32 s0, s0, s2
	s_addc_u32 s1, s1, s3
	s_abs_i32 s2, s26
	v_cvt_f32_u32_e32 v1, s2
	s_sub_i32 s11, 0, s2
	s_abs_i32 s7, s9
	s_xor_b32 s3, s9, s26
	v_rcp_iflag_f32_e32 v1, v1
	s_ashr_i32 s3, s3, 31
	s_mov_b32 s26, 0
	v_mul_f32_e32 v1, 0x4f7ffffe, v1
	v_cvt_u32_f32_e32 v1, v1
	v_readfirstlane_b32 s12, v1
	s_mul_i32 s11, s11, s12
	s_mul_hi_u32 s11, s12, s11
	s_add_i32 s12, s12, s11
	s_mul_hi_u32 s11, s7, s12
	s_mul_i32 s12, s11, s2
	s_sub_i32 s7, s7, s12
	s_add_i32 s12, s11, 1
	s_sub_i32 s13, s7, s2
	s_cmp_ge_u32 s7, s2
	s_cselect_b32 s11, s12, s11
	s_cselect_b32 s7, s13, s7
	s_add_i32 s12, s11, 1
	s_cmp_ge_u32 s7, s2
	s_cselect_b32 s2, s12, s11
	s_xor_b32 s2, s2, s3
	s_sub_i32 s12, s2, s3
	s_abs_i32 s11, s12
	v_cvt_f32_u32_e32 v1, s11
	s_load_dwordx2 s[2:3], s[4:5], 0x40
	s_sub_i32 s7, 0, s11
	s_abs_i32 s18, s6
	v_rcp_iflag_f32_e32 v1, v1
	v_mul_f32_e32 v1, 0x4f7ffffe, v1
	v_cvt_u32_f32_e32 v1, v1
	v_readfirstlane_b32 s13, v1
	s_mul_i32 s7, s7, s13
	s_mul_hi_u32 s7, s13, s7
	s_add_i32 s13, s13, s7
	s_waitcnt lgkmcnt(0)
	s_cmp_eq_u64 s[2:3], 0
	s_mul_hi_u32 s19, s18, s13
	s_cbranch_scc1 .LBB85_2
; %bb.1:
	s_ashr_i32 s7, s6, 31
	s_lshl_b64 s[14:15], s[6:7], 2
	s_add_u32 s2, s2, s14
	s_addc_u32 s3, s3, s15
	s_load_dword s26, s[2:3], 0x0
.LBB85_2:
	s_load_dword s33, s[0:1], 0x0
	s_ashr_i32 s3, s12, 31
	s_load_dwordx4 s[12:15], s[4:5], 0x48
	s_ashr_i32 s2, s6, 31
	v_and_b32_e32 v1, 3, v0
	s_mul_i32 s16, s6, 0x70
	v_cmp_gt_u32_e32 vcc, 56, v0
	v_lshlrev_b32_e32 v2, 2, v0
	s_and_saveexec_b64 s[0:1], vcc
	s_cbranch_execz .LBB85_4
; %bb.3:
	s_load_dwordx2 s[6:7], s[4:5], 0x8
	s_waitcnt lgkmcnt(0)
	s_mul_i32 s20, s12, s10
	s_ashr_i32 s21, s20, 31
	s_lshl_b64 s[20:21], s[20:21], 1
	v_and_b32_e32 v4, 0x3fc, v0
	s_add_u32 s12, s6, s20
	s_addc_u32 s15, s7, s21
	s_ashr_i32 s17, s16, 31
	s_lshl_b64 s[6:7], s[16:17], 1
	s_add_u32 s6, s12, s6
	s_addc_u32 s7, s15, s7
	global_load_dword v3, v2, s[6:7]
	v_mad_u32_u24 v4, v1, 56, v4
	s_waitcnt vmcnt(0)
	ds_write_b32 v4, v3
.LBB85_4:
	s_or_b64 exec, exec, s[0:1]
	s_waitcnt lgkmcnt(0)
	s_add_i32 s1, s33, 15
	s_ashr_i32 s6, s1, 31
	s_lshr_b32 s6, s6, 28
	s_add_i32 s1, s1, s6
	s_ashr_i32 s17, s1, 4
	s_xor_b32 s1, s2, s3
	s_mul_i32 s2, s19, s11
	s_sub_i32 s2, s18, s2
	s_add_i32 s3, s19, 1
	s_sub_i32 s6, s2, s11
	s_load_dwordx2 s[20:21], s[4:5], 0x28
	s_load_dword s0, s[4:5], 0x38
	s_cmp_ge_u32 s2, s11
	s_cselect_b32 s3, s3, s19
	s_cselect_b32 s2, s6, s2
	s_add_i32 s6, s3, 1
	s_cmp_ge_u32 s2, s11
	s_cselect_b32 s2, s6, s3
	v_lshrrev_b32_e32 v9, 6, v0
	s_xor_b32 s2, s2, s1
	s_waitcnt lgkmcnt(0)
	s_mul_i32 s22, s0, s10
	s_sub_i32 s12, s2, s1
	s_ashr_i32 s23, s22, 31
	v_cmp_le_i32_e64 s[0:1], s17, v9
	v_mbcnt_lo_u32_b32 v3, -1, 0
	s_barrier
                                        ; implicit-def: $vgpr6
                                        ; implicit-def: $vgpr8
                                        ; implicit-def: $vgpr7
	s_and_saveexec_b64 s[2:3], s[0:1]
	s_xor_b64 s[2:3], exec, s[2:3]
; %bb.5:
	v_mbcnt_hi_u32_b32 v6, -1, v3
	v_and_b32_e32 v8, 64, v6
	v_add_u32_e32 v7, 64, v8
                                        ; implicit-def: $vgpr2
                                        ; implicit-def: $vgpr1
                                        ; implicit-def: $vgpr3
; %bb.6:
	s_or_saveexec_b64 s[6:7], s[2:3]
	s_load_dwordx2 s[18:19], s[4:5], 0x0
	s_load_dwordx2 s[24:25], s[4:5], 0x18
	s_load_dword s11, s[4:5], 0x88
	v_mov_b32_e32 v10, 0xff7fffff
	s_mul_i32 s14, s12, s14
	v_lshrrev_b32_e32 v5, 4, v0
	s_xor_b64 exec, exec, s[6:7]
	s_cbranch_execz .LBB85_12
; %bb.7:
	s_load_dwordx2 s[2:3], s[4:5], 0x10
	s_ashr_i32 s15, s14, 31
	s_lshl_b64 s[4:5], s[14:15], 1
	v_bfe_u32 v4, v0, 2, 4
	v_lshlrev_b32_e32 v6, 4, v4
	s_waitcnt lgkmcnt(0)
	s_add_u32 s2, s2, s4
	s_addc_u32 s3, s3, s5
	v_mov_b32_e32 v7, s3
	v_add_co_u32_e32 v6, vcc, s2, v6
	v_addc_co_u32_e32 v7, vcc, 0, v7, vcc
	v_and_b32_e32 v2, 12, v2
	v_add_co_u32_e32 v11, vcc, v6, v2
	v_addc_co_u32_e32 v12, vcc, 0, v7, vcc
	v_mul_u32_u24_e32 v13, 56, v1
	v_cmp_eq_u32_e32 vcc, 0, v1
	s_sub_i32 s15, 1, s33
	v_lshlrev_b32_e32 v1, 2, v4
	s_lshl_b64 s[4:5], s[22:23], 2
	v_lshl_or_b32 v1, v9, 6, v1
	s_add_u32 s4, s20, s4
	v_add_u32_e32 v15, 0xf0, v1
	v_and_b32_e32 v1, 60, v5
	s_addc_u32 s5, s21, s5
	v_mbcnt_hi_u32_b32 v6, -1, v3
	v_mov_b32_e32 v2, s5
	v_add_co_u32_e64 v1, s[4:5], s4, v1
	v_and_b32_e32 v8, 64, v6
	s_mov_b32 s12, s13
	v_cmp_neq_f32_e64 s[2:3], s26, 0
	v_lshl_or_b32 v14, v9, 4, v4
	v_addc_co_u32_e64 v2, s[4:5], 0, v2, s[4:5]
	v_mov_b32_e32 v10, 0xff7fffff
	s_mov_b64 s[28:29], 0
	v_add_u32_e32 v7, 64, v8
	v_xor_b32_e32 v16, 2, v6
	v_xor_b32_e32 v17, 1, v6
	v_mov_b32_e32 v18, v9
	s_branch .LBB85_9
.LBB85_8:                               ;   in Loop: Header=BB85_9 Depth=1
	s_or_b64 exec, exec, s[30:31]
	v_add_u32_e32 v18, 2, v18
	v_cmp_le_i32_e64 s[4:5], s17, v18
	s_or_b64 s[28:29], s[4:5], s[28:29]
	v_add_co_u32_e64 v1, s[4:5], 8, v1
	v_add_u32_e32 v14, 32, v14
	v_add_u32_e32 v15, 0x80, v15
	v_addc_co_u32_e64 v2, s[4:5], 0, v2, s[4:5]
	s_andn2_b64 exec, exec, s[28:29]
	s_cbranch_execz .LBB85_11
.LBB85_9:                               ; =>This Inner Loop Header: Depth=1
	global_load_dword v3, v[1:2], off
	s_waitcnt vmcnt(0) lgkmcnt(0)
	v_mad_i64_i32 v[3:4], s[4:5], v3, s12, 0
	v_lshlrev_b64 v[3:4], 1, v[3:4]
	v_add_co_u32_e64 v3, s[4:5], v11, v3
	v_addc_co_u32_e64 v4, s[4:5], v12, v4, s[4:5]
	global_load_dword v27, v[3:4], off
	global_load_dword v26, v[3:4], off offset:256
	global_load_dword v25, v[3:4], off offset:512
	;; [unrolled: 1-line block ×10, first 2 shown]
	ds_read_b32 v28, v13
	v_cmp_lt_i32_e64 s[4:5], v16, v7
	v_cndmask_b32_e64 v29, v6, v16, s[4:5]
	v_lshlrev_b32_e32 v29, 2, v29
	v_cmp_lt_i32_e64 s[4:5], v17, v7
	s_waitcnt lgkmcnt(0)
	v_lshrrev_b32_e32 v34, 16, v28
	v_and_b32_e32 v35, 0xffff, v28
	global_load_dword v31, v[3:4], off offset:2816
	global_load_dword v30, v[3:4], off offset:3072
	;; [unrolled: 1-line block ×3, first 2 shown]
	;;#ASMSTART
	v_cvt_f32_f16 v4, v35;
	;;#ASMEND
	;;#ASMSTART
	v_cvt_f32_f16 v34, v34;
	;;#ASMEND
	s_waitcnt vmcnt(13)
	v_lshrrev_b32_e32 v3, 16, v27
	v_and_b32_e32 v27, 0xffff, v27
	;;#ASMSTART
	v_cvt_f32_f16 v27, v27;
	;;#ASMEND
	;;#ASMSTART
	v_cvt_f32_f16 v35, v3;
	;;#ASMEND
	ds_read_b32 v3, v13 offset:4
	s_waitcnt vmcnt(12)
	v_and_b32_e32 v36, 0xffff, v26
	v_lshrrev_b32_e32 v37, 16, v26
	s_waitcnt vmcnt(11)
	v_and_b32_e32 v38, 0xffff, v25
	v_lshrrev_b32_e32 v39, 16, v25
	s_waitcnt lgkmcnt(0)
	v_lshrrev_b32_e32 v25, 16, v3
	v_and_b32_e32 v3, 0xffff, v3
	;;#ASMSTART
	v_cvt_f32_f16 v3, v3;
	;;#ASMEND
	;;#ASMSTART
	v_cvt_f32_f16 v25, v25;
	;;#ASMEND
	;; [unrolled: 3-line block ×4, first 2 shown]
	ds_read_b32 v37, v13 offset:8
	s_waitcnt vmcnt(10)
	v_and_b32_e32 v40, 0xffff, v24
	v_lshrrev_b32_e32 v41, 16, v24
	s_waitcnt vmcnt(9)
	v_and_b32_e32 v42, 0xffff, v23
	v_lshrrev_b32_e32 v43, 16, v23
	s_waitcnt lgkmcnt(0)
	v_lshrrev_b32_e32 v24, 16, v37
	v_and_b32_e32 v23, 0xffff, v37
	;;#ASMSTART
	v_cvt_f32_f16 v23, v23;
	;;#ASMEND
	;;#ASMSTART
	v_cvt_f32_f16 v24, v24;
	;;#ASMEND
	;;#ASMSTART
	v_cvt_f32_f16 v37, v38;
	;;#ASMEND
	;;#ASMSTART
	v_cvt_f32_f16 v38, v39;
	;;#ASMEND
	ds_read_b32 v39, v13 offset:12
	v_mul_f32_e32 v3, v3, v26
	s_waitcnt vmcnt(8)
	v_and_b32_e32 v44, 0xffff, v22
	v_lshrrev_b32_e32 v45, 16, v22
	v_fmac_f32_e32 v3, v4, v27
	s_waitcnt lgkmcnt(0)
	v_and_b32_e32 v22, 0xffff, v39
	v_lshrrev_b32_e32 v4, 16, v39
	;;#ASMSTART
	v_cvt_f32_f16 v22, v22;
	;;#ASMEND
	;;#ASMSTART
	v_cvt_f32_f16 v26, v4;
	;;#ASMEND
	;; [unrolled: 3-line block ×4, first 2 shown]
	ds_read_b32 v40, v13 offset:16
	v_mul_f32_e32 v4, v25, v36
	s_waitcnt vmcnt(7)
	v_and_b32_e32 v41, 0xffff, v21
	v_lshrrev_b32_e32 v46, 16, v21
	v_fmac_f32_e32 v4, v34, v35
	s_waitcnt lgkmcnt(0)
	v_lshrrev_b32_e32 v25, 16, v40
	v_and_b32_e32 v21, 0xffff, v40
	;;#ASMSTART
	v_cvt_f32_f16 v21, v21;
	;;#ASMEND
	;;#ASMSTART
	v_cvt_f32_f16 v25, v25;
	;;#ASMEND
	;; [unrolled: 3-line block ×4, first 2 shown]
	ds_read_b32 v36, v13 offset:20
	v_fmac_f32_e32 v3, v23, v37
	s_waitcnt vmcnt(6)
	v_and_b32_e32 v40, 0xffff, v20
	v_lshrrev_b32_e32 v42, 16, v20
	v_fmac_f32_e32 v4, v24, v38
	s_waitcnt lgkmcnt(0)
	v_lshrrev_b32_e32 v23, 16, v36
	v_and_b32_e32 v20, 0xffff, v36
	;;#ASMSTART
	v_cvt_f32_f16 v20, v20;
	;;#ASMEND
	;;#ASMSTART
	v_cvt_f32_f16 v23, v23;
	;;#ASMEND
	;;#ASMSTART
	v_cvt_f32_f16 v24, v44;
	;;#ASMEND
	;;#ASMSTART
	v_cvt_f32_f16 v36, v45;
	;;#ASMEND
	ds_read_b32 v37, v13 offset:24
	s_waitcnt vmcnt(5)
	v_lshrrev_b32_e32 v43, 16, v19
	v_and_b32_e32 v44, 0xffff, v19
	v_fmac_f32_e32 v3, v22, v27
	v_fmac_f32_e32 v4, v26, v39
	s_waitcnt lgkmcnt(0)
	v_lshrrev_b32_e32 v22, 16, v37
	v_and_b32_e32 v19, 0xffff, v37
	;;#ASMSTART
	v_cvt_f32_f16 v19, v19;
	;;#ASMEND
	;;#ASMSTART
	v_cvt_f32_f16 v22, v22;
	;;#ASMEND
	;;#ASMSTART
	v_cvt_f32_f16 v26, v41;
	;;#ASMEND
	;;#ASMSTART
	v_cvt_f32_f16 v27, v46;
	;;#ASMEND
	ds_read_b32 v37, v13 offset:28
	s_waitcnt vmcnt(4)
	v_lshrrev_b32_e32 v39, 16, v33
	v_and_b32_e32 v41, 0xffff, v33
	v_fmac_f32_e32 v3, v21, v34
	;; [unrolled: 21-line block ×3, first 2 shown]
	v_fmac_f32_e32 v4, v23, v36
	s_waitcnt lgkmcnt(0)
	v_lshrrev_b32_e32 v24, 16, v38
	v_and_b32_e32 v20, 0xffff, v38
	;;#ASMSTART
	v_cvt_f32_f16 v20, v20;
	;;#ASMEND
	;;#ASMSTART
	v_cvt_f32_f16 v24, v24;
	;;#ASMEND
	;; [unrolled: 3-line block ×4, first 2 shown]
	ds_read_b32 v35, v13 offset:36
	s_waitcnt vmcnt(1)
	v_lshrrev_b32_e32 v43, 16, v30
	v_and_b32_e32 v44, 0xffff, v30
	v_lshrrev_b32_e32 v42, 16, v31
	v_and_b32_e32 v38, 0xffff, v31
	s_waitcnt lgkmcnt(0)
	v_lshrrev_b32_e32 v30, 16, v35
	v_and_b32_e32 v23, 0xffff, v35
	;;#ASMSTART
	v_cvt_f32_f16 v23, v23;
	;;#ASMEND
	;;#ASMSTART
	v_cvt_f32_f16 v30, v30;
	;;#ASMEND
	;; [unrolled: 3-line block ×4, first 2 shown]
	ds_read_b32 v36, v13 offset:40
	v_fmac_f32_e32 v3, v19, v26
	v_fmac_f32_e32 v4, v22, v27
	s_waitcnt vmcnt(0)
	v_lshrrev_b32_e32 v39, 16, v28
	v_and_b32_e32 v41, 0xffff, v28
	s_waitcnt lgkmcnt(0)
	v_lshrrev_b32_e32 v22, 16, v36
	v_and_b32_e32 v19, 0xffff, v36
	;;#ASMSTART
	v_cvt_f32_f16 v19, v19;
	;;#ASMEND
	;;#ASMSTART
	v_cvt_f32_f16 v22, v22;
	;;#ASMEND
	;;#ASMSTART
	v_cvt_f32_f16 v26, v40;
	;;#ASMEND
	;;#ASMSTART
	v_cvt_f32_f16 v27, v45;
	;;#ASMEND
	ds_read_b32 v28, v13 offset:44
	v_fmac_f32_e32 v3, v21, v34
	v_fmac_f32_e32 v4, v33, v37
	v_fmac_f32_e32 v3, v20, v25
	v_fmac_f32_e32 v4, v24, v32
	s_waitcnt lgkmcnt(0)
	v_lshrrev_b32_e32 v21, 16, v28
	v_and_b32_e32 v20, 0xffff, v28
	;;#ASMSTART
	v_cvt_f32_f16 v20, v20;
	;;#ASMEND
	;;#ASMSTART
	v_cvt_f32_f16 v21, v21;
	;;#ASMEND
	;;#ASMSTART
	v_cvt_f32_f16 v24, v38;
	;;#ASMEND
	;;#ASMSTART
	v_cvt_f32_f16 v25, v42;
	;;#ASMEND
	ds_read_b32 v28, v13 offset:48
	v_fmac_f32_e32 v3, v23, v31
	v_fmac_f32_e32 v4, v30, v35
	v_fmac_f32_e32 v3, v19, v26
	v_fmac_f32_e32 v4, v22, v27
	;; [unrolled: 20-line block ×3, first 2 shown]
	s_waitcnt lgkmcnt(0)
	v_lshrrev_b32_e32 v20, 16, v27
	v_and_b32_e32 v19, 0xffff, v27
	;;#ASMSTART
	v_cvt_f32_f16 v19, v19;
	;;#ASMEND
	;;#ASMSTART
	v_cvt_f32_f16 v20, v20;
	;;#ASMEND
	;; [unrolled: 3-line block ×4, first 2 shown]
	v_fmac_f32_e32 v3, v19, v21
	v_fmac_f32_e32 v4, v20, v22
	v_add_f32_e32 v3, v3, v4
	ds_bpermute_b32 v4, v29, v3
	v_cndmask_b32_e64 v19, v6, v17, s[4:5]
	s_waitcnt lgkmcnt(0)
	v_add_f32_e32 v3, v3, v4
	v_lshlrev_b32_e32 v4, 2, v19
	ds_bpermute_b32 v4, v4, v3
	s_and_saveexec_b64 s[30:31], vcc
	s_cbranch_execz .LBB85_8
; %bb.10:                               ;   in Loop: Header=BB85_9 Depth=1
	v_add_u32_e32 v19, s15, v14
	v_cvt_f32_i32_e32 v19, v19
	s_waitcnt lgkmcnt(0)
	v_add_f32_e32 v3, v3, v4
	v_cmp_gt_i32_e64 s[4:5], s33, v14
	v_max_f32_e32 v4, v10, v10
	v_mul_f32_e32 v19, s26, v19
	v_cndmask_b32_e64 v19, 0, v19, s[2:3]
	v_fmac_f32_e32 v19, s27, v3
	v_cndmask_b32_e64 v3, 0, v19, s[4:5]
	ds_write_b32 v15, v3
	v_max_f32_e32 v3, v4, v19
	v_cndmask_b32_e64 v10, v10, v3, s[4:5]
	s_branch .LBB85_8
.LBB85_11:
	s_or_b64 exec, exec, s[28:29]
.LBB85_12:
	s_or_b64 exec, exec, s[6:7]
	v_xor_b32_e32 v1, 32, v6
	v_cmp_lt_i32_e32 vcc, v1, v7
	v_cndmask_b32_e32 v1, v6, v1, vcc
	v_lshlrev_b32_e32 v2, 2, v1
	ds_bpermute_b32 v1, v2, v10
	s_waitcnt lgkmcnt(0)
	v_xor_b32_e32 v4, 16, v6
	v_max_f32_e32 v3, v10, v10
	v_cmp_lt_i32_e32 vcc, v4, v7
	v_xor_b32_e32 v10, 8, v6
	v_max_f32_e32 v1, v1, v1
	v_max_f32_e32 v1, v3, v1
	v_cndmask_b32_e32 v3, v6, v4, vcc
	v_lshlrev_b32_e32 v3, 2, v3
	ds_bpermute_b32 v4, v3, v1
	v_cmp_lt_i32_e32 vcc, v10, v7
	v_xor_b32_e32 v11, 4, v6
	s_waitcnt lgkmcnt(0)
	v_max_f32_e32 v4, v4, v4
	v_max_f32_e32 v1, v1, v4
	v_cndmask_b32_e32 v4, v6, v10, vcc
	v_lshlrev_b32_e32 v12, 2, v4
	ds_bpermute_b32 v4, v12, v1
	v_cmp_lt_i32_e32 vcc, v11, v7
	s_waitcnt lgkmcnt(0)
	v_max_f32_e32 v4, v4, v4
	v_max_f32_e32 v10, v1, v4
	v_cndmask_b32_e32 v1, v6, v11, vcc
	v_lshlrev_b32_e32 v13, 2, v1
	ds_bpermute_b32 v11, v13, v10
	v_and_b32_e32 v1, 63, v0
	v_cmp_eq_u32_e32 vcc, 0, v1
	v_lshlrev_b32_e32 v4, 2, v9
	s_and_saveexec_b64 s[2:3], vcc
	s_cbranch_execz .LBB85_14
; %bb.13:
	s_waitcnt lgkmcnt(0)
	v_max_f32_e32 v11, v11, v11
	v_max_f32_e32 v10, v10, v10
	;; [unrolled: 1-line block ×3, first 2 shown]
	ds_write_b32 v4, v10 offset:224
.LBB85_14:
	s_or_b64 exec, exec, s[2:3]
	v_cmp_gt_u32_e64 s[2:3], 2, v1
	v_mov_b32_e32 v14, 0xff7fffff
	s_waitcnt lgkmcnt(0)
	v_lshlrev_b32_e32 v11, 2, v1
	s_barrier
	s_and_saveexec_b64 s[4:5], s[2:3]
; %bb.15:
	ds_read_b32 v14, v11 offset:224
; %bb.16:
	s_or_b64 exec, exec, s[4:5]
	v_xor_b32_e32 v10, 1, v6
	v_cmp_lt_i32_e64 s[4:5], v10, v7
	v_cndmask_b32_e64 v10, v6, v10, s[4:5]
	v_lshlrev_b32_e32 v10, 2, v10
	s_waitcnt lgkmcnt(0)
	ds_bpermute_b32 v15, v10, v14
	v_max_f32_e32 v14, v14, v14
	v_lshlrev_b32_e32 v8, 2, v8
	s_lshl_b32 s4, s17, 4
	s_min_i32 s12, s4, s33
	s_waitcnt lgkmcnt(0)
	v_max_f32_e32 v15, v15, v15
	v_max_f32_e32 v14, v14, v15
	ds_bpermute_b32 v14, v8, v14
	v_cmp_gt_i32_e64 s[4:5], s12, v0
	v_mov_b32_e32 v8, 0
	s_and_saveexec_b64 s[26:27], s[4:5]
	s_cbranch_execz .LBB85_20
; %bb.17:
	v_mov_b32_e32 v8, 0xf0
	v_lshl_add_u32 v15, v0, 2, v8
	v_mov_b32_e32 v8, 0
	s_mov_b64 s[28:29], 0
	v_mov_b32_e32 v16, v0
.LBB85_18:                              ; =>This Inner Loop Header: Depth=1
	ds_read_b32 v17, v15
	v_add_u32_e32 v16, 0x80, v16
	v_cmp_le_i32_e64 s[6:7], s12, v16
	s_or_b64 s[28:29], s[6:7], s[28:29]
	s_waitcnt lgkmcnt(0)
	v_sub_f32_e32 v17, v17, v14
	v_mul_f32_e32 v17, 0x3fb8aa3b, v17
	v_exp_f32_e32 v17, v17
	ds_write_b32 v15, v17
	v_add_f32_e32 v8, v8, v17
	v_add_u32_e32 v15, 0x200, v15
	s_andn2_b64 exec, exec, s[28:29]
	s_cbranch_execnz .LBB85_18
; %bb.19:
	s_or_b64 exec, exec, s[28:29]
.LBB85_20:
	s_or_b64 exec, exec, s[26:27]
	ds_bpermute_b32 v2, v2, v8
	s_waitcnt lgkmcnt(0)
	v_add_f32_e32 v2, v8, v2
	ds_bpermute_b32 v3, v3, v2
	v_xor_b32_e32 v8, 2, v6
	v_cmp_lt_i32_e64 s[6:7], v8, v7
	v_cndmask_b32_e64 v7, v6, v8, s[6:7]
	s_waitcnt lgkmcnt(0)
	v_add_f32_e32 v2, v2, v3
	ds_bpermute_b32 v3, v12, v2
	s_waitcnt lgkmcnt(0)
	v_add_f32_e32 v2, v2, v3
	ds_bpermute_b32 v3, v13, v2
	s_waitcnt lgkmcnt(0)
	v_add_f32_e32 v2, v2, v3
	v_lshlrev_b32_e32 v3, 2, v7
	ds_bpermute_b32 v3, v3, v2
	s_waitcnt lgkmcnt(0)
	v_add_f32_e32 v2, v2, v3
	ds_bpermute_b32 v3, v10, v2
	s_waitcnt lgkmcnt(0)
	v_add_f32_e32 v2, v2, v3
	s_and_saveexec_b64 s[6:7], vcc
; %bb.21:
	ds_write_b32 v4, v2 offset:232
; %bb.22:
	s_or_b64 exec, exec, s[6:7]
	s_waitcnt lgkmcnt(0)
	s_barrier
	s_and_saveexec_b64 s[6:7], s[2:3]
; %bb.23:
	ds_read_b32 v2, v11 offset:232
; %bb.24:
	s_or_b64 exec, exec, s[6:7]
	s_waitcnt lgkmcnt(0)
	ds_bpermute_b32 v3, v10, v2
	v_lshlrev_b32_e32 v4, 2, v6
	s_waitcnt lgkmcnt(0)
	v_add_f32_e32 v2, v2, v3
	v_and_b32_e32 v3, 0xffffff00, v4
	ds_bpermute_b32 v2, v3, v2
	s_and_saveexec_b64 s[2:3], s[4:5]
	s_cbranch_execz .LBB85_27
; %bb.25:
	s_waitcnt lgkmcnt(0)
	v_add_f32_e32 v3, 0x358637bd, v2
	v_div_scale_f32 v2, s[4:5], v3, v3, 1.0
	v_div_scale_f32 v4, vcc, 1.0, v3, 1.0
	s_mov_b64 s[4:5], 0
	v_rcp_f32_e32 v6, v2
	v_fma_f32 v7, -v2, v6, 1.0
	v_fmac_f32_e32 v6, v7, v6
	v_mul_f32_e32 v7, v4, v6
	v_fma_f32 v8, -v2, v7, v4
	v_fmac_f32_e32 v7, v8, v6
	v_fma_f32 v2, -v2, v7, v4
	v_div_fmas_f32 v4, v2, v6, v7
	v_mov_b32_e32 v2, 0xf0
	v_lshl_add_u32 v2, v0, 2, v2
	v_div_fixup_f32 v3, v4, v3, 1.0
	v_mov_b32_e32 v4, v0
.LBB85_26:                              ; =>This Inner Loop Header: Depth=1
	ds_read_b32 v6, v2
	v_add_u32_e32 v4, 0x80, v4
	v_cmp_le_i32_e32 vcc, s12, v4
	s_or_b64 s[4:5], vcc, s[4:5]
	s_waitcnt lgkmcnt(0)
	v_mul_f32_e32 v6, v3, v6
	ds_write_b32 v2, v6
	v_add_u32_e32 v2, 0x200, v2
	s_andn2_b64 exec, exec, s[4:5]
	s_cbranch_execnz .LBB85_26
.LBB85_27:
	s_or_b64 exec, exec, s[2:3]
	v_lshrrev_b32_e32 v11, 1, v1
	s_waitcnt lgkmcnt(0)
	s_barrier
	s_and_saveexec_b64 s[2:3], s[0:1]
	s_xor_b64 s[0:1], exec, s[2:3]
; %bb.28:
	v_lshrrev_b32_e32 v11, 1, v1
                                        ; implicit-def: $vgpr9
                                        ; implicit-def: $vgpr5
; %bb.29:
	s_or_saveexec_b64 s[4:5], s[0:1]
	v_mov_b32_e32 v13, 0
	v_and_b32_e32 v12, 1, v0
	v_mov_b32_e32 v15, 0
	v_mov_b32_e32 v14, 0
	v_mov_b32_e32 v17, 0
	s_xor_b64 exec, exec, s[4:5]
	s_cbranch_execz .LBB85_43
; %bb.30:
	s_ashr_i32 s15, s14, 31
	v_lshlrev_b32_e32 v1, 3, v0
	s_lshl_b64 s[0:1], s[14:15], 1
	v_and_b32_e32 v1, 8, v1
	s_add_u32 s24, s24, s0
	v_or_b32_e32 v3, 0x60, v11
	s_movk_i32 s0, 0x70
	v_lshlrev_b32_e32 v4, 4, v9
	s_addc_u32 s12, s25, s1
	s_add_i32 s25, s17, -1
	v_lshl_or_b32 v2, v11, 4, v1
	v_cmp_gt_u32_e64 s[0:1], s0, v3
	v_lshl_or_b32 v3, v3, 4, v1
	v_or3_b32 v18, v4, v1, 7
	v_lshlrev_b32_e32 v1, 5, v12
	s_lshl_b64 s[2:3], s[22:23], 2
	v_lshl_or_b32 v1, v9, 6, v1
	s_add_u32 s2, s20, s2
	v_add_u32_e32 v19, 0xf0, v1
	v_and_b32_e32 v1, 60, v5
	s_addc_u32 s3, s21, s3
	v_mov_b32_e32 v4, s3
	v_add_co_u32_e32 v5, vcc, s2, v1
	s_mov_b32 s26, s13
	v_mov_b32_e32 v16, 0
	v_addc_co_u32_e32 v6, vcc, 0, v4, vcc
	s_mov_b64 s[6:7], 0
	v_mov_b32_e32 v20, s12
	v_lshlrev_b32_e32 v21, 1, v2
	s_mov_b32 s20, 0xffff
	v_lshlrev_b32_e32 v22, 1, v3
	v_mov_b32_e32 v17, 0
	v_mov_b32_e32 v14, 0
	;; [unrolled: 1-line block ×4, first 2 shown]
	s_branch .LBB85_33
.LBB85_31:                              ;   in Loop: Header=BB85_33 Depth=1
	s_or_b64 exec, exec, s[14:15]
	v_lshlrev_b32_e32 v23, 16, v34
	v_and_or_b32 v1, v1, s20, v23
	v_lshlrev_b32_e32 v23, 16, v31
	v_and_or_b32 v2, v2, s20, v23
	;; [unrolled: 2-line block ×3, first 2 shown]
	;;#ASMSTART
	v_pk_mul_f16 v1, v27, v1;

	;;#ASMEND
	;;#ASMSTART
	v_pk_mul_f16 v2, v28, v2;

	;;#ASMEND
	;; [unrolled: 4-line block ×4, first 2 shown]
	;;#ASMSTART
	v_pk_add_f16 v1, v1, v2;

	;;#ASMEND
	;;#ASMSTART
	v_pk_add_f16 v1, v1, v3;

	;;#ASMEND
	;; [unrolled: 4-line block ×3, first 2 shown]
	v_lshrrev_b32_e32 v2, 16, v1
	v_and_b32_e32 v1, 0xffff, v1
	;;#ASMSTART
	v_cvt_f32_f16 v1, v1;
	;;#ASMEND
	;;#ASMSTART
	v_cvt_f32_f16 v2, v2;
	;;#ASMEND
	v_add_f32_e32 v1, v1, v2
	v_add_f32_e32 v17, v17, v1
.LBB85_32:                              ;   in Loop: Header=BB85_33 Depth=1
	s_or_b64 exec, exec, s[12:13]
	v_add_f32_e32 v1, v7, v8
	v_add_u32_e32 v9, 2, v9
	v_add_f32_e32 v14, v14, v1
	v_add_f32_e32 v1, v32, v33
	v_cmp_le_i32_e32 vcc, s17, v9
	v_add_f32_e32 v15, v15, v1
	v_add_f32_e32 v1, v24, v25
	s_or_b64 s[6:7], vcc, s[6:7]
	v_add_co_u32_e32 v5, vcc, 8, v5
	v_add_f32_e32 v13, v13, v1
	v_add_u32_e32 v18, 32, v18
	v_add_u32_e32 v19, 0x80, v19
	v_addc_co_u32_e32 v6, vcc, 0, v6, vcc
	s_andn2_b64 exec, exec, s[6:7]
	s_cbranch_execz .LBB85_42
.LBB85_33:                              ; =>This Inner Loop Header: Depth=1
	global_load_dword v7, v[5:6], off
	ds_read2_b64 v[1:4], v19 offset1:1
	ds_read2_b64 v[31:34], v19 offset0:2 offset1:3
	v_add_u32_e32 v23, -7, v18
	s_waitcnt lgkmcnt(1)
	;;#ASMSTART
	v_cvt_f16_f32 v24, v1;

	;;#ASMEND
	;;#ASMSTART
	v_cvt_f16_f32 v25, v2;

	;;#ASMEND
	;; [unrolled: 4-line block ×4, first 2 shown]
	s_waitcnt lgkmcnt(0)
	;;#ASMSTART
	v_cvt_f16_f32 v29, v31;

	;;#ASMEND
	;;#ASMSTART
	v_cvt_f16_f32 v32, v32;

	;;#ASMEND
	;; [unrolled: 4-line block ×4, first 2 shown]
	s_waitcnt vmcnt(0)
	v_mad_i64_i32 v[1:2], s[2:3], v7, s26, 0
	v_cmp_eq_u32_e64 s[2:3], s25, v9
	v_lshlrev_b64 v[1:2], 1, v[1:2]
	v_add_co_u32_e32 v30, vcc, s24, v1
	v_addc_co_u32_e32 v31, vcc, v20, v2, vcc
	v_add_co_u32_e32 v7, vcc, v30, v21
	v_addc_co_u32_e32 v8, vcc, 0, v31, vcc
	global_load_dwordx4 v[1:4], v[7:8], off
	s_waitcnt vmcnt(0)
	v_lshrrev_b32_e32 v37, 16, v1
	v_lshrrev_b32_e32 v36, 16, v2
	;; [unrolled: 1-line block ×3, first 2 shown]
	s_and_saveexec_b64 s[12:13], s[2:3]
	s_cbranch_execz .LBB85_35
; %bb.34:                               ;   in Loop: Header=BB85_33 Depth=1
	v_cmp_gt_i32_e32 vcc, s33, v23
	v_add_u32_e32 v27, -6, v18
	v_cndmask_b32_e32 v1, 0, v1, vcc
	v_cmp_gt_i32_e32 vcc, s33, v27
	v_add_u32_e32 v27, -5, v18
	v_cndmask_b32_e32 v37, 0, v37, vcc
	v_cmp_gt_i32_e32 vcc, s33, v27
	v_add_u32_e32 v27, -4, v18
	v_cndmask_b32_e32 v2, 0, v2, vcc
	v_cmp_gt_i32_e32 vcc, s33, v27
	v_add_u32_e32 v27, -3, v18
	v_cndmask_b32_e32 v36, 0, v36, vcc
	v_cmp_gt_i32_e32 vcc, s33, v27
	v_add_u32_e32 v27, -2, v18
	v_cndmask_b32_e32 v3, 0, v3, vcc
	v_cmp_gt_i32_e32 vcc, s33, v27
	v_add_u32_e32 v27, -1, v18
	v_cndmask_b32_e32 v35, 0, v35, vcc
	v_cmp_gt_i32_e32 vcc, s33, v27
	v_cndmask_b32_sdwa v27, v16, v4, vcc dst_sel:DWORD dst_unused:UNUSED_PAD src0_sel:DWORD src1_sel:WORD_0
	v_and_b32_e32 v4, 0xffff0000, v4
	v_cmp_gt_i32_e32 vcc, s33, v18
	v_cndmask_b32_e32 v4, 0, v4, vcc
	v_or_b32_e32 v4, v27, v4
.LBB85_35:                              ;   in Loop: Header=BB85_33 Depth=1
	s_or_b64 exec, exec, s[12:13]
	v_and_b32_e32 v24, 0xffff, v24
	v_lshl_or_b32 v27, v25, 16, v24
	v_and_b32_e32 v24, 0xffff, v26
	v_lshl_or_b32 v28, v28, 16, v24
	;; [unrolled: 2-line block ×4, first 2 shown]
	v_lshlrev_b32_e32 v24, 16, v37
	v_and_or_b32 v1, v1, s20, v24
	v_lshlrev_b32_e32 v24, 16, v36
	v_and_or_b32 v2, v2, s20, v24
	;; [unrolled: 2-line block ×3, first 2 shown]
	;;#ASMSTART
	v_pk_mul_f16 v1, v27, v1;

	;;#ASMEND
	;;#ASMSTART
	v_pk_mul_f16 v2, v28, v2;

	;;#ASMEND
	;; [unrolled: 4-line block ×4, first 2 shown]
	;;#ASMSTART
	v_pk_add_f16 v1, v1, v2;

	;;#ASMEND
	;;#ASMSTART
	v_pk_add_f16 v1, v1, v3;

	;;#ASMEND
	;; [unrolled: 4-line block ×3, first 2 shown]
	v_lshrrev_b32_e32 v2, 16, v1
	v_and_b32_e32 v1, 0xffff, v1
	;;#ASMSTART
	v_cvt_f32_f16 v24, v1;
	;;#ASMEND
	;;#ASMSTART
	v_cvt_f32_f16 v25, v2;
	;;#ASMEND
	global_load_dwordx4 v[1:4], v[7:8], off offset:1024
	s_waitcnt vmcnt(0)
	v_lshrrev_b32_e32 v34, 16, v1
	v_lshrrev_b32_e32 v33, 16, v2
	;; [unrolled: 1-line block ×3, first 2 shown]
	s_and_saveexec_b64 s[12:13], s[2:3]
	s_cbranch_execz .LBB85_37
; %bb.36:                               ;   in Loop: Header=BB85_33 Depth=1
	v_cmp_gt_i32_e32 vcc, s33, v23
	v_add_u32_e32 v35, -6, v18
	v_cndmask_b32_e32 v1, 0, v1, vcc
	v_cmp_gt_i32_e32 vcc, s33, v35
	v_add_u32_e32 v35, -5, v18
	v_cndmask_b32_e32 v34, 0, v34, vcc
	v_cmp_gt_i32_e32 vcc, s33, v35
	v_add_u32_e32 v35, -4, v18
	v_cndmask_b32_e32 v2, 0, v2, vcc
	v_cmp_gt_i32_e32 vcc, s33, v35
	v_add_u32_e32 v35, -3, v18
	v_cndmask_b32_e32 v33, 0, v33, vcc
	v_cmp_gt_i32_e32 vcc, s33, v35
	v_add_u32_e32 v35, -2, v18
	v_cndmask_b32_e32 v3, 0, v3, vcc
	v_cmp_gt_i32_e32 vcc, s33, v35
	v_add_u32_e32 v35, -1, v18
	v_cndmask_b32_e32 v32, 0, v32, vcc
	v_cmp_gt_i32_e32 vcc, s33, v35
	v_cndmask_b32_sdwa v35, v16, v4, vcc dst_sel:DWORD dst_unused:UNUSED_PAD src0_sel:DWORD src1_sel:WORD_0
	v_and_b32_e32 v4, 0xffff0000, v4
	v_cmp_gt_i32_e32 vcc, s33, v18
	v_cndmask_b32_e32 v4, 0, v4, vcc
	v_or_b32_e32 v4, v35, v4
.LBB85_37:                              ;   in Loop: Header=BB85_33 Depth=1
	s_or_b64 exec, exec, s[12:13]
	v_lshlrev_b32_e32 v34, 16, v34
	v_and_or_b32 v1, v1, s20, v34
	v_lshlrev_b32_e32 v33, 16, v33
	v_lshlrev_b32_e32 v32, 16, v32
	v_and_or_b32 v2, v2, s20, v33
	v_and_or_b32 v3, v3, s20, v32
	;;#ASMSTART
	v_pk_mul_f16 v1, v27, v1;

	;;#ASMEND
	;;#ASMSTART
	v_pk_mul_f16 v2, v28, v2;

	;;#ASMEND
	;; [unrolled: 4-line block ×4, first 2 shown]
	;;#ASMSTART
	v_pk_add_f16 v1, v1, v2;

	;;#ASMEND
	;;#ASMSTART
	v_pk_add_f16 v1, v1, v3;

	;;#ASMEND
	;; [unrolled: 4-line block ×3, first 2 shown]
	v_lshrrev_b32_e32 v2, 16, v1
	v_and_b32_e32 v1, 0xffff, v1
	;;#ASMSTART
	v_cvt_f32_f16 v32, v1;
	;;#ASMEND
	;;#ASMSTART
	v_cvt_f32_f16 v33, v2;
	;;#ASMEND
	global_load_dwordx4 v[1:4], v[7:8], off offset:2048
	s_waitcnt vmcnt(0)
	v_lshrrev_b32_e32 v34, 16, v1
	v_lshrrev_b32_e32 v8, 16, v2
	;; [unrolled: 1-line block ×3, first 2 shown]
	s_and_saveexec_b64 s[12:13], s[2:3]
	s_cbranch_execz .LBB85_39
; %bb.38:                               ;   in Loop: Header=BB85_33 Depth=1
	v_cmp_gt_i32_e32 vcc, s33, v23
	v_add_u32_e32 v35, -6, v18
	v_cndmask_b32_e32 v1, 0, v1, vcc
	v_cmp_gt_i32_e32 vcc, s33, v35
	v_add_u32_e32 v35, -5, v18
	v_cndmask_b32_e32 v34, 0, v34, vcc
	;; [unrolled: 3-line block ×6, first 2 shown]
	v_cmp_gt_i32_e32 vcc, s33, v35
	v_cndmask_b32_sdwa v35, v16, v4, vcc dst_sel:DWORD dst_unused:UNUSED_PAD src0_sel:DWORD src1_sel:WORD_0
	v_and_b32_e32 v4, 0xffff0000, v4
	v_cmp_gt_i32_e32 vcc, s33, v18
	v_cndmask_b32_e32 v4, 0, v4, vcc
	v_or_b32_e32 v4, v35, v4
.LBB85_39:                              ;   in Loop: Header=BB85_33 Depth=1
	s_or_b64 exec, exec, s[12:13]
	v_lshlrev_b32_e32 v34, 16, v34
	v_and_or_b32 v1, v1, s20, v34
	v_lshlrev_b32_e32 v8, 16, v8
	v_lshlrev_b32_e32 v7, 16, v7
	v_and_or_b32 v2, v2, s20, v8
	v_and_or_b32 v3, v3, s20, v7
	;;#ASMSTART
	v_pk_mul_f16 v1, v27, v1;

	;;#ASMEND
	;;#ASMSTART
	v_pk_mul_f16 v2, v28, v2;

	;;#ASMEND
	;; [unrolled: 4-line block ×4, first 2 shown]
	;;#ASMSTART
	v_pk_add_f16 v1, v1, v2;

	;;#ASMEND
	;;#ASMSTART
	v_pk_add_f16 v1, v1, v3;

	;;#ASMEND
	;;#ASMSTART
	v_pk_add_f16 v1, v1, v4;

	;;#ASMEND
	v_lshrrev_b32_e32 v2, 16, v1
	v_and_b32_e32 v1, 0xffff, v1
	;;#ASMSTART
	v_cvt_f32_f16 v7, v1;
	;;#ASMEND
	;;#ASMSTART
	v_cvt_f32_f16 v8, v2;
	;;#ASMEND
	s_and_saveexec_b64 s[12:13], s[0:1]
	s_cbranch_execz .LBB85_32
; %bb.40:                               ;   in Loop: Header=BB85_33 Depth=1
	v_add_co_u32_e32 v1, vcc, v30, v22
	v_addc_co_u32_e32 v2, vcc, 0, v31, vcc
	global_load_dwordx4 v[1:4], v[1:2], off
	s_waitcnt vmcnt(0)
	v_lshrrev_b32_e32 v34, 16, v1
	v_lshrrev_b32_e32 v31, 16, v2
	;; [unrolled: 1-line block ×3, first 2 shown]
	s_and_saveexec_b64 s[14:15], s[2:3]
	s_cbranch_execz .LBB85_31
; %bb.41:                               ;   in Loop: Header=BB85_33 Depth=1
	v_cmp_gt_i32_e32 vcc, s33, v23
	v_add_u32_e32 v23, -6, v18
	v_cndmask_b32_e32 v1, 0, v1, vcc
	v_cmp_gt_i32_e32 vcc, s33, v23
	v_add_u32_e32 v23, -5, v18
	v_cndmask_b32_e32 v34, 0, v34, vcc
	;; [unrolled: 3-line block ×6, first 2 shown]
	v_cmp_gt_i32_e32 vcc, s33, v23
	v_cndmask_b32_sdwa v23, v16, v4, vcc dst_sel:DWORD dst_unused:UNUSED_PAD src0_sel:DWORD src1_sel:WORD_0
	v_and_b32_e32 v4, 0xffff0000, v4
	v_cmp_gt_i32_e32 vcc, s33, v18
	v_cndmask_b32_e32 v4, 0, v4, vcc
	v_or_b32_e32 v4, v23, v4
	s_branch .LBB85_31
.LBB85_42:
	s_or_b64 exec, exec, s[6:7]
.LBB85_43:
	s_or_b64 exec, exec, s[4:5]
	ds_bpermute_b32 v2, v10, v15
	ds_bpermute_b32 v5, v10, v14
	;; [unrolled: 1-line block ×4, first 2 shown]
	v_cmp_eq_u32_e32 vcc, 0, v12
	s_waitcnt lgkmcnt(3)
	v_add_f32_e32 v3, v15, v2
	s_waitcnt lgkmcnt(2)
	v_add_f32_e32 v2, v14, v5
	v_and_b32_e32 v5, 0x3c0, v0
	s_waitcnt lgkmcnt(1)
	v_add_f32_e32 v4, v13, v1
	s_waitcnt lgkmcnt(0)
	v_add_f32_e32 v1, v17, v6
	v_cmp_eq_u32_e64 s[0:1], 64, v5
	s_barrier
	s_and_saveexec_b64 s[2:3], s[0:1]
	s_cbranch_execz .LBB85_48
; %bb.44:
	s_and_saveexec_b64 s[0:1], vcc
	s_cbranch_execz .LBB85_46
; %bb.45:
	v_mov_b32_e32 v5, 0xf0
	v_lshl_add_u32 v5, v11, 2, v5
	ds_write2_b32 v5, v4, v3 offset1:32
	ds_write_b32 v5, v2 offset:256
.LBB85_46:
	s_or_b64 exec, exec, s[0:1]
	v_or_b32_e32 v5, 0x60, v11
	s_movk_i32 s0, 0x70
	v_cmp_gt_u32_e64 s[0:1], s0, v5
	s_and_b64 s[0:1], vcc, s[0:1]
	s_and_b64 exec, exec, s[0:1]
; %bb.47:
	v_mov_b32_e32 v5, 0xf0
	v_lshl_add_u32 v5, v11, 2, v5
	ds_write_b32 v5, v1 offset:384
.LBB85_48:
	s_or_b64 exec, exec, s[2:3]
	v_cmp_gt_u32_e64 s[0:1], 64, v0
	v_lshrrev_b32_e32 v0, 1, v0
	s_waitcnt lgkmcnt(0)
	s_barrier
	s_and_saveexec_b64 s[4:5], s[0:1]
	s_cbranch_execz .LBB85_58
; %bb.49:
	s_and_saveexec_b64 s[2:3], vcc
	s_cbranch_execz .LBB85_51
; %bb.50:
	v_mov_b32_e32 v5, 0xf0
	v_lshl_add_u32 v5, v0, 2, v5
	ds_read_b32 v5, v5
	s_waitcnt lgkmcnt(0)
	v_add_f32_e32 v4, v4, v5
.LBB85_51:
	s_or_b64 exec, exec, s[2:3]
	v_or_b32_e32 v5, 32, v0
	s_movk_i32 s6, 0x70
	v_cmp_gt_u32_e64 s[2:3], s6, v5
	s_and_b64 s[12:13], vcc, s[2:3]
	s_and_saveexec_b64 s[2:3], s[12:13]
	s_cbranch_execz .LBB85_53
; %bb.52:
	v_mov_b32_e32 v5, 0xf0
	v_lshl_add_u32 v5, v0, 2, v5
	ds_read_b32 v5, v5 offset:128
	s_waitcnt lgkmcnt(0)
	v_add_f32_e32 v3, v3, v5
.LBB85_53:
	s_or_b64 exec, exec, s[2:3]
	v_or_b32_e32 v5, 64, v0
	v_cmp_gt_u32_e64 s[2:3], s6, v5
	s_and_b64 s[6:7], vcc, s[2:3]
	s_and_saveexec_b64 s[2:3], s[6:7]
	s_cbranch_execz .LBB85_55
; %bb.54:
	v_mov_b32_e32 v5, 0xf0
	v_lshl_add_u32 v5, v0, 2, v5
	ds_read_b32 v5, v5 offset:256
	s_waitcnt lgkmcnt(0)
	v_add_f32_e32 v2, v2, v5
.LBB85_55:
	s_or_b64 exec, exec, s[2:3]
	v_or_b32_e32 v5, 0x60, v0
	s_movk_i32 s2, 0x70
	v_cmp_gt_u32_e64 s[2:3], s2, v5
	s_and_b64 s[6:7], vcc, s[2:3]
	s_and_saveexec_b64 s[2:3], s[6:7]
	s_cbranch_execz .LBB85_57
; %bb.56:
	v_mov_b32_e32 v5, 0xf0
	v_lshl_add_u32 v5, v0, 2, v5
	ds_read_b32 v5, v5 offset:384
	s_waitcnt lgkmcnt(0)
	v_add_f32_e32 v1, v1, v5
.LBB85_57:
	s_or_b64 exec, exec, s[2:3]
.LBB85_58:
	s_or_b64 exec, exec, s[4:5]
	s_barrier
	s_and_saveexec_b64 s[2:3], s[0:1]
	s_cbranch_execz .LBB85_67
; %bb.59:
	s_mul_i32 s0, s10, s11
	s_mul_i32 s0, s0, s9
	s_mulk_i32 s0, 0x70
	s_ashr_i32 s1, s0, 31
	s_lshl_b64 s[0:1], s[0:1], 1
	s_add_u32 s2, s18, s0
	s_mul_i32 s0, s11, s16
	s_addc_u32 s3, s19, s1
	s_ashr_i32 s1, s0, 31
	s_lshl_b64 s[0:1], s[0:1], 1
	s_add_u32 s2, s2, s0
	s_mul_i32 s0, s8, 0x70
	s_addc_u32 s3, s3, s1
	s_ashr_i32 s1, s0, 31
	s_lshl_b64 s[0:1], s[0:1], 1
	s_add_u32 s2, s2, s0
	s_movk_i32 s4, 0x70
	s_addc_u32 s3, s3, s1
	v_lshlrev_b32_e32 v5, 1, v0
	s_and_saveexec_b64 s[0:1], vcc
	s_cbranch_execz .LBB85_61
; %bb.60:
	;;#ASMSTART
	v_cvt_f16_f32 v4, v4;

	;;#ASMEND
	global_store_short v5, v4, s[2:3]
.LBB85_61:
	s_or_b64 exec, exec, s[0:1]
	v_or_b32_e32 v4, 32, v0
	v_cmp_gt_u32_e64 s[0:1], s4, v4
	s_and_b64 s[4:5], vcc, s[0:1]
	s_and_saveexec_b64 s[0:1], s[4:5]
	s_cbranch_execz .LBB85_63
; %bb.62:
	;;#ASMSTART
	v_cvt_f16_f32 v3, v3;

	;;#ASMEND
	global_store_short v5, v3, s[2:3] offset:64
.LBB85_63:
	s_or_b64 exec, exec, s[0:1]
	v_or_b32_e32 v3, 64, v0
	s_movk_i32 s4, 0x70
	v_cmp_gt_u32_e64 s[0:1], s4, v3
	s_and_b64 s[6:7], vcc, s[0:1]
	s_and_saveexec_b64 s[0:1], s[6:7]
	s_cbranch_execz .LBB85_65
; %bb.64:
	;;#ASMSTART
	v_cvt_f16_f32 v2, v2;

	;;#ASMEND
	global_store_short v5, v2, s[2:3] offset:128
.LBB85_65:
	s_or_b64 exec, exec, s[0:1]
	v_or_b32_e32 v0, 0x60, v0
	v_cmp_gt_u32_e64 s[0:1], s4, v0
	s_and_b64 s[0:1], vcc, s[0:1]
	s_and_b64 exec, exec, s[0:1]
	s_cbranch_execz .LBB85_67
; %bb.66:
	;;#ASMSTART
	v_cvt_f16_f32 v0, v1;

	;;#ASMEND
	global_store_short v5, v0, s[2:3] offset:192
.LBB85_67:
	s_endpgm
	.section	.rodata,"a",@progbits
	.p2align	6, 0x0
	.amdhsa_kernel _ZN4vllm25paged_attention_v1_kernelIttLi112ELi16ELi128ELNS_18Fp8KVCacheDataTypeE0ELb0EEEvPT_PKS2_PKT0_S8_ifPKiSA_iPKfiiiSC_SC_iiiii
		.amdhsa_group_segment_fixed_size 240
		.amdhsa_private_segment_fixed_size 0
		.amdhsa_kernarg_size 384
		.amdhsa_user_sgpr_count 6
		.amdhsa_user_sgpr_private_segment_buffer 1
		.amdhsa_user_sgpr_dispatch_ptr 0
		.amdhsa_user_sgpr_queue_ptr 0
		.amdhsa_user_sgpr_kernarg_segment_ptr 1
		.amdhsa_user_sgpr_dispatch_id 0
		.amdhsa_user_sgpr_flat_scratch_init 0
		.amdhsa_user_sgpr_private_segment_size 0
		.amdhsa_uses_dynamic_stack 0
		.amdhsa_system_sgpr_private_segment_wavefront_offset 0
		.amdhsa_system_sgpr_workgroup_id_x 1
		.amdhsa_system_sgpr_workgroup_id_y 1
		.amdhsa_system_sgpr_workgroup_id_z 1
		.amdhsa_system_sgpr_workgroup_info 0
		.amdhsa_system_vgpr_workitem_id 0
		.amdhsa_next_free_vgpr 47
		.amdhsa_next_free_sgpr 34
		.amdhsa_reserve_vcc 1
		.amdhsa_reserve_flat_scratch 0
		.amdhsa_float_round_mode_32 0
		.amdhsa_float_round_mode_16_64 0
		.amdhsa_float_denorm_mode_32 3
		.amdhsa_float_denorm_mode_16_64 3
		.amdhsa_dx10_clamp 1
		.amdhsa_ieee_mode 1
		.amdhsa_fp16_overflow 0
		.amdhsa_exception_fp_ieee_invalid_op 0
		.amdhsa_exception_fp_denorm_src 0
		.amdhsa_exception_fp_ieee_div_zero 0
		.amdhsa_exception_fp_ieee_overflow 0
		.amdhsa_exception_fp_ieee_underflow 0
		.amdhsa_exception_fp_ieee_inexact 0
		.amdhsa_exception_int_div_zero 0
	.end_amdhsa_kernel
	.section	.text._ZN4vllm25paged_attention_v1_kernelIttLi112ELi16ELi128ELNS_18Fp8KVCacheDataTypeE0ELb0EEEvPT_PKS2_PKT0_S8_ifPKiSA_iPKfiiiSC_SC_iiiii,"axG",@progbits,_ZN4vllm25paged_attention_v1_kernelIttLi112ELi16ELi128ELNS_18Fp8KVCacheDataTypeE0ELb0EEEvPT_PKS2_PKT0_S8_ifPKiSA_iPKfiiiSC_SC_iiiii,comdat
.Lfunc_end85:
	.size	_ZN4vllm25paged_attention_v1_kernelIttLi112ELi16ELi128ELNS_18Fp8KVCacheDataTypeE0ELb0EEEvPT_PKS2_PKT0_S8_ifPKiSA_iPKfiiiSC_SC_iiiii, .Lfunc_end85-_ZN4vllm25paged_attention_v1_kernelIttLi112ELi16ELi128ELNS_18Fp8KVCacheDataTypeE0ELb0EEEvPT_PKS2_PKT0_S8_ifPKiSA_iPKfiiiSC_SC_iiiii
                                        ; -- End function
	.set _ZN4vllm25paged_attention_v1_kernelIttLi112ELi16ELi128ELNS_18Fp8KVCacheDataTypeE0ELb0EEEvPT_PKS2_PKT0_S8_ifPKiSA_iPKfiiiSC_SC_iiiii.num_vgpr, 47
	.set _ZN4vllm25paged_attention_v1_kernelIttLi112ELi16ELi128ELNS_18Fp8KVCacheDataTypeE0ELb0EEEvPT_PKS2_PKT0_S8_ifPKiSA_iPKfiiiSC_SC_iiiii.num_agpr, 0
	.set _ZN4vllm25paged_attention_v1_kernelIttLi112ELi16ELi128ELNS_18Fp8KVCacheDataTypeE0ELb0EEEvPT_PKS2_PKT0_S8_ifPKiSA_iPKfiiiSC_SC_iiiii.numbered_sgpr, 34
	.set _ZN4vllm25paged_attention_v1_kernelIttLi112ELi16ELi128ELNS_18Fp8KVCacheDataTypeE0ELb0EEEvPT_PKS2_PKT0_S8_ifPKiSA_iPKfiiiSC_SC_iiiii.num_named_barrier, 0
	.set _ZN4vllm25paged_attention_v1_kernelIttLi112ELi16ELi128ELNS_18Fp8KVCacheDataTypeE0ELb0EEEvPT_PKS2_PKT0_S8_ifPKiSA_iPKfiiiSC_SC_iiiii.private_seg_size, 0
	.set _ZN4vllm25paged_attention_v1_kernelIttLi112ELi16ELi128ELNS_18Fp8KVCacheDataTypeE0ELb0EEEvPT_PKS2_PKT0_S8_ifPKiSA_iPKfiiiSC_SC_iiiii.uses_vcc, 1
	.set _ZN4vllm25paged_attention_v1_kernelIttLi112ELi16ELi128ELNS_18Fp8KVCacheDataTypeE0ELb0EEEvPT_PKS2_PKT0_S8_ifPKiSA_iPKfiiiSC_SC_iiiii.uses_flat_scratch, 0
	.set _ZN4vllm25paged_attention_v1_kernelIttLi112ELi16ELi128ELNS_18Fp8KVCacheDataTypeE0ELb0EEEvPT_PKS2_PKT0_S8_ifPKiSA_iPKfiiiSC_SC_iiiii.has_dyn_sized_stack, 0
	.set _ZN4vllm25paged_attention_v1_kernelIttLi112ELi16ELi128ELNS_18Fp8KVCacheDataTypeE0ELb0EEEvPT_PKS2_PKT0_S8_ifPKiSA_iPKfiiiSC_SC_iiiii.has_recursion, 0
	.set _ZN4vllm25paged_attention_v1_kernelIttLi112ELi16ELi128ELNS_18Fp8KVCacheDataTypeE0ELb0EEEvPT_PKS2_PKT0_S8_ifPKiSA_iPKfiiiSC_SC_iiiii.has_indirect_call, 0
	.section	.AMDGPU.csdata,"",@progbits
; Kernel info:
; codeLenInByte = 5400
; TotalNumSgprs: 38
; NumVgprs: 47
; ScratchSize: 0
; MemoryBound: 0
; FloatMode: 240
; IeeeMode: 1
; LDSByteSize: 240 bytes/workgroup (compile time only)
; SGPRBlocks: 4
; VGPRBlocks: 11
; NumSGPRsForWavesPerEU: 38
; NumVGPRsForWavesPerEU: 47
; Occupancy: 5
; WaveLimiterHint : 1
; COMPUTE_PGM_RSRC2:SCRATCH_EN: 0
; COMPUTE_PGM_RSRC2:USER_SGPR: 6
; COMPUTE_PGM_RSRC2:TRAP_HANDLER: 0
; COMPUTE_PGM_RSRC2:TGID_X_EN: 1
; COMPUTE_PGM_RSRC2:TGID_Y_EN: 1
; COMPUTE_PGM_RSRC2:TGID_Z_EN: 1
; COMPUTE_PGM_RSRC2:TIDIG_COMP_CNT: 0
	.section	.text._ZN4vllm25paged_attention_v1_kernelIttLi120ELi16ELi128ELNS_18Fp8KVCacheDataTypeE0ELb0EEEvPT_PKS2_PKT0_S8_ifPKiSA_iPKfiiiSC_SC_iiiii,"axG",@progbits,_ZN4vllm25paged_attention_v1_kernelIttLi120ELi16ELi128ELNS_18Fp8KVCacheDataTypeE0ELb0EEEvPT_PKS2_PKT0_S8_ifPKiSA_iPKfiiiSC_SC_iiiii,comdat
	.protected	_ZN4vllm25paged_attention_v1_kernelIttLi120ELi16ELi128ELNS_18Fp8KVCacheDataTypeE0ELb0EEEvPT_PKS2_PKT0_S8_ifPKiSA_iPKfiiiSC_SC_iiiii ; -- Begin function _ZN4vllm25paged_attention_v1_kernelIttLi120ELi16ELi128ELNS_18Fp8KVCacheDataTypeE0ELb0EEEvPT_PKS2_PKT0_S8_ifPKiSA_iPKfiiiSC_SC_iiiii
	.globl	_ZN4vllm25paged_attention_v1_kernelIttLi120ELi16ELi128ELNS_18Fp8KVCacheDataTypeE0ELb0EEEvPT_PKS2_PKT0_S8_ifPKiSA_iPKfiiiSC_SC_iiiii
	.p2align	8
	.type	_ZN4vllm25paged_attention_v1_kernelIttLi120ELi16ELi128ELNS_18Fp8KVCacheDataTypeE0ELb0EEEvPT_PKS2_PKT0_S8_ifPKiSA_iPKfiiiSC_SC_iiiii,@function
_ZN4vllm25paged_attention_v1_kernelIttLi120ELi16ELi128ELNS_18Fp8KVCacheDataTypeE0ELb0EEEvPT_PKS2_PKT0_S8_ifPKiSA_iPKfiiiSC_SC_iiiii: ; @_ZN4vllm25paged_attention_v1_kernelIttLi120ELi16ELi128ELNS_18Fp8KVCacheDataTypeE0ELb0EEEvPT_PKS2_PKT0_S8_ifPKiSA_iPKfiiiSC_SC_iiiii
; %bb.0:
	s_load_dword s9, s[4:5], 0x80
	s_load_dwordx2 s[0:1], s[4:5], 0x30
	s_load_dwordx2 s[26:27], s[4:5], 0x20
	s_mov_b32 s10, s7
	s_ashr_i32 s11, s7, 31
	s_lshl_b64 s[2:3], s[10:11], 2
	s_waitcnt lgkmcnt(0)
	s_add_u32 s0, s0, s2
	s_addc_u32 s1, s1, s3
	s_abs_i32 s2, s26
	v_cvt_f32_u32_e32 v1, s2
	s_sub_i32 s11, 0, s2
	s_abs_i32 s7, s9
	s_xor_b32 s3, s9, s26
	v_rcp_iflag_f32_e32 v1, v1
	s_ashr_i32 s3, s3, 31
	s_mov_b32 s26, 0
	v_mul_f32_e32 v1, 0x4f7ffffe, v1
	v_cvt_u32_f32_e32 v1, v1
	v_readfirstlane_b32 s12, v1
	s_mul_i32 s11, s11, s12
	s_mul_hi_u32 s11, s12, s11
	s_add_i32 s12, s12, s11
	s_mul_hi_u32 s11, s7, s12
	s_mul_i32 s12, s11, s2
	s_sub_i32 s7, s7, s12
	s_add_i32 s12, s11, 1
	s_sub_i32 s13, s7, s2
	s_cmp_ge_u32 s7, s2
	s_cselect_b32 s11, s12, s11
	s_cselect_b32 s7, s13, s7
	s_add_i32 s12, s11, 1
	s_cmp_ge_u32 s7, s2
	s_cselect_b32 s2, s12, s11
	s_xor_b32 s2, s2, s3
	s_sub_i32 s12, s2, s3
	s_abs_i32 s11, s12
	v_cvt_f32_u32_e32 v1, s11
	s_load_dwordx2 s[2:3], s[4:5], 0x40
	s_sub_i32 s7, 0, s11
	s_abs_i32 s18, s6
	v_rcp_iflag_f32_e32 v1, v1
	v_mul_f32_e32 v1, 0x4f7ffffe, v1
	v_cvt_u32_f32_e32 v1, v1
	v_readfirstlane_b32 s13, v1
	s_mul_i32 s7, s7, s13
	s_mul_hi_u32 s7, s13, s7
	s_add_i32 s13, s13, s7
	s_waitcnt lgkmcnt(0)
	s_cmp_eq_u64 s[2:3], 0
	s_mul_hi_u32 s19, s18, s13
	s_cbranch_scc1 .LBB86_2
; %bb.1:
	s_ashr_i32 s7, s6, 31
	s_lshl_b64 s[14:15], s[6:7], 2
	s_add_u32 s2, s2, s14
	s_addc_u32 s3, s3, s15
	s_load_dword s26, s[2:3], 0x0
.LBB86_2:
	s_load_dword s33, s[0:1], 0x0
	s_ashr_i32 s3, s12, 31
	s_load_dwordx4 s[12:15], s[4:5], 0x48
	s_ashr_i32 s2, s6, 31
	v_and_b32_e32 v1, 3, v0
	s_mul_i32 s16, s6, 0x78
	v_cmp_gt_u32_e32 vcc, 60, v0
	v_lshlrev_b32_e32 v2, 2, v0
	s_and_saveexec_b64 s[0:1], vcc
	s_cbranch_execz .LBB86_4
; %bb.3:
	s_load_dwordx2 s[6:7], s[4:5], 0x8
	s_waitcnt lgkmcnt(0)
	s_mul_i32 s20, s12, s10
	s_ashr_i32 s21, s20, 31
	s_lshl_b64 s[20:21], s[20:21], 1
	v_and_b32_e32 v4, 0x3fc, v0
	s_add_u32 s12, s6, s20
	s_addc_u32 s15, s7, s21
	s_ashr_i32 s17, s16, 31
	s_lshl_b64 s[6:7], s[16:17], 1
	s_add_u32 s6, s12, s6
	s_addc_u32 s7, s15, s7
	global_load_dword v3, v2, s[6:7]
	v_mad_u32_u24 v4, v1, 60, v4
	s_waitcnt vmcnt(0)
	ds_write_b32 v4, v3
.LBB86_4:
	s_or_b64 exec, exec, s[0:1]
	s_waitcnt lgkmcnt(0)
	s_add_i32 s1, s33, 15
	s_ashr_i32 s6, s1, 31
	s_lshr_b32 s6, s6, 28
	s_add_i32 s1, s1, s6
	s_ashr_i32 s17, s1, 4
	s_xor_b32 s1, s2, s3
	s_mul_i32 s2, s19, s11
	s_sub_i32 s2, s18, s2
	s_add_i32 s3, s19, 1
	s_sub_i32 s6, s2, s11
	s_load_dwordx2 s[20:21], s[4:5], 0x28
	s_load_dword s0, s[4:5], 0x38
	s_cmp_ge_u32 s2, s11
	s_cselect_b32 s3, s3, s19
	s_cselect_b32 s2, s6, s2
	s_add_i32 s6, s3, 1
	s_cmp_ge_u32 s2, s11
	s_cselect_b32 s2, s6, s3
	v_lshrrev_b32_e32 v9, 6, v0
	s_xor_b32 s2, s2, s1
	s_waitcnt lgkmcnt(0)
	s_mul_i32 s22, s0, s10
	s_sub_i32 s12, s2, s1
	s_ashr_i32 s23, s22, 31
	v_cmp_le_i32_e64 s[0:1], s17, v9
	v_mbcnt_lo_u32_b32 v3, -1, 0
	s_barrier
                                        ; implicit-def: $vgpr6
                                        ; implicit-def: $vgpr8
                                        ; implicit-def: $vgpr7
	s_and_saveexec_b64 s[2:3], s[0:1]
	s_xor_b64 s[2:3], exec, s[2:3]
; %bb.5:
	v_mbcnt_hi_u32_b32 v6, -1, v3
	v_and_b32_e32 v8, 64, v6
	v_add_u32_e32 v7, 64, v8
                                        ; implicit-def: $vgpr2
                                        ; implicit-def: $vgpr1
                                        ; implicit-def: $vgpr3
; %bb.6:
	s_or_saveexec_b64 s[6:7], s[2:3]
	s_load_dwordx2 s[18:19], s[4:5], 0x0
	s_load_dwordx2 s[24:25], s[4:5], 0x18
	s_load_dword s11, s[4:5], 0x88
	v_mov_b32_e32 v10, 0xff7fffff
	s_mul_i32 s14, s12, s14
	v_lshrrev_b32_e32 v5, 4, v0
	s_xor_b64 exec, exec, s[6:7]
	s_cbranch_execz .LBB86_12
; %bb.7:
	s_load_dwordx2 s[2:3], s[4:5], 0x10
	s_ashr_i32 s15, s14, 31
	s_lshl_b64 s[4:5], s[14:15], 1
	v_bfe_u32 v4, v0, 2, 4
	v_lshlrev_b32_e32 v6, 4, v4
	s_waitcnt lgkmcnt(0)
	s_add_u32 s2, s2, s4
	s_addc_u32 s3, s3, s5
	v_mov_b32_e32 v7, s3
	v_add_co_u32_e32 v6, vcc, s2, v6
	v_addc_co_u32_e32 v7, vcc, 0, v7, vcc
	v_and_b32_e32 v2, 12, v2
	v_add_co_u32_e32 v11, vcc, v6, v2
	v_addc_co_u32_e32 v12, vcc, 0, v7, vcc
	v_mul_u32_u24_e32 v13, 60, v1
	v_cmp_eq_u32_e32 vcc, 0, v1
	s_sub_i32 s15, 1, s33
	v_lshlrev_b32_e32 v1, 2, v4
	s_lshl_b64 s[4:5], s[22:23], 2
	v_lshl_or_b32 v1, v9, 6, v1
	s_add_u32 s4, s20, s4
	v_add_u32_e32 v15, 0x100, v1
	v_and_b32_e32 v1, 60, v5
	s_addc_u32 s5, s21, s5
	v_mbcnt_hi_u32_b32 v6, -1, v3
	v_mov_b32_e32 v2, s5
	v_add_co_u32_e64 v1, s[4:5], s4, v1
	v_and_b32_e32 v8, 64, v6
	s_mov_b32 s12, s13
	v_cmp_neq_f32_e64 s[2:3], s26, 0
	v_lshl_or_b32 v14, v9, 4, v4
	v_addc_co_u32_e64 v2, s[4:5], 0, v2, s[4:5]
	v_mov_b32_e32 v10, 0xff7fffff
	s_mov_b64 s[28:29], 0
	v_add_u32_e32 v7, 64, v8
	v_xor_b32_e32 v16, 2, v6
	v_xor_b32_e32 v17, 1, v6
	v_mov_b32_e32 v18, v9
	s_branch .LBB86_9
.LBB86_8:                               ;   in Loop: Header=BB86_9 Depth=1
	s_or_b64 exec, exec, s[30:31]
	v_add_u32_e32 v18, 2, v18
	v_cmp_le_i32_e64 s[4:5], s17, v18
	s_or_b64 s[28:29], s[4:5], s[28:29]
	v_add_co_u32_e64 v1, s[4:5], 8, v1
	v_add_u32_e32 v14, 32, v14
	v_add_u32_e32 v15, 0x80, v15
	v_addc_co_u32_e64 v2, s[4:5], 0, v2, s[4:5]
	s_andn2_b64 exec, exec, s[28:29]
	s_cbranch_execz .LBB86_11
.LBB86_9:                               ; =>This Inner Loop Header: Depth=1
	global_load_dword v3, v[1:2], off
	s_waitcnt vmcnt(0) lgkmcnt(0)
	v_mad_i64_i32 v[3:4], s[4:5], v3, s12, 0
	v_lshlrev_b64 v[3:4], 1, v[3:4]
	v_add_co_u32_e64 v3, s[4:5], v11, v3
	v_addc_co_u32_e64 v4, s[4:5], v12, v4, s[4:5]
	global_load_dword v27, v[3:4], off
	global_load_dword v26, v[3:4], off offset:256
	global_load_dword v25, v[3:4], off offset:512
	;; [unrolled: 1-line block ×9, first 2 shown]
	ds_read_b32 v28, v13
	v_cmp_lt_i32_e64 s[4:5], v16, v7
	v_cndmask_b32_e64 v29, v6, v16, s[4:5]
	v_lshlrev_b32_e32 v29, 2, v29
	v_cmp_lt_i32_e64 s[4:5], v17, v7
	s_waitcnt lgkmcnt(0)
	v_lshrrev_b32_e32 v36, 16, v28
	v_and_b32_e32 v35, 0xffff, v28
	global_load_dword v34, v[3:4], off offset:2560
	global_load_dword v32, v[3:4], off offset:2816
	;; [unrolled: 1-line block ×5, first 2 shown]
	;;#ASMSTART
	v_cvt_f32_f16 v35, v35;
	;;#ASMEND
	;;#ASMSTART
	v_cvt_f32_f16 v36, v36;
	;;#ASMEND
	s_waitcnt vmcnt(14)
	v_lshrrev_b32_e32 v3, 16, v27
	v_and_b32_e32 v4, 0xffff, v27
	;;#ASMSTART
	v_cvt_f32_f16 v27, v4;
	;;#ASMEND
	;;#ASMSTART
	v_cvt_f32_f16 v37, v3;
	;;#ASMEND
	ds_read_b32 v3, v13 offset:4
	s_waitcnt vmcnt(13)
	v_and_b32_e32 v38, 0xffff, v26
	v_lshrrev_b32_e32 v26, 16, v26
	s_waitcnt vmcnt(12)
	v_and_b32_e32 v39, 0xffff, v25
	v_lshrrev_b32_e32 v40, 16, v25
	s_waitcnt lgkmcnt(0)
	v_lshrrev_b32_e32 v4, 16, v3
	v_and_b32_e32 v3, 0xffff, v3
	;;#ASMSTART
	v_cvt_f32_f16 v3, v3;
	;;#ASMEND
	;;#ASMSTART
	v_cvt_f32_f16 v4, v4;
	;;#ASMEND
	;; [unrolled: 3-line block ×4, first 2 shown]
	ds_read_b32 v38, v13 offset:8
	s_waitcnt vmcnt(11)
	v_and_b32_e32 v41, 0xffff, v24
	v_lshrrev_b32_e32 v42, 16, v24
	v_mul_f32_e32 v3, v3, v25
	s_waitcnt vmcnt(10)
	v_and_b32_e32 v43, 0xffff, v23
	s_waitcnt lgkmcnt(0)
	v_lshrrev_b32_e32 v25, 16, v38
	v_and_b32_e32 v24, 0xffff, v38
	;;#ASMSTART
	v_cvt_f32_f16 v24, v24;
	;;#ASMEND
	;;#ASMSTART
	v_cvt_f32_f16 v25, v25;
	;;#ASMEND
	;; [unrolled: 3-line block ×4, first 2 shown]
	ds_read_b32 v40, v13 offset:12
	v_lshrrev_b32_e32 v44, 16, v23
	v_mul_f32_e32 v4, v4, v26
	v_fmac_f32_e32 v3, v35, v27
	s_waitcnt vmcnt(9)
	v_and_b32_e32 v45, 0xffff, v22
	s_waitcnt lgkmcnt(0)
	v_lshrrev_b32_e32 v26, 16, v40
	v_and_b32_e32 v23, 0xffff, v40
	;;#ASMSTART
	v_cvt_f32_f16 v23, v23;
	;;#ASMEND
	;;#ASMSTART
	v_cvt_f32_f16 v26, v26;
	;;#ASMEND
	;; [unrolled: 3-line block ×4, first 2 shown]
	ds_read_b32 v40, v13 offset:16
	v_lshrrev_b32_e32 v41, 16, v22
	v_fmac_f32_e32 v3, v24, v38
	v_fmac_f32_e32 v4, v36, v37
	s_waitcnt vmcnt(8)
	v_and_b32_e32 v42, 0xffff, v21
	s_waitcnt lgkmcnt(0)
	v_lshrrev_b32_e32 v24, 16, v40
	v_and_b32_e32 v22, 0xffff, v40
	;;#ASMSTART
	v_cvt_f32_f16 v22, v22;
	;;#ASMEND
	;;#ASMSTART
	v_cvt_f32_f16 v24, v24;
	;;#ASMEND
	;; [unrolled: 3-line block ×4, first 2 shown]
	ds_read_b32 v38, v13 offset:20
	v_lshrrev_b32_e32 v40, 16, v21
	s_waitcnt vmcnt(7)
	v_and_b32_e32 v43, 0xffff, v20
	v_lshrrev_b32_e32 v44, 16, v20
	v_fmac_f32_e32 v4, v25, v39
	s_waitcnt lgkmcnt(0)
	v_lshrrev_b32_e32 v21, 16, v38
	v_and_b32_e32 v20, 0xffff, v38
	;;#ASMSTART
	v_cvt_f32_f16 v20, v20;
	;;#ASMEND
	;;#ASMSTART
	v_cvt_f32_f16 v21, v21;
	;;#ASMEND
	;; [unrolled: 3-line block ×4, first 2 shown]
	ds_read_b32 v39, v13 offset:24
	v_fmac_f32_e32 v3, v23, v27
	s_waitcnt vmcnt(6)
	v_and_b32_e32 v41, 0xffff, v19
	v_lshrrev_b32_e32 v45, 16, v19
	v_fmac_f32_e32 v4, v26, v35
	s_waitcnt lgkmcnt(0)
	v_lshrrev_b32_e32 v23, 16, v39
	v_and_b32_e32 v19, 0xffff, v39
	;;#ASMSTART
	v_cvt_f32_f16 v19, v19;
	;;#ASMEND
	;;#ASMSTART
	v_cvt_f32_f16 v23, v23;
	;;#ASMEND
	;; [unrolled: 3-line block ×4, first 2 shown]
	ds_read_b32 v35, v13 offset:28
	v_fmac_f32_e32 v3, v22, v36
	v_fmac_f32_e32 v4, v24, v37
	s_waitcnt vmcnt(5)
	v_lshrrev_b32_e32 v39, 16, v33
	v_and_b32_e32 v40, 0xffff, v33
	s_waitcnt lgkmcnt(0)
	v_lshrrev_b32_e32 v24, 16, v35
	v_and_b32_e32 v22, 0xffff, v35
	;;#ASMSTART
	v_cvt_f32_f16 v22, v22;
	;;#ASMEND
	;;#ASMSTART
	v_cvt_f32_f16 v24, v24;
	;;#ASMEND
	;; [unrolled: 3-line block ×4, first 2 shown]
	ds_read_b32 v36, v13 offset:32
	v_fmac_f32_e32 v3, v20, v25
	s_waitcnt vmcnt(4)
	v_lshrrev_b32_e32 v42, 16, v34
	v_and_b32_e32 v43, 0xffff, v34
	v_fmac_f32_e32 v4, v21, v38
	s_waitcnt lgkmcnt(0)
	v_lshrrev_b32_e32 v25, 16, v36
	v_and_b32_e32 v20, 0xffff, v36
	;;#ASMSTART
	v_cvt_f32_f16 v20, v20;
	;;#ASMEND
	;;#ASMSTART
	v_cvt_f32_f16 v25, v25;
	;;#ASMEND
	;; [unrolled: 3-line block ×4, first 2 shown]
	ds_read_b32 v37, v13 offset:36
	v_fmac_f32_e32 v3, v19, v26
	s_waitcnt vmcnt(3)
	v_lshrrev_b32_e32 v44, 16, v32
	v_and_b32_e32 v41, 0xffff, v32
	v_fmac_f32_e32 v4, v23, v27
	s_waitcnt lgkmcnt(0)
	v_lshrrev_b32_e32 v21, 16, v37
	v_and_b32_e32 v19, 0xffff, v37
	;;#ASMSTART
	v_cvt_f32_f16 v19, v19;
	;;#ASMEND
	;;#ASMSTART
	v_cvt_f32_f16 v21, v21;
	;;#ASMEND
	;; [unrolled: 3-line block ×4, first 2 shown]
	ds_read_b32 v37, v13 offset:40
	s_waitcnt vmcnt(2)
	v_lshrrev_b32_e32 v38, 16, v31
	v_and_b32_e32 v39, 0xffff, v31
	s_waitcnt vmcnt(1)
	v_lshrrev_b32_e32 v40, 16, v30
	v_and_b32_e32 v45, 0xffff, v30
	s_waitcnt lgkmcnt(0)
	v_lshrrev_b32_e32 v27, 16, v37
	v_and_b32_e32 v23, 0xffff, v37
	;;#ASMSTART
	v_cvt_f32_f16 v23, v23;
	;;#ASMEND
	;;#ASMSTART
	v_cvt_f32_f16 v27, v27;
	;;#ASMEND
	;; [unrolled: 3-line block ×4, first 2 shown]
	ds_read_b32 v37, v13 offset:44
	v_fmac_f32_e32 v3, v22, v33
	v_fmac_f32_e32 v4, v24, v35
	s_waitcnt vmcnt(0)
	v_lshrrev_b32_e32 v42, 16, v28
	v_and_b32_e32 v43, 0xffff, v28
	s_waitcnt lgkmcnt(0)
	v_lshrrev_b32_e32 v24, 16, v37
	v_and_b32_e32 v22, 0xffff, v37
	;;#ASMSTART
	v_cvt_f32_f16 v22, v22;
	;;#ASMEND
	;;#ASMSTART
	v_cvt_f32_f16 v24, v24;
	;;#ASMEND
	;;#ASMSTART
	v_cvt_f32_f16 v28, v41;
	;;#ASMEND
	;;#ASMSTART
	v_cvt_f32_f16 v33, v44;
	;;#ASMEND
	ds_read_b32 v35, v13 offset:48
	v_fmac_f32_e32 v3, v20, v34
	v_fmac_f32_e32 v4, v25, v36
	v_fmac_f32_e32 v3, v19, v26
	v_fmac_f32_e32 v4, v21, v32
	s_waitcnt lgkmcnt(0)
	v_lshrrev_b32_e32 v20, 16, v35
	v_and_b32_e32 v19, 0xffff, v35
	;;#ASMSTART
	v_cvt_f32_f16 v19, v19;
	;;#ASMEND
	;;#ASMSTART
	v_cvt_f32_f16 v20, v20;
	;;#ASMEND
	;;#ASMSTART
	v_cvt_f32_f16 v21, v39;
	;;#ASMEND
	;;#ASMSTART
	v_cvt_f32_f16 v25, v38;
	;;#ASMEND
	ds_read_b32 v26, v13 offset:52
	v_fmac_f32_e32 v3, v23, v30
	v_fmac_f32_e32 v4, v27, v31
	v_fmac_f32_e32 v3, v22, v28
	v_fmac_f32_e32 v4, v24, v33
	;; [unrolled: 20-line block ×3, first 2 shown]
	s_waitcnt lgkmcnt(0)
	v_lshrrev_b32_e32 v20, 16, v27
	v_and_b32_e32 v19, 0xffff, v27
	;;#ASMSTART
	v_cvt_f32_f16 v19, v19;
	;;#ASMEND
	;;#ASMSTART
	v_cvt_f32_f16 v20, v20;
	;;#ASMEND
	;;#ASMSTART
	v_cvt_f32_f16 v21, v43;
	;;#ASMEND
	;;#ASMSTART
	v_cvt_f32_f16 v22, v42;
	;;#ASMEND
	v_fmac_f32_e32 v3, v19, v21
	v_fmac_f32_e32 v4, v20, v22
	v_add_f32_e32 v3, v3, v4
	ds_bpermute_b32 v4, v29, v3
	v_cndmask_b32_e64 v19, v6, v17, s[4:5]
	s_waitcnt lgkmcnt(0)
	v_add_f32_e32 v3, v3, v4
	v_lshlrev_b32_e32 v4, 2, v19
	ds_bpermute_b32 v4, v4, v3
	s_and_saveexec_b64 s[30:31], vcc
	s_cbranch_execz .LBB86_8
; %bb.10:                               ;   in Loop: Header=BB86_9 Depth=1
	v_add_u32_e32 v19, s15, v14
	v_cvt_f32_i32_e32 v19, v19
	s_waitcnt lgkmcnt(0)
	v_add_f32_e32 v3, v3, v4
	v_cmp_gt_i32_e64 s[4:5], s33, v14
	v_max_f32_e32 v4, v10, v10
	v_mul_f32_e32 v19, s26, v19
	v_cndmask_b32_e64 v19, 0, v19, s[2:3]
	v_fmac_f32_e32 v19, s27, v3
	v_cndmask_b32_e64 v3, 0, v19, s[4:5]
	ds_write_b32 v15, v3
	v_max_f32_e32 v3, v4, v19
	v_cndmask_b32_e64 v10, v10, v3, s[4:5]
	s_branch .LBB86_8
.LBB86_11:
	s_or_b64 exec, exec, s[28:29]
.LBB86_12:
	s_or_b64 exec, exec, s[6:7]
	v_xor_b32_e32 v1, 32, v6
	v_cmp_lt_i32_e32 vcc, v1, v7
	v_cndmask_b32_e32 v1, v6, v1, vcc
	v_lshlrev_b32_e32 v2, 2, v1
	ds_bpermute_b32 v1, v2, v10
	s_waitcnt lgkmcnt(0)
	v_xor_b32_e32 v4, 16, v6
	v_max_f32_e32 v3, v10, v10
	v_cmp_lt_i32_e32 vcc, v4, v7
	v_xor_b32_e32 v10, 8, v6
	v_max_f32_e32 v1, v1, v1
	v_max_f32_e32 v1, v3, v1
	v_cndmask_b32_e32 v3, v6, v4, vcc
	v_lshlrev_b32_e32 v3, 2, v3
	ds_bpermute_b32 v4, v3, v1
	v_cmp_lt_i32_e32 vcc, v10, v7
	v_xor_b32_e32 v11, 4, v6
	s_waitcnt lgkmcnt(0)
	v_max_f32_e32 v4, v4, v4
	v_max_f32_e32 v1, v1, v4
	v_cndmask_b32_e32 v4, v6, v10, vcc
	v_lshlrev_b32_e32 v12, 2, v4
	ds_bpermute_b32 v4, v12, v1
	v_cmp_lt_i32_e32 vcc, v11, v7
	s_waitcnt lgkmcnt(0)
	v_max_f32_e32 v4, v4, v4
	v_max_f32_e32 v10, v1, v4
	v_cndmask_b32_e32 v1, v6, v11, vcc
	v_lshlrev_b32_e32 v13, 2, v1
	ds_bpermute_b32 v11, v13, v10
	v_and_b32_e32 v1, 63, v0
	v_cmp_eq_u32_e32 vcc, 0, v1
	v_lshlrev_b32_e32 v4, 2, v9
	s_and_saveexec_b64 s[2:3], vcc
	s_cbranch_execz .LBB86_14
; %bb.13:
	s_waitcnt lgkmcnt(0)
	v_max_f32_e32 v11, v11, v11
	v_max_f32_e32 v10, v10, v10
	;; [unrolled: 1-line block ×3, first 2 shown]
	ds_write_b32 v4, v10 offset:240
.LBB86_14:
	s_or_b64 exec, exec, s[2:3]
	v_cmp_gt_u32_e64 s[2:3], 2, v1
	v_mov_b32_e32 v14, 0xff7fffff
	s_waitcnt lgkmcnt(0)
	v_lshlrev_b32_e32 v11, 2, v1
	s_barrier
	s_and_saveexec_b64 s[4:5], s[2:3]
; %bb.15:
	ds_read_b32 v14, v11 offset:240
; %bb.16:
	s_or_b64 exec, exec, s[4:5]
	v_xor_b32_e32 v10, 1, v6
	v_cmp_lt_i32_e64 s[4:5], v10, v7
	v_cndmask_b32_e64 v10, v6, v10, s[4:5]
	v_lshlrev_b32_e32 v10, 2, v10
	s_waitcnt lgkmcnt(0)
	ds_bpermute_b32 v15, v10, v14
	v_max_f32_e32 v14, v14, v14
	v_lshlrev_b32_e32 v8, 2, v8
	s_lshl_b32 s4, s17, 4
	s_min_i32 s12, s4, s33
	s_waitcnt lgkmcnt(0)
	v_max_f32_e32 v15, v15, v15
	v_max_f32_e32 v14, v14, v15
	ds_bpermute_b32 v14, v8, v14
	v_cmp_gt_i32_e64 s[4:5], s12, v0
	v_mov_b32_e32 v8, 0
	s_and_saveexec_b64 s[26:27], s[4:5]
	s_cbranch_execz .LBB86_20
; %bb.17:
	v_mov_b32_e32 v8, 0x100
	v_lshl_add_u32 v15, v0, 2, v8
	v_mov_b32_e32 v8, 0
	s_mov_b64 s[28:29], 0
	v_mov_b32_e32 v16, v0
.LBB86_18:                              ; =>This Inner Loop Header: Depth=1
	ds_read_b32 v17, v15
	v_add_u32_e32 v16, 0x80, v16
	v_cmp_le_i32_e64 s[6:7], s12, v16
	s_or_b64 s[28:29], s[6:7], s[28:29]
	s_waitcnt lgkmcnt(0)
	v_sub_f32_e32 v17, v17, v14
	v_mul_f32_e32 v17, 0x3fb8aa3b, v17
	v_exp_f32_e32 v17, v17
	ds_write_b32 v15, v17
	v_add_f32_e32 v8, v8, v17
	v_add_u32_e32 v15, 0x200, v15
	s_andn2_b64 exec, exec, s[28:29]
	s_cbranch_execnz .LBB86_18
; %bb.19:
	s_or_b64 exec, exec, s[28:29]
.LBB86_20:
	s_or_b64 exec, exec, s[26:27]
	ds_bpermute_b32 v2, v2, v8
	s_waitcnt lgkmcnt(0)
	v_add_f32_e32 v2, v8, v2
	ds_bpermute_b32 v3, v3, v2
	v_xor_b32_e32 v8, 2, v6
	v_cmp_lt_i32_e64 s[6:7], v8, v7
	v_cndmask_b32_e64 v7, v6, v8, s[6:7]
	s_waitcnt lgkmcnt(0)
	v_add_f32_e32 v2, v2, v3
	ds_bpermute_b32 v3, v12, v2
	s_waitcnt lgkmcnt(0)
	v_add_f32_e32 v2, v2, v3
	ds_bpermute_b32 v3, v13, v2
	s_waitcnt lgkmcnt(0)
	v_add_f32_e32 v2, v2, v3
	v_lshlrev_b32_e32 v3, 2, v7
	ds_bpermute_b32 v3, v3, v2
	s_waitcnt lgkmcnt(0)
	v_add_f32_e32 v2, v2, v3
	ds_bpermute_b32 v3, v10, v2
	s_waitcnt lgkmcnt(0)
	v_add_f32_e32 v2, v2, v3
	s_and_saveexec_b64 s[6:7], vcc
; %bb.21:
	ds_write_b32 v4, v2 offset:248
; %bb.22:
	s_or_b64 exec, exec, s[6:7]
	s_waitcnt lgkmcnt(0)
	s_barrier
	s_and_saveexec_b64 s[6:7], s[2:3]
; %bb.23:
	ds_read_b32 v2, v11 offset:248
; %bb.24:
	s_or_b64 exec, exec, s[6:7]
	s_waitcnt lgkmcnt(0)
	ds_bpermute_b32 v3, v10, v2
	v_lshlrev_b32_e32 v4, 2, v6
	s_waitcnt lgkmcnt(0)
	v_add_f32_e32 v2, v2, v3
	v_and_b32_e32 v3, 0xffffff00, v4
	ds_bpermute_b32 v2, v3, v2
	s_and_saveexec_b64 s[2:3], s[4:5]
	s_cbranch_execz .LBB86_27
; %bb.25:
	s_waitcnt lgkmcnt(0)
	v_add_f32_e32 v3, 0x358637bd, v2
	v_div_scale_f32 v2, s[4:5], v3, v3, 1.0
	v_div_scale_f32 v4, vcc, 1.0, v3, 1.0
	s_mov_b64 s[4:5], 0
	v_rcp_f32_e32 v6, v2
	v_fma_f32 v7, -v2, v6, 1.0
	v_fmac_f32_e32 v6, v7, v6
	v_mul_f32_e32 v7, v4, v6
	v_fma_f32 v8, -v2, v7, v4
	v_fmac_f32_e32 v7, v8, v6
	v_fma_f32 v2, -v2, v7, v4
	v_div_fmas_f32 v4, v2, v6, v7
	v_mov_b32_e32 v2, 0x100
	v_lshl_add_u32 v2, v0, 2, v2
	v_div_fixup_f32 v3, v4, v3, 1.0
	v_mov_b32_e32 v4, v0
.LBB86_26:                              ; =>This Inner Loop Header: Depth=1
	ds_read_b32 v6, v2
	v_add_u32_e32 v4, 0x80, v4
	v_cmp_le_i32_e32 vcc, s12, v4
	s_or_b64 s[4:5], vcc, s[4:5]
	s_waitcnt lgkmcnt(0)
	v_mul_f32_e32 v6, v3, v6
	ds_write_b32 v2, v6
	v_add_u32_e32 v2, 0x200, v2
	s_andn2_b64 exec, exec, s[4:5]
	s_cbranch_execnz .LBB86_26
.LBB86_27:
	s_or_b64 exec, exec, s[2:3]
	v_lshrrev_b32_e32 v11, 1, v1
	s_waitcnt lgkmcnt(0)
	s_barrier
	s_and_saveexec_b64 s[2:3], s[0:1]
	s_xor_b64 s[0:1], exec, s[2:3]
; %bb.28:
	v_lshrrev_b32_e32 v11, 1, v1
                                        ; implicit-def: $vgpr9
                                        ; implicit-def: $vgpr5
; %bb.29:
	s_or_saveexec_b64 s[4:5], s[0:1]
	v_mov_b32_e32 v13, 0
	v_and_b32_e32 v12, 1, v0
	v_mov_b32_e32 v15, 0
	v_mov_b32_e32 v14, 0
	;; [unrolled: 1-line block ×3, first 2 shown]
	s_xor_b64 exec, exec, s[4:5]
	s_cbranch_execz .LBB86_43
; %bb.30:
	s_ashr_i32 s15, s14, 31
	v_lshlrev_b32_e32 v1, 3, v0
	s_lshl_b64 s[0:1], s[14:15], 1
	v_and_b32_e32 v1, 8, v1
	s_add_u32 s24, s24, s0
	v_or_b32_e32 v3, 0x60, v11
	s_movk_i32 s0, 0x78
	v_lshlrev_b32_e32 v4, 4, v9
	s_addc_u32 s12, s25, s1
	s_add_i32 s25, s17, -1
	v_lshl_or_b32 v2, v11, 4, v1
	v_cmp_gt_u32_e64 s[0:1], s0, v3
	v_lshl_or_b32 v3, v3, 4, v1
	v_or3_b32 v18, v4, v1, 7
	v_lshlrev_b32_e32 v1, 5, v12
	s_lshl_b64 s[2:3], s[22:23], 2
	v_lshl_or_b32 v1, v9, 6, v1
	s_add_u32 s2, s20, s2
	v_add_u32_e32 v19, 0x100, v1
	v_and_b32_e32 v1, 60, v5
	s_addc_u32 s3, s21, s3
	v_mov_b32_e32 v4, s3
	v_add_co_u32_e32 v5, vcc, s2, v1
	s_mov_b32 s26, s13
	v_mov_b32_e32 v16, 0
	v_addc_co_u32_e32 v6, vcc, 0, v4, vcc
	s_mov_b64 s[6:7], 0
	v_mov_b32_e32 v20, s12
	v_lshlrev_b32_e32 v21, 1, v2
	s_mov_b32 s20, 0xffff
	v_lshlrev_b32_e32 v22, 1, v3
	v_mov_b32_e32 v17, 0
	v_mov_b32_e32 v14, 0
	;; [unrolled: 1-line block ×4, first 2 shown]
	s_branch .LBB86_33
.LBB86_31:                              ;   in Loop: Header=BB86_33 Depth=1
	s_or_b64 exec, exec, s[14:15]
	v_lshlrev_b32_e32 v23, 16, v34
	v_and_or_b32 v1, v1, s20, v23
	v_lshlrev_b32_e32 v23, 16, v31
	v_and_or_b32 v2, v2, s20, v23
	;; [unrolled: 2-line block ×3, first 2 shown]
	;;#ASMSTART
	v_pk_mul_f16 v1, v27, v1;

	;;#ASMEND
	;;#ASMSTART
	v_pk_mul_f16 v2, v28, v2;

	;;#ASMEND
	;;#ASMSTART
	v_pk_mul_f16 v3, v29, v3;

	;;#ASMEND
	;;#ASMSTART
	v_pk_mul_f16 v4, v26, v4;

	;;#ASMEND
	;;#ASMSTART
	v_pk_add_f16 v1, v1, v2;

	;;#ASMEND
	;;#ASMSTART
	v_pk_add_f16 v1, v1, v3;

	;;#ASMEND
	;; [unrolled: 4-line block ×3, first 2 shown]
	v_lshrrev_b32_e32 v2, 16, v1
	v_and_b32_e32 v1, 0xffff, v1
	;;#ASMSTART
	v_cvt_f32_f16 v1, v1;
	;;#ASMEND
	;;#ASMSTART
	v_cvt_f32_f16 v2, v2;
	;;#ASMEND
	v_add_f32_e32 v1, v1, v2
	v_add_f32_e32 v17, v17, v1
.LBB86_32:                              ;   in Loop: Header=BB86_33 Depth=1
	s_or_b64 exec, exec, s[12:13]
	v_add_f32_e32 v1, v7, v8
	v_add_u32_e32 v9, 2, v9
	v_add_f32_e32 v14, v14, v1
	v_add_f32_e32 v1, v32, v33
	v_cmp_le_i32_e32 vcc, s17, v9
	v_add_f32_e32 v15, v15, v1
	v_add_f32_e32 v1, v24, v25
	s_or_b64 s[6:7], vcc, s[6:7]
	v_add_co_u32_e32 v5, vcc, 8, v5
	v_add_f32_e32 v13, v13, v1
	v_add_u32_e32 v18, 32, v18
	v_add_u32_e32 v19, 0x80, v19
	v_addc_co_u32_e32 v6, vcc, 0, v6, vcc
	s_andn2_b64 exec, exec, s[6:7]
	s_cbranch_execz .LBB86_42
.LBB86_33:                              ; =>This Inner Loop Header: Depth=1
	global_load_dword v7, v[5:6], off
	ds_read2_b64 v[1:4], v19 offset1:1
	ds_read2_b64 v[31:34], v19 offset0:2 offset1:3
	v_add_u32_e32 v23, -7, v18
	s_waitcnt lgkmcnt(1)
	;;#ASMSTART
	v_cvt_f16_f32 v24, v1;

	;;#ASMEND
	;;#ASMSTART
	v_cvt_f16_f32 v25, v2;

	;;#ASMEND
	;; [unrolled: 4-line block ×4, first 2 shown]
	s_waitcnt lgkmcnt(0)
	;;#ASMSTART
	v_cvt_f16_f32 v29, v31;

	;;#ASMEND
	;;#ASMSTART
	v_cvt_f16_f32 v32, v32;

	;;#ASMEND
	;; [unrolled: 4-line block ×4, first 2 shown]
	s_waitcnt vmcnt(0)
	v_mad_i64_i32 v[1:2], s[2:3], v7, s26, 0
	v_cmp_eq_u32_e64 s[2:3], s25, v9
	v_lshlrev_b64 v[1:2], 1, v[1:2]
	v_add_co_u32_e32 v30, vcc, s24, v1
	v_addc_co_u32_e32 v31, vcc, v20, v2, vcc
	v_add_co_u32_e32 v7, vcc, v30, v21
	v_addc_co_u32_e32 v8, vcc, 0, v31, vcc
	global_load_dwordx4 v[1:4], v[7:8], off
	s_waitcnt vmcnt(0)
	v_lshrrev_b32_e32 v37, 16, v1
	v_lshrrev_b32_e32 v36, 16, v2
	;; [unrolled: 1-line block ×3, first 2 shown]
	s_and_saveexec_b64 s[12:13], s[2:3]
	s_cbranch_execz .LBB86_35
; %bb.34:                               ;   in Loop: Header=BB86_33 Depth=1
	v_cmp_gt_i32_e32 vcc, s33, v23
	v_add_u32_e32 v27, -6, v18
	v_cndmask_b32_e32 v1, 0, v1, vcc
	v_cmp_gt_i32_e32 vcc, s33, v27
	v_add_u32_e32 v27, -5, v18
	v_cndmask_b32_e32 v37, 0, v37, vcc
	;; [unrolled: 3-line block ×6, first 2 shown]
	v_cmp_gt_i32_e32 vcc, s33, v27
	v_cndmask_b32_sdwa v27, v16, v4, vcc dst_sel:DWORD dst_unused:UNUSED_PAD src0_sel:DWORD src1_sel:WORD_0
	v_and_b32_e32 v4, 0xffff0000, v4
	v_cmp_gt_i32_e32 vcc, s33, v18
	v_cndmask_b32_e32 v4, 0, v4, vcc
	v_or_b32_e32 v4, v27, v4
.LBB86_35:                              ;   in Loop: Header=BB86_33 Depth=1
	s_or_b64 exec, exec, s[12:13]
	v_and_b32_e32 v24, 0xffff, v24
	v_lshl_or_b32 v27, v25, 16, v24
	v_and_b32_e32 v24, 0xffff, v26
	v_lshl_or_b32 v28, v28, 16, v24
	v_and_b32_e32 v24, 0xffff, v29
	v_lshl_or_b32 v29, v32, 16, v24
	v_and_b32_e32 v24, 0xffff, v33
	v_lshl_or_b32 v26, v34, 16, v24
	v_lshlrev_b32_e32 v24, 16, v37
	v_and_or_b32 v1, v1, s20, v24
	v_lshlrev_b32_e32 v24, 16, v36
	v_and_or_b32 v2, v2, s20, v24
	;; [unrolled: 2-line block ×3, first 2 shown]
	;;#ASMSTART
	v_pk_mul_f16 v1, v27, v1;

	;;#ASMEND
	;;#ASMSTART
	v_pk_mul_f16 v2, v28, v2;

	;;#ASMEND
	;; [unrolled: 4-line block ×4, first 2 shown]
	;;#ASMSTART
	v_pk_add_f16 v1, v1, v2;

	;;#ASMEND
	;;#ASMSTART
	v_pk_add_f16 v1, v1, v3;

	;;#ASMEND
	;; [unrolled: 4-line block ×3, first 2 shown]
	v_lshrrev_b32_e32 v2, 16, v1
	v_and_b32_e32 v1, 0xffff, v1
	;;#ASMSTART
	v_cvt_f32_f16 v24, v1;
	;;#ASMEND
	;;#ASMSTART
	v_cvt_f32_f16 v25, v2;
	;;#ASMEND
	global_load_dwordx4 v[1:4], v[7:8], off offset:1024
	s_waitcnt vmcnt(0)
	v_lshrrev_b32_e32 v34, 16, v1
	v_lshrrev_b32_e32 v33, 16, v2
	;; [unrolled: 1-line block ×3, first 2 shown]
	s_and_saveexec_b64 s[12:13], s[2:3]
	s_cbranch_execz .LBB86_37
; %bb.36:                               ;   in Loop: Header=BB86_33 Depth=1
	v_cmp_gt_i32_e32 vcc, s33, v23
	v_add_u32_e32 v35, -6, v18
	v_cndmask_b32_e32 v1, 0, v1, vcc
	v_cmp_gt_i32_e32 vcc, s33, v35
	v_add_u32_e32 v35, -5, v18
	v_cndmask_b32_e32 v34, 0, v34, vcc
	;; [unrolled: 3-line block ×6, first 2 shown]
	v_cmp_gt_i32_e32 vcc, s33, v35
	v_cndmask_b32_sdwa v35, v16, v4, vcc dst_sel:DWORD dst_unused:UNUSED_PAD src0_sel:DWORD src1_sel:WORD_0
	v_and_b32_e32 v4, 0xffff0000, v4
	v_cmp_gt_i32_e32 vcc, s33, v18
	v_cndmask_b32_e32 v4, 0, v4, vcc
	v_or_b32_e32 v4, v35, v4
.LBB86_37:                              ;   in Loop: Header=BB86_33 Depth=1
	s_or_b64 exec, exec, s[12:13]
	v_lshlrev_b32_e32 v34, 16, v34
	v_and_or_b32 v1, v1, s20, v34
	v_lshlrev_b32_e32 v33, 16, v33
	v_lshlrev_b32_e32 v32, 16, v32
	v_and_or_b32 v2, v2, s20, v33
	v_and_or_b32 v3, v3, s20, v32
	;;#ASMSTART
	v_pk_mul_f16 v1, v27, v1;

	;;#ASMEND
	;;#ASMSTART
	v_pk_mul_f16 v2, v28, v2;

	;;#ASMEND
	;; [unrolled: 4-line block ×4, first 2 shown]
	;;#ASMSTART
	v_pk_add_f16 v1, v1, v2;

	;;#ASMEND
	;;#ASMSTART
	v_pk_add_f16 v1, v1, v3;

	;;#ASMEND
	;; [unrolled: 4-line block ×3, first 2 shown]
	v_lshrrev_b32_e32 v2, 16, v1
	v_and_b32_e32 v1, 0xffff, v1
	;;#ASMSTART
	v_cvt_f32_f16 v32, v1;
	;;#ASMEND
	;;#ASMSTART
	v_cvt_f32_f16 v33, v2;
	;;#ASMEND
	global_load_dwordx4 v[1:4], v[7:8], off offset:2048
	s_waitcnt vmcnt(0)
	v_lshrrev_b32_e32 v34, 16, v1
	v_lshrrev_b32_e32 v8, 16, v2
	v_lshrrev_b32_e32 v7, 16, v3
	s_and_saveexec_b64 s[12:13], s[2:3]
	s_cbranch_execz .LBB86_39
; %bb.38:                               ;   in Loop: Header=BB86_33 Depth=1
	v_cmp_gt_i32_e32 vcc, s33, v23
	v_add_u32_e32 v35, -6, v18
	v_cndmask_b32_e32 v1, 0, v1, vcc
	v_cmp_gt_i32_e32 vcc, s33, v35
	v_add_u32_e32 v35, -5, v18
	v_cndmask_b32_e32 v34, 0, v34, vcc
	;; [unrolled: 3-line block ×6, first 2 shown]
	v_cmp_gt_i32_e32 vcc, s33, v35
	v_cndmask_b32_sdwa v35, v16, v4, vcc dst_sel:DWORD dst_unused:UNUSED_PAD src0_sel:DWORD src1_sel:WORD_0
	v_and_b32_e32 v4, 0xffff0000, v4
	v_cmp_gt_i32_e32 vcc, s33, v18
	v_cndmask_b32_e32 v4, 0, v4, vcc
	v_or_b32_e32 v4, v35, v4
.LBB86_39:                              ;   in Loop: Header=BB86_33 Depth=1
	s_or_b64 exec, exec, s[12:13]
	v_lshlrev_b32_e32 v34, 16, v34
	v_and_or_b32 v1, v1, s20, v34
	v_lshlrev_b32_e32 v8, 16, v8
	v_lshlrev_b32_e32 v7, 16, v7
	v_and_or_b32 v2, v2, s20, v8
	v_and_or_b32 v3, v3, s20, v7
	;;#ASMSTART
	v_pk_mul_f16 v1, v27, v1;

	;;#ASMEND
	;;#ASMSTART
	v_pk_mul_f16 v2, v28, v2;

	;;#ASMEND
	;;#ASMSTART
	v_pk_mul_f16 v3, v29, v3;

	;;#ASMEND
	;;#ASMSTART
	v_pk_mul_f16 v4, v26, v4;

	;;#ASMEND
	;;#ASMSTART
	v_pk_add_f16 v1, v1, v2;

	;;#ASMEND
	;;#ASMSTART
	v_pk_add_f16 v1, v1, v3;

	;;#ASMEND
	;; [unrolled: 4-line block ×3, first 2 shown]
	v_lshrrev_b32_e32 v2, 16, v1
	v_and_b32_e32 v1, 0xffff, v1
	;;#ASMSTART
	v_cvt_f32_f16 v7, v1;
	;;#ASMEND
	;;#ASMSTART
	v_cvt_f32_f16 v8, v2;
	;;#ASMEND
	s_and_saveexec_b64 s[12:13], s[0:1]
	s_cbranch_execz .LBB86_32
; %bb.40:                               ;   in Loop: Header=BB86_33 Depth=1
	v_add_co_u32_e32 v1, vcc, v30, v22
	v_addc_co_u32_e32 v2, vcc, 0, v31, vcc
	global_load_dwordx4 v[1:4], v[1:2], off
	s_waitcnt vmcnt(0)
	v_lshrrev_b32_e32 v34, 16, v1
	v_lshrrev_b32_e32 v31, 16, v2
	;; [unrolled: 1-line block ×3, first 2 shown]
	s_and_saveexec_b64 s[14:15], s[2:3]
	s_cbranch_execz .LBB86_31
; %bb.41:                               ;   in Loop: Header=BB86_33 Depth=1
	v_cmp_gt_i32_e32 vcc, s33, v23
	v_add_u32_e32 v23, -6, v18
	v_cndmask_b32_e32 v1, 0, v1, vcc
	v_cmp_gt_i32_e32 vcc, s33, v23
	v_add_u32_e32 v23, -5, v18
	v_cndmask_b32_e32 v34, 0, v34, vcc
	;; [unrolled: 3-line block ×6, first 2 shown]
	v_cmp_gt_i32_e32 vcc, s33, v23
	v_cndmask_b32_sdwa v23, v16, v4, vcc dst_sel:DWORD dst_unused:UNUSED_PAD src0_sel:DWORD src1_sel:WORD_0
	v_and_b32_e32 v4, 0xffff0000, v4
	v_cmp_gt_i32_e32 vcc, s33, v18
	v_cndmask_b32_e32 v4, 0, v4, vcc
	v_or_b32_e32 v4, v23, v4
	s_branch .LBB86_31
.LBB86_42:
	s_or_b64 exec, exec, s[6:7]
.LBB86_43:
	s_or_b64 exec, exec, s[4:5]
	ds_bpermute_b32 v2, v10, v15
	ds_bpermute_b32 v5, v10, v14
	;; [unrolled: 1-line block ×4, first 2 shown]
	v_cmp_eq_u32_e32 vcc, 0, v12
	s_waitcnt lgkmcnt(3)
	v_add_f32_e32 v3, v15, v2
	s_waitcnt lgkmcnt(2)
	v_add_f32_e32 v2, v14, v5
	v_and_b32_e32 v5, 0x3c0, v0
	s_waitcnt lgkmcnt(1)
	v_add_f32_e32 v4, v13, v1
	s_waitcnt lgkmcnt(0)
	v_add_f32_e32 v1, v17, v6
	v_cmp_eq_u32_e64 s[0:1], 64, v5
	s_barrier
	s_and_saveexec_b64 s[2:3], s[0:1]
	s_cbranch_execz .LBB86_48
; %bb.44:
	s_and_saveexec_b64 s[0:1], vcc
	s_cbranch_execz .LBB86_46
; %bb.45:
	v_mov_b32_e32 v5, 0x100
	v_lshl_add_u32 v5, v11, 2, v5
	ds_write2_b32 v5, v4, v3 offset1:32
	ds_write_b32 v5, v2 offset:256
.LBB86_46:
	s_or_b64 exec, exec, s[0:1]
	v_or_b32_e32 v5, 0x60, v11
	s_movk_i32 s0, 0x78
	v_cmp_gt_u32_e64 s[0:1], s0, v5
	s_and_b64 s[0:1], vcc, s[0:1]
	s_and_b64 exec, exec, s[0:1]
; %bb.47:
	v_mov_b32_e32 v5, 0x100
	v_lshl_add_u32 v5, v11, 2, v5
	ds_write_b32 v5, v1 offset:384
.LBB86_48:
	s_or_b64 exec, exec, s[2:3]
	v_cmp_gt_u32_e64 s[0:1], 64, v0
	v_lshrrev_b32_e32 v0, 1, v0
	s_waitcnt lgkmcnt(0)
	s_barrier
	s_and_saveexec_b64 s[4:5], s[0:1]
	s_cbranch_execz .LBB86_58
; %bb.49:
	s_and_saveexec_b64 s[2:3], vcc
	s_cbranch_execz .LBB86_51
; %bb.50:
	v_mov_b32_e32 v5, 0x100
	v_lshl_add_u32 v5, v0, 2, v5
	ds_read_b32 v5, v5
	s_waitcnt lgkmcnt(0)
	v_add_f32_e32 v4, v4, v5
.LBB86_51:
	s_or_b64 exec, exec, s[2:3]
	v_or_b32_e32 v5, 32, v0
	s_movk_i32 s6, 0x78
	v_cmp_gt_u32_e64 s[2:3], s6, v5
	s_and_b64 s[12:13], vcc, s[2:3]
	s_and_saveexec_b64 s[2:3], s[12:13]
	s_cbranch_execz .LBB86_53
; %bb.52:
	v_mov_b32_e32 v5, 0x100
	v_lshl_add_u32 v5, v0, 2, v5
	ds_read_b32 v5, v5 offset:128
	s_waitcnt lgkmcnt(0)
	v_add_f32_e32 v3, v3, v5
.LBB86_53:
	s_or_b64 exec, exec, s[2:3]
	v_or_b32_e32 v5, 64, v0
	v_cmp_gt_u32_e64 s[2:3], s6, v5
	s_and_b64 s[6:7], vcc, s[2:3]
	s_and_saveexec_b64 s[2:3], s[6:7]
	s_cbranch_execz .LBB86_55
; %bb.54:
	v_mov_b32_e32 v5, 0x100
	v_lshl_add_u32 v5, v0, 2, v5
	ds_read_b32 v5, v5 offset:256
	s_waitcnt lgkmcnt(0)
	v_add_f32_e32 v2, v2, v5
.LBB86_55:
	s_or_b64 exec, exec, s[2:3]
	v_or_b32_e32 v5, 0x60, v0
	s_movk_i32 s2, 0x78
	v_cmp_gt_u32_e64 s[2:3], s2, v5
	s_and_b64 s[6:7], vcc, s[2:3]
	s_and_saveexec_b64 s[2:3], s[6:7]
	s_cbranch_execz .LBB86_57
; %bb.56:
	v_mov_b32_e32 v5, 0x100
	v_lshl_add_u32 v5, v0, 2, v5
	ds_read_b32 v5, v5 offset:384
	s_waitcnt lgkmcnt(0)
	v_add_f32_e32 v1, v1, v5
.LBB86_57:
	s_or_b64 exec, exec, s[2:3]
.LBB86_58:
	s_or_b64 exec, exec, s[4:5]
	s_barrier
	s_and_saveexec_b64 s[2:3], s[0:1]
	s_cbranch_execz .LBB86_67
; %bb.59:
	s_mul_i32 s0, s10, s11
	s_mul_i32 s0, s0, s9
	s_mulk_i32 s0, 0x78
	s_ashr_i32 s1, s0, 31
	s_lshl_b64 s[0:1], s[0:1], 1
	s_add_u32 s2, s18, s0
	s_mul_i32 s0, s11, s16
	s_addc_u32 s3, s19, s1
	s_ashr_i32 s1, s0, 31
	s_lshl_b64 s[0:1], s[0:1], 1
	s_add_u32 s2, s2, s0
	s_mul_i32 s0, s8, 0x78
	s_addc_u32 s3, s3, s1
	s_ashr_i32 s1, s0, 31
	s_lshl_b64 s[0:1], s[0:1], 1
	s_add_u32 s2, s2, s0
	s_movk_i32 s4, 0x78
	s_addc_u32 s3, s3, s1
	v_lshlrev_b32_e32 v5, 1, v0
	s_and_saveexec_b64 s[0:1], vcc
	s_cbranch_execz .LBB86_61
; %bb.60:
	;;#ASMSTART
	v_cvt_f16_f32 v4, v4;

	;;#ASMEND
	global_store_short v5, v4, s[2:3]
.LBB86_61:
	s_or_b64 exec, exec, s[0:1]
	v_or_b32_e32 v4, 32, v0
	v_cmp_gt_u32_e64 s[0:1], s4, v4
	s_and_b64 s[4:5], vcc, s[0:1]
	s_and_saveexec_b64 s[0:1], s[4:5]
	s_cbranch_execz .LBB86_63
; %bb.62:
	;;#ASMSTART
	v_cvt_f16_f32 v3, v3;

	;;#ASMEND
	global_store_short v5, v3, s[2:3] offset:64
.LBB86_63:
	s_or_b64 exec, exec, s[0:1]
	v_or_b32_e32 v3, 64, v0
	s_movk_i32 s4, 0x78
	v_cmp_gt_u32_e64 s[0:1], s4, v3
	s_and_b64 s[6:7], vcc, s[0:1]
	s_and_saveexec_b64 s[0:1], s[6:7]
	s_cbranch_execz .LBB86_65
; %bb.64:
	;;#ASMSTART
	v_cvt_f16_f32 v2, v2;

	;;#ASMEND
	global_store_short v5, v2, s[2:3] offset:128
.LBB86_65:
	s_or_b64 exec, exec, s[0:1]
	v_or_b32_e32 v0, 0x60, v0
	v_cmp_gt_u32_e64 s[0:1], s4, v0
	s_and_b64 s[0:1], vcc, s[0:1]
	s_and_b64 exec, exec, s[0:1]
	s_cbranch_execz .LBB86_67
; %bb.66:
	;;#ASMSTART
	v_cvt_f16_f32 v0, v1;

	;;#ASMEND
	global_store_short v5, v0, s[2:3] offset:192
.LBB86_67:
	s_endpgm
	.section	.rodata,"a",@progbits
	.p2align	6, 0x0
	.amdhsa_kernel _ZN4vllm25paged_attention_v1_kernelIttLi120ELi16ELi128ELNS_18Fp8KVCacheDataTypeE0ELb0EEEvPT_PKS2_PKT0_S8_ifPKiSA_iPKfiiiSC_SC_iiiii
		.amdhsa_group_segment_fixed_size 256
		.amdhsa_private_segment_fixed_size 0
		.amdhsa_kernarg_size 384
		.amdhsa_user_sgpr_count 6
		.amdhsa_user_sgpr_private_segment_buffer 1
		.amdhsa_user_sgpr_dispatch_ptr 0
		.amdhsa_user_sgpr_queue_ptr 0
		.amdhsa_user_sgpr_kernarg_segment_ptr 1
		.amdhsa_user_sgpr_dispatch_id 0
		.amdhsa_user_sgpr_flat_scratch_init 0
		.amdhsa_user_sgpr_private_segment_size 0
		.amdhsa_uses_dynamic_stack 0
		.amdhsa_system_sgpr_private_segment_wavefront_offset 0
		.amdhsa_system_sgpr_workgroup_id_x 1
		.amdhsa_system_sgpr_workgroup_id_y 1
		.amdhsa_system_sgpr_workgroup_id_z 1
		.amdhsa_system_sgpr_workgroup_info 0
		.amdhsa_system_vgpr_workitem_id 0
		.amdhsa_next_free_vgpr 46
		.amdhsa_next_free_sgpr 34
		.amdhsa_reserve_vcc 1
		.amdhsa_reserve_flat_scratch 0
		.amdhsa_float_round_mode_32 0
		.amdhsa_float_round_mode_16_64 0
		.amdhsa_float_denorm_mode_32 3
		.amdhsa_float_denorm_mode_16_64 3
		.amdhsa_dx10_clamp 1
		.amdhsa_ieee_mode 1
		.amdhsa_fp16_overflow 0
		.amdhsa_exception_fp_ieee_invalid_op 0
		.amdhsa_exception_fp_denorm_src 0
		.amdhsa_exception_fp_ieee_div_zero 0
		.amdhsa_exception_fp_ieee_overflow 0
		.amdhsa_exception_fp_ieee_underflow 0
		.amdhsa_exception_fp_ieee_inexact 0
		.amdhsa_exception_int_div_zero 0
	.end_amdhsa_kernel
	.section	.text._ZN4vllm25paged_attention_v1_kernelIttLi120ELi16ELi128ELNS_18Fp8KVCacheDataTypeE0ELb0EEEvPT_PKS2_PKT0_S8_ifPKiSA_iPKfiiiSC_SC_iiiii,"axG",@progbits,_ZN4vllm25paged_attention_v1_kernelIttLi120ELi16ELi128ELNS_18Fp8KVCacheDataTypeE0ELb0EEEvPT_PKS2_PKT0_S8_ifPKiSA_iPKfiiiSC_SC_iiiii,comdat
.Lfunc_end86:
	.size	_ZN4vllm25paged_attention_v1_kernelIttLi120ELi16ELi128ELNS_18Fp8KVCacheDataTypeE0ELb0EEEvPT_PKS2_PKT0_S8_ifPKiSA_iPKfiiiSC_SC_iiiii, .Lfunc_end86-_ZN4vllm25paged_attention_v1_kernelIttLi120ELi16ELi128ELNS_18Fp8KVCacheDataTypeE0ELb0EEEvPT_PKS2_PKT0_S8_ifPKiSA_iPKfiiiSC_SC_iiiii
                                        ; -- End function
	.set _ZN4vllm25paged_attention_v1_kernelIttLi120ELi16ELi128ELNS_18Fp8KVCacheDataTypeE0ELb0EEEvPT_PKS2_PKT0_S8_ifPKiSA_iPKfiiiSC_SC_iiiii.num_vgpr, 46
	.set _ZN4vllm25paged_attention_v1_kernelIttLi120ELi16ELi128ELNS_18Fp8KVCacheDataTypeE0ELb0EEEvPT_PKS2_PKT0_S8_ifPKiSA_iPKfiiiSC_SC_iiiii.num_agpr, 0
	.set _ZN4vllm25paged_attention_v1_kernelIttLi120ELi16ELi128ELNS_18Fp8KVCacheDataTypeE0ELb0EEEvPT_PKS2_PKT0_S8_ifPKiSA_iPKfiiiSC_SC_iiiii.numbered_sgpr, 34
	.set _ZN4vllm25paged_attention_v1_kernelIttLi120ELi16ELi128ELNS_18Fp8KVCacheDataTypeE0ELb0EEEvPT_PKS2_PKT0_S8_ifPKiSA_iPKfiiiSC_SC_iiiii.num_named_barrier, 0
	.set _ZN4vllm25paged_attention_v1_kernelIttLi120ELi16ELi128ELNS_18Fp8KVCacheDataTypeE0ELb0EEEvPT_PKS2_PKT0_S8_ifPKiSA_iPKfiiiSC_SC_iiiii.private_seg_size, 0
	.set _ZN4vllm25paged_attention_v1_kernelIttLi120ELi16ELi128ELNS_18Fp8KVCacheDataTypeE0ELb0EEEvPT_PKS2_PKT0_S8_ifPKiSA_iPKfiiiSC_SC_iiiii.uses_vcc, 1
	.set _ZN4vllm25paged_attention_v1_kernelIttLi120ELi16ELi128ELNS_18Fp8KVCacheDataTypeE0ELb0EEEvPT_PKS2_PKT0_S8_ifPKiSA_iPKfiiiSC_SC_iiiii.uses_flat_scratch, 0
	.set _ZN4vllm25paged_attention_v1_kernelIttLi120ELi16ELi128ELNS_18Fp8KVCacheDataTypeE0ELb0EEEvPT_PKS2_PKT0_S8_ifPKiSA_iPKfiiiSC_SC_iiiii.has_dyn_sized_stack, 0
	.set _ZN4vllm25paged_attention_v1_kernelIttLi120ELi16ELi128ELNS_18Fp8KVCacheDataTypeE0ELb0EEEvPT_PKS2_PKT0_S8_ifPKiSA_iPKfiiiSC_SC_iiiii.has_recursion, 0
	.set _ZN4vllm25paged_attention_v1_kernelIttLi120ELi16ELi128ELNS_18Fp8KVCacheDataTypeE0ELb0EEEvPT_PKS2_PKT0_S8_ifPKiSA_iPKfiiiSC_SC_iiiii.has_indirect_call, 0
	.section	.AMDGPU.csdata,"",@progbits
; Kernel info:
; codeLenInByte = 5492
; TotalNumSgprs: 38
; NumVgprs: 46
; ScratchSize: 0
; MemoryBound: 0
; FloatMode: 240
; IeeeMode: 1
; LDSByteSize: 256 bytes/workgroup (compile time only)
; SGPRBlocks: 4
; VGPRBlocks: 11
; NumSGPRsForWavesPerEU: 38
; NumVGPRsForWavesPerEU: 46
; Occupancy: 5
; WaveLimiterHint : 1
; COMPUTE_PGM_RSRC2:SCRATCH_EN: 0
; COMPUTE_PGM_RSRC2:USER_SGPR: 6
; COMPUTE_PGM_RSRC2:TRAP_HANDLER: 0
; COMPUTE_PGM_RSRC2:TGID_X_EN: 1
; COMPUTE_PGM_RSRC2:TGID_Y_EN: 1
; COMPUTE_PGM_RSRC2:TGID_Z_EN: 1
; COMPUTE_PGM_RSRC2:TIDIG_COMP_CNT: 0
	.section	.text._ZN4vllm25paged_attention_v1_kernelIttLi128ELi16ELi128ELNS_18Fp8KVCacheDataTypeE0ELb0EEEvPT_PKS2_PKT0_S8_ifPKiSA_iPKfiiiSC_SC_iiiii,"axG",@progbits,_ZN4vllm25paged_attention_v1_kernelIttLi128ELi16ELi128ELNS_18Fp8KVCacheDataTypeE0ELb0EEEvPT_PKS2_PKT0_S8_ifPKiSA_iPKfiiiSC_SC_iiiii,comdat
	.protected	_ZN4vllm25paged_attention_v1_kernelIttLi128ELi16ELi128ELNS_18Fp8KVCacheDataTypeE0ELb0EEEvPT_PKS2_PKT0_S8_ifPKiSA_iPKfiiiSC_SC_iiiii ; -- Begin function _ZN4vllm25paged_attention_v1_kernelIttLi128ELi16ELi128ELNS_18Fp8KVCacheDataTypeE0ELb0EEEvPT_PKS2_PKT0_S8_ifPKiSA_iPKfiiiSC_SC_iiiii
	.globl	_ZN4vllm25paged_attention_v1_kernelIttLi128ELi16ELi128ELNS_18Fp8KVCacheDataTypeE0ELb0EEEvPT_PKS2_PKT0_S8_ifPKiSA_iPKfiiiSC_SC_iiiii
	.p2align	8
	.type	_ZN4vllm25paged_attention_v1_kernelIttLi128ELi16ELi128ELNS_18Fp8KVCacheDataTypeE0ELb0EEEvPT_PKS2_PKT0_S8_ifPKiSA_iPKfiiiSC_SC_iiiii,@function
_ZN4vllm25paged_attention_v1_kernelIttLi128ELi16ELi128ELNS_18Fp8KVCacheDataTypeE0ELb0EEEvPT_PKS2_PKT0_S8_ifPKiSA_iPKfiiiSC_SC_iiiii: ; @_ZN4vllm25paged_attention_v1_kernelIttLi128ELi16ELi128ELNS_18Fp8KVCacheDataTypeE0ELb0EEEvPT_PKS2_PKT0_S8_ifPKiSA_iPKfiiiSC_SC_iiiii
; %bb.0:
	s_load_dword s9, s[4:5], 0x80
	s_load_dwordx2 s[0:1], s[4:5], 0x30
	s_load_dwordx2 s[10:11], s[4:5], 0x20
	s_mov_b32 s16, s7
	s_ashr_i32 s17, s7, 31
	s_lshl_b64 s[2:3], s[16:17], 2
	s_waitcnt lgkmcnt(0)
	s_add_u32 s0, s0, s2
	s_addc_u32 s1, s1, s3
	s_abs_i32 s2, s10
	v_cvt_f32_u32_e32 v1, s2
	s_xor_b32 s3, s9, s10
	s_sub_i32 s10, 0, s2
	s_abs_i32 s7, s9
	v_rcp_iflag_f32_e32 v1, v1
	s_ashr_i32 s3, s3, 31
	v_mul_f32_e32 v1, 0x4f7ffffe, v1
	v_cvt_u32_f32_e32 v1, v1
	v_readfirstlane_b32 s12, v1
	s_mul_i32 s10, s10, s12
	s_mul_hi_u32 s10, s12, s10
	s_add_i32 s12, s12, s10
	s_mul_hi_u32 s10, s7, s12
	s_mul_i32 s12, s10, s2
	s_sub_i32 s7, s7, s12
	s_add_i32 s12, s10, 1
	s_sub_i32 s13, s7, s2
	s_cmp_ge_u32 s7, s2
	s_cselect_b32 s10, s12, s10
	s_cselect_b32 s7, s13, s7
	s_add_i32 s12, s10, 1
	s_cmp_ge_u32 s7, s2
	s_cselect_b32 s2, s12, s10
	s_xor_b32 s2, s2, s3
	s_sub_i32 s12, s2, s3
	s_abs_i32 s20, s12
	v_cvt_f32_u32_e32 v1, s20
	s_load_dwordx2 s[2:3], s[4:5], 0x40
	s_sub_i32 s7, 0, s20
	s_abs_i32 s21, s6
	v_rcp_iflag_f32_e32 v1, v1
	s_mov_b32 s10, 0
	v_mul_f32_e32 v1, 0x4f7ffffe, v1
	v_cvt_u32_f32_e32 v1, v1
	v_readfirstlane_b32 s13, v1
	s_mul_i32 s7, s7, s13
	s_mul_hi_u32 s7, s13, s7
	s_add_i32 s13, s13, s7
	s_waitcnt lgkmcnt(0)
	s_cmp_eq_u64 s[2:3], 0
	s_mul_hi_u32 s24, s21, s13
	s_cbranch_scc1 .LBB87_2
; %bb.1:
	s_ashr_i32 s7, s6, 31
	s_lshl_b64 s[14:15], s[6:7], 2
	s_add_u32 s2, s2, s14
	s_addc_u32 s3, s3, s15
	s_load_dword s10, s[2:3], 0x0
.LBB87_2:
	s_load_dword s17, s[0:1], 0x0
	s_ashr_i32 s25, s12, 31
	s_load_dwordx4 s[12:15], s[4:5], 0x48
	s_ashr_i32 s7, s6, 31
	v_and_b32_e32 v1, 3, v0
	s_lshl_b32 s18, s6, 7
	v_cmp_gt_u32_e64 s[0:1], 64, v0
	v_lshlrev_b32_e32 v2, 2, v0
	s_and_saveexec_b64 s[2:3], s[0:1]
	s_cbranch_execz .LBB87_4
; %bb.3:
	s_load_dwordx2 s[22:23], s[4:5], 0x8
	s_waitcnt lgkmcnt(0)
	s_mul_i32 s26, s12, s16
	s_ashr_i32 s27, s26, 31
	s_lshl_b64 s[26:27], s[26:27], 1
	v_and_b32_e32 v4, 0x3fc, v0
	s_add_u32 s6, s22, s26
	s_addc_u32 s12, s23, s27
	s_ashr_i32 s19, s18, 31
	s_lshl_b64 s[22:23], s[18:19], 1
	s_add_u32 s22, s6, s22
	s_addc_u32 s23, s12, s23
	global_load_dword v3, v2, s[22:23]
	v_lshl_add_u32 v4, v1, 6, v4
	s_waitcnt vmcnt(0)
	ds_write_b32 v4, v3
.LBB87_4:
	s_or_b64 exec, exec, s[2:3]
	s_waitcnt lgkmcnt(0)
	s_add_i32 s3, s17, 15
	s_ashr_i32 s6, s3, 31
	s_lshr_b32 s6, s6, 28
	s_add_i32 s3, s3, s6
	s_mul_i32 s6, s24, s20
	s_sub_i32 s6, s21, s6
	s_ashr_i32 s19, s3, 4
	s_xor_b32 s3, s7, s25
	s_add_i32 s7, s24, 1
	s_sub_i32 s12, s6, s20
	s_load_dwordx2 s[22:23], s[4:5], 0x28
	s_load_dword s2, s[4:5], 0x38
	s_cmp_ge_u32 s6, s20
	s_cselect_b32 s7, s7, s24
	s_cselect_b32 s6, s12, s6
	s_add_i32 s12, s7, 1
	s_cmp_ge_u32 s6, s20
	s_cselect_b32 s6, s12, s7
	v_lshrrev_b32_e32 v9, 6, v0
	s_xor_b32 s6, s6, s3
	s_waitcnt lgkmcnt(0)
	s_mul_i32 s24, s2, s16
	s_sub_i32 s15, s6, s3
	s_ashr_i32 s25, s24, 31
	v_cmp_gt_i32_e64 s[2:3], s19, v9
	v_cmp_le_i32_e32 vcc, s19, v9
	v_mbcnt_lo_u32_b32 v3, -1, 0
	s_barrier
                                        ; implicit-def: $vgpr6
                                        ; implicit-def: $vgpr8
                                        ; implicit-def: $vgpr7
	s_and_saveexec_b64 s[6:7], vcc
	s_xor_b64 s[6:7], exec, s[6:7]
; %bb.5:
	v_mbcnt_hi_u32_b32 v6, -1, v3
	v_and_b32_e32 v8, 64, v6
	v_add_u32_e32 v7, 64, v8
                                        ; implicit-def: $vgpr2
                                        ; implicit-def: $vgpr1
                                        ; implicit-def: $vgpr3
; %bb.6:
	s_or_saveexec_b64 s[28:29], s[6:7]
	s_load_dwordx2 s[20:21], s[4:5], 0x0
	s_load_dwordx2 s[26:27], s[4:5], 0x18
	s_load_dword s12, s[4:5], 0x88
	v_mov_b32_e32 v10, 0xff7fffff
	s_mul_i32 s14, s15, s14
	v_lshrrev_b32_e32 v5, 4, v0
	s_xor_b64 exec, exec, s[28:29]
	s_cbranch_execz .LBB87_12
; %bb.7:
	s_load_dwordx2 s[4:5], s[4:5], 0x10
	s_ashr_i32 s15, s14, 31
	s_lshl_b64 s[6:7], s[14:15], 1
	v_bfe_u32 v4, v0, 2, 4
	v_lshlrev_b32_e32 v6, 4, v4
	s_waitcnt lgkmcnt(0)
	s_add_u32 s4, s4, s6
	s_addc_u32 s5, s5, s7
	v_mov_b32_e32 v7, s5
	v_add_co_u32_e32 v6, vcc, s4, v6
	v_addc_co_u32_e32 v7, vcc, 0, v7, vcc
	v_and_b32_e32 v2, 12, v2
	v_add_co_u32_e32 v11, vcc, v6, v2
	v_addc_co_u32_e32 v12, vcc, 0, v7, vcc
	v_lshlrev_b32_e32 v13, 6, v1
	v_cmp_eq_u32_e32 vcc, 0, v1
	s_sub_i32 s15, 1, s17
	v_lshlrev_b32_e32 v1, 2, v4
	s_lshl_b64 s[6:7], s[24:25], 2
	v_lshl_or_b32 v1, v9, 6, v1
	s_add_u32 s6, s22, s6
	v_add_u32_e32 v15, 0x110, v1
	v_and_b32_e32 v1, 60, v5
	s_addc_u32 s7, s23, s7
	v_mbcnt_hi_u32_b32 v6, -1, v3
	v_mov_b32_e32 v2, s7
	v_add_co_u32_e64 v1, s[6:7], s6, v1
	v_and_b32_e32 v8, 64, v6
	s_mov_b32 s33, s13
	v_cmp_neq_f32_e64 s[4:5], s10, 0
	v_lshl_or_b32 v14, v9, 4, v4
	v_addc_co_u32_e64 v2, s[6:7], 0, v2, s[6:7]
	v_mov_b32_e32 v10, 0xff7fffff
	s_mov_b64 s[30:31], 0
	v_add_u32_e32 v7, 64, v8
	v_xor_b32_e32 v16, 2, v6
	v_xor_b32_e32 v17, 1, v6
	v_mov_b32_e32 v18, v9
	s_branch .LBB87_9
.LBB87_8:                               ;   in Loop: Header=BB87_9 Depth=1
	s_or_b64 exec, exec, s[34:35]
	v_add_u32_e32 v18, 2, v18
	v_cmp_le_i32_e64 s[6:7], s19, v18
	s_or_b64 s[30:31], s[6:7], s[30:31]
	v_add_co_u32_e64 v1, s[6:7], 8, v1
	v_add_u32_e32 v14, 32, v14
	v_add_u32_e32 v15, 0x80, v15
	v_addc_co_u32_e64 v2, s[6:7], 0, v2, s[6:7]
	s_andn2_b64 exec, exec, s[30:31]
	s_cbranch_execz .LBB87_11
.LBB87_9:                               ; =>This Inner Loop Header: Depth=1
	global_load_dword v3, v[1:2], off
	s_waitcnt vmcnt(0) lgkmcnt(0)
	v_mad_i64_i32 v[3:4], s[6:7], v3, s33, 0
	v_lshlrev_b64 v[3:4], 1, v[3:4]
	v_add_co_u32_e64 v3, s[6:7], v11, v3
	v_addc_co_u32_e64 v4, s[6:7], v12, v4, s[6:7]
	global_load_dword v29, v[3:4], off
	global_load_dword v28, v[3:4], off offset:256
	global_load_dword v27, v[3:4], off offset:512
	;; [unrolled: 1-line block ×10, first 2 shown]
	ds_read_b32 v30, v13
	v_cmp_lt_i32_e64 s[6:7], v16, v7
	v_cndmask_b32_e64 v31, v6, v16, s[6:7]
	v_lshlrev_b32_e32 v31, 2, v31
	v_cmp_lt_i32_e64 s[6:7], v17, v7
	s_waitcnt lgkmcnt(0)
	v_lshrrev_b32_e32 v37, 16, v30
	v_and_b32_e32 v36, 0xffff, v30
	global_load_dword v32, v[3:4], off offset:2816
	global_load_dword v33, v[3:4], off offset:3072
	;; [unrolled: 1-line block ×5, first 2 shown]
	;;#ASMSTART
	v_cvt_f32_f16 v36, v36;
	;;#ASMEND
	;;#ASMSTART
	v_cvt_f32_f16 v37, v37;
	;;#ASMEND
	s_waitcnt vmcnt(15)
	v_lshrrev_b32_e32 v3, 16, v29
	v_and_b32_e32 v4, 0xffff, v29
	;;#ASMSTART
	v_cvt_f32_f16 v29, v4;
	;;#ASMEND
	;;#ASMSTART
	v_cvt_f32_f16 v38, v3;
	;;#ASMEND
	ds_read_b32 v3, v13 offset:4
	s_waitcnt vmcnt(14)
	v_and_b32_e32 v39, 0xffff, v28
	v_lshrrev_b32_e32 v28, 16, v28
	s_waitcnt vmcnt(13)
	v_and_b32_e32 v40, 0xffff, v27
	v_lshrrev_b32_e32 v41, 16, v27
	s_waitcnt lgkmcnt(0)
	v_lshrrev_b32_e32 v4, 16, v3
	v_and_b32_e32 v3, 0xffff, v3
	;;#ASMSTART
	v_cvt_f32_f16 v3, v3;
	;;#ASMEND
	;;#ASMSTART
	v_cvt_f32_f16 v4, v4;
	;;#ASMEND
	;;#ASMSTART
	v_cvt_f32_f16 v27, v39;
	;;#ASMEND
	;;#ASMSTART
	v_cvt_f32_f16 v28, v28;
	;;#ASMEND
	ds_read_b32 v39, v13 offset:8
	s_waitcnt vmcnt(12)
	v_and_b32_e32 v42, 0xffff, v26
	v_lshrrev_b32_e32 v43, 16, v26
	s_waitcnt vmcnt(11)
	v_and_b32_e32 v44, 0xffff, v25
	v_lshrrev_b32_e32 v45, 16, v25
	s_waitcnt lgkmcnt(0)
	v_lshrrev_b32_e32 v26, 16, v39
	v_and_b32_e32 v25, 0xffff, v39
	;;#ASMSTART
	v_cvt_f32_f16 v25, v25;
	;;#ASMEND
	;;#ASMSTART
	v_cvt_f32_f16 v26, v26;
	;;#ASMEND
	;; [unrolled: 22-line block ×3, first 2 shown]
	;;#ASMSTART
	v_cvt_f32_f16 v41, v42;
	;;#ASMEND
	;;#ASMSTART
	v_cvt_f32_f16 v42, v43;
	;;#ASMEND
	ds_read_b32 v43, v13 offset:16
	s_waitcnt vmcnt(8)
	v_and_b32_e32 v50, 0xffff, v22
	v_lshrrev_b32_e32 v51, 16, v22
	v_mul_f32_e32 v3, v3, v27
	v_mul_f32_e32 v4, v4, v28
	s_waitcnt lgkmcnt(0)
	v_lshrrev_b32_e32 v27, 16, v43
	v_and_b32_e32 v22, 0xffff, v43
	;;#ASMSTART
	v_cvt_f32_f16 v22, v22;
	;;#ASMEND
	;;#ASMSTART
	v_cvt_f32_f16 v27, v27;
	;;#ASMEND
	;; [unrolled: 3-line block ×4, first 2 shown]
	ds_read_b32 v44, v13 offset:20
	s_waitcnt vmcnt(7)
	v_and_b32_e32 v45, 0xffff, v21
	v_lshrrev_b32_e32 v52, 16, v21
	v_fmac_f32_e32 v3, v36, v29
	v_fmac_f32_e32 v4, v37, v38
	s_waitcnt lgkmcnt(0)
	v_lshrrev_b32_e32 v29, 16, v44
	v_and_b32_e32 v21, 0xffff, v44
	;;#ASMSTART
	v_cvt_f32_f16 v21, v21;
	;;#ASMEND
	;;#ASMSTART
	v_cvt_f32_f16 v29, v29;
	;;#ASMEND
	;; [unrolled: 3-line block ×4, first 2 shown]
	ds_read_b32 v38, v13 offset:24
	s_waitcnt vmcnt(6)
	v_and_b32_e32 v46, 0xffff, v20
	v_lshrrev_b32_e32 v47, 16, v20
	v_fmac_f32_e32 v3, v25, v39
	s_waitcnt vmcnt(5)
	v_lshrrev_b32_e32 v53, 16, v19
	s_waitcnt lgkmcnt(0)
	v_lshrrev_b32_e32 v25, 16, v38
	v_and_b32_e32 v20, 0xffff, v38
	;;#ASMSTART
	v_cvt_f32_f16 v20, v20;
	;;#ASMEND
	;;#ASMSTART
	v_cvt_f32_f16 v25, v25;
	;;#ASMEND
	;;#ASMSTART
	v_cvt_f32_f16 v38, v48;
	;;#ASMEND
	;;#ASMSTART
	v_cvt_f32_f16 v39, v49;
	;;#ASMEND
	ds_read_b32 v44, v13 offset:28
	v_and_b32_e32 v48, 0xffff, v19
	v_fmac_f32_e32 v3, v23, v41
	v_fmac_f32_e32 v4, v26, v40
	s_waitcnt vmcnt(4)
	v_lshrrev_b32_e32 v49, 16, v32
	s_waitcnt lgkmcnt(0)
	v_lshrrev_b32_e32 v23, 16, v44
	v_and_b32_e32 v19, 0xffff, v44
	;;#ASMSTART
	v_cvt_f32_f16 v19, v19;
	;;#ASMEND
	;;#ASMSTART
	v_cvt_f32_f16 v23, v23;
	;;#ASMEND
	;;#ASMSTART
	v_cvt_f32_f16 v26, v50;
	;;#ASMEND
	;;#ASMSTART
	v_cvt_f32_f16 v40, v51;
	;;#ASMEND
	ds_read_b32 v41, v13 offset:32
	v_and_b32_e32 v44, 0xffff, v32
	v_fmac_f32_e32 v4, v24, v42
	s_waitcnt vmcnt(3)
	v_lshrrev_b32_e32 v50, 16, v33
	v_and_b32_e32 v51, 0xffff, v33
	s_waitcnt lgkmcnt(0)
	v_lshrrev_b32_e32 v32, 16, v41
	v_and_b32_e32 v24, 0xffff, v41
	;;#ASMSTART
	v_cvt_f32_f16 v24, v24;
	;;#ASMEND
	;;#ASMSTART
	v_cvt_f32_f16 v32, v32;
	;;#ASMEND
	;;#ASMSTART
	v_cvt_f32_f16 v33, v45;
	;;#ASMEND
	;;#ASMSTART
	v_cvt_f32_f16 v41, v52;
	;;#ASMEND
	ds_read_b32 v42, v13 offset:36
	v_fmac_f32_e32 v3, v22, v28
	v_fmac_f32_e32 v4, v27, v43
	s_waitcnt vmcnt(2)
	v_lshrrev_b32_e32 v45, 16, v34
	v_and_b32_e32 v52, 0xffff, v34
	s_waitcnt lgkmcnt(0)
	v_lshrrev_b32_e32 v27, 16, v42
	v_and_b32_e32 v22, 0xffff, v42
	;;#ASMSTART
	v_cvt_f32_f16 v22, v22;
	;;#ASMEND
	;;#ASMSTART
	v_cvt_f32_f16 v27, v27;
	;;#ASMEND
	;;#ASMSTART
	v_cvt_f32_f16 v28, v46;
	;;#ASMEND
	;;#ASMSTART
	v_cvt_f32_f16 v34, v47;
	;;#ASMEND
	ds_read_b32 v42, v13 offset:40
	v_fmac_f32_e32 v3, v21, v36
	;; [unrolled: 21-line block ×4, first 2 shown]
	v_fmac_f32_e32 v4, v23, v40
	v_fmac_f32_e32 v3, v24, v33
	v_fmac_f32_e32 v4, v32, v41
	s_waitcnt lgkmcnt(0)
	v_lshrrev_b32_e32 v23, 16, v38
	v_and_b32_e32 v19, 0xffff, v38
	;;#ASMSTART
	v_cvt_f32_f16 v19, v19;
	;;#ASMEND
	;;#ASMSTART
	v_cvt_f32_f16 v23, v23;
	;;#ASMEND
	;;#ASMSTART
	v_cvt_f32_f16 v24, v51;
	;;#ASMEND
	;;#ASMSTART
	v_cvt_f32_f16 v26, v50;
	;;#ASMEND
	ds_read_b32 v32, v13 offset:52
	v_fmac_f32_e32 v3, v22, v28
	v_fmac_f32_e32 v4, v27, v34
	v_fmac_f32_e32 v3, v21, v35
	v_fmac_f32_e32 v4, v29, v36
	s_waitcnt lgkmcnt(0)
	v_lshrrev_b32_e32 v22, 16, v32
	v_and_b32_e32 v21, 0xffff, v32
	;;#ASMSTART
	v_cvt_f32_f16 v21, v21;
	;;#ASMEND
	;;#ASMSTART
	v_cvt_f32_f16 v22, v22;
	;;#ASMEND
	;;#ASMSTART
	v_cvt_f32_f16 v27, v52;
	;;#ASMEND
	;;#ASMSTART
	v_cvt_f32_f16 v28, v45;
	;;#ASMEND
	ds_read_b32 v29, v13 offset:56
	v_fmac_f32_e32 v3, v20, v30
	;; [unrolled: 20-line block ×3, first 2 shown]
	v_fmac_f32_e32 v4, v22, v28
	v_fmac_f32_e32 v3, v19, v23
	;; [unrolled: 1-line block ×3, first 2 shown]
	s_waitcnt lgkmcnt(0)
	v_lshrrev_b32_e32 v20, 16, v25
	v_and_b32_e32 v19, 0xffff, v25
	;;#ASMSTART
	v_cvt_f32_f16 v19, v19;
	;;#ASMEND
	;;#ASMSTART
	v_cvt_f32_f16 v20, v20;
	;;#ASMEND
	;; [unrolled: 3-line block ×4, first 2 shown]
	v_fmac_f32_e32 v3, v19, v21
	v_fmac_f32_e32 v4, v20, v22
	v_add_f32_e32 v3, v3, v4
	ds_bpermute_b32 v4, v31, v3
	v_cndmask_b32_e64 v19, v6, v17, s[6:7]
	s_waitcnt lgkmcnt(0)
	v_add_f32_e32 v3, v3, v4
	v_lshlrev_b32_e32 v4, 2, v19
	ds_bpermute_b32 v4, v4, v3
	s_and_saveexec_b64 s[34:35], vcc
	s_cbranch_execz .LBB87_8
; %bb.10:                               ;   in Loop: Header=BB87_9 Depth=1
	v_add_u32_e32 v19, s15, v14
	v_cvt_f32_i32_e32 v19, v19
	s_waitcnt lgkmcnt(0)
	v_add_f32_e32 v3, v3, v4
	v_cmp_gt_i32_e64 s[6:7], s17, v14
	v_max_f32_e32 v4, v10, v10
	v_mul_f32_e32 v19, s10, v19
	v_cndmask_b32_e64 v19, 0, v19, s[4:5]
	v_fmac_f32_e32 v19, s11, v3
	v_cndmask_b32_e64 v3, 0, v19, s[6:7]
	ds_write_b32 v15, v3
	v_max_f32_e32 v3, v4, v19
	v_cndmask_b32_e64 v10, v10, v3, s[6:7]
	s_branch .LBB87_8
.LBB87_11:
	s_or_b64 exec, exec, s[30:31]
.LBB87_12:
	s_or_b64 exec, exec, s[28:29]
	v_xor_b32_e32 v1, 32, v6
	v_cmp_lt_i32_e32 vcc, v1, v7
	v_cndmask_b32_e32 v1, v6, v1, vcc
	v_lshlrev_b32_e32 v1, 2, v1
	ds_bpermute_b32 v2, v1, v10
	s_waitcnt lgkmcnt(0)
	v_xor_b32_e32 v4, 16, v6
	v_max_f32_e32 v3, v10, v10
	v_cmp_lt_i32_e32 vcc, v4, v7
	v_xor_b32_e32 v10, 8, v6
	v_max_f32_e32 v2, v2, v2
	v_max_f32_e32 v3, v3, v2
	v_cndmask_b32_e32 v2, v6, v4, vcc
	v_lshlrev_b32_e32 v2, 2, v2
	ds_bpermute_b32 v4, v2, v3
	v_cmp_lt_i32_e32 vcc, v10, v7
	s_waitcnt lgkmcnt(0)
	v_max_f32_e32 v4, v4, v4
	v_max_f32_e32 v3, v3, v4
	v_cndmask_b32_e32 v4, v6, v10, vcc
	v_lshlrev_b32_e32 v12, 2, v4
	ds_bpermute_b32 v4, v12, v3
	v_xor_b32_e32 v10, 4, v6
	v_cmp_lt_i32_e32 vcc, v10, v7
	s_waitcnt lgkmcnt(0)
	v_max_f32_e32 v4, v4, v4
	v_max_f32_e32 v4, v3, v4
	v_cndmask_b32_e32 v3, v6, v10, vcc
	v_lshlrev_b32_e32 v13, 2, v3
	ds_bpermute_b32 v11, v13, v4
	v_and_b32_e32 v10, 63, v0
	v_cmp_eq_u32_e32 vcc, 0, v10
	v_lshlrev_b32_e32 v3, 2, v9
	s_and_saveexec_b64 s[4:5], vcc
	s_cbranch_execz .LBB87_14
; %bb.13:
	s_waitcnt lgkmcnt(0)
	v_max_f32_e32 v11, v11, v11
	v_max_f32_e32 v4, v4, v4
	;; [unrolled: 1-line block ×3, first 2 shown]
	ds_write_b32 v3, v4 offset:256
.LBB87_14:
	s_or_b64 exec, exec, s[4:5]
	v_cmp_gt_u32_e64 s[4:5], 2, v10
	v_mov_b32_e32 v14, 0xff7fffff
	v_lshlrev_b32_e32 v4, 2, v10
	s_waitcnt lgkmcnt(0)
	s_barrier
	s_and_saveexec_b64 s[6:7], s[4:5]
; %bb.15:
	ds_read_b32 v14, v4 offset:256
; %bb.16:
	s_or_b64 exec, exec, s[6:7]
	v_xor_b32_e32 v11, 1, v6
	v_cmp_lt_i32_e64 s[6:7], v11, v7
	v_cndmask_b32_e64 v11, v6, v11, s[6:7]
	v_lshlrev_b32_e32 v11, 2, v11
	s_waitcnt lgkmcnt(0)
	ds_bpermute_b32 v15, v11, v14
	v_max_f32_e32 v14, v14, v14
	v_lshlrev_b32_e32 v8, 2, v8
	s_lshl_b32 s6, s19, 4
	s_min_i32 s15, s6, s17
	s_waitcnt lgkmcnt(0)
	v_max_f32_e32 v15, v15, v15
	v_max_f32_e32 v14, v14, v15
	ds_bpermute_b32 v14, v8, v14
	v_cmp_gt_i32_e64 s[6:7], s15, v0
	v_mov_b32_e32 v8, 0
	s_and_saveexec_b64 s[28:29], s[6:7]
	s_cbranch_execz .LBB87_20
; %bb.17:
	v_mov_b32_e32 v8, 0x110
	v_lshl_add_u32 v15, v0, 2, v8
	v_mov_b32_e32 v8, 0
	s_mov_b64 s[30:31], 0
	v_mov_b32_e32 v16, v0
.LBB87_18:                              ; =>This Inner Loop Header: Depth=1
	ds_read_b32 v17, v15
	v_add_u32_e32 v16, 0x80, v16
	v_cmp_le_i32_e64 s[10:11], s15, v16
	s_or_b64 s[30:31], s[10:11], s[30:31]
	s_waitcnt lgkmcnt(0)
	v_sub_f32_e32 v17, v17, v14
	v_mul_f32_e32 v17, 0x3fb8aa3b, v17
	v_exp_f32_e32 v17, v17
	ds_write_b32 v15, v17
	v_add_f32_e32 v8, v8, v17
	v_add_u32_e32 v15, 0x200, v15
	s_andn2_b64 exec, exec, s[30:31]
	s_cbranch_execnz .LBB87_18
; %bb.19:
	s_or_b64 exec, exec, s[30:31]
.LBB87_20:
	s_or_b64 exec, exec, s[28:29]
	ds_bpermute_b32 v1, v1, v8
	s_waitcnt lgkmcnt(0)
	v_add_f32_e32 v1, v8, v1
	ds_bpermute_b32 v2, v2, v1
	v_xor_b32_e32 v8, 2, v6
	v_cmp_lt_i32_e64 s[10:11], v8, v7
	v_cndmask_b32_e64 v7, v6, v8, s[10:11]
	s_waitcnt lgkmcnt(0)
	v_add_f32_e32 v1, v1, v2
	ds_bpermute_b32 v2, v12, v1
	s_waitcnt lgkmcnt(0)
	v_add_f32_e32 v1, v1, v2
	ds_bpermute_b32 v2, v13, v1
	s_waitcnt lgkmcnt(0)
	v_add_f32_e32 v1, v1, v2
	v_lshlrev_b32_e32 v2, 2, v7
	ds_bpermute_b32 v2, v2, v1
	s_waitcnt lgkmcnt(0)
	v_add_f32_e32 v1, v1, v2
	ds_bpermute_b32 v2, v11, v1
	s_waitcnt lgkmcnt(0)
	v_add_f32_e32 v1, v1, v2
	s_and_saveexec_b64 s[10:11], vcc
; %bb.21:
	ds_write_b32 v3, v1 offset:264
; %bb.22:
	s_or_b64 exec, exec, s[10:11]
	s_waitcnt lgkmcnt(0)
	s_barrier
	s_and_saveexec_b64 s[10:11], s[4:5]
; %bb.23:
	ds_read_b32 v1, v4 offset:264
; %bb.24:
	s_or_b64 exec, exec, s[10:11]
	s_waitcnt lgkmcnt(0)
	ds_bpermute_b32 v2, v11, v1
	v_lshlrev_b32_e32 v3, 2, v6
	s_waitcnt lgkmcnt(0)
	v_add_f32_e32 v1, v1, v2
	v_and_b32_e32 v2, 0xffffff00, v3
	ds_bpermute_b32 v1, v2, v1
	s_and_saveexec_b64 s[4:5], s[6:7]
	s_cbranch_execz .LBB87_27
; %bb.25:
	s_waitcnt lgkmcnt(0)
	v_add_f32_e32 v2, 0x358637bd, v1
	v_div_scale_f32 v1, s[6:7], v2, v2, 1.0
	v_div_scale_f32 v3, vcc, 1.0, v2, 1.0
	s_mov_b64 s[6:7], 0
	v_rcp_f32_e32 v4, v1
	v_fma_f32 v6, -v1, v4, 1.0
	v_fmac_f32_e32 v4, v6, v4
	v_mul_f32_e32 v6, v3, v4
	v_fma_f32 v7, -v1, v6, v3
	v_fmac_f32_e32 v6, v7, v4
	v_fma_f32 v1, -v1, v6, v3
	v_div_fmas_f32 v3, v1, v4, v6
	v_mov_b32_e32 v1, 0x110
	v_lshl_add_u32 v1, v0, 2, v1
	v_div_fixup_f32 v2, v3, v2, 1.0
	v_mov_b32_e32 v3, v0
.LBB87_26:                              ; =>This Inner Loop Header: Depth=1
	ds_read_b32 v4, v1
	v_add_u32_e32 v3, 0x80, v3
	v_cmp_le_i32_e32 vcc, s15, v3
	s_or_b64 s[6:7], vcc, s[6:7]
	s_waitcnt lgkmcnt(0)
	v_mul_f32_e32 v4, v2, v4
	ds_write_b32 v1, v4
	v_add_u32_e32 v1, 0x200, v1
	s_andn2_b64 exec, exec, s[6:7]
	s_cbranch_execnz .LBB87_26
.LBB87_27:
	s_or_b64 exec, exec, s[4:5]
	v_mov_b32_e32 v14, 0
	v_and_b32_e32 v12, 1, v0
	v_mov_b32_e32 v16, 0
	v_mov_b32_e32 v15, 0
	;; [unrolled: 1-line block ×3, first 2 shown]
	s_waitcnt lgkmcnt(0)
	s_barrier
	s_and_saveexec_b64 s[4:5], s[2:3]
	s_cbranch_execz .LBB87_39
; %bb.28:
	s_ashr_i32 s15, s14, 31
	s_lshl_b64 s[2:3], s[14:15], 1
	v_lshlrev_b32_e32 v2, 4, v0
	v_lshlrev_b32_e32 v1, 3, v0
	s_add_u32 s2, s26, s2
	v_and_b32_e32 v2, 0x3f0, v2
	v_and_b32_e32 v1, 8, v1
	s_addc_u32 s3, s27, s3
	v_add_co_u32_e32 v18, vcc, s2, v2
	v_lshlrev_b32_e32 v2, 4, v9
	s_add_i32 s14, s19, -1
	v_mov_b32_e32 v3, s3
	v_or3_b32 v20, v2, v1, 7
	v_lshlrev_b32_e32 v1, 5, v12
	s_lshl_b64 s[2:3], s[24:25], 2
	v_lshl_or_b32 v1, v9, 6, v1
	s_add_u32 s2, s22, s2
	v_addc_co_u32_e32 v19, vcc, 0, v3, vcc
	v_add_u32_e32 v21, 0x110, v1
	v_and_b32_e32 v1, 60, v5
	s_addc_u32 s3, s23, s3
	v_mov_b32_e32 v2, s3
	v_add_co_u32_e32 v5, vcc, s2, v1
	v_mov_b32_e32 v17, 0
	v_addc_co_u32_e32 v6, vcc, 0, v2, vcc
	s_mov_b64 s[6:7], 0
	s_mov_b32 s15, 0xffff
	v_mov_b32_e32 v13, 0
	v_mov_b32_e32 v15, 0
	;; [unrolled: 1-line block ×4, first 2 shown]
	s_branch .LBB87_30
.LBB87_29:                              ;   in Loop: Header=BB87_30 Depth=1
	s_or_b64 exec, exec, s[10:11]
	v_add_f32_e32 v22, v37, v38
	v_add_f32_e32 v15, v15, v22
	;; [unrolled: 1-line block ×6, first 2 shown]
	v_lshlrev_b32_e32 v22, 16, v39
	v_and_or_b32 v1, v1, s15, v22
	v_lshlrev_b32_e32 v8, 16, v8
	v_lshlrev_b32_e32 v7, 16, v7
	v_and_or_b32 v2, v2, s15, v8
	v_and_or_b32 v3, v3, s15, v7
	;;#ASMSTART
	v_pk_mul_f16 v1, v29, v1;

	;;#ASMEND
	;;#ASMSTART
	v_pk_mul_f16 v2, v30, v2;

	;;#ASMEND
	;; [unrolled: 4-line block ×4, first 2 shown]
	;;#ASMSTART
	v_pk_add_f16 v1, v1, v2;

	;;#ASMEND
	;;#ASMSTART
	v_pk_add_f16 v1, v1, v3;

	;;#ASMEND
	;; [unrolled: 4-line block ×3, first 2 shown]
	v_lshrrev_b32_e32 v2, 16, v1
	v_and_b32_e32 v1, 0xffff, v1
	v_add_u32_e32 v9, 2, v9
	;;#ASMSTART
	v_cvt_f32_f16 v1, v1;
	;;#ASMEND
	v_cmp_le_i32_e32 vcc, s19, v9
	;;#ASMSTART
	v_cvt_f32_f16 v2, v2;
	;;#ASMEND
	v_add_f32_e32 v1, v1, v2
	s_or_b64 s[6:7], vcc, s[6:7]
	v_add_co_u32_e32 v5, vcc, 8, v5
	v_add_f32_e32 v13, v13, v1
	v_add_u32_e32 v20, 32, v20
	v_add_u32_e32 v21, 0x80, v21
	v_addc_co_u32_e32 v6, vcc, 0, v6, vcc
	s_andn2_b64 exec, exec, s[6:7]
	s_cbranch_execz .LBB87_38
.LBB87_30:                              ; =>This Inner Loop Header: Depth=1
	global_load_dword v7, v[5:6], off
	ds_read2_b64 v[1:4], v21 offset1:1
	ds_read2_b64 v[22:25], v21 offset0:2 offset1:3
	v_add_u32_e32 v28, -6, v20
	v_add_u32_e32 v27, -5, v20
	s_waitcnt lgkmcnt(1)
	;;#ASMSTART
	v_cvt_f16_f32 v29, v1;

	;;#ASMEND
	;;#ASMSTART
	v_cvt_f16_f32 v30, v2;

	;;#ASMEND
	;; [unrolled: 4-line block ×4, first 2 shown]
	s_waitcnt lgkmcnt(0)
	;;#ASMSTART
	v_cvt_f16_f32 v33, v22;

	;;#ASMEND
	;;#ASMSTART
	v_cvt_f16_f32 v34, v23;

	;;#ASMEND
	;; [unrolled: 4-line block ×4, first 2 shown]
	v_add_u32_e32 v22, -7, v20
	v_add_u32_e32 v25, -4, v20
	;; [unrolled: 1-line block ×5, first 2 shown]
	s_waitcnt vmcnt(0)
	v_mad_i64_i32 v[1:2], s[2:3], v7, s13, 0
	v_cmp_eq_u32_e64 s[2:3], s14, v9
	v_lshlrev_b64 v[1:2], 1, v[1:2]
	v_add_co_u32_e32 v7, vcc, v18, v1
	v_addc_co_u32_e32 v8, vcc, v19, v2, vcc
	global_load_dwordx4 v[1:4], v[7:8], off
	s_waitcnt vmcnt(0)
	v_lshrrev_b32_e32 v39, 16, v1
	v_lshrrev_b32_e32 v38, 16, v2
	;; [unrolled: 1-line block ×3, first 2 shown]
	s_and_saveexec_b64 s[10:11], s[2:3]
	s_cbranch_execz .LBB87_32
; %bb.31:                               ;   in Loop: Header=BB87_30 Depth=1
	v_cmp_gt_i32_e32 vcc, s17, v22
	v_cndmask_b32_e32 v1, 0, v1, vcc
	v_cmp_gt_i32_e32 vcc, s17, v28
	v_cndmask_b32_e32 v39, 0, v39, vcc
	;; [unrolled: 2-line block ×6, first 2 shown]
	v_cmp_gt_i32_e32 vcc, s17, v26
	v_cndmask_b32_sdwa v40, v17, v4, vcc dst_sel:DWORD dst_unused:UNUSED_PAD src0_sel:DWORD src1_sel:WORD_0
	v_and_b32_e32 v4, 0xffff0000, v4
	v_cmp_gt_i32_e32 vcc, s17, v20
	v_cndmask_b32_e32 v4, 0, v4, vcc
	v_or_b32_e32 v4, v40, v4
.LBB87_32:                              ;   in Loop: Header=BB87_30 Depth=1
	s_or_b64 exec, exec, s[10:11]
	v_and_b32_e32 v29, 0xffff, v29
	v_lshl_or_b32 v29, v30, 16, v29
	v_and_b32_e32 v30, 0xffff, v31
	v_and_b32_e32 v31, 0xffff, v33
	v_lshlrev_b32_e32 v33, 16, v39
	v_and_or_b32 v1, v1, s15, v33
	v_lshlrev_b32_e32 v33, 16, v38
	v_and_or_b32 v2, v2, s15, v33
	v_lshlrev_b32_e32 v33, 16, v37
	v_lshl_or_b32 v30, v32, 16, v30
	v_and_b32_e32 v32, 0xffff, v35
	v_and_or_b32 v3, v3, s15, v33
	;;#ASMSTART
	v_pk_mul_f16 v1, v29, v1;

	;;#ASMEND
	v_lshl_or_b32 v31, v34, 16, v31
	v_lshl_or_b32 v32, v36, 16, v32
	;;#ASMSTART
	v_pk_mul_f16 v2, v30, v2;

	;;#ASMEND
	;;#ASMSTART
	v_pk_mul_f16 v3, v31, v3;

	;;#ASMEND
	;; [unrolled: 4-line block ×3, first 2 shown]
	;;#ASMSTART
	v_pk_add_f16 v1, v1, v2;

	;;#ASMEND
	;;#ASMSTART
	v_pk_add_f16 v1, v1, v3;

	;;#ASMEND
	;; [unrolled: 4-line block ×3, first 2 shown]
	v_lshrrev_b32_e32 v2, 16, v1
	v_and_b32_e32 v1, 0xffff, v1
	;;#ASMSTART
	v_cvt_f32_f16 v33, v1;
	;;#ASMEND
	;;#ASMSTART
	v_cvt_f32_f16 v34, v2;
	;;#ASMEND
	global_load_dwordx4 v[1:4], v[7:8], off offset:1024
	s_waitcnt vmcnt(0)
	v_lshrrev_b32_e32 v37, 16, v1
	v_lshrrev_b32_e32 v36, 16, v2
	;; [unrolled: 1-line block ×3, first 2 shown]
	s_and_saveexec_b64 s[10:11], s[2:3]
	s_cbranch_execz .LBB87_34
; %bb.33:                               ;   in Loop: Header=BB87_30 Depth=1
	v_cmp_gt_i32_e32 vcc, s17, v22
	v_cndmask_b32_e32 v1, 0, v1, vcc
	v_cmp_gt_i32_e32 vcc, s17, v28
	v_cndmask_b32_e32 v37, 0, v37, vcc
	v_cmp_gt_i32_e32 vcc, s17, v27
	v_cndmask_b32_e32 v2, 0, v2, vcc
	v_cmp_gt_i32_e32 vcc, s17, v25
	v_cndmask_b32_e32 v36, 0, v36, vcc
	v_cmp_gt_i32_e32 vcc, s17, v24
	v_cndmask_b32_e32 v3, 0, v3, vcc
	v_cmp_gt_i32_e32 vcc, s17, v23
	v_cndmask_b32_e32 v35, 0, v35, vcc
	v_cmp_gt_i32_e32 vcc, s17, v26
	v_cndmask_b32_sdwa v38, v17, v4, vcc dst_sel:DWORD dst_unused:UNUSED_PAD src0_sel:DWORD src1_sel:WORD_0
	v_and_b32_e32 v4, 0xffff0000, v4
	v_cmp_gt_i32_e32 vcc, s17, v20
	v_cndmask_b32_e32 v4, 0, v4, vcc
	v_or_b32_e32 v4, v38, v4
.LBB87_34:                              ;   in Loop: Header=BB87_30 Depth=1
	s_or_b64 exec, exec, s[10:11]
	v_lshlrev_b32_e32 v37, 16, v37
	v_and_or_b32 v1, v1, s15, v37
	v_lshlrev_b32_e32 v36, 16, v36
	v_lshlrev_b32_e32 v35, 16, v35
	v_and_or_b32 v2, v2, s15, v36
	v_and_or_b32 v3, v3, s15, v35
	;;#ASMSTART
	v_pk_mul_f16 v1, v29, v1;

	;;#ASMEND
	;;#ASMSTART
	v_pk_mul_f16 v2, v30, v2;

	;;#ASMEND
	;; [unrolled: 4-line block ×4, first 2 shown]
	;;#ASMSTART
	v_pk_add_f16 v1, v1, v2;

	;;#ASMEND
	;;#ASMSTART
	v_pk_add_f16 v1, v1, v3;

	;;#ASMEND
	;; [unrolled: 4-line block ×3, first 2 shown]
	v_lshrrev_b32_e32 v2, 16, v1
	v_and_b32_e32 v1, 0xffff, v1
	;;#ASMSTART
	v_cvt_f32_f16 v35, v1;
	;;#ASMEND
	;;#ASMSTART
	v_cvt_f32_f16 v36, v2;
	;;#ASMEND
	global_load_dwordx4 v[1:4], v[7:8], off offset:2048
	s_waitcnt vmcnt(0)
	v_lshrrev_b32_e32 v39, 16, v1
	v_lshrrev_b32_e32 v38, 16, v2
	;; [unrolled: 1-line block ×3, first 2 shown]
	s_and_saveexec_b64 s[10:11], s[2:3]
	s_cbranch_execz .LBB87_36
; %bb.35:                               ;   in Loop: Header=BB87_30 Depth=1
	v_cmp_gt_i32_e32 vcc, s17, v22
	v_cndmask_b32_e32 v1, 0, v1, vcc
	v_cmp_gt_i32_e32 vcc, s17, v28
	v_cndmask_b32_e32 v39, 0, v39, vcc
	;; [unrolled: 2-line block ×6, first 2 shown]
	v_cmp_gt_i32_e32 vcc, s17, v26
	v_cndmask_b32_sdwa v40, v17, v4, vcc dst_sel:DWORD dst_unused:UNUSED_PAD src0_sel:DWORD src1_sel:WORD_0
	v_and_b32_e32 v4, 0xffff0000, v4
	v_cmp_gt_i32_e32 vcc, s17, v20
	v_cndmask_b32_e32 v4, 0, v4, vcc
	v_or_b32_e32 v4, v40, v4
.LBB87_36:                              ;   in Loop: Header=BB87_30 Depth=1
	s_or_b64 exec, exec, s[10:11]
	v_lshlrev_b32_e32 v39, 16, v39
	v_and_or_b32 v1, v1, s15, v39
	v_lshlrev_b32_e32 v38, 16, v38
	v_lshlrev_b32_e32 v37, 16, v37
	v_and_or_b32 v2, v2, s15, v38
	v_and_or_b32 v3, v3, s15, v37
	;;#ASMSTART
	v_pk_mul_f16 v1, v29, v1;

	;;#ASMEND
	;;#ASMSTART
	v_pk_mul_f16 v2, v30, v2;

	;;#ASMEND
	;; [unrolled: 4-line block ×4, first 2 shown]
	;;#ASMSTART
	v_pk_add_f16 v1, v1, v2;

	;;#ASMEND
	;;#ASMSTART
	v_pk_add_f16 v1, v1, v3;

	;;#ASMEND
	;; [unrolled: 4-line block ×3, first 2 shown]
	v_lshrrev_b32_e32 v2, 16, v1
	v_and_b32_e32 v1, 0xffff, v1
	;;#ASMSTART
	v_cvt_f32_f16 v37, v1;
	;;#ASMEND
	;;#ASMSTART
	v_cvt_f32_f16 v38, v2;
	;;#ASMEND
	global_load_dwordx4 v[1:4], v[7:8], off offset:3072
	s_waitcnt vmcnt(0)
	v_lshrrev_b32_e32 v39, 16, v1
	v_lshrrev_b32_e32 v8, 16, v2
	;; [unrolled: 1-line block ×3, first 2 shown]
	s_and_saveexec_b64 s[10:11], s[2:3]
	s_cbranch_execz .LBB87_29
; %bb.37:                               ;   in Loop: Header=BB87_30 Depth=1
	v_cmp_gt_i32_e32 vcc, s17, v22
	v_cndmask_b32_e32 v1, 0, v1, vcc
	v_cmp_gt_i32_e32 vcc, s17, v28
	v_cndmask_b32_e32 v39, 0, v39, vcc
	;; [unrolled: 2-line block ×6, first 2 shown]
	v_cmp_gt_i32_e32 vcc, s17, v26
	v_cndmask_b32_sdwa v22, v17, v4, vcc dst_sel:DWORD dst_unused:UNUSED_PAD src0_sel:DWORD src1_sel:WORD_0
	v_and_b32_e32 v4, 0xffff0000, v4
	v_cmp_gt_i32_e32 vcc, s17, v20
	v_cndmask_b32_e32 v4, 0, v4, vcc
	v_or_b32_e32 v4, v22, v4
	s_branch .LBB87_29
.LBB87_38:
	s_or_b64 exec, exec, s[6:7]
.LBB87_39:
	s_or_b64 exec, exec, s[4:5]
	ds_bpermute_b32 v2, v11, v16
	ds_bpermute_b32 v5, v11, v15
	;; [unrolled: 1-line block ×4, first 2 shown]
	s_waitcnt lgkmcnt(0)
	v_add_f32_e32 v3, v16, v2
	v_add_f32_e32 v2, v15, v5
	v_and_b32_e32 v5, 0x3c1, v0
	v_add_f32_e32 v4, v14, v1
	v_add_f32_e32 v1, v13, v6
	v_cmp_eq_u32_e32 vcc, 64, v5
	s_barrier
	s_and_saveexec_b64 s[2:3], vcc
	s_cbranch_execz .LBB87_41
; %bb.40:
	v_mov_b32_e32 v6, 0x110
	v_lshl_add_u32 v6, v10, 1, v6
	ds_write2_b32 v6, v4, v3 offset1:32
	ds_write2_b32 v6, v2, v1 offset0:64 offset1:96
.LBB87_41:
	s_or_b64 exec, exec, s[2:3]
	v_lshrrev_b32_e32 v0, 1, v0
	s_waitcnt lgkmcnt(0)
	s_barrier
	s_and_saveexec_b64 s[2:3], s[0:1]
	s_cbranch_execz .LBB87_48
; %bb.42:
	v_mov_b32_e32 v6, 0x110
	v_cmp_eq_u32_e32 vcc, 0, v12
	v_lshl_add_u32 v6, v0, 2, v6
	s_and_saveexec_b64 s[0:1], vcc
	s_cbranch_execnz .LBB87_51
; %bb.43:
	s_or_b64 exec, exec, s[0:1]
	s_and_saveexec_b64 s[0:1], vcc
	s_cbranch_execnz .LBB87_52
.LBB87_44:
	s_or_b64 exec, exec, s[0:1]
	s_and_saveexec_b64 s[0:1], vcc
	s_cbranch_execnz .LBB87_53
.LBB87_45:
	s_or_b64 exec, exec, s[0:1]
	s_and_saveexec_b64 s[0:1], vcc
	s_cbranch_execz .LBB87_47
.LBB87_46:
	ds_read_b32 v6, v6 offset:384
	s_waitcnt lgkmcnt(0)
	v_add_f32_e32 v1, v1, v6
.LBB87_47:
	s_or_b64 exec, exec, s[0:1]
.LBB87_48:
	s_or_b64 exec, exec, s[2:3]
	v_cmp_eq_u32_e32 vcc, 0, v5
	s_barrier
	s_and_saveexec_b64 s[0:1], vcc
	s_cbranch_execz .LBB87_50
; %bb.49:
	s_mul_i32 s0, s16, s12
	s_mul_i32 s0, s0, s9
	s_lshl_b32 s0, s0, 7
	s_ashr_i32 s1, s0, 31
	s_lshl_b64 s[0:1], s[0:1], 1
	s_add_u32 s2, s20, s0
	s_mul_i32 s0, s12, s18
	s_addc_u32 s3, s21, s1
	s_ashr_i32 s1, s0, 31
	s_lshl_b64 s[0:1], s[0:1], 1
	s_add_u32 s2, s2, s0
	s_addc_u32 s3, s3, s1
	s_lshl_b32 s0, s8, 7
	s_ashr_i32 s1, s0, 31
	s_lshl_b64 s[0:1], s[0:1], 1
	s_add_u32 s0, s2, s0
	s_addc_u32 s1, s3, s1
	v_lshlrev_b32_e32 v0, 1, v0
	;;#ASMSTART
	v_cvt_f16_f32 v4, v4;

	;;#ASMEND
	global_store_short v0, v4, s[0:1]
	;;#ASMSTART
	v_cvt_f16_f32 v3, v3;

	;;#ASMEND
	global_store_short v0, v3, s[0:1] offset:64
	;;#ASMSTART
	v_cvt_f16_f32 v2, v2;

	;;#ASMEND
	global_store_short v0, v2, s[0:1] offset:128
	;; [unrolled: 5-line block ×3, first 2 shown]
.LBB87_50:
	s_endpgm
.LBB87_51:
	ds_read_b32 v7, v6
	s_waitcnt lgkmcnt(0)
	v_add_f32_e32 v4, v4, v7
	s_or_b64 exec, exec, s[0:1]
	s_and_saveexec_b64 s[0:1], vcc
	s_cbranch_execz .LBB87_44
.LBB87_52:
	ds_read_b32 v7, v6 offset:128
	s_waitcnt lgkmcnt(0)
	v_add_f32_e32 v3, v3, v7
	s_or_b64 exec, exec, s[0:1]
	s_and_saveexec_b64 s[0:1], vcc
	s_cbranch_execz .LBB87_45
.LBB87_53:
	ds_read_b32 v7, v6 offset:256
	s_waitcnt lgkmcnt(0)
	v_add_f32_e32 v2, v2, v7
	s_or_b64 exec, exec, s[0:1]
	s_and_saveexec_b64 s[0:1], vcc
	s_cbranch_execnz .LBB87_46
	s_branch .LBB87_47
	.section	.rodata,"a",@progbits
	.p2align	6, 0x0
	.amdhsa_kernel _ZN4vllm25paged_attention_v1_kernelIttLi128ELi16ELi128ELNS_18Fp8KVCacheDataTypeE0ELb0EEEvPT_PKS2_PKT0_S8_ifPKiSA_iPKfiiiSC_SC_iiiii
		.amdhsa_group_segment_fixed_size 272
		.amdhsa_private_segment_fixed_size 0
		.amdhsa_kernarg_size 384
		.amdhsa_user_sgpr_count 6
		.amdhsa_user_sgpr_private_segment_buffer 1
		.amdhsa_user_sgpr_dispatch_ptr 0
		.amdhsa_user_sgpr_queue_ptr 0
		.amdhsa_user_sgpr_kernarg_segment_ptr 1
		.amdhsa_user_sgpr_dispatch_id 0
		.amdhsa_user_sgpr_flat_scratch_init 0
		.amdhsa_user_sgpr_private_segment_size 0
		.amdhsa_uses_dynamic_stack 0
		.amdhsa_system_sgpr_private_segment_wavefront_offset 0
		.amdhsa_system_sgpr_workgroup_id_x 1
		.amdhsa_system_sgpr_workgroup_id_y 1
		.amdhsa_system_sgpr_workgroup_id_z 1
		.amdhsa_system_sgpr_workgroup_info 0
		.amdhsa_system_vgpr_workitem_id 0
		.amdhsa_next_free_vgpr 54
		.amdhsa_next_free_sgpr 36
		.amdhsa_reserve_vcc 1
		.amdhsa_reserve_flat_scratch 0
		.amdhsa_float_round_mode_32 0
		.amdhsa_float_round_mode_16_64 0
		.amdhsa_float_denorm_mode_32 3
		.amdhsa_float_denorm_mode_16_64 3
		.amdhsa_dx10_clamp 1
		.amdhsa_ieee_mode 1
		.amdhsa_fp16_overflow 0
		.amdhsa_exception_fp_ieee_invalid_op 0
		.amdhsa_exception_fp_denorm_src 0
		.amdhsa_exception_fp_ieee_div_zero 0
		.amdhsa_exception_fp_ieee_overflow 0
		.amdhsa_exception_fp_ieee_underflow 0
		.amdhsa_exception_fp_ieee_inexact 0
		.amdhsa_exception_int_div_zero 0
	.end_amdhsa_kernel
	.section	.text._ZN4vllm25paged_attention_v1_kernelIttLi128ELi16ELi128ELNS_18Fp8KVCacheDataTypeE0ELb0EEEvPT_PKS2_PKT0_S8_ifPKiSA_iPKfiiiSC_SC_iiiii,"axG",@progbits,_ZN4vllm25paged_attention_v1_kernelIttLi128ELi16ELi128ELNS_18Fp8KVCacheDataTypeE0ELb0EEEvPT_PKS2_PKT0_S8_ifPKiSA_iPKfiiiSC_SC_iiiii,comdat
.Lfunc_end87:
	.size	_ZN4vllm25paged_attention_v1_kernelIttLi128ELi16ELi128ELNS_18Fp8KVCacheDataTypeE0ELb0EEEvPT_PKS2_PKT0_S8_ifPKiSA_iPKfiiiSC_SC_iiiii, .Lfunc_end87-_ZN4vllm25paged_attention_v1_kernelIttLi128ELi16ELi128ELNS_18Fp8KVCacheDataTypeE0ELb0EEEvPT_PKS2_PKT0_S8_ifPKiSA_iPKfiiiSC_SC_iiiii
                                        ; -- End function
	.set _ZN4vllm25paged_attention_v1_kernelIttLi128ELi16ELi128ELNS_18Fp8KVCacheDataTypeE0ELb0EEEvPT_PKS2_PKT0_S8_ifPKiSA_iPKfiiiSC_SC_iiiii.num_vgpr, 54
	.set _ZN4vllm25paged_attention_v1_kernelIttLi128ELi16ELi128ELNS_18Fp8KVCacheDataTypeE0ELb0EEEvPT_PKS2_PKT0_S8_ifPKiSA_iPKfiiiSC_SC_iiiii.num_agpr, 0
	.set _ZN4vllm25paged_attention_v1_kernelIttLi128ELi16ELi128ELNS_18Fp8KVCacheDataTypeE0ELb0EEEvPT_PKS2_PKT0_S8_ifPKiSA_iPKfiiiSC_SC_iiiii.numbered_sgpr, 36
	.set _ZN4vllm25paged_attention_v1_kernelIttLi128ELi16ELi128ELNS_18Fp8KVCacheDataTypeE0ELb0EEEvPT_PKS2_PKT0_S8_ifPKiSA_iPKfiiiSC_SC_iiiii.num_named_barrier, 0
	.set _ZN4vllm25paged_attention_v1_kernelIttLi128ELi16ELi128ELNS_18Fp8KVCacheDataTypeE0ELb0EEEvPT_PKS2_PKT0_S8_ifPKiSA_iPKfiiiSC_SC_iiiii.private_seg_size, 0
	.set _ZN4vllm25paged_attention_v1_kernelIttLi128ELi16ELi128ELNS_18Fp8KVCacheDataTypeE0ELb0EEEvPT_PKS2_PKT0_S8_ifPKiSA_iPKfiiiSC_SC_iiiii.uses_vcc, 1
	.set _ZN4vllm25paged_attention_v1_kernelIttLi128ELi16ELi128ELNS_18Fp8KVCacheDataTypeE0ELb0EEEvPT_PKS2_PKT0_S8_ifPKiSA_iPKfiiiSC_SC_iiiii.uses_flat_scratch, 0
	.set _ZN4vllm25paged_attention_v1_kernelIttLi128ELi16ELi128ELNS_18Fp8KVCacheDataTypeE0ELb0EEEvPT_PKS2_PKT0_S8_ifPKiSA_iPKfiiiSC_SC_iiiii.has_dyn_sized_stack, 0
	.set _ZN4vllm25paged_attention_v1_kernelIttLi128ELi16ELi128ELNS_18Fp8KVCacheDataTypeE0ELb0EEEvPT_PKS2_PKT0_S8_ifPKiSA_iPKfiiiSC_SC_iiiii.has_recursion, 0
	.set _ZN4vllm25paged_attention_v1_kernelIttLi128ELi16ELi128ELNS_18Fp8KVCacheDataTypeE0ELb0EEEvPT_PKS2_PKT0_S8_ifPKiSA_iPKfiiiSC_SC_iiiii.has_indirect_call, 0
	.section	.AMDGPU.csdata,"",@progbits
; Kernel info:
; codeLenInByte = 5176
; TotalNumSgprs: 40
; NumVgprs: 54
; ScratchSize: 0
; MemoryBound: 0
; FloatMode: 240
; IeeeMode: 1
; LDSByteSize: 272 bytes/workgroup (compile time only)
; SGPRBlocks: 4
; VGPRBlocks: 13
; NumSGPRsForWavesPerEU: 40
; NumVGPRsForWavesPerEU: 54
; Occupancy: 4
; WaveLimiterHint : 1
; COMPUTE_PGM_RSRC2:SCRATCH_EN: 0
; COMPUTE_PGM_RSRC2:USER_SGPR: 6
; COMPUTE_PGM_RSRC2:TRAP_HANDLER: 0
; COMPUTE_PGM_RSRC2:TGID_X_EN: 1
; COMPUTE_PGM_RSRC2:TGID_Y_EN: 1
; COMPUTE_PGM_RSRC2:TGID_Z_EN: 1
; COMPUTE_PGM_RSRC2:TIDIG_COMP_CNT: 0
	.section	.text._ZN4vllm25paged_attention_v1_kernelIttLi192ELi16ELi128ELNS_18Fp8KVCacheDataTypeE0ELb0EEEvPT_PKS2_PKT0_S8_ifPKiSA_iPKfiiiSC_SC_iiiii,"axG",@progbits,_ZN4vllm25paged_attention_v1_kernelIttLi192ELi16ELi128ELNS_18Fp8KVCacheDataTypeE0ELb0EEEvPT_PKS2_PKT0_S8_ifPKiSA_iPKfiiiSC_SC_iiiii,comdat
	.protected	_ZN4vllm25paged_attention_v1_kernelIttLi192ELi16ELi128ELNS_18Fp8KVCacheDataTypeE0ELb0EEEvPT_PKS2_PKT0_S8_ifPKiSA_iPKfiiiSC_SC_iiiii ; -- Begin function _ZN4vllm25paged_attention_v1_kernelIttLi192ELi16ELi128ELNS_18Fp8KVCacheDataTypeE0ELb0EEEvPT_PKS2_PKT0_S8_ifPKiSA_iPKfiiiSC_SC_iiiii
	.globl	_ZN4vllm25paged_attention_v1_kernelIttLi192ELi16ELi128ELNS_18Fp8KVCacheDataTypeE0ELb0EEEvPT_PKS2_PKT0_S8_ifPKiSA_iPKfiiiSC_SC_iiiii
	.p2align	8
	.type	_ZN4vllm25paged_attention_v1_kernelIttLi192ELi16ELi128ELNS_18Fp8KVCacheDataTypeE0ELb0EEEvPT_PKS2_PKT0_S8_ifPKiSA_iPKfiiiSC_SC_iiiii,@function
_ZN4vllm25paged_attention_v1_kernelIttLi192ELi16ELi128ELNS_18Fp8KVCacheDataTypeE0ELb0EEEvPT_PKS2_PKT0_S8_ifPKiSA_iPKfiiiSC_SC_iiiii: ; @_ZN4vllm25paged_attention_v1_kernelIttLi192ELi16ELi128ELNS_18Fp8KVCacheDataTypeE0ELb0EEEvPT_PKS2_PKT0_S8_ifPKiSA_iPKfiiiSC_SC_iiiii
; %bb.0:
	s_load_dword s9, s[4:5], 0x80
	s_load_dwordx2 s[0:1], s[4:5], 0x30
	s_load_dwordx2 s[26:27], s[4:5], 0x20
	s_mov_b32 s10, s7
	s_ashr_i32 s11, s7, 31
	s_lshl_b64 s[2:3], s[10:11], 2
	s_waitcnt lgkmcnt(0)
	s_add_u32 s0, s0, s2
	s_addc_u32 s1, s1, s3
	s_abs_i32 s2, s26
	v_cvt_f32_u32_e32 v1, s2
	s_sub_i32 s11, 0, s2
	s_abs_i32 s7, s9
	s_xor_b32 s3, s9, s26
	v_rcp_iflag_f32_e32 v1, v1
	s_ashr_i32 s3, s3, 31
	s_mov_b32 s26, 0
	v_mul_f32_e32 v1, 0x4f7ffffe, v1
	v_cvt_u32_f32_e32 v1, v1
	v_readfirstlane_b32 s12, v1
	s_mul_i32 s11, s11, s12
	s_mul_hi_u32 s11, s12, s11
	s_add_i32 s12, s12, s11
	s_mul_hi_u32 s11, s7, s12
	s_mul_i32 s12, s11, s2
	s_sub_i32 s7, s7, s12
	s_add_i32 s12, s11, 1
	s_sub_i32 s13, s7, s2
	s_cmp_ge_u32 s7, s2
	s_cselect_b32 s11, s12, s11
	s_cselect_b32 s7, s13, s7
	s_add_i32 s12, s11, 1
	s_cmp_ge_u32 s7, s2
	s_cselect_b32 s2, s12, s11
	s_xor_b32 s2, s2, s3
	s_sub_i32 s12, s2, s3
	s_abs_i32 s11, s12
	v_cvt_f32_u32_e32 v1, s11
	s_load_dwordx2 s[2:3], s[4:5], 0x40
	s_sub_i32 s7, 0, s11
	s_abs_i32 s18, s6
	v_rcp_iflag_f32_e32 v1, v1
	v_mul_f32_e32 v1, 0x4f7ffffe, v1
	v_cvt_u32_f32_e32 v1, v1
	v_readfirstlane_b32 s13, v1
	s_mul_i32 s7, s7, s13
	s_mul_hi_u32 s7, s13, s7
	s_add_i32 s13, s13, s7
	s_waitcnt lgkmcnt(0)
	s_cmp_eq_u64 s[2:3], 0
	s_mul_hi_u32 s19, s18, s13
	s_cbranch_scc1 .LBB88_2
; %bb.1:
	s_ashr_i32 s7, s6, 31
	s_lshl_b64 s[14:15], s[6:7], 2
	s_add_u32 s2, s2, s14
	s_addc_u32 s3, s3, s15
	s_load_dword s26, s[2:3], 0x0
.LBB88_2:
	s_load_dword s33, s[0:1], 0x0
	s_ashr_i32 s3, s12, 31
	s_load_dwordx4 s[12:15], s[4:5], 0x48
	s_ashr_i32 s2, s6, 31
	s_mul_i32 s16, s6, 0xc0
	s_movk_i32 s6, 0x60
	v_and_b32_e32 v1, 3, v0
	v_cmp_gt_u32_e32 vcc, s6, v0
	v_lshlrev_b32_e32 v2, 2, v0
	s_and_saveexec_b64 s[0:1], vcc
	s_cbranch_execz .LBB88_4
; %bb.3:
	s_load_dwordx2 s[20:21], s[4:5], 0x8
	s_waitcnt lgkmcnt(0)
	s_mul_i32 s22, s12, s10
	s_ashr_i32 s23, s22, 31
	s_lshl_b64 s[22:23], s[22:23], 1
	v_and_b32_e32 v4, 0x3fc, v0
	s_add_u32 s7, s20, s22
	s_addc_u32 s12, s21, s23
	s_ashr_i32 s17, s16, 31
	s_lshl_b64 s[20:21], s[16:17], 1
	s_add_u32 s20, s7, s20
	s_addc_u32 s21, s12, s21
	global_load_dword v3, v2, s[20:21]
	v_mad_u32_u24 v4, v1, s6, v4
	s_waitcnt vmcnt(0)
	ds_write_b32 v4, v3
.LBB88_4:
	s_or_b64 exec, exec, s[0:1]
	s_waitcnt lgkmcnt(0)
	s_add_i32 s1, s33, 15
	s_ashr_i32 s6, s1, 31
	s_lshr_b32 s6, s6, 28
	s_add_i32 s1, s1, s6
	s_ashr_i32 s12, s1, 4
	s_xor_b32 s1, s2, s3
	s_mul_i32 s2, s19, s11
	s_sub_i32 s2, s18, s2
	s_add_i32 s3, s19, 1
	s_sub_i32 s6, s2, s11
	s_load_dwordx2 s[20:21], s[4:5], 0x28
	s_load_dword s0, s[4:5], 0x38
	s_cmp_ge_u32 s2, s11
	s_cselect_b32 s3, s3, s19
	s_cselect_b32 s2, s6, s2
	s_add_i32 s6, s3, 1
	s_cmp_ge_u32 s2, s11
	s_cselect_b32 s2, s6, s3
	v_lshrrev_b32_e32 v9, 6, v0
	s_xor_b32 s2, s2, s1
	s_waitcnt lgkmcnt(0)
	s_mul_i32 s22, s0, s10
	s_sub_i32 s15, s2, s1
	s_ashr_i32 s23, s22, 31
	v_cmp_gt_i32_e64 s[0:1], s12, v9
	v_cmp_le_i32_e32 vcc, s12, v9
	v_mbcnt_lo_u32_b32 v3, -1, 0
	s_barrier
                                        ; implicit-def: $vgpr6
                                        ; implicit-def: $vgpr8
                                        ; implicit-def: $vgpr7
	s_and_saveexec_b64 s[2:3], vcc
	s_xor_b64 s[2:3], exec, s[2:3]
; %bb.5:
	v_mbcnt_hi_u32_b32 v6, -1, v3
	v_and_b32_e32 v8, 64, v6
	v_add_u32_e32 v7, 64, v8
                                        ; implicit-def: $vgpr2
                                        ; implicit-def: $vgpr1
                                        ; implicit-def: $vgpr3
; %bb.6:
	s_or_saveexec_b64 s[6:7], s[2:3]
	s_load_dwordx2 s[18:19], s[4:5], 0x0
	s_load_dwordx2 s[24:25], s[4:5], 0x18
	s_load_dword s11, s[4:5], 0x88
	v_mov_b32_e32 v10, 0xff7fffff
	s_mul_i32 s14, s15, s14
	v_lshrrev_b32_e32 v5, 4, v0
	s_xor_b64 exec, exec, s[6:7]
	s_cbranch_execz .LBB88_12
; %bb.7:
	s_load_dwordx2 s[2:3], s[4:5], 0x10
	s_ashr_i32 s15, s14, 31
	s_lshl_b64 s[4:5], s[14:15], 1
	v_bfe_u32 v4, v0, 2, 4
	v_lshlrev_b32_e32 v6, 4, v4
	s_waitcnt lgkmcnt(0)
	s_add_u32 s2, s2, s4
	s_addc_u32 s3, s3, s5
	v_mov_b32_e32 v7, s3
	v_add_co_u32_e32 v6, vcc, s2, v6
	v_addc_co_u32_e32 v7, vcc, 0, v7, vcc
	v_and_b32_e32 v2, 12, v2
	v_add_co_u32_e32 v11, vcc, v6, v2
	v_addc_co_u32_e32 v12, vcc, 0, v7, vcc
	v_mul_u32_u24_e32 v13, 0x60, v1
	v_cmp_eq_u32_e32 vcc, 0, v1
	s_sub_i32 s15, 1, s33
	v_lshlrev_b32_e32 v1, 2, v4
	s_lshl_b64 s[4:5], s[22:23], 2
	v_lshl_or_b32 v1, v9, 6, v1
	s_add_u32 s4, s20, s4
	v_add_u32_e32 v15, 0x190, v1
	v_and_b32_e32 v1, 60, v5
	s_addc_u32 s5, s21, s5
	v_mbcnt_hi_u32_b32 v6, -1, v3
	v_mov_b32_e32 v2, s5
	v_add_co_u32_e64 v1, s[4:5], s4, v1
	v_and_b32_e32 v8, 64, v6
	s_mov_b32 s17, s13
	v_cmp_neq_f32_e64 s[2:3], s26, 0
	v_lshl_or_b32 v14, v9, 4, v4
	v_addc_co_u32_e64 v2, s[4:5], 0, v2, s[4:5]
	v_mov_b32_e32 v10, 0xff7fffff
	s_mov_b64 s[28:29], 0
	s_movk_i32 s34, 0x1000
	v_add_u32_e32 v7, 64, v8
	v_xor_b32_e32 v16, 2, v6
	v_xor_b32_e32 v17, 1, v6
	v_mov_b32_e32 v18, v9
	s_branch .LBB88_9
.LBB88_8:                               ;   in Loop: Header=BB88_9 Depth=1
	s_or_b64 exec, exec, s[30:31]
	v_add_u32_e32 v18, 2, v18
	v_cmp_le_i32_e64 s[4:5], s12, v18
	s_or_b64 s[28:29], s[4:5], s[28:29]
	v_add_co_u32_e64 v1, s[4:5], 8, v1
	v_add_u32_e32 v14, 32, v14
	v_add_u32_e32 v15, 0x80, v15
	v_addc_co_u32_e64 v2, s[4:5], 0, v2, s[4:5]
	s_andn2_b64 exec, exec, s[28:29]
	s_cbranch_execz .LBB88_11
.LBB88_9:                               ; =>This Inner Loop Header: Depth=1
	global_load_dword v3, v[1:2], off
	s_waitcnt vmcnt(0) lgkmcnt(0)
	v_mad_i64_i32 v[3:4], s[4:5], v3, s17, 0
	v_lshlrev_b64 v[3:4], 1, v[3:4]
	v_add_co_u32_e64 v3, s[4:5], v11, v3
	v_addc_co_u32_e64 v4, s[4:5], v12, v4, s[4:5]
	global_load_dword v26, v[3:4], off
	global_load_dword v25, v[3:4], off offset:256
	global_load_dword v24, v[3:4], off offset:512
	global_load_dword v22, v[3:4], off offset:768
	global_load_dword v23, v[3:4], off offset:1024
	global_load_dword v20, v[3:4], off offset:1280
	global_load_dword v19, v[3:4], off offset:1536
	global_load_dword v21, v[3:4], off offset:1792
	global_load_dword v41, v[3:4], off offset:2048
	ds_read_b32 v27, v13
	v_cmp_lt_i32_e64 s[4:5], v16, v7
	v_cndmask_b32_e64 v28, v6, v16, s[4:5]
	v_add_co_u32_e64 v39, s[4:5], s34, v3
	s_waitcnt lgkmcnt(0)
	v_lshrrev_b32_e32 v46, 16, v27
	v_and_b32_e32 v47, 0xffff, v27
	v_addc_co_u32_e64 v40, s[4:5], 0, v4, s[4:5]
	global_load_dword v42, v[3:4], off offset:2304
	global_load_dword v43, v[3:4], off offset:2560
	;; [unrolled: 1-line block ×7, first 2 shown]
	global_load_dword v35, v[39:40], off
	global_load_dword v34, v[39:40], off offset:256
	global_load_dword v33, v[39:40], off offset:512
	;; [unrolled: 1-line block ×7, first 2 shown]
	;;#ASMSTART
	v_cvt_f32_f16 v39, v47;
	;;#ASMEND
	;;#ASMSTART
	v_cvt_f32_f16 v40, v46;
	;;#ASMEND
	v_lshlrev_b32_e32 v28, 2, v28
	v_cmp_lt_i32_e64 s[4:5], v17, v7
	s_waitcnt vmcnt(23)
	v_lshrrev_b32_e32 v3, 16, v26
	v_and_b32_e32 v4, 0xffff, v26
	;;#ASMSTART
	v_cvt_f32_f16 v26, v4;
	;;#ASMEND
	;;#ASMSTART
	v_cvt_f32_f16 v46, v3;
	;;#ASMEND
	ds_read_b32 v3, v13 offset:4
	s_waitcnt vmcnt(22)
	v_and_b32_e32 v47, 0xffff, v25
	v_lshrrev_b32_e32 v25, 16, v25
	s_waitcnt vmcnt(21)
	v_and_b32_e32 v48, 0xffff, v24
	v_lshrrev_b32_e32 v49, 16, v24
	s_waitcnt lgkmcnt(0)
	v_lshrrev_b32_e32 v4, 16, v3
	v_and_b32_e32 v3, 0xffff, v3
	;;#ASMSTART
	v_cvt_f32_f16 v3, v3;
	;;#ASMEND
	;;#ASMSTART
	v_cvt_f32_f16 v4, v4;
	;;#ASMEND
	;; [unrolled: 3-line block ×4, first 2 shown]
	ds_read_b32 v47, v13 offset:8
	s_waitcnt vmcnt(20)
	v_and_b32_e32 v50, 0xffff, v22
	v_lshrrev_b32_e32 v51, 16, v22
	v_mul_f32_e32 v3, v3, v24
	v_mul_f32_e32 v4, v4, v25
	s_waitcnt lgkmcnt(0)
	v_lshrrev_b32_e32 v24, 16, v47
	v_and_b32_e32 v22, 0xffff, v47
	;;#ASMSTART
	v_cvt_f32_f16 v22, v22;
	;;#ASMEND
	;;#ASMSTART
	v_cvt_f32_f16 v24, v24;
	;;#ASMEND
	;; [unrolled: 3-line block ×4, first 2 shown]
	ds_read_b32 v48, v13 offset:12
	s_waitcnt vmcnt(19)
	v_and_b32_e32 v49, 0xffff, v23
	v_lshrrev_b32_e32 v52, 16, v23
	v_fmac_f32_e32 v3, v39, v26
	v_fmac_f32_e32 v4, v40, v46
	s_waitcnt lgkmcnt(0)
	v_lshrrev_b32_e32 v26, 16, v48
	v_and_b32_e32 v23, 0xffff, v48
	;;#ASMSTART
	v_cvt_f32_f16 v23, v23;
	;;#ASMEND
	;;#ASMSTART
	v_cvt_f32_f16 v26, v26;
	;;#ASMEND
	;;#ASMSTART
	v_cvt_f32_f16 v39, v50;
	;;#ASMEND
	;;#ASMSTART
	v_cvt_f32_f16 v40, v51;
	;;#ASMEND
	ds_read_b32 v46, v13 offset:16
	s_waitcnt vmcnt(18)
	v_and_b32_e32 v50, 0xffff, v20
	v_lshrrev_b32_e32 v51, 16, v20
	v_fmac_f32_e32 v3, v22, v25
	s_waitcnt vmcnt(17)
	v_and_b32_e32 v53, 0xffff, v19
	s_waitcnt lgkmcnt(0)
	v_lshrrev_b32_e32 v22, 16, v46
	v_and_b32_e32 v20, 0xffff, v46
	;;#ASMSTART
	v_cvt_f32_f16 v20, v20;
	;;#ASMEND
	;;#ASMSTART
	v_cvt_f32_f16 v22, v22;
	;;#ASMEND
	;; [unrolled: 3-line block ×4, first 2 shown]
	ds_read_b32 v48, v13 offset:20
	v_lshrrev_b32_e32 v49, 16, v19
	v_fmac_f32_e32 v3, v23, v39
	v_fmac_f32_e32 v4, v24, v47
	s_waitcnt vmcnt(16)
	v_and_b32_e32 v52, 0xffff, v21
	s_waitcnt lgkmcnt(0)
	v_lshrrev_b32_e32 v23, 16, v48
	v_and_b32_e32 v19, 0xffff, v48
	;;#ASMSTART
	v_cvt_f32_f16 v19, v19;
	;;#ASMEND
	;;#ASMSTART
	v_cvt_f32_f16 v23, v23;
	;;#ASMEND
	;; [unrolled: 3-line block ×4, first 2 shown]
	ds_read_b32 v47, v13 offset:24
	v_lshrrev_b32_e32 v48, 16, v21
	v_fmac_f32_e32 v4, v26, v40
	s_waitcnt vmcnt(15)
	v_and_b32_e32 v50, 0xffff, v41
	v_lshrrev_b32_e32 v51, 16, v41
	s_waitcnt lgkmcnt(0)
	v_lshrrev_b32_e32 v26, 16, v47
	v_and_b32_e32 v21, 0xffff, v47
	;;#ASMSTART
	v_cvt_f32_f16 v21, v21;
	;;#ASMEND
	;;#ASMSTART
	v_cvt_f32_f16 v26, v26;
	;;#ASMEND
	;;#ASMSTART
	v_cvt_f32_f16 v40, v53;
	;;#ASMEND
	;;#ASMSTART
	v_cvt_f32_f16 v41, v49;
	;;#ASMEND
	ds_read_b32 v47, v13 offset:28
	v_fmac_f32_e32 v3, v20, v25
	v_fmac_f32_e32 v4, v22, v46
	s_waitcnt vmcnt(14)
	v_and_b32_e32 v49, 0xffff, v42
	v_lshrrev_b32_e32 v53, 16, v42
	s_waitcnt lgkmcnt(0)
	v_lshrrev_b32_e32 v22, 16, v47
	v_and_b32_e32 v20, 0xffff, v47
	;;#ASMSTART
	v_cvt_f32_f16 v20, v20;
	;;#ASMEND
	;;#ASMSTART
	v_cvt_f32_f16 v22, v22;
	;;#ASMEND
	;;#ASMSTART
	v_cvt_f32_f16 v25, v52;
	;;#ASMEND
	;;#ASMSTART
	v_cvt_f32_f16 v42, v48;
	;;#ASMEND
	ds_read_b32 v46, v13 offset:32
	v_fmac_f32_e32 v3, v19, v24
	;; [unrolled: 21-line block ×3, first 2 shown]
	s_waitcnt vmcnt(12)
	v_and_b32_e32 v50, 0xffff, v44
	v_lshrrev_b32_e32 v51, 16, v44
	v_fmac_f32_e32 v3, v20, v25
	s_waitcnt lgkmcnt(0)
	v_lshrrev_b32_e32 v40, 16, v43
	v_and_b32_e32 v21, 0xffff, v43
	;;#ASMSTART
	v_cvt_f32_f16 v21, v21;
	;;#ASMEND
	;;#ASMSTART
	v_cvt_f32_f16 v40, v40;
	;;#ASMEND
	;; [unrolled: 3-line block ×4, first 2 shown]
	ds_read_b32 v46, v13 offset:40
	s_waitcnt vmcnt(11)
	v_and_b32_e32 v52, 0xffff, v45
	v_lshrrev_b32_e32 v49, 16, v45
	v_fmac_f32_e32 v4, v26, v41
	v_fmac_f32_e32 v4, v22, v42
	s_waitcnt lgkmcnt(0)
	v_lshrrev_b32_e32 v25, 16, v46
	v_and_b32_e32 v20, 0xffff, v46
	;;#ASMSTART
	v_cvt_f32_f16 v20, v20;
	;;#ASMEND
	;;#ASMSTART
	v_cvt_f32_f16 v25, v25;
	;;#ASMEND
	;; [unrolled: 3-line block ×4, first 2 shown]
	ds_read_b32 v45, v13 offset:44
	s_waitcnt vmcnt(9)
	v_and_b32_e32 v47, 0xffff, v37
	v_lshrrev_b32_e32 v48, 16, v37
	v_and_b32_e32 v53, 0xffff, v38
	v_lshrrev_b32_e32 v46, 16, v38
	s_waitcnt lgkmcnt(0)
	v_lshrrev_b32_e32 v37, 16, v45
	v_and_b32_e32 v22, 0xffff, v45
	;;#ASMSTART
	v_cvt_f32_f16 v22, v22;
	;;#ASMEND
	;;#ASMSTART
	v_cvt_f32_f16 v37, v37;
	;;#ASMEND
	;; [unrolled: 3-line block ×4, first 2 shown]
	ds_read_b32 v45, v13 offset:48
	v_fmac_f32_e32 v3, v19, v24
	v_fmac_f32_e32 v4, v23, v39
	s_waitcnt vmcnt(8)
	v_and_b32_e32 v50, 0xffff, v36
	v_lshrrev_b32_e32 v51, 16, v36
	s_waitcnt lgkmcnt(0)
	v_lshrrev_b32_e32 v23, 16, v45
	v_and_b32_e32 v19, 0xffff, v45
	;;#ASMSTART
	v_cvt_f32_f16 v19, v19;
	;;#ASMEND
	;;#ASMSTART
	v_cvt_f32_f16 v23, v23;
	;;#ASMEND
	;; [unrolled: 3-line block ×4, first 2 shown]
	ds_read_b32 v39, v13 offset:52
	s_waitcnt vmcnt(7)
	v_and_b32_e32 v45, 0xffff, v35
	v_lshrrev_b32_e32 v49, 16, v35
	v_fmac_f32_e32 v3, v21, v43
	v_fmac_f32_e32 v4, v40, v44
	s_waitcnt lgkmcnt(0)
	v_lshrrev_b32_e32 v35, 16, v39
	v_and_b32_e32 v21, 0xffff, v39
	;;#ASMSTART
	v_cvt_f32_f16 v21, v21;
	;;#ASMEND
	;;#ASMSTART
	v_cvt_f32_f16 v35, v35;
	;;#ASMEND
	;; [unrolled: 3-line block ×4, first 2 shown]
	ds_read_b32 v43, v13 offset:56
	v_fmac_f32_e32 v3, v20, v26
	s_waitcnt vmcnt(6)
	v_and_b32_e32 v46, 0xffff, v34
	v_lshrrev_b32_e32 v52, 16, v34
	v_fmac_f32_e32 v4, v25, v41
	s_waitcnt lgkmcnt(0)
	v_lshrrev_b32_e32 v26, 16, v43
	v_and_b32_e32 v20, 0xffff, v43
	;;#ASMSTART
	v_cvt_f32_f16 v20, v20;
	;;#ASMEND
	;;#ASMSTART
	v_cvt_f32_f16 v26, v26;
	;;#ASMEND
	;; [unrolled: 3-line block ×4, first 2 shown]
	ds_read_b32 v44, v13 offset:60
	v_fmac_f32_e32 v3, v22, v38
	s_waitcnt vmcnt(5)
	v_lshrrev_b32_e32 v53, 16, v33
	v_and_b32_e32 v47, 0xffff, v33
	s_waitcnt vmcnt(4)
	v_lshrrev_b32_e32 v48, 16, v32
	s_waitcnt lgkmcnt(0)
	v_lshrrev_b32_e32 v25, 16, v44
	v_and_b32_e32 v22, 0xffff, v44
	;;#ASMSTART
	v_cvt_f32_f16 v22, v22;
	;;#ASMEND
	;;#ASMSTART
	v_cvt_f32_f16 v25, v25;
	;;#ASMEND
	;;#ASMSTART
	v_cvt_f32_f16 v33, v50;
	;;#ASMEND
	;;#ASMSTART
	v_cvt_f32_f16 v38, v51;
	;;#ASMEND
	ds_read_b32 v41, v13 offset:64
	v_and_b32_e32 v44, 0xffff, v32
	s_waitcnt vmcnt(3)
	v_lshrrev_b32_e32 v50, 16, v31
	v_and_b32_e32 v51, 0xffff, v31
	v_fmac_f32_e32 v4, v37, v42
	s_waitcnt lgkmcnt(0)
	v_lshrrev_b32_e32 v32, 16, v41
	v_and_b32_e32 v31, 0xffff, v41
	;;#ASMSTART
	v_cvt_f32_f16 v31, v31;
	;;#ASMEND
	;;#ASMSTART
	v_cvt_f32_f16 v32, v32;
	;;#ASMEND
	;; [unrolled: 3-line block ×4, first 2 shown]
	ds_read_b32 v42, v13 offset:68
	v_fmac_f32_e32 v3, v19, v24
	v_fmac_f32_e32 v4, v23, v36
	s_waitcnt vmcnt(2)
	v_lshrrev_b32_e32 v45, 16, v30
	v_and_b32_e32 v49, 0xffff, v30
	s_waitcnt lgkmcnt(0)
	v_lshrrev_b32_e32 v23, 16, v42
	v_and_b32_e32 v19, 0xffff, v42
	;;#ASMSTART
	v_cvt_f32_f16 v19, v19;
	;;#ASMEND
	;;#ASMSTART
	v_cvt_f32_f16 v23, v23;
	;;#ASMEND
	;; [unrolled: 3-line block ×4, first 2 shown]
	ds_read_b32 v36, v13 offset:72
	s_waitcnt vmcnt(1)
	v_lshrrev_b32_e32 v42, 16, v29
	v_and_b32_e32 v46, 0xffff, v29
	v_fmac_f32_e32 v3, v21, v39
	v_fmac_f32_e32 v4, v35, v40
	s_waitcnt lgkmcnt(0)
	v_lshrrev_b32_e32 v29, 16, v36
	v_and_b32_e32 v21, 0xffff, v36
	;;#ASMSTART
	v_cvt_f32_f16 v21, v21;
	;;#ASMEND
	;;#ASMSTART
	v_cvt_f32_f16 v29, v29;
	;;#ASMEND
	;; [unrolled: 3-line block ×4, first 2 shown]
	ds_read_b32 v39, v13 offset:76
	v_fmac_f32_e32 v3, v20, v34
	v_fmac_f32_e32 v4, v26, v43
	s_waitcnt vmcnt(0)
	v_lshrrev_b32_e32 v40, 16, v27
	v_and_b32_e32 v47, 0xffff, v27
	s_waitcnt lgkmcnt(0)
	v_lshrrev_b32_e32 v26, 16, v39
	v_and_b32_e32 v20, 0xffff, v39
	;;#ASMSTART
	v_cvt_f32_f16 v20, v20;
	;;#ASMEND
	;;#ASMSTART
	v_cvt_f32_f16 v26, v26;
	;;#ASMEND
	;;#ASMSTART
	v_cvt_f32_f16 v27, v44;
	;;#ASMEND
	;;#ASMSTART
	v_cvt_f32_f16 v34, v48;
	;;#ASMEND
	ds_read_b32 v39, v13 offset:80
	v_fmac_f32_e32 v3, v22, v33
	v_fmac_f32_e32 v4, v25, v38
	v_fmac_f32_e32 v3, v31, v37
	v_fmac_f32_e32 v4, v32, v41
	s_waitcnt lgkmcnt(0)
	v_lshrrev_b32_e32 v25, 16, v39
	v_and_b32_e32 v22, 0xffff, v39
	;;#ASMSTART
	v_cvt_f32_f16 v22, v22;
	;;#ASMEND
	;;#ASMSTART
	v_cvt_f32_f16 v25, v25;
	;;#ASMEND
	;;#ASMSTART
	v_cvt_f32_f16 v31, v51;
	;;#ASMEND
	;;#ASMSTART
	v_cvt_f32_f16 v32, v50;
	;;#ASMEND
	ds_read_b32 v33, v13 offset:84
	v_fmac_f32_e32 v3, v19, v24
	v_fmac_f32_e32 v4, v23, v30
	v_fmac_f32_e32 v3, v21, v35
	v_fmac_f32_e32 v4, v29, v36
	s_waitcnt lgkmcnt(0)
	v_lshrrev_b32_e32 v21, 16, v33
	v_and_b32_e32 v19, 0xffff, v33
	;;#ASMSTART
	v_cvt_f32_f16 v19, v19;
	;;#ASMEND
	;;#ASMSTART
	v_cvt_f32_f16 v21, v21;
	;;#ASMEND
	;;#ASMSTART
	v_cvt_f32_f16 v23, v49;
	;;#ASMEND
	;;#ASMSTART
	v_cvt_f32_f16 v24, v45;
	;;#ASMEND
	ds_read_b32 v29, v13 offset:88
	v_fmac_f32_e32 v3, v20, v27
	v_fmac_f32_e32 v4, v26, v34
	v_fmac_f32_e32 v3, v22, v31
	v_fmac_f32_e32 v4, v25, v32
	s_waitcnt lgkmcnt(0)
	v_lshrrev_b32_e32 v22, 16, v29
	v_and_b32_e32 v20, 0xffff, v29
	;;#ASMSTART
	v_cvt_f32_f16 v20, v20;
	;;#ASMEND
	;;#ASMSTART
	v_cvt_f32_f16 v22, v22;
	;;#ASMEND
	;;#ASMSTART
	v_cvt_f32_f16 v25, v46;
	;;#ASMEND
	;;#ASMSTART
	v_cvt_f32_f16 v26, v42;
	;;#ASMEND
	ds_read_b32 v27, v13 offset:92
	v_fmac_f32_e32 v3, v19, v23
	v_fmac_f32_e32 v4, v21, v24
	v_fmac_f32_e32 v3, v20, v25
	v_fmac_f32_e32 v4, v22, v26
	s_waitcnt lgkmcnt(0)
	v_lshrrev_b32_e32 v20, 16, v27
	v_and_b32_e32 v19, 0xffff, v27
	;;#ASMSTART
	v_cvt_f32_f16 v19, v19;
	;;#ASMEND
	;;#ASMSTART
	v_cvt_f32_f16 v20, v20;
	;;#ASMEND
	;; [unrolled: 3-line block ×4, first 2 shown]
	v_fmac_f32_e32 v3, v19, v21
	v_fmac_f32_e32 v4, v20, v22
	v_add_f32_e32 v3, v3, v4
	ds_bpermute_b32 v4, v28, v3
	v_cndmask_b32_e64 v19, v6, v17, s[4:5]
	s_waitcnt lgkmcnt(0)
	v_add_f32_e32 v3, v3, v4
	v_lshlrev_b32_e32 v4, 2, v19
	ds_bpermute_b32 v4, v4, v3
	s_and_saveexec_b64 s[30:31], vcc
	s_cbranch_execz .LBB88_8
; %bb.10:                               ;   in Loop: Header=BB88_9 Depth=1
	v_add_u32_e32 v19, s15, v14
	v_cvt_f32_i32_e32 v19, v19
	s_waitcnt lgkmcnt(0)
	v_add_f32_e32 v3, v3, v4
	v_cmp_gt_i32_e64 s[4:5], s33, v14
	v_max_f32_e32 v4, v10, v10
	v_mul_f32_e32 v19, s26, v19
	v_cndmask_b32_e64 v19, 0, v19, s[2:3]
	v_fmac_f32_e32 v19, s27, v3
	v_cndmask_b32_e64 v3, 0, v19, s[4:5]
	ds_write_b32 v15, v3
	v_max_f32_e32 v3, v4, v19
	v_cndmask_b32_e64 v10, v10, v3, s[4:5]
	s_branch .LBB88_8
.LBB88_11:
	s_or_b64 exec, exec, s[28:29]
.LBB88_12:
	s_or_b64 exec, exec, s[6:7]
	v_xor_b32_e32 v1, 32, v6
	v_cmp_lt_i32_e32 vcc, v1, v7
	v_cndmask_b32_e32 v1, v6, v1, vcc
	v_lshlrev_b32_e32 v1, 2, v1
	ds_bpermute_b32 v2, v1, v10
	s_waitcnt lgkmcnt(0)
	v_xor_b32_e32 v4, 16, v6
	v_max_f32_e32 v3, v10, v10
	v_cmp_lt_i32_e32 vcc, v4, v7
	v_xor_b32_e32 v10, 8, v6
	v_max_f32_e32 v2, v2, v2
	v_max_f32_e32 v3, v3, v2
	v_cndmask_b32_e32 v2, v6, v4, vcc
	v_lshlrev_b32_e32 v2, 2, v2
	ds_bpermute_b32 v4, v2, v3
	v_cmp_lt_i32_e32 vcc, v10, v7
	s_waitcnt lgkmcnt(0)
	v_max_f32_e32 v4, v4, v4
	v_max_f32_e32 v3, v3, v4
	v_cndmask_b32_e32 v4, v6, v10, vcc
	v_lshlrev_b32_e32 v12, 2, v4
	ds_bpermute_b32 v4, v12, v3
	v_xor_b32_e32 v10, 4, v6
	v_cmp_lt_i32_e32 vcc, v10, v7
	s_waitcnt lgkmcnt(0)
	v_max_f32_e32 v4, v4, v4
	v_max_f32_e32 v4, v3, v4
	v_cndmask_b32_e32 v3, v6, v10, vcc
	v_lshlrev_b32_e32 v13, 2, v3
	ds_bpermute_b32 v11, v13, v4
	v_and_b32_e32 v10, 63, v0
	v_cmp_eq_u32_e32 vcc, 0, v10
	v_lshlrev_b32_e32 v3, 2, v9
	s_and_saveexec_b64 s[2:3], vcc
	s_cbranch_execz .LBB88_14
; %bb.13:
	s_waitcnt lgkmcnt(0)
	v_max_f32_e32 v11, v11, v11
	v_max_f32_e32 v4, v4, v4
	;; [unrolled: 1-line block ×3, first 2 shown]
	ds_write_b32 v3, v4 offset:384
.LBB88_14:
	s_or_b64 exec, exec, s[2:3]
	v_cmp_gt_u32_e64 s[2:3], 2, v10
	v_mov_b32_e32 v14, 0xff7fffff
	v_lshlrev_b32_e32 v4, 2, v10
	s_waitcnt lgkmcnt(0)
	s_barrier
	s_and_saveexec_b64 s[4:5], s[2:3]
; %bb.15:
	ds_read_b32 v14, v4 offset:384
; %bb.16:
	s_or_b64 exec, exec, s[4:5]
	v_xor_b32_e32 v11, 1, v6
	v_cmp_lt_i32_e64 s[4:5], v11, v7
	v_cndmask_b32_e64 v11, v6, v11, s[4:5]
	v_lshlrev_b32_e32 v11, 2, v11
	s_waitcnt lgkmcnt(0)
	ds_bpermute_b32 v15, v11, v14
	v_max_f32_e32 v14, v14, v14
	v_lshlrev_b32_e32 v8, 2, v8
	s_lshl_b32 s4, s12, 4
	s_min_i32 s15, s4, s33
	s_waitcnt lgkmcnt(0)
	v_max_f32_e32 v15, v15, v15
	v_max_f32_e32 v14, v14, v15
	ds_bpermute_b32 v14, v8, v14
	v_cmp_gt_i32_e64 s[4:5], s15, v0
	v_mov_b32_e32 v8, 0
	s_and_saveexec_b64 s[26:27], s[4:5]
	s_cbranch_execz .LBB88_20
; %bb.17:
	v_mov_b32_e32 v8, 0x190
	v_lshl_add_u32 v15, v0, 2, v8
	v_mov_b32_e32 v8, 0
	s_mov_b64 s[28:29], 0
	v_mov_b32_e32 v16, v0
.LBB88_18:                              ; =>This Inner Loop Header: Depth=1
	ds_read_b32 v17, v15
	v_add_u32_e32 v16, 0x80, v16
	v_cmp_le_i32_e64 s[6:7], s15, v16
	s_or_b64 s[28:29], s[6:7], s[28:29]
	s_waitcnt lgkmcnt(0)
	v_sub_f32_e32 v17, v17, v14
	v_mul_f32_e32 v17, 0x3fb8aa3b, v17
	v_exp_f32_e32 v17, v17
	ds_write_b32 v15, v17
	v_add_f32_e32 v8, v8, v17
	v_add_u32_e32 v15, 0x200, v15
	s_andn2_b64 exec, exec, s[28:29]
	s_cbranch_execnz .LBB88_18
; %bb.19:
	s_or_b64 exec, exec, s[28:29]
.LBB88_20:
	s_or_b64 exec, exec, s[26:27]
	ds_bpermute_b32 v1, v1, v8
	s_waitcnt lgkmcnt(0)
	v_add_f32_e32 v1, v8, v1
	ds_bpermute_b32 v2, v2, v1
	v_xor_b32_e32 v8, 2, v6
	v_cmp_lt_i32_e64 s[6:7], v8, v7
	v_cndmask_b32_e64 v7, v6, v8, s[6:7]
	s_waitcnt lgkmcnt(0)
	v_add_f32_e32 v1, v1, v2
	ds_bpermute_b32 v2, v12, v1
	s_waitcnt lgkmcnt(0)
	v_add_f32_e32 v1, v1, v2
	ds_bpermute_b32 v2, v13, v1
	s_waitcnt lgkmcnt(0)
	v_add_f32_e32 v1, v1, v2
	v_lshlrev_b32_e32 v2, 2, v7
	ds_bpermute_b32 v2, v2, v1
	s_waitcnt lgkmcnt(0)
	v_add_f32_e32 v1, v1, v2
	ds_bpermute_b32 v2, v11, v1
	s_waitcnt lgkmcnt(0)
	v_add_f32_e32 v1, v1, v2
	s_and_saveexec_b64 s[6:7], vcc
; %bb.21:
	ds_write_b32 v3, v1 offset:392
; %bb.22:
	s_or_b64 exec, exec, s[6:7]
	s_waitcnt lgkmcnt(0)
	s_barrier
	s_and_saveexec_b64 s[6:7], s[2:3]
; %bb.23:
	ds_read_b32 v1, v4 offset:392
; %bb.24:
	s_or_b64 exec, exec, s[6:7]
	s_waitcnt lgkmcnt(0)
	ds_bpermute_b32 v2, v11, v1
	v_lshlrev_b32_e32 v3, 2, v6
	s_waitcnt lgkmcnt(0)
	v_add_f32_e32 v1, v1, v2
	v_and_b32_e32 v2, 0xffffff00, v3
	ds_bpermute_b32 v1, v2, v1
	s_and_saveexec_b64 s[2:3], s[4:5]
	s_cbranch_execz .LBB88_27
; %bb.25:
	s_waitcnt lgkmcnt(0)
	v_add_f32_e32 v2, 0x358637bd, v1
	v_div_scale_f32 v1, s[4:5], v2, v2, 1.0
	v_div_scale_f32 v3, vcc, 1.0, v2, 1.0
	s_mov_b64 s[4:5], 0
	v_rcp_f32_e32 v4, v1
	v_fma_f32 v6, -v1, v4, 1.0
	v_fmac_f32_e32 v4, v6, v4
	v_mul_f32_e32 v6, v3, v4
	v_fma_f32 v7, -v1, v6, v3
	v_fmac_f32_e32 v6, v7, v4
	v_fma_f32 v1, -v1, v6, v3
	v_div_fmas_f32 v3, v1, v4, v6
	v_mov_b32_e32 v1, 0x190
	v_lshl_add_u32 v1, v0, 2, v1
	v_div_fixup_f32 v2, v3, v2, 1.0
	v_mov_b32_e32 v3, v0
.LBB88_26:                              ; =>This Inner Loop Header: Depth=1
	ds_read_b32 v4, v1
	v_add_u32_e32 v3, 0x80, v3
	v_cmp_le_i32_e32 vcc, s15, v3
	s_or_b64 s[4:5], vcc, s[4:5]
	s_waitcnt lgkmcnt(0)
	v_mul_f32_e32 v4, v2, v4
	ds_write_b32 v1, v4
	v_add_u32_e32 v1, 0x200, v1
	s_andn2_b64 exec, exec, s[4:5]
	s_cbranch_execnz .LBB88_26
.LBB88_27:
	s_or_b64 exec, exec, s[2:3]
	v_mov_b32_e32 v18, 0
	v_and_b32_e32 v12, 1, v0
	v_mov_b32_e32 v17, 0
	v_mov_b32_e32 v16, 0
	;; [unrolled: 1-line block ×5, first 2 shown]
	s_waitcnt lgkmcnt(0)
	s_barrier
	s_and_saveexec_b64 s[2:3], s[0:1]
	s_cbranch_execz .LBB88_43
; %bb.28:
	s_ashr_i32 s15, s14, 31
	s_lshl_b64 s[0:1], s[14:15], 1
	v_lshlrev_b32_e32 v2, 4, v0
	v_lshlrev_b32_e32 v1, 3, v0
	s_add_u32 s0, s24, s0
	v_and_b32_e32 v2, 0x3f0, v2
	v_and_b32_e32 v1, 8, v1
	s_addc_u32 s1, s25, s1
	v_add_co_u32_e32 v20, vcc, s0, v2
	v_lshlrev_b32_e32 v2, 4, v9
	s_add_i32 s14, s12, -1
	v_mov_b32_e32 v3, s1
	v_or3_b32 v22, v2, v1, 7
	v_lshlrev_b32_e32 v1, 5, v12
	s_lshl_b64 s[0:1], s[22:23], 2
	v_lshl_or_b32 v1, v9, 6, v1
	s_add_u32 s0, s20, s0
	v_addc_co_u32_e32 v21, vcc, 0, v3, vcc
	v_add_u32_e32 v23, 0x190, v1
	v_and_b32_e32 v1, 60, v5
	s_addc_u32 s1, s21, s1
	v_mov_b32_e32 v2, s1
	v_add_co_u32_e32 v5, vcc, s0, v1
	v_mov_b32_e32 v19, 0
	v_addc_co_u32_e32 v6, vcc, 0, v2, vcc
	s_mov_b64 s[4:5], 0
	s_mov_b32 s15, 0xffff
	v_mov_b32_e32 v13, 0
	v_mov_b32_e32 v14, 0
	;; [unrolled: 1-line block ×6, first 2 shown]
	s_branch .LBB88_30
.LBB88_29:                              ;   in Loop: Header=BB88_30 Depth=1
	s_or_b64 exec, exec, s[6:7]
	v_add_f32_e32 v24, v43, v44
	v_add_f32_e32 v14, v14, v24
	;; [unrolled: 1-line block ×10, first 2 shown]
	v_lshlrev_b32_e32 v24, 16, v45
	v_and_or_b32 v1, v1, s15, v24
	v_lshlrev_b32_e32 v8, 16, v8
	v_lshlrev_b32_e32 v7, 16, v7
	v_and_or_b32 v2, v2, s15, v8
	v_and_or_b32 v3, v3, s15, v7
	;;#ASMSTART
	v_pk_mul_f16 v1, v31, v1;

	;;#ASMEND
	;;#ASMSTART
	v_pk_mul_f16 v2, v32, v2;

	;;#ASMEND
	;; [unrolled: 4-line block ×4, first 2 shown]
	;;#ASMSTART
	v_pk_add_f16 v1, v1, v2;

	;;#ASMEND
	;;#ASMSTART
	v_pk_add_f16 v1, v1, v3;

	;;#ASMEND
	;; [unrolled: 4-line block ×3, first 2 shown]
	v_lshrrev_b32_e32 v2, 16, v1
	v_and_b32_e32 v1, 0xffff, v1
	v_add_u32_e32 v9, 2, v9
	;;#ASMSTART
	v_cvt_f32_f16 v1, v1;
	;;#ASMEND
	v_cmp_le_i32_e32 vcc, s12, v9
	;;#ASMSTART
	v_cvt_f32_f16 v2, v2;
	;;#ASMEND
	v_add_f32_e32 v1, v1, v2
	s_or_b64 s[4:5], vcc, s[4:5]
	v_add_co_u32_e32 v5, vcc, 8, v5
	v_add_f32_e32 v13, v13, v1
	v_add_u32_e32 v22, 32, v22
	v_add_u32_e32 v23, 0x80, v23
	v_addc_co_u32_e32 v6, vcc, 0, v6, vcc
	s_andn2_b64 exec, exec, s[4:5]
	s_cbranch_execz .LBB88_42
.LBB88_30:                              ; =>This Inner Loop Header: Depth=1
	global_load_dword v7, v[5:6], off
	ds_read2_b64 v[1:4], v23 offset1:1
	ds_read2_b64 v[24:27], v23 offset0:2 offset1:3
	v_add_u32_e32 v30, -6, v22
	v_add_u32_e32 v29, -5, v22
	s_waitcnt lgkmcnt(1)
	;;#ASMSTART
	v_cvt_f16_f32 v31, v1;

	;;#ASMEND
	;;#ASMSTART
	v_cvt_f16_f32 v32, v2;

	;;#ASMEND
	;; [unrolled: 4-line block ×4, first 2 shown]
	s_waitcnt lgkmcnt(0)
	;;#ASMSTART
	v_cvt_f16_f32 v35, v24;

	;;#ASMEND
	;;#ASMSTART
	v_cvt_f16_f32 v36, v25;

	;;#ASMEND
	;; [unrolled: 4-line block ×4, first 2 shown]
	v_add_u32_e32 v24, -7, v22
	v_add_u32_e32 v27, -4, v22
	;; [unrolled: 1-line block ×5, first 2 shown]
	s_waitcnt vmcnt(0)
	v_mad_i64_i32 v[1:2], s[0:1], v7, s13, 0
	v_cmp_eq_u32_e64 s[0:1], s14, v9
	v_lshlrev_b64 v[1:2], 1, v[1:2]
	v_add_co_u32_e32 v7, vcc, v20, v1
	v_addc_co_u32_e32 v8, vcc, v21, v2, vcc
	global_load_dwordx4 v[1:4], v[7:8], off
	s_waitcnt vmcnt(0)
	v_lshrrev_b32_e32 v41, 16, v1
	v_lshrrev_b32_e32 v40, 16, v2
	;; [unrolled: 1-line block ×3, first 2 shown]
	s_and_saveexec_b64 s[6:7], s[0:1]
	s_cbranch_execz .LBB88_32
; %bb.31:                               ;   in Loop: Header=BB88_30 Depth=1
	v_cmp_gt_i32_e32 vcc, s33, v24
	v_cndmask_b32_e32 v1, 0, v1, vcc
	v_cmp_gt_i32_e32 vcc, s33, v30
	v_cndmask_b32_e32 v41, 0, v41, vcc
	v_cmp_gt_i32_e32 vcc, s33, v29
	v_cndmask_b32_e32 v2, 0, v2, vcc
	v_cmp_gt_i32_e32 vcc, s33, v27
	v_cndmask_b32_e32 v40, 0, v40, vcc
	v_cmp_gt_i32_e32 vcc, s33, v26
	v_cndmask_b32_e32 v3, 0, v3, vcc
	v_cmp_gt_i32_e32 vcc, s33, v25
	v_cndmask_b32_e32 v39, 0, v39, vcc
	v_cmp_gt_i32_e32 vcc, s33, v28
	v_cndmask_b32_sdwa v42, v19, v4, vcc dst_sel:DWORD dst_unused:UNUSED_PAD src0_sel:DWORD src1_sel:WORD_0
	v_and_b32_e32 v4, 0xffff0000, v4
	v_cmp_gt_i32_e32 vcc, s33, v22
	v_cndmask_b32_e32 v4, 0, v4, vcc
	v_or_b32_e32 v4, v42, v4
.LBB88_32:                              ;   in Loop: Header=BB88_30 Depth=1
	s_or_b64 exec, exec, s[6:7]
	v_and_b32_e32 v31, 0xffff, v31
	v_lshl_or_b32 v31, v32, 16, v31
	v_and_b32_e32 v32, 0xffff, v33
	v_and_b32_e32 v33, 0xffff, v35
	v_lshlrev_b32_e32 v35, 16, v41
	v_and_or_b32 v1, v1, s15, v35
	v_lshlrev_b32_e32 v35, 16, v40
	v_and_or_b32 v2, v2, s15, v35
	v_lshlrev_b32_e32 v35, 16, v39
	v_lshl_or_b32 v32, v34, 16, v32
	v_and_b32_e32 v34, 0xffff, v37
	v_and_or_b32 v3, v3, s15, v35
	;;#ASMSTART
	v_pk_mul_f16 v1, v31, v1;

	;;#ASMEND
	v_lshl_or_b32 v33, v36, 16, v33
	v_lshl_or_b32 v34, v38, 16, v34
	;;#ASMSTART
	v_pk_mul_f16 v2, v32, v2;

	;;#ASMEND
	;;#ASMSTART
	v_pk_mul_f16 v3, v33, v3;

	;;#ASMEND
	;; [unrolled: 4-line block ×3, first 2 shown]
	;;#ASMSTART
	v_pk_add_f16 v1, v1, v2;

	;;#ASMEND
	;;#ASMSTART
	v_pk_add_f16 v1, v1, v3;

	;;#ASMEND
	;; [unrolled: 4-line block ×3, first 2 shown]
	v_lshrrev_b32_e32 v2, 16, v1
	v_and_b32_e32 v1, 0xffff, v1
	;;#ASMSTART
	v_cvt_f32_f16 v35, v1;
	;;#ASMEND
	;;#ASMSTART
	v_cvt_f32_f16 v36, v2;
	;;#ASMEND
	global_load_dwordx4 v[1:4], v[7:8], off offset:1024
	s_waitcnt vmcnt(0)
	v_lshrrev_b32_e32 v39, 16, v1
	v_lshrrev_b32_e32 v38, 16, v2
	;; [unrolled: 1-line block ×3, first 2 shown]
	s_and_saveexec_b64 s[6:7], s[0:1]
	s_cbranch_execz .LBB88_34
; %bb.33:                               ;   in Loop: Header=BB88_30 Depth=1
	v_cmp_gt_i32_e32 vcc, s33, v24
	v_cndmask_b32_e32 v1, 0, v1, vcc
	v_cmp_gt_i32_e32 vcc, s33, v30
	v_cndmask_b32_e32 v39, 0, v39, vcc
	;; [unrolled: 2-line block ×6, first 2 shown]
	v_cmp_gt_i32_e32 vcc, s33, v28
	v_cndmask_b32_sdwa v40, v19, v4, vcc dst_sel:DWORD dst_unused:UNUSED_PAD src0_sel:DWORD src1_sel:WORD_0
	v_and_b32_e32 v4, 0xffff0000, v4
	v_cmp_gt_i32_e32 vcc, s33, v22
	v_cndmask_b32_e32 v4, 0, v4, vcc
	v_or_b32_e32 v4, v40, v4
.LBB88_34:                              ;   in Loop: Header=BB88_30 Depth=1
	s_or_b64 exec, exec, s[6:7]
	v_lshlrev_b32_e32 v39, 16, v39
	v_and_or_b32 v1, v1, s15, v39
	v_lshlrev_b32_e32 v38, 16, v38
	v_lshlrev_b32_e32 v37, 16, v37
	v_and_or_b32 v2, v2, s15, v38
	v_and_or_b32 v3, v3, s15, v37
	;;#ASMSTART
	v_pk_mul_f16 v1, v31, v1;

	;;#ASMEND
	;;#ASMSTART
	v_pk_mul_f16 v2, v32, v2;

	;;#ASMEND
	;; [unrolled: 4-line block ×4, first 2 shown]
	;;#ASMSTART
	v_pk_add_f16 v1, v1, v2;

	;;#ASMEND
	;;#ASMSTART
	v_pk_add_f16 v1, v1, v3;

	;;#ASMEND
	;;#ASMSTART
	v_pk_add_f16 v1, v1, v4;

	;;#ASMEND
	v_lshrrev_b32_e32 v2, 16, v1
	v_and_b32_e32 v1, 0xffff, v1
	;;#ASMSTART
	v_cvt_f32_f16 v37, v1;
	;;#ASMEND
	;;#ASMSTART
	v_cvt_f32_f16 v38, v2;
	;;#ASMEND
	global_load_dwordx4 v[1:4], v[7:8], off offset:2048
	s_waitcnt vmcnt(0)
	v_lshrrev_b32_e32 v41, 16, v1
	v_lshrrev_b32_e32 v40, 16, v2
	;; [unrolled: 1-line block ×3, first 2 shown]
	s_and_saveexec_b64 s[6:7], s[0:1]
	s_cbranch_execz .LBB88_36
; %bb.35:                               ;   in Loop: Header=BB88_30 Depth=1
	v_cmp_gt_i32_e32 vcc, s33, v24
	v_cndmask_b32_e32 v1, 0, v1, vcc
	v_cmp_gt_i32_e32 vcc, s33, v30
	v_cndmask_b32_e32 v41, 0, v41, vcc
	;; [unrolled: 2-line block ×6, first 2 shown]
	v_cmp_gt_i32_e32 vcc, s33, v28
	v_cndmask_b32_sdwa v42, v19, v4, vcc dst_sel:DWORD dst_unused:UNUSED_PAD src0_sel:DWORD src1_sel:WORD_0
	v_and_b32_e32 v4, 0xffff0000, v4
	v_cmp_gt_i32_e32 vcc, s33, v22
	v_cndmask_b32_e32 v4, 0, v4, vcc
	v_or_b32_e32 v4, v42, v4
.LBB88_36:                              ;   in Loop: Header=BB88_30 Depth=1
	s_or_b64 exec, exec, s[6:7]
	v_lshlrev_b32_e32 v41, 16, v41
	v_and_or_b32 v1, v1, s15, v41
	v_lshlrev_b32_e32 v40, 16, v40
	v_lshlrev_b32_e32 v39, 16, v39
	v_and_or_b32 v2, v2, s15, v40
	v_and_or_b32 v3, v3, s15, v39
	;;#ASMSTART
	v_pk_mul_f16 v1, v31, v1;

	;;#ASMEND
	;;#ASMSTART
	v_pk_mul_f16 v2, v32, v2;

	;;#ASMEND
	;; [unrolled: 4-line block ×4, first 2 shown]
	;;#ASMSTART
	v_pk_add_f16 v1, v1, v2;

	;;#ASMEND
	;;#ASMSTART
	v_pk_add_f16 v1, v1, v3;

	;;#ASMEND
	;; [unrolled: 4-line block ×3, first 2 shown]
	v_lshrrev_b32_e32 v2, 16, v1
	v_and_b32_e32 v1, 0xffff, v1
	;;#ASMSTART
	v_cvt_f32_f16 v39, v1;
	;;#ASMEND
	;;#ASMSTART
	v_cvt_f32_f16 v40, v2;
	;;#ASMEND
	global_load_dwordx4 v[1:4], v[7:8], off offset:3072
	s_waitcnt vmcnt(0)
	v_lshrrev_b32_e32 v43, 16, v1
	v_lshrrev_b32_e32 v42, 16, v2
	v_lshrrev_b32_e32 v41, 16, v3
	s_and_saveexec_b64 s[6:7], s[0:1]
	s_cbranch_execz .LBB88_38
; %bb.37:                               ;   in Loop: Header=BB88_30 Depth=1
	v_cmp_gt_i32_e32 vcc, s33, v24
	v_cndmask_b32_e32 v1, 0, v1, vcc
	v_cmp_gt_i32_e32 vcc, s33, v30
	v_cndmask_b32_e32 v43, 0, v43, vcc
	;; [unrolled: 2-line block ×6, first 2 shown]
	v_cmp_gt_i32_e32 vcc, s33, v28
	v_cndmask_b32_sdwa v44, v19, v4, vcc dst_sel:DWORD dst_unused:UNUSED_PAD src0_sel:DWORD src1_sel:WORD_0
	v_and_b32_e32 v4, 0xffff0000, v4
	v_cmp_gt_i32_e32 vcc, s33, v22
	v_cndmask_b32_e32 v4, 0, v4, vcc
	v_or_b32_e32 v4, v44, v4
.LBB88_38:                              ;   in Loop: Header=BB88_30 Depth=1
	s_or_b64 exec, exec, s[6:7]
	v_lshlrev_b32_e32 v43, 16, v43
	v_and_or_b32 v1, v1, s15, v43
	v_lshlrev_b32_e32 v42, 16, v42
	v_lshlrev_b32_e32 v41, 16, v41
	v_and_or_b32 v2, v2, s15, v42
	v_and_or_b32 v3, v3, s15, v41
	;;#ASMSTART
	v_pk_mul_f16 v1, v31, v1;

	;;#ASMEND
	;;#ASMSTART
	v_pk_mul_f16 v2, v32, v2;

	;;#ASMEND
	;; [unrolled: 4-line block ×4, first 2 shown]
	;;#ASMSTART
	v_pk_add_f16 v1, v1, v2;

	;;#ASMEND
	;;#ASMSTART
	v_pk_add_f16 v1, v1, v3;

	;;#ASMEND
	;; [unrolled: 4-line block ×3, first 2 shown]
	v_lshrrev_b32_e32 v2, 16, v1
	v_and_b32_e32 v1, 0xffff, v1
	;;#ASMSTART
	v_cvt_f32_f16 v41, v1;
	;;#ASMEND
	v_add_co_u32_e32 v1, vcc, 0x1000, v7
	;;#ASMSTART
	v_cvt_f32_f16 v42, v2;
	;;#ASMEND
	v_addc_co_u32_e32 v2, vcc, 0, v8, vcc
	global_load_dwordx4 v[1:4], v[1:2], off
	s_waitcnt vmcnt(0)
	v_lshrrev_b32_e32 v45, 16, v1
	v_lshrrev_b32_e32 v44, 16, v2
	;; [unrolled: 1-line block ×3, first 2 shown]
	s_and_saveexec_b64 s[6:7], s[0:1]
	s_cbranch_execz .LBB88_40
; %bb.39:                               ;   in Loop: Header=BB88_30 Depth=1
	v_cmp_gt_i32_e32 vcc, s33, v24
	v_cndmask_b32_e32 v1, 0, v1, vcc
	v_cmp_gt_i32_e32 vcc, s33, v30
	v_cndmask_b32_e32 v45, 0, v45, vcc
	;; [unrolled: 2-line block ×6, first 2 shown]
	v_cmp_gt_i32_e32 vcc, s33, v28
	v_cndmask_b32_sdwa v46, v19, v4, vcc dst_sel:DWORD dst_unused:UNUSED_PAD src0_sel:DWORD src1_sel:WORD_0
	v_and_b32_e32 v4, 0xffff0000, v4
	v_cmp_gt_i32_e32 vcc, s33, v22
	v_cndmask_b32_e32 v4, 0, v4, vcc
	v_or_b32_e32 v4, v46, v4
.LBB88_40:                              ;   in Loop: Header=BB88_30 Depth=1
	s_or_b64 exec, exec, s[6:7]
	v_lshlrev_b32_e32 v45, 16, v45
	v_and_or_b32 v1, v1, s15, v45
	v_lshlrev_b32_e32 v44, 16, v44
	v_lshlrev_b32_e32 v43, 16, v43
	v_and_or_b32 v2, v2, s15, v44
	v_and_or_b32 v3, v3, s15, v43
	;;#ASMSTART
	v_pk_mul_f16 v1, v31, v1;

	;;#ASMEND
	;;#ASMSTART
	v_pk_mul_f16 v2, v32, v2;

	;;#ASMEND
	;; [unrolled: 4-line block ×4, first 2 shown]
	;;#ASMSTART
	v_pk_add_f16 v1, v1, v2;

	;;#ASMEND
	;;#ASMSTART
	v_pk_add_f16 v1, v1, v3;

	;;#ASMEND
	;; [unrolled: 4-line block ×3, first 2 shown]
	v_lshrrev_b32_e32 v2, 16, v1
	v_and_b32_e32 v1, 0xffff, v1
	;;#ASMSTART
	v_cvt_f32_f16 v43, v1;
	;;#ASMEND
	v_add_co_u32_e32 v1, vcc, 0x1000, v7
	;;#ASMSTART
	v_cvt_f32_f16 v44, v2;
	;;#ASMEND
	v_addc_co_u32_e32 v2, vcc, 0, v8, vcc
	global_load_dwordx4 v[1:4], v[1:2], off offset:1024
	s_waitcnt vmcnt(0)
	v_lshrrev_b32_e32 v45, 16, v1
	v_lshrrev_b32_e32 v8, 16, v2
	;; [unrolled: 1-line block ×3, first 2 shown]
	s_and_saveexec_b64 s[6:7], s[0:1]
	s_cbranch_execz .LBB88_29
; %bb.41:                               ;   in Loop: Header=BB88_30 Depth=1
	v_cmp_gt_i32_e32 vcc, s33, v24
	v_cndmask_b32_e32 v1, 0, v1, vcc
	v_cmp_gt_i32_e32 vcc, s33, v30
	v_cndmask_b32_e32 v45, 0, v45, vcc
	;; [unrolled: 2-line block ×6, first 2 shown]
	v_cmp_gt_i32_e32 vcc, s33, v28
	v_cndmask_b32_sdwa v24, v19, v4, vcc dst_sel:DWORD dst_unused:UNUSED_PAD src0_sel:DWORD src1_sel:WORD_0
	v_and_b32_e32 v4, 0xffff0000, v4
	v_cmp_gt_i32_e32 vcc, s33, v22
	v_cndmask_b32_e32 v4, 0, v4, vcc
	v_or_b32_e32 v4, v24, v4
	s_branch .LBB88_29
.LBB88_42:
	s_or_b64 exec, exec, s[4:5]
.LBB88_43:
	s_or_b64 exec, exec, s[2:3]
	ds_bpermute_b32 v1, v11, v18
	ds_bpermute_b32 v3, v11, v16
	;; [unrolled: 1-line block ×5, first 2 shown]
	s_waitcnt lgkmcnt(4)
	v_add_f32_e32 v5, v18, v1
	ds_bpermute_b32 v1, v11, v13
	s_waitcnt lgkmcnt(4)
	v_add_f32_e32 v4, v16, v3
	s_waitcnt lgkmcnt(3)
	v_add_f32_e32 v3, v15, v7
	v_and_b32_e32 v7, 0x3c1, v0
	s_waitcnt lgkmcnt(2)
	v_add_f32_e32 v6, v17, v2
	s_waitcnt lgkmcnt(1)
	v_add_f32_e32 v2, v14, v8
	;; [unrolled: 2-line block ×3, first 2 shown]
	v_cmp_eq_u32_e32 vcc, 64, v7
	s_barrier
	s_and_saveexec_b64 s[0:1], vcc
	s_cbranch_execz .LBB88_45
; %bb.44:
	v_mov_b32_e32 v8, 0x190
	v_lshl_add_u32 v8, v10, 1, v8
	ds_write2_b32 v8, v5, v6 offset1:32
	ds_write2_b32 v8, v4, v3 offset0:64 offset1:96
	ds_write2_b32 v8, v2, v1 offset0:128 offset1:160
.LBB88_45:
	s_or_b64 exec, exec, s[0:1]
	v_cmp_gt_u32_e32 vcc, 64, v0
	v_lshrrev_b32_e32 v0, 1, v0
	s_waitcnt lgkmcnt(0)
	s_barrier
	s_and_saveexec_b64 s[0:1], vcc
	s_cbranch_execz .LBB88_54
; %bb.46:
	v_mov_b32_e32 v8, 0x190
	v_cmp_eq_u32_e32 vcc, 0, v12
	v_lshl_add_u32 v8, v0, 2, v8
	s_and_saveexec_b64 s[2:3], vcc
	s_cbranch_execnz .LBB88_57
; %bb.47:
	s_or_b64 exec, exec, s[2:3]
	s_and_saveexec_b64 s[2:3], vcc
	s_cbranch_execnz .LBB88_58
.LBB88_48:
	s_or_b64 exec, exec, s[2:3]
	s_and_saveexec_b64 s[2:3], vcc
	s_cbranch_execnz .LBB88_59
.LBB88_49:
	s_or_b64 exec, exec, s[2:3]
	s_and_saveexec_b64 s[2:3], vcc
	s_cbranch_execnz .LBB88_60
.LBB88_50:
	s_or_b64 exec, exec, s[2:3]
	s_and_saveexec_b64 s[2:3], vcc
	s_cbranch_execnz .LBB88_61
.LBB88_51:
	s_or_b64 exec, exec, s[2:3]
	s_and_saveexec_b64 s[2:3], vcc
	s_cbranch_execz .LBB88_53
.LBB88_52:
	ds_read_b32 v8, v8 offset:640
	s_waitcnt lgkmcnt(0)
	v_add_f32_e32 v1, v1, v8
.LBB88_53:
	s_or_b64 exec, exec, s[2:3]
.LBB88_54:
	s_or_b64 exec, exec, s[0:1]
	v_cmp_eq_u32_e32 vcc, 0, v7
	s_barrier
	s_and_saveexec_b64 s[0:1], vcc
	s_cbranch_execz .LBB88_56
; %bb.55:
	s_mul_i32 s0, s10, s11
	s_mul_i32 s0, s0, s9
	s_mulk_i32 s0, 0xc0
	s_ashr_i32 s1, s0, 31
	s_lshl_b64 s[0:1], s[0:1], 1
	s_add_u32 s2, s18, s0
	s_mul_i32 s0, s11, s16
	s_addc_u32 s3, s19, s1
	s_ashr_i32 s1, s0, 31
	s_lshl_b64 s[0:1], s[0:1], 1
	s_add_u32 s2, s2, s0
	s_mul_i32 s0, s8, 0xc0
	s_addc_u32 s3, s3, s1
	s_ashr_i32 s1, s0, 31
	s_lshl_b64 s[0:1], s[0:1], 1
	s_add_u32 s0, s2, s0
	s_addc_u32 s1, s3, s1
	v_lshlrev_b32_e32 v0, 1, v0
	;;#ASMSTART
	v_cvt_f16_f32 v5, v5;

	;;#ASMEND
	global_store_short v0, v5, s[0:1]
	;;#ASMSTART
	v_cvt_f16_f32 v5, v6;

	;;#ASMEND
	global_store_short v0, v5, s[0:1] offset:64
	;;#ASMSTART
	v_cvt_f16_f32 v4, v4;

	;;#ASMEND
	global_store_short v0, v4, s[0:1] offset:128
	;; [unrolled: 5-line block ×5, first 2 shown]
.LBB88_56:
	s_endpgm
.LBB88_57:
	ds_read_b32 v9, v8
	s_waitcnt lgkmcnt(0)
	v_add_f32_e32 v5, v5, v9
	s_or_b64 exec, exec, s[2:3]
	s_and_saveexec_b64 s[2:3], vcc
	s_cbranch_execz .LBB88_48
.LBB88_58:
	ds_read_b32 v9, v8 offset:128
	s_waitcnt lgkmcnt(0)
	v_add_f32_e32 v6, v6, v9
	s_or_b64 exec, exec, s[2:3]
	s_and_saveexec_b64 s[2:3], vcc
	s_cbranch_execz .LBB88_49
.LBB88_59:
	ds_read_b32 v9, v8 offset:256
	s_waitcnt lgkmcnt(0)
	v_add_f32_e32 v4, v4, v9
	s_or_b64 exec, exec, s[2:3]
	s_and_saveexec_b64 s[2:3], vcc
	s_cbranch_execz .LBB88_50
.LBB88_60:
	ds_read_b32 v9, v8 offset:384
	s_waitcnt lgkmcnt(0)
	v_add_f32_e32 v3, v3, v9
	s_or_b64 exec, exec, s[2:3]
	s_and_saveexec_b64 s[2:3], vcc
	s_cbranch_execz .LBB88_51
.LBB88_61:
	ds_read_b32 v9, v8 offset:512
	s_waitcnt lgkmcnt(0)
	v_add_f32_e32 v2, v2, v9
	s_or_b64 exec, exec, s[2:3]
	s_and_saveexec_b64 s[2:3], vcc
	s_cbranch_execnz .LBB88_52
	s_branch .LBB88_53
	.section	.rodata,"a",@progbits
	.p2align	6, 0x0
	.amdhsa_kernel _ZN4vllm25paged_attention_v1_kernelIttLi192ELi16ELi128ELNS_18Fp8KVCacheDataTypeE0ELb0EEEvPT_PKS2_PKT0_S8_ifPKiSA_iPKfiiiSC_SC_iiiii
		.amdhsa_group_segment_fixed_size 400
		.amdhsa_private_segment_fixed_size 0
		.amdhsa_kernarg_size 384
		.amdhsa_user_sgpr_count 6
		.amdhsa_user_sgpr_private_segment_buffer 1
		.amdhsa_user_sgpr_dispatch_ptr 0
		.amdhsa_user_sgpr_queue_ptr 0
		.amdhsa_user_sgpr_kernarg_segment_ptr 1
		.amdhsa_user_sgpr_dispatch_id 0
		.amdhsa_user_sgpr_flat_scratch_init 0
		.amdhsa_user_sgpr_private_segment_size 0
		.amdhsa_uses_dynamic_stack 0
		.amdhsa_system_sgpr_private_segment_wavefront_offset 0
		.amdhsa_system_sgpr_workgroup_id_x 1
		.amdhsa_system_sgpr_workgroup_id_y 1
		.amdhsa_system_sgpr_workgroup_id_z 1
		.amdhsa_system_sgpr_workgroup_info 0
		.amdhsa_system_vgpr_workitem_id 0
		.amdhsa_next_free_vgpr 54
		.amdhsa_next_free_sgpr 35
		.amdhsa_reserve_vcc 1
		.amdhsa_reserve_flat_scratch 0
		.amdhsa_float_round_mode_32 0
		.amdhsa_float_round_mode_16_64 0
		.amdhsa_float_denorm_mode_32 3
		.amdhsa_float_denorm_mode_16_64 3
		.amdhsa_dx10_clamp 1
		.amdhsa_ieee_mode 1
		.amdhsa_fp16_overflow 0
		.amdhsa_exception_fp_ieee_invalid_op 0
		.amdhsa_exception_fp_denorm_src 0
		.amdhsa_exception_fp_ieee_div_zero 0
		.amdhsa_exception_fp_ieee_overflow 0
		.amdhsa_exception_fp_ieee_underflow 0
		.amdhsa_exception_fp_ieee_inexact 0
		.amdhsa_exception_int_div_zero 0
	.end_amdhsa_kernel
	.section	.text._ZN4vllm25paged_attention_v1_kernelIttLi192ELi16ELi128ELNS_18Fp8KVCacheDataTypeE0ELb0EEEvPT_PKS2_PKT0_S8_ifPKiSA_iPKfiiiSC_SC_iiiii,"axG",@progbits,_ZN4vllm25paged_attention_v1_kernelIttLi192ELi16ELi128ELNS_18Fp8KVCacheDataTypeE0ELb0EEEvPT_PKS2_PKT0_S8_ifPKiSA_iPKfiiiSC_SC_iiiii,comdat
.Lfunc_end88:
	.size	_ZN4vllm25paged_attention_v1_kernelIttLi192ELi16ELi128ELNS_18Fp8KVCacheDataTypeE0ELb0EEEvPT_PKS2_PKT0_S8_ifPKiSA_iPKfiiiSC_SC_iiiii, .Lfunc_end88-_ZN4vllm25paged_attention_v1_kernelIttLi192ELi16ELi128ELNS_18Fp8KVCacheDataTypeE0ELb0EEEvPT_PKS2_PKT0_S8_ifPKiSA_iPKfiiiSC_SC_iiiii
                                        ; -- End function
	.set _ZN4vllm25paged_attention_v1_kernelIttLi192ELi16ELi128ELNS_18Fp8KVCacheDataTypeE0ELb0EEEvPT_PKS2_PKT0_S8_ifPKiSA_iPKfiiiSC_SC_iiiii.num_vgpr, 54
	.set _ZN4vllm25paged_attention_v1_kernelIttLi192ELi16ELi128ELNS_18Fp8KVCacheDataTypeE0ELb0EEEvPT_PKS2_PKT0_S8_ifPKiSA_iPKfiiiSC_SC_iiiii.num_agpr, 0
	.set _ZN4vllm25paged_attention_v1_kernelIttLi192ELi16ELi128ELNS_18Fp8KVCacheDataTypeE0ELb0EEEvPT_PKS2_PKT0_S8_ifPKiSA_iPKfiiiSC_SC_iiiii.numbered_sgpr, 35
	.set _ZN4vllm25paged_attention_v1_kernelIttLi192ELi16ELi128ELNS_18Fp8KVCacheDataTypeE0ELb0EEEvPT_PKS2_PKT0_S8_ifPKiSA_iPKfiiiSC_SC_iiiii.num_named_barrier, 0
	.set _ZN4vllm25paged_attention_v1_kernelIttLi192ELi16ELi128ELNS_18Fp8KVCacheDataTypeE0ELb0EEEvPT_PKS2_PKT0_S8_ifPKiSA_iPKfiiiSC_SC_iiiii.private_seg_size, 0
	.set _ZN4vllm25paged_attention_v1_kernelIttLi192ELi16ELi128ELNS_18Fp8KVCacheDataTypeE0ELb0EEEvPT_PKS2_PKT0_S8_ifPKiSA_iPKfiiiSC_SC_iiiii.uses_vcc, 1
	.set _ZN4vllm25paged_attention_v1_kernelIttLi192ELi16ELi128ELNS_18Fp8KVCacheDataTypeE0ELb0EEEvPT_PKS2_PKT0_S8_ifPKiSA_iPKfiiiSC_SC_iiiii.uses_flat_scratch, 0
	.set _ZN4vllm25paged_attention_v1_kernelIttLi192ELi16ELi128ELNS_18Fp8KVCacheDataTypeE0ELb0EEEvPT_PKS2_PKT0_S8_ifPKiSA_iPKfiiiSC_SC_iiiii.has_dyn_sized_stack, 0
	.set _ZN4vllm25paged_attention_v1_kernelIttLi192ELi16ELi128ELNS_18Fp8KVCacheDataTypeE0ELb0EEEvPT_PKS2_PKT0_S8_ifPKiSA_iPKfiiiSC_SC_iiiii.has_recursion, 0
	.set _ZN4vllm25paged_attention_v1_kernelIttLi192ELi16ELi128ELNS_18Fp8KVCacheDataTypeE0ELb0EEEvPT_PKS2_PKT0_S8_ifPKiSA_iPKfiiiSC_SC_iiiii.has_indirect_call, 0
	.section	.AMDGPU.csdata,"",@progbits
; Kernel info:
; codeLenInByte = 6604
; TotalNumSgprs: 39
; NumVgprs: 54
; ScratchSize: 0
; MemoryBound: 0
; FloatMode: 240
; IeeeMode: 1
; LDSByteSize: 400 bytes/workgroup (compile time only)
; SGPRBlocks: 4
; VGPRBlocks: 13
; NumSGPRsForWavesPerEU: 39
; NumVGPRsForWavesPerEU: 54
; Occupancy: 4
; WaveLimiterHint : 1
; COMPUTE_PGM_RSRC2:SCRATCH_EN: 0
; COMPUTE_PGM_RSRC2:USER_SGPR: 6
; COMPUTE_PGM_RSRC2:TRAP_HANDLER: 0
; COMPUTE_PGM_RSRC2:TGID_X_EN: 1
; COMPUTE_PGM_RSRC2:TGID_Y_EN: 1
; COMPUTE_PGM_RSRC2:TGID_Z_EN: 1
; COMPUTE_PGM_RSRC2:TIDIG_COMP_CNT: 0
	.section	.text._ZN4vllm25paged_attention_v1_kernelIttLi256ELi16ELi128ELNS_18Fp8KVCacheDataTypeE0ELb0EEEvPT_PKS2_PKT0_S8_ifPKiSA_iPKfiiiSC_SC_iiiii,"axG",@progbits,_ZN4vllm25paged_attention_v1_kernelIttLi256ELi16ELi128ELNS_18Fp8KVCacheDataTypeE0ELb0EEEvPT_PKS2_PKT0_S8_ifPKiSA_iPKfiiiSC_SC_iiiii,comdat
	.protected	_ZN4vllm25paged_attention_v1_kernelIttLi256ELi16ELi128ELNS_18Fp8KVCacheDataTypeE0ELb0EEEvPT_PKS2_PKT0_S8_ifPKiSA_iPKfiiiSC_SC_iiiii ; -- Begin function _ZN4vllm25paged_attention_v1_kernelIttLi256ELi16ELi128ELNS_18Fp8KVCacheDataTypeE0ELb0EEEvPT_PKS2_PKT0_S8_ifPKiSA_iPKfiiiSC_SC_iiiii
	.globl	_ZN4vllm25paged_attention_v1_kernelIttLi256ELi16ELi128ELNS_18Fp8KVCacheDataTypeE0ELb0EEEvPT_PKS2_PKT0_S8_ifPKiSA_iPKfiiiSC_SC_iiiii
	.p2align	8
	.type	_ZN4vllm25paged_attention_v1_kernelIttLi256ELi16ELi128ELNS_18Fp8KVCacheDataTypeE0ELb0EEEvPT_PKS2_PKT0_S8_ifPKiSA_iPKfiiiSC_SC_iiiii,@function
_ZN4vllm25paged_attention_v1_kernelIttLi256ELi16ELi128ELNS_18Fp8KVCacheDataTypeE0ELb0EEEvPT_PKS2_PKT0_S8_ifPKiSA_iPKfiiiSC_SC_iiiii: ; @_ZN4vllm25paged_attention_v1_kernelIttLi256ELi16ELi128ELNS_18Fp8KVCacheDataTypeE0ELb0EEEvPT_PKS2_PKT0_S8_ifPKiSA_iPKfiiiSC_SC_iiiii
; %bb.0:
	s_load_dword s9, s[4:5], 0x80
	s_load_dwordx2 s[0:1], s[4:5], 0x30
	s_load_dwordx2 s[26:27], s[4:5], 0x20
	s_mov_b32 s10, s7
	s_ashr_i32 s11, s7, 31
	s_lshl_b64 s[2:3], s[10:11], 2
	s_waitcnt lgkmcnt(0)
	s_add_u32 s0, s0, s2
	s_addc_u32 s1, s1, s3
	s_abs_i32 s2, s26
	v_cvt_f32_u32_e32 v1, s2
	s_sub_i32 s11, 0, s2
	s_abs_i32 s7, s9
	s_xor_b32 s3, s9, s26
	v_rcp_iflag_f32_e32 v1, v1
	s_ashr_i32 s3, s3, 31
	s_mov_b32 s26, 0
	v_mul_f32_e32 v1, 0x4f7ffffe, v1
	v_cvt_u32_f32_e32 v1, v1
	v_readfirstlane_b32 s12, v1
	s_mul_i32 s11, s11, s12
	s_mul_hi_u32 s11, s12, s11
	s_add_i32 s12, s12, s11
	s_mul_hi_u32 s11, s7, s12
	s_mul_i32 s12, s11, s2
	s_sub_i32 s7, s7, s12
	s_add_i32 s12, s11, 1
	s_sub_i32 s13, s7, s2
	s_cmp_ge_u32 s7, s2
	s_cselect_b32 s11, s12, s11
	s_cselect_b32 s7, s13, s7
	s_add_i32 s12, s11, 1
	s_cmp_ge_u32 s7, s2
	s_cselect_b32 s2, s12, s11
	s_xor_b32 s2, s2, s3
	s_sub_i32 s12, s2, s3
	s_abs_i32 s11, s12
	v_cvt_f32_u32_e32 v1, s11
	s_load_dwordx2 s[2:3], s[4:5], 0x40
	s_sub_i32 s7, 0, s11
	s_abs_i32 s18, s6
	v_rcp_iflag_f32_e32 v1, v1
	v_mul_f32_e32 v1, 0x4f7ffffe, v1
	v_cvt_u32_f32_e32 v1, v1
	v_readfirstlane_b32 s13, v1
	s_mul_i32 s7, s7, s13
	s_mul_hi_u32 s7, s13, s7
	s_add_i32 s13, s13, s7
	s_waitcnt lgkmcnt(0)
	s_cmp_eq_u64 s[2:3], 0
	s_mul_hi_u32 s19, s18, s13
	s_cbranch_scc1 .LBB89_2
; %bb.1:
	s_ashr_i32 s7, s6, 31
	s_lshl_b64 s[14:15], s[6:7], 2
	s_add_u32 s2, s2, s14
	s_addc_u32 s3, s3, s15
	s_load_dword s26, s[2:3], 0x0
.LBB89_2:
	s_load_dword s33, s[0:1], 0x0
	s_ashr_i32 s3, s12, 31
	s_load_dwordx4 s[12:15], s[4:5], 0x48
	s_movk_i32 s0, 0x80
	s_ashr_i32 s2, s6, 31
	v_and_b32_e32 v1, 3, v0
	s_lshl_b32 s16, s6, 8
	v_cmp_gt_u32_e32 vcc, s0, v0
	v_lshlrev_b32_e32 v2, 2, v0
	s_and_saveexec_b64 s[0:1], vcc
	s_cbranch_execz .LBB89_4
; %bb.3:
	s_load_dwordx2 s[6:7], s[4:5], 0x8
	s_waitcnt lgkmcnt(0)
	s_mul_i32 s20, s12, s10
	s_ashr_i32 s21, s20, 31
	s_lshl_b64 s[20:21], s[20:21], 1
	v_and_b32_e32 v4, 0x3fc, v0
	s_add_u32 s12, s6, s20
	s_addc_u32 s15, s7, s21
	s_ashr_i32 s17, s16, 31
	s_lshl_b64 s[6:7], s[16:17], 1
	s_add_u32 s6, s12, s6
	s_addc_u32 s7, s15, s7
	global_load_dword v3, v2, s[6:7]
	v_lshl_add_u32 v4, v1, 7, v4
	s_waitcnt vmcnt(0)
	ds_write_b32 v4, v3
.LBB89_4:
	s_or_b64 exec, exec, s[0:1]
	s_waitcnt lgkmcnt(0)
	s_add_i32 s1, s33, 15
	s_ashr_i32 s6, s1, 31
	s_lshr_b32 s6, s6, 28
	s_add_i32 s1, s1, s6
	s_ashr_i32 s12, s1, 4
	s_xor_b32 s1, s2, s3
	s_mul_i32 s2, s19, s11
	s_sub_i32 s2, s18, s2
	s_add_i32 s3, s19, 1
	s_sub_i32 s6, s2, s11
	s_load_dwordx2 s[20:21], s[4:5], 0x28
	s_load_dword s0, s[4:5], 0x38
	s_cmp_ge_u32 s2, s11
	s_cselect_b32 s3, s3, s19
	s_cselect_b32 s2, s6, s2
	s_add_i32 s6, s3, 1
	s_cmp_ge_u32 s2, s11
	s_cselect_b32 s2, s6, s3
	v_lshrrev_b32_e32 v9, 6, v0
	s_xor_b32 s2, s2, s1
	s_waitcnt lgkmcnt(0)
	s_mul_i32 s22, s0, s10
	s_sub_i32 s15, s2, s1
	s_ashr_i32 s23, s22, 31
	v_cmp_gt_i32_e64 s[0:1], s12, v9
	v_cmp_le_i32_e32 vcc, s12, v9
	v_mbcnt_lo_u32_b32 v14, -1, 0
	s_barrier
                                        ; implicit-def: $vgpr4
                                        ; implicit-def: $vgpr6
                                        ; implicit-def: $vgpr5
	s_and_saveexec_b64 s[2:3], vcc
	s_xor_b64 s[2:3], exec, s[2:3]
; %bb.5:
	v_mbcnt_hi_u32_b32 v4, -1, v14
	v_and_b32_e32 v6, 64, v4
	v_add_u32_e32 v5, 64, v6
                                        ; implicit-def: $vgpr2
                                        ; implicit-def: $vgpr1
                                        ; implicit-def: $vgpr14
; %bb.6:
	s_or_saveexec_b64 s[6:7], s[2:3]
	s_load_dwordx2 s[18:19], s[4:5], 0x0
	s_load_dwordx2 s[24:25], s[4:5], 0x18
	s_load_dword s11, s[4:5], 0x88
	v_mov_b32_e32 v7, 0xff7fffff
	s_mul_i32 s14, s15, s14
	v_lshrrev_b32_e32 v3, 4, v0
	s_xor_b64 exec, exec, s[6:7]
	s_cbranch_execz .LBB89_12
; %bb.7:
	s_load_dwordx2 s[2:3], s[4:5], 0x10
	s_ashr_i32 s15, s14, 31
	s_lshl_b64 s[4:5], s[14:15], 1
	v_bfe_u32 v4, v0, 2, 4
	v_lshlrev_b32_e32 v5, 4, v4
	s_waitcnt lgkmcnt(0)
	s_add_u32 s2, s2, s4
	s_addc_u32 s3, s3, s5
	v_mov_b32_e32 v6, s3
	v_add_co_u32_e32 v5, vcc, s2, v5
	v_addc_co_u32_e32 v6, vcc, 0, v6, vcc
	v_and_b32_e32 v2, 12, v2
	v_add_co_u32_e32 v8, vcc, v5, v2
	v_addc_co_u32_e32 v10, vcc, 0, v6, vcc
	v_lshlrev_b32_e32 v11, 7, v1
	v_cmp_eq_u32_e32 vcc, 0, v1
	s_sub_i32 s15, 1, s33
	v_lshlrev_b32_e32 v1, 2, v4
	s_lshl_b64 s[4:5], s[22:23], 2
	v_lshl_or_b32 v1, v9, 6, v1
	s_add_u32 s4, s20, s4
	v_lshl_or_b32 v12, v9, 4, v4
	v_add_u32_e32 v13, 0x210, v1
	v_and_b32_e32 v1, 60, v3
	s_addc_u32 s5, s21, s5
	v_mbcnt_hi_u32_b32 v4, -1, v14
	v_mov_b32_e32 v2, s5
	v_add_co_u32_e64 v1, s[4:5], s4, v1
	v_and_b32_e32 v6, 64, v4
	s_mov_b32 s17, s13
	v_cmp_neq_f32_e64 s[2:3], s26, 0
	v_addc_co_u32_e64 v2, s[4:5], 0, v2, s[4:5]
	v_mov_b32_e32 v7, 0xff7fffff
	s_mov_b64 s[28:29], 0
	s_movk_i32 s34, 0x1000
	v_add_u32_e32 v5, 64, v6
	v_xor_b32_e32 v14, 2, v4
	v_xor_b32_e32 v15, 1, v4
	v_mov_b32_e32 v16, v9
	s_branch .LBB89_9
.LBB89_8:                               ;   in Loop: Header=BB89_9 Depth=1
	s_or_b64 exec, exec, s[30:31]
	v_add_u32_e32 v16, 2, v16
	v_cmp_le_i32_e64 s[4:5], s12, v16
	s_or_b64 s[28:29], s[4:5], s[28:29]
	v_add_co_u32_e64 v1, s[4:5], 8, v1
	v_add_u32_e32 v12, 32, v12
	v_add_u32_e32 v13, 0x80, v13
	v_addc_co_u32_e64 v2, s[4:5], 0, v2, s[4:5]
	s_andn2_b64 exec, exec, s[28:29]
	s_cbranch_execz .LBB89_11
.LBB89_9:                               ; =>This Inner Loop Header: Depth=1
	global_load_dword v17, v[1:2], off
	s_waitcnt vmcnt(0) lgkmcnt(0)
	v_mad_i64_i32 v[17:18], s[4:5], v17, s17, 0
	v_lshlrev_b64 v[17:18], 1, v[17:18]
	v_add_co_u32_e64 v17, s[4:5], v8, v17
	v_addc_co_u32_e64 v18, s[4:5], v10, v18, s[4:5]
	global_load_dword v21, v[17:18], off
	global_load_dword v23, v[17:18], off offset:256
	global_load_dword v48, v[17:18], off offset:512
	v_add_co_u32_e64 v49, s[4:5], s34, v17
	v_addc_co_u32_e64 v50, s[4:5], 0, v18, s[4:5]
	global_load_dword v47, v[17:18], off offset:768
	global_load_dword v46, v[17:18], off offset:1024
	;; [unrolled: 1-line block ×13, first 2 shown]
	global_load_dword v34, v[49:50], off
	global_load_dword v33, v[49:50], off offset:256
	global_load_dword v32, v[49:50], off offset:512
	global_load_dword v31, v[49:50], off offset:768
	global_load_dword v30, v[49:50], off offset:1024
	global_load_dword v29, v[49:50], off offset:1280
	global_load_dword v28, v[49:50], off offset:1536
	global_load_dword v27, v[49:50], off offset:1792
	global_load_dword v26, v[49:50], off offset:2048
	global_load_dword v25, v[49:50], off offset:2304
	global_load_dword v24, v[49:50], off offset:2560
	global_load_dword v22, v[49:50], off offset:2816
	global_load_dword v20, v[49:50], off offset:3072
	global_load_dword v19, v[49:50], off offset:3328
	global_load_dword v18, v[49:50], off offset:3584
	global_load_dword v17, v[49:50], off offset:3840
	ds_read_b32 v49, v11
	v_cmp_lt_i32_e64 s[4:5], v14, v5
	s_waitcnt lgkmcnt(0)
	v_lshrrev_b32_e32 v50, 16, v49
	v_and_b32_e32 v49, 0xffff, v49
	;;#ASMSTART
	v_cvt_f32_f16 v49, v49;
	;;#ASMEND
	;;#ASMSTART
	v_cvt_f32_f16 v50, v50;
	;;#ASMEND
	s_waitcnt vmcnt(31)
	v_lshrrev_b32_e32 v52, 16, v21
	v_and_b32_e32 v21, 0xffff, v21
	;;#ASMSTART
	v_cvt_f32_f16 v51, v21;
	;;#ASMEND
	;;#ASMSTART
	v_cvt_f32_f16 v52, v52;
	;;#ASMEND
	ds_read_b32 v21, v11 offset:4
	s_waitcnt vmcnt(30)
	v_and_b32_e32 v54, 0xffff, v23
	v_lshrrev_b32_e32 v23, 16, v23
	s_waitcnt lgkmcnt(0)
	v_lshrrev_b32_e32 v53, 16, v21
	v_and_b32_e32 v21, 0xffff, v21
	;;#ASMSTART
	v_cvt_f32_f16 v21, v21;
	;;#ASMEND
	;;#ASMSTART
	v_cvt_f32_f16 v53, v53;
	;;#ASMEND
	;;#ASMSTART
	v_cvt_f32_f16 v54, v54;
	;;#ASMEND
	v_mul_f32_e32 v21, v21, v54
	v_fmac_f32_e32 v21, v49, v51
	;;#ASMSTART
	v_cvt_f32_f16 v23, v23;
	;;#ASMEND
	ds_read_b32 v49, v11 offset:8
	v_mul_f32_e32 v23, v53, v23
	v_fmac_f32_e32 v23, v50, v52
	s_waitcnt vmcnt(29)
	v_and_b32_e32 v51, 0xffff, v48
	v_lshrrev_b32_e32 v48, 16, v48
	s_waitcnt lgkmcnt(0)
	v_lshrrev_b32_e32 v50, 16, v49
	v_and_b32_e32 v49, 0xffff, v49
	;;#ASMSTART
	v_cvt_f32_f16 v49, v49;
	;;#ASMEND
	;;#ASMSTART
	v_cvt_f32_f16 v50, v50;
	;;#ASMEND
	;;#ASMSTART
	v_cvt_f32_f16 v51, v51;
	;;#ASMEND
	;;#ASMSTART
	v_cvt_f32_f16 v48, v48;
	;;#ASMEND
	v_fmac_f32_e32 v23, v50, v48
	ds_read_b32 v48, v11 offset:12
	v_fmac_f32_e32 v21, v49, v51
	s_waitcnt vmcnt(28)
	v_and_b32_e32 v50, 0xffff, v47
	v_lshrrev_b32_e32 v47, 16, v47
	s_waitcnt lgkmcnt(0)
	v_lshrrev_b32_e32 v49, 16, v48
	v_and_b32_e32 v48, 0xffff, v48
	;;#ASMSTART
	v_cvt_f32_f16 v48, v48;
	;;#ASMEND
	;;#ASMSTART
	v_cvt_f32_f16 v49, v49;
	;;#ASMEND
	;;#ASMSTART
	v_cvt_f32_f16 v50, v50;
	;;#ASMEND
	;;#ASMSTART
	v_cvt_f32_f16 v47, v47;
	;;#ASMEND
	v_fmac_f32_e32 v23, v49, v47
	ds_read_b32 v47, v11 offset:16
	;; [unrolled: 21-line block ×6, first 2 shown]
	v_fmac_f32_e32 v21, v44, v46
	s_waitcnt vmcnt(23)
	v_and_b32_e32 v45, 0xffff, v42
	v_lshrrev_b32_e32 v42, 16, v42
	s_waitcnt lgkmcnt(0)
	v_lshrrev_b32_e32 v44, 16, v43
	v_and_b32_e32 v43, 0xffff, v43
	;;#ASMSTART
	v_cvt_f32_f16 v43, v43;
	;;#ASMEND
	;;#ASMSTART
	v_cvt_f32_f16 v44, v44;
	;;#ASMEND
	;; [unrolled: 3-line block ×3, first 2 shown]
	v_fmac_f32_e32 v21, v43, v45
	;;#ASMSTART
	v_cvt_f32_f16 v42, v42;
	;;#ASMEND
	ds_read_b32 v43, v11 offset:36
	v_fmac_f32_e32 v23, v44, v42
	s_waitcnt vmcnt(22)
	v_and_b32_e32 v44, 0xffff, v41
	v_lshrrev_b32_e32 v45, 16, v41
	s_waitcnt lgkmcnt(0)
	v_and_b32_e32 v41, 0xffff, v43
	v_lshrrev_b32_e32 v42, 16, v43
	;;#ASMSTART
	v_cvt_f32_f16 v41, v41;
	;;#ASMEND
	;;#ASMSTART
	v_cvt_f32_f16 v42, v42;
	;;#ASMEND
	;; [unrolled: 3-line block ×4, first 2 shown]
	v_fmac_f32_e32 v21, v41, v43
	ds_read_b32 v41, v11 offset:40
	s_waitcnt vmcnt(21)
	v_and_b32_e32 v43, 0xffff, v40
	v_lshrrev_b32_e32 v45, 16, v40
	v_fmac_f32_e32 v23, v42, v44
	s_waitcnt lgkmcnt(0)
	v_lshrrev_b32_e32 v42, 16, v41
	v_and_b32_e32 v40, 0xffff, v41
	;;#ASMSTART
	v_cvt_f32_f16 v40, v40;
	;;#ASMEND
	;;#ASMSTART
	v_cvt_f32_f16 v41, v42;
	;;#ASMEND
	;; [unrolled: 3-line block ×4, first 2 shown]
	ds_read_b32 v44, v11 offset:44
	v_fmac_f32_e32 v21, v40, v42
	s_waitcnt vmcnt(20)
	v_and_b32_e32 v42, 0xffff, v39
	v_lshrrev_b32_e32 v45, 16, v39
	v_fmac_f32_e32 v23, v41, v43
	s_waitcnt lgkmcnt(0)
	v_lshrrev_b32_e32 v40, 16, v44
	v_and_b32_e32 v39, 0xffff, v44
	;;#ASMSTART
	v_cvt_f32_f16 v39, v39;
	;;#ASMEND
	;;#ASMSTART
	v_cvt_f32_f16 v40, v40;
	;;#ASMEND
	;; [unrolled: 3-line block ×4, first 2 shown]
	ds_read_b32 v43, v11 offset:48
	s_waitcnt vmcnt(19)
	v_and_b32_e32 v44, 0xffff, v38
	v_lshrrev_b32_e32 v45, 16, v38
	v_fmac_f32_e32 v21, v39, v41
	v_fmac_f32_e32 v23, v40, v42
	s_waitcnt lgkmcnt(0)
	v_lshrrev_b32_e32 v39, 16, v43
	v_and_b32_e32 v38, 0xffff, v43
	;;#ASMSTART
	v_cvt_f32_f16 v38, v38;
	;;#ASMEND
	;;#ASMSTART
	v_cvt_f32_f16 v39, v39;
	;;#ASMEND
	;; [unrolled: 3-line block ×4, first 2 shown]
	ds_read_b32 v44, v11 offset:52
	s_waitcnt vmcnt(18)
	v_and_b32_e32 v40, 0xffff, v37
	v_lshrrev_b32_e32 v42, 16, v37
	v_fmac_f32_e32 v21, v38, v41
	s_waitcnt vmcnt(17)
	v_lshrrev_b32_e32 v45, 16, v36
	s_waitcnt lgkmcnt(0)
	v_lshrrev_b32_e32 v38, 16, v44
	v_and_b32_e32 v37, 0xffff, v44
	;;#ASMSTART
	v_cvt_f32_f16 v37, v37;
	;;#ASMEND
	;;#ASMSTART
	v_cvt_f32_f16 v38, v38;
	;;#ASMEND
	;; [unrolled: 3-line block ×4, first 2 shown]
	ds_read_b32 v42, v11 offset:56
	v_and_b32_e32 v44, 0xffff, v36
	v_fmac_f32_e32 v23, v39, v43
	v_fmac_f32_e32 v21, v37, v40
	s_waitcnt vmcnt(16)
	v_and_b32_e32 v40, 0xffff, v35
	s_waitcnt lgkmcnt(0)
	v_lshrrev_b32_e32 v39, 16, v42
	v_and_b32_e32 v36, 0xffff, v42
	;;#ASMSTART
	v_cvt_f32_f16 v36, v36;
	;;#ASMEND
	;;#ASMSTART
	v_cvt_f32_f16 v39, v39;
	;;#ASMEND
	;; [unrolled: 3-line block ×4, first 2 shown]
	ds_read_b32 v44, v11 offset:60
	v_lshrrev_b32_e32 v45, 16, v35
	v_fmac_f32_e32 v23, v38, v41
	v_fmac_f32_e32 v21, v36, v42
	;; [unrolled: 1-line block ×3, first 2 shown]
	s_waitcnt lgkmcnt(0)
	v_lshrrev_b32_e32 v37, 16, v44
	v_and_b32_e32 v35, 0xffff, v44
	;;#ASMSTART
	v_cvt_f32_f16 v35, v35;
	;;#ASMEND
	;;#ASMSTART
	v_cvt_f32_f16 v37, v37;
	;;#ASMEND
	;; [unrolled: 3-line block ×4, first 2 shown]
	ds_read_b32 v40, v11 offset:64
	s_waitcnt vmcnt(15)
	v_and_b32_e32 v44, 0xffff, v34
	v_lshrrev_b32_e32 v45, 16, v34
	s_waitcnt vmcnt(14)
	v_and_b32_e32 v39, 0xffff, v33
	v_lshrrev_b32_e32 v33, 16, v33
	s_waitcnt lgkmcnt(0)
	v_lshrrev_b32_e32 v36, 16, v40
	v_and_b32_e32 v34, 0xffff, v40
	;;#ASMSTART
	v_cvt_f32_f16 v34, v34;
	;;#ASMEND
	;;#ASMSTART
	v_cvt_f32_f16 v36, v36;
	;;#ASMEND
	;; [unrolled: 3-line block ×4, first 2 shown]
	ds_read_b32 v40, v11 offset:68
	v_fmac_f32_e32 v21, v35, v38
	s_waitcnt vmcnt(13)
	v_lshrrev_b32_e32 v43, 16, v32
	v_fmac_f32_e32 v23, v37, v41
	v_fmac_f32_e32 v21, v34, v44
	s_waitcnt lgkmcnt(0)
	v_and_b32_e32 v35, 0xffff, v40
	v_lshrrev_b32_e32 v38, 16, v40
	;;#ASMSTART
	v_cvt_f32_f16 v35, v35;
	;;#ASMEND
	;;#ASMSTART
	v_cvt_f32_f16 v40, v38;
	;;#ASMEND
	;; [unrolled: 3-line block ×4, first 2 shown]
	ds_read_b32 v33, v11 offset:72
	v_and_b32_e32 v38, 0xffff, v32
	s_waitcnt vmcnt(12)
	v_and_b32_e32 v34, 0xffff, v31
	v_lshrrev_b32_e32 v31, 16, v31
	v_fmac_f32_e32 v23, v36, v45
	s_waitcnt lgkmcnt(0)
	v_lshrrev_b32_e32 v32, 16, v33
	v_and_b32_e32 v33, 0xffff, v33
	;;#ASMSTART
	v_cvt_f32_f16 v46, v33;
	;;#ASMEND
	;;#ASMSTART
	v_cvt_f32_f16 v32, v32;
	;;#ASMEND
	;; [unrolled: 3-line block ×4, first 2 shown]
	ds_read_b32 v37, v11 offset:76
	s_waitcnt vmcnt(11)
	v_and_b32_e32 v41, 0xffff, v30
	v_lshrrev_b32_e32 v30, 16, v30
	v_fmac_f32_e32 v21, v35, v39
	s_waitcnt vmcnt(10)
	v_lshrrev_b32_e32 v44, 16, v29
	s_waitcnt lgkmcnt(0)
	v_lshrrev_b32_e32 v36, 16, v37
	v_and_b32_e32 v37, 0xffff, v37
	;;#ASMSTART
	v_cvt_f32_f16 v38, v37;
	;;#ASMEND
	;;#ASMSTART
	v_cvt_f32_f16 v36, v36;
	;;#ASMEND
	;; [unrolled: 3-line block ×4, first 2 shown]
	ds_read_b32 v31, v11 offset:80
	v_fmac_f32_e32 v23, v40, v42
	s_waitcnt vmcnt(9)
	v_lshrrev_b32_e32 v45, 16, v28
	v_fmac_f32_e32 v23, v32, v33
	v_fmac_f32_e32 v21, v46, v47
	s_waitcnt lgkmcnt(0)
	v_lshrrev_b32_e32 v34, 16, v31
	v_and_b32_e32 v31, 0xffff, v31
	;;#ASMSTART
	v_cvt_f32_f16 v39, v31;
	;;#ASMEND
	;;#ASMSTART
	v_cvt_f32_f16 v34, v34;
	;;#ASMEND
	;;#ASMSTART
	v_cvt_f32_f16 v41, v41;
	;;#ASMEND
	;;#ASMSTART
	v_cvt_f32_f16 v35, v30;
	;;#ASMEND
	ds_read_b32 v30, v11 offset:84
	v_and_b32_e32 v31, 0xffff, v29
	v_fmac_f32_e32 v21, v38, v43
	s_waitcnt vmcnt(8)
	v_and_b32_e32 v38, 0xffff, v27
	v_lshrrev_b32_e32 v43, 16, v27
	s_waitcnt lgkmcnt(0)
	v_lshrrev_b32_e32 v29, 16, v30
	v_and_b32_e32 v30, 0xffff, v30
	;;#ASMSTART
	v_cvt_f32_f16 v40, v30;
	;;#ASMEND
	;;#ASMSTART
	v_cvt_f32_f16 v29, v29;
	;;#ASMEND
	;;#ASMSTART
	v_cvt_f32_f16 v42, v31;
	;;#ASMEND
	;;#ASMSTART
	v_cvt_f32_f16 v30, v44;
	;;#ASMEND
	ds_read_b32 v31, v11 offset:88
	v_and_b32_e32 v44, 0xffff, v28
	v_fmac_f32_e32 v23, v36, v37
	v_fmac_f32_e32 v21, v39, v41
	;; [unrolled: 1-line block ×3, first 2 shown]
	s_waitcnt lgkmcnt(0)
	v_lshrrev_b32_e32 v32, 16, v31
	v_and_b32_e32 v28, 0xffff, v31
	;;#ASMSTART
	v_cvt_f32_f16 v28, v28;
	;;#ASMEND
	;;#ASMSTART
	v_cvt_f32_f16 v31, v32;
	;;#ASMEND
	;; [unrolled: 3-line block ×4, first 2 shown]
	ds_read_b32 v44, v11 offset:92
	s_waitcnt vmcnt(7)
	v_lshrrev_b32_e32 v45, 16, v26
	s_waitcnt vmcnt(6)
	v_and_b32_e32 v35, 0xffff, v25
	v_fmac_f32_e32 v21, v40, v42
	v_fmac_f32_e32 v23, v29, v30
	s_waitcnt lgkmcnt(0)
	v_lshrrev_b32_e32 v36, 16, v44
	v_and_b32_e32 v27, 0xffff, v44
	;;#ASMSTART
	v_cvt_f32_f16 v27, v27;
	;;#ASMEND
	;;#ASMSTART
	v_cvt_f32_f16 v36, v36;
	;;#ASMEND
	;;#ASMSTART
	v_cvt_f32_f16 v37, v38;
	;;#ASMEND
	;;#ASMSTART
	v_cvt_f32_f16 v38, v43;
	;;#ASMEND
	ds_read_b32 v43, v11 offset:96
	v_and_b32_e32 v44, 0xffff, v26
	v_fmac_f32_e32 v21, v28, v32
	v_fmac_f32_e32 v23, v31, v33
	s_waitcnt vmcnt(4)
	v_lshrrev_b32_e32 v32, 16, v22
	s_waitcnt lgkmcnt(0)
	v_lshrrev_b32_e32 v39, 16, v43
	v_and_b32_e32 v26, 0xffff, v43
	;;#ASMSTART
	v_cvt_f32_f16 v26, v26;
	;;#ASMEND
	;;#ASMSTART
	v_cvt_f32_f16 v39, v39;
	;;#ASMEND
	;; [unrolled: 3-line block ×4, first 2 shown]
	ds_read_b32 v44, v11 offset:100
	v_lshrrev_b32_e32 v45, 16, v25
	v_and_b32_e32 v22, 0xffff, v22
	v_fmac_f32_e32 v21, v27, v37
	v_fmac_f32_e32 v21, v26, v41
	s_waitcnt lgkmcnt(0)
	v_lshrrev_b32_e32 v34, 16, v44
	v_and_b32_e32 v25, 0xffff, v44
	;;#ASMSTART
	v_cvt_f32_f16 v25, v25;
	;;#ASMEND
	;;#ASMSTART
	v_cvt_f32_f16 v34, v34;
	;;#ASMEND
	;; [unrolled: 3-line block ×4, first 2 shown]
	ds_read_b32 v42, v11 offset:104
	v_fmac_f32_e32 v23, v36, v38
	v_fmac_f32_e32 v23, v39, v43
	;; [unrolled: 1-line block ×4, first 2 shown]
	s_waitcnt lgkmcnt(0)
	v_lshrrev_b32_e32 v30, 16, v42
	v_and_b32_e32 v29, 0xffff, v42
	v_lshrrev_b32_e32 v42, 16, v24
	v_and_b32_e32 v24, 0xffff, v24
	;;#ASMSTART
	v_cvt_f32_f16 v29, v29;
	;;#ASMEND
	;;#ASMSTART
	v_cvt_f32_f16 v30, v30;
	;;#ASMEND
	;; [unrolled: 3-line block ×4, first 2 shown]
	ds_read_b32 v44, v11 offset:108
	v_fmac_f32_e32 v21, v29, v24
	s_waitcnt vmcnt(2)
	v_lshrrev_b32_e32 v29, 16, v19
	v_and_b32_e32 v19, 0xffff, v19
	v_fmac_f32_e32 v23, v30, v42
	s_waitcnt lgkmcnt(0)
	v_lshrrev_b32_e32 v31, 16, v44
	v_and_b32_e32 v28, 0xffff, v44
	;;#ASMSTART
	v_cvt_f32_f16 v28, v28;
	;;#ASMEND
	;;#ASMSTART
	v_cvt_f32_f16 v31, v31;
	;;#ASMEND
	;; [unrolled: 3-line block ×4, first 2 shown]
	ds_read_b32 v33, v11 offset:112
	v_fmac_f32_e32 v21, v28, v22
	v_fmac_f32_e32 v23, v31, v32
	s_waitcnt lgkmcnt(0)
	v_lshrrev_b32_e32 v27, 16, v33
	v_and_b32_e32 v26, 0xffff, v33
	v_lshrrev_b32_e32 v33, 16, v20
	v_and_b32_e32 v20, 0xffff, v20
	;;#ASMSTART
	v_cvt_f32_f16 v26, v26;
	;;#ASMEND
	;;#ASMSTART
	v_cvt_f32_f16 v27, v27;
	;;#ASMEND
	;; [unrolled: 3-line block ×4, first 2 shown]
	ds_read_b32 v36, v11 offset:116
	v_fmac_f32_e32 v21, v26, v20
	s_waitcnt vmcnt(1)
	v_lshrrev_b32_e32 v26, 16, v18
	v_and_b32_e32 v18, 0xffff, v18
	v_fmac_f32_e32 v23, v27, v33
	s_waitcnt lgkmcnt(0)
	v_lshrrev_b32_e32 v25, 16, v36
	v_and_b32_e32 v24, 0xffff, v36
	;;#ASMSTART
	v_cvt_f32_f16 v24, v24;
	;;#ASMEND
	;;#ASMSTART
	v_cvt_f32_f16 v25, v25;
	;;#ASMEND
	;; [unrolled: 3-line block ×4, first 2 shown]
	ds_read_b32 v30, v11 offset:120
	v_fmac_f32_e32 v21, v24, v19
	v_fmac_f32_e32 v23, v25, v29
	s_waitcnt lgkmcnt(0)
	v_lshrrev_b32_e32 v22, 16, v30
	v_and_b32_e32 v20, 0xffff, v30
	;;#ASMSTART
	v_cvt_f32_f16 v20, v20;
	;;#ASMEND
	;;#ASMSTART
	v_cvt_f32_f16 v22, v22;
	;;#ASMEND
	;; [unrolled: 3-line block ×4, first 2 shown]
	ds_read_b32 v27, v11 offset:124
	v_fmac_f32_e32 v21, v20, v18
	v_fmac_f32_e32 v23, v22, v26
	s_waitcnt vmcnt(0)
	v_lshrrev_b32_e32 v20, 16, v17
	v_and_b32_e32 v17, 0xffff, v17
	s_waitcnt lgkmcnt(0)
	v_and_b32_e32 v18, 0xffff, v27
	v_lshrrev_b32_e32 v19, 16, v27
	;;#ASMSTART
	v_cvt_f32_f16 v18, v18;
	;;#ASMEND
	;;#ASMSTART
	v_cvt_f32_f16 v19, v19;
	;;#ASMEND
	;; [unrolled: 3-line block ×4, first 2 shown]
	v_fmac_f32_e32 v21, v18, v17
	v_fmac_f32_e32 v23, v19, v20
	v_cndmask_b32_e64 v18, v4, v14, s[4:5]
	v_add_f32_e32 v17, v21, v23
	v_lshlrev_b32_e32 v18, 2, v18
	ds_bpermute_b32 v18, v18, v17
	v_cmp_lt_i32_e64 s[4:5], v15, v5
	s_waitcnt lgkmcnt(0)
	v_add_f32_e32 v17, v17, v18
	v_cndmask_b32_e64 v18, v4, v15, s[4:5]
	v_lshlrev_b32_e32 v18, 2, v18
	ds_bpermute_b32 v18, v18, v17
	s_and_saveexec_b64 s[30:31], vcc
	s_cbranch_execz .LBB89_8
; %bb.10:                               ;   in Loop: Header=BB89_9 Depth=1
	v_add_u32_e32 v19, s15, v12
	v_cvt_f32_i32_e32 v19, v19
	s_waitcnt lgkmcnt(0)
	v_add_f32_e32 v17, v17, v18
	v_cmp_gt_i32_e64 s[4:5], s33, v12
	v_max_f32_e32 v18, v7, v7
	v_mul_f32_e32 v19, s26, v19
	v_cndmask_b32_e64 v19, 0, v19, s[2:3]
	v_fmac_f32_e32 v19, s27, v17
	v_cndmask_b32_e64 v17, 0, v19, s[4:5]
	ds_write_b32 v13, v17
	v_max_f32_e32 v17, v18, v19
	v_cndmask_b32_e64 v7, v7, v17, s[4:5]
	s_branch .LBB89_8
.LBB89_11:
	s_or_b64 exec, exec, s[28:29]
.LBB89_12:
	s_or_b64 exec, exec, s[6:7]
	v_xor_b32_e32 v1, 32, v4
	v_cmp_lt_i32_e32 vcc, v1, v5
	v_cndmask_b32_e32 v1, v4, v1, vcc
	v_lshlrev_b32_e32 v1, 2, v1
	ds_bpermute_b32 v2, v1, v7
	v_xor_b32_e32 v8, 16, v4
	v_max_f32_e32 v7, v7, v7
	v_cmp_lt_i32_e32 vcc, v8, v5
	v_xor_b32_e32 v10, 8, v4
	s_waitcnt lgkmcnt(0)
	v_max_f32_e32 v2, v2, v2
	v_max_f32_e32 v7, v7, v2
	v_cndmask_b32_e32 v2, v4, v8, vcc
	v_lshlrev_b32_e32 v2, 2, v2
	ds_bpermute_b32 v8, v2, v7
	v_cmp_lt_i32_e32 vcc, v10, v5
	s_waitcnt lgkmcnt(0)
	v_max_f32_e32 v8, v8, v8
	v_max_f32_e32 v7, v7, v8
	v_cndmask_b32_e32 v8, v4, v10, vcc
	v_lshlrev_b32_e32 v12, 2, v8
	ds_bpermute_b32 v8, v12, v7
	v_xor_b32_e32 v10, 4, v4
	v_cmp_lt_i32_e32 vcc, v10, v5
	s_waitcnt lgkmcnt(0)
	v_max_f32_e32 v8, v8, v8
	v_max_f32_e32 v8, v7, v8
	v_cndmask_b32_e32 v7, v4, v10, vcc
	v_lshlrev_b32_e32 v13, 2, v7
	ds_bpermute_b32 v11, v13, v8
	v_and_b32_e32 v10, 63, v0
	v_cmp_eq_u32_e32 vcc, 0, v10
	v_lshlrev_b32_e32 v7, 2, v9
	s_and_saveexec_b64 s[2:3], vcc
	s_cbranch_execz .LBB89_14
; %bb.13:
	s_waitcnt lgkmcnt(0)
	v_max_f32_e32 v11, v11, v11
	v_max_f32_e32 v8, v8, v8
	v_max_f32_e32 v8, v8, v11
	ds_write_b32 v7, v8 offset:512
.LBB89_14:
	s_or_b64 exec, exec, s[2:3]
	v_cmp_gt_u32_e64 s[2:3], 2, v10
	v_mov_b32_e32 v14, 0xff7fffff
	v_lshlrev_b32_e32 v8, 2, v10
	s_waitcnt lgkmcnt(0)
	s_barrier
	s_and_saveexec_b64 s[4:5], s[2:3]
; %bb.15:
	ds_read_b32 v14, v8 offset:512
; %bb.16:
	s_or_b64 exec, exec, s[4:5]
	v_xor_b32_e32 v11, 1, v4
	v_cmp_lt_i32_e64 s[4:5], v11, v5
	v_cndmask_b32_e64 v11, v4, v11, s[4:5]
	v_lshlrev_b32_e32 v11, 2, v11
	s_waitcnt lgkmcnt(0)
	ds_bpermute_b32 v15, v11, v14
	v_max_f32_e32 v14, v14, v14
	v_lshlrev_b32_e32 v6, 2, v6
	s_lshl_b32 s4, s12, 4
	s_min_i32 s15, s4, s33
	s_waitcnt lgkmcnt(0)
	v_max_f32_e32 v15, v15, v15
	v_max_f32_e32 v14, v14, v15
	ds_bpermute_b32 v14, v6, v14
	v_cmp_gt_i32_e64 s[4:5], s15, v0
	v_mov_b32_e32 v6, 0
	s_and_saveexec_b64 s[26:27], s[4:5]
	s_cbranch_execz .LBB89_20
; %bb.17:
	v_mov_b32_e32 v6, 0x210
	v_lshl_add_u32 v15, v0, 2, v6
	v_mov_b32_e32 v6, 0
	s_mov_b64 s[28:29], 0
	v_mov_b32_e32 v16, v0
.LBB89_18:                              ; =>This Inner Loop Header: Depth=1
	ds_read_b32 v17, v15
	v_add_u32_e32 v16, 0x80, v16
	v_cmp_le_i32_e64 s[6:7], s15, v16
	s_or_b64 s[28:29], s[6:7], s[28:29]
	s_waitcnt lgkmcnt(0)
	v_sub_f32_e32 v17, v17, v14
	v_mul_f32_e32 v17, 0x3fb8aa3b, v17
	v_exp_f32_e32 v17, v17
	ds_write_b32 v15, v17
	v_add_f32_e32 v6, v6, v17
	v_add_u32_e32 v15, 0x200, v15
	s_andn2_b64 exec, exec, s[28:29]
	s_cbranch_execnz .LBB89_18
; %bb.19:
	s_or_b64 exec, exec, s[28:29]
.LBB89_20:
	s_or_b64 exec, exec, s[26:27]
	ds_bpermute_b32 v1, v1, v6
	s_waitcnt lgkmcnt(0)
	v_add_f32_e32 v1, v6, v1
	ds_bpermute_b32 v2, v2, v1
	v_xor_b32_e32 v6, 2, v4
	v_cmp_lt_i32_e64 s[6:7], v6, v5
	v_cndmask_b32_e64 v5, v4, v6, s[6:7]
	s_waitcnt lgkmcnt(0)
	v_add_f32_e32 v1, v1, v2
	ds_bpermute_b32 v2, v12, v1
	s_waitcnt lgkmcnt(0)
	v_add_f32_e32 v1, v1, v2
	ds_bpermute_b32 v2, v13, v1
	s_waitcnt lgkmcnt(0)
	v_add_f32_e32 v1, v1, v2
	v_lshlrev_b32_e32 v2, 2, v5
	ds_bpermute_b32 v2, v2, v1
	s_waitcnt lgkmcnt(0)
	v_add_f32_e32 v1, v1, v2
	ds_bpermute_b32 v2, v11, v1
	s_waitcnt lgkmcnt(0)
	v_add_f32_e32 v1, v1, v2
	s_and_saveexec_b64 s[6:7], vcc
; %bb.21:
	ds_write_b32 v7, v1 offset:520
; %bb.22:
	s_or_b64 exec, exec, s[6:7]
	s_waitcnt lgkmcnt(0)
	s_barrier
	s_and_saveexec_b64 s[6:7], s[2:3]
; %bb.23:
	ds_read_b32 v1, v8 offset:520
; %bb.24:
	s_or_b64 exec, exec, s[6:7]
	s_waitcnt lgkmcnt(0)
	ds_bpermute_b32 v2, v11, v1
	v_lshlrev_b32_e32 v4, 2, v4
	s_waitcnt lgkmcnt(0)
	v_add_f32_e32 v1, v1, v2
	v_and_b32_e32 v2, 0xffffff00, v4
	ds_bpermute_b32 v1, v2, v1
	s_and_saveexec_b64 s[2:3], s[4:5]
	s_cbranch_execz .LBB89_27
; %bb.25:
	s_waitcnt lgkmcnt(0)
	v_add_f32_e32 v2, 0x358637bd, v1
	v_div_scale_f32 v1, s[4:5], v2, v2, 1.0
	v_div_scale_f32 v4, vcc, 1.0, v2, 1.0
	s_mov_b64 s[4:5], 0
	v_rcp_f32_e32 v5, v1
	v_fma_f32 v6, -v1, v5, 1.0
	v_fmac_f32_e32 v5, v6, v5
	v_mul_f32_e32 v6, v4, v5
	v_fma_f32 v7, -v1, v6, v4
	v_fmac_f32_e32 v6, v7, v5
	v_fma_f32 v1, -v1, v6, v4
	v_div_fmas_f32 v4, v1, v5, v6
	v_mov_b32_e32 v1, 0x210
	v_lshl_add_u32 v1, v0, 2, v1
	v_div_fixup_f32 v2, v4, v2, 1.0
	v_mov_b32_e32 v4, v0
.LBB89_26:                              ; =>This Inner Loop Header: Depth=1
	ds_read_b32 v5, v1
	v_add_u32_e32 v4, 0x80, v4
	v_cmp_le_i32_e32 vcc, s15, v4
	s_or_b64 s[4:5], vcc, s[4:5]
	s_waitcnt lgkmcnt(0)
	v_mul_f32_e32 v5, v2, v5
	ds_write_b32 v1, v5
	v_add_u32_e32 v1, 0x200, v1
	s_andn2_b64 exec, exec, s[4:5]
	s_cbranch_execnz .LBB89_26
.LBB89_27:
	s_or_b64 exec, exec, s[2:3]
	v_mov_b32_e32 v18, 0
	v_and_b32_e32 v12, 1, v0
	v_mov_b32_e32 v20, 0
	v_mov_b32_e32 v19, 0
	;; [unrolled: 1-line block ×7, first 2 shown]
	s_waitcnt lgkmcnt(0)
	s_barrier
	s_and_saveexec_b64 s[2:3], s[0:1]
	s_cbranch_execz .LBB89_47
; %bb.28:
	s_ashr_i32 s15, s14, 31
	s_lshl_b64 s[0:1], s[14:15], 1
	v_lshlrev_b32_e32 v2, 4, v0
	v_lshlrev_b32_e32 v1, 3, v0
	s_add_u32 s0, s24, s0
	v_and_b32_e32 v2, 0x3f0, v2
	v_and_b32_e32 v1, 8, v1
	s_addc_u32 s1, s25, s1
	v_add_co_u32_e32 v22, vcc, s0, v2
	v_lshlrev_b32_e32 v2, 4, v9
	s_add_i32 s14, s12, -1
	v_mov_b32_e32 v4, s1
	v_or3_b32 v24, v2, v1, 7
	v_lshlrev_b32_e32 v1, 5, v12
	s_lshl_b64 s[0:1], s[22:23], 2
	v_lshl_or_b32 v1, v9, 6, v1
	s_add_u32 s0, s20, s0
	v_addc_co_u32_e32 v23, vcc, 0, v4, vcc
	v_add_u32_e32 v25, 0x210, v1
	v_and_b32_e32 v1, 60, v3
	s_addc_u32 s1, s21, s1
	v_mov_b32_e32 v2, s1
	v_add_co_u32_e32 v5, vcc, s0, v1
	v_mov_b32_e32 v21, 0
	v_addc_co_u32_e32 v6, vcc, 0, v2, vcc
	s_mov_b64 s[4:5], 0
	s_mov_b32 s15, 0xffff
	v_mov_b32_e32 v13, 0
	v_mov_b32_e32 v14, 0
	;; [unrolled: 1-line block ×8, first 2 shown]
	s_branch .LBB89_30
.LBB89_29:                              ;   in Loop: Header=BB89_30 Depth=1
	s_or_b64 exec, exec, s[6:7]
	v_add_f32_e32 v26, v49, v51
	v_add_f32_e32 v14, v14, v26
	;; [unrolled: 1-line block ×14, first 2 shown]
	v_lshlrev_b32_e32 v26, 16, v50
	v_and_or_b32 v1, v1, s15, v26
	v_lshlrev_b32_e32 v8, 16, v8
	v_lshlrev_b32_e32 v7, 16, v7
	v_and_or_b32 v2, v2, s15, v8
	v_and_or_b32 v3, v3, s15, v7
	;;#ASMSTART
	v_pk_mul_f16 v1, v33, v1;

	;;#ASMEND
	;;#ASMSTART
	v_pk_mul_f16 v2, v34, v2;

	;;#ASMEND
	;; [unrolled: 4-line block ×4, first 2 shown]
	;;#ASMSTART
	v_pk_add_f16 v1, v1, v2;

	;;#ASMEND
	;;#ASMSTART
	v_pk_add_f16 v1, v1, v3;

	;;#ASMEND
	;; [unrolled: 4-line block ×3, first 2 shown]
	v_lshrrev_b32_e32 v2, 16, v1
	v_and_b32_e32 v1, 0xffff, v1
	v_add_u32_e32 v9, 2, v9
	;;#ASMSTART
	v_cvt_f32_f16 v1, v1;
	;;#ASMEND
	v_cmp_le_i32_e32 vcc, s12, v9
	;;#ASMSTART
	v_cvt_f32_f16 v2, v2;
	;;#ASMEND
	v_add_f32_e32 v1, v1, v2
	s_or_b64 s[4:5], vcc, s[4:5]
	v_add_co_u32_e32 v5, vcc, 8, v5
	v_add_f32_e32 v13, v13, v1
	v_add_u32_e32 v24, 32, v24
	v_add_u32_e32 v25, 0x80, v25
	v_addc_co_u32_e32 v6, vcc, 0, v6, vcc
	s_andn2_b64 exec, exec, s[4:5]
	s_cbranch_execz .LBB89_46
.LBB89_30:                              ; =>This Inner Loop Header: Depth=1
	global_load_dword v7, v[5:6], off
	ds_read2_b64 v[1:4], v25 offset1:1
	ds_read2_b64 v[26:29], v25 offset0:2 offset1:3
	v_add_u32_e32 v32, -6, v24
	v_add_u32_e32 v31, -5, v24
	s_waitcnt lgkmcnt(1)
	;;#ASMSTART
	v_cvt_f16_f32 v33, v1;

	;;#ASMEND
	;;#ASMSTART
	v_cvt_f16_f32 v34, v2;

	;;#ASMEND
	;; [unrolled: 4-line block ×4, first 2 shown]
	s_waitcnt lgkmcnt(0)
	;;#ASMSTART
	v_cvt_f16_f32 v37, v26;

	;;#ASMEND
	;;#ASMSTART
	v_cvt_f16_f32 v38, v27;

	;;#ASMEND
	;; [unrolled: 4-line block ×4, first 2 shown]
	v_add_u32_e32 v26, -7, v24
	v_add_u32_e32 v29, -4, v24
	;; [unrolled: 1-line block ×5, first 2 shown]
	s_waitcnt vmcnt(0)
	v_mad_i64_i32 v[1:2], s[0:1], v7, s13, 0
	v_cmp_eq_u32_e64 s[0:1], s14, v9
	v_lshlrev_b64 v[1:2], 1, v[1:2]
	v_add_co_u32_e32 v7, vcc, v22, v1
	v_addc_co_u32_e32 v8, vcc, v23, v2, vcc
	global_load_dwordx4 v[1:4], v[7:8], off
	s_waitcnt vmcnt(0)
	v_lshrrev_b32_e32 v43, 16, v1
	v_lshrrev_b32_e32 v42, 16, v2
	;; [unrolled: 1-line block ×3, first 2 shown]
	s_and_saveexec_b64 s[6:7], s[0:1]
	s_cbranch_execz .LBB89_32
; %bb.31:                               ;   in Loop: Header=BB89_30 Depth=1
	v_cmp_gt_i32_e32 vcc, s33, v26
	v_cndmask_b32_e32 v1, 0, v1, vcc
	v_cmp_gt_i32_e32 vcc, s33, v32
	v_cndmask_b32_e32 v43, 0, v43, vcc
	;; [unrolled: 2-line block ×6, first 2 shown]
	v_cmp_gt_i32_e32 vcc, s33, v30
	v_cndmask_b32_sdwa v44, v21, v4, vcc dst_sel:DWORD dst_unused:UNUSED_PAD src0_sel:DWORD src1_sel:WORD_0
	v_and_b32_e32 v4, 0xffff0000, v4
	v_cmp_gt_i32_e32 vcc, s33, v24
	v_cndmask_b32_e32 v4, 0, v4, vcc
	v_or_b32_e32 v4, v44, v4
.LBB89_32:                              ;   in Loop: Header=BB89_30 Depth=1
	s_or_b64 exec, exec, s[6:7]
	v_and_b32_e32 v33, 0xffff, v33
	v_lshl_or_b32 v33, v34, 16, v33
	v_and_b32_e32 v34, 0xffff, v35
	v_and_b32_e32 v35, 0xffff, v37
	v_lshlrev_b32_e32 v37, 16, v43
	v_and_or_b32 v1, v1, s15, v37
	v_lshlrev_b32_e32 v37, 16, v42
	v_and_or_b32 v2, v2, s15, v37
	v_lshlrev_b32_e32 v37, 16, v41
	v_lshl_or_b32 v34, v36, 16, v34
	v_and_b32_e32 v36, 0xffff, v39
	v_and_or_b32 v3, v3, s15, v37
	;;#ASMSTART
	v_pk_mul_f16 v1, v33, v1;

	;;#ASMEND
	v_lshl_or_b32 v35, v38, 16, v35
	v_lshl_or_b32 v36, v40, 16, v36
	;;#ASMSTART
	v_pk_mul_f16 v2, v34, v2;

	;;#ASMEND
	;;#ASMSTART
	v_pk_mul_f16 v3, v35, v3;

	;;#ASMEND
	;; [unrolled: 4-line block ×3, first 2 shown]
	;;#ASMSTART
	v_pk_add_f16 v1, v1, v2;

	;;#ASMEND
	;;#ASMSTART
	v_pk_add_f16 v1, v1, v3;

	;;#ASMEND
	;; [unrolled: 4-line block ×3, first 2 shown]
	v_lshrrev_b32_e32 v2, 16, v1
	v_and_b32_e32 v1, 0xffff, v1
	;;#ASMSTART
	v_cvt_f32_f16 v37, v1;
	;;#ASMEND
	;;#ASMSTART
	v_cvt_f32_f16 v38, v2;
	;;#ASMEND
	global_load_dwordx4 v[1:4], v[7:8], off offset:1024
	s_waitcnt vmcnt(0)
	v_lshrrev_b32_e32 v41, 16, v1
	v_lshrrev_b32_e32 v40, 16, v2
	;; [unrolled: 1-line block ×3, first 2 shown]
	s_and_saveexec_b64 s[6:7], s[0:1]
	s_cbranch_execz .LBB89_34
; %bb.33:                               ;   in Loop: Header=BB89_30 Depth=1
	v_cmp_gt_i32_e32 vcc, s33, v26
	v_cndmask_b32_e32 v1, 0, v1, vcc
	v_cmp_gt_i32_e32 vcc, s33, v32
	v_cndmask_b32_e32 v41, 0, v41, vcc
	;; [unrolled: 2-line block ×6, first 2 shown]
	v_cmp_gt_i32_e32 vcc, s33, v30
	v_cndmask_b32_sdwa v42, v21, v4, vcc dst_sel:DWORD dst_unused:UNUSED_PAD src0_sel:DWORD src1_sel:WORD_0
	v_and_b32_e32 v4, 0xffff0000, v4
	v_cmp_gt_i32_e32 vcc, s33, v24
	v_cndmask_b32_e32 v4, 0, v4, vcc
	v_or_b32_e32 v4, v42, v4
.LBB89_34:                              ;   in Loop: Header=BB89_30 Depth=1
	s_or_b64 exec, exec, s[6:7]
	v_lshlrev_b32_e32 v41, 16, v41
	v_and_or_b32 v1, v1, s15, v41
	v_lshlrev_b32_e32 v40, 16, v40
	v_lshlrev_b32_e32 v39, 16, v39
	v_and_or_b32 v2, v2, s15, v40
	v_and_or_b32 v3, v3, s15, v39
	;;#ASMSTART
	v_pk_mul_f16 v1, v33, v1;

	;;#ASMEND
	;;#ASMSTART
	v_pk_mul_f16 v2, v34, v2;

	;;#ASMEND
	;; [unrolled: 4-line block ×4, first 2 shown]
	;;#ASMSTART
	v_pk_add_f16 v1, v1, v2;

	;;#ASMEND
	;;#ASMSTART
	v_pk_add_f16 v1, v1, v3;

	;;#ASMEND
	;; [unrolled: 4-line block ×3, first 2 shown]
	v_lshrrev_b32_e32 v2, 16, v1
	v_and_b32_e32 v1, 0xffff, v1
	;;#ASMSTART
	v_cvt_f32_f16 v39, v1;
	;;#ASMEND
	;;#ASMSTART
	v_cvt_f32_f16 v40, v2;
	;;#ASMEND
	global_load_dwordx4 v[1:4], v[7:8], off offset:2048
	s_waitcnt vmcnt(0)
	v_lshrrev_b32_e32 v43, 16, v1
	v_lshrrev_b32_e32 v42, 16, v2
	;; [unrolled: 1-line block ×3, first 2 shown]
	s_and_saveexec_b64 s[6:7], s[0:1]
	s_cbranch_execz .LBB89_36
; %bb.35:                               ;   in Loop: Header=BB89_30 Depth=1
	v_cmp_gt_i32_e32 vcc, s33, v26
	v_cndmask_b32_e32 v1, 0, v1, vcc
	v_cmp_gt_i32_e32 vcc, s33, v32
	v_cndmask_b32_e32 v43, 0, v43, vcc
	;; [unrolled: 2-line block ×6, first 2 shown]
	v_cmp_gt_i32_e32 vcc, s33, v30
	v_cndmask_b32_sdwa v44, v21, v4, vcc dst_sel:DWORD dst_unused:UNUSED_PAD src0_sel:DWORD src1_sel:WORD_0
	v_and_b32_e32 v4, 0xffff0000, v4
	v_cmp_gt_i32_e32 vcc, s33, v24
	v_cndmask_b32_e32 v4, 0, v4, vcc
	v_or_b32_e32 v4, v44, v4
.LBB89_36:                              ;   in Loop: Header=BB89_30 Depth=1
	s_or_b64 exec, exec, s[6:7]
	v_lshlrev_b32_e32 v43, 16, v43
	v_and_or_b32 v1, v1, s15, v43
	v_lshlrev_b32_e32 v42, 16, v42
	v_lshlrev_b32_e32 v41, 16, v41
	v_and_or_b32 v2, v2, s15, v42
	v_and_or_b32 v3, v3, s15, v41
	;;#ASMSTART
	v_pk_mul_f16 v1, v33, v1;

	;;#ASMEND
	;;#ASMSTART
	v_pk_mul_f16 v2, v34, v2;

	;;#ASMEND
	;; [unrolled: 4-line block ×4, first 2 shown]
	;;#ASMSTART
	v_pk_add_f16 v1, v1, v2;

	;;#ASMEND
	;;#ASMSTART
	v_pk_add_f16 v1, v1, v3;

	;;#ASMEND
	;; [unrolled: 4-line block ×3, first 2 shown]
	v_lshrrev_b32_e32 v2, 16, v1
	v_and_b32_e32 v1, 0xffff, v1
	;;#ASMSTART
	v_cvt_f32_f16 v41, v1;
	;;#ASMEND
	;;#ASMSTART
	v_cvt_f32_f16 v42, v2;
	;;#ASMEND
	global_load_dwordx4 v[1:4], v[7:8], off offset:3072
	s_waitcnt vmcnt(0)
	v_lshrrev_b32_e32 v45, 16, v1
	v_lshrrev_b32_e32 v44, 16, v2
	;; [unrolled: 1-line block ×3, first 2 shown]
	s_and_saveexec_b64 s[6:7], s[0:1]
	s_cbranch_execz .LBB89_38
; %bb.37:                               ;   in Loop: Header=BB89_30 Depth=1
	v_cmp_gt_i32_e32 vcc, s33, v26
	v_cndmask_b32_e32 v1, 0, v1, vcc
	v_cmp_gt_i32_e32 vcc, s33, v32
	v_cndmask_b32_e32 v45, 0, v45, vcc
	;; [unrolled: 2-line block ×6, first 2 shown]
	v_cmp_gt_i32_e32 vcc, s33, v30
	v_cndmask_b32_sdwa v46, v21, v4, vcc dst_sel:DWORD dst_unused:UNUSED_PAD src0_sel:DWORD src1_sel:WORD_0
	v_and_b32_e32 v4, 0xffff0000, v4
	v_cmp_gt_i32_e32 vcc, s33, v24
	v_cndmask_b32_e32 v4, 0, v4, vcc
	v_or_b32_e32 v4, v46, v4
.LBB89_38:                              ;   in Loop: Header=BB89_30 Depth=1
	s_or_b64 exec, exec, s[6:7]
	v_lshlrev_b32_e32 v45, 16, v45
	v_and_or_b32 v1, v1, s15, v45
	v_lshlrev_b32_e32 v44, 16, v44
	v_lshlrev_b32_e32 v43, 16, v43
	v_and_or_b32 v2, v2, s15, v44
	v_and_or_b32 v3, v3, s15, v43
	;;#ASMSTART
	v_pk_mul_f16 v1, v33, v1;

	;;#ASMEND
	;;#ASMSTART
	v_pk_mul_f16 v2, v34, v2;

	;;#ASMEND
	;; [unrolled: 4-line block ×4, first 2 shown]
	;;#ASMSTART
	v_pk_add_f16 v1, v1, v2;

	;;#ASMEND
	;;#ASMSTART
	v_pk_add_f16 v1, v1, v3;

	;;#ASMEND
	;; [unrolled: 4-line block ×3, first 2 shown]
	v_lshrrev_b32_e32 v2, 16, v1
	v_and_b32_e32 v1, 0xffff, v1
	;;#ASMSTART
	v_cvt_f32_f16 v43, v1;
	;;#ASMEND
	v_add_co_u32_e32 v1, vcc, 0x1000, v7
	;;#ASMSTART
	v_cvt_f32_f16 v44, v2;
	;;#ASMEND
	v_addc_co_u32_e32 v2, vcc, 0, v8, vcc
	global_load_dwordx4 v[1:4], v[1:2], off
	s_waitcnt vmcnt(0)
	v_lshrrev_b32_e32 v47, 16, v1
	v_lshrrev_b32_e32 v46, 16, v2
	;; [unrolled: 1-line block ×3, first 2 shown]
	s_and_saveexec_b64 s[6:7], s[0:1]
	s_cbranch_execz .LBB89_40
; %bb.39:                               ;   in Loop: Header=BB89_30 Depth=1
	v_cmp_gt_i32_e32 vcc, s33, v26
	v_cndmask_b32_e32 v1, 0, v1, vcc
	v_cmp_gt_i32_e32 vcc, s33, v32
	v_cndmask_b32_e32 v47, 0, v47, vcc
	;; [unrolled: 2-line block ×6, first 2 shown]
	v_cmp_gt_i32_e32 vcc, s33, v30
	v_cndmask_b32_sdwa v48, v21, v4, vcc dst_sel:DWORD dst_unused:UNUSED_PAD src0_sel:DWORD src1_sel:WORD_0
	v_and_b32_e32 v4, 0xffff0000, v4
	v_cmp_gt_i32_e32 vcc, s33, v24
	v_cndmask_b32_e32 v4, 0, v4, vcc
	v_or_b32_e32 v4, v48, v4
.LBB89_40:                              ;   in Loop: Header=BB89_30 Depth=1
	s_or_b64 exec, exec, s[6:7]
	v_lshlrev_b32_e32 v47, 16, v47
	v_and_or_b32 v1, v1, s15, v47
	v_lshlrev_b32_e32 v46, 16, v46
	v_lshlrev_b32_e32 v45, 16, v45
	v_and_or_b32 v2, v2, s15, v46
	v_and_or_b32 v3, v3, s15, v45
	;;#ASMSTART
	v_pk_mul_f16 v1, v33, v1;

	;;#ASMEND
	;;#ASMSTART
	v_pk_mul_f16 v2, v34, v2;

	;;#ASMEND
	;; [unrolled: 4-line block ×4, first 2 shown]
	;;#ASMSTART
	v_pk_add_f16 v1, v1, v2;

	;;#ASMEND
	;;#ASMSTART
	v_pk_add_f16 v1, v1, v3;

	;;#ASMEND
	;; [unrolled: 4-line block ×3, first 2 shown]
	v_lshrrev_b32_e32 v2, 16, v1
	v_and_b32_e32 v1, 0xffff, v1
	;;#ASMSTART
	v_cvt_f32_f16 v45, v1;
	;;#ASMEND
	v_add_co_u32_e32 v1, vcc, 0x1000, v7
	;;#ASMSTART
	v_cvt_f32_f16 v46, v2;
	;;#ASMEND
	v_addc_co_u32_e32 v2, vcc, 0, v8, vcc
	global_load_dwordx4 v[1:4], v[1:2], off offset:1024
	s_waitcnt vmcnt(0)
	v_lshrrev_b32_e32 v49, 16, v1
	v_lshrrev_b32_e32 v48, 16, v2
	v_lshrrev_b32_e32 v47, 16, v3
	s_and_saveexec_b64 s[6:7], s[0:1]
	s_cbranch_execz .LBB89_42
; %bb.41:                               ;   in Loop: Header=BB89_30 Depth=1
	v_cmp_gt_i32_e32 vcc, s33, v26
	v_cndmask_b32_e32 v1, 0, v1, vcc
	v_cmp_gt_i32_e32 vcc, s33, v32
	v_cndmask_b32_e32 v49, 0, v49, vcc
	;; [unrolled: 2-line block ×6, first 2 shown]
	v_cmp_gt_i32_e32 vcc, s33, v30
	v_cndmask_b32_sdwa v50, v21, v4, vcc dst_sel:DWORD dst_unused:UNUSED_PAD src0_sel:DWORD src1_sel:WORD_0
	v_and_b32_e32 v4, 0xffff0000, v4
	v_cmp_gt_i32_e32 vcc, s33, v24
	v_cndmask_b32_e32 v4, 0, v4, vcc
	v_or_b32_e32 v4, v50, v4
.LBB89_42:                              ;   in Loop: Header=BB89_30 Depth=1
	s_or_b64 exec, exec, s[6:7]
	v_lshlrev_b32_e32 v49, 16, v49
	v_and_or_b32 v1, v1, s15, v49
	v_lshlrev_b32_e32 v48, 16, v48
	v_lshlrev_b32_e32 v47, 16, v47
	v_and_or_b32 v2, v2, s15, v48
	v_and_or_b32 v3, v3, s15, v47
	;;#ASMSTART
	v_pk_mul_f16 v1, v33, v1;

	;;#ASMEND
	;;#ASMSTART
	v_pk_mul_f16 v2, v34, v2;

	;;#ASMEND
	;; [unrolled: 4-line block ×4, first 2 shown]
	;;#ASMSTART
	v_pk_add_f16 v1, v1, v2;

	;;#ASMEND
	;;#ASMSTART
	v_pk_add_f16 v1, v1, v3;

	;;#ASMEND
	;; [unrolled: 4-line block ×3, first 2 shown]
	v_lshrrev_b32_e32 v2, 16, v1
	v_and_b32_e32 v1, 0xffff, v1
	;;#ASMSTART
	v_cvt_f32_f16 v47, v1;
	;;#ASMEND
	v_add_co_u32_e32 v1, vcc, 0x1000, v7
	;;#ASMSTART
	v_cvt_f32_f16 v48, v2;
	;;#ASMEND
	v_addc_co_u32_e32 v2, vcc, 0, v8, vcc
	global_load_dwordx4 v[1:4], v[1:2], off offset:2048
	s_waitcnt vmcnt(0)
	v_lshrrev_b32_e32 v51, 16, v1
	v_lshrrev_b32_e32 v50, 16, v2
	v_lshrrev_b32_e32 v49, 16, v3
	s_and_saveexec_b64 s[6:7], s[0:1]
	s_cbranch_execz .LBB89_44
; %bb.43:                               ;   in Loop: Header=BB89_30 Depth=1
	v_cmp_gt_i32_e32 vcc, s33, v26
	v_cndmask_b32_e32 v1, 0, v1, vcc
	v_cmp_gt_i32_e32 vcc, s33, v32
	v_cndmask_b32_e32 v51, 0, v51, vcc
	;; [unrolled: 2-line block ×6, first 2 shown]
	v_cmp_gt_i32_e32 vcc, s33, v30
	v_cndmask_b32_sdwa v52, v21, v4, vcc dst_sel:DWORD dst_unused:UNUSED_PAD src0_sel:DWORD src1_sel:WORD_0
	v_and_b32_e32 v4, 0xffff0000, v4
	v_cmp_gt_i32_e32 vcc, s33, v24
	v_cndmask_b32_e32 v4, 0, v4, vcc
	v_or_b32_e32 v4, v52, v4
.LBB89_44:                              ;   in Loop: Header=BB89_30 Depth=1
	s_or_b64 exec, exec, s[6:7]
	v_lshlrev_b32_e32 v51, 16, v51
	v_and_or_b32 v1, v1, s15, v51
	v_lshlrev_b32_e32 v50, 16, v50
	v_lshlrev_b32_e32 v49, 16, v49
	v_and_or_b32 v2, v2, s15, v50
	v_and_or_b32 v3, v3, s15, v49
	;;#ASMSTART
	v_pk_mul_f16 v1, v33, v1;

	;;#ASMEND
	;;#ASMSTART
	v_pk_mul_f16 v2, v34, v2;

	;;#ASMEND
	;; [unrolled: 4-line block ×4, first 2 shown]
	;;#ASMSTART
	v_pk_add_f16 v1, v1, v2;

	;;#ASMEND
	;;#ASMSTART
	v_pk_add_f16 v1, v1, v3;

	;;#ASMEND
	;; [unrolled: 4-line block ×3, first 2 shown]
	v_lshrrev_b32_e32 v2, 16, v1
	v_and_b32_e32 v1, 0xffff, v1
	;;#ASMSTART
	v_cvt_f32_f16 v49, v1;
	;;#ASMEND
	v_add_co_u32_e32 v1, vcc, 0x1000, v7
	;;#ASMSTART
	v_cvt_f32_f16 v51, v2;
	;;#ASMEND
	v_addc_co_u32_e32 v2, vcc, 0, v8, vcc
	global_load_dwordx4 v[1:4], v[1:2], off offset:3072
	s_waitcnt vmcnt(0)
	v_lshrrev_b32_e32 v50, 16, v1
	v_lshrrev_b32_e32 v8, 16, v2
	;; [unrolled: 1-line block ×3, first 2 shown]
	s_and_saveexec_b64 s[6:7], s[0:1]
	s_cbranch_execz .LBB89_29
; %bb.45:                               ;   in Loop: Header=BB89_30 Depth=1
	v_cmp_gt_i32_e32 vcc, s33, v26
	v_cndmask_b32_e32 v1, 0, v1, vcc
	v_cmp_gt_i32_e32 vcc, s33, v32
	v_cndmask_b32_e32 v50, 0, v50, vcc
	;; [unrolled: 2-line block ×6, first 2 shown]
	v_cmp_gt_i32_e32 vcc, s33, v30
	v_cndmask_b32_sdwa v26, v21, v4, vcc dst_sel:DWORD dst_unused:UNUSED_PAD src0_sel:DWORD src1_sel:WORD_0
	v_and_b32_e32 v4, 0xffff0000, v4
	v_cmp_gt_i32_e32 vcc, s33, v24
	v_cndmask_b32_e32 v4, 0, v4, vcc
	v_or_b32_e32 v4, v26, v4
	s_branch .LBB89_29
.LBB89_46:
	s_or_b64 exec, exec, s[4:5]
.LBB89_47:
	s_or_b64 exec, exec, s[2:3]
	ds_bpermute_b32 v2, v11, v20
	ds_bpermute_b32 v3, v11, v19
	;; [unrolled: 1-line block ×5, first 2 shown]
	s_waitcnt lgkmcnt(4)
	v_add_f32_e32 v4, v20, v2
	s_waitcnt lgkmcnt(3)
	v_add_f32_e32 v2, v19, v3
	ds_bpermute_b32 v3, v11, v16
	s_waitcnt lgkmcnt(3)
	v_add_f32_e32 v6, v18, v1
	ds_bpermute_b32 v1, v11, v17
	ds_bpermute_b32 v11, v11, v13
	s_waitcnt lgkmcnt(3)
	v_add_f32_e32 v5, v15, v5
	s_waitcnt lgkmcnt(2)
	v_add_f32_e32 v7, v16, v3
	v_add_f32_e32 v3, v14, v9
	v_and_b32_e32 v9, 0x3c1, v0
	s_waitcnt lgkmcnt(1)
	v_add_f32_e32 v8, v17, v1
	s_waitcnt lgkmcnt(0)
	v_add_f32_e32 v1, v13, v11
	v_cmp_eq_u32_e32 vcc, 64, v9
	s_barrier
	s_and_saveexec_b64 s[0:1], vcc
	s_cbranch_execz .LBB89_49
; %bb.48:
	v_mov_b32_e32 v11, 0x210
	v_lshl_add_u32 v10, v10, 1, v11
	ds_write2_b32 v10, v6, v4 offset1:32
	ds_write2_b32 v10, v2, v8 offset0:64 offset1:96
	ds_write2_b32 v10, v7, v5 offset0:128 offset1:160
	;; [unrolled: 1-line block ×3, first 2 shown]
.LBB89_49:
	s_or_b64 exec, exec, s[0:1]
	v_cmp_gt_u32_e32 vcc, 64, v0
	v_lshrrev_b32_e32 v0, 1, v0
	s_waitcnt lgkmcnt(0)
	s_barrier
	s_and_saveexec_b64 s[0:1], vcc
	s_cbranch_execz .LBB89_60
; %bb.50:
	v_mov_b32_e32 v10, 0x210
	v_cmp_eq_u32_e32 vcc, 0, v12
	v_lshl_add_u32 v10, v0, 2, v10
	s_and_saveexec_b64 s[2:3], vcc
	s_cbranch_execnz .LBB89_63
; %bb.51:
	s_or_b64 exec, exec, s[2:3]
	s_and_saveexec_b64 s[2:3], vcc
	s_cbranch_execnz .LBB89_64
.LBB89_52:
	s_or_b64 exec, exec, s[2:3]
	s_and_saveexec_b64 s[2:3], vcc
	s_cbranch_execnz .LBB89_65
.LBB89_53:
	s_or_b64 exec, exec, s[2:3]
	s_and_saveexec_b64 s[2:3], vcc
	s_cbranch_execnz .LBB89_66
.LBB89_54:
	s_or_b64 exec, exec, s[2:3]
	s_and_saveexec_b64 s[2:3], vcc
	s_cbranch_execnz .LBB89_67
.LBB89_55:
	s_or_b64 exec, exec, s[2:3]
	s_and_saveexec_b64 s[2:3], vcc
	s_cbranch_execnz .LBB89_68
.LBB89_56:
	s_or_b64 exec, exec, s[2:3]
	s_and_saveexec_b64 s[2:3], vcc
	s_cbranch_execnz .LBB89_69
.LBB89_57:
	s_or_b64 exec, exec, s[2:3]
	s_and_saveexec_b64 s[2:3], vcc
	s_cbranch_execz .LBB89_59
.LBB89_58:
	ds_read_b32 v10, v10 offset:896
	s_waitcnt lgkmcnt(0)
	v_add_f32_e32 v1, v1, v10
.LBB89_59:
	s_or_b64 exec, exec, s[2:3]
.LBB89_60:
	s_or_b64 exec, exec, s[0:1]
	v_cmp_eq_u32_e32 vcc, 0, v9
	s_barrier
	s_and_saveexec_b64 s[0:1], vcc
	s_cbranch_execz .LBB89_62
; %bb.61:
	s_mul_i32 s0, s10, s11
	s_mul_i32 s0, s0, s9
	s_lshl_b32 s0, s0, 8
	s_ashr_i32 s1, s0, 31
	s_lshl_b64 s[0:1], s[0:1], 1
	s_add_u32 s2, s18, s0
	s_mul_i32 s0, s11, s16
	s_addc_u32 s3, s19, s1
	s_ashr_i32 s1, s0, 31
	s_lshl_b64 s[0:1], s[0:1], 1
	s_add_u32 s2, s2, s0
	s_addc_u32 s3, s3, s1
	s_lshl_b32 s0, s8, 8
	s_ashr_i32 s1, s0, 31
	s_lshl_b64 s[0:1], s[0:1], 1
	s_add_u32 s0, s2, s0
	s_addc_u32 s1, s3, s1
	v_lshlrev_b32_e32 v0, 1, v0
	;;#ASMSTART
	v_cvt_f16_f32 v6, v6;

	;;#ASMEND
	global_store_short v0, v6, s[0:1]
	;;#ASMSTART
	v_cvt_f16_f32 v4, v4;

	;;#ASMEND
	global_store_short v0, v4, s[0:1] offset:64
	;;#ASMSTART
	v_cvt_f16_f32 v2, v2;

	;;#ASMEND
	global_store_short v0, v2, s[0:1] offset:128
	;; [unrolled: 5-line block ×7, first 2 shown]
.LBB89_62:
	s_endpgm
.LBB89_63:
	ds_read_b32 v11, v10
	s_waitcnt lgkmcnt(0)
	v_add_f32_e32 v6, v6, v11
	s_or_b64 exec, exec, s[2:3]
	s_and_saveexec_b64 s[2:3], vcc
	s_cbranch_execz .LBB89_52
.LBB89_64:
	ds_read_b32 v11, v10 offset:128
	s_waitcnt lgkmcnt(0)
	v_add_f32_e32 v4, v4, v11
	s_or_b64 exec, exec, s[2:3]
	s_and_saveexec_b64 s[2:3], vcc
	s_cbranch_execz .LBB89_53
.LBB89_65:
	ds_read_b32 v11, v10 offset:256
	s_waitcnt lgkmcnt(0)
	v_add_f32_e32 v2, v2, v11
	s_or_b64 exec, exec, s[2:3]
	s_and_saveexec_b64 s[2:3], vcc
	s_cbranch_execz .LBB89_54
.LBB89_66:
	ds_read_b32 v11, v10 offset:384
	s_waitcnt lgkmcnt(0)
	v_add_f32_e32 v8, v8, v11
	s_or_b64 exec, exec, s[2:3]
	s_and_saveexec_b64 s[2:3], vcc
	s_cbranch_execz .LBB89_55
.LBB89_67:
	ds_read_b32 v11, v10 offset:512
	s_waitcnt lgkmcnt(0)
	v_add_f32_e32 v7, v7, v11
	s_or_b64 exec, exec, s[2:3]
	s_and_saveexec_b64 s[2:3], vcc
	s_cbranch_execz .LBB89_56
.LBB89_68:
	ds_read_b32 v11, v10 offset:640
	s_waitcnt lgkmcnt(0)
	v_add_f32_e32 v5, v5, v11
	s_or_b64 exec, exec, s[2:3]
	s_and_saveexec_b64 s[2:3], vcc
	s_cbranch_execz .LBB89_57
.LBB89_69:
	ds_read_b32 v11, v10 offset:768
	s_waitcnt lgkmcnt(0)
	v_add_f32_e32 v3, v3, v11
	s_or_b64 exec, exec, s[2:3]
	s_and_saveexec_b64 s[2:3], vcc
	s_cbranch_execnz .LBB89_58
	s_branch .LBB89_59
	.section	.rodata,"a",@progbits
	.p2align	6, 0x0
	.amdhsa_kernel _ZN4vllm25paged_attention_v1_kernelIttLi256ELi16ELi128ELNS_18Fp8KVCacheDataTypeE0ELb0EEEvPT_PKS2_PKT0_S8_ifPKiSA_iPKfiiiSC_SC_iiiii
		.amdhsa_group_segment_fixed_size 528
		.amdhsa_private_segment_fixed_size 0
		.amdhsa_kernarg_size 384
		.amdhsa_user_sgpr_count 6
		.amdhsa_user_sgpr_private_segment_buffer 1
		.amdhsa_user_sgpr_dispatch_ptr 0
		.amdhsa_user_sgpr_queue_ptr 0
		.amdhsa_user_sgpr_kernarg_segment_ptr 1
		.amdhsa_user_sgpr_dispatch_id 0
		.amdhsa_user_sgpr_flat_scratch_init 0
		.amdhsa_user_sgpr_private_segment_size 0
		.amdhsa_uses_dynamic_stack 0
		.amdhsa_system_sgpr_private_segment_wavefront_offset 0
		.amdhsa_system_sgpr_workgroup_id_x 1
		.amdhsa_system_sgpr_workgroup_id_y 1
		.amdhsa_system_sgpr_workgroup_id_z 1
		.amdhsa_system_sgpr_workgroup_info 0
		.amdhsa_system_vgpr_workitem_id 0
		.amdhsa_next_free_vgpr 55
		.amdhsa_next_free_sgpr 35
		.amdhsa_reserve_vcc 1
		.amdhsa_reserve_flat_scratch 0
		.amdhsa_float_round_mode_32 0
		.amdhsa_float_round_mode_16_64 0
		.amdhsa_float_denorm_mode_32 3
		.amdhsa_float_denorm_mode_16_64 3
		.amdhsa_dx10_clamp 1
		.amdhsa_ieee_mode 1
		.amdhsa_fp16_overflow 0
		.amdhsa_exception_fp_ieee_invalid_op 0
		.amdhsa_exception_fp_denorm_src 0
		.amdhsa_exception_fp_ieee_div_zero 0
		.amdhsa_exception_fp_ieee_overflow 0
		.amdhsa_exception_fp_ieee_underflow 0
		.amdhsa_exception_fp_ieee_inexact 0
		.amdhsa_exception_int_div_zero 0
	.end_amdhsa_kernel
	.section	.text._ZN4vllm25paged_attention_v1_kernelIttLi256ELi16ELi128ELNS_18Fp8KVCacheDataTypeE0ELb0EEEvPT_PKS2_PKT0_S8_ifPKiSA_iPKfiiiSC_SC_iiiii,"axG",@progbits,_ZN4vllm25paged_attention_v1_kernelIttLi256ELi16ELi128ELNS_18Fp8KVCacheDataTypeE0ELb0EEEvPT_PKS2_PKT0_S8_ifPKiSA_iPKfiiiSC_SC_iiiii,comdat
.Lfunc_end89:
	.size	_ZN4vllm25paged_attention_v1_kernelIttLi256ELi16ELi128ELNS_18Fp8KVCacheDataTypeE0ELb0EEEvPT_PKS2_PKT0_S8_ifPKiSA_iPKfiiiSC_SC_iiiii, .Lfunc_end89-_ZN4vllm25paged_attention_v1_kernelIttLi256ELi16ELi128ELNS_18Fp8KVCacheDataTypeE0ELb0EEEvPT_PKS2_PKT0_S8_ifPKiSA_iPKfiiiSC_SC_iiiii
                                        ; -- End function
	.set _ZN4vllm25paged_attention_v1_kernelIttLi256ELi16ELi128ELNS_18Fp8KVCacheDataTypeE0ELb0EEEvPT_PKS2_PKT0_S8_ifPKiSA_iPKfiiiSC_SC_iiiii.num_vgpr, 55
	.set _ZN4vllm25paged_attention_v1_kernelIttLi256ELi16ELi128ELNS_18Fp8KVCacheDataTypeE0ELb0EEEvPT_PKS2_PKT0_S8_ifPKiSA_iPKfiiiSC_SC_iiiii.num_agpr, 0
	.set _ZN4vllm25paged_attention_v1_kernelIttLi256ELi16ELi128ELNS_18Fp8KVCacheDataTypeE0ELb0EEEvPT_PKS2_PKT0_S8_ifPKiSA_iPKfiiiSC_SC_iiiii.numbered_sgpr, 35
	.set _ZN4vllm25paged_attention_v1_kernelIttLi256ELi16ELi128ELNS_18Fp8KVCacheDataTypeE0ELb0EEEvPT_PKS2_PKT0_S8_ifPKiSA_iPKfiiiSC_SC_iiiii.num_named_barrier, 0
	.set _ZN4vllm25paged_attention_v1_kernelIttLi256ELi16ELi128ELNS_18Fp8KVCacheDataTypeE0ELb0EEEvPT_PKS2_PKT0_S8_ifPKiSA_iPKfiiiSC_SC_iiiii.private_seg_size, 0
	.set _ZN4vllm25paged_attention_v1_kernelIttLi256ELi16ELi128ELNS_18Fp8KVCacheDataTypeE0ELb0EEEvPT_PKS2_PKT0_S8_ifPKiSA_iPKfiiiSC_SC_iiiii.uses_vcc, 1
	.set _ZN4vllm25paged_attention_v1_kernelIttLi256ELi16ELi128ELNS_18Fp8KVCacheDataTypeE0ELb0EEEvPT_PKS2_PKT0_S8_ifPKiSA_iPKfiiiSC_SC_iiiii.uses_flat_scratch, 0
	.set _ZN4vllm25paged_attention_v1_kernelIttLi256ELi16ELi128ELNS_18Fp8KVCacheDataTypeE0ELb0EEEvPT_PKS2_PKT0_S8_ifPKiSA_iPKfiiiSC_SC_iiiii.has_dyn_sized_stack, 0
	.set _ZN4vllm25paged_attention_v1_kernelIttLi256ELi16ELi128ELNS_18Fp8KVCacheDataTypeE0ELb0EEEvPT_PKS2_PKT0_S8_ifPKiSA_iPKfiiiSC_SC_iiiii.has_recursion, 0
	.set _ZN4vllm25paged_attention_v1_kernelIttLi256ELi16ELi128ELNS_18Fp8KVCacheDataTypeE0ELb0EEEvPT_PKS2_PKT0_S8_ifPKiSA_iPKfiiiSC_SC_iiiii.has_indirect_call, 0
	.section	.AMDGPU.csdata,"",@progbits
; Kernel info:
; codeLenInByte = 7968
; TotalNumSgprs: 39
; NumVgprs: 55
; ScratchSize: 0
; MemoryBound: 0
; FloatMode: 240
; IeeeMode: 1
; LDSByteSize: 528 bytes/workgroup (compile time only)
; SGPRBlocks: 4
; VGPRBlocks: 13
; NumSGPRsForWavesPerEU: 39
; NumVGPRsForWavesPerEU: 55
; Occupancy: 4
; WaveLimiterHint : 1
; COMPUTE_PGM_RSRC2:SCRATCH_EN: 0
; COMPUTE_PGM_RSRC2:USER_SGPR: 6
; COMPUTE_PGM_RSRC2:TRAP_HANDLER: 0
; COMPUTE_PGM_RSRC2:TGID_X_EN: 1
; COMPUTE_PGM_RSRC2:TGID_Y_EN: 1
; COMPUTE_PGM_RSRC2:TGID_Z_EN: 1
; COMPUTE_PGM_RSRC2:TIDIG_COMP_CNT: 0
	.section	.text._ZN4vllm25paged_attention_v1_kernelIttLi32ELi32ELi128ELNS_18Fp8KVCacheDataTypeE0ELb1EEEvPT_PKS2_PKT0_S8_ifPKiSA_iPKfiiiSC_SC_iiiii,"axG",@progbits,_ZN4vllm25paged_attention_v1_kernelIttLi32ELi32ELi128ELNS_18Fp8KVCacheDataTypeE0ELb1EEEvPT_PKS2_PKT0_S8_ifPKiSA_iPKfiiiSC_SC_iiiii,comdat
	.protected	_ZN4vllm25paged_attention_v1_kernelIttLi32ELi32ELi128ELNS_18Fp8KVCacheDataTypeE0ELb1EEEvPT_PKS2_PKT0_S8_ifPKiSA_iPKfiiiSC_SC_iiiii ; -- Begin function _ZN4vllm25paged_attention_v1_kernelIttLi32ELi32ELi128ELNS_18Fp8KVCacheDataTypeE0ELb1EEEvPT_PKS2_PKT0_S8_ifPKiSA_iPKfiiiSC_SC_iiiii
	.globl	_ZN4vllm25paged_attention_v1_kernelIttLi32ELi32ELi128ELNS_18Fp8KVCacheDataTypeE0ELb1EEEvPT_PKS2_PKT0_S8_ifPKiSA_iPKfiiiSC_SC_iiiii
	.p2align	8
	.type	_ZN4vllm25paged_attention_v1_kernelIttLi32ELi32ELi128ELNS_18Fp8KVCacheDataTypeE0ELb1EEEvPT_PKS2_PKT0_S8_ifPKiSA_iPKfiiiSC_SC_iiiii,@function
_ZN4vllm25paged_attention_v1_kernelIttLi32ELi32ELi128ELNS_18Fp8KVCacheDataTypeE0ELb1EEEvPT_PKS2_PKT0_S8_ifPKiSA_iPKfiiiSC_SC_iiiii: ; @_ZN4vllm25paged_attention_v1_kernelIttLi32ELi32ELi128ELNS_18Fp8KVCacheDataTypeE0ELb1EEEvPT_PKS2_PKT0_S8_ifPKiSA_iPKfiiiSC_SC_iiiii
; %bb.0:
	s_load_dword s9, s[4:5], 0x80
	s_load_dwordx2 s[0:1], s[4:5], 0x30
	s_load_dwordx2 s[30:31], s[4:5], 0x20
	s_mov_b32 s10, s7
	s_ashr_i32 s11, s7, 31
	s_lshl_b64 s[2:3], s[10:11], 2
	s_waitcnt lgkmcnt(0)
	s_add_u32 s0, s0, s2
	s_addc_u32 s1, s1, s3
	s_abs_i32 s2, s30
	v_cvt_f32_u32_e32 v1, s2
	s_sub_i32 s11, 0, s2
	s_abs_i32 s7, s9
	s_xor_b32 s3, s9, s30
	v_rcp_iflag_f32_e32 v1, v1
	s_ashr_i32 s3, s3, 31
	s_mov_b32 s42, 0
	v_mul_f32_e32 v1, 0x4f7ffffe, v1
	v_cvt_u32_f32_e32 v1, v1
	v_readfirstlane_b32 s12, v1
	s_mul_i32 s11, s11, s12
	s_mul_hi_u32 s11, s12, s11
	s_add_i32 s12, s12, s11
	s_mul_hi_u32 s11, s7, s12
	s_mul_i32 s12, s11, s2
	s_sub_i32 s7, s7, s12
	s_add_i32 s12, s11, 1
	s_sub_i32 s13, s7, s2
	s_cmp_ge_u32 s7, s2
	s_cselect_b32 s11, s12, s11
	s_cselect_b32 s7, s13, s7
	s_add_i32 s12, s11, 1
	s_cmp_ge_u32 s7, s2
	s_cselect_b32 s2, s12, s11
	s_xor_b32 s2, s2, s3
	s_sub_i32 s12, s2, s3
	s_abs_i32 s22, s12
	v_cvt_f32_u32_e32 v1, s22
	s_load_dwordx2 s[2:3], s[4:5], 0x40
	s_sub_i32 s7, 0, s22
	s_abs_i32 s23, s6
	v_rcp_iflag_f32_e32 v1, v1
	v_mul_f32_e32 v1, 0x4f7ffffe, v1
	v_cvt_u32_f32_e32 v1, v1
	v_readfirstlane_b32 s11, v1
	s_mul_i32 s7, s7, s11
	s_mul_hi_u32 s7, s11, s7
	s_add_i32 s11, s11, s7
	s_waitcnt lgkmcnt(0)
	s_cmp_eq_u64 s[2:3], 0
	s_mul_hi_u32 s24, s23, s11
	s_cbranch_scc1 .LBB90_2
; %bb.1:
	s_ashr_i32 s7, s6, 31
	s_lshl_b64 s[14:15], s[6:7], 2
	s_add_u32 s2, s2, s14
	s_addc_u32 s3, s3, s15
	s_load_dword s42, s[2:3], 0x0
.LBB90_2:
	s_load_dword s11, s[0:1], 0x0
	s_ashr_i32 s7, s12, 31
	s_load_dwordx4 s[12:15], s[4:5], 0x48
	s_ashr_i32 s2, s6, 31
	v_and_b32_e32 v1, 1, v0
	s_lshl_b32 s20, s6, 5
	v_cmp_gt_u32_e32 vcc, 8, v0
	v_lshlrev_b32_e32 v15, 3, v0
	s_and_saveexec_b64 s[0:1], vcc
	s_cbranch_execz .LBB90_4
; %bb.3:
	s_load_dwordx2 s[16:17], s[4:5], 0x8
	s_waitcnt lgkmcnt(0)
	s_mul_i32 s18, s12, s10
	s_ashr_i32 s19, s18, 31
	s_lshl_b64 s[18:19], s[18:19], 1
	v_lshlrev_b32_e32 v4, 2, v0
	s_add_u32 s3, s16, s18
	s_addc_u32 s12, s17, s19
	s_ashr_i32 s21, s20, 31
	s_lshl_b64 s[16:17], s[20:21], 1
	s_add_u32 s16, s3, s16
	s_addc_u32 s17, s12, s17
	global_load_dwordx2 v[2:3], v15, s[16:17]
	v_and_b32_e32 v4, 0xff8, v4
	v_lshl_add_u32 v4, v1, 5, v4
	s_waitcnt vmcnt(0)
	ds_write_b64 v4, v[2:3]
.LBB90_4:
	s_or_b64 exec, exec, s[0:1]
	s_mul_i32 s1, s24, s22
	s_sub_i32 s1, s23, s1
	s_xor_b32 s0, s2, s7
	s_add_i32 s2, s24, 1
	s_sub_i32 s7, s1, s22
	s_load_dwordx4 s[16:19], s[4:5], 0x68
	s_load_dword s3, s[4:5], 0x78
	s_cmp_ge_u32 s1, s22
	s_cselect_b32 s2, s2, s24
	s_cselect_b32 s1, s7, s1
	s_add_i32 s7, s2, 1
	s_cmp_ge_u32 s1, s22
	s_cselect_b32 s1, s7, s2
	s_waitcnt lgkmcnt(0)
	s_abs_i32 s21, s19
	v_cvt_f32_u32_e32 v2, s21
	s_xor_b32 s1, s1, s0
	s_sub_i32 s2, s1, s0
	s_sub_i32 s0, 0, s21
	v_rcp_iflag_f32_e32 v2, v2
	s_add_i32 s15, s11, -1
	s_abs_i32 s7, s15
	v_mul_f32_e32 v2, 0x4f7ffffe, v2
	v_cvt_u32_f32_e32 v2, v2
	s_barrier
	v_readfirstlane_b32 s33, v2
	s_mul_i32 s0, s0, s33
	s_mul_hi_u32 s0, s33, s0
	s_add_i32 s33, s33, s0
	s_cmp_lt_i32 s3, 0
	s_mul_hi_u32 s12, s7, s33
	s_cbranch_scc0 .LBB90_6
; %bb.5:
	s_mul_i32 s0, s16, s30
	s_add_i32 s0, s2, s0
	s_mul_i32 s0, s0, s3
	s_sub_i32 s40, 1, s0
	s_mov_b64 s[0:1], 0
	s_branch .LBB90_7
.LBB90_6:
	s_mov_b64 s[0:1], -1
                                        ; implicit-def: $sgpr40
.LBB90_7:
	s_load_dwordx2 s[24:25], s[4:5], 0x28
	s_ashr_i32 s15, s15, 31
	s_andn2_b64 vcc, exec, s[0:1]
	s_ashr_i32 s19, s19, 31
	s_cbranch_vccnz .LBB90_9
; %bb.8:
	s_mul_i32 s0, s9, s16
	s_add_i32 s0, s0, s6
	s_mul_i32 s0, s0, s3
	s_add_i32 s40, s0, 1
.LBB90_9:
	s_load_dword s0, s[4:5], 0x38
	s_load_dwordx2 s[22:23], s[4:5], 0x0
	s_load_dwordx2 s[28:29], s[4:5], 0x18
	s_load_dword s16, s[4:5], 0x88
	s_xor_b32 s1, s15, s19
	s_waitcnt lgkmcnt(0)
	s_mul_i32 s26, s0, s10
	s_mul_i32 s0, s12, s21
	s_sub_i32 s0, s7, s0
	s_ashr_i32 s27, s26, 31
	s_add_i32 s3, s12, 1
	s_sub_i32 s6, s0, s21
	s_cmp_ge_u32 s0, s21
	s_cselect_b32 s3, s3, s12
	s_cselect_b32 s0, s6, s0
	s_add_i32 s6, s3, 1
	s_cmp_ge_u32 s0, s21
	s_cselect_b32 s0, s6, s3
	s_xor_b32 s0, s0, s1
	s_sub_i32 s12, s0, s1
	s_add_i32 s0, s11, 31
	s_ashr_i32 s1, s0, 31
	s_lshr_b32 s1, s1, 27
	s_add_i32 s0, s0, s1
	s_ashr_i32 s41, s0, 5
	v_lshrrev_b32_e32 v13, 6, v0
	v_cmp_gt_i32_e64 s[0:1], s41, v13
	v_mov_b32_e32 v20, 0xff7fffff
	s_mul_i32 s14, s2, s14
	v_lshrrev_b32_e32 v16, 4, v0
	v_lshlrev_b32_e32 v14, 5, v13
	v_mbcnt_lo_u32_b32 v17, -1, 0
	s_and_saveexec_b64 s[34:35], s[0:1]
	s_cbranch_execz .LBB90_21
; %bb.10:
	s_load_dwordx2 s[2:3], s[4:5], 0x10
	s_ashr_i32 s15, s14, 31
	s_sub_i32 s30, s12, s17
	s_lshl_b64 s[4:5], s[14:15], 1
	v_bfe_u32 v18, v0, 1, 5
	s_waitcnt lgkmcnt(0)
	s_add_u32 s2, s2, s4
	s_addc_u32 s3, s3, s5
	s_abs_i32 s15, s18
	v_cvt_f32_u32_e32 v2, s15
	v_mov_b32_e32 v5, s3
	s_sub_i32 s3, 0, s15
	v_lshlrev_b32_e32 v4, 4, v18
	v_rcp_iflag_f32_e32 v2, v2
	v_and_b32_e32 v3, 8, v15
	s_lshl_b64 s[4:5], s[26:27], 2
	s_add_u32 s4, s24, s4
	v_mul_f32_e32 v2, 0x4f7ffffe, v2
	v_cvt_u32_f32_e32 v2, v2
	v_cmp_eq_u32_e32 vcc, 0, v1
	v_lshlrev_b32_e32 v22, 5, v1
	v_and_b32_e32 v1, 60, v16
	v_mul_lo_u32 v6, s3, v2
	v_add_co_u32_e64 v4, s[2:3], s2, v4
	v_addc_co_u32_e64 v5, s[2:3], 0, v5, s[2:3]
	v_mul_hi_u32 v6, v2, v6
	v_add_co_u32_e64 v19, s[2:3], v4, v3
	v_subrev_u32_e32 v3, s11, v18
	v_add_u32_e32 v25, 1, v3
	v_lshlrev_b32_e32 v3, 2, v18
	s_addc_u32 s5, s25, s5
	v_lshl_or_b32 v3, v13, 7, v3
	v_mbcnt_hi_u32_b32 v28, -1, v17
	v_addc_co_u32_e64 v21, s[2:3], 0, v5, s[2:3]
	v_add_u32_e32 v23, v2, v6
	v_mov_b32_e32 v2, s5
	v_add_co_u32_e64 v1, s[4:5], s4, v1
	v_add_u32_e32 v26, 0x50, v3
	v_and_b32_e32 v3, 64, v28
	s_mov_b32 s43, s13
	v_cmp_neq_f32_e64 s[2:3], s42, 0
	v_addc_co_u32_e64 v2, s[4:5], 0, v2, s[4:5]
	v_lshlrev_b32_e32 v24, 5, v13
	v_mov_b32_e32 v27, 0xff7fffff
	s_mov_b64 s[36:37], 0
	v_xor_b32_e32 v29, 1, v28
	v_add_u32_e32 v30, 64, v3
	v_mov_b32_e32 v20, 0xff7fffff
	v_mov_b32_e32 v31, v13
	s_branch .LBB90_13
.LBB90_11:                              ;   in Loop: Header=BB90_13 Depth=1
	s_or_b64 exec, exec, s[38:39]
.LBB90_12:                              ;   in Loop: Header=BB90_13 Depth=1
	s_or_b64 exec, exec, s[6:7]
	v_add_co_u32_e64 v1, s[4:5], 8, v1
	v_add_u32_e32 v31, 2, v31
	v_addc_co_u32_e64 v2, s[4:5], 0, v2, s[4:5]
	v_cmp_le_i32_e64 s[4:5], s41, v31
	v_add_u32_e32 v24, 64, v24
	s_or_b64 s[36:37], s[4:5], s[36:37]
	v_add_u32_e32 v26, 0x100, v26
	s_andn2_b64 exec, exec, s[36:37]
	s_cbranch_execz .LBB90_20
.LBB90_13:                              ; =>This Inner Loop Header: Depth=1
	v_mul_hi_u32 v3, v24, s33
	s_waitcnt lgkmcnt(0)
	v_mul_lo_u32 v4, v3, s21
	v_add_u32_e32 v5, 1, v3
	v_sub_u32_e32 v4, v24, v4
	v_cmp_le_u32_e64 s[4:5], s21, v4
	v_cndmask_b32_e64 v3, v3, v5, s[4:5]
	v_subrev_u32_e32 v5, s21, v4
	v_cndmask_b32_e64 v4, v4, v5, s[4:5]
	v_add_u32_e32 v5, 1, v3
	v_cmp_le_u32_e64 s[4:5], s21, v4
	v_cndmask_b32_e64 v3, v3, v5, s[4:5]
	v_xor_b32_e32 v3, s19, v3
	v_subrev_u32_e32 v3, s19, v3
	v_add_u32_e32 v4, s40, v3
	v_sub_u32_e32 v5, 0, v4
	v_max_i32_e32 v5, v4, v5
	v_mul_hi_u32 v6, v5, v23
	v_ashrrev_i32_e32 v4, 31, v4
	v_cmp_ge_i32_e64 s[6:7], s30, v3
	v_mul_lo_u32 v6, v6, s15
	v_sub_u32_e32 v5, v5, v6
	v_subrev_u32_e32 v6, s15, v5
	v_cmp_le_u32_e64 s[4:5], s15, v5
	v_cndmask_b32_e64 v5, v5, v6, s[4:5]
	v_subrev_u32_e32 v6, s15, v5
	v_cmp_le_u32_e64 s[4:5], s15, v5
	v_cndmask_b32_e64 v5, v5, v6, s[4:5]
	v_xor_b32_e32 v5, v5, v4
	v_sub_u32_e32 v4, v5, v4
	v_cmp_ne_u32_e64 s[4:5], 0, v4
	s_and_b64 s[4:5], s[4:5], s[6:7]
	s_and_saveexec_b64 s[6:7], s[4:5]
	s_xor_b64 s[4:5], exec, s[6:7]
	s_cbranch_execz .LBB90_17
; %bb.14:                               ;   in Loop: Header=BB90_13 Depth=1
	s_and_saveexec_b64 s[6:7], vcc
; %bb.15:                               ;   in Loop: Header=BB90_13 Depth=1
	ds_write_b32 v26, v27
; %bb.16:                               ;   in Loop: Header=BB90_13 Depth=1
	s_or_b64 exec, exec, s[6:7]
.LBB90_17:                              ;   in Loop: Header=BB90_13 Depth=1
	s_andn2_saveexec_b64 s[6:7], s[4:5]
	s_cbranch_execz .LBB90_12
; %bb.18:                               ;   in Loop: Header=BB90_13 Depth=1
	global_load_dword v3, v[1:2], off
	s_waitcnt vmcnt(0)
	v_mad_i64_i32 v[3:4], s[4:5], v3, s43, 0
	v_lshlrev_b64 v[3:4], 1, v[3:4]
	v_add_co_u32_e64 v11, s[4:5], v19, v3
	v_addc_co_u32_e64 v12, s[4:5], v21, v4, s[4:5]
	global_load_dwordx2 v[9:10], v[11:12], off
	global_load_dwordx2 v[7:8], v[11:12], off offset:512
	global_load_dwordx2 v[5:6], v[11:12], off offset:1024
	;; [unrolled: 1-line block ×3, first 2 shown]
	ds_read_b64 v[11:12], v22
	v_cmp_lt_i32_e64 s[4:5], v29, v30
	v_cndmask_b32_e64 v32, v28, v29, s[4:5]
	s_waitcnt lgkmcnt(0)
	v_lshrrev_b32_e32 v33, 16, v11
	v_and_b32_e32 v11, 0xffff, v11
	v_lshrrev_b32_e32 v34, 16, v12
	v_and_b32_e32 v35, 0xffff, v12
	;;#ASMSTART
	v_cvt_f32_f16 v11, v11;
	;;#ASMEND
	;;#ASMSTART
	v_cvt_f32_f16 v12, v33;
	;;#ASMEND
	s_waitcnt vmcnt(3)
	v_lshrrev_b32_e32 v33, 16, v9
	v_and_b32_e32 v9, 0xffff, v9
	v_lshrrev_b32_e32 v36, 16, v10
	v_and_b32_e32 v37, 0xffff, v10
	s_waitcnt vmcnt(2)
	v_and_b32_e32 v38, 0xffff, v7
	v_lshrrev_b32_e32 v39, 16, v7
	v_lshrrev_b32_e32 v40, 16, v8
	v_and_b32_e32 v41, 0xffff, v8
	s_waitcnt vmcnt(1)
	v_lshrrev_b32_e32 v42, 16, v5
	v_and_b32_e32 v43, 0xffff, v5
	v_lshrrev_b32_e32 v44, 16, v6
	v_and_b32_e32 v45, 0xffff, v6
	;;#ASMSTART
	v_cvt_f32_f16 v7, v9;
	;;#ASMEND
	;;#ASMSTART
	v_cvt_f32_f16 v8, v33;
	;;#ASMEND
	;; [unrolled: 3-line block ×6, first 2 shown]
	ds_read_b64 v[5:6], v22 offset:8
	s_waitcnt vmcnt(0)
	v_lshrrev_b32_e32 v46, 16, v3
	v_and_b32_e32 v47, 0xffff, v3
	v_lshrrev_b32_e32 v48, 16, v4
	v_and_b32_e32 v49, 0xffff, v4
	s_waitcnt lgkmcnt(0)
	v_and_b32_e32 v3, 0xffff, v5
	v_lshrrev_b32_e32 v4, 16, v5
	v_and_b32_e32 v37, 0xffff, v6
	v_lshrrev_b32_e32 v50, 16, v6
	;;#ASMSTART
	v_cvt_f32_f16 v5, v3;
	;;#ASMEND
	;;#ASMSTART
	v_cvt_f32_f16 v6, v4;
	;;#ASMEND
	;; [unrolled: 3-line block ×8, first 2 shown]
	ds_read_b64 v[3:4], v22 offset:16
	v_mul_f32_e32 v6, v6, v36
	v_mul_f32_e32 v5, v5, v35
	v_mul_f32_e32 v35, v37, v39
	v_mul_f32_e32 v36, v38, v40
	v_fmac_f32_e32 v6, v12, v8
	s_waitcnt lgkmcnt(0)
	v_lshrrev_b32_e32 v8, 16, v3
	v_and_b32_e32 v3, 0xffff, v3
	v_lshrrev_b32_e32 v12, 16, v4
	v_and_b32_e32 v4, 0xffff, v4
	v_fmac_f32_e32 v5, v11, v7
	v_fmac_f32_e32 v35, v9, v33
	;; [unrolled: 1-line block ×3, first 2 shown]
	;;#ASMSTART
	v_cvt_f32_f16 v7, v3;
	;;#ASMEND
	;;#ASMSTART
	v_cvt_f32_f16 v8, v8;
	;;#ASMEND
	;; [unrolled: 3-line block ×8, first 2 shown]
	ds_read_b64 v[3:4], v22 offset:24
	v_fmac_f32_e32 v5, v7, v9
	v_fmac_f32_e32 v6, v8, v10
	;; [unrolled: 1-line block ×4, first 2 shown]
	s_waitcnt lgkmcnt(0)
	v_lshrrev_b32_e32 v7, 16, v3
	v_and_b32_e32 v3, 0xffff, v3
	v_lshrrev_b32_e32 v10, 16, v4
	v_and_b32_e32 v9, 0xffff, v4
	;;#ASMSTART
	v_cvt_f32_f16 v3, v3;
	;;#ASMEND
	;;#ASMSTART
	v_cvt_f32_f16 v4, v7;
	;;#ASMEND
	;; [unrolled: 3-line block ×4, first 2 shown]
	v_fmac_f32_e32 v5, v3, v7
	v_fmac_f32_e32 v6, v4, v8
	;;#ASMSTART
	v_cvt_f32_f16 v9, v9;
	;;#ASMEND
	;;#ASMSTART
	v_cvt_f32_f16 v10, v10;
	;;#ASMEND
	;; [unrolled: 3-line block ×3, first 2 shown]
	v_fmac_f32_e32 v35, v9, v11
	v_add_f32_e32 v3, v5, v6
	;;#ASMSTART
	v_cvt_f32_f16 v12, v48;
	;;#ASMEND
	v_fmac_f32_e32 v36, v10, v12
	v_add_f32_e32 v3, v3, v35
	v_add_f32_e32 v3, v36, v3
	v_lshlrev_b32_e32 v4, 2, v32
	ds_bpermute_b32 v4, v4, v3
	s_and_saveexec_b64 s[38:39], vcc
	s_cbranch_execz .LBB90_11
; %bb.19:                               ;   in Loop: Header=BB90_13 Depth=1
	v_add_u32_e32 v5, v25, v24
	v_cvt_f32_i32_e32 v5, v5
	s_waitcnt lgkmcnt(0)
	v_add_f32_e32 v3, v3, v4
	v_add_u32_e32 v6, v18, v24
	v_cmp_gt_i32_e64 s[4:5], s11, v6
	v_mul_f32_e32 v4, s42, v5
	v_cndmask_b32_e64 v4, 0, v4, s[2:3]
	v_fmac_f32_e32 v4, s31, v3
	v_cndmask_b32_e64 v3, 0, v4, s[4:5]
	ds_write_b32 v26, v3
	v_max_f32_e32 v3, v20, v20
	v_max_f32_e32 v3, v3, v4
	v_cndmask_b32_e64 v20, v20, v3, s[4:5]
	s_branch .LBB90_11
.LBB90_20:
	s_or_b64 exec, exec, s[36:37]
.LBB90_21:
	s_or_b64 exec, exec, s[34:35]
	v_mbcnt_hi_u32_b32 v1, -1, v17
	v_and_b32_e32 v8, 64, v1
	v_add_u32_e32 v11, 64, v8
	v_xor_b32_e32 v2, 32, v1
	v_cmp_lt_i32_e32 vcc, v2, v11
	v_cndmask_b32_e32 v2, v1, v2, vcc
	v_lshlrev_b32_e32 v2, 2, v2
	ds_bpermute_b32 v3, v2, v20
	v_xor_b32_e32 v5, 16, v1
	s_waitcnt lgkmcnt(1)
	v_max_f32_e32 v4, v20, v20
	v_cmp_lt_i32_e32 vcc, v5, v11
	v_xor_b32_e32 v6, 8, v1
	s_waitcnt lgkmcnt(0)
	v_max_f32_e32 v3, v3, v3
	v_max_f32_e32 v4, v4, v3
	v_cndmask_b32_e32 v3, v1, v5, vcc
	v_lshlrev_b32_e32 v3, 2, v3
	ds_bpermute_b32 v5, v3, v4
	v_cmp_lt_i32_e32 vcc, v6, v11
	v_xor_b32_e32 v7, 4, v1
	v_xor_b32_e32 v9, 2, v1
	s_waitcnt lgkmcnt(0)
	v_max_f32_e32 v5, v5, v5
	v_max_f32_e32 v5, v4, v5
	v_cndmask_b32_e32 v4, v1, v6, vcc
	v_lshlrev_b32_e32 v4, 2, v4
	ds_bpermute_b32 v6, v4, v5
	v_cmp_lt_i32_e32 vcc, v7, v11
	s_waitcnt lgkmcnt(0)
	v_max_f32_e32 v6, v6, v6
	v_max_f32_e32 v6, v5, v6
	v_cndmask_b32_e32 v5, v1, v7, vcc
	v_lshlrev_b32_e32 v5, 2, v5
	ds_bpermute_b32 v7, v5, v6
	v_cmp_lt_i32_e32 vcc, v9, v11
	s_waitcnt lgkmcnt(0)
	v_max_f32_e32 v7, v7, v7
	v_max_f32_e32 v7, v6, v7
	v_cndmask_b32_e32 v6, v1, v9, vcc
	v_lshlrev_b32_e32 v10, 2, v6
	ds_bpermute_b32 v12, v10, v7
	v_and_b32_e32 v9, 63, v0
	v_cmp_eq_u32_e32 vcc, 0, v9
	v_lshlrev_b32_e32 v6, 2, v13
	s_and_saveexec_b64 s[2:3], vcc
	s_cbranch_execz .LBB90_23
; %bb.22:
	s_waitcnt lgkmcnt(0)
	v_max_f32_e32 v12, v12, v12
	v_max_f32_e32 v7, v7, v7
	;; [unrolled: 1-line block ×3, first 2 shown]
	ds_write_b32 v6, v7 offset:64
.LBB90_23:
	s_or_b64 exec, exec, s[2:3]
	v_cmp_gt_u32_e64 s[2:3], 2, v9
	s_waitcnt lgkmcnt(0)
	v_mov_b32_e32 v12, 0xff7fffff
	v_lshlrev_b32_e32 v7, 2, v9
	s_barrier
	s_and_saveexec_b64 s[4:5], s[2:3]
; %bb.24:
	ds_read_b32 v12, v7 offset:64
; %bb.25:
	s_or_b64 exec, exec, s[4:5]
	v_xor_b32_e32 v17, 1, v1
	v_cmp_lt_i32_e64 s[4:5], v17, v11
	v_cndmask_b32_e64 v11, v1, v17, s[4:5]
	v_lshlrev_b32_e32 v11, 2, v11
	s_waitcnt lgkmcnt(0)
	ds_bpermute_b32 v17, v11, v12
	v_max_f32_e32 v12, v12, v12
	v_lshlrev_b32_e32 v8, 2, v8
	s_lshl_b32 s4, s41, 5
	s_min_i32 s15, s4, s11
	s_waitcnt lgkmcnt(0)
	v_max_f32_e32 v17, v17, v17
	v_max_f32_e32 v12, v12, v17
	ds_bpermute_b32 v12, v8, v12
	v_cmp_gt_i32_e64 s[4:5], s15, v0
	v_mov_b32_e32 v8, 0
	s_and_saveexec_b64 s[30:31], s[4:5]
	s_cbranch_execz .LBB90_29
; %bb.26:
	v_mov_b32_e32 v8, 0x50
	v_lshl_add_u32 v17, v0, 2, v8
	v_mov_b32_e32 v8, 0
	s_mov_b64 s[34:35], 0
	v_mov_b32_e32 v18, v0
.LBB90_27:                              ; =>This Inner Loop Header: Depth=1
	ds_read_b32 v19, v17
	v_add_u32_e32 v18, 0x80, v18
	v_cmp_le_i32_e64 s[6:7], s15, v18
	s_or_b64 s[34:35], s[6:7], s[34:35]
	s_waitcnt lgkmcnt(0)
	v_sub_f32_e32 v19, v19, v12
	v_mul_f32_e32 v19, 0x3fb8aa3b, v19
	v_exp_f32_e32 v19, v19
	ds_write_b32 v17, v19
	v_add_f32_e32 v8, v8, v19
	v_add_u32_e32 v17, 0x200, v17
	s_andn2_b64 exec, exec, s[34:35]
	s_cbranch_execnz .LBB90_27
; %bb.28:
	s_or_b64 exec, exec, s[34:35]
.LBB90_29:
	s_or_b64 exec, exec, s[30:31]
	ds_bpermute_b32 v2, v2, v8
	s_waitcnt lgkmcnt(0)
	v_add_f32_e32 v2, v8, v2
	ds_bpermute_b32 v3, v3, v2
	s_waitcnt lgkmcnt(0)
	v_add_f32_e32 v2, v2, v3
	;; [unrolled: 3-line block ×6, first 2 shown]
	s_and_saveexec_b64 s[6:7], vcc
; %bb.30:
	ds_write_b32 v6, v2 offset:72
; %bb.31:
	s_or_b64 exec, exec, s[6:7]
	s_waitcnt lgkmcnt(0)
	s_barrier
	s_and_saveexec_b64 s[6:7], s[2:3]
; %bb.32:
	ds_read_b32 v2, v7 offset:72
; %bb.33:
	s_or_b64 exec, exec, s[6:7]
	s_waitcnt lgkmcnt(0)
	ds_bpermute_b32 v3, v11, v2
	v_lshlrev_b32_e32 v1, 2, v1
	v_and_b32_e32 v1, 0x100, v1
	s_waitcnt lgkmcnt(0)
	v_add_f32_e32 v2, v2, v3
	ds_bpermute_b32 v1, v1, v2
	s_and_saveexec_b64 s[2:3], s[4:5]
	s_cbranch_execz .LBB90_36
; %bb.34:
	s_waitcnt lgkmcnt(0)
	v_add_f32_e32 v2, 0x358637bd, v1
	v_div_scale_f32 v1, s[4:5], v2, v2, 1.0
	v_div_scale_f32 v3, vcc, 1.0, v2, 1.0
	s_mov_b64 s[4:5], 0
	v_rcp_f32_e32 v4, v1
	v_fma_f32 v5, -v1, v4, 1.0
	v_fmac_f32_e32 v4, v5, v4
	v_mul_f32_e32 v5, v3, v4
	v_fma_f32 v6, -v1, v5, v3
	v_fmac_f32_e32 v5, v6, v4
	v_fma_f32 v1, -v1, v5, v3
	v_div_fmas_f32 v3, v1, v4, v5
	v_mov_b32_e32 v1, 0x50
	v_lshl_add_u32 v1, v0, 2, v1
	v_div_fixup_f32 v2, v3, v2, 1.0
	v_mov_b32_e32 v3, v0
.LBB90_35:                              ; =>This Inner Loop Header: Depth=1
	ds_read_b32 v4, v1
	v_add_u32_e32 v3, 0x80, v3
	v_cmp_le_i32_e32 vcc, s15, v3
	s_or_b64 s[4:5], vcc, s[4:5]
	s_waitcnt lgkmcnt(0)
	v_mul_f32_e32 v4, v2, v4
	ds_write_b32 v1, v4
	v_add_u32_e32 v1, 0x200, v1
	s_andn2_b64 exec, exec, s[4:5]
	s_cbranch_execnz .LBB90_35
.LBB90_36:
	s_or_b64 exec, exec, s[2:3]
	v_mov_b32_e32 v18, 0
	v_and_b32_e32 v12, 3, v0
	v_mov_b32_e32 v19, 0
	s_waitcnt lgkmcnt(0)
	s_barrier
	s_and_saveexec_b64 s[2:3], s[0:1]
	s_cbranch_execz .LBB90_46
; %bb.37:
	s_ashr_i32 s15, s14, 31
	s_sub_i32 s17, s12, s17
	s_lshl_b64 s[0:1], s[14:15], 1
	s_add_u32 s0, s28, s0
	s_addc_u32 s1, s29, s1
	s_abs_i32 s14, s18
	v_cvt_f32_u32_e32 v1, s14
	s_sub_i32 s4, 0, s14
	v_lshlrev_b32_e32 v2, 4, v0
	v_and_b32_e32 v2, 0x3f0, v2
	v_rcp_iflag_f32_e32 v1, v1
	v_and_b32_e32 v3, 60, v16
	s_add_i32 s18, s41, -1
	v_mov_b32_e32 v5, s1
	v_mul_f32_e32 v1, 0x4f7ffffe, v1
	v_cvt_u32_f32_e32 v1, v1
	v_add_co_u32_e32 v16, vcc, s0, v2
	s_lshl_b64 s[0:1], s[26:27], 2
	v_mul_lo_u32 v4, s4, v1
	s_add_u32 s0, s24, s0
	v_addc_co_u32_e32 v20, vcc, 0, v5, vcc
	v_mul_hi_u32 v4, v1, v4
	s_addc_u32 s1, s25, s1
	v_add_co_u32_e32 v5, vcc, s0, v3
	v_add_u32_e32 v21, v1, v4
	v_mov_b32_e32 v1, s1
	v_addc_co_u32_e32 v6, vcc, 0, v1, vcc
	v_lshlrev_b32_e32 v1, 5, v12
	v_lshl_or_b32 v1, v13, 7, v1
	v_and_b32_e32 v15, 24, v15
	s_mov_b32 s15, s13
	v_mov_b32_e32 v17, 0
	v_add_u32_e32 v22, 0x50, v1
	s_mov_b64 s[4:5], 0
	s_mov_b32 s24, 0xffff
	v_mov_b32_e32 v19, 0
	v_mov_b32_e32 v18, 0
	s_branch .LBB90_40
.LBB90_38:                              ;   in Loop: Header=BB90_40 Depth=1
	s_or_b64 exec, exec, s[12:13]
	v_add_f32_e32 v23, v35, v36
	v_add_f32_e32 v19, v19, v23
	v_lshlrev_b32_e32 v23, 16, v37
	v_and_or_b32 v1, v1, s24, v23
	v_lshlrev_b32_e32 v8, 16, v8
	v_lshlrev_b32_e32 v7, 16, v7
	v_and_or_b32 v2, v2, s24, v8
	v_and_or_b32 v3, v3, s24, v7
	;;#ASMSTART
	v_pk_mul_f16 v1, v32, v1;

	;;#ASMEND
	;;#ASMSTART
	v_pk_mul_f16 v2, v33, v2;

	;;#ASMEND
	;;#ASMSTART
	v_pk_mul_f16 v3, v34, v3;

	;;#ASMEND
	;;#ASMSTART
	v_pk_mul_f16 v4, v31, v4;

	;;#ASMEND
	;;#ASMSTART
	v_pk_add_f16 v1, v1, v2;

	;;#ASMEND
	;;#ASMSTART
	v_pk_add_f16 v1, v1, v3;

	;;#ASMEND
	;; [unrolled: 4-line block ×3, first 2 shown]
	v_lshrrev_b32_e32 v2, 16, v1
	v_and_b32_e32 v1, 0xffff, v1
	;;#ASMSTART
	v_cvt_f32_f16 v1, v1;
	;;#ASMEND
	;;#ASMSTART
	v_cvt_f32_f16 v2, v2;
	;;#ASMEND
	v_add_f32_e32 v1, v1, v2
	v_add_f32_e32 v18, v18, v1
.LBB90_39:                              ;   in Loop: Header=BB90_40 Depth=1
	s_or_b64 exec, exec, s[6:7]
	v_add_co_u32_e32 v5, vcc, 8, v5
	v_add_u32_e32 v13, 2, v13
	v_addc_co_u32_e32 v6, vcc, 0, v6, vcc
	v_cmp_le_i32_e32 vcc, s41, v13
	v_add_u32_e32 v14, 64, v14
	s_or_b64 s[4:5], vcc, s[4:5]
	v_add_u32_e32 v22, 0x100, v22
	s_andn2_b64 exec, exec, s[4:5]
	s_cbranch_execz .LBB90_45
.LBB90_40:                              ; =>This Inner Loop Header: Depth=1
	v_mul_hi_u32 v1, v14, s33
	v_mul_lo_u32 v2, v1, s21
	v_add_u32_e32 v3, 1, v1
	v_sub_u32_e32 v2, v14, v2
	v_cmp_le_u32_e32 vcc, s21, v2
	v_cndmask_b32_e32 v1, v1, v3, vcc
	v_subrev_u32_e32 v3, s21, v2
	v_cndmask_b32_e32 v2, v2, v3, vcc
	v_add_u32_e32 v3, 1, v1
	v_cmp_le_u32_e32 vcc, s21, v2
	v_cndmask_b32_e32 v1, v1, v3, vcc
	v_xor_b32_e32 v1, s19, v1
	v_subrev_u32_e32 v1, s19, v1
	v_add_u32_e32 v2, s40, v1
	v_sub_u32_e32 v3, 0, v2
	v_max_i32_e32 v3, v2, v3
	v_mul_hi_u32 v4, v3, v21
	v_ashrrev_i32_e32 v2, 31, v2
	v_cmp_lt_i32_e64 s[0:1], s17, v1
	v_mul_lo_u32 v4, v4, s14
	v_sub_u32_e32 v3, v3, v4
	v_subrev_u32_e32 v4, s14, v3
	v_cmp_le_u32_e32 vcc, s14, v3
	v_cndmask_b32_e32 v3, v3, v4, vcc
	v_subrev_u32_e32 v4, s14, v3
	v_cmp_le_u32_e32 vcc, s14, v3
	v_cndmask_b32_e32 v3, v3, v4, vcc
	v_xor_b32_e32 v3, v3, v2
	v_sub_u32_e32 v2, v3, v2
	v_cmp_eq_u32_e32 vcc, 0, v2
	s_or_b64 s[0:1], vcc, s[0:1]
	s_and_saveexec_b64 s[6:7], s[0:1]
	s_cbranch_execz .LBB90_39
; %bb.41:                               ;   in Loop: Header=BB90_40 Depth=1
	global_load_dword v7, v[5:6], off
	ds_read2_b64 v[1:4], v22 offset1:1
	ds_read2_b64 v[23:26], v22 offset0:2 offset1:3
	s_waitcnt lgkmcnt(1)
	;;#ASMSTART
	v_cvt_f16_f32 v31, v1;

	;;#ASMEND
	;;#ASMSTART
	v_cvt_f16_f32 v32, v2;

	;;#ASMEND
	;; [unrolled: 4-line block ×4, first 2 shown]
	s_waitcnt lgkmcnt(0)
	;;#ASMSTART
	v_cvt_f16_f32 v35, v23;

	;;#ASMEND
	;;#ASMSTART
	v_cvt_f16_f32 v36, v24;

	;;#ASMEND
	;; [unrolled: 4-line block ×4, first 2 shown]
	v_add_u32_e32 v23, v15, v14
	v_add_u32_e32 v30, 1, v23
	v_add_u32_e32 v29, 2, v23
	v_add_u32_e32 v28, 3, v23
	v_add_u32_e32 v27, 4, v23
	v_add_u32_e32 v26, 5, v23
	v_add_u32_e32 v25, 6, v23
	v_add_u32_e32 v24, 7, v23
	s_waitcnt vmcnt(0)
	v_mad_i64_i32 v[1:2], s[0:1], v7, s15, 0
	v_cmp_eq_u32_e64 s[0:1], s18, v13
	v_lshlrev_b64 v[1:2], 1, v[1:2]
	v_add_co_u32_e32 v7, vcc, v16, v1
	v_addc_co_u32_e32 v8, vcc, v20, v2, vcc
	global_load_dwordx4 v[1:4], v[7:8], off
	s_waitcnt vmcnt(0)
	v_lshrrev_b32_e32 v41, 16, v1
	v_lshrrev_b32_e32 v40, 16, v2
	;; [unrolled: 1-line block ×3, first 2 shown]
	s_and_saveexec_b64 s[12:13], s[0:1]
	s_cbranch_execz .LBB90_43
; %bb.42:                               ;   in Loop: Header=BB90_40 Depth=1
	v_cmp_gt_i32_e32 vcc, s11, v23
	v_cndmask_b32_e32 v1, 0, v1, vcc
	v_cmp_gt_i32_e32 vcc, s11, v30
	v_cndmask_b32_e32 v41, 0, v41, vcc
	;; [unrolled: 2-line block ×6, first 2 shown]
	v_cmp_gt_i32_e32 vcc, s11, v25
	v_cndmask_b32_sdwa v42, v17, v4, vcc dst_sel:DWORD dst_unused:UNUSED_PAD src0_sel:DWORD src1_sel:WORD_0
	v_and_b32_e32 v4, 0xffff0000, v4
	v_cmp_gt_i32_e32 vcc, s11, v24
	v_cndmask_b32_e32 v4, 0, v4, vcc
	v_or_b32_e32 v4, v42, v4
.LBB90_43:                              ;   in Loop: Header=BB90_40 Depth=1
	s_or_b64 exec, exec, s[12:13]
	v_and_b32_e32 v31, 0xffff, v31
	v_lshl_or_b32 v32, v32, 16, v31
	v_and_b32_e32 v31, 0xffff, v33
	v_lshl_or_b32 v33, v34, 16, v31
	v_and_b32_e32 v31, 0xffff, v35
	v_lshlrev_b32_e32 v35, 16, v41
	v_and_or_b32 v1, v1, s24, v35
	v_lshlrev_b32_e32 v35, 16, v40
	v_and_or_b32 v2, v2, s24, v35
	v_lshlrev_b32_e32 v35, 16, v39
	v_lshl_or_b32 v34, v36, 16, v31
	v_and_b32_e32 v31, 0xffff, v37
	v_and_or_b32 v3, v3, s24, v35
	;;#ASMSTART
	v_pk_mul_f16 v1, v32, v1;

	;;#ASMEND
	v_lshl_or_b32 v31, v38, 16, v31
	;;#ASMSTART
	v_pk_mul_f16 v2, v33, v2;

	;;#ASMEND
	;;#ASMSTART
	v_pk_mul_f16 v3, v34, v3;

	;;#ASMEND
	;; [unrolled: 4-line block ×3, first 2 shown]
	;;#ASMSTART
	v_pk_add_f16 v1, v1, v2;

	;;#ASMEND
	;;#ASMSTART
	v_pk_add_f16 v1, v1, v3;

	;;#ASMEND
	;; [unrolled: 4-line block ×3, first 2 shown]
	v_lshrrev_b32_e32 v2, 16, v1
	v_and_b32_e32 v1, 0xffff, v1
	;;#ASMSTART
	v_cvt_f32_f16 v35, v1;
	;;#ASMEND
	;;#ASMSTART
	v_cvt_f32_f16 v36, v2;
	;;#ASMEND
	global_load_dwordx4 v[1:4], v[7:8], off offset:1024
	s_waitcnt vmcnt(0)
	v_lshrrev_b32_e32 v37, 16, v1
	v_lshrrev_b32_e32 v8, 16, v2
	;; [unrolled: 1-line block ×3, first 2 shown]
	s_and_saveexec_b64 s[12:13], s[0:1]
	s_cbranch_execz .LBB90_38
; %bb.44:                               ;   in Loop: Header=BB90_40 Depth=1
	v_cmp_gt_i32_e32 vcc, s11, v23
	v_cndmask_b32_e32 v1, 0, v1, vcc
	v_cmp_gt_i32_e32 vcc, s11, v30
	v_cndmask_b32_e32 v37, 0, v37, vcc
	;; [unrolled: 2-line block ×6, first 2 shown]
	v_cmp_gt_i32_e32 vcc, s11, v25
	v_cndmask_b32_sdwa v23, v17, v4, vcc dst_sel:DWORD dst_unused:UNUSED_PAD src0_sel:DWORD src1_sel:WORD_0
	v_and_b32_e32 v4, 0xffff0000, v4
	v_cmp_gt_i32_e32 vcc, s11, v24
	v_cndmask_b32_e32 v4, 0, v4, vcc
	v_or_b32_e32 v4, v23, v4
	s_branch .LBB90_38
.LBB90_45:
	s_or_b64 exec, exec, s[4:5]
.LBB90_46:
	s_or_b64 exec, exec, s[2:3]
	ds_bpermute_b32 v1, v10, v19
	ds_bpermute_b32 v2, v10, v18
	v_and_b32_e32 v3, 0x3c3, v0
	v_cmp_eq_u32_e32 vcc, 64, v3
	s_waitcnt lgkmcnt(0)
	v_add_f32_e32 v1, v19, v1
	v_add_f32_e32 v4, v18, v2
	ds_bpermute_b32 v2, v11, v1
	ds_bpermute_b32 v5, v11, v4
	s_waitcnt lgkmcnt(0)
	s_barrier
	v_add_f32_e32 v2, v1, v2
	v_add_f32_e32 v1, v4, v5
	s_and_saveexec_b64 s[0:1], vcc
; %bb.47:
	v_add_u32_e32 v4, 0x50, v9
	ds_write2_b32 v4, v2, v1 offset1:16
; %bb.48:
	s_or_b64 exec, exec, s[0:1]
	v_cmp_gt_u32_e32 vcc, 64, v0
	v_lshrrev_b32_e32 v0, 2, v0
	s_waitcnt lgkmcnt(0)
	s_barrier
	s_and_saveexec_b64 s[0:1], vcc
	s_cbranch_execz .LBB90_54
; %bb.49:
	v_mov_b32_e32 v4, 0x50
	v_cmp_eq_u32_e32 vcc, 0, v12
	v_lshl_add_u32 v4, v0, 2, v4
	s_and_saveexec_b64 s[2:3], vcc
	s_cbranch_execz .LBB90_51
; %bb.50:
	ds_read_b32 v5, v4
	s_waitcnt lgkmcnt(0)
	v_add_f32_e32 v2, v2, v5
.LBB90_51:
	s_or_b64 exec, exec, s[2:3]
	s_and_saveexec_b64 s[2:3], vcc
	s_cbranch_execz .LBB90_53
; %bb.52:
	ds_read_b32 v4, v4 offset:64
	s_waitcnt lgkmcnt(0)
	v_add_f32_e32 v1, v1, v4
.LBB90_53:
	s_or_b64 exec, exec, s[2:3]
.LBB90_54:
	s_or_b64 exec, exec, s[0:1]
	v_cmp_eq_u32_e32 vcc, 0, v3
	s_barrier
	s_and_saveexec_b64 s[0:1], vcc
	s_cbranch_execz .LBB90_56
; %bb.55:
	s_mul_i32 s0, s10, s16
	s_mul_i32 s0, s0, s9
	s_lshl_b32 s0, s0, 5
	s_ashr_i32 s1, s0, 31
	s_lshl_b64 s[0:1], s[0:1], 1
	s_add_u32 s2, s22, s0
	s_mul_i32 s0, s16, s20
	s_addc_u32 s3, s23, s1
	s_ashr_i32 s1, s0, 31
	s_lshl_b64 s[0:1], s[0:1], 1
	s_add_u32 s2, s2, s0
	s_addc_u32 s3, s3, s1
	s_lshl_b32 s0, s8, 5
	s_ashr_i32 s1, s0, 31
	s_lshl_b64 s[0:1], s[0:1], 1
	s_add_u32 s0, s2, s0
	s_addc_u32 s1, s3, s1
	v_lshlrev_b32_e32 v0, 1, v0
	;;#ASMSTART
	v_cvt_f16_f32 v2, v2;

	;;#ASMEND
	global_store_short v0, v2, s[0:1]
	;;#ASMSTART
	v_cvt_f16_f32 v1, v1;

	;;#ASMEND
	global_store_short v0, v1, s[0:1] offset:32
.LBB90_56:
	s_endpgm
	.section	.rodata,"a",@progbits
	.p2align	6, 0x0
	.amdhsa_kernel _ZN4vllm25paged_attention_v1_kernelIttLi32ELi32ELi128ELNS_18Fp8KVCacheDataTypeE0ELb1EEEvPT_PKS2_PKT0_S8_ifPKiSA_iPKfiiiSC_SC_iiiii
		.amdhsa_group_segment_fixed_size 80
		.amdhsa_private_segment_fixed_size 0
		.amdhsa_kernarg_size 384
		.amdhsa_user_sgpr_count 6
		.amdhsa_user_sgpr_private_segment_buffer 1
		.amdhsa_user_sgpr_dispatch_ptr 0
		.amdhsa_user_sgpr_queue_ptr 0
		.amdhsa_user_sgpr_kernarg_segment_ptr 1
		.amdhsa_user_sgpr_dispatch_id 0
		.amdhsa_user_sgpr_flat_scratch_init 0
		.amdhsa_user_sgpr_private_segment_size 0
		.amdhsa_uses_dynamic_stack 0
		.amdhsa_system_sgpr_private_segment_wavefront_offset 0
		.amdhsa_system_sgpr_workgroup_id_x 1
		.amdhsa_system_sgpr_workgroup_id_y 1
		.amdhsa_system_sgpr_workgroup_id_z 1
		.amdhsa_system_sgpr_workgroup_info 0
		.amdhsa_system_vgpr_workitem_id 0
		.amdhsa_next_free_vgpr 51
		.amdhsa_next_free_sgpr 44
		.amdhsa_reserve_vcc 1
		.amdhsa_reserve_flat_scratch 0
		.amdhsa_float_round_mode_32 0
		.amdhsa_float_round_mode_16_64 0
		.amdhsa_float_denorm_mode_32 3
		.amdhsa_float_denorm_mode_16_64 3
		.amdhsa_dx10_clamp 1
		.amdhsa_ieee_mode 1
		.amdhsa_fp16_overflow 0
		.amdhsa_exception_fp_ieee_invalid_op 0
		.amdhsa_exception_fp_denorm_src 0
		.amdhsa_exception_fp_ieee_div_zero 0
		.amdhsa_exception_fp_ieee_overflow 0
		.amdhsa_exception_fp_ieee_underflow 0
		.amdhsa_exception_fp_ieee_inexact 0
		.amdhsa_exception_int_div_zero 0
	.end_amdhsa_kernel
	.section	.text._ZN4vllm25paged_attention_v1_kernelIttLi32ELi32ELi128ELNS_18Fp8KVCacheDataTypeE0ELb1EEEvPT_PKS2_PKT0_S8_ifPKiSA_iPKfiiiSC_SC_iiiii,"axG",@progbits,_ZN4vllm25paged_attention_v1_kernelIttLi32ELi32ELi128ELNS_18Fp8KVCacheDataTypeE0ELb1EEEvPT_PKS2_PKT0_S8_ifPKiSA_iPKfiiiSC_SC_iiiii,comdat
.Lfunc_end90:
	.size	_ZN4vllm25paged_attention_v1_kernelIttLi32ELi32ELi128ELNS_18Fp8KVCacheDataTypeE0ELb1EEEvPT_PKS2_PKT0_S8_ifPKiSA_iPKfiiiSC_SC_iiiii, .Lfunc_end90-_ZN4vllm25paged_attention_v1_kernelIttLi32ELi32ELi128ELNS_18Fp8KVCacheDataTypeE0ELb1EEEvPT_PKS2_PKT0_S8_ifPKiSA_iPKfiiiSC_SC_iiiii
                                        ; -- End function
	.set _ZN4vllm25paged_attention_v1_kernelIttLi32ELi32ELi128ELNS_18Fp8KVCacheDataTypeE0ELb1EEEvPT_PKS2_PKT0_S8_ifPKiSA_iPKfiiiSC_SC_iiiii.num_vgpr, 51
	.set _ZN4vllm25paged_attention_v1_kernelIttLi32ELi32ELi128ELNS_18Fp8KVCacheDataTypeE0ELb1EEEvPT_PKS2_PKT0_S8_ifPKiSA_iPKfiiiSC_SC_iiiii.num_agpr, 0
	.set _ZN4vllm25paged_attention_v1_kernelIttLi32ELi32ELi128ELNS_18Fp8KVCacheDataTypeE0ELb1EEEvPT_PKS2_PKT0_S8_ifPKiSA_iPKfiiiSC_SC_iiiii.numbered_sgpr, 44
	.set _ZN4vllm25paged_attention_v1_kernelIttLi32ELi32ELi128ELNS_18Fp8KVCacheDataTypeE0ELb1EEEvPT_PKS2_PKT0_S8_ifPKiSA_iPKfiiiSC_SC_iiiii.num_named_barrier, 0
	.set _ZN4vllm25paged_attention_v1_kernelIttLi32ELi32ELi128ELNS_18Fp8KVCacheDataTypeE0ELb1EEEvPT_PKS2_PKT0_S8_ifPKiSA_iPKfiiiSC_SC_iiiii.private_seg_size, 0
	.set _ZN4vllm25paged_attention_v1_kernelIttLi32ELi32ELi128ELNS_18Fp8KVCacheDataTypeE0ELb1EEEvPT_PKS2_PKT0_S8_ifPKiSA_iPKfiiiSC_SC_iiiii.uses_vcc, 1
	.set _ZN4vllm25paged_attention_v1_kernelIttLi32ELi32ELi128ELNS_18Fp8KVCacheDataTypeE0ELb1EEEvPT_PKS2_PKT0_S8_ifPKiSA_iPKfiiiSC_SC_iiiii.uses_flat_scratch, 0
	.set _ZN4vllm25paged_attention_v1_kernelIttLi32ELi32ELi128ELNS_18Fp8KVCacheDataTypeE0ELb1EEEvPT_PKS2_PKT0_S8_ifPKiSA_iPKfiiiSC_SC_iiiii.has_dyn_sized_stack, 0
	.set _ZN4vllm25paged_attention_v1_kernelIttLi32ELi32ELi128ELNS_18Fp8KVCacheDataTypeE0ELb1EEEvPT_PKS2_PKT0_S8_ifPKiSA_iPKfiiiSC_SC_iiiii.has_recursion, 0
	.set _ZN4vllm25paged_attention_v1_kernelIttLi32ELi32ELi128ELNS_18Fp8KVCacheDataTypeE0ELb1EEEvPT_PKS2_PKT0_S8_ifPKiSA_iPKfiiiSC_SC_iiiii.has_indirect_call, 0
	.section	.AMDGPU.csdata,"",@progbits
; Kernel info:
; codeLenInByte = 4404
; TotalNumSgprs: 48
; NumVgprs: 51
; ScratchSize: 0
; MemoryBound: 0
; FloatMode: 240
; IeeeMode: 1
; LDSByteSize: 80 bytes/workgroup (compile time only)
; SGPRBlocks: 5
; VGPRBlocks: 12
; NumSGPRsForWavesPerEU: 48
; NumVGPRsForWavesPerEU: 51
; Occupancy: 4
; WaveLimiterHint : 1
; COMPUTE_PGM_RSRC2:SCRATCH_EN: 0
; COMPUTE_PGM_RSRC2:USER_SGPR: 6
; COMPUTE_PGM_RSRC2:TRAP_HANDLER: 0
; COMPUTE_PGM_RSRC2:TGID_X_EN: 1
; COMPUTE_PGM_RSRC2:TGID_Y_EN: 1
; COMPUTE_PGM_RSRC2:TGID_Z_EN: 1
; COMPUTE_PGM_RSRC2:TIDIG_COMP_CNT: 0
	.section	.text._ZN4vllm25paged_attention_v1_kernelIttLi64ELi32ELi128ELNS_18Fp8KVCacheDataTypeE0ELb1EEEvPT_PKS2_PKT0_S8_ifPKiSA_iPKfiiiSC_SC_iiiii,"axG",@progbits,_ZN4vllm25paged_attention_v1_kernelIttLi64ELi32ELi128ELNS_18Fp8KVCacheDataTypeE0ELb1EEEvPT_PKS2_PKT0_S8_ifPKiSA_iPKfiiiSC_SC_iiiii,comdat
	.protected	_ZN4vllm25paged_attention_v1_kernelIttLi64ELi32ELi128ELNS_18Fp8KVCacheDataTypeE0ELb1EEEvPT_PKS2_PKT0_S8_ifPKiSA_iPKfiiiSC_SC_iiiii ; -- Begin function _ZN4vllm25paged_attention_v1_kernelIttLi64ELi32ELi128ELNS_18Fp8KVCacheDataTypeE0ELb1EEEvPT_PKS2_PKT0_S8_ifPKiSA_iPKfiiiSC_SC_iiiii
	.globl	_ZN4vllm25paged_attention_v1_kernelIttLi64ELi32ELi128ELNS_18Fp8KVCacheDataTypeE0ELb1EEEvPT_PKS2_PKT0_S8_ifPKiSA_iPKfiiiSC_SC_iiiii
	.p2align	8
	.type	_ZN4vllm25paged_attention_v1_kernelIttLi64ELi32ELi128ELNS_18Fp8KVCacheDataTypeE0ELb1EEEvPT_PKS2_PKT0_S8_ifPKiSA_iPKfiiiSC_SC_iiiii,@function
_ZN4vllm25paged_attention_v1_kernelIttLi64ELi32ELi128ELNS_18Fp8KVCacheDataTypeE0ELb1EEEvPT_PKS2_PKT0_S8_ifPKiSA_iPKfiiiSC_SC_iiiii: ; @_ZN4vllm25paged_attention_v1_kernelIttLi64ELi32ELi128ELNS_18Fp8KVCacheDataTypeE0ELb1EEEvPT_PKS2_PKT0_S8_ifPKiSA_iPKfiiiSC_SC_iiiii
; %bb.0:
	s_load_dword s9, s[4:5], 0x80
	s_load_dwordx2 s[0:1], s[4:5], 0x30
	s_load_dwordx2 s[30:31], s[4:5], 0x20
	s_mov_b32 s10, s7
	s_ashr_i32 s11, s7, 31
	s_lshl_b64 s[2:3], s[10:11], 2
	s_waitcnt lgkmcnt(0)
	s_add_u32 s0, s0, s2
	s_addc_u32 s1, s1, s3
	s_abs_i32 s2, s30
	v_cvt_f32_u32_e32 v1, s2
	s_sub_i32 s11, 0, s2
	s_abs_i32 s7, s9
	s_xor_b32 s3, s9, s30
	v_rcp_iflag_f32_e32 v1, v1
	s_ashr_i32 s3, s3, 31
	s_mov_b32 s42, 0
	v_mul_f32_e32 v1, 0x4f7ffffe, v1
	v_cvt_u32_f32_e32 v1, v1
	v_readfirstlane_b32 s12, v1
	s_mul_i32 s11, s11, s12
	s_mul_hi_u32 s11, s12, s11
	s_add_i32 s12, s12, s11
	s_mul_hi_u32 s11, s7, s12
	s_mul_i32 s12, s11, s2
	s_sub_i32 s7, s7, s12
	s_add_i32 s12, s11, 1
	s_sub_i32 s13, s7, s2
	s_cmp_ge_u32 s7, s2
	s_cselect_b32 s11, s12, s11
	s_cselect_b32 s7, s13, s7
	s_add_i32 s12, s11, 1
	s_cmp_ge_u32 s7, s2
	s_cselect_b32 s2, s12, s11
	s_xor_b32 s2, s2, s3
	s_sub_i32 s12, s2, s3
	s_abs_i32 s11, s12
	v_cvt_f32_u32_e32 v1, s11
	s_load_dwordx2 s[2:3], s[4:5], 0x40
	s_sub_i32 s7, 0, s11
	s_abs_i32 s22, s6
	v_rcp_iflag_f32_e32 v1, v1
	v_mul_f32_e32 v1, 0x4f7ffffe, v1
	v_cvt_u32_f32_e32 v1, v1
	v_readfirstlane_b32 s13, v1
	s_mul_i32 s7, s7, s13
	s_mul_hi_u32 s7, s13, s7
	s_add_i32 s13, s13, s7
	s_waitcnt lgkmcnt(0)
	s_cmp_eq_u64 s[2:3], 0
	s_mul_hi_u32 s23, s22, s13
	s_cbranch_scc1 .LBB91_2
; %bb.1:
	s_ashr_i32 s7, s6, 31
	s_lshl_b64 s[14:15], s[6:7], 2
	s_add_u32 s2, s2, s14
	s_addc_u32 s3, s3, s15
	s_load_dword s42, s[2:3], 0x0
.LBB91_2:
	s_load_dword s33, s[0:1], 0x0
	s_ashr_i32 s7, s12, 31
	s_load_dwordx4 s[12:15], s[4:5], 0x48
	s_ashr_i32 s2, s6, 31
	v_and_b32_e32 v1, 1, v0
	s_lshl_b32 s20, s6, 6
	v_cmp_gt_u32_e32 vcc, 16, v0
	v_lshlrev_b32_e32 v11, 3, v0
	s_and_saveexec_b64 s[0:1], vcc
	s_cbranch_execz .LBB91_4
; %bb.3:
	s_load_dwordx2 s[16:17], s[4:5], 0x8
	s_waitcnt lgkmcnt(0)
	s_mul_i32 s18, s12, s10
	s_ashr_i32 s19, s18, 31
	s_lshl_b64 s[18:19], s[18:19], 1
	v_lshlrev_b32_e32 v4, 2, v0
	s_add_u32 s3, s16, s18
	s_addc_u32 s12, s17, s19
	s_ashr_i32 s21, s20, 31
	s_lshl_b64 s[16:17], s[20:21], 1
	s_add_u32 s16, s3, s16
	s_addc_u32 s17, s12, s17
	global_load_dwordx2 v[2:3], v11, s[16:17]
	v_and_b32_e32 v4, 0xff8, v4
	v_lshl_add_u32 v4, v1, 6, v4
	s_waitcnt vmcnt(0)
	ds_write_b64 v4, v[2:3]
.LBB91_4:
	s_or_b64 exec, exec, s[0:1]
	s_mul_i32 s1, s23, s11
	s_sub_i32 s1, s22, s1
	s_xor_b32 s0, s2, s7
	s_add_i32 s2, s23, 1
	s_sub_i32 s7, s1, s11
	s_load_dwordx4 s[16:19], s[4:5], 0x68
	s_load_dword s3, s[4:5], 0x78
	s_cmp_ge_u32 s1, s11
	s_cselect_b32 s2, s2, s23
	s_cselect_b32 s1, s7, s1
	s_add_i32 s7, s2, 1
	s_cmp_ge_u32 s1, s11
	s_cselect_b32 s1, s7, s2
	s_waitcnt lgkmcnt(0)
	s_abs_i32 s21, s19
	v_cvt_f32_u32_e32 v2, s21
	s_xor_b32 s1, s1, s0
	s_sub_i32 s2, s1, s0
	s_sub_i32 s0, 0, s21
	v_rcp_iflag_f32_e32 v2, v2
	s_add_i32 s11, s33, -1
	s_abs_i32 s7, s11
	v_mul_f32_e32 v2, 0x4f7ffffe, v2
	v_cvt_u32_f32_e32 v2, v2
	s_barrier
	v_readfirstlane_b32 s40, v2
	s_mul_i32 s0, s0, s40
	s_mul_hi_u32 s0, s40, s0
	s_add_i32 s40, s40, s0
	s_cmp_lt_i32 s3, 0
	s_mul_hi_u32 s12, s7, s40
	s_cbranch_scc0 .LBB91_6
; %bb.5:
	s_mul_i32 s0, s16, s30
	s_add_i32 s0, s2, s0
	s_mul_i32 s0, s0, s3
	s_sub_i32 s41, 1, s0
	s_mov_b64 s[0:1], 0
	s_branch .LBB91_7
.LBB91_6:
	s_mov_b64 s[0:1], -1
                                        ; implicit-def: $sgpr41
.LBB91_7:
	s_load_dwordx2 s[24:25], s[4:5], 0x28
	s_ashr_i32 s15, s11, 31
	s_andn2_b64 vcc, exec, s[0:1]
	s_ashr_i32 s19, s19, 31
	s_cbranch_vccnz .LBB91_9
; %bb.8:
	s_mul_i32 s0, s9, s16
	s_add_i32 s0, s0, s6
	s_mul_i32 s0, s0, s3
	s_add_i32 s41, s0, 1
.LBB91_9:
	s_load_dword s0, s[4:5], 0x38
	s_load_dwordx2 s[22:23], s[4:5], 0x0
	s_load_dwordx2 s[28:29], s[4:5], 0x18
	s_load_dword s11, s[4:5], 0x88
	s_xor_b32 s1, s15, s19
	s_waitcnt lgkmcnt(0)
	s_mul_i32 s26, s0, s10
	s_mul_i32 s0, s12, s21
	s_sub_i32 s0, s7, s0
	s_ashr_i32 s27, s26, 31
	s_add_i32 s3, s12, 1
	s_sub_i32 s6, s0, s21
	s_cmp_ge_u32 s0, s21
	s_cselect_b32 s3, s3, s12
	s_cselect_b32 s0, s6, s0
	s_add_i32 s6, s3, 1
	s_cmp_ge_u32 s0, s21
	s_cselect_b32 s0, s6, s3
	s_xor_b32 s0, s0, s1
	s_sub_i32 s12, s0, s1
	s_add_i32 s0, s33, 31
	s_ashr_i32 s1, s0, 31
	s_lshr_b32 s1, s1, 27
	s_add_i32 s0, s0, s1
	s_ashr_i32 s16, s0, 5
	v_lshrrev_b32_e32 v9, 6, v0
	v_cmp_gt_i32_e64 s[0:1], s16, v9
	v_mov_b32_e32 v16, 0xff7fffff
	s_mul_i32 s14, s2, s14
	v_lshrrev_b32_e32 v12, 4, v0
	v_lshlrev_b32_e32 v10, 5, v9
	v_mbcnt_lo_u32_b32 v13, -1, 0
	s_and_saveexec_b64 s[34:35], s[0:1]
	s_cbranch_execz .LBB91_21
; %bb.10:
	s_load_dwordx2 s[2:3], s[4:5], 0x10
	s_ashr_i32 s15, s14, 31
	s_sub_i32 s30, s12, s17
	s_lshl_b64 s[4:5], s[14:15], 1
	v_bfe_u32 v14, v0, 1, 5
	s_waitcnt lgkmcnt(0)
	s_add_u32 s2, s2, s4
	s_addc_u32 s3, s3, s5
	s_abs_i32 s15, s18
	v_cvt_f32_u32_e32 v2, s15
	v_mov_b32_e32 v5, s3
	s_sub_i32 s3, 0, s15
	v_lshlrev_b32_e32 v4, 4, v14
	v_rcp_iflag_f32_e32 v2, v2
	v_and_b32_e32 v3, 8, v11
	s_lshl_b64 s[4:5], s[26:27], 2
	s_add_u32 s4, s24, s4
	v_mul_f32_e32 v2, 0x4f7ffffe, v2
	v_cvt_u32_f32_e32 v2, v2
	v_cmp_eq_u32_e32 vcc, 0, v1
	v_lshlrev_b32_e32 v18, 6, v1
	v_and_b32_e32 v1, 60, v12
	v_mul_lo_u32 v6, s3, v2
	v_add_co_u32_e64 v4, s[2:3], s2, v4
	v_addc_co_u32_e64 v5, s[2:3], 0, v5, s[2:3]
	v_mul_hi_u32 v6, v2, v6
	v_add_co_u32_e64 v15, s[2:3], v4, v3
	v_subrev_u32_e32 v3, s33, v14
	v_add_u32_e32 v21, 1, v3
	v_lshlrev_b32_e32 v3, 2, v14
	s_addc_u32 s5, s25, s5
	v_lshl_or_b32 v3, v9, 7, v3
	v_mbcnt_hi_u32_b32 v24, -1, v13
	v_addc_co_u32_e64 v17, s[2:3], 0, v5, s[2:3]
	v_add_u32_e32 v19, v2, v6
	v_mov_b32_e32 v2, s5
	v_add_co_u32_e64 v1, s[4:5], s4, v1
	v_add_u32_e32 v22, 0x90, v3
	v_and_b32_e32 v3, 64, v24
	s_mov_b32 s43, s13
	v_cmp_neq_f32_e64 s[2:3], s42, 0
	v_addc_co_u32_e64 v2, s[4:5], 0, v2, s[4:5]
	v_lshlrev_b32_e32 v20, 5, v9
	v_mov_b32_e32 v23, 0xff7fffff
	s_mov_b64 s[36:37], 0
	v_xor_b32_e32 v25, 1, v24
	v_add_u32_e32 v26, 64, v3
	v_mov_b32_e32 v16, 0xff7fffff
	v_mov_b32_e32 v27, v9
	s_branch .LBB91_13
.LBB91_11:                              ;   in Loop: Header=BB91_13 Depth=1
	s_or_b64 exec, exec, s[38:39]
.LBB91_12:                              ;   in Loop: Header=BB91_13 Depth=1
	s_or_b64 exec, exec, s[6:7]
	v_add_co_u32_e64 v1, s[4:5], 8, v1
	v_add_u32_e32 v27, 2, v27
	v_addc_co_u32_e64 v2, s[4:5], 0, v2, s[4:5]
	v_cmp_le_i32_e64 s[4:5], s16, v27
	v_add_u32_e32 v20, 64, v20
	s_or_b64 s[36:37], s[4:5], s[36:37]
	v_add_u32_e32 v22, 0x100, v22
	s_andn2_b64 exec, exec, s[36:37]
	s_cbranch_execz .LBB91_20
.LBB91_13:                              ; =>This Inner Loop Header: Depth=1
	v_mul_hi_u32 v3, v20, s40
	s_waitcnt lgkmcnt(0)
	v_mul_lo_u32 v4, v3, s21
	v_add_u32_e32 v5, 1, v3
	v_sub_u32_e32 v4, v20, v4
	v_cmp_le_u32_e64 s[4:5], s21, v4
	v_cndmask_b32_e64 v3, v3, v5, s[4:5]
	v_subrev_u32_e32 v5, s21, v4
	v_cndmask_b32_e64 v4, v4, v5, s[4:5]
	v_add_u32_e32 v5, 1, v3
	v_cmp_le_u32_e64 s[4:5], s21, v4
	v_cndmask_b32_e64 v3, v3, v5, s[4:5]
	v_xor_b32_e32 v3, s19, v3
	v_subrev_u32_e32 v3, s19, v3
	v_add_u32_e32 v4, s41, v3
	v_sub_u32_e32 v5, 0, v4
	v_max_i32_e32 v5, v4, v5
	v_mul_hi_u32 v6, v5, v19
	v_ashrrev_i32_e32 v4, 31, v4
	v_cmp_ge_i32_e64 s[6:7], s30, v3
	v_mul_lo_u32 v6, v6, s15
	v_sub_u32_e32 v5, v5, v6
	v_subrev_u32_e32 v6, s15, v5
	v_cmp_le_u32_e64 s[4:5], s15, v5
	v_cndmask_b32_e64 v5, v5, v6, s[4:5]
	v_subrev_u32_e32 v6, s15, v5
	v_cmp_le_u32_e64 s[4:5], s15, v5
	v_cndmask_b32_e64 v5, v5, v6, s[4:5]
	v_xor_b32_e32 v5, v5, v4
	v_sub_u32_e32 v4, v5, v4
	v_cmp_ne_u32_e64 s[4:5], 0, v4
	s_and_b64 s[4:5], s[4:5], s[6:7]
	s_and_saveexec_b64 s[6:7], s[4:5]
	s_xor_b64 s[4:5], exec, s[6:7]
	s_cbranch_execz .LBB91_17
; %bb.14:                               ;   in Loop: Header=BB91_13 Depth=1
	s_and_saveexec_b64 s[6:7], vcc
; %bb.15:                               ;   in Loop: Header=BB91_13 Depth=1
	ds_write_b32 v22, v23
; %bb.16:                               ;   in Loop: Header=BB91_13 Depth=1
	s_or_b64 exec, exec, s[6:7]
.LBB91_17:                              ;   in Loop: Header=BB91_13 Depth=1
	s_andn2_saveexec_b64 s[6:7], s[4:5]
	s_cbranch_execz .LBB91_12
; %bb.18:                               ;   in Loop: Header=BB91_13 Depth=1
	global_load_dword v3, v[1:2], off
	s_waitcnt vmcnt(0)
	v_mad_i64_i32 v[3:4], s[4:5], v3, s43, 0
	v_lshlrev_b64 v[3:4], 1, v[3:4]
	v_add_co_u32_e64 v3, s[4:5], v15, v3
	v_addc_co_u32_e64 v4, s[4:5], v17, v4, s[4:5]
	global_load_dwordx2 v[7:8], v[3:4], off
	global_load_dwordx2 v[28:29], v[3:4], off offset:512
	global_load_dwordx2 v[33:34], v[3:4], off offset:1024
	global_load_dwordx2 v[35:36], v[3:4], off offset:1536
	global_load_dwordx2 v[37:38], v[3:4], off offset:2048
	global_load_dwordx2 v[51:52], v[3:4], off offset:2560
	global_load_dwordx2 v[5:6], v[3:4], off offset:3072
	s_nop 0
	global_load_dwordx2 v[3:4], v[3:4], off offset:3584
	ds_read_b64 v[30:31], v18
	v_cmp_lt_i32_e64 s[4:5], v25, v26
	s_waitcnt lgkmcnt(0)
	v_lshrrev_b32_e32 v32, 16, v30
	v_and_b32_e32 v30, 0xffff, v30
	v_lshrrev_b32_e32 v40, 16, v31
	v_and_b32_e32 v31, 0xffff, v31
	;;#ASMSTART
	v_cvt_f32_f16 v30, v30;
	;;#ASMEND
	;;#ASMSTART
	v_cvt_f32_f16 v39, v32;
	;;#ASMEND
	s_waitcnt vmcnt(7)
	v_lshrrev_b32_e32 v32, 16, v7
	v_and_b32_e32 v7, 0xffff, v7
	v_lshrrev_b32_e32 v42, 16, v8
	v_and_b32_e32 v8, 0xffff, v8
	s_waitcnt vmcnt(6)
	v_and_b32_e32 v56, 0xffff, v29
	v_lshrrev_b32_e32 v57, 16, v29
	;;#ASMSTART
	v_cvt_f32_f16 v29, v7;
	;;#ASMEND
	;;#ASMSTART
	v_cvt_f32_f16 v41, v32;
	;;#ASMEND
	;; [unrolled: 3-line block ×6, first 2 shown]
	ds_read_b64 v[7:8], v18 offset:8
	v_and_b32_e32 v43, 0xffff, v28
	v_lshrrev_b32_e32 v55, 16, v28
	s_waitcnt vmcnt(5)
	v_and_b32_e32 v50, 0xffff, v33
	v_lshrrev_b32_e32 v49, 16, v33
	s_waitcnt lgkmcnt(0)
	v_and_b32_e32 v28, 0xffff, v7
	;;#ASMSTART
	v_cvt_f32_f16 v28, v28;
	;;#ASMEND
	v_lshrrev_b32_e32 v7, 16, v7
	;;#ASMSTART
	v_cvt_f32_f16 v7, v7;
	;;#ASMEND
	;;#ASMSTART
	v_cvt_f32_f16 v33, v43;
	;;#ASMEND
	v_mul_f32_e32 v28, v28, v33
	v_fmac_f32_e32 v28, v30, v29
	;;#ASMSTART
	v_cvt_f32_f16 v29, v55;
	;;#ASMEND
	v_mul_f32_e32 v29, v7, v29
	v_and_b32_e32 v7, 0xffff, v8
	v_lshrrev_b32_e32 v30, 16, v8
	;;#ASMSTART
	v_cvt_f32_f16 v7, v7;
	;;#ASMEND
	;;#ASMSTART
	v_cvt_f32_f16 v33, v30;
	;;#ASMEND
	;; [unrolled: 3-line block ×3, first 2 shown]
	v_and_b32_e32 v47, 0xffff, v34
	v_lshrrev_b32_e32 v48, 16, v34
	v_mul_f32_e32 v30, v7, v8
	;;#ASMSTART
	v_cvt_f32_f16 v34, v57;
	;;#ASMEND
	ds_read_b64 v[7:8], v18 offset:16
	v_mul_f32_e32 v33, v33, v34
	v_fmac_f32_e32 v33, v31, v32
	s_waitcnt vmcnt(4)
	v_and_b32_e32 v45, 0xffff, v35
	v_lshrrev_b32_e32 v46, 16, v35
	s_waitcnt lgkmcnt(0)
	v_and_b32_e32 v31, 0xffff, v7
	v_lshrrev_b32_e32 v32, 16, v7
	;;#ASMSTART
	v_cvt_f32_f16 v7, v31;
	;;#ASMEND
	v_lshrrev_b32_e32 v43, 16, v36
	v_and_b32_e32 v44, 0xffff, v36
	s_waitcnt vmcnt(3)
	v_and_b32_e32 v40, 0xffff, v37
	v_fmac_f32_e32 v29, v39, v41
	v_lshrrev_b32_e32 v42, 16, v37
	v_lshrrev_b32_e32 v39, 16, v38
	v_and_b32_e32 v41, 0xffff, v38
	s_waitcnt vmcnt(2)
	v_and_b32_e32 v37, 0xffff, v51
	v_lshrrev_b32_e32 v38, 16, v51
	v_lshrrev_b32_e32 v35, 16, v52
	v_and_b32_e32 v36, 0xffff, v52
	v_fmac_f32_e32 v30, v53, v54
	s_waitcnt vmcnt(1)
	v_lshrrev_b32_e32 v51, 16, v5
	;;#ASMSTART
	v_cvt_f32_f16 v31, v32;
	;;#ASMEND
	;;#ASMSTART
	v_cvt_f32_f16 v32, v50;
	;;#ASMEND
	v_fmac_f32_e32 v28, v7, v32
	v_and_b32_e32 v54, 0xffff, v5
	v_lshrrev_b32_e32 v52, 16, v6
	v_and_b32_e32 v53, 0xffff, v6
	v_lshrrev_b32_e32 v6, 16, v8
	v_and_b32_e32 v7, 0xffff, v8
	;;#ASMSTART
	v_cvt_f32_f16 v5, v49;
	;;#ASMEND
	;;#ASMSTART
	v_cvt_f32_f16 v7, v7;
	;;#ASMEND
	;; [unrolled: 3-line block ×5, first 2 shown]
	v_fmac_f32_e32 v29, v31, v5
	ds_read_b64 v[5:6], v18 offset:24
	s_waitcnt vmcnt(0)
	v_lshrrev_b32_e32 v50, 16, v3
	v_and_b32_e32 v49, 0xffff, v3
	v_lshrrev_b32_e32 v47, 16, v4
	v_and_b32_e32 v48, 0xffff, v4
	s_waitcnt lgkmcnt(0)
	v_and_b32_e32 v3, 0xffff, v5
	v_lshrrev_b32_e32 v4, 16, v5
	v_fmac_f32_e32 v30, v7, v32
	v_fmac_f32_e32 v33, v8, v34
	v_lshrrev_b32_e32 v8, 16, v6
	v_and_b32_e32 v7, 0xffff, v6
	;;#ASMSTART
	v_cvt_f32_f16 v3, v3;
	;;#ASMEND
	;;#ASMSTART
	v_cvt_f32_f16 v5, v4;
	;;#ASMEND
	;; [unrolled: 3-line block ×8, first 2 shown]
	v_fmac_f32_e32 v28, v3, v4
	ds_read_b64 v[3:4], v18 offset:32
	v_fmac_f32_e32 v29, v5, v6
	v_fmac_f32_e32 v33, v8, v34
	;; [unrolled: 1-line block ×3, first 2 shown]
	v_cndmask_b32_e64 v31, v24, v25, s[4:5]
	s_waitcnt lgkmcnt(0)
	v_lshrrev_b32_e32 v6, 16, v3
	v_and_b32_e32 v3, 0xffff, v3
	v_lshrrev_b32_e32 v34, 16, v4
	v_and_b32_e32 v4, 0xffff, v4
	;;#ASMSTART
	v_cvt_f32_f16 v5, v3;
	;;#ASMEND
	;;#ASMSTART
	v_cvt_f32_f16 v6, v6;
	;;#ASMEND
	;;#ASMSTART
	v_cvt_f32_f16 v7, v40;
	;;#ASMEND
	;;#ASMSTART
	v_cvt_f32_f16 v8, v42;
	;;#ASMEND
	;;#ASMSTART
	v_cvt_f32_f16 v32, v4;
	;;#ASMEND
	;;#ASMSTART
	v_cvt_f32_f16 v34, v34;
	;;#ASMEND
	;;#ASMSTART
	v_cvt_f32_f16 v40, v41;
	;;#ASMEND
	;;#ASMSTART
	v_cvt_f32_f16 v39, v39;
	;;#ASMEND
	ds_read_b64 v[3:4], v18 offset:40
	v_fmac_f32_e32 v29, v6, v8
	v_fmac_f32_e32 v33, v34, v39
	v_fmac_f32_e32 v28, v5, v7
	v_fmac_f32_e32 v30, v32, v40
	s_waitcnt lgkmcnt(0)
	v_lshrrev_b32_e32 v6, 16, v3
	v_and_b32_e32 v3, 0xffff, v3
	v_lshrrev_b32_e32 v34, 16, v4
	v_and_b32_e32 v4, 0xffff, v4
	;;#ASMSTART
	v_cvt_f32_f16 v5, v3;
	;;#ASMEND
	;;#ASMSTART
	v_cvt_f32_f16 v6, v6;
	;;#ASMEND
	;;#ASMSTART
	v_cvt_f32_f16 v7, v37;
	;;#ASMEND
	;;#ASMSTART
	v_cvt_f32_f16 v8, v38;
	;;#ASMEND
	;;#ASMSTART
	v_cvt_f32_f16 v32, v4;
	;;#ASMEND
	;;#ASMSTART
	v_cvt_f32_f16 v34, v34;
	;;#ASMEND
	;;#ASMSTART
	v_cvt_f32_f16 v36, v36;
	;;#ASMEND
	;;#ASMSTART
	v_cvt_f32_f16 v35, v35;
	;;#ASMEND
	ds_read_b64 v[3:4], v18 offset:48
	v_fmac_f32_e32 v29, v6, v8
	v_fmac_f32_e32 v33, v34, v35
	v_fmac_f32_e32 v28, v5, v7
	v_fmac_f32_e32 v30, v32, v36
	;; [unrolled: 34-line block ×3, first 2 shown]
	s_waitcnt lgkmcnt(0)
	v_lshrrev_b32_e32 v5, 16, v3
	v_and_b32_e32 v3, 0xffff, v3
	v_lshrrev_b32_e32 v8, 16, v4
	v_and_b32_e32 v7, 0xffff, v4
	;;#ASMSTART
	v_cvt_f32_f16 v3, v3;
	;;#ASMEND
	;;#ASMSTART
	v_cvt_f32_f16 v4, v5;
	;;#ASMEND
	;; [unrolled: 3-line block ×4, first 2 shown]
	v_fmac_f32_e32 v28, v3, v5
	v_fmac_f32_e32 v29, v4, v6
	;;#ASMSTART
	v_cvt_f32_f16 v7, v7;
	;;#ASMEND
	;;#ASMSTART
	v_cvt_f32_f16 v8, v8;
	;;#ASMEND
	;; [unrolled: 3-line block ×3, first 2 shown]
	v_fmac_f32_e32 v30, v7, v32
	v_add_f32_e32 v3, v28, v29
	;;#ASMSTART
	v_cvt_f32_f16 v34, v47;
	;;#ASMEND
	v_fmac_f32_e32 v33, v8, v34
	v_add_f32_e32 v3, v3, v30
	v_add_f32_e32 v3, v33, v3
	v_lshlrev_b32_e32 v4, 2, v31
	ds_bpermute_b32 v4, v4, v3
	s_and_saveexec_b64 s[38:39], vcc
	s_cbranch_execz .LBB91_11
; %bb.19:                               ;   in Loop: Header=BB91_13 Depth=1
	v_add_u32_e32 v5, v21, v20
	v_cvt_f32_i32_e32 v5, v5
	s_waitcnt lgkmcnt(0)
	v_add_f32_e32 v3, v3, v4
	v_add_u32_e32 v6, v14, v20
	v_cmp_gt_i32_e64 s[4:5], s33, v6
	v_mul_f32_e32 v4, s42, v5
	v_cndmask_b32_e64 v4, 0, v4, s[2:3]
	v_fmac_f32_e32 v4, s31, v3
	v_cndmask_b32_e64 v3, 0, v4, s[4:5]
	ds_write_b32 v22, v3
	v_max_f32_e32 v3, v16, v16
	v_max_f32_e32 v3, v3, v4
	v_cndmask_b32_e64 v16, v16, v3, s[4:5]
	s_branch .LBB91_11
.LBB91_20:
	s_or_b64 exec, exec, s[36:37]
.LBB91_21:
	s_or_b64 exec, exec, s[34:35]
	v_mbcnt_hi_u32_b32 v1, -1, v13
	v_and_b32_e32 v8, 64, v1
	v_add_u32_e32 v15, 64, v8
	v_xor_b32_e32 v2, 32, v1
	v_cmp_lt_i32_e32 vcc, v2, v15
	v_cndmask_b32_e32 v2, v1, v2, vcc
	v_lshlrev_b32_e32 v2, 2, v2
	ds_bpermute_b32 v3, v2, v16
	v_xor_b32_e32 v5, 16, v1
	s_waitcnt lgkmcnt(1)
	v_max_f32_e32 v4, v16, v16
	v_cmp_lt_i32_e32 vcc, v5, v15
	v_xor_b32_e32 v6, 8, v1
	s_waitcnt lgkmcnt(0)
	v_max_f32_e32 v3, v3, v3
	v_max_f32_e32 v4, v4, v3
	v_cndmask_b32_e32 v3, v1, v5, vcc
	v_lshlrev_b32_e32 v3, 2, v3
	ds_bpermute_b32 v5, v3, v4
	v_cmp_lt_i32_e32 vcc, v6, v15
	v_xor_b32_e32 v7, 4, v1
	v_xor_b32_e32 v13, 2, v1
	s_waitcnt lgkmcnt(0)
	v_max_f32_e32 v5, v5, v5
	v_max_f32_e32 v5, v4, v5
	v_cndmask_b32_e32 v4, v1, v6, vcc
	v_lshlrev_b32_e32 v4, 2, v4
	ds_bpermute_b32 v6, v4, v5
	v_cmp_lt_i32_e32 vcc, v7, v15
	s_waitcnt lgkmcnt(0)
	v_max_f32_e32 v6, v6, v6
	v_max_f32_e32 v6, v5, v6
	v_cndmask_b32_e32 v5, v1, v7, vcc
	v_lshlrev_b32_e32 v5, 2, v5
	ds_bpermute_b32 v7, v5, v6
	v_cmp_lt_i32_e32 vcc, v13, v15
	s_waitcnt lgkmcnt(0)
	v_max_f32_e32 v7, v7, v7
	v_max_f32_e32 v7, v6, v7
	v_cndmask_b32_e32 v6, v1, v13, vcc
	v_lshlrev_b32_e32 v14, 2, v6
	ds_bpermute_b32 v16, v14, v7
	v_and_b32_e32 v13, 63, v0
	v_cmp_eq_u32_e32 vcc, 0, v13
	v_lshlrev_b32_e32 v6, 2, v9
	s_and_saveexec_b64 s[2:3], vcc
	s_cbranch_execz .LBB91_23
; %bb.22:
	s_waitcnt lgkmcnt(0)
	v_max_f32_e32 v16, v16, v16
	v_max_f32_e32 v7, v7, v7
	;; [unrolled: 1-line block ×3, first 2 shown]
	ds_write_b32 v6, v7 offset:128
.LBB91_23:
	s_or_b64 exec, exec, s[2:3]
	v_cmp_gt_u32_e64 s[2:3], 2, v13
	s_waitcnt lgkmcnt(0)
	v_mov_b32_e32 v16, 0xff7fffff
	v_lshlrev_b32_e32 v7, 2, v13
	s_barrier
	s_and_saveexec_b64 s[4:5], s[2:3]
; %bb.24:
	ds_read_b32 v16, v7 offset:128
; %bb.25:
	s_or_b64 exec, exec, s[4:5]
	v_xor_b32_e32 v17, 1, v1
	v_cmp_lt_i32_e64 s[4:5], v17, v15
	v_cndmask_b32_e64 v15, v1, v17, s[4:5]
	v_lshlrev_b32_e32 v15, 2, v15
	s_waitcnt lgkmcnt(0)
	ds_bpermute_b32 v17, v15, v16
	v_max_f32_e32 v16, v16, v16
	v_lshlrev_b32_e32 v8, 2, v8
	s_lshl_b32 s4, s16, 5
	s_min_i32 s15, s4, s33
	s_waitcnt lgkmcnt(0)
	v_max_f32_e32 v17, v17, v17
	v_max_f32_e32 v16, v16, v17
	ds_bpermute_b32 v16, v8, v16
	v_cmp_gt_i32_e64 s[4:5], s15, v0
	v_mov_b32_e32 v8, 0
	s_and_saveexec_b64 s[30:31], s[4:5]
	s_cbranch_execz .LBB91_29
; %bb.26:
	v_mov_b32_e32 v8, 0x90
	v_lshl_add_u32 v17, v0, 2, v8
	v_mov_b32_e32 v8, 0
	s_mov_b64 s[34:35], 0
	v_mov_b32_e32 v18, v0
.LBB91_27:                              ; =>This Inner Loop Header: Depth=1
	ds_read_b32 v19, v17
	v_add_u32_e32 v18, 0x80, v18
	v_cmp_le_i32_e64 s[6:7], s15, v18
	s_or_b64 s[34:35], s[6:7], s[34:35]
	s_waitcnt lgkmcnt(0)
	v_sub_f32_e32 v19, v19, v16
	v_mul_f32_e32 v19, 0x3fb8aa3b, v19
	v_exp_f32_e32 v19, v19
	ds_write_b32 v17, v19
	v_add_f32_e32 v8, v8, v19
	v_add_u32_e32 v17, 0x200, v17
	s_andn2_b64 exec, exec, s[34:35]
	s_cbranch_execnz .LBB91_27
; %bb.28:
	s_or_b64 exec, exec, s[34:35]
.LBB91_29:
	s_or_b64 exec, exec, s[30:31]
	ds_bpermute_b32 v2, v2, v8
	s_waitcnt lgkmcnt(0)
	v_add_f32_e32 v2, v8, v2
	ds_bpermute_b32 v3, v3, v2
	s_waitcnt lgkmcnt(0)
	v_add_f32_e32 v2, v2, v3
	;; [unrolled: 3-line block ×6, first 2 shown]
	s_and_saveexec_b64 s[6:7], vcc
; %bb.30:
	ds_write_b32 v6, v2 offset:136
; %bb.31:
	s_or_b64 exec, exec, s[6:7]
	s_waitcnt lgkmcnt(0)
	s_barrier
	s_and_saveexec_b64 s[6:7], s[2:3]
; %bb.32:
	ds_read_b32 v2, v7 offset:136
; %bb.33:
	s_or_b64 exec, exec, s[6:7]
	s_waitcnt lgkmcnt(0)
	ds_bpermute_b32 v3, v15, v2
	v_lshlrev_b32_e32 v1, 2, v1
	v_and_b32_e32 v1, 0x100, v1
	s_waitcnt lgkmcnt(0)
	v_add_f32_e32 v2, v2, v3
	ds_bpermute_b32 v1, v1, v2
	s_and_saveexec_b64 s[2:3], s[4:5]
	s_cbranch_execz .LBB91_36
; %bb.34:
	s_waitcnt lgkmcnt(0)
	v_add_f32_e32 v2, 0x358637bd, v1
	v_div_scale_f32 v1, s[4:5], v2, v2, 1.0
	v_div_scale_f32 v3, vcc, 1.0, v2, 1.0
	s_mov_b64 s[4:5], 0
	v_rcp_f32_e32 v4, v1
	v_fma_f32 v5, -v1, v4, 1.0
	v_fmac_f32_e32 v4, v5, v4
	v_mul_f32_e32 v5, v3, v4
	v_fma_f32 v6, -v1, v5, v3
	v_fmac_f32_e32 v5, v6, v4
	v_fma_f32 v1, -v1, v5, v3
	v_div_fmas_f32 v3, v1, v4, v5
	v_mov_b32_e32 v1, 0x90
	v_lshl_add_u32 v1, v0, 2, v1
	v_div_fixup_f32 v2, v3, v2, 1.0
	v_mov_b32_e32 v3, v0
.LBB91_35:                              ; =>This Inner Loop Header: Depth=1
	ds_read_b32 v4, v1
	v_add_u32_e32 v3, 0x80, v3
	v_cmp_le_i32_e32 vcc, s15, v3
	s_or_b64 s[4:5], vcc, s[4:5]
	s_waitcnt lgkmcnt(0)
	v_mul_f32_e32 v4, v2, v4
	ds_write_b32 v1, v4
	v_add_u32_e32 v1, 0x200, v1
	s_andn2_b64 exec, exec, s[4:5]
	s_cbranch_execnz .LBB91_35
.LBB91_36:
	s_or_b64 exec, exec, s[2:3]
	v_mov_b32_e32 v19, 0
	v_and_b32_e32 v16, 3, v0
	v_mov_b32_e32 v20, 0
	v_mov_b32_e32 v18, 0
	;; [unrolled: 1-line block ×3, first 2 shown]
	s_waitcnt lgkmcnt(0)
	s_barrier
	s_and_saveexec_b64 s[2:3], s[0:1]
	s_cbranch_execz .LBB91_50
; %bb.37:
	s_ashr_i32 s15, s14, 31
	s_sub_i32 s17, s12, s17
	s_lshl_b64 s[0:1], s[14:15], 1
	s_add_u32 s0, s28, s0
	s_addc_u32 s1, s29, s1
	s_abs_i32 s14, s18
	v_cvt_f32_u32_e32 v1, s14
	s_sub_i32 s4, 0, s14
	v_lshlrev_b32_e32 v2, 4, v0
	v_and_b32_e32 v2, 0x3f0, v2
	v_rcp_iflag_f32_e32 v1, v1
	v_and_b32_e32 v3, 60, v12
	s_add_i32 s18, s16, -1
	v_mov_b32_e32 v5, s1
	v_mul_f32_e32 v1, 0x4f7ffffe, v1
	v_cvt_u32_f32_e32 v1, v1
	v_add_co_u32_e32 v12, vcc, s0, v2
	s_lshl_b64 s[0:1], s[26:27], 2
	v_mul_lo_u32 v4, s4, v1
	s_add_u32 s0, s24, s0
	v_addc_co_u32_e32 v22, vcc, 0, v5, vcc
	v_mul_hi_u32 v4, v1, v4
	s_addc_u32 s1, s25, s1
	v_add_co_u32_e32 v5, vcc, s0, v3
	v_add_u32_e32 v23, v1, v4
	v_mov_b32_e32 v1, s1
	v_addc_co_u32_e32 v6, vcc, 0, v1, vcc
	v_lshlrev_b32_e32 v1, 5, v16
	v_lshl_or_b32 v1, v9, 7, v1
	v_and_b32_e32 v11, 24, v11
	s_mov_b32 s15, s13
	v_mov_b32_e32 v21, 0
	v_add_u32_e32 v24, 0x90, v1
	s_mov_b64 s[4:5], 0
	s_mov_b32 s24, 0xffff
	v_mov_b32_e32 v17, 0
	v_mov_b32_e32 v18, 0
	;; [unrolled: 1-line block ×4, first 2 shown]
	s_branch .LBB91_40
.LBB91_38:                              ;   in Loop: Header=BB91_40 Depth=1
	s_or_b64 exec, exec, s[12:13]
	v_add_f32_e32 v25, v41, v42
	v_add_f32_e32 v18, v18, v25
	;; [unrolled: 1-line block ×6, first 2 shown]
	v_lshlrev_b32_e32 v25, 16, v43
	v_and_or_b32 v1, v1, s24, v25
	v_lshlrev_b32_e32 v8, 16, v8
	v_lshlrev_b32_e32 v7, 16, v7
	v_and_or_b32 v2, v2, s24, v8
	v_and_or_b32 v3, v3, s24, v7
	;;#ASMSTART
	v_pk_mul_f16 v1, v34, v1;

	;;#ASMEND
	;;#ASMSTART
	v_pk_mul_f16 v2, v35, v2;

	;;#ASMEND
	;; [unrolled: 4-line block ×4, first 2 shown]
	;;#ASMSTART
	v_pk_add_f16 v1, v1, v2;

	;;#ASMEND
	;;#ASMSTART
	v_pk_add_f16 v1, v1, v3;

	;;#ASMEND
	;; [unrolled: 4-line block ×3, first 2 shown]
	v_lshrrev_b32_e32 v2, 16, v1
	v_and_b32_e32 v1, 0xffff, v1
	;;#ASMSTART
	v_cvt_f32_f16 v1, v1;
	;;#ASMEND
	;;#ASMSTART
	v_cvt_f32_f16 v2, v2;
	;;#ASMEND
	v_add_f32_e32 v1, v1, v2
	v_add_f32_e32 v17, v17, v1
.LBB91_39:                              ;   in Loop: Header=BB91_40 Depth=1
	s_or_b64 exec, exec, s[6:7]
	v_add_co_u32_e32 v5, vcc, 8, v5
	v_add_u32_e32 v9, 2, v9
	v_addc_co_u32_e32 v6, vcc, 0, v6, vcc
	v_cmp_le_i32_e32 vcc, s16, v9
	v_add_u32_e32 v10, 64, v10
	s_or_b64 s[4:5], vcc, s[4:5]
	v_add_u32_e32 v24, 0x100, v24
	s_andn2_b64 exec, exec, s[4:5]
	s_cbranch_execz .LBB91_49
.LBB91_40:                              ; =>This Inner Loop Header: Depth=1
	v_mul_hi_u32 v1, v10, s40
	v_mul_lo_u32 v2, v1, s21
	v_add_u32_e32 v3, 1, v1
	v_sub_u32_e32 v2, v10, v2
	v_cmp_le_u32_e32 vcc, s21, v2
	v_cndmask_b32_e32 v1, v1, v3, vcc
	v_subrev_u32_e32 v3, s21, v2
	v_cndmask_b32_e32 v2, v2, v3, vcc
	v_add_u32_e32 v3, 1, v1
	v_cmp_le_u32_e32 vcc, s21, v2
	v_cndmask_b32_e32 v1, v1, v3, vcc
	v_xor_b32_e32 v1, s19, v1
	v_subrev_u32_e32 v1, s19, v1
	v_add_u32_e32 v2, s41, v1
	v_sub_u32_e32 v3, 0, v2
	v_max_i32_e32 v3, v2, v3
	v_mul_hi_u32 v4, v3, v23
	v_ashrrev_i32_e32 v2, 31, v2
	v_cmp_lt_i32_e64 s[0:1], s17, v1
	v_mul_lo_u32 v4, v4, s14
	v_sub_u32_e32 v3, v3, v4
	v_subrev_u32_e32 v4, s14, v3
	v_cmp_le_u32_e32 vcc, s14, v3
	v_cndmask_b32_e32 v3, v3, v4, vcc
	v_subrev_u32_e32 v4, s14, v3
	v_cmp_le_u32_e32 vcc, s14, v3
	v_cndmask_b32_e32 v3, v3, v4, vcc
	v_xor_b32_e32 v3, v3, v2
	v_sub_u32_e32 v2, v3, v2
	v_cmp_eq_u32_e32 vcc, 0, v2
	s_or_b64 s[0:1], vcc, s[0:1]
	s_and_saveexec_b64 s[6:7], s[0:1]
	s_cbranch_execz .LBB91_39
; %bb.41:                               ;   in Loop: Header=BB91_40 Depth=1
	global_load_dword v7, v[5:6], off
	ds_read2_b64 v[1:4], v24 offset1:1
	ds_read2_b64 v[25:28], v24 offset0:2 offset1:3
	s_waitcnt lgkmcnt(1)
	;;#ASMSTART
	v_cvt_f16_f32 v33, v1;

	;;#ASMEND
	;;#ASMSTART
	v_cvt_f16_f32 v34, v2;

	;;#ASMEND
	;; [unrolled: 4-line block ×4, first 2 shown]
	s_waitcnt lgkmcnt(0)
	;;#ASMSTART
	v_cvt_f16_f32 v37, v25;

	;;#ASMEND
	;;#ASMSTART
	v_cvt_f16_f32 v38, v26;

	;;#ASMEND
	;; [unrolled: 4-line block ×4, first 2 shown]
	v_add_u32_e32 v25, v11, v10
	v_add_u32_e32 v32, 1, v25
	;; [unrolled: 1-line block ×8, first 2 shown]
	s_waitcnt vmcnt(0)
	v_mad_i64_i32 v[1:2], s[0:1], v7, s15, 0
	v_cmp_eq_u32_e64 s[0:1], s18, v9
	v_lshlrev_b64 v[1:2], 1, v[1:2]
	v_add_co_u32_e32 v7, vcc, v12, v1
	v_addc_co_u32_e32 v8, vcc, v22, v2, vcc
	global_load_dwordx4 v[1:4], v[7:8], off
	s_waitcnt vmcnt(0)
	v_lshrrev_b32_e32 v43, 16, v1
	v_lshrrev_b32_e32 v42, 16, v2
	;; [unrolled: 1-line block ×3, first 2 shown]
	s_and_saveexec_b64 s[12:13], s[0:1]
	s_cbranch_execz .LBB91_43
; %bb.42:                               ;   in Loop: Header=BB91_40 Depth=1
	v_cmp_gt_i32_e32 vcc, s33, v25
	v_cndmask_b32_e32 v1, 0, v1, vcc
	v_cmp_gt_i32_e32 vcc, s33, v32
	v_cndmask_b32_e32 v43, 0, v43, vcc
	;; [unrolled: 2-line block ×6, first 2 shown]
	v_cmp_gt_i32_e32 vcc, s33, v27
	v_cndmask_b32_sdwa v44, v21, v4, vcc dst_sel:DWORD dst_unused:UNUSED_PAD src0_sel:DWORD src1_sel:WORD_0
	v_and_b32_e32 v4, 0xffff0000, v4
	v_cmp_gt_i32_e32 vcc, s33, v26
	v_cndmask_b32_e32 v4, 0, v4, vcc
	v_or_b32_e32 v4, v44, v4
.LBB91_43:                              ;   in Loop: Header=BB91_40 Depth=1
	s_or_b64 exec, exec, s[12:13]
	v_and_b32_e32 v33, 0xffff, v33
	v_lshl_or_b32 v34, v34, 16, v33
	v_and_b32_e32 v33, 0xffff, v35
	v_lshl_or_b32 v35, v36, 16, v33
	v_and_b32_e32 v33, 0xffff, v37
	v_lshlrev_b32_e32 v37, 16, v43
	v_and_or_b32 v1, v1, s24, v37
	v_lshlrev_b32_e32 v37, 16, v42
	v_and_or_b32 v2, v2, s24, v37
	v_lshlrev_b32_e32 v37, 16, v41
	v_lshl_or_b32 v36, v38, 16, v33
	v_and_b32_e32 v33, 0xffff, v39
	v_and_or_b32 v3, v3, s24, v37
	;;#ASMSTART
	v_pk_mul_f16 v1, v34, v1;

	;;#ASMEND
	v_lshl_or_b32 v33, v40, 16, v33
	;;#ASMSTART
	v_pk_mul_f16 v2, v35, v2;

	;;#ASMEND
	;;#ASMSTART
	v_pk_mul_f16 v3, v36, v3;

	;;#ASMEND
	;;#ASMSTART
	v_pk_mul_f16 v4, v33, v4;

	;;#ASMEND
	;;#ASMSTART
	v_pk_add_f16 v1, v1, v2;

	;;#ASMEND
	;;#ASMSTART
	v_pk_add_f16 v1, v1, v3;

	;;#ASMEND
	;; [unrolled: 4-line block ×3, first 2 shown]
	v_lshrrev_b32_e32 v2, 16, v1
	v_and_b32_e32 v1, 0xffff, v1
	;;#ASMSTART
	v_cvt_f32_f16 v37, v1;
	;;#ASMEND
	;;#ASMSTART
	v_cvt_f32_f16 v38, v2;
	;;#ASMEND
	global_load_dwordx4 v[1:4], v[7:8], off offset:1024
	s_waitcnt vmcnt(0)
	v_lshrrev_b32_e32 v41, 16, v1
	v_lshrrev_b32_e32 v40, 16, v2
	;; [unrolled: 1-line block ×3, first 2 shown]
	s_and_saveexec_b64 s[12:13], s[0:1]
	s_cbranch_execz .LBB91_45
; %bb.44:                               ;   in Loop: Header=BB91_40 Depth=1
	v_cmp_gt_i32_e32 vcc, s33, v25
	v_cndmask_b32_e32 v1, 0, v1, vcc
	v_cmp_gt_i32_e32 vcc, s33, v32
	v_cndmask_b32_e32 v41, 0, v41, vcc
	;; [unrolled: 2-line block ×6, first 2 shown]
	v_cmp_gt_i32_e32 vcc, s33, v27
	v_cndmask_b32_sdwa v42, v21, v4, vcc dst_sel:DWORD dst_unused:UNUSED_PAD src0_sel:DWORD src1_sel:WORD_0
	v_and_b32_e32 v4, 0xffff0000, v4
	v_cmp_gt_i32_e32 vcc, s33, v26
	v_cndmask_b32_e32 v4, 0, v4, vcc
	v_or_b32_e32 v4, v42, v4
.LBB91_45:                              ;   in Loop: Header=BB91_40 Depth=1
	s_or_b64 exec, exec, s[12:13]
	v_lshlrev_b32_e32 v41, 16, v41
	v_and_or_b32 v1, v1, s24, v41
	v_lshlrev_b32_e32 v40, 16, v40
	v_lshlrev_b32_e32 v39, 16, v39
	v_and_or_b32 v2, v2, s24, v40
	v_and_or_b32 v3, v3, s24, v39
	;;#ASMSTART
	v_pk_mul_f16 v1, v34, v1;

	;;#ASMEND
	;;#ASMSTART
	v_pk_mul_f16 v2, v35, v2;

	;;#ASMEND
	;; [unrolled: 4-line block ×4, first 2 shown]
	;;#ASMSTART
	v_pk_add_f16 v1, v1, v2;

	;;#ASMEND
	;;#ASMSTART
	v_pk_add_f16 v1, v1, v3;

	;;#ASMEND
	;; [unrolled: 4-line block ×3, first 2 shown]
	v_lshrrev_b32_e32 v2, 16, v1
	v_and_b32_e32 v1, 0xffff, v1
	;;#ASMSTART
	v_cvt_f32_f16 v39, v1;
	;;#ASMEND
	;;#ASMSTART
	v_cvt_f32_f16 v40, v2;
	;;#ASMEND
	global_load_dwordx4 v[1:4], v[7:8], off offset:2048
	s_waitcnt vmcnt(0)
	v_lshrrev_b32_e32 v43, 16, v1
	v_lshrrev_b32_e32 v42, 16, v2
	;; [unrolled: 1-line block ×3, first 2 shown]
	s_and_saveexec_b64 s[12:13], s[0:1]
	s_cbranch_execz .LBB91_47
; %bb.46:                               ;   in Loop: Header=BB91_40 Depth=1
	v_cmp_gt_i32_e32 vcc, s33, v25
	v_cndmask_b32_e32 v1, 0, v1, vcc
	v_cmp_gt_i32_e32 vcc, s33, v32
	v_cndmask_b32_e32 v43, 0, v43, vcc
	;; [unrolled: 2-line block ×6, first 2 shown]
	v_cmp_gt_i32_e32 vcc, s33, v27
	v_cndmask_b32_sdwa v44, v21, v4, vcc dst_sel:DWORD dst_unused:UNUSED_PAD src0_sel:DWORD src1_sel:WORD_0
	v_and_b32_e32 v4, 0xffff0000, v4
	v_cmp_gt_i32_e32 vcc, s33, v26
	v_cndmask_b32_e32 v4, 0, v4, vcc
	v_or_b32_e32 v4, v44, v4
.LBB91_47:                              ;   in Loop: Header=BB91_40 Depth=1
	s_or_b64 exec, exec, s[12:13]
	v_lshlrev_b32_e32 v43, 16, v43
	v_and_or_b32 v1, v1, s24, v43
	v_lshlrev_b32_e32 v42, 16, v42
	v_lshlrev_b32_e32 v41, 16, v41
	v_and_or_b32 v2, v2, s24, v42
	v_and_or_b32 v3, v3, s24, v41
	;;#ASMSTART
	v_pk_mul_f16 v1, v34, v1;

	;;#ASMEND
	;;#ASMSTART
	v_pk_mul_f16 v2, v35, v2;

	;;#ASMEND
	;; [unrolled: 4-line block ×4, first 2 shown]
	;;#ASMSTART
	v_pk_add_f16 v1, v1, v2;

	;;#ASMEND
	;;#ASMSTART
	v_pk_add_f16 v1, v1, v3;

	;;#ASMEND
	;;#ASMSTART
	v_pk_add_f16 v1, v1, v4;

	;;#ASMEND
	v_lshrrev_b32_e32 v2, 16, v1
	v_and_b32_e32 v1, 0xffff, v1
	;;#ASMSTART
	v_cvt_f32_f16 v41, v1;
	;;#ASMEND
	;;#ASMSTART
	v_cvt_f32_f16 v42, v2;
	;;#ASMEND
	global_load_dwordx4 v[1:4], v[7:8], off offset:3072
	s_waitcnt vmcnt(0)
	v_lshrrev_b32_e32 v43, 16, v1
	v_lshrrev_b32_e32 v8, 16, v2
	;; [unrolled: 1-line block ×3, first 2 shown]
	s_and_saveexec_b64 s[12:13], s[0:1]
	s_cbranch_execz .LBB91_38
; %bb.48:                               ;   in Loop: Header=BB91_40 Depth=1
	v_cmp_gt_i32_e32 vcc, s33, v25
	v_cndmask_b32_e32 v1, 0, v1, vcc
	v_cmp_gt_i32_e32 vcc, s33, v32
	v_cndmask_b32_e32 v43, 0, v43, vcc
	;; [unrolled: 2-line block ×6, first 2 shown]
	v_cmp_gt_i32_e32 vcc, s33, v27
	v_cndmask_b32_sdwa v25, v21, v4, vcc dst_sel:DWORD dst_unused:UNUSED_PAD src0_sel:DWORD src1_sel:WORD_0
	v_and_b32_e32 v4, 0xffff0000, v4
	v_cmp_gt_i32_e32 vcc, s33, v26
	v_cndmask_b32_e32 v4, 0, v4, vcc
	v_or_b32_e32 v4, v25, v4
	s_branch .LBB91_38
.LBB91_49:
	s_or_b64 exec, exec, s[4:5]
.LBB91_50:
	s_or_b64 exec, exec, s[2:3]
	ds_bpermute_b32 v1, v14, v19
	ds_bpermute_b32 v2, v14, v20
	;; [unrolled: 1-line block ×4, first 2 shown]
	s_waitcnt lgkmcnt(0)
	v_add_f32_e32 v1, v19, v1
	v_add_f32_e32 v2, v20, v2
	ds_bpermute_b32 v5, v15, v1
	v_add_f32_e32 v7, v18, v3
	v_add_f32_e32 v9, v17, v4
	ds_bpermute_b32 v6, v15, v2
	ds_bpermute_b32 v8, v15, v7
	;; [unrolled: 1-line block ×3, first 2 shown]
	s_waitcnt lgkmcnt(3)
	v_add_f32_e32 v4, v1, v5
	v_and_b32_e32 v5, 0x3c3, v0
	s_waitcnt lgkmcnt(2)
	v_add_f32_e32 v3, v2, v6
	s_waitcnt lgkmcnt(1)
	v_add_f32_e32 v2, v7, v8
	;; [unrolled: 2-line block ×3, first 2 shown]
	v_cmp_eq_u32_e32 vcc, 64, v5
	s_barrier
	s_and_saveexec_b64 s[0:1], vcc
	s_cbranch_execz .LBB91_52
; %bb.51:
	v_add_u32_e32 v6, 0x90, v13
	ds_write2_b32 v6, v4, v3 offset1:16
	ds_write2_b32 v6, v2, v1 offset0:32 offset1:48
.LBB91_52:
	s_or_b64 exec, exec, s[0:1]
	v_cmp_gt_u32_e32 vcc, 64, v0
	v_lshrrev_b32_e32 v0, 2, v0
	s_waitcnt lgkmcnt(0)
	s_barrier
	s_and_saveexec_b64 s[0:1], vcc
	s_cbranch_execz .LBB91_59
; %bb.53:
	v_mov_b32_e32 v6, 0x90
	v_cmp_eq_u32_e32 vcc, 0, v16
	v_lshl_add_u32 v6, v0, 2, v6
	s_and_saveexec_b64 s[2:3], vcc
	s_cbranch_execnz .LBB91_62
; %bb.54:
	s_or_b64 exec, exec, s[2:3]
	s_and_saveexec_b64 s[2:3], vcc
	s_cbranch_execnz .LBB91_63
.LBB91_55:
	s_or_b64 exec, exec, s[2:3]
	s_and_saveexec_b64 s[2:3], vcc
	s_cbranch_execnz .LBB91_64
.LBB91_56:
	s_or_b64 exec, exec, s[2:3]
	s_and_saveexec_b64 s[2:3], vcc
	s_cbranch_execz .LBB91_58
.LBB91_57:
	ds_read_b32 v6, v6 offset:192
	s_waitcnt lgkmcnt(0)
	v_add_f32_e32 v1, v1, v6
.LBB91_58:
	s_or_b64 exec, exec, s[2:3]
.LBB91_59:
	s_or_b64 exec, exec, s[0:1]
	v_cmp_eq_u32_e32 vcc, 0, v5
	s_barrier
	s_and_saveexec_b64 s[0:1], vcc
	s_cbranch_execz .LBB91_61
; %bb.60:
	s_mul_i32 s0, s10, s11
	s_mul_i32 s0, s0, s9
	s_lshl_b32 s0, s0, 6
	s_ashr_i32 s1, s0, 31
	s_lshl_b64 s[0:1], s[0:1], 1
	s_add_u32 s2, s22, s0
	s_mul_i32 s0, s11, s20
	s_addc_u32 s3, s23, s1
	s_ashr_i32 s1, s0, 31
	s_lshl_b64 s[0:1], s[0:1], 1
	s_add_u32 s2, s2, s0
	s_addc_u32 s3, s3, s1
	s_lshl_b32 s0, s8, 6
	s_ashr_i32 s1, s0, 31
	s_lshl_b64 s[0:1], s[0:1], 1
	s_add_u32 s0, s2, s0
	s_addc_u32 s1, s3, s1
	v_lshlrev_b32_e32 v0, 1, v0
	;;#ASMSTART
	v_cvt_f16_f32 v4, v4;

	;;#ASMEND
	global_store_short v0, v4, s[0:1]
	;;#ASMSTART
	v_cvt_f16_f32 v3, v3;

	;;#ASMEND
	global_store_short v0, v3, s[0:1] offset:32
	;;#ASMSTART
	v_cvt_f16_f32 v2, v2;

	;;#ASMEND
	global_store_short v0, v2, s[0:1] offset:64
	;; [unrolled: 5-line block ×3, first 2 shown]
.LBB91_61:
	s_endpgm
.LBB91_62:
	ds_read_b32 v7, v6
	s_waitcnt lgkmcnt(0)
	v_add_f32_e32 v4, v4, v7
	s_or_b64 exec, exec, s[2:3]
	s_and_saveexec_b64 s[2:3], vcc
	s_cbranch_execz .LBB91_55
.LBB91_63:
	ds_read_b32 v7, v6 offset:64
	s_waitcnt lgkmcnt(0)
	v_add_f32_e32 v3, v3, v7
	s_or_b64 exec, exec, s[2:3]
	s_and_saveexec_b64 s[2:3], vcc
	s_cbranch_execz .LBB91_56
.LBB91_64:
	ds_read_b32 v7, v6 offset:128
	s_waitcnt lgkmcnt(0)
	v_add_f32_e32 v2, v2, v7
	s_or_b64 exec, exec, s[2:3]
	s_and_saveexec_b64 s[2:3], vcc
	s_cbranch_execnz .LBB91_57
	s_branch .LBB91_58
	.section	.rodata,"a",@progbits
	.p2align	6, 0x0
	.amdhsa_kernel _ZN4vllm25paged_attention_v1_kernelIttLi64ELi32ELi128ELNS_18Fp8KVCacheDataTypeE0ELb1EEEvPT_PKS2_PKT0_S8_ifPKiSA_iPKfiiiSC_SC_iiiii
		.amdhsa_group_segment_fixed_size 144
		.amdhsa_private_segment_fixed_size 0
		.amdhsa_kernarg_size 384
		.amdhsa_user_sgpr_count 6
		.amdhsa_user_sgpr_private_segment_buffer 1
		.amdhsa_user_sgpr_dispatch_ptr 0
		.amdhsa_user_sgpr_queue_ptr 0
		.amdhsa_user_sgpr_kernarg_segment_ptr 1
		.amdhsa_user_sgpr_dispatch_id 0
		.amdhsa_user_sgpr_flat_scratch_init 0
		.amdhsa_user_sgpr_private_segment_size 0
		.amdhsa_uses_dynamic_stack 0
		.amdhsa_system_sgpr_private_segment_wavefront_offset 0
		.amdhsa_system_sgpr_workgroup_id_x 1
		.amdhsa_system_sgpr_workgroup_id_y 1
		.amdhsa_system_sgpr_workgroup_id_z 1
		.amdhsa_system_sgpr_workgroup_info 0
		.amdhsa_system_vgpr_workitem_id 0
		.amdhsa_next_free_vgpr 58
		.amdhsa_next_free_sgpr 44
		.amdhsa_reserve_vcc 1
		.amdhsa_reserve_flat_scratch 0
		.amdhsa_float_round_mode_32 0
		.amdhsa_float_round_mode_16_64 0
		.amdhsa_float_denorm_mode_32 3
		.amdhsa_float_denorm_mode_16_64 3
		.amdhsa_dx10_clamp 1
		.amdhsa_ieee_mode 1
		.amdhsa_fp16_overflow 0
		.amdhsa_exception_fp_ieee_invalid_op 0
		.amdhsa_exception_fp_denorm_src 0
		.amdhsa_exception_fp_ieee_div_zero 0
		.amdhsa_exception_fp_ieee_overflow 0
		.amdhsa_exception_fp_ieee_underflow 0
		.amdhsa_exception_fp_ieee_inexact 0
		.amdhsa_exception_int_div_zero 0
	.end_amdhsa_kernel
	.section	.text._ZN4vllm25paged_attention_v1_kernelIttLi64ELi32ELi128ELNS_18Fp8KVCacheDataTypeE0ELb1EEEvPT_PKS2_PKT0_S8_ifPKiSA_iPKfiiiSC_SC_iiiii,"axG",@progbits,_ZN4vllm25paged_attention_v1_kernelIttLi64ELi32ELi128ELNS_18Fp8KVCacheDataTypeE0ELb1EEEvPT_PKS2_PKT0_S8_ifPKiSA_iPKfiiiSC_SC_iiiii,comdat
.Lfunc_end91:
	.size	_ZN4vllm25paged_attention_v1_kernelIttLi64ELi32ELi128ELNS_18Fp8KVCacheDataTypeE0ELb1EEEvPT_PKS2_PKT0_S8_ifPKiSA_iPKfiiiSC_SC_iiiii, .Lfunc_end91-_ZN4vllm25paged_attention_v1_kernelIttLi64ELi32ELi128ELNS_18Fp8KVCacheDataTypeE0ELb1EEEvPT_PKS2_PKT0_S8_ifPKiSA_iPKfiiiSC_SC_iiiii
                                        ; -- End function
	.set _ZN4vllm25paged_attention_v1_kernelIttLi64ELi32ELi128ELNS_18Fp8KVCacheDataTypeE0ELb1EEEvPT_PKS2_PKT0_S8_ifPKiSA_iPKfiiiSC_SC_iiiii.num_vgpr, 58
	.set _ZN4vllm25paged_attention_v1_kernelIttLi64ELi32ELi128ELNS_18Fp8KVCacheDataTypeE0ELb1EEEvPT_PKS2_PKT0_S8_ifPKiSA_iPKfiiiSC_SC_iiiii.num_agpr, 0
	.set _ZN4vllm25paged_attention_v1_kernelIttLi64ELi32ELi128ELNS_18Fp8KVCacheDataTypeE0ELb1EEEvPT_PKS2_PKT0_S8_ifPKiSA_iPKfiiiSC_SC_iiiii.numbered_sgpr, 44
	.set _ZN4vllm25paged_attention_v1_kernelIttLi64ELi32ELi128ELNS_18Fp8KVCacheDataTypeE0ELb1EEEvPT_PKS2_PKT0_S8_ifPKiSA_iPKfiiiSC_SC_iiiii.num_named_barrier, 0
	.set _ZN4vllm25paged_attention_v1_kernelIttLi64ELi32ELi128ELNS_18Fp8KVCacheDataTypeE0ELb1EEEvPT_PKS2_PKT0_S8_ifPKiSA_iPKfiiiSC_SC_iiiii.private_seg_size, 0
	.set _ZN4vllm25paged_attention_v1_kernelIttLi64ELi32ELi128ELNS_18Fp8KVCacheDataTypeE0ELb1EEEvPT_PKS2_PKT0_S8_ifPKiSA_iPKfiiiSC_SC_iiiii.uses_vcc, 1
	.set _ZN4vllm25paged_attention_v1_kernelIttLi64ELi32ELi128ELNS_18Fp8KVCacheDataTypeE0ELb1EEEvPT_PKS2_PKT0_S8_ifPKiSA_iPKfiiiSC_SC_iiiii.uses_flat_scratch, 0
	.set _ZN4vllm25paged_attention_v1_kernelIttLi64ELi32ELi128ELNS_18Fp8KVCacheDataTypeE0ELb1EEEvPT_PKS2_PKT0_S8_ifPKiSA_iPKfiiiSC_SC_iiiii.has_dyn_sized_stack, 0
	.set _ZN4vllm25paged_attention_v1_kernelIttLi64ELi32ELi128ELNS_18Fp8KVCacheDataTypeE0ELb1EEEvPT_PKS2_PKT0_S8_ifPKiSA_iPKfiiiSC_SC_iiiii.has_recursion, 0
	.set _ZN4vllm25paged_attention_v1_kernelIttLi64ELi32ELi128ELNS_18Fp8KVCacheDataTypeE0ELb1EEEvPT_PKS2_PKT0_S8_ifPKiSA_iPKfiiiSC_SC_iiiii.has_indirect_call, 0
	.section	.AMDGPU.csdata,"",@progbits
; Kernel info:
; codeLenInByte = 5720
; TotalNumSgprs: 48
; NumVgprs: 58
; ScratchSize: 0
; MemoryBound: 0
; FloatMode: 240
; IeeeMode: 1
; LDSByteSize: 144 bytes/workgroup (compile time only)
; SGPRBlocks: 5
; VGPRBlocks: 14
; NumSGPRsForWavesPerEU: 48
; NumVGPRsForWavesPerEU: 58
; Occupancy: 4
; WaveLimiterHint : 1
; COMPUTE_PGM_RSRC2:SCRATCH_EN: 0
; COMPUTE_PGM_RSRC2:USER_SGPR: 6
; COMPUTE_PGM_RSRC2:TRAP_HANDLER: 0
; COMPUTE_PGM_RSRC2:TGID_X_EN: 1
; COMPUTE_PGM_RSRC2:TGID_Y_EN: 1
; COMPUTE_PGM_RSRC2:TGID_Z_EN: 1
; COMPUTE_PGM_RSRC2:TIDIG_COMP_CNT: 0
	.section	.text._ZN4vllm25paged_attention_v1_kernelIttLi80ELi32ELi128ELNS_18Fp8KVCacheDataTypeE0ELb1EEEvPT_PKS2_PKT0_S8_ifPKiSA_iPKfiiiSC_SC_iiiii,"axG",@progbits,_ZN4vllm25paged_attention_v1_kernelIttLi80ELi32ELi128ELNS_18Fp8KVCacheDataTypeE0ELb1EEEvPT_PKS2_PKT0_S8_ifPKiSA_iPKfiiiSC_SC_iiiii,comdat
	.protected	_ZN4vllm25paged_attention_v1_kernelIttLi80ELi32ELi128ELNS_18Fp8KVCacheDataTypeE0ELb1EEEvPT_PKS2_PKT0_S8_ifPKiSA_iPKfiiiSC_SC_iiiii ; -- Begin function _ZN4vllm25paged_attention_v1_kernelIttLi80ELi32ELi128ELNS_18Fp8KVCacheDataTypeE0ELb1EEEvPT_PKS2_PKT0_S8_ifPKiSA_iPKfiiiSC_SC_iiiii
	.globl	_ZN4vllm25paged_attention_v1_kernelIttLi80ELi32ELi128ELNS_18Fp8KVCacheDataTypeE0ELb1EEEvPT_PKS2_PKT0_S8_ifPKiSA_iPKfiiiSC_SC_iiiii
	.p2align	8
	.type	_ZN4vllm25paged_attention_v1_kernelIttLi80ELi32ELi128ELNS_18Fp8KVCacheDataTypeE0ELb1EEEvPT_PKS2_PKT0_S8_ifPKiSA_iPKfiiiSC_SC_iiiii,@function
_ZN4vllm25paged_attention_v1_kernelIttLi80ELi32ELi128ELNS_18Fp8KVCacheDataTypeE0ELb1EEEvPT_PKS2_PKT0_S8_ifPKiSA_iPKfiiiSC_SC_iiiii: ; @_ZN4vllm25paged_attention_v1_kernelIttLi80ELi32ELi128ELNS_18Fp8KVCacheDataTypeE0ELb1EEEvPT_PKS2_PKT0_S8_ifPKiSA_iPKfiiiSC_SC_iiiii
; %bb.0:
	s_load_dword s9, s[4:5], 0x80
	s_load_dwordx2 s[0:1], s[4:5], 0x30
	s_load_dwordx2 s[30:31], s[4:5], 0x20
	s_mov_b32 s10, s7
	s_ashr_i32 s11, s7, 31
	s_lshl_b64 s[2:3], s[10:11], 2
	s_waitcnt lgkmcnt(0)
	s_add_u32 s0, s0, s2
	s_addc_u32 s1, s1, s3
	s_abs_i32 s2, s30
	v_cvt_f32_u32_e32 v1, s2
	s_sub_i32 s11, 0, s2
	s_abs_i32 s7, s9
	s_xor_b32 s3, s9, s30
	v_rcp_iflag_f32_e32 v1, v1
	s_ashr_i32 s3, s3, 31
	s_mov_b32 s42, 0
	v_mul_f32_e32 v1, 0x4f7ffffe, v1
	v_cvt_u32_f32_e32 v1, v1
	v_readfirstlane_b32 s12, v1
	s_mul_i32 s11, s11, s12
	s_mul_hi_u32 s11, s12, s11
	s_add_i32 s12, s12, s11
	s_mul_hi_u32 s11, s7, s12
	s_mul_i32 s12, s11, s2
	s_sub_i32 s7, s7, s12
	s_add_i32 s12, s11, 1
	s_sub_i32 s13, s7, s2
	s_cmp_ge_u32 s7, s2
	s_cselect_b32 s11, s12, s11
	s_cselect_b32 s7, s13, s7
	s_add_i32 s12, s11, 1
	s_cmp_ge_u32 s7, s2
	s_cselect_b32 s2, s12, s11
	s_xor_b32 s2, s2, s3
	s_sub_i32 s12, s2, s3
	s_abs_i32 s11, s12
	v_cvt_f32_u32_e32 v1, s11
	s_load_dwordx2 s[2:3], s[4:5], 0x40
	s_sub_i32 s7, 0, s11
	s_abs_i32 s22, s6
	v_rcp_iflag_f32_e32 v1, v1
	v_mul_f32_e32 v1, 0x4f7ffffe, v1
	v_cvt_u32_f32_e32 v1, v1
	v_readfirstlane_b32 s13, v1
	s_mul_i32 s7, s7, s13
	s_mul_hi_u32 s7, s13, s7
	s_add_i32 s13, s13, s7
	s_waitcnt lgkmcnt(0)
	s_cmp_eq_u64 s[2:3], 0
	s_mul_hi_u32 s23, s22, s13
	s_cbranch_scc1 .LBB92_2
; %bb.1:
	s_ashr_i32 s7, s6, 31
	s_lshl_b64 s[14:15], s[6:7], 2
	s_add_u32 s2, s2, s14
	s_addc_u32 s3, s3, s15
	s_load_dword s42, s[2:3], 0x0
.LBB92_2:
	s_load_dword s33, s[0:1], 0x0
	s_ashr_i32 s7, s12, 31
	s_load_dwordx4 s[12:15], s[4:5], 0x48
	s_ashr_i32 s2, s6, 31
	v_and_b32_e32 v1, 1, v0
	s_movk_i32 s3, 0x50
	s_mul_i32 s20, s6, 0x50
	v_cmp_gt_u32_e32 vcc, 20, v0
	v_lshlrev_b32_e32 v25, 3, v0
	s_and_saveexec_b64 s[0:1], vcc
	s_cbranch_execz .LBB92_4
; %bb.3:
	s_load_dwordx2 s[16:17], s[4:5], 0x8
	s_waitcnt lgkmcnt(0)
	s_mul_i32 s18, s12, s10
	s_ashr_i32 s19, s18, 31
	s_lshl_b64 s[18:19], s[18:19], 1
	v_lshlrev_b32_e32 v4, 2, v0
	s_add_u32 s12, s16, s18
	s_addc_u32 s15, s17, s19
	s_ashr_i32 s21, s20, 31
	s_lshl_b64 s[16:17], s[20:21], 1
	s_add_u32 s16, s12, s16
	s_addc_u32 s17, s15, s17
	global_load_dwordx2 v[2:3], v25, s[16:17]
	v_and_b32_e32 v4, 0xff8, v4
	v_mad_u32_u24 v4, v1, s3, v4
	s_waitcnt vmcnt(0)
	ds_write_b64 v4, v[2:3]
.LBB92_4:
	s_or_b64 exec, exec, s[0:1]
	s_mul_i32 s1, s23, s11
	s_sub_i32 s1, s22, s1
	s_xor_b32 s0, s2, s7
	s_add_i32 s2, s23, 1
	s_sub_i32 s7, s1, s11
	s_load_dwordx4 s[16:19], s[4:5], 0x68
	s_load_dword s3, s[4:5], 0x78
	s_cmp_ge_u32 s1, s11
	s_cselect_b32 s2, s2, s23
	s_cselect_b32 s1, s7, s1
	s_add_i32 s7, s2, 1
	s_cmp_ge_u32 s1, s11
	s_cselect_b32 s1, s7, s2
	s_waitcnt lgkmcnt(0)
	s_abs_i32 s21, s19
	v_cvt_f32_u32_e32 v2, s21
	s_xor_b32 s1, s1, s0
	s_sub_i32 s2, s1, s0
	s_sub_i32 s0, 0, s21
	v_rcp_iflag_f32_e32 v2, v2
	s_add_i32 s11, s33, -1
	s_abs_i32 s7, s11
	v_mul_f32_e32 v2, 0x4f7ffffe, v2
	v_cvt_u32_f32_e32 v2, v2
	s_barrier
	v_readfirstlane_b32 s40, v2
	s_mul_i32 s0, s0, s40
	s_mul_hi_u32 s0, s40, s0
	s_add_i32 s40, s40, s0
	s_cmp_lt_i32 s3, 0
	s_mul_hi_u32 s12, s7, s40
	s_cbranch_scc0 .LBB92_6
; %bb.5:
	s_mul_i32 s0, s16, s30
	s_add_i32 s0, s2, s0
	s_mul_i32 s0, s0, s3
	s_sub_i32 s41, 1, s0
	s_mov_b64 s[0:1], 0
	s_branch .LBB92_7
.LBB92_6:
	s_mov_b64 s[0:1], -1
                                        ; implicit-def: $sgpr41
.LBB92_7:
	s_load_dwordx2 s[24:25], s[4:5], 0x28
	s_ashr_i32 s15, s11, 31
	s_andn2_b64 vcc, exec, s[0:1]
	s_ashr_i32 s19, s19, 31
	s_cbranch_vccnz .LBB92_9
; %bb.8:
	s_mul_i32 s0, s9, s16
	s_add_i32 s0, s0, s6
	s_mul_i32 s0, s0, s3
	s_add_i32 s41, s0, 1
.LBB92_9:
	s_load_dword s0, s[4:5], 0x38
	s_load_dwordx2 s[22:23], s[4:5], 0x0
	s_load_dwordx2 s[28:29], s[4:5], 0x18
	s_load_dword s11, s[4:5], 0x88
	s_xor_b32 s1, s15, s19
	s_waitcnt lgkmcnt(0)
	s_mul_i32 s26, s0, s10
	s_mul_i32 s0, s12, s21
	s_sub_i32 s0, s7, s0
	s_ashr_i32 s27, s26, 31
	s_add_i32 s3, s12, 1
	s_sub_i32 s6, s0, s21
	s_cmp_ge_u32 s0, s21
	s_cselect_b32 s3, s3, s12
	s_cselect_b32 s0, s6, s0
	s_add_i32 s6, s3, 1
	s_cmp_ge_u32 s0, s21
	s_cselect_b32 s0, s6, s3
	s_xor_b32 s0, s0, s1
	s_sub_i32 s12, s0, s1
	s_add_i32 s0, s33, 31
	s_ashr_i32 s1, s0, 31
	s_lshr_b32 s1, s1, 27
	s_add_i32 s0, s0, s1
	s_ashr_i32 s16, s0, 5
	v_lshrrev_b32_e32 v23, 6, v0
	v_cmp_gt_i32_e64 s[0:1], s16, v23
	v_mov_b32_e32 v31, 0xff7fffff
	s_mul_i32 s14, s2, s14
	v_lshrrev_b32_e32 v26, 4, v0
	v_lshlrev_b32_e32 v24, 5, v23
	v_mbcnt_lo_u32_b32 v27, -1, 0
	s_and_saveexec_b64 s[34:35], s[0:1]
	s_cbranch_execz .LBB92_21
; %bb.10:
	s_load_dwordx2 s[2:3], s[4:5], 0x10
	s_ashr_i32 s15, s14, 31
	s_sub_i32 s30, s12, s17
	s_lshl_b64 s[4:5], s[14:15], 1
	v_bfe_u32 v28, v0, 1, 5
	s_waitcnt lgkmcnt(0)
	s_add_u32 s4, s2, s4
	s_addc_u32 s5, s3, s5
	s_abs_i32 s15, s18
	v_cvt_f32_u32_e32 v2, s15
	v_mov_b32_e32 v5, s5
	s_sub_i32 s5, 0, s15
	v_lshlrev_b32_e32 v4, 4, v28
	v_rcp_iflag_f32_e32 v2, v2
	v_add_co_u32_e32 v4, vcc, s4, v4
	v_and_b32_e32 v3, 8, v25
	v_mul_f32_e32 v2, 0x4f7ffffe, v2
	v_cvt_u32_f32_e32 v2, v2
	v_addc_co_u32_e32 v5, vcc, 0, v5, vcc
	v_add_co_u32_e32 v29, vcc, v4, v3
	v_mul_lo_u32 v6, s5, v2
	s_lshl_b64 s[6:7], s[26:27], 2
	v_subrev_u32_e32 v3, s33, v28
	s_add_u32 s6, s24, s6
	v_mul_hi_u32 v6, v2, v6
	v_add_u32_e32 v35, 1, v3
	v_lshlrev_b32_e32 v3, 2, v28
	v_cmp_eq_u32_e64 s[2:3], 0, v1
	v_addc_co_u32_e32 v30, vcc, 0, v5, vcc
	v_mul_u32_u24_e32 v32, 0x50, v1
	v_and_b32_e32 v1, 60, v26
	s_addc_u32 s7, s25, s7
	v_lshl_or_b32 v3, v23, 7, v3
	v_mbcnt_hi_u32_b32 v38, -1, v27
	v_add_u32_e32 v33, v2, v6
	v_mov_b32_e32 v2, s7
	v_add_co_u32_e32 v1, vcc, s6, v1
	v_add_u32_e32 v36, 0xb0, v3
	v_and_b32_e32 v3, 64, v38
	s_mov_b32 s43, s13
	v_cmp_neq_f32_e64 s[4:5], s42, 0
	v_addc_co_u32_e32 v2, vcc, 0, v2, vcc
	v_lshlrev_b32_e32 v34, 5, v23
	v_mov_b32_e32 v37, 0xff7fffff
	s_mov_b64 s[36:37], 0
	s_movk_i32 s44, 0x1000
	v_xor_b32_e32 v39, 1, v38
	v_add_u32_e32 v40, 64, v3
	v_mov_b32_e32 v31, 0xff7fffff
	v_mov_b32_e32 v41, v23
	s_branch .LBB92_13
.LBB92_11:                              ;   in Loop: Header=BB92_13 Depth=1
	s_or_b64 exec, exec, s[38:39]
.LBB92_12:                              ;   in Loop: Header=BB92_13 Depth=1
	s_or_b64 exec, exec, s[6:7]
	v_add_co_u32_e32 v1, vcc, 8, v1
	v_add_u32_e32 v41, 2, v41
	v_addc_co_u32_e32 v2, vcc, 0, v2, vcc
	v_cmp_le_i32_e32 vcc, s16, v41
	v_add_u32_e32 v34, 64, v34
	s_or_b64 s[36:37], vcc, s[36:37]
	v_add_u32_e32 v36, 0x100, v36
	s_andn2_b64 exec, exec, s[36:37]
	s_cbranch_execz .LBB92_20
.LBB92_13:                              ; =>This Inner Loop Header: Depth=1
	v_mul_hi_u32 v3, v34, s40
	s_waitcnt lgkmcnt(0)
	v_mul_lo_u32 v4, v3, s21
	v_add_u32_e32 v5, 1, v3
	v_sub_u32_e32 v4, v34, v4
	v_cmp_le_u32_e32 vcc, s21, v4
	v_cndmask_b32_e32 v3, v3, v5, vcc
	v_subrev_u32_e32 v5, s21, v4
	v_cndmask_b32_e32 v4, v4, v5, vcc
	v_add_u32_e32 v5, 1, v3
	v_cmp_le_u32_e32 vcc, s21, v4
	v_cndmask_b32_e32 v3, v3, v5, vcc
	v_xor_b32_e32 v3, s19, v3
	v_subrev_u32_e32 v3, s19, v3
	v_add_u32_e32 v4, s41, v3
	v_sub_u32_e32 v5, 0, v4
	v_max_i32_e32 v5, v4, v5
	v_mul_hi_u32 v6, v5, v33
	v_ashrrev_i32_e32 v4, 31, v4
	v_cmp_ge_i32_e64 s[6:7], s30, v3
	v_mul_lo_u32 v6, v6, s15
	v_sub_u32_e32 v5, v5, v6
	v_subrev_u32_e32 v6, s15, v5
	v_cmp_le_u32_e32 vcc, s15, v5
	v_cndmask_b32_e32 v5, v5, v6, vcc
	v_subrev_u32_e32 v6, s15, v5
	v_cmp_le_u32_e32 vcc, s15, v5
	v_cndmask_b32_e32 v5, v5, v6, vcc
	v_xor_b32_e32 v5, v5, v4
	v_sub_u32_e32 v4, v5, v4
	v_cmp_ne_u32_e32 vcc, 0, v4
	s_and_b64 s[6:7], vcc, s[6:7]
	s_and_saveexec_b64 s[38:39], s[6:7]
	s_xor_b64 s[6:7], exec, s[38:39]
	s_cbranch_execz .LBB92_17
; %bb.14:                               ;   in Loop: Header=BB92_13 Depth=1
	s_and_saveexec_b64 s[38:39], s[2:3]
; %bb.15:                               ;   in Loop: Header=BB92_13 Depth=1
	ds_write_b32 v36, v37
; %bb.16:                               ;   in Loop: Header=BB92_13 Depth=1
	s_or_b64 exec, exec, s[38:39]
.LBB92_17:                              ;   in Loop: Header=BB92_13 Depth=1
	s_andn2_saveexec_b64 s[6:7], s[6:7]
	s_cbranch_execz .LBB92_12
; %bb.18:                               ;   in Loop: Header=BB92_13 Depth=1
	global_load_dword v3, v[1:2], off
	s_waitcnt vmcnt(0)
	v_mad_i64_i32 v[3:4], s[38:39], v3, s43, 0
	v_lshlrev_b64 v[3:4], 1, v[3:4]
	v_add_co_u32_e32 v3, vcc, v29, v3
	v_addc_co_u32_e32 v4, vcc, v30, v4, vcc
	global_load_dwordx2 v[19:20], v[3:4], off
	global_load_dwordx2 v[21:22], v[3:4], off offset:512
	global_load_dwordx2 v[17:18], v[3:4], off offset:1024
	;; [unrolled: 1-line block ×5, first 2 shown]
	ds_read_b64 v[5:6], v32
	global_load_dwordx2 v[9:10], v[3:4], off offset:3072
	global_load_dwordx2 v[7:8], v[3:4], off offset:3584
	v_add_co_u32_e32 v42, vcc, s44, v3
	v_addc_co_u32_e32 v43, vcc, 0, v4, vcc
	s_waitcnt lgkmcnt(0)
	v_lshrrev_b32_e32 v44, 16, v5
	v_and_b32_e32 v45, 0xffff, v5
	v_lshrrev_b32_e32 v50, 16, v6
	v_and_b32_e32 v51, 0xffff, v6
	global_load_dwordx2 v[5:6], v[42:43], off
	global_load_dwordx2 v[3:4], v[42:43], off offset:512
	;;#ASMSTART
	v_cvt_f32_f16 v46, v45;
	;;#ASMEND
	;;#ASMSTART
	v_cvt_f32_f16 v47, v44;
	;;#ASMEND
	v_cmp_lt_i32_e32 vcc, v39, v40
	s_waitcnt vmcnt(9)
	v_lshrrev_b32_e32 v42, 16, v19
	v_and_b32_e32 v19, 0xffff, v19
	v_lshrrev_b32_e32 v43, 16, v20
	v_and_b32_e32 v20, 0xffff, v20
	;;#ASMSTART
	v_cvt_f32_f16 v48, v19;
	;;#ASMEND
	;;#ASMSTART
	v_cvt_f32_f16 v49, v42;
	;;#ASMEND
	;; [unrolled: 3-line block ×6, first 2 shown]
	ds_read_b64 v[19:20], v32 offset:8
	s_waitcnt vmcnt(8)
	v_and_b32_e32 v53, 0xffff, v22
	s_waitcnt vmcnt(7)
	v_and_b32_e32 v55, 0xffff, v17
	v_lshrrev_b32_e32 v22, 16, v22
	v_lshrrev_b32_e32 v52, 16, v18
	s_waitcnt lgkmcnt(0)
	v_and_b32_e32 v50, 0xffff, v19
	v_lshrrev_b32_e32 v19, 16, v19
	;;#ASMSTART
	v_cvt_f32_f16 v50, v50;
	;;#ASMEND
	;;#ASMSTART
	v_cvt_f32_f16 v51, v19;
	;;#ASMEND
	v_and_b32_e32 v19, 0xffff, v21
	v_lshrrev_b32_e32 v21, 16, v21
	;;#ASMSTART
	v_cvt_f32_f16 v19, v19;
	;;#ASMEND
	;;#ASMSTART
	v_cvt_f32_f16 v21, v21;
	;;#ASMEND
	v_mul_f32_e32 v19, v50, v19
	v_mul_f32_e32 v21, v51, v21
	v_fmac_f32_e32 v19, v46, v48
	v_fmac_f32_e32 v21, v47, v49
	s_waitcnt vmcnt(6)
	v_and_b32_e32 v50, 0xffff, v15
	v_lshrrev_b32_e32 v47, 16, v15
	v_and_b32_e32 v48, 0xffff, v16
	v_lshrrev_b32_e32 v49, 16, v16
	v_lshrrev_b32_e32 v16, 16, v20
	v_and_b32_e32 v15, 0xffff, v20
	v_lshrrev_b32_e32 v51, 16, v17
	;;#ASMSTART
	v_cvt_f32_f16 v15, v15;
	;;#ASMEND
	;;#ASMSTART
	v_cvt_f32_f16 v16, v16;
	;;#ASMEND
	;; [unrolled: 3-line block ×3, first 2 shown]
	v_mul_f32_e32 v15, v15, v17
	;;#ASMSTART
	v_cvt_f32_f16 v17, v22;
	;;#ASMEND
	ds_read_b64 v[53:54], v32 offset:16
	v_and_b32_e32 v46, 0xffff, v18
	v_mul_f32_e32 v16, v16, v17
	v_fmac_f32_e32 v15, v44, v45
	s_waitcnt vmcnt(5)
	v_and_b32_e32 v44, 0xffff, v13
	s_waitcnt lgkmcnt(0)
	v_and_b32_e32 v17, 0xffff, v53
	v_lshrrev_b32_e32 v18, 16, v53
	;;#ASMSTART
	v_cvt_f32_f16 v17, v17;
	;;#ASMEND
	;;#ASMSTART
	v_cvt_f32_f16 v18, v18;
	;;#ASMEND
	;; [unrolled: 3-line block ×3, first 2 shown]
	v_lshrrev_b32_e32 v22, 16, v13
	;;#ASMSTART
	v_cvt_f32_f16 v13, v51;
	;;#ASMEND
	v_fmac_f32_e32 v19, v17, v20
	s_waitcnt vmcnt(4)
	v_and_b32_e32 v17, 0xffff, v11
	v_fmac_f32_e32 v21, v18, v13
	v_lshrrev_b32_e32 v18, 16, v11
	v_lshrrev_b32_e32 v13, 16, v54
	v_and_b32_e32 v11, 0xffff, v54
	;;#ASMSTART
	v_cvt_f32_f16 v11, v11;
	;;#ASMEND
	;;#ASMSTART
	v_cvt_f32_f16 v20, v13;
	;;#ASMEND
	;; [unrolled: 3-line block ×3, first 2 shown]
	v_fmac_f32_e32 v16, v42, v43
	v_and_b32_e32 v42, 0xffff, v14
	v_lshrrev_b32_e32 v43, 16, v14
	;;#ASMSTART
	v_cvt_f32_f16 v51, v52;
	;;#ASMEND
	v_fmac_f32_e32 v15, v11, v13
	ds_read_b64 v[13:14], v32 offset:24
	v_lshrrev_b32_e32 v45, 16, v12
	v_and_b32_e32 v46, 0xffff, v12
	v_fmac_f32_e32 v16, v20, v51
	s_waitcnt vmcnt(3)
	v_and_b32_e32 v11, 0xffff, v9
	s_waitcnt lgkmcnt(0)
	v_and_b32_e32 v12, 0xffff, v13
	v_lshrrev_b32_e32 v13, 16, v13
	;;#ASMSTART
	v_cvt_f32_f16 v12, v12;
	;;#ASMEND
	;;#ASMSTART
	v_cvt_f32_f16 v20, v13;
	;;#ASMEND
	;; [unrolled: 3-line block ×4, first 2 shown]
	v_fmac_f32_e32 v21, v20, v47
	v_lshrrev_b32_e32 v20, 16, v14
	v_and_b32_e32 v14, 0xffff, v14
	;;#ASMSTART
	v_cvt_f32_f16 v14, v14;
	;;#ASMEND
	;;#ASMSTART
	v_cvt_f32_f16 v50, v20;
	;;#ASMEND
	;; [unrolled: 3-line block ×4, first 2 shown]
	ds_read_b64 v[47:48], v32 offset:32
	v_fmac_f32_e32 v19, v12, v13
	v_fmac_f32_e32 v16, v50, v49
	;; [unrolled: 1-line block ×3, first 2 shown]
	v_lshrrev_b32_e32 v9, 16, v9
	s_waitcnt lgkmcnt(0)
	v_and_b32_e32 v49, 0xffff, v47
	v_lshrrev_b32_e32 v50, 16, v47
	;;#ASMSTART
	v_cvt_f32_f16 v47, v49;
	;;#ASMEND
	;;#ASMSTART
	v_cvt_f32_f16 v49, v50;
	;;#ASMEND
	;;#ASMSTART
	v_cvt_f32_f16 v44, v44;
	;;#ASMEND
	v_fmac_f32_e32 v19, v47, v44
	v_lshrrev_b32_e32 v50, 16, v48
	v_and_b32_e32 v47, 0xffff, v48
	;;#ASMSTART
	v_cvt_f32_f16 v22, v22;
	;;#ASMEND
	;;#ASMSTART
	v_cvt_f32_f16 v47, v47;
	;;#ASMEND
	;; [unrolled: 3-line block ×5, first 2 shown]
	ds_read_b64 v[42:43], v32 offset:40
	v_fmac_f32_e32 v21, v49, v22
	v_fmac_f32_e32 v15, v47, v50
	;; [unrolled: 1-line block ×3, first 2 shown]
	v_lshrrev_b32_e32 v12, 16, v10
	s_waitcnt lgkmcnt(0)
	v_and_b32_e32 v47, 0xffff, v42
	v_lshrrev_b32_e32 v48, 16, v42
	v_lshrrev_b32_e32 v50, 16, v43
	v_and_b32_e32 v49, 0xffff, v43
	;;#ASMSTART
	v_cvt_f32_f16 v42, v47;
	;;#ASMEND
	;;#ASMSTART
	v_cvt_f32_f16 v43, v48;
	;;#ASMEND
	;; [unrolled: 3-line block ×8, first 2 shown]
	ds_read_b64 v[17:18], v32 offset:48
	v_and_b32_e32 v10, 0xffff, v10
	v_fmac_f32_e32 v19, v42, v47
	v_fmac_f32_e32 v21, v43, v48
	;; [unrolled: 1-line block ×3, first 2 shown]
	s_waitcnt lgkmcnt(0)
	v_lshrrev_b32_e32 v42, 16, v17
	v_and_b32_e32 v17, 0xffff, v17
	v_lshrrev_b32_e32 v45, 16, v18
	v_and_b32_e32 v43, 0xffff, v18
	v_fmac_f32_e32 v15, v49, v46
	;;#ASMSTART
	v_cvt_f32_f16 v17, v17;
	;;#ASMEND
	;;#ASMSTART
	v_cvt_f32_f16 v18, v42;
	;;#ASMEND
	;; [unrolled: 3-line block ×8, first 2 shown]
	ds_read_b64 v[9:10], v32 offset:56
	s_waitcnt vmcnt(2)
	v_lshrrev_b32_e32 v13, 16, v7
	v_and_b32_e32 v7, 0xffff, v7
	v_lshrrev_b32_e32 v14, 16, v8
	v_and_b32_e32 v8, 0xffff, v8
	v_fmac_f32_e32 v19, v17, v11
	v_fmac_f32_e32 v21, v18, v42
	s_waitcnt lgkmcnt(0)
	v_lshrrev_b32_e32 v11, 16, v9
	v_and_b32_e32 v9, 0xffff, v9
	v_lshrrev_b32_e32 v17, 16, v10
	v_and_b32_e32 v18, 0xffff, v10
	v_fmac_f32_e32 v16, v45, v12
	;;#ASMSTART
	v_cvt_f32_f16 v9, v9;
	;;#ASMEND
	;;#ASMSTART
	v_cvt_f32_f16 v10, v11;
	;;#ASMEND
	;; [unrolled: 3-line block ×8, first 2 shown]
	ds_read_b64 v[7:8], v32 offset:64
	v_fmac_f32_e32 v15, v43, v46
	s_waitcnt vmcnt(1)
	v_lshrrev_b32_e32 v20, 16, v5
	v_and_b32_e32 v5, 0xffff, v5
	v_fmac_f32_e32 v21, v10, v12
	v_fmac_f32_e32 v15, v13, v18
	s_waitcnt lgkmcnt(0)
	v_lshrrev_b32_e32 v10, 16, v7
	v_and_b32_e32 v7, 0xffff, v7
	v_lshrrev_b32_e32 v13, 16, v8
	v_and_b32_e32 v8, 0xffff, v8
	;; [unrolled: 2-line block ×3, first 2 shown]
	v_fmac_f32_e32 v19, v9, v11
	v_fmac_f32_e32 v16, v17, v14
	;;#ASMSTART
	v_cvt_f32_f16 v9, v7;
	;;#ASMEND
	;;#ASMSTART
	v_cvt_f32_f16 v10, v10;
	;;#ASMEND
	;; [unrolled: 3-line block ×8, first 2 shown]
	ds_read_b64 v[7:8], v32 offset:72
	s_waitcnt vmcnt(0)
	v_lshrrev_b32_e32 v6, 16, v3
	v_and_b32_e32 v3, 0xffff, v3
	v_fmac_f32_e32 v19, v9, v5
	v_fmac_f32_e32 v21, v10, v11
	s_waitcnt lgkmcnt(0)
	v_and_b32_e32 v5, 0xffff, v7
	v_lshrrev_b32_e32 v9, 16, v7
	;;#ASMSTART
	v_cvt_f32_f16 v5, v5;
	;;#ASMEND
	;;#ASMSTART
	v_cvt_f32_f16 v7, v9;
	;;#ASMEND
	;; [unrolled: 3-line block ×4, first 2 shown]
	v_fmac_f32_e32 v15, v12, v14
	v_lshrrev_b32_e32 v10, 16, v8
	v_and_b32_e32 v8, 0xffff, v8
	v_fmac_f32_e32 v19, v5, v3
	v_fmac_f32_e32 v21, v7, v6
	;;#ASMSTART
	v_cvt_f32_f16 v3, v8;
	;;#ASMEND
	v_lshrrev_b32_e32 v6, 16, v4
	v_and_b32_e32 v4, 0xffff, v4
	v_fmac_f32_e32 v16, v13, v17
	;;#ASMSTART
	v_cvt_f32_f16 v5, v10;
	;;#ASMEND
	;;#ASMSTART
	v_cvt_f32_f16 v4, v4;
	;;#ASMEND
	v_fmac_f32_e32 v15, v3, v4
	v_add_f32_e32 v3, v19, v21
	;;#ASMSTART
	v_cvt_f32_f16 v6, v6;
	;;#ASMEND
	v_fmac_f32_e32 v16, v5, v6
	v_add_f32_e32 v3, v3, v15
	v_cndmask_b32_e32 v4, v38, v39, vcc
	v_add_f32_e32 v3, v16, v3
	v_lshlrev_b32_e32 v4, 2, v4
	ds_bpermute_b32 v4, v4, v3
	s_and_saveexec_b64 s[38:39], s[2:3]
	s_cbranch_execz .LBB92_11
; %bb.19:                               ;   in Loop: Header=BB92_13 Depth=1
	v_add_u32_e32 v5, v35, v34
	v_cvt_f32_i32_e32 v5, v5
	s_waitcnt lgkmcnt(0)
	v_add_f32_e32 v3, v3, v4
	v_add_u32_e32 v6, v28, v34
	v_cmp_gt_i32_e32 vcc, s33, v6
	v_mul_f32_e32 v4, s42, v5
	v_cndmask_b32_e64 v4, 0, v4, s[4:5]
	v_fmac_f32_e32 v4, s31, v3
	v_cndmask_b32_e32 v3, 0, v4, vcc
	ds_write_b32 v36, v3
	v_max_f32_e32 v3, v31, v31
	v_max_f32_e32 v3, v3, v4
	v_cndmask_b32_e32 v31, v31, v3, vcc
	s_branch .LBB92_11
.LBB92_20:
	s_or_b64 exec, exec, s[36:37]
.LBB92_21:
	s_or_b64 exec, exec, s[34:35]
	v_mbcnt_hi_u32_b32 v1, -1, v27
	v_and_b32_e32 v8, 64, v1
	v_add_u32_e32 v11, 64, v8
	v_xor_b32_e32 v2, 32, v1
	v_cmp_lt_i32_e32 vcc, v2, v11
	v_cndmask_b32_e32 v2, v1, v2, vcc
	v_lshlrev_b32_e32 v2, 2, v2
	ds_bpermute_b32 v3, v2, v31
	v_xor_b32_e32 v5, 16, v1
	s_waitcnt lgkmcnt(1)
	v_max_f32_e32 v4, v31, v31
	v_cmp_lt_i32_e32 vcc, v5, v11
	v_xor_b32_e32 v6, 8, v1
	s_waitcnt lgkmcnt(0)
	v_max_f32_e32 v3, v3, v3
	v_max_f32_e32 v4, v4, v3
	v_cndmask_b32_e32 v3, v1, v5, vcc
	v_lshlrev_b32_e32 v3, 2, v3
	ds_bpermute_b32 v5, v3, v4
	v_cmp_lt_i32_e32 vcc, v6, v11
	v_xor_b32_e32 v7, 4, v1
	v_xor_b32_e32 v9, 2, v1
	s_waitcnt lgkmcnt(0)
	v_max_f32_e32 v5, v5, v5
	v_max_f32_e32 v5, v4, v5
	v_cndmask_b32_e32 v4, v1, v6, vcc
	v_lshlrev_b32_e32 v4, 2, v4
	ds_bpermute_b32 v6, v4, v5
	v_cmp_lt_i32_e32 vcc, v7, v11
	s_waitcnt lgkmcnt(0)
	v_max_f32_e32 v6, v6, v6
	v_max_f32_e32 v6, v5, v6
	v_cndmask_b32_e32 v5, v1, v7, vcc
	v_lshlrev_b32_e32 v5, 2, v5
	ds_bpermute_b32 v7, v5, v6
	v_cmp_lt_i32_e32 vcc, v9, v11
	s_waitcnt lgkmcnt(0)
	v_max_f32_e32 v7, v7, v7
	v_max_f32_e32 v7, v6, v7
	v_cndmask_b32_e32 v6, v1, v9, vcc
	v_lshlrev_b32_e32 v10, 2, v6
	ds_bpermute_b32 v12, v10, v7
	v_and_b32_e32 v9, 63, v0
	v_cmp_eq_u32_e32 vcc, 0, v9
	v_lshlrev_b32_e32 v6, 2, v23
	s_and_saveexec_b64 s[2:3], vcc
	s_cbranch_execz .LBB92_23
; %bb.22:
	s_waitcnt lgkmcnt(0)
	v_max_f32_e32 v12, v12, v12
	v_max_f32_e32 v7, v7, v7
	;; [unrolled: 1-line block ×3, first 2 shown]
	ds_write_b32 v6, v7 offset:160
.LBB92_23:
	s_or_b64 exec, exec, s[2:3]
	v_cmp_gt_u32_e64 s[2:3], 2, v9
	s_waitcnt lgkmcnt(0)
	v_mov_b32_e32 v12, 0xff7fffff
	v_lshlrev_b32_e32 v7, 2, v9
	s_barrier
	s_and_saveexec_b64 s[4:5], s[2:3]
; %bb.24:
	ds_read_b32 v12, v7 offset:160
; %bb.25:
	s_or_b64 exec, exec, s[4:5]
	v_xor_b32_e32 v13, 1, v1
	v_cmp_lt_i32_e64 s[4:5], v13, v11
	v_cndmask_b32_e64 v11, v1, v13, s[4:5]
	v_lshlrev_b32_e32 v11, 2, v11
	s_waitcnt lgkmcnt(0)
	ds_bpermute_b32 v13, v11, v12
	v_max_f32_e32 v12, v12, v12
	v_lshlrev_b32_e32 v8, 2, v8
	s_lshl_b32 s4, s16, 5
	s_min_i32 s15, s4, s33
	s_waitcnt lgkmcnt(0)
	v_max_f32_e32 v13, v13, v13
	v_max_f32_e32 v12, v12, v13
	ds_bpermute_b32 v12, v8, v12
	v_cmp_gt_i32_e64 s[4:5], s15, v0
	v_mov_b32_e32 v8, 0
	s_and_saveexec_b64 s[30:31], s[4:5]
	s_cbranch_execz .LBB92_29
; %bb.26:
	v_mov_b32_e32 v8, 0xb0
	v_lshl_add_u32 v13, v0, 2, v8
	v_mov_b32_e32 v8, 0
	s_mov_b64 s[34:35], 0
	v_mov_b32_e32 v14, v0
.LBB92_27:                              ; =>This Inner Loop Header: Depth=1
	ds_read_b32 v15, v13
	v_add_u32_e32 v14, 0x80, v14
	v_cmp_le_i32_e64 s[6:7], s15, v14
	s_or_b64 s[34:35], s[6:7], s[34:35]
	s_waitcnt lgkmcnt(0)
	v_sub_f32_e32 v15, v15, v12
	v_mul_f32_e32 v15, 0x3fb8aa3b, v15
	v_exp_f32_e32 v15, v15
	ds_write_b32 v13, v15
	v_add_f32_e32 v8, v8, v15
	v_add_u32_e32 v13, 0x200, v13
	s_andn2_b64 exec, exec, s[34:35]
	s_cbranch_execnz .LBB92_27
; %bb.28:
	s_or_b64 exec, exec, s[34:35]
.LBB92_29:
	s_or_b64 exec, exec, s[30:31]
	ds_bpermute_b32 v2, v2, v8
	s_waitcnt lgkmcnt(0)
	v_add_f32_e32 v2, v8, v2
	ds_bpermute_b32 v3, v3, v2
	s_waitcnt lgkmcnt(0)
	v_add_f32_e32 v2, v2, v3
	ds_bpermute_b32 v3, v4, v2
	s_waitcnt lgkmcnt(0)
	v_add_f32_e32 v2, v2, v3
	ds_bpermute_b32 v3, v5, v2
	s_waitcnt lgkmcnt(0)
	v_add_f32_e32 v2, v2, v3
	ds_bpermute_b32 v3, v10, v2
	s_waitcnt lgkmcnt(0)
	v_add_f32_e32 v2, v2, v3
	ds_bpermute_b32 v3, v11, v2
	s_waitcnt lgkmcnt(0)
	v_add_f32_e32 v2, v2, v3
	s_and_saveexec_b64 s[6:7], vcc
; %bb.30:
	ds_write_b32 v6, v2 offset:168
; %bb.31:
	s_or_b64 exec, exec, s[6:7]
	s_waitcnt lgkmcnt(0)
	s_barrier
	s_and_saveexec_b64 s[6:7], s[2:3]
; %bb.32:
	ds_read_b32 v2, v7 offset:168
; %bb.33:
	s_or_b64 exec, exec, s[6:7]
	s_waitcnt lgkmcnt(0)
	ds_bpermute_b32 v3, v11, v2
	v_lshlrev_b32_e32 v1, 2, v1
	v_and_b32_e32 v1, 0x100, v1
	s_waitcnt lgkmcnt(0)
	v_add_f32_e32 v2, v2, v3
	ds_bpermute_b32 v1, v1, v2
	s_and_saveexec_b64 s[2:3], s[4:5]
	s_cbranch_execz .LBB92_36
; %bb.34:
	s_waitcnt lgkmcnt(0)
	v_add_f32_e32 v2, 0x358637bd, v1
	v_div_scale_f32 v1, s[4:5], v2, v2, 1.0
	v_div_scale_f32 v3, vcc, 1.0, v2, 1.0
	s_mov_b64 s[4:5], 0
	v_rcp_f32_e32 v4, v1
	v_fma_f32 v5, -v1, v4, 1.0
	v_fmac_f32_e32 v4, v5, v4
	v_mul_f32_e32 v5, v3, v4
	v_fma_f32 v6, -v1, v5, v3
	v_fmac_f32_e32 v5, v6, v4
	v_fma_f32 v1, -v1, v5, v3
	v_div_fmas_f32 v3, v1, v4, v5
	v_mov_b32_e32 v1, 0xb0
	v_lshl_add_u32 v1, v0, 2, v1
	v_div_fixup_f32 v2, v3, v2, 1.0
	v_mov_b32_e32 v3, v0
.LBB92_35:                              ; =>This Inner Loop Header: Depth=1
	ds_read_b32 v4, v1
	v_add_u32_e32 v3, 0x80, v3
	v_cmp_le_i32_e32 vcc, s15, v3
	s_or_b64 s[4:5], vcc, s[4:5]
	s_waitcnt lgkmcnt(0)
	v_mul_f32_e32 v4, v2, v4
	ds_write_b32 v1, v4
	v_add_u32_e32 v1, 0x200, v1
	s_andn2_b64 exec, exec, s[4:5]
	s_cbranch_execnz .LBB92_35
.LBB92_36:
	s_or_b64 exec, exec, s[2:3]
	v_mov_b32_e32 v17, 0
	v_and_b32_e32 v12, 3, v0
	v_mov_b32_e32 v18, 0
	v_mov_b32_e32 v15, 0
	;; [unrolled: 1-line block ×4, first 2 shown]
	s_waitcnt lgkmcnt(0)
	s_barrier
	s_and_saveexec_b64 s[2:3], s[0:1]
	s_cbranch_execz .LBB92_52
; %bb.37:
	s_ashr_i32 s15, s14, 31
	s_sub_i32 s17, s12, s17
	s_lshl_b64 s[0:1], s[14:15], 1
	s_add_u32 s0, s28, s0
	s_addc_u32 s1, s29, s1
	s_abs_i32 s14, s18
	v_cvt_f32_u32_e32 v1, s14
	s_sub_i32 s4, 0, s14
	v_lshlrev_b32_e32 v2, 4, v0
	v_and_b32_e32 v2, 0x3f0, v2
	v_rcp_iflag_f32_e32 v1, v1
	s_add_i32 s18, s16, -1
	v_mov_b32_e32 v5, s1
	v_add_co_u32_e32 v20, vcc, s0, v2
	v_mul_f32_e32 v1, 0x4f7ffffe, v1
	v_cvt_u32_f32_e32 v1, v1
	s_lshl_b64 s[0:1], s[26:27], 2
	s_add_u32 s0, s24, s0
	v_and_b32_e32 v3, 60, v26
	v_mul_lo_u32 v4, s4, v1
	v_addc_co_u32_e32 v21, vcc, 0, v5, vcc
	s_addc_u32 s1, s25, s1
	v_mul_hi_u32 v4, v1, v4
	v_add_co_u32_e32 v5, vcc, s0, v3
	v_and_b32_e32 v16, 24, v25
	v_add_u32_e32 v22, v1, v4
	v_mov_b32_e32 v1, s1
	v_addc_co_u32_e32 v6, vcc, 0, v1, vcc
	v_lshlrev_b32_e32 v1, 5, v12
	v_lshl_or_b32 v1, v23, 7, v1
	s_mov_b32 s15, s13
	v_mov_b32_e32 v19, 0
	v_add_u32_e32 v25, 0xb0, v1
	s_mov_b64 s[4:5], 0
	s_mov_b32 s24, 0xffff
	v_mov_b32_e32 v13, 0
	v_mov_b32_e32 v14, 0
	;; [unrolled: 1-line block ×5, first 2 shown]
	s_branch .LBB92_40
.LBB92_38:                              ;   in Loop: Header=BB92_40 Depth=1
	s_or_b64 exec, exec, s[12:13]
	v_add_f32_e32 v26, v44, v45
	v_add_f32_e32 v14, v14, v26
	;; [unrolled: 1-line block ×8, first 2 shown]
	v_lshlrev_b32_e32 v26, 16, v46
	v_and_or_b32 v1, v1, s24, v26
	v_lshlrev_b32_e32 v8, 16, v8
	v_lshlrev_b32_e32 v7, 16, v7
	v_and_or_b32 v2, v2, s24, v8
	v_and_or_b32 v3, v3, s24, v7
	;;#ASMSTART
	v_pk_mul_f16 v1, v35, v1;

	;;#ASMEND
	;;#ASMSTART
	v_pk_mul_f16 v2, v36, v2;

	;;#ASMEND
	;; [unrolled: 4-line block ×4, first 2 shown]
	;;#ASMSTART
	v_pk_add_f16 v1, v1, v2;

	;;#ASMEND
	;;#ASMSTART
	v_pk_add_f16 v1, v1, v3;

	;;#ASMEND
	;; [unrolled: 4-line block ×3, first 2 shown]
	v_lshrrev_b32_e32 v2, 16, v1
	v_and_b32_e32 v1, 0xffff, v1
	;;#ASMSTART
	v_cvt_f32_f16 v1, v1;
	;;#ASMEND
	;;#ASMSTART
	v_cvt_f32_f16 v2, v2;
	;;#ASMEND
	v_add_f32_e32 v1, v1, v2
	v_add_f32_e32 v13, v13, v1
.LBB92_39:                              ;   in Loop: Header=BB92_40 Depth=1
	s_or_b64 exec, exec, s[6:7]
	v_add_co_u32_e32 v5, vcc, 8, v5
	v_add_u32_e32 v23, 2, v23
	v_addc_co_u32_e32 v6, vcc, 0, v6, vcc
	v_cmp_le_i32_e32 vcc, s16, v23
	v_add_u32_e32 v24, 64, v24
	s_or_b64 s[4:5], vcc, s[4:5]
	v_add_u32_e32 v25, 0x100, v25
	s_andn2_b64 exec, exec, s[4:5]
	s_cbranch_execz .LBB92_51
.LBB92_40:                              ; =>This Inner Loop Header: Depth=1
	v_mul_hi_u32 v1, v24, s40
	v_mul_lo_u32 v2, v1, s21
	v_add_u32_e32 v3, 1, v1
	v_sub_u32_e32 v2, v24, v2
	v_cmp_le_u32_e32 vcc, s21, v2
	v_cndmask_b32_e32 v1, v1, v3, vcc
	v_subrev_u32_e32 v3, s21, v2
	v_cndmask_b32_e32 v2, v2, v3, vcc
	v_add_u32_e32 v3, 1, v1
	v_cmp_le_u32_e32 vcc, s21, v2
	v_cndmask_b32_e32 v1, v1, v3, vcc
	v_xor_b32_e32 v1, s19, v1
	v_subrev_u32_e32 v1, s19, v1
	v_add_u32_e32 v2, s41, v1
	v_sub_u32_e32 v3, 0, v2
	v_max_i32_e32 v3, v2, v3
	v_mul_hi_u32 v4, v3, v22
	v_ashrrev_i32_e32 v2, 31, v2
	v_cmp_lt_i32_e64 s[0:1], s17, v1
	v_mul_lo_u32 v4, v4, s14
	v_sub_u32_e32 v3, v3, v4
	v_subrev_u32_e32 v4, s14, v3
	v_cmp_le_u32_e32 vcc, s14, v3
	v_cndmask_b32_e32 v3, v3, v4, vcc
	v_subrev_u32_e32 v4, s14, v3
	v_cmp_le_u32_e32 vcc, s14, v3
	v_cndmask_b32_e32 v3, v3, v4, vcc
	v_xor_b32_e32 v3, v3, v2
	v_sub_u32_e32 v2, v3, v2
	v_cmp_eq_u32_e32 vcc, 0, v2
	s_or_b64 s[0:1], vcc, s[0:1]
	s_and_saveexec_b64 s[6:7], s[0:1]
	s_cbranch_execz .LBB92_39
; %bb.41:                               ;   in Loop: Header=BB92_40 Depth=1
	global_load_dword v7, v[5:6], off
	ds_read2_b64 v[1:4], v25 offset1:1
	ds_read2_b64 v[26:29], v25 offset0:2 offset1:3
	s_waitcnt lgkmcnt(1)
	;;#ASMSTART
	v_cvt_f16_f32 v34, v1;

	;;#ASMEND
	;;#ASMSTART
	v_cvt_f16_f32 v35, v2;

	;;#ASMEND
	;; [unrolled: 4-line block ×4, first 2 shown]
	s_waitcnt lgkmcnt(0)
	;;#ASMSTART
	v_cvt_f16_f32 v38, v26;

	;;#ASMEND
	;;#ASMSTART
	v_cvt_f16_f32 v39, v27;

	;;#ASMEND
	;; [unrolled: 4-line block ×4, first 2 shown]
	v_add_u32_e32 v26, v16, v24
	v_add_u32_e32 v33, 1, v26
	;; [unrolled: 1-line block ×8, first 2 shown]
	s_waitcnt vmcnt(0)
	v_mad_i64_i32 v[1:2], s[0:1], v7, s15, 0
	v_cmp_eq_u32_e64 s[0:1], s18, v23
	v_lshlrev_b64 v[1:2], 1, v[1:2]
	v_add_co_u32_e32 v7, vcc, v20, v1
	v_addc_co_u32_e32 v8, vcc, v21, v2, vcc
	global_load_dwordx4 v[1:4], v[7:8], off
	s_waitcnt vmcnt(0)
	v_lshrrev_b32_e32 v44, 16, v1
	v_lshrrev_b32_e32 v43, 16, v2
	;; [unrolled: 1-line block ×3, first 2 shown]
	s_and_saveexec_b64 s[12:13], s[0:1]
	s_cbranch_execz .LBB92_43
; %bb.42:                               ;   in Loop: Header=BB92_40 Depth=1
	v_cmp_gt_i32_e32 vcc, s33, v26
	v_cndmask_b32_e32 v1, 0, v1, vcc
	v_cmp_gt_i32_e32 vcc, s33, v33
	v_cndmask_b32_e32 v44, 0, v44, vcc
	v_cmp_gt_i32_e32 vcc, s33, v32
	v_cndmask_b32_e32 v2, 0, v2, vcc
	v_cmp_gt_i32_e32 vcc, s33, v31
	v_cndmask_b32_e32 v43, 0, v43, vcc
	v_cmp_gt_i32_e32 vcc, s33, v30
	v_cndmask_b32_e32 v3, 0, v3, vcc
	v_cmp_gt_i32_e32 vcc, s33, v29
	v_cndmask_b32_e32 v42, 0, v42, vcc
	v_cmp_gt_i32_e32 vcc, s33, v28
	v_cndmask_b32_sdwa v45, v19, v4, vcc dst_sel:DWORD dst_unused:UNUSED_PAD src0_sel:DWORD src1_sel:WORD_0
	v_and_b32_e32 v4, 0xffff0000, v4
	v_cmp_gt_i32_e32 vcc, s33, v27
	v_cndmask_b32_e32 v4, 0, v4, vcc
	v_or_b32_e32 v4, v45, v4
.LBB92_43:                              ;   in Loop: Header=BB92_40 Depth=1
	s_or_b64 exec, exec, s[12:13]
	v_and_b32_e32 v34, 0xffff, v34
	v_lshl_or_b32 v35, v35, 16, v34
	v_and_b32_e32 v34, 0xffff, v36
	v_lshl_or_b32 v36, v37, 16, v34
	v_and_b32_e32 v34, 0xffff, v38
	v_lshlrev_b32_e32 v38, 16, v44
	v_and_or_b32 v1, v1, s24, v38
	v_lshlrev_b32_e32 v38, 16, v43
	v_and_or_b32 v2, v2, s24, v38
	v_lshlrev_b32_e32 v38, 16, v42
	v_lshl_or_b32 v37, v39, 16, v34
	v_and_b32_e32 v34, 0xffff, v40
	v_and_or_b32 v3, v3, s24, v38
	;;#ASMSTART
	v_pk_mul_f16 v1, v35, v1;

	;;#ASMEND
	v_lshl_or_b32 v34, v41, 16, v34
	;;#ASMSTART
	v_pk_mul_f16 v2, v36, v2;

	;;#ASMEND
	;;#ASMSTART
	v_pk_mul_f16 v3, v37, v3;

	;;#ASMEND
	;; [unrolled: 4-line block ×3, first 2 shown]
	;;#ASMSTART
	v_pk_add_f16 v1, v1, v2;

	;;#ASMEND
	;;#ASMSTART
	v_pk_add_f16 v1, v1, v3;

	;;#ASMEND
	;; [unrolled: 4-line block ×3, first 2 shown]
	v_lshrrev_b32_e32 v2, 16, v1
	v_and_b32_e32 v1, 0xffff, v1
	;;#ASMSTART
	v_cvt_f32_f16 v38, v1;
	;;#ASMEND
	;;#ASMSTART
	v_cvt_f32_f16 v39, v2;
	;;#ASMEND
	global_load_dwordx4 v[1:4], v[7:8], off offset:1024
	s_waitcnt vmcnt(0)
	v_lshrrev_b32_e32 v42, 16, v1
	v_lshrrev_b32_e32 v41, 16, v2
	;; [unrolled: 1-line block ×3, first 2 shown]
	s_and_saveexec_b64 s[12:13], s[0:1]
	s_cbranch_execz .LBB92_45
; %bb.44:                               ;   in Loop: Header=BB92_40 Depth=1
	v_cmp_gt_i32_e32 vcc, s33, v26
	v_cndmask_b32_e32 v1, 0, v1, vcc
	v_cmp_gt_i32_e32 vcc, s33, v33
	v_cndmask_b32_e32 v42, 0, v42, vcc
	;; [unrolled: 2-line block ×6, first 2 shown]
	v_cmp_gt_i32_e32 vcc, s33, v28
	v_cndmask_b32_sdwa v43, v19, v4, vcc dst_sel:DWORD dst_unused:UNUSED_PAD src0_sel:DWORD src1_sel:WORD_0
	v_and_b32_e32 v4, 0xffff0000, v4
	v_cmp_gt_i32_e32 vcc, s33, v27
	v_cndmask_b32_e32 v4, 0, v4, vcc
	v_or_b32_e32 v4, v43, v4
.LBB92_45:                              ;   in Loop: Header=BB92_40 Depth=1
	s_or_b64 exec, exec, s[12:13]
	v_lshlrev_b32_e32 v42, 16, v42
	v_and_or_b32 v1, v1, s24, v42
	v_lshlrev_b32_e32 v41, 16, v41
	v_lshlrev_b32_e32 v40, 16, v40
	v_and_or_b32 v2, v2, s24, v41
	v_and_or_b32 v3, v3, s24, v40
	;;#ASMSTART
	v_pk_mul_f16 v1, v35, v1;

	;;#ASMEND
	;;#ASMSTART
	v_pk_mul_f16 v2, v36, v2;

	;;#ASMEND
	;; [unrolled: 4-line block ×4, first 2 shown]
	;;#ASMSTART
	v_pk_add_f16 v1, v1, v2;

	;;#ASMEND
	;;#ASMSTART
	v_pk_add_f16 v1, v1, v3;

	;;#ASMEND
	;; [unrolled: 4-line block ×3, first 2 shown]
	v_lshrrev_b32_e32 v2, 16, v1
	v_and_b32_e32 v1, 0xffff, v1
	;;#ASMSTART
	v_cvt_f32_f16 v40, v1;
	;;#ASMEND
	;;#ASMSTART
	v_cvt_f32_f16 v41, v2;
	;;#ASMEND
	global_load_dwordx4 v[1:4], v[7:8], off offset:2048
	s_waitcnt vmcnt(0)
	v_lshrrev_b32_e32 v44, 16, v1
	v_lshrrev_b32_e32 v43, 16, v2
	;; [unrolled: 1-line block ×3, first 2 shown]
	s_and_saveexec_b64 s[12:13], s[0:1]
	s_cbranch_execz .LBB92_47
; %bb.46:                               ;   in Loop: Header=BB92_40 Depth=1
	v_cmp_gt_i32_e32 vcc, s33, v26
	v_cndmask_b32_e32 v1, 0, v1, vcc
	v_cmp_gt_i32_e32 vcc, s33, v33
	v_cndmask_b32_e32 v44, 0, v44, vcc
	;; [unrolled: 2-line block ×6, first 2 shown]
	v_cmp_gt_i32_e32 vcc, s33, v28
	v_cndmask_b32_sdwa v45, v19, v4, vcc dst_sel:DWORD dst_unused:UNUSED_PAD src0_sel:DWORD src1_sel:WORD_0
	v_and_b32_e32 v4, 0xffff0000, v4
	v_cmp_gt_i32_e32 vcc, s33, v27
	v_cndmask_b32_e32 v4, 0, v4, vcc
	v_or_b32_e32 v4, v45, v4
.LBB92_47:                              ;   in Loop: Header=BB92_40 Depth=1
	s_or_b64 exec, exec, s[12:13]
	v_lshlrev_b32_e32 v44, 16, v44
	v_and_or_b32 v1, v1, s24, v44
	v_lshlrev_b32_e32 v43, 16, v43
	v_lshlrev_b32_e32 v42, 16, v42
	v_and_or_b32 v2, v2, s24, v43
	v_and_or_b32 v3, v3, s24, v42
	;;#ASMSTART
	v_pk_mul_f16 v1, v35, v1;

	;;#ASMEND
	;;#ASMSTART
	v_pk_mul_f16 v2, v36, v2;

	;;#ASMEND
	;; [unrolled: 4-line block ×4, first 2 shown]
	;;#ASMSTART
	v_pk_add_f16 v1, v1, v2;

	;;#ASMEND
	;;#ASMSTART
	v_pk_add_f16 v1, v1, v3;

	;;#ASMEND
	;; [unrolled: 4-line block ×3, first 2 shown]
	v_lshrrev_b32_e32 v2, 16, v1
	v_and_b32_e32 v1, 0xffff, v1
	;;#ASMSTART
	v_cvt_f32_f16 v42, v1;
	;;#ASMEND
	;;#ASMSTART
	v_cvt_f32_f16 v43, v2;
	;;#ASMEND
	global_load_dwordx4 v[1:4], v[7:8], off offset:3072
	s_waitcnt vmcnt(0)
	v_lshrrev_b32_e32 v46, 16, v1
	v_lshrrev_b32_e32 v45, 16, v2
	v_lshrrev_b32_e32 v44, 16, v3
	s_and_saveexec_b64 s[12:13], s[0:1]
	s_cbranch_execz .LBB92_49
; %bb.48:                               ;   in Loop: Header=BB92_40 Depth=1
	v_cmp_gt_i32_e32 vcc, s33, v26
	v_cndmask_b32_e32 v1, 0, v1, vcc
	v_cmp_gt_i32_e32 vcc, s33, v33
	v_cndmask_b32_e32 v46, 0, v46, vcc
	;; [unrolled: 2-line block ×6, first 2 shown]
	v_cmp_gt_i32_e32 vcc, s33, v28
	v_cndmask_b32_sdwa v47, v19, v4, vcc dst_sel:DWORD dst_unused:UNUSED_PAD src0_sel:DWORD src1_sel:WORD_0
	v_and_b32_e32 v4, 0xffff0000, v4
	v_cmp_gt_i32_e32 vcc, s33, v27
	v_cndmask_b32_e32 v4, 0, v4, vcc
	v_or_b32_e32 v4, v47, v4
.LBB92_49:                              ;   in Loop: Header=BB92_40 Depth=1
	s_or_b64 exec, exec, s[12:13]
	v_lshlrev_b32_e32 v46, 16, v46
	v_and_or_b32 v1, v1, s24, v46
	v_lshlrev_b32_e32 v45, 16, v45
	v_lshlrev_b32_e32 v44, 16, v44
	v_and_or_b32 v2, v2, s24, v45
	v_and_or_b32 v3, v3, s24, v44
	;;#ASMSTART
	v_pk_mul_f16 v1, v35, v1;

	;;#ASMEND
	;;#ASMSTART
	v_pk_mul_f16 v2, v36, v2;

	;;#ASMEND
	;; [unrolled: 4-line block ×4, first 2 shown]
	;;#ASMSTART
	v_pk_add_f16 v1, v1, v2;

	;;#ASMEND
	;;#ASMSTART
	v_pk_add_f16 v1, v1, v3;

	;;#ASMEND
	;; [unrolled: 4-line block ×3, first 2 shown]
	v_lshrrev_b32_e32 v2, 16, v1
	v_and_b32_e32 v1, 0xffff, v1
	;;#ASMSTART
	v_cvt_f32_f16 v44, v1;
	;;#ASMEND
	v_add_co_u32_e32 v1, vcc, 0x1000, v7
	;;#ASMSTART
	v_cvt_f32_f16 v45, v2;
	;;#ASMEND
	v_addc_co_u32_e32 v2, vcc, 0, v8, vcc
	global_load_dwordx4 v[1:4], v[1:2], off
	s_waitcnt vmcnt(0)
	v_lshrrev_b32_e32 v46, 16, v1
	v_lshrrev_b32_e32 v8, 16, v2
	;; [unrolled: 1-line block ×3, first 2 shown]
	s_and_saveexec_b64 s[12:13], s[0:1]
	s_cbranch_execz .LBB92_38
; %bb.50:                               ;   in Loop: Header=BB92_40 Depth=1
	v_cmp_gt_i32_e32 vcc, s33, v26
	v_cndmask_b32_e32 v1, 0, v1, vcc
	v_cmp_gt_i32_e32 vcc, s33, v33
	v_cndmask_b32_e32 v46, 0, v46, vcc
	;; [unrolled: 2-line block ×6, first 2 shown]
	v_cmp_gt_i32_e32 vcc, s33, v28
	v_cndmask_b32_sdwa v26, v19, v4, vcc dst_sel:DWORD dst_unused:UNUSED_PAD src0_sel:DWORD src1_sel:WORD_0
	v_and_b32_e32 v4, 0xffff0000, v4
	v_cmp_gt_i32_e32 vcc, s33, v27
	v_cndmask_b32_e32 v4, 0, v4, vcc
	v_or_b32_e32 v4, v26, v4
	s_branch .LBB92_38
.LBB92_51:
	s_or_b64 exec, exec, s[4:5]
.LBB92_52:
	s_or_b64 exec, exec, s[2:3]
	ds_bpermute_b32 v2, v10, v18
	ds_bpermute_b32 v1, v10, v17
	;; [unrolled: 1-line block ×5, first 2 shown]
	s_waitcnt lgkmcnt(4)
	v_add_f32_e32 v2, v18, v2
	s_waitcnt lgkmcnt(3)
	v_add_f32_e32 v1, v17, v1
	ds_bpermute_b32 v6, v11, v2
	s_waitcnt lgkmcnt(3)
	v_add_f32_e32 v3, v15, v3
	s_waitcnt lgkmcnt(2)
	v_add_f32_e32 v10, v14, v4
	s_waitcnt lgkmcnt(1)
	v_add_f32_e32 v7, v13, v7
	ds_bpermute_b32 v5, v11, v1
	ds_bpermute_b32 v8, v11, v3
	;; [unrolled: 1-line block ×4, first 2 shown]
	s_waitcnt lgkmcnt(4)
	v_add_f32_e32 v4, v2, v6
	v_and_b32_e32 v6, 0x3c3, v0
	s_waitcnt lgkmcnt(3)
	v_add_f32_e32 v5, v1, v5
	s_waitcnt lgkmcnt(2)
	v_add_f32_e32 v3, v3, v8
	;; [unrolled: 2-line block ×4, first 2 shown]
	v_cmp_eq_u32_e32 vcc, 64, v6
	s_barrier
	s_and_saveexec_b64 s[0:1], vcc
	s_cbranch_execz .LBB92_54
; %bb.53:
	v_add_u32_e32 v7, 0xb0, v9
	ds_write2_b32 v7, v5, v4 offset1:16
	ds_write2_b32 v7, v3, v2 offset0:32 offset1:48
	ds_write_b32 v7, v1 offset:256
.LBB92_54:
	s_or_b64 exec, exec, s[0:1]
	v_cmp_gt_u32_e32 vcc, 64, v0
	v_lshrrev_b32_e32 v0, 2, v0
	s_waitcnt lgkmcnt(0)
	s_barrier
	s_and_saveexec_b64 s[0:1], vcc
	s_cbranch_execz .LBB92_62
; %bb.55:
	v_mov_b32_e32 v7, 0xb0
	v_cmp_eq_u32_e32 vcc, 0, v12
	v_lshl_add_u32 v7, v0, 2, v7
	s_and_saveexec_b64 s[2:3], vcc
	s_cbranch_execnz .LBB92_65
; %bb.56:
	s_or_b64 exec, exec, s[2:3]
	s_and_saveexec_b64 s[2:3], vcc
	s_cbranch_execnz .LBB92_66
.LBB92_57:
	s_or_b64 exec, exec, s[2:3]
	s_and_saveexec_b64 s[2:3], vcc
	s_cbranch_execnz .LBB92_67
.LBB92_58:
	s_or_b64 exec, exec, s[2:3]
	s_and_saveexec_b64 s[2:3], vcc
	s_cbranch_execnz .LBB92_68
.LBB92_59:
	s_or_b64 exec, exec, s[2:3]
	s_and_saveexec_b64 s[2:3], vcc
	s_cbranch_execz .LBB92_61
.LBB92_60:
	ds_read_b32 v7, v7 offset:256
	s_waitcnt lgkmcnt(0)
	v_add_f32_e32 v1, v1, v7
.LBB92_61:
	s_or_b64 exec, exec, s[2:3]
.LBB92_62:
	s_or_b64 exec, exec, s[0:1]
	v_cmp_eq_u32_e32 vcc, 0, v6
	s_barrier
	s_and_saveexec_b64 s[0:1], vcc
	s_cbranch_execz .LBB92_64
; %bb.63:
	s_mul_i32 s0, s10, s11
	s_mul_i32 s0, s0, s9
	s_mulk_i32 s0, 0x50
	s_ashr_i32 s1, s0, 31
	s_lshl_b64 s[0:1], s[0:1], 1
	s_add_u32 s2, s22, s0
	s_mul_i32 s0, s11, s20
	s_addc_u32 s3, s23, s1
	s_ashr_i32 s1, s0, 31
	s_lshl_b64 s[0:1], s[0:1], 1
	s_add_u32 s2, s2, s0
	s_mul_i32 s0, s8, 0x50
	s_addc_u32 s3, s3, s1
	s_ashr_i32 s1, s0, 31
	s_lshl_b64 s[0:1], s[0:1], 1
	s_add_u32 s0, s2, s0
	s_addc_u32 s1, s3, s1
	v_lshlrev_b32_e32 v0, 1, v0
	;;#ASMSTART
	v_cvt_f16_f32 v5, v5;

	;;#ASMEND
	global_store_short v0, v5, s[0:1]
	;;#ASMSTART
	v_cvt_f16_f32 v4, v4;

	;;#ASMEND
	global_store_short v0, v4, s[0:1] offset:32
	;;#ASMSTART
	v_cvt_f16_f32 v3, v3;

	;;#ASMEND
	global_store_short v0, v3, s[0:1] offset:64
	;; [unrolled: 5-line block ×4, first 2 shown]
.LBB92_64:
	s_endpgm
.LBB92_65:
	ds_read_b32 v8, v7
	s_waitcnt lgkmcnt(0)
	v_add_f32_e32 v5, v5, v8
	s_or_b64 exec, exec, s[2:3]
	s_and_saveexec_b64 s[2:3], vcc
	s_cbranch_execz .LBB92_57
.LBB92_66:
	ds_read_b32 v8, v7 offset:64
	s_waitcnt lgkmcnt(0)
	v_add_f32_e32 v4, v4, v8
	s_or_b64 exec, exec, s[2:3]
	s_and_saveexec_b64 s[2:3], vcc
	s_cbranch_execz .LBB92_58
.LBB92_67:
	ds_read_b32 v8, v7 offset:128
	s_waitcnt lgkmcnt(0)
	v_add_f32_e32 v3, v3, v8
	s_or_b64 exec, exec, s[2:3]
	s_and_saveexec_b64 s[2:3], vcc
	s_cbranch_execz .LBB92_59
.LBB92_68:
	ds_read_b32 v8, v7 offset:192
	s_waitcnt lgkmcnt(0)
	v_add_f32_e32 v2, v2, v8
	s_or_b64 exec, exec, s[2:3]
	s_and_saveexec_b64 s[2:3], vcc
	s_cbranch_execnz .LBB92_60
	s_branch .LBB92_61
	.section	.rodata,"a",@progbits
	.p2align	6, 0x0
	.amdhsa_kernel _ZN4vllm25paged_attention_v1_kernelIttLi80ELi32ELi128ELNS_18Fp8KVCacheDataTypeE0ELb1EEEvPT_PKS2_PKT0_S8_ifPKiSA_iPKfiiiSC_SC_iiiii
		.amdhsa_group_segment_fixed_size 176
		.amdhsa_private_segment_fixed_size 0
		.amdhsa_kernarg_size 384
		.amdhsa_user_sgpr_count 6
		.amdhsa_user_sgpr_private_segment_buffer 1
		.amdhsa_user_sgpr_dispatch_ptr 0
		.amdhsa_user_sgpr_queue_ptr 0
		.amdhsa_user_sgpr_kernarg_segment_ptr 1
		.amdhsa_user_sgpr_dispatch_id 0
		.amdhsa_user_sgpr_flat_scratch_init 0
		.amdhsa_user_sgpr_private_segment_size 0
		.amdhsa_uses_dynamic_stack 0
		.amdhsa_system_sgpr_private_segment_wavefront_offset 0
		.amdhsa_system_sgpr_workgroup_id_x 1
		.amdhsa_system_sgpr_workgroup_id_y 1
		.amdhsa_system_sgpr_workgroup_id_z 1
		.amdhsa_system_sgpr_workgroup_info 0
		.amdhsa_system_vgpr_workitem_id 0
		.amdhsa_next_free_vgpr 56
		.amdhsa_next_free_sgpr 45
		.amdhsa_reserve_vcc 1
		.amdhsa_reserve_flat_scratch 0
		.amdhsa_float_round_mode_32 0
		.amdhsa_float_round_mode_16_64 0
		.amdhsa_float_denorm_mode_32 3
		.amdhsa_float_denorm_mode_16_64 3
		.amdhsa_dx10_clamp 1
		.amdhsa_ieee_mode 1
		.amdhsa_fp16_overflow 0
		.amdhsa_exception_fp_ieee_invalid_op 0
		.amdhsa_exception_fp_denorm_src 0
		.amdhsa_exception_fp_ieee_div_zero 0
		.amdhsa_exception_fp_ieee_overflow 0
		.amdhsa_exception_fp_ieee_underflow 0
		.amdhsa_exception_fp_ieee_inexact 0
		.amdhsa_exception_int_div_zero 0
	.end_amdhsa_kernel
	.section	.text._ZN4vllm25paged_attention_v1_kernelIttLi80ELi32ELi128ELNS_18Fp8KVCacheDataTypeE0ELb1EEEvPT_PKS2_PKT0_S8_ifPKiSA_iPKfiiiSC_SC_iiiii,"axG",@progbits,_ZN4vllm25paged_attention_v1_kernelIttLi80ELi32ELi128ELNS_18Fp8KVCacheDataTypeE0ELb1EEEvPT_PKS2_PKT0_S8_ifPKiSA_iPKfiiiSC_SC_iiiii,comdat
.Lfunc_end92:
	.size	_ZN4vllm25paged_attention_v1_kernelIttLi80ELi32ELi128ELNS_18Fp8KVCacheDataTypeE0ELb1EEEvPT_PKS2_PKT0_S8_ifPKiSA_iPKfiiiSC_SC_iiiii, .Lfunc_end92-_ZN4vllm25paged_attention_v1_kernelIttLi80ELi32ELi128ELNS_18Fp8KVCacheDataTypeE0ELb1EEEvPT_PKS2_PKT0_S8_ifPKiSA_iPKfiiiSC_SC_iiiii
                                        ; -- End function
	.set _ZN4vllm25paged_attention_v1_kernelIttLi80ELi32ELi128ELNS_18Fp8KVCacheDataTypeE0ELb1EEEvPT_PKS2_PKT0_S8_ifPKiSA_iPKfiiiSC_SC_iiiii.num_vgpr, 56
	.set _ZN4vllm25paged_attention_v1_kernelIttLi80ELi32ELi128ELNS_18Fp8KVCacheDataTypeE0ELb1EEEvPT_PKS2_PKT0_S8_ifPKiSA_iPKfiiiSC_SC_iiiii.num_agpr, 0
	.set _ZN4vllm25paged_attention_v1_kernelIttLi80ELi32ELi128ELNS_18Fp8KVCacheDataTypeE0ELb1EEEvPT_PKS2_PKT0_S8_ifPKiSA_iPKfiiiSC_SC_iiiii.numbered_sgpr, 45
	.set _ZN4vllm25paged_attention_v1_kernelIttLi80ELi32ELi128ELNS_18Fp8KVCacheDataTypeE0ELb1EEEvPT_PKS2_PKT0_S8_ifPKiSA_iPKfiiiSC_SC_iiiii.num_named_barrier, 0
	.set _ZN4vllm25paged_attention_v1_kernelIttLi80ELi32ELi128ELNS_18Fp8KVCacheDataTypeE0ELb1EEEvPT_PKS2_PKT0_S8_ifPKiSA_iPKfiiiSC_SC_iiiii.private_seg_size, 0
	.set _ZN4vllm25paged_attention_v1_kernelIttLi80ELi32ELi128ELNS_18Fp8KVCacheDataTypeE0ELb1EEEvPT_PKS2_PKT0_S8_ifPKiSA_iPKfiiiSC_SC_iiiii.uses_vcc, 1
	.set _ZN4vllm25paged_attention_v1_kernelIttLi80ELi32ELi128ELNS_18Fp8KVCacheDataTypeE0ELb1EEEvPT_PKS2_PKT0_S8_ifPKiSA_iPKfiiiSC_SC_iiiii.uses_flat_scratch, 0
	.set _ZN4vllm25paged_attention_v1_kernelIttLi80ELi32ELi128ELNS_18Fp8KVCacheDataTypeE0ELb1EEEvPT_PKS2_PKT0_S8_ifPKiSA_iPKfiiiSC_SC_iiiii.has_dyn_sized_stack, 0
	.set _ZN4vllm25paged_attention_v1_kernelIttLi80ELi32ELi128ELNS_18Fp8KVCacheDataTypeE0ELb1EEEvPT_PKS2_PKT0_S8_ifPKiSA_iPKfiiiSC_SC_iiiii.has_recursion, 0
	.set _ZN4vllm25paged_attention_v1_kernelIttLi80ELi32ELi128ELNS_18Fp8KVCacheDataTypeE0ELb1EEEvPT_PKS2_PKT0_S8_ifPKiSA_iPKfiiiSC_SC_iiiii.has_indirect_call, 0
	.section	.AMDGPU.csdata,"",@progbits
; Kernel info:
; codeLenInByte = 6320
; TotalNumSgprs: 49
; NumVgprs: 56
; ScratchSize: 0
; MemoryBound: 0
; FloatMode: 240
; IeeeMode: 1
; LDSByteSize: 176 bytes/workgroup (compile time only)
; SGPRBlocks: 6
; VGPRBlocks: 13
; NumSGPRsForWavesPerEU: 49
; NumVGPRsForWavesPerEU: 56
; Occupancy: 4
; WaveLimiterHint : 1
; COMPUTE_PGM_RSRC2:SCRATCH_EN: 0
; COMPUTE_PGM_RSRC2:USER_SGPR: 6
; COMPUTE_PGM_RSRC2:TRAP_HANDLER: 0
; COMPUTE_PGM_RSRC2:TGID_X_EN: 1
; COMPUTE_PGM_RSRC2:TGID_Y_EN: 1
; COMPUTE_PGM_RSRC2:TGID_Z_EN: 1
; COMPUTE_PGM_RSRC2:TIDIG_COMP_CNT: 0
	.section	.text._ZN4vllm25paged_attention_v1_kernelIttLi96ELi32ELi128ELNS_18Fp8KVCacheDataTypeE0ELb1EEEvPT_PKS2_PKT0_S8_ifPKiSA_iPKfiiiSC_SC_iiiii,"axG",@progbits,_ZN4vllm25paged_attention_v1_kernelIttLi96ELi32ELi128ELNS_18Fp8KVCacheDataTypeE0ELb1EEEvPT_PKS2_PKT0_S8_ifPKiSA_iPKfiiiSC_SC_iiiii,comdat
	.protected	_ZN4vllm25paged_attention_v1_kernelIttLi96ELi32ELi128ELNS_18Fp8KVCacheDataTypeE0ELb1EEEvPT_PKS2_PKT0_S8_ifPKiSA_iPKfiiiSC_SC_iiiii ; -- Begin function _ZN4vllm25paged_attention_v1_kernelIttLi96ELi32ELi128ELNS_18Fp8KVCacheDataTypeE0ELb1EEEvPT_PKS2_PKT0_S8_ifPKiSA_iPKfiiiSC_SC_iiiii
	.globl	_ZN4vllm25paged_attention_v1_kernelIttLi96ELi32ELi128ELNS_18Fp8KVCacheDataTypeE0ELb1EEEvPT_PKS2_PKT0_S8_ifPKiSA_iPKfiiiSC_SC_iiiii
	.p2align	8
	.type	_ZN4vllm25paged_attention_v1_kernelIttLi96ELi32ELi128ELNS_18Fp8KVCacheDataTypeE0ELb1EEEvPT_PKS2_PKT0_S8_ifPKiSA_iPKfiiiSC_SC_iiiii,@function
_ZN4vllm25paged_attention_v1_kernelIttLi96ELi32ELi128ELNS_18Fp8KVCacheDataTypeE0ELb1EEEvPT_PKS2_PKT0_S8_ifPKiSA_iPKfiiiSC_SC_iiiii: ; @_ZN4vllm25paged_attention_v1_kernelIttLi96ELi32ELi128ELNS_18Fp8KVCacheDataTypeE0ELb1EEEvPT_PKS2_PKT0_S8_ifPKiSA_iPKfiiiSC_SC_iiiii
; %bb.0:
	s_load_dword s9, s[4:5], 0x80
	s_load_dwordx2 s[0:1], s[4:5], 0x30
	s_load_dwordx2 s[30:31], s[4:5], 0x20
	s_mov_b32 s10, s7
	s_ashr_i32 s11, s7, 31
	s_lshl_b64 s[2:3], s[10:11], 2
	s_waitcnt lgkmcnt(0)
	s_add_u32 s0, s0, s2
	s_addc_u32 s1, s1, s3
	s_abs_i32 s2, s30
	v_cvt_f32_u32_e32 v1, s2
	s_sub_i32 s11, 0, s2
	s_abs_i32 s7, s9
	s_xor_b32 s3, s9, s30
	v_rcp_iflag_f32_e32 v1, v1
	s_ashr_i32 s3, s3, 31
	s_mov_b32 s42, 0
	v_mul_f32_e32 v1, 0x4f7ffffe, v1
	v_cvt_u32_f32_e32 v1, v1
	v_readfirstlane_b32 s12, v1
	s_mul_i32 s11, s11, s12
	s_mul_hi_u32 s11, s12, s11
	s_add_i32 s12, s12, s11
	s_mul_hi_u32 s11, s7, s12
	s_mul_i32 s12, s11, s2
	s_sub_i32 s7, s7, s12
	s_add_i32 s12, s11, 1
	s_sub_i32 s13, s7, s2
	s_cmp_ge_u32 s7, s2
	s_cselect_b32 s11, s12, s11
	s_cselect_b32 s7, s13, s7
	s_add_i32 s12, s11, 1
	s_cmp_ge_u32 s7, s2
	s_cselect_b32 s2, s12, s11
	s_xor_b32 s2, s2, s3
	s_sub_i32 s12, s2, s3
	s_abs_i32 s11, s12
	v_cvt_f32_u32_e32 v1, s11
	s_load_dwordx2 s[2:3], s[4:5], 0x40
	s_sub_i32 s7, 0, s11
	s_abs_i32 s22, s6
	v_rcp_iflag_f32_e32 v1, v1
	v_mul_f32_e32 v1, 0x4f7ffffe, v1
	v_cvt_u32_f32_e32 v1, v1
	v_readfirstlane_b32 s13, v1
	s_mul_i32 s7, s7, s13
	s_mul_hi_u32 s7, s13, s7
	s_add_i32 s13, s13, s7
	s_waitcnt lgkmcnt(0)
	s_cmp_eq_u64 s[2:3], 0
	s_mul_hi_u32 s23, s22, s13
	s_cbranch_scc1 .LBB93_2
; %bb.1:
	s_ashr_i32 s7, s6, 31
	s_lshl_b64 s[14:15], s[6:7], 2
	s_add_u32 s2, s2, s14
	s_addc_u32 s3, s3, s15
	s_load_dword s42, s[2:3], 0x0
.LBB93_2:
	s_load_dword s33, s[0:1], 0x0
	s_ashr_i32 s7, s12, 31
	s_load_dwordx4 s[12:15], s[4:5], 0x48
	s_ashr_i32 s2, s6, 31
	v_and_b32_e32 v1, 1, v0
	s_movk_i32 s3, 0x60
	s_mul_i32 s20, s6, 0x60
	v_cmp_gt_u32_e32 vcc, 24, v0
	v_lshlrev_b32_e32 v27, 3, v0
	s_and_saveexec_b64 s[0:1], vcc
	s_cbranch_execz .LBB93_4
; %bb.3:
	s_load_dwordx2 s[16:17], s[4:5], 0x8
	s_waitcnt lgkmcnt(0)
	s_mul_i32 s18, s12, s10
	s_ashr_i32 s19, s18, 31
	s_lshl_b64 s[18:19], s[18:19], 1
	v_lshlrev_b32_e32 v4, 2, v0
	s_add_u32 s12, s16, s18
	s_addc_u32 s15, s17, s19
	s_ashr_i32 s21, s20, 31
	s_lshl_b64 s[16:17], s[20:21], 1
	s_add_u32 s16, s12, s16
	s_addc_u32 s17, s15, s17
	global_load_dwordx2 v[2:3], v27, s[16:17]
	v_and_b32_e32 v4, 0xff8, v4
	v_mad_u32_u24 v4, v1, s3, v4
	s_waitcnt vmcnt(0)
	ds_write_b64 v4, v[2:3]
.LBB93_4:
	s_or_b64 exec, exec, s[0:1]
	s_mul_i32 s1, s23, s11
	s_sub_i32 s1, s22, s1
	s_xor_b32 s0, s2, s7
	s_add_i32 s2, s23, 1
	s_sub_i32 s7, s1, s11
	s_load_dwordx4 s[16:19], s[4:5], 0x68
	s_load_dword s3, s[4:5], 0x78
	s_cmp_ge_u32 s1, s11
	s_cselect_b32 s2, s2, s23
	s_cselect_b32 s1, s7, s1
	s_add_i32 s7, s2, 1
	s_cmp_ge_u32 s1, s11
	s_cselect_b32 s1, s7, s2
	s_waitcnt lgkmcnt(0)
	s_abs_i32 s21, s19
	v_cvt_f32_u32_e32 v2, s21
	s_xor_b32 s1, s1, s0
	s_sub_i32 s2, s1, s0
	s_sub_i32 s0, 0, s21
	v_rcp_iflag_f32_e32 v2, v2
	s_add_i32 s11, s33, -1
	s_abs_i32 s7, s11
	v_mul_f32_e32 v2, 0x4f7ffffe, v2
	v_cvt_u32_f32_e32 v2, v2
	s_barrier
	v_readfirstlane_b32 s40, v2
	s_mul_i32 s0, s0, s40
	s_mul_hi_u32 s0, s40, s0
	s_add_i32 s40, s40, s0
	s_cmp_lt_i32 s3, 0
	s_mul_hi_u32 s12, s7, s40
	s_cbranch_scc0 .LBB93_6
; %bb.5:
	s_mul_i32 s0, s16, s30
	s_add_i32 s0, s2, s0
	s_mul_i32 s0, s0, s3
	s_sub_i32 s41, 1, s0
	s_mov_b64 s[0:1], 0
	s_branch .LBB93_7
.LBB93_6:
	s_mov_b64 s[0:1], -1
                                        ; implicit-def: $sgpr41
.LBB93_7:
	s_load_dwordx2 s[24:25], s[4:5], 0x28
	s_ashr_i32 s15, s11, 31
	s_andn2_b64 vcc, exec, s[0:1]
	s_ashr_i32 s19, s19, 31
	s_cbranch_vccnz .LBB93_9
; %bb.8:
	s_mul_i32 s0, s9, s16
	s_add_i32 s0, s0, s6
	s_mul_i32 s0, s0, s3
	s_add_i32 s41, s0, 1
.LBB93_9:
	s_load_dword s0, s[4:5], 0x38
	s_load_dwordx2 s[22:23], s[4:5], 0x0
	s_load_dwordx2 s[28:29], s[4:5], 0x18
	s_load_dword s11, s[4:5], 0x88
	s_xor_b32 s1, s15, s19
	s_waitcnt lgkmcnt(0)
	s_mul_i32 s26, s0, s10
	s_mul_i32 s0, s12, s21
	s_sub_i32 s0, s7, s0
	s_ashr_i32 s27, s26, 31
	s_add_i32 s3, s12, 1
	s_sub_i32 s6, s0, s21
	s_cmp_ge_u32 s0, s21
	s_cselect_b32 s3, s3, s12
	s_cselect_b32 s0, s6, s0
	s_add_i32 s6, s3, 1
	s_cmp_ge_u32 s0, s21
	s_cselect_b32 s0, s6, s3
	s_xor_b32 s0, s0, s1
	s_sub_i32 s12, s0, s1
	s_add_i32 s0, s33, 31
	s_ashr_i32 s1, s0, 31
	s_lshr_b32 s1, s1, 27
	s_add_i32 s0, s0, s1
	s_ashr_i32 s16, s0, 5
	v_lshrrev_b32_e32 v25, 6, v0
	v_cmp_gt_i32_e64 s[0:1], s16, v25
	v_mov_b32_e32 v33, 0xff7fffff
	s_mul_i32 s14, s2, s14
	v_lshrrev_b32_e32 v28, 4, v0
	v_lshlrev_b32_e32 v26, 5, v25
	v_mbcnt_lo_u32_b32 v29, -1, 0
	s_and_saveexec_b64 s[34:35], s[0:1]
	s_cbranch_execz .LBB93_21
; %bb.10:
	s_load_dwordx2 s[2:3], s[4:5], 0x10
	s_ashr_i32 s15, s14, 31
	s_sub_i32 s30, s12, s17
	s_lshl_b64 s[4:5], s[14:15], 1
	v_bfe_u32 v30, v0, 1, 5
	s_waitcnt lgkmcnt(0)
	s_add_u32 s4, s2, s4
	s_addc_u32 s5, s3, s5
	s_abs_i32 s15, s18
	v_cvt_f32_u32_e32 v2, s15
	v_mov_b32_e32 v5, s5
	s_sub_i32 s5, 0, s15
	v_lshlrev_b32_e32 v4, 4, v30
	v_rcp_iflag_f32_e32 v2, v2
	v_add_co_u32_e32 v4, vcc, s4, v4
	v_and_b32_e32 v3, 8, v27
	v_mul_f32_e32 v2, 0x4f7ffffe, v2
	v_cvt_u32_f32_e32 v2, v2
	v_addc_co_u32_e32 v5, vcc, 0, v5, vcc
	v_add_co_u32_e32 v31, vcc, v4, v3
	v_mul_lo_u32 v6, s5, v2
	s_lshl_b64 s[6:7], s[26:27], 2
	v_subrev_u32_e32 v3, s33, v30
	s_add_u32 s6, s24, s6
	v_mul_hi_u32 v6, v2, v6
	v_add_u32_e32 v37, 1, v3
	v_lshlrev_b32_e32 v3, 2, v30
	v_cmp_eq_u32_e64 s[2:3], 0, v1
	v_addc_co_u32_e32 v32, vcc, 0, v5, vcc
	v_mul_u32_u24_e32 v34, 0x60, v1
	v_and_b32_e32 v1, 60, v28
	s_addc_u32 s7, s25, s7
	v_lshl_or_b32 v3, v25, 7, v3
	v_mbcnt_hi_u32_b32 v40, -1, v29
	v_add_u32_e32 v35, v2, v6
	v_mov_b32_e32 v2, s7
	v_add_co_u32_e32 v1, vcc, s6, v1
	v_add_u32_e32 v38, 0xd0, v3
	v_and_b32_e32 v3, 64, v40
	s_mov_b32 s43, s13
	v_cmp_neq_f32_e64 s[4:5], s42, 0
	v_addc_co_u32_e32 v2, vcc, 0, v2, vcc
	v_lshlrev_b32_e32 v36, 5, v25
	v_mov_b32_e32 v39, 0xff7fffff
	s_mov_b64 s[36:37], 0
	s_movk_i32 s44, 0x1000
	v_xor_b32_e32 v41, 1, v40
	v_add_u32_e32 v42, 64, v3
	v_mov_b32_e32 v33, 0xff7fffff
	v_mov_b32_e32 v43, v25
	s_branch .LBB93_13
.LBB93_11:                              ;   in Loop: Header=BB93_13 Depth=1
	s_or_b64 exec, exec, s[38:39]
.LBB93_12:                              ;   in Loop: Header=BB93_13 Depth=1
	s_or_b64 exec, exec, s[6:7]
	v_add_co_u32_e32 v1, vcc, 8, v1
	v_add_u32_e32 v43, 2, v43
	v_addc_co_u32_e32 v2, vcc, 0, v2, vcc
	v_cmp_le_i32_e32 vcc, s16, v43
	v_add_u32_e32 v36, 64, v36
	s_or_b64 s[36:37], vcc, s[36:37]
	v_add_u32_e32 v38, 0x100, v38
	s_andn2_b64 exec, exec, s[36:37]
	s_cbranch_execz .LBB93_20
.LBB93_13:                              ; =>This Inner Loop Header: Depth=1
	v_mul_hi_u32 v3, v36, s40
	s_waitcnt lgkmcnt(0)
	v_mul_lo_u32 v4, v3, s21
	v_add_u32_e32 v5, 1, v3
	v_sub_u32_e32 v4, v36, v4
	v_cmp_le_u32_e32 vcc, s21, v4
	v_cndmask_b32_e32 v3, v3, v5, vcc
	v_subrev_u32_e32 v5, s21, v4
	v_cndmask_b32_e32 v4, v4, v5, vcc
	v_add_u32_e32 v5, 1, v3
	v_cmp_le_u32_e32 vcc, s21, v4
	v_cndmask_b32_e32 v3, v3, v5, vcc
	v_xor_b32_e32 v3, s19, v3
	v_subrev_u32_e32 v3, s19, v3
	v_add_u32_e32 v4, s41, v3
	v_sub_u32_e32 v5, 0, v4
	v_max_i32_e32 v5, v4, v5
	v_mul_hi_u32 v6, v5, v35
	v_ashrrev_i32_e32 v4, 31, v4
	v_cmp_ge_i32_e64 s[6:7], s30, v3
	v_mul_lo_u32 v6, v6, s15
	v_sub_u32_e32 v5, v5, v6
	v_subrev_u32_e32 v6, s15, v5
	v_cmp_le_u32_e32 vcc, s15, v5
	v_cndmask_b32_e32 v5, v5, v6, vcc
	v_subrev_u32_e32 v6, s15, v5
	v_cmp_le_u32_e32 vcc, s15, v5
	v_cndmask_b32_e32 v5, v5, v6, vcc
	v_xor_b32_e32 v5, v5, v4
	v_sub_u32_e32 v4, v5, v4
	v_cmp_ne_u32_e32 vcc, 0, v4
	s_and_b64 s[6:7], vcc, s[6:7]
	s_and_saveexec_b64 s[38:39], s[6:7]
	s_xor_b64 s[6:7], exec, s[38:39]
	s_cbranch_execz .LBB93_17
; %bb.14:                               ;   in Loop: Header=BB93_13 Depth=1
	s_and_saveexec_b64 s[38:39], s[2:3]
; %bb.15:                               ;   in Loop: Header=BB93_13 Depth=1
	ds_write_b32 v38, v39
; %bb.16:                               ;   in Loop: Header=BB93_13 Depth=1
	s_or_b64 exec, exec, s[38:39]
.LBB93_17:                              ;   in Loop: Header=BB93_13 Depth=1
	s_andn2_saveexec_b64 s[6:7], s[6:7]
	s_cbranch_execz .LBB93_12
; %bb.18:                               ;   in Loop: Header=BB93_13 Depth=1
	global_load_dword v3, v[1:2], off
	s_waitcnt vmcnt(0)
	v_mad_i64_i32 v[3:4], s[38:39], v3, s43, 0
	v_lshlrev_b64 v[3:4], 1, v[3:4]
	v_add_co_u32_e32 v3, vcc, v31, v3
	v_addc_co_u32_e32 v4, vcc, v32, v4, vcc
	global_load_dwordx2 v[5:6], v[3:4], off
	global_load_dwordx2 v[23:24], v[3:4], off offset:512
	global_load_dwordx2 v[21:22], v[3:4], off offset:1024
	;; [unrolled: 1-line block ×4, first 2 shown]
	ds_read_b64 v[7:8], v34
	global_load_dwordx2 v[15:16], v[3:4], off offset:2560
	global_load_dwordx2 v[13:14], v[3:4], off offset:3072
	;; [unrolled: 1-line block ×3, first 2 shown]
	v_add_co_u32_e32 v44, vcc, s44, v3
	v_addc_co_u32_e32 v45, vcc, 0, v4, vcc
	s_waitcnt lgkmcnt(0)
	v_lshrrev_b32_e32 v47, 16, v7
	v_and_b32_e32 v46, 0xffff, v7
	v_lshrrev_b32_e32 v51, 16, v8
	v_and_b32_e32 v50, 0xffff, v8
	global_load_dwordx2 v[9:10], v[44:45], off
	global_load_dwordx2 v[7:8], v[44:45], off offset:512
	v_cmp_lt_i32_e32 vcc, v41, v42
	s_waitcnt vmcnt(9)
	v_lshrrev_b32_e32 v49, 16, v5
	v_and_b32_e32 v48, 0xffff, v5
	v_lshrrev_b32_e32 v53, 16, v6
	v_and_b32_e32 v52, 0xffff, v6
	global_load_dwordx2 v[5:6], v[44:45], off offset:1024
	global_load_dwordx2 v[3:4], v[44:45], off offset:1536
	;;#ASMSTART
	v_cvt_f32_f16 v46, v46;
	;;#ASMEND
	;;#ASMSTART
	v_cvt_f32_f16 v47, v47;
	;;#ASMEND
	;; [unrolled: 3-line block ×8, first 2 shown]
	ds_read_b64 v[44:45], v34 offset:8
	s_waitcnt lgkmcnt(0)
	v_and_b32_e32 v54, 0xffff, v44
	v_lshrrev_b32_e32 v44, 16, v44
	;;#ASMSTART
	v_cvt_f32_f16 v54, v54;
	;;#ASMEND
	;;#ASMSTART
	v_cvt_f32_f16 v55, v44;
	;;#ASMEND
	s_waitcnt vmcnt(10)
	v_and_b32_e32 v44, 0xffff, v23
	v_lshrrev_b32_e32 v23, 16, v23
	;;#ASMSTART
	v_cvt_f32_f16 v44, v44;
	;;#ASMEND
	;;#ASMSTART
	v_cvt_f32_f16 v23, v23;
	;;#ASMEND
	v_mul_f32_e32 v44, v54, v44
	v_mul_f32_e32 v23, v55, v23
	v_fmac_f32_e32 v44, v46, v48
	v_fmac_f32_e32 v23, v47, v49
	v_and_b32_e32 v46, 0xffff, v24
	v_lshrrev_b32_e32 v47, 16, v24
	v_and_b32_e32 v24, 0xffff, v45
	v_lshrrev_b32_e32 v48, 16, v45
	;;#ASMSTART
	v_cvt_f32_f16 v24, v24;
	;;#ASMEND
	;;#ASMSTART
	v_cvt_f32_f16 v45, v48;
	;;#ASMEND
	;; [unrolled: 3-line block ×3, first 2 shown]
	v_mul_f32_e32 v24, v24, v46
	;;#ASMSTART
	v_cvt_f32_f16 v48, v47;
	;;#ASMEND
	ds_read_b64 v[46:47], v34 offset:16
	v_mul_f32_e32 v45, v45, v48
	s_waitcnt vmcnt(9)
	v_and_b32_e32 v49, 0xffff, v21
	v_lshrrev_b32_e32 v21, 16, v21
	v_fmac_f32_e32 v24, v50, v52
	s_waitcnt lgkmcnt(0)
	v_and_b32_e32 v48, 0xffff, v46
	v_lshrrev_b32_e32 v50, 16, v46
	;;#ASMSTART
	v_cvt_f32_f16 v46, v48;
	;;#ASMEND
	;;#ASMSTART
	v_cvt_f32_f16 v48, v50;
	;;#ASMEND
	;; [unrolled: 3-line block ×4, first 2 shown]
	s_waitcnt vmcnt(8)
	v_and_b32_e32 v50, 0xffff, v19
	v_fmac_f32_e32 v23, v48, v21
	v_lshrrev_b32_e32 v48, 16, v19
	v_lshrrev_b32_e32 v21, 16, v47
	v_and_b32_e32 v19, 0xffff, v47
	v_fmac_f32_e32 v44, v46, v49
	v_and_b32_e32 v49, 0xffff, v22
	v_lshrrev_b32_e32 v22, 16, v22
	;;#ASMSTART
	v_cvt_f32_f16 v19, v19;
	;;#ASMEND
	;;#ASMSTART
	v_cvt_f32_f16 v46, v21;
	;;#ASMEND
	;; [unrolled: 3-line block ×4, first 2 shown]
	v_fmac_f32_e32 v24, v19, v21
	ds_read_b64 v[21:22], v34 offset:24
	v_fmac_f32_e32 v45, v51, v53
	v_and_b32_e32 v51, 0xffff, v20
	v_lshrrev_b32_e32 v52, 16, v20
	s_waitcnt vmcnt(7)
	v_and_b32_e32 v53, 0xffff, v17
	s_waitcnt lgkmcnt(0)
	v_and_b32_e32 v19, 0xffff, v21
	v_lshrrev_b32_e32 v20, 16, v21
	;;#ASMSTART
	v_cvt_f32_f16 v19, v19;
	;;#ASMEND
	;;#ASMSTART
	v_cvt_f32_f16 v20, v20;
	;;#ASMEND
	;; [unrolled: 3-line block ×3, first 2 shown]
	v_fmac_f32_e32 v44, v19, v21
	;;#ASMSTART
	v_cvt_f32_f16 v19, v48;
	;;#ASMEND
	v_lshrrev_b32_e32 v50, 16, v17
	s_waitcnt vmcnt(6)
	v_and_b32_e32 v17, 0xffff, v15
	v_fmac_f32_e32 v23, v20, v19
	v_lshrrev_b32_e32 v19, 16, v15
	v_lshrrev_b32_e32 v20, 16, v22
	v_and_b32_e32 v15, 0xffff, v22
	v_fmac_f32_e32 v45, v46, v47
	;;#ASMSTART
	v_cvt_f32_f16 v15, v15;
	;;#ASMEND
	;;#ASMSTART
	v_cvt_f32_f16 v22, v20;
	;;#ASMEND
	;; [unrolled: 3-line block ×4, first 2 shown]
	ds_read_b64 v[51:52], v34 offset:32
	v_fmac_f32_e32 v24, v15, v20
	v_and_b32_e32 v21, 0xffff, v16
	v_lshrrev_b32_e32 v47, 16, v16
	v_fmac_f32_e32 v45, v22, v46
	s_waitcnt lgkmcnt(0)
	v_and_b32_e32 v15, 0xffff, v51
	v_lshrrev_b32_e32 v16, 16, v51
	;;#ASMSTART
	v_cvt_f32_f16 v15, v15;
	;;#ASMEND
	;;#ASMSTART
	v_cvt_f32_f16 v16, v16;
	;;#ASMEND
	;;#ASMSTART
	v_cvt_f32_f16 v22, v53;
	;;#ASMEND
	s_waitcnt vmcnt(5)
	v_and_b32_e32 v46, 0xffff, v14
	v_lshrrev_b32_e32 v48, 16, v14
	;;#ASMSTART
	v_cvt_f32_f16 v14, v50;
	;;#ASMEND
	v_and_b32_e32 v49, 0xffff, v18
	v_lshrrev_b32_e32 v18, 16, v18
	v_and_b32_e32 v20, 0xffff, v13
	v_fmac_f32_e32 v44, v15, v22
	v_lshrrev_b32_e32 v22, 16, v13
	s_waitcnt vmcnt(4)
	v_and_b32_e32 v13, 0xffff, v11
	v_fmac_f32_e32 v23, v16, v14
	v_lshrrev_b32_e32 v14, 16, v11
	v_lshrrev_b32_e32 v15, 16, v52
	v_and_b32_e32 v11, 0xffff, v52
	;;#ASMSTART
	v_cvt_f32_f16 v11, v11;
	;;#ASMEND
	;;#ASMSTART
	v_cvt_f32_f16 v51, v15;
	;;#ASMEND
	;; [unrolled: 3-line block ×4, first 2 shown]
	ds_read_b64 v[49:50], v34 offset:40
	v_fmac_f32_e32 v24, v11, v15
	v_fmac_f32_e32 v45, v51, v18
	s_waitcnt vmcnt(3)
	v_and_b32_e32 v16, 0xffff, v9
	v_lshrrev_b32_e32 v15, 16, v12
	s_waitcnt lgkmcnt(0)
	v_and_b32_e32 v11, 0xffff, v49
	;;#ASMSTART
	v_cvt_f32_f16 v11, v11;
	;;#ASMEND
	v_lshrrev_b32_e32 v18, 16, v49
	;;#ASMSTART
	v_cvt_f32_f16 v49, v18;
	;;#ASMEND
	;;#ASMSTART
	v_cvt_f32_f16 v17, v17;
	;;#ASMEND
	v_fmac_f32_e32 v44, v11, v17
	v_lshrrev_b32_e32 v51, 16, v50
	v_and_b32_e32 v11, 0xffff, v50
	v_lshrrev_b32_e32 v17, 16, v9
	;;#ASMSTART
	v_cvt_f32_f16 v9, v19;
	;;#ASMEND
	;;#ASMSTART
	v_cvt_f32_f16 v11, v11;
	;;#ASMEND
	;; [unrolled: 3-line block ×5, first 2 shown]
	v_fmac_f32_e32 v23, v49, v9
	ds_read_b64 v[49:50], v34 offset:48
	v_lshrrev_b32_e32 v18, 16, v10
	v_and_b32_e32 v19, 0xffff, v10
	v_fmac_f32_e32 v24, v11, v52
	v_fmac_f32_e32 v45, v51, v47
	s_waitcnt lgkmcnt(0)
	v_and_b32_e32 v9, 0xffff, v49
	v_lshrrev_b32_e32 v10, 16, v49
	v_and_b32_e32 v49, 0xffff, v50
	v_lshrrev_b32_e32 v51, 16, v50
	;;#ASMSTART
	v_cvt_f32_f16 v47, v9;
	;;#ASMEND
	;;#ASMSTART
	v_cvt_f32_f16 v11, v10;
	;;#ASMEND
	;; [unrolled: 3-line block ×8, first 2 shown]
	ds_read_b64 v[9:10], v34 offset:56
	v_and_b32_e32 v12, 0xffff, v12
	v_fmac_f32_e32 v23, v11, v22
	v_fmac_f32_e32 v24, v49, v46
	;; [unrolled: 1-line block ×3, first 2 shown]
	s_waitcnt lgkmcnt(0)
	v_and_b32_e32 v11, 0xffff, v9
	v_lshrrev_b32_e32 v9, 16, v9
	v_lshrrev_b32_e32 v46, 16, v10
	v_and_b32_e32 v10, 0xffff, v10
	;;#ASMSTART
	v_cvt_f32_f16 v11, v11;
	;;#ASMEND
	;;#ASMSTART
	v_cvt_f32_f16 v20, v9;
	;;#ASMEND
	;; [unrolled: 3-line block ×8, first 2 shown]
	ds_read_b64 v[9:10], v34 offset:64
	v_fmac_f32_e32 v45, v50, v48
	v_fmac_f32_e32 v23, v20, v14
	;; [unrolled: 1-line block ×4, first 2 shown]
	s_waitcnt lgkmcnt(0)
	v_lshrrev_b32_e32 v12, 16, v9
	v_and_b32_e32 v9, 0xffff, v9
	v_lshrrev_b32_e32 v20, 16, v10
	v_and_b32_e32 v10, 0xffff, v10
	v_fmac_f32_e32 v45, v46, v15
	;;#ASMSTART
	v_cvt_f32_f16 v11, v9;
	;;#ASMEND
	;;#ASMSTART
	v_cvt_f32_f16 v12, v12;
	;;#ASMEND
	;; [unrolled: 3-line block ×8, first 2 shown]
	ds_read_b64 v[9:10], v34 offset:72
	s_waitcnt vmcnt(2)
	v_lshrrev_b32_e32 v21, 16, v7
	v_and_b32_e32 v7, 0xffff, v7
	v_fmac_f32_e32 v44, v11, v13
	v_fmac_f32_e32 v23, v12, v14
	s_waitcnt lgkmcnt(0)
	v_lshrrev_b32_e32 v11, 16, v9
	v_and_b32_e32 v9, 0xffff, v9
	;;#ASMSTART
	v_cvt_f32_f16 v9, v9;
	;;#ASMEND
	;;#ASMSTART
	v_cvt_f32_f16 v11, v11;
	;;#ASMEND
	;; [unrolled: 3-line block ×3, first 2 shown]
	v_and_b32_e32 v7, 0xffff, v10
	v_lshrrev_b32_e32 v14, 16, v10
	;;#ASMSTART
	v_cvt_f32_f16 v13, v21;
	;;#ASMEND
	;;#ASMSTART
	v_cvt_f32_f16 v10, v7;
	;;#ASMEND
	v_lshrrev_b32_e32 v7, 16, v8
	v_and_b32_e32 v8, 0xffff, v8
	v_fmac_f32_e32 v24, v15, v17
	v_fmac_f32_e32 v45, v16, v18
	;;#ASMSTART
	v_cvt_f32_f16 v14, v14;
	;;#ASMEND
	;;#ASMSTART
	v_cvt_f32_f16 v15, v8;
	;;#ASMEND
	;; [unrolled: 3-line block ×3, first 2 shown]
	ds_read_b64 v[7:8], v34 offset:80
	v_fmac_f32_e32 v44, v9, v12
	v_fmac_f32_e32 v23, v11, v13
	s_waitcnt vmcnt(1)
	v_lshrrev_b32_e32 v11, 16, v5
	v_and_b32_e32 v5, 0xffff, v5
	s_waitcnt lgkmcnt(0)
	v_lshrrev_b32_e32 v9, 16, v7
	v_and_b32_e32 v7, 0xffff, v7
	v_fmac_f32_e32 v24, v10, v15
	;;#ASMSTART
	v_cvt_f32_f16 v7, v7;
	;;#ASMEND
	;;#ASMSTART
	v_cvt_f32_f16 v9, v9;
	;;#ASMEND
	;; [unrolled: 3-line block ×3, first 2 shown]
	v_lshrrev_b32_e32 v5, 16, v8
	v_and_b32_e32 v8, 0xffff, v8
	;;#ASMSTART
	v_cvt_f32_f16 v11, v11;
	;;#ASMEND
	;;#ASMSTART
	v_cvt_f32_f16 v8, v8;
	;;#ASMEND
	;; [unrolled: 3-line block ×3, first 2 shown]
	v_lshrrev_b32_e32 v5, 16, v6
	v_and_b32_e32 v6, 0xffff, v6
	v_fmac_f32_e32 v45, v14, v16
	;;#ASMSTART
	v_cvt_f32_f16 v13, v6;
	;;#ASMEND
	;;#ASMSTART
	v_cvt_f32_f16 v14, v5;
	;;#ASMEND
	ds_read_b64 v[5:6], v34 offset:88
	v_fmac_f32_e32 v44, v7, v10
	v_fmac_f32_e32 v24, v8, v13
	s_waitcnt vmcnt(0)
	v_lshrrev_b32_e32 v8, 16, v3
	v_and_b32_e32 v3, 0xffff, v3
	s_waitcnt lgkmcnt(0)
	v_lshrrev_b32_e32 v7, 16, v5
	v_and_b32_e32 v5, 0xffff, v5
	;;#ASMSTART
	v_cvt_f32_f16 v5, v5;
	;;#ASMEND
	;;#ASMSTART
	v_cvt_f32_f16 v7, v7;
	;;#ASMEND
	;; [unrolled: 3-line block ×3, first 2 shown]
	v_fmac_f32_e32 v23, v9, v11
	v_fmac_f32_e32 v44, v5, v3
	v_and_b32_e32 v3, 0xffff, v6
	;;#ASMSTART
	v_cvt_f32_f16 v8, v8;
	;;#ASMEND
	v_fmac_f32_e32 v23, v7, v8
	v_lshrrev_b32_e32 v5, 16, v6
	;;#ASMSTART
	v_cvt_f32_f16 v3, v3;
	;;#ASMEND
	v_lshrrev_b32_e32 v6, 16, v4
	v_and_b32_e32 v4, 0xffff, v4
	v_fmac_f32_e32 v45, v12, v14
	;;#ASMSTART
	v_cvt_f32_f16 v5, v5;
	;;#ASMEND
	;;#ASMSTART
	v_cvt_f32_f16 v4, v4;
	;;#ASMEND
	v_fmac_f32_e32 v24, v3, v4
	v_add_f32_e32 v3, v44, v23
	;;#ASMSTART
	v_cvt_f32_f16 v6, v6;
	;;#ASMEND
	v_fmac_f32_e32 v45, v5, v6
	v_add_f32_e32 v3, v3, v24
	v_cndmask_b32_e32 v4, v40, v41, vcc
	v_add_f32_e32 v3, v45, v3
	v_lshlrev_b32_e32 v4, 2, v4
	ds_bpermute_b32 v4, v4, v3
	s_and_saveexec_b64 s[38:39], s[2:3]
	s_cbranch_execz .LBB93_11
; %bb.19:                               ;   in Loop: Header=BB93_13 Depth=1
	v_add_u32_e32 v5, v37, v36
	v_cvt_f32_i32_e32 v5, v5
	s_waitcnt lgkmcnt(0)
	v_add_f32_e32 v3, v3, v4
	v_add_u32_e32 v6, v30, v36
	v_cmp_gt_i32_e32 vcc, s33, v6
	v_mul_f32_e32 v4, s42, v5
	v_cndmask_b32_e64 v4, 0, v4, s[4:5]
	v_fmac_f32_e32 v4, s31, v3
	v_cndmask_b32_e32 v3, 0, v4, vcc
	ds_write_b32 v38, v3
	v_max_f32_e32 v3, v33, v33
	v_max_f32_e32 v3, v3, v4
	v_cndmask_b32_e32 v33, v33, v3, vcc
	s_branch .LBB93_11
.LBB93_20:
	s_or_b64 exec, exec, s[36:37]
.LBB93_21:
	s_or_b64 exec, exec, s[34:35]
	v_mbcnt_hi_u32_b32 v1, -1, v29
	v_and_b32_e32 v8, 64, v1
	v_add_u32_e32 v11, 64, v8
	v_xor_b32_e32 v2, 32, v1
	v_cmp_lt_i32_e32 vcc, v2, v11
	v_cndmask_b32_e32 v2, v1, v2, vcc
	v_lshlrev_b32_e32 v2, 2, v2
	ds_bpermute_b32 v3, v2, v33
	v_xor_b32_e32 v5, 16, v1
	s_waitcnt lgkmcnt(1)
	v_max_f32_e32 v4, v33, v33
	v_cmp_lt_i32_e32 vcc, v5, v11
	v_xor_b32_e32 v6, 8, v1
	s_waitcnt lgkmcnt(0)
	v_max_f32_e32 v3, v3, v3
	v_max_f32_e32 v4, v4, v3
	v_cndmask_b32_e32 v3, v1, v5, vcc
	v_lshlrev_b32_e32 v3, 2, v3
	ds_bpermute_b32 v5, v3, v4
	v_cmp_lt_i32_e32 vcc, v6, v11
	v_xor_b32_e32 v7, 4, v1
	v_xor_b32_e32 v9, 2, v1
	s_waitcnt lgkmcnt(0)
	v_max_f32_e32 v5, v5, v5
	v_max_f32_e32 v5, v4, v5
	v_cndmask_b32_e32 v4, v1, v6, vcc
	v_lshlrev_b32_e32 v4, 2, v4
	ds_bpermute_b32 v6, v4, v5
	v_cmp_lt_i32_e32 vcc, v7, v11
	s_waitcnt lgkmcnt(0)
	v_max_f32_e32 v6, v6, v6
	v_max_f32_e32 v6, v5, v6
	v_cndmask_b32_e32 v5, v1, v7, vcc
	v_lshlrev_b32_e32 v5, 2, v5
	ds_bpermute_b32 v7, v5, v6
	v_cmp_lt_i32_e32 vcc, v9, v11
	s_waitcnt lgkmcnt(0)
	v_max_f32_e32 v7, v7, v7
	v_max_f32_e32 v7, v6, v7
	v_cndmask_b32_e32 v6, v1, v9, vcc
	v_lshlrev_b32_e32 v10, 2, v6
	ds_bpermute_b32 v12, v10, v7
	v_and_b32_e32 v9, 63, v0
	v_cmp_eq_u32_e32 vcc, 0, v9
	v_lshlrev_b32_e32 v6, 2, v25
	s_and_saveexec_b64 s[2:3], vcc
	s_cbranch_execz .LBB93_23
; %bb.22:
	s_waitcnt lgkmcnt(0)
	v_max_f32_e32 v12, v12, v12
	v_max_f32_e32 v7, v7, v7
	;; [unrolled: 1-line block ×3, first 2 shown]
	ds_write_b32 v6, v7 offset:192
.LBB93_23:
	s_or_b64 exec, exec, s[2:3]
	v_cmp_gt_u32_e64 s[2:3], 2, v9
	s_waitcnt lgkmcnt(0)
	v_mov_b32_e32 v12, 0xff7fffff
	v_lshlrev_b32_e32 v7, 2, v9
	s_barrier
	s_and_saveexec_b64 s[4:5], s[2:3]
; %bb.24:
	ds_read_b32 v12, v7 offset:192
; %bb.25:
	s_or_b64 exec, exec, s[4:5]
	v_xor_b32_e32 v13, 1, v1
	v_cmp_lt_i32_e64 s[4:5], v13, v11
	v_cndmask_b32_e64 v11, v1, v13, s[4:5]
	v_lshlrev_b32_e32 v11, 2, v11
	s_waitcnt lgkmcnt(0)
	ds_bpermute_b32 v13, v11, v12
	v_max_f32_e32 v12, v12, v12
	v_lshlrev_b32_e32 v8, 2, v8
	s_lshl_b32 s4, s16, 5
	s_min_i32 s15, s4, s33
	s_waitcnt lgkmcnt(0)
	v_max_f32_e32 v13, v13, v13
	v_max_f32_e32 v12, v12, v13
	ds_bpermute_b32 v12, v8, v12
	v_cmp_gt_i32_e64 s[4:5], s15, v0
	v_mov_b32_e32 v8, 0
	s_and_saveexec_b64 s[30:31], s[4:5]
	s_cbranch_execz .LBB93_29
; %bb.26:
	v_mov_b32_e32 v8, 0xd0
	v_lshl_add_u32 v13, v0, 2, v8
	v_mov_b32_e32 v8, 0
	s_mov_b64 s[34:35], 0
	v_mov_b32_e32 v14, v0
.LBB93_27:                              ; =>This Inner Loop Header: Depth=1
	ds_read_b32 v15, v13
	v_add_u32_e32 v14, 0x80, v14
	v_cmp_le_i32_e64 s[6:7], s15, v14
	s_or_b64 s[34:35], s[6:7], s[34:35]
	s_waitcnt lgkmcnt(0)
	v_sub_f32_e32 v15, v15, v12
	v_mul_f32_e32 v15, 0x3fb8aa3b, v15
	v_exp_f32_e32 v15, v15
	ds_write_b32 v13, v15
	v_add_f32_e32 v8, v8, v15
	v_add_u32_e32 v13, 0x200, v13
	s_andn2_b64 exec, exec, s[34:35]
	s_cbranch_execnz .LBB93_27
; %bb.28:
	s_or_b64 exec, exec, s[34:35]
.LBB93_29:
	s_or_b64 exec, exec, s[30:31]
	ds_bpermute_b32 v2, v2, v8
	s_waitcnt lgkmcnt(0)
	v_add_f32_e32 v2, v8, v2
	ds_bpermute_b32 v3, v3, v2
	s_waitcnt lgkmcnt(0)
	v_add_f32_e32 v2, v2, v3
	;; [unrolled: 3-line block ×6, first 2 shown]
	s_and_saveexec_b64 s[6:7], vcc
; %bb.30:
	ds_write_b32 v6, v2 offset:200
; %bb.31:
	s_or_b64 exec, exec, s[6:7]
	s_waitcnt lgkmcnt(0)
	s_barrier
	s_and_saveexec_b64 s[6:7], s[2:3]
; %bb.32:
	ds_read_b32 v2, v7 offset:200
; %bb.33:
	s_or_b64 exec, exec, s[6:7]
	s_waitcnt lgkmcnt(0)
	ds_bpermute_b32 v3, v11, v2
	v_lshlrev_b32_e32 v1, 2, v1
	v_and_b32_e32 v1, 0x100, v1
	s_waitcnt lgkmcnt(0)
	v_add_f32_e32 v2, v2, v3
	ds_bpermute_b32 v1, v1, v2
	s_and_saveexec_b64 s[2:3], s[4:5]
	s_cbranch_execz .LBB93_36
; %bb.34:
	s_waitcnt lgkmcnt(0)
	v_add_f32_e32 v2, 0x358637bd, v1
	v_div_scale_f32 v1, s[4:5], v2, v2, 1.0
	v_div_scale_f32 v3, vcc, 1.0, v2, 1.0
	s_mov_b64 s[4:5], 0
	v_rcp_f32_e32 v4, v1
	v_fma_f32 v5, -v1, v4, 1.0
	v_fmac_f32_e32 v4, v5, v4
	v_mul_f32_e32 v5, v3, v4
	v_fma_f32 v6, -v1, v5, v3
	v_fmac_f32_e32 v5, v6, v4
	v_fma_f32 v1, -v1, v5, v3
	v_div_fmas_f32 v3, v1, v4, v5
	v_mov_b32_e32 v1, 0xd0
	v_lshl_add_u32 v1, v0, 2, v1
	v_div_fixup_f32 v2, v3, v2, 1.0
	v_mov_b32_e32 v3, v0
.LBB93_35:                              ; =>This Inner Loop Header: Depth=1
	ds_read_b32 v4, v1
	v_add_u32_e32 v3, 0x80, v3
	v_cmp_le_i32_e32 vcc, s15, v3
	s_or_b64 s[4:5], vcc, s[4:5]
	s_waitcnt lgkmcnt(0)
	v_mul_f32_e32 v4, v2, v4
	ds_write_b32 v1, v4
	v_add_u32_e32 v1, 0x200, v1
	s_andn2_b64 exec, exec, s[4:5]
	s_cbranch_execnz .LBB93_35
.LBB93_36:
	s_or_b64 exec, exec, s[2:3]
	v_mov_b32_e32 v18, 0
	v_and_b32_e32 v12, 3, v0
	v_mov_b32_e32 v17, 0
	v_mov_b32_e32 v16, 0
	;; [unrolled: 1-line block ×5, first 2 shown]
	s_waitcnt lgkmcnt(0)
	s_barrier
	s_and_saveexec_b64 s[2:3], s[0:1]
	s_cbranch_execz .LBB93_54
; %bb.37:
	s_ashr_i32 s15, s14, 31
	s_sub_i32 s17, s12, s17
	s_lshl_b64 s[0:1], s[14:15], 1
	s_add_u32 s0, s28, s0
	s_addc_u32 s1, s29, s1
	s_abs_i32 s14, s18
	v_cvt_f32_u32_e32 v1, s14
	s_sub_i32 s4, 0, s14
	v_lshlrev_b32_e32 v2, 4, v0
	v_and_b32_e32 v2, 0x3f0, v2
	v_rcp_iflag_f32_e32 v1, v1
	s_add_i32 s18, s16, -1
	v_mov_b32_e32 v5, s1
	v_add_co_u32_e32 v21, vcc, s0, v2
	v_mul_f32_e32 v1, 0x4f7ffffe, v1
	v_cvt_u32_f32_e32 v1, v1
	s_lshl_b64 s[0:1], s[26:27], 2
	s_add_u32 s0, s24, s0
	v_and_b32_e32 v3, 60, v28
	v_mul_lo_u32 v4, s4, v1
	v_addc_co_u32_e32 v22, vcc, 0, v5, vcc
	s_addc_u32 s1, s25, s1
	v_mul_hi_u32 v4, v1, v4
	v_add_co_u32_e32 v5, vcc, s0, v3
	v_and_b32_e32 v19, 24, v27
	v_add_u32_e32 v23, v1, v4
	v_mov_b32_e32 v1, s1
	v_addc_co_u32_e32 v6, vcc, 0, v1, vcc
	v_lshlrev_b32_e32 v1, 5, v12
	v_lshl_or_b32 v1, v25, 7, v1
	s_mov_b32 s15, s13
	v_mov_b32_e32 v20, 0
	v_add_u32_e32 v24, 0xd0, v1
	s_mov_b64 s[4:5], 0
	s_mov_b32 s24, 0xffff
	v_mov_b32_e32 v13, 0
	v_mov_b32_e32 v14, 0
	;; [unrolled: 1-line block ×6, first 2 shown]
	s_branch .LBB93_40
.LBB93_38:                              ;   in Loop: Header=BB93_40 Depth=1
	s_or_b64 exec, exec, s[12:13]
	v_add_f32_e32 v27, v47, v48
	v_add_f32_e32 v14, v14, v27
	;; [unrolled: 1-line block ×10, first 2 shown]
	v_lshlrev_b32_e32 v27, 16, v49
	v_and_or_b32 v1, v1, s24, v27
	v_lshlrev_b32_e32 v8, 16, v8
	v_lshlrev_b32_e32 v7, 16, v7
	v_and_or_b32 v2, v2, s24, v8
	v_and_or_b32 v3, v3, s24, v7
	;;#ASMSTART
	v_pk_mul_f16 v1, v36, v1;

	;;#ASMEND
	;;#ASMSTART
	v_pk_mul_f16 v2, v37, v2;

	;;#ASMEND
	;; [unrolled: 4-line block ×4, first 2 shown]
	;;#ASMSTART
	v_pk_add_f16 v1, v1, v2;

	;;#ASMEND
	;;#ASMSTART
	v_pk_add_f16 v1, v1, v3;

	;;#ASMEND
	;; [unrolled: 4-line block ×3, first 2 shown]
	v_lshrrev_b32_e32 v2, 16, v1
	v_and_b32_e32 v1, 0xffff, v1
	;;#ASMSTART
	v_cvt_f32_f16 v1, v1;
	;;#ASMEND
	;;#ASMSTART
	v_cvt_f32_f16 v2, v2;
	;;#ASMEND
	v_add_f32_e32 v1, v1, v2
	v_add_f32_e32 v13, v13, v1
.LBB93_39:                              ;   in Loop: Header=BB93_40 Depth=1
	s_or_b64 exec, exec, s[6:7]
	v_add_co_u32_e32 v5, vcc, 8, v5
	v_add_u32_e32 v25, 2, v25
	v_addc_co_u32_e32 v6, vcc, 0, v6, vcc
	v_cmp_le_i32_e32 vcc, s16, v25
	v_add_u32_e32 v26, 64, v26
	s_or_b64 s[4:5], vcc, s[4:5]
	v_add_u32_e32 v24, 0x100, v24
	s_andn2_b64 exec, exec, s[4:5]
	s_cbranch_execz .LBB93_53
.LBB93_40:                              ; =>This Inner Loop Header: Depth=1
	v_mul_hi_u32 v1, v26, s40
	v_mul_lo_u32 v2, v1, s21
	v_add_u32_e32 v3, 1, v1
	v_sub_u32_e32 v2, v26, v2
	v_cmp_le_u32_e32 vcc, s21, v2
	v_cndmask_b32_e32 v1, v1, v3, vcc
	v_subrev_u32_e32 v3, s21, v2
	v_cndmask_b32_e32 v2, v2, v3, vcc
	v_add_u32_e32 v3, 1, v1
	v_cmp_le_u32_e32 vcc, s21, v2
	v_cndmask_b32_e32 v1, v1, v3, vcc
	v_xor_b32_e32 v1, s19, v1
	v_subrev_u32_e32 v1, s19, v1
	v_add_u32_e32 v2, s41, v1
	v_sub_u32_e32 v3, 0, v2
	v_max_i32_e32 v3, v2, v3
	v_mul_hi_u32 v4, v3, v23
	v_ashrrev_i32_e32 v2, 31, v2
	v_cmp_lt_i32_e64 s[0:1], s17, v1
	v_mul_lo_u32 v4, v4, s14
	v_sub_u32_e32 v3, v3, v4
	v_subrev_u32_e32 v4, s14, v3
	v_cmp_le_u32_e32 vcc, s14, v3
	v_cndmask_b32_e32 v3, v3, v4, vcc
	v_subrev_u32_e32 v4, s14, v3
	v_cmp_le_u32_e32 vcc, s14, v3
	v_cndmask_b32_e32 v3, v3, v4, vcc
	v_xor_b32_e32 v3, v3, v2
	v_sub_u32_e32 v2, v3, v2
	v_cmp_eq_u32_e32 vcc, 0, v2
	s_or_b64 s[0:1], vcc, s[0:1]
	s_and_saveexec_b64 s[6:7], s[0:1]
	s_cbranch_execz .LBB93_39
; %bb.41:                               ;   in Loop: Header=BB93_40 Depth=1
	global_load_dword v7, v[5:6], off
	ds_read2_b64 v[1:4], v24 offset1:1
	ds_read2_b64 v[27:30], v24 offset0:2 offset1:3
	s_waitcnt lgkmcnt(1)
	;;#ASMSTART
	v_cvt_f16_f32 v35, v1;

	;;#ASMEND
	;;#ASMSTART
	v_cvt_f16_f32 v36, v2;

	;;#ASMEND
	;; [unrolled: 4-line block ×4, first 2 shown]
	s_waitcnt lgkmcnt(0)
	;;#ASMSTART
	v_cvt_f16_f32 v39, v27;

	;;#ASMEND
	;;#ASMSTART
	v_cvt_f16_f32 v40, v28;

	;;#ASMEND
	;; [unrolled: 4-line block ×4, first 2 shown]
	v_add_u32_e32 v27, v19, v26
	v_add_u32_e32 v34, 1, v27
	;; [unrolled: 1-line block ×8, first 2 shown]
	s_waitcnt vmcnt(0)
	v_mad_i64_i32 v[1:2], s[0:1], v7, s15, 0
	v_cmp_eq_u32_e64 s[0:1], s18, v25
	v_lshlrev_b64 v[1:2], 1, v[1:2]
	v_add_co_u32_e32 v7, vcc, v21, v1
	v_addc_co_u32_e32 v8, vcc, v22, v2, vcc
	global_load_dwordx4 v[1:4], v[7:8], off
	s_waitcnt vmcnt(0)
	v_lshrrev_b32_e32 v45, 16, v1
	v_lshrrev_b32_e32 v44, 16, v2
	;; [unrolled: 1-line block ×3, first 2 shown]
	s_and_saveexec_b64 s[12:13], s[0:1]
	s_cbranch_execz .LBB93_43
; %bb.42:                               ;   in Loop: Header=BB93_40 Depth=1
	v_cmp_gt_i32_e32 vcc, s33, v27
	v_cndmask_b32_e32 v1, 0, v1, vcc
	v_cmp_gt_i32_e32 vcc, s33, v34
	v_cndmask_b32_e32 v45, 0, v45, vcc
	;; [unrolled: 2-line block ×6, first 2 shown]
	v_cmp_gt_i32_e32 vcc, s33, v29
	v_cndmask_b32_sdwa v46, v20, v4, vcc dst_sel:DWORD dst_unused:UNUSED_PAD src0_sel:DWORD src1_sel:WORD_0
	v_and_b32_e32 v4, 0xffff0000, v4
	v_cmp_gt_i32_e32 vcc, s33, v28
	v_cndmask_b32_e32 v4, 0, v4, vcc
	v_or_b32_e32 v4, v46, v4
.LBB93_43:                              ;   in Loop: Header=BB93_40 Depth=1
	s_or_b64 exec, exec, s[12:13]
	v_and_b32_e32 v35, 0xffff, v35
	v_lshl_or_b32 v36, v36, 16, v35
	v_and_b32_e32 v35, 0xffff, v37
	v_lshl_or_b32 v37, v38, 16, v35
	v_and_b32_e32 v35, 0xffff, v39
	v_lshlrev_b32_e32 v39, 16, v45
	v_and_or_b32 v1, v1, s24, v39
	v_lshlrev_b32_e32 v39, 16, v44
	v_and_or_b32 v2, v2, s24, v39
	v_lshlrev_b32_e32 v39, 16, v43
	v_lshl_or_b32 v38, v40, 16, v35
	v_and_b32_e32 v35, 0xffff, v41
	v_and_or_b32 v3, v3, s24, v39
	;;#ASMSTART
	v_pk_mul_f16 v1, v36, v1;

	;;#ASMEND
	v_lshl_or_b32 v35, v42, 16, v35
	;;#ASMSTART
	v_pk_mul_f16 v2, v37, v2;

	;;#ASMEND
	;;#ASMSTART
	v_pk_mul_f16 v3, v38, v3;

	;;#ASMEND
	;; [unrolled: 4-line block ×3, first 2 shown]
	;;#ASMSTART
	v_pk_add_f16 v1, v1, v2;

	;;#ASMEND
	;;#ASMSTART
	v_pk_add_f16 v1, v1, v3;

	;;#ASMEND
	;; [unrolled: 4-line block ×3, first 2 shown]
	v_lshrrev_b32_e32 v2, 16, v1
	v_and_b32_e32 v1, 0xffff, v1
	;;#ASMSTART
	v_cvt_f32_f16 v39, v1;
	;;#ASMEND
	;;#ASMSTART
	v_cvt_f32_f16 v40, v2;
	;;#ASMEND
	global_load_dwordx4 v[1:4], v[7:8], off offset:1024
	s_waitcnt vmcnt(0)
	v_lshrrev_b32_e32 v43, 16, v1
	v_lshrrev_b32_e32 v42, 16, v2
	;; [unrolled: 1-line block ×3, first 2 shown]
	s_and_saveexec_b64 s[12:13], s[0:1]
	s_cbranch_execz .LBB93_45
; %bb.44:                               ;   in Loop: Header=BB93_40 Depth=1
	v_cmp_gt_i32_e32 vcc, s33, v27
	v_cndmask_b32_e32 v1, 0, v1, vcc
	v_cmp_gt_i32_e32 vcc, s33, v34
	v_cndmask_b32_e32 v43, 0, v43, vcc
	;; [unrolled: 2-line block ×6, first 2 shown]
	v_cmp_gt_i32_e32 vcc, s33, v29
	v_cndmask_b32_sdwa v44, v20, v4, vcc dst_sel:DWORD dst_unused:UNUSED_PAD src0_sel:DWORD src1_sel:WORD_0
	v_and_b32_e32 v4, 0xffff0000, v4
	v_cmp_gt_i32_e32 vcc, s33, v28
	v_cndmask_b32_e32 v4, 0, v4, vcc
	v_or_b32_e32 v4, v44, v4
.LBB93_45:                              ;   in Loop: Header=BB93_40 Depth=1
	s_or_b64 exec, exec, s[12:13]
	v_lshlrev_b32_e32 v43, 16, v43
	v_and_or_b32 v1, v1, s24, v43
	v_lshlrev_b32_e32 v42, 16, v42
	v_lshlrev_b32_e32 v41, 16, v41
	v_and_or_b32 v2, v2, s24, v42
	v_and_or_b32 v3, v3, s24, v41
	;;#ASMSTART
	v_pk_mul_f16 v1, v36, v1;

	;;#ASMEND
	;;#ASMSTART
	v_pk_mul_f16 v2, v37, v2;

	;;#ASMEND
	;;#ASMSTART
	v_pk_mul_f16 v3, v38, v3;

	;;#ASMEND
	;;#ASMSTART
	v_pk_mul_f16 v4, v35, v4;

	;;#ASMEND
	;;#ASMSTART
	v_pk_add_f16 v1, v1, v2;

	;;#ASMEND
	;;#ASMSTART
	v_pk_add_f16 v1, v1, v3;

	;;#ASMEND
	;;#ASMSTART
	v_pk_add_f16 v1, v1, v4;

	;;#ASMEND
	v_lshrrev_b32_e32 v2, 16, v1
	v_and_b32_e32 v1, 0xffff, v1
	;;#ASMSTART
	v_cvt_f32_f16 v41, v1;
	;;#ASMEND
	;;#ASMSTART
	v_cvt_f32_f16 v42, v2;
	;;#ASMEND
	global_load_dwordx4 v[1:4], v[7:8], off offset:2048
	s_waitcnt vmcnt(0)
	v_lshrrev_b32_e32 v45, 16, v1
	v_lshrrev_b32_e32 v44, 16, v2
	;; [unrolled: 1-line block ×3, first 2 shown]
	s_and_saveexec_b64 s[12:13], s[0:1]
	s_cbranch_execz .LBB93_47
; %bb.46:                               ;   in Loop: Header=BB93_40 Depth=1
	v_cmp_gt_i32_e32 vcc, s33, v27
	v_cndmask_b32_e32 v1, 0, v1, vcc
	v_cmp_gt_i32_e32 vcc, s33, v34
	v_cndmask_b32_e32 v45, 0, v45, vcc
	;; [unrolled: 2-line block ×6, first 2 shown]
	v_cmp_gt_i32_e32 vcc, s33, v29
	v_cndmask_b32_sdwa v46, v20, v4, vcc dst_sel:DWORD dst_unused:UNUSED_PAD src0_sel:DWORD src1_sel:WORD_0
	v_and_b32_e32 v4, 0xffff0000, v4
	v_cmp_gt_i32_e32 vcc, s33, v28
	v_cndmask_b32_e32 v4, 0, v4, vcc
	v_or_b32_e32 v4, v46, v4
.LBB93_47:                              ;   in Loop: Header=BB93_40 Depth=1
	s_or_b64 exec, exec, s[12:13]
	v_lshlrev_b32_e32 v45, 16, v45
	v_and_or_b32 v1, v1, s24, v45
	v_lshlrev_b32_e32 v44, 16, v44
	v_lshlrev_b32_e32 v43, 16, v43
	v_and_or_b32 v2, v2, s24, v44
	v_and_or_b32 v3, v3, s24, v43
	;;#ASMSTART
	v_pk_mul_f16 v1, v36, v1;

	;;#ASMEND
	;;#ASMSTART
	v_pk_mul_f16 v2, v37, v2;

	;;#ASMEND
	;; [unrolled: 4-line block ×4, first 2 shown]
	;;#ASMSTART
	v_pk_add_f16 v1, v1, v2;

	;;#ASMEND
	;;#ASMSTART
	v_pk_add_f16 v1, v1, v3;

	;;#ASMEND
	;;#ASMSTART
	v_pk_add_f16 v1, v1, v4;

	;;#ASMEND
	v_lshrrev_b32_e32 v2, 16, v1
	v_and_b32_e32 v1, 0xffff, v1
	;;#ASMSTART
	v_cvt_f32_f16 v43, v1;
	;;#ASMEND
	;;#ASMSTART
	v_cvt_f32_f16 v44, v2;
	;;#ASMEND
	global_load_dwordx4 v[1:4], v[7:8], off offset:3072
	s_waitcnt vmcnt(0)
	v_lshrrev_b32_e32 v47, 16, v1
	v_lshrrev_b32_e32 v46, 16, v2
	;; [unrolled: 1-line block ×3, first 2 shown]
	s_and_saveexec_b64 s[12:13], s[0:1]
	s_cbranch_execz .LBB93_49
; %bb.48:                               ;   in Loop: Header=BB93_40 Depth=1
	v_cmp_gt_i32_e32 vcc, s33, v27
	v_cndmask_b32_e32 v1, 0, v1, vcc
	v_cmp_gt_i32_e32 vcc, s33, v34
	v_cndmask_b32_e32 v47, 0, v47, vcc
	;; [unrolled: 2-line block ×6, first 2 shown]
	v_cmp_gt_i32_e32 vcc, s33, v29
	v_cndmask_b32_sdwa v48, v20, v4, vcc dst_sel:DWORD dst_unused:UNUSED_PAD src0_sel:DWORD src1_sel:WORD_0
	v_and_b32_e32 v4, 0xffff0000, v4
	v_cmp_gt_i32_e32 vcc, s33, v28
	v_cndmask_b32_e32 v4, 0, v4, vcc
	v_or_b32_e32 v4, v48, v4
.LBB93_49:                              ;   in Loop: Header=BB93_40 Depth=1
	s_or_b64 exec, exec, s[12:13]
	v_lshlrev_b32_e32 v47, 16, v47
	v_and_or_b32 v1, v1, s24, v47
	v_lshlrev_b32_e32 v46, 16, v46
	v_lshlrev_b32_e32 v45, 16, v45
	v_and_or_b32 v2, v2, s24, v46
	v_and_or_b32 v3, v3, s24, v45
	;;#ASMSTART
	v_pk_mul_f16 v1, v36, v1;

	;;#ASMEND
	;;#ASMSTART
	v_pk_mul_f16 v2, v37, v2;

	;;#ASMEND
	;; [unrolled: 4-line block ×4, first 2 shown]
	;;#ASMSTART
	v_pk_add_f16 v1, v1, v2;

	;;#ASMEND
	;;#ASMSTART
	v_pk_add_f16 v1, v1, v3;

	;;#ASMEND
	;; [unrolled: 4-line block ×3, first 2 shown]
	v_lshrrev_b32_e32 v2, 16, v1
	v_and_b32_e32 v1, 0xffff, v1
	;;#ASMSTART
	v_cvt_f32_f16 v45, v1;
	;;#ASMEND
	v_add_co_u32_e32 v1, vcc, 0x1000, v7
	;;#ASMSTART
	v_cvt_f32_f16 v46, v2;
	;;#ASMEND
	v_addc_co_u32_e32 v2, vcc, 0, v8, vcc
	global_load_dwordx4 v[1:4], v[1:2], off
	s_waitcnt vmcnt(0)
	v_lshrrev_b32_e32 v49, 16, v1
	v_lshrrev_b32_e32 v48, 16, v2
	;; [unrolled: 1-line block ×3, first 2 shown]
	s_and_saveexec_b64 s[12:13], s[0:1]
	s_cbranch_execz .LBB93_51
; %bb.50:                               ;   in Loop: Header=BB93_40 Depth=1
	v_cmp_gt_i32_e32 vcc, s33, v27
	v_cndmask_b32_e32 v1, 0, v1, vcc
	v_cmp_gt_i32_e32 vcc, s33, v34
	v_cndmask_b32_e32 v49, 0, v49, vcc
	;; [unrolled: 2-line block ×6, first 2 shown]
	v_cmp_gt_i32_e32 vcc, s33, v29
	v_cndmask_b32_sdwa v50, v20, v4, vcc dst_sel:DWORD dst_unused:UNUSED_PAD src0_sel:DWORD src1_sel:WORD_0
	v_and_b32_e32 v4, 0xffff0000, v4
	v_cmp_gt_i32_e32 vcc, s33, v28
	v_cndmask_b32_e32 v4, 0, v4, vcc
	v_or_b32_e32 v4, v50, v4
.LBB93_51:                              ;   in Loop: Header=BB93_40 Depth=1
	s_or_b64 exec, exec, s[12:13]
	v_lshlrev_b32_e32 v49, 16, v49
	v_and_or_b32 v1, v1, s24, v49
	v_lshlrev_b32_e32 v48, 16, v48
	v_lshlrev_b32_e32 v47, 16, v47
	v_and_or_b32 v2, v2, s24, v48
	v_and_or_b32 v3, v3, s24, v47
	;;#ASMSTART
	v_pk_mul_f16 v1, v36, v1;

	;;#ASMEND
	;;#ASMSTART
	v_pk_mul_f16 v2, v37, v2;

	;;#ASMEND
	;;#ASMSTART
	v_pk_mul_f16 v3, v38, v3;

	;;#ASMEND
	;;#ASMSTART
	v_pk_mul_f16 v4, v35, v4;

	;;#ASMEND
	;;#ASMSTART
	v_pk_add_f16 v1, v1, v2;

	;;#ASMEND
	;;#ASMSTART
	v_pk_add_f16 v1, v1, v3;

	;;#ASMEND
	;; [unrolled: 4-line block ×3, first 2 shown]
	v_lshrrev_b32_e32 v2, 16, v1
	v_and_b32_e32 v1, 0xffff, v1
	;;#ASMSTART
	v_cvt_f32_f16 v47, v1;
	;;#ASMEND
	v_add_co_u32_e32 v1, vcc, 0x1000, v7
	;;#ASMSTART
	v_cvt_f32_f16 v48, v2;
	;;#ASMEND
	v_addc_co_u32_e32 v2, vcc, 0, v8, vcc
	global_load_dwordx4 v[1:4], v[1:2], off offset:1024
	s_waitcnt vmcnt(0)
	v_lshrrev_b32_e32 v49, 16, v1
	v_lshrrev_b32_e32 v8, 16, v2
	;; [unrolled: 1-line block ×3, first 2 shown]
	s_and_saveexec_b64 s[12:13], s[0:1]
	s_cbranch_execz .LBB93_38
; %bb.52:                               ;   in Loop: Header=BB93_40 Depth=1
	v_cmp_gt_i32_e32 vcc, s33, v27
	v_cndmask_b32_e32 v1, 0, v1, vcc
	v_cmp_gt_i32_e32 vcc, s33, v34
	v_cndmask_b32_e32 v49, 0, v49, vcc
	;; [unrolled: 2-line block ×6, first 2 shown]
	v_cmp_gt_i32_e32 vcc, s33, v29
	v_cndmask_b32_sdwa v27, v20, v4, vcc dst_sel:DWORD dst_unused:UNUSED_PAD src0_sel:DWORD src1_sel:WORD_0
	v_and_b32_e32 v4, 0xffff0000, v4
	v_cmp_gt_i32_e32 vcc, s33, v28
	v_cndmask_b32_e32 v4, 0, v4, vcc
	v_or_b32_e32 v4, v27, v4
	s_branch .LBB93_38
.LBB93_53:
	s_or_b64 exec, exec, s[4:5]
.LBB93_54:
	s_or_b64 exec, exec, s[2:3]
	ds_bpermute_b32 v1, v10, v18
	ds_bpermute_b32 v2, v10, v17
	;; [unrolled: 1-line block ×5, first 2 shown]
	s_waitcnt lgkmcnt(4)
	v_add_f32_e32 v1, v18, v1
	ds_bpermute_b32 v6, v11, v1
	s_waitcnt lgkmcnt(4)
	v_add_f32_e32 v2, v17, v2
	s_waitcnt lgkmcnt(3)
	v_add_f32_e32 v3, v16, v3
	ds_bpermute_b32 v7, v11, v2
	s_waitcnt lgkmcnt(3)
	v_add_f32_e32 v4, v15, v4
	s_waitcnt lgkmcnt(1)
	v_add_f32_e32 v1, v1, v6
	ds_bpermute_b32 v6, v10, v13
	v_add_f32_e32 v14, v14, v5
	ds_bpermute_b32 v8, v11, v3
	ds_bpermute_b32 v10, v11, v4
	;; [unrolled: 1-line block ×3, first 2 shown]
	s_waitcnt lgkmcnt(3)
	v_add_f32_e32 v13, v13, v6
	ds_bpermute_b32 v11, v11, v13
	v_add_f32_e32 v6, v2, v7
	v_and_b32_e32 v7, 0x3c3, v0
	s_waitcnt lgkmcnt(3)
	v_add_f32_e32 v5, v3, v8
	s_waitcnt lgkmcnt(2)
	v_add_f32_e32 v4, v4, v10
	;; [unrolled: 2-line block ×4, first 2 shown]
	v_cmp_eq_u32_e32 vcc, 64, v7
	s_barrier
	s_and_saveexec_b64 s[0:1], vcc
	s_cbranch_execz .LBB93_56
; %bb.55:
	v_add_u32_e32 v8, 0xd0, v9
	ds_write2_b32 v8, v1, v6 offset1:16
	ds_write2_b32 v8, v5, v4 offset0:32 offset1:48
	ds_write2_b32 v8, v3, v2 offset0:64 offset1:80
.LBB93_56:
	s_or_b64 exec, exec, s[0:1]
	v_cmp_gt_u32_e32 vcc, 64, v0
	v_lshrrev_b32_e32 v0, 2, v0
	s_waitcnt lgkmcnt(0)
	s_barrier
	s_and_saveexec_b64 s[0:1], vcc
	s_cbranch_execz .LBB93_65
; %bb.57:
	v_mov_b32_e32 v8, 0xd0
	v_cmp_eq_u32_e32 vcc, 0, v12
	v_lshl_add_u32 v8, v0, 2, v8
	s_and_saveexec_b64 s[2:3], vcc
	s_cbranch_execnz .LBB93_68
; %bb.58:
	s_or_b64 exec, exec, s[2:3]
	s_and_saveexec_b64 s[2:3], vcc
	s_cbranch_execnz .LBB93_69
.LBB93_59:
	s_or_b64 exec, exec, s[2:3]
	s_and_saveexec_b64 s[2:3], vcc
	s_cbranch_execnz .LBB93_70
.LBB93_60:
	s_or_b64 exec, exec, s[2:3]
	s_and_saveexec_b64 s[2:3], vcc
	s_cbranch_execnz .LBB93_71
.LBB93_61:
	s_or_b64 exec, exec, s[2:3]
	s_and_saveexec_b64 s[2:3], vcc
	s_cbranch_execnz .LBB93_72
.LBB93_62:
	s_or_b64 exec, exec, s[2:3]
	s_and_saveexec_b64 s[2:3], vcc
	s_cbranch_execz .LBB93_64
.LBB93_63:
	ds_read_b32 v8, v8 offset:320
	s_waitcnt lgkmcnt(0)
	v_add_f32_e32 v2, v2, v8
.LBB93_64:
	s_or_b64 exec, exec, s[2:3]
.LBB93_65:
	s_or_b64 exec, exec, s[0:1]
	v_cmp_eq_u32_e32 vcc, 0, v7
	s_barrier
	s_and_saveexec_b64 s[0:1], vcc
	s_cbranch_execz .LBB93_67
; %bb.66:
	s_mul_i32 s0, s10, s11
	s_mul_i32 s0, s0, s9
	s_mulk_i32 s0, 0x60
	s_ashr_i32 s1, s0, 31
	s_lshl_b64 s[0:1], s[0:1], 1
	s_add_u32 s2, s22, s0
	s_mul_i32 s0, s11, s20
	s_addc_u32 s3, s23, s1
	s_ashr_i32 s1, s0, 31
	s_lshl_b64 s[0:1], s[0:1], 1
	s_add_u32 s2, s2, s0
	s_mul_i32 s0, s8, 0x60
	s_addc_u32 s3, s3, s1
	s_ashr_i32 s1, s0, 31
	s_lshl_b64 s[0:1], s[0:1], 1
	s_add_u32 s0, s2, s0
	s_addc_u32 s1, s3, s1
	v_lshlrev_b32_e32 v0, 1, v0
	;;#ASMSTART
	v_cvt_f16_f32 v1, v1;

	;;#ASMEND
	global_store_short v0, v1, s[0:1]
	;;#ASMSTART
	v_cvt_f16_f32 v1, v6;

	;;#ASMEND
	global_store_short v0, v1, s[0:1] offset:32
	;;#ASMSTART
	v_cvt_f16_f32 v1, v5;

	;;#ASMEND
	global_store_short v0, v1, s[0:1] offset:64
	;; [unrolled: 5-line block ×5, first 2 shown]
.LBB93_67:
	s_endpgm
.LBB93_68:
	ds_read_b32 v9, v8
	s_waitcnt lgkmcnt(0)
	v_add_f32_e32 v1, v1, v9
	s_or_b64 exec, exec, s[2:3]
	s_and_saveexec_b64 s[2:3], vcc
	s_cbranch_execz .LBB93_59
.LBB93_69:
	ds_read_b32 v9, v8 offset:64
	s_waitcnt lgkmcnt(0)
	v_add_f32_e32 v6, v6, v9
	s_or_b64 exec, exec, s[2:3]
	s_and_saveexec_b64 s[2:3], vcc
	s_cbranch_execz .LBB93_60
.LBB93_70:
	ds_read_b32 v9, v8 offset:128
	s_waitcnt lgkmcnt(0)
	v_add_f32_e32 v5, v5, v9
	s_or_b64 exec, exec, s[2:3]
	s_and_saveexec_b64 s[2:3], vcc
	s_cbranch_execz .LBB93_61
.LBB93_71:
	ds_read_b32 v9, v8 offset:192
	s_waitcnt lgkmcnt(0)
	v_add_f32_e32 v4, v4, v9
	s_or_b64 exec, exec, s[2:3]
	s_and_saveexec_b64 s[2:3], vcc
	s_cbranch_execz .LBB93_62
.LBB93_72:
	ds_read_b32 v9, v8 offset:256
	s_waitcnt lgkmcnt(0)
	v_add_f32_e32 v3, v3, v9
	s_or_b64 exec, exec, s[2:3]
	s_and_saveexec_b64 s[2:3], vcc
	s_cbranch_execnz .LBB93_63
	s_branch .LBB93_64
	.section	.rodata,"a",@progbits
	.p2align	6, 0x0
	.amdhsa_kernel _ZN4vllm25paged_attention_v1_kernelIttLi96ELi32ELi128ELNS_18Fp8KVCacheDataTypeE0ELb1EEEvPT_PKS2_PKT0_S8_ifPKiSA_iPKfiiiSC_SC_iiiii
		.amdhsa_group_segment_fixed_size 208
		.amdhsa_private_segment_fixed_size 0
		.amdhsa_kernarg_size 384
		.amdhsa_user_sgpr_count 6
		.amdhsa_user_sgpr_private_segment_buffer 1
		.amdhsa_user_sgpr_dispatch_ptr 0
		.amdhsa_user_sgpr_queue_ptr 0
		.amdhsa_user_sgpr_kernarg_segment_ptr 1
		.amdhsa_user_sgpr_dispatch_id 0
		.amdhsa_user_sgpr_flat_scratch_init 0
		.amdhsa_user_sgpr_private_segment_size 0
		.amdhsa_uses_dynamic_stack 0
		.amdhsa_system_sgpr_private_segment_wavefront_offset 0
		.amdhsa_system_sgpr_workgroup_id_x 1
		.amdhsa_system_sgpr_workgroup_id_y 1
		.amdhsa_system_sgpr_workgroup_id_z 1
		.amdhsa_system_sgpr_workgroup_info 0
		.amdhsa_system_vgpr_workitem_id 0
		.amdhsa_next_free_vgpr 56
		.amdhsa_next_free_sgpr 45
		.amdhsa_reserve_vcc 1
		.amdhsa_reserve_flat_scratch 0
		.amdhsa_float_round_mode_32 0
		.amdhsa_float_round_mode_16_64 0
		.amdhsa_float_denorm_mode_32 3
		.amdhsa_float_denorm_mode_16_64 3
		.amdhsa_dx10_clamp 1
		.amdhsa_ieee_mode 1
		.amdhsa_fp16_overflow 0
		.amdhsa_exception_fp_ieee_invalid_op 0
		.amdhsa_exception_fp_denorm_src 0
		.amdhsa_exception_fp_ieee_div_zero 0
		.amdhsa_exception_fp_ieee_overflow 0
		.amdhsa_exception_fp_ieee_underflow 0
		.amdhsa_exception_fp_ieee_inexact 0
		.amdhsa_exception_int_div_zero 0
	.end_amdhsa_kernel
	.section	.text._ZN4vllm25paged_attention_v1_kernelIttLi96ELi32ELi128ELNS_18Fp8KVCacheDataTypeE0ELb1EEEvPT_PKS2_PKT0_S8_ifPKiSA_iPKfiiiSC_SC_iiiii,"axG",@progbits,_ZN4vllm25paged_attention_v1_kernelIttLi96ELi32ELi128ELNS_18Fp8KVCacheDataTypeE0ELb1EEEvPT_PKS2_PKT0_S8_ifPKiSA_iPKfiiiSC_SC_iiiii,comdat
.Lfunc_end93:
	.size	_ZN4vllm25paged_attention_v1_kernelIttLi96ELi32ELi128ELNS_18Fp8KVCacheDataTypeE0ELb1EEEvPT_PKS2_PKT0_S8_ifPKiSA_iPKfiiiSC_SC_iiiii, .Lfunc_end93-_ZN4vllm25paged_attention_v1_kernelIttLi96ELi32ELi128ELNS_18Fp8KVCacheDataTypeE0ELb1EEEvPT_PKS2_PKT0_S8_ifPKiSA_iPKfiiiSC_SC_iiiii
                                        ; -- End function
	.set _ZN4vllm25paged_attention_v1_kernelIttLi96ELi32ELi128ELNS_18Fp8KVCacheDataTypeE0ELb1EEEvPT_PKS2_PKT0_S8_ifPKiSA_iPKfiiiSC_SC_iiiii.num_vgpr, 56
	.set _ZN4vllm25paged_attention_v1_kernelIttLi96ELi32ELi128ELNS_18Fp8KVCacheDataTypeE0ELb1EEEvPT_PKS2_PKT0_S8_ifPKiSA_iPKfiiiSC_SC_iiiii.num_agpr, 0
	.set _ZN4vllm25paged_attention_v1_kernelIttLi96ELi32ELi128ELNS_18Fp8KVCacheDataTypeE0ELb1EEEvPT_PKS2_PKT0_S8_ifPKiSA_iPKfiiiSC_SC_iiiii.numbered_sgpr, 45
	.set _ZN4vllm25paged_attention_v1_kernelIttLi96ELi32ELi128ELNS_18Fp8KVCacheDataTypeE0ELb1EEEvPT_PKS2_PKT0_S8_ifPKiSA_iPKfiiiSC_SC_iiiii.num_named_barrier, 0
	.set _ZN4vllm25paged_attention_v1_kernelIttLi96ELi32ELi128ELNS_18Fp8KVCacheDataTypeE0ELb1EEEvPT_PKS2_PKT0_S8_ifPKiSA_iPKfiiiSC_SC_iiiii.private_seg_size, 0
	.set _ZN4vllm25paged_attention_v1_kernelIttLi96ELi32ELi128ELNS_18Fp8KVCacheDataTypeE0ELb1EEEvPT_PKS2_PKT0_S8_ifPKiSA_iPKfiiiSC_SC_iiiii.uses_vcc, 1
	.set _ZN4vllm25paged_attention_v1_kernelIttLi96ELi32ELi128ELNS_18Fp8KVCacheDataTypeE0ELb1EEEvPT_PKS2_PKT0_S8_ifPKiSA_iPKfiiiSC_SC_iiiii.uses_flat_scratch, 0
	.set _ZN4vllm25paged_attention_v1_kernelIttLi96ELi32ELi128ELNS_18Fp8KVCacheDataTypeE0ELb1EEEvPT_PKS2_PKT0_S8_ifPKiSA_iPKfiiiSC_SC_iiiii.has_dyn_sized_stack, 0
	.set _ZN4vllm25paged_attention_v1_kernelIttLi96ELi32ELi128ELNS_18Fp8KVCacheDataTypeE0ELb1EEEvPT_PKS2_PKT0_S8_ifPKiSA_iPKfiiiSC_SC_iiiii.has_recursion, 0
	.set _ZN4vllm25paged_attention_v1_kernelIttLi96ELi32ELi128ELNS_18Fp8KVCacheDataTypeE0ELb1EEEvPT_PKS2_PKT0_S8_ifPKiSA_iPKfiiiSC_SC_iiiii.has_indirect_call, 0
	.section	.AMDGPU.csdata,"",@progbits
; Kernel info:
; codeLenInByte = 6968
; TotalNumSgprs: 49
; NumVgprs: 56
; ScratchSize: 0
; MemoryBound: 0
; FloatMode: 240
; IeeeMode: 1
; LDSByteSize: 208 bytes/workgroup (compile time only)
; SGPRBlocks: 6
; VGPRBlocks: 13
; NumSGPRsForWavesPerEU: 49
; NumVGPRsForWavesPerEU: 56
; Occupancy: 4
; WaveLimiterHint : 1
; COMPUTE_PGM_RSRC2:SCRATCH_EN: 0
; COMPUTE_PGM_RSRC2:USER_SGPR: 6
; COMPUTE_PGM_RSRC2:TRAP_HANDLER: 0
; COMPUTE_PGM_RSRC2:TGID_X_EN: 1
; COMPUTE_PGM_RSRC2:TGID_Y_EN: 1
; COMPUTE_PGM_RSRC2:TGID_Z_EN: 1
; COMPUTE_PGM_RSRC2:TIDIG_COMP_CNT: 0
	.section	.text._ZN4vllm25paged_attention_v1_kernelIttLi112ELi32ELi128ELNS_18Fp8KVCacheDataTypeE0ELb1EEEvPT_PKS2_PKT0_S8_ifPKiSA_iPKfiiiSC_SC_iiiii,"axG",@progbits,_ZN4vllm25paged_attention_v1_kernelIttLi112ELi32ELi128ELNS_18Fp8KVCacheDataTypeE0ELb1EEEvPT_PKS2_PKT0_S8_ifPKiSA_iPKfiiiSC_SC_iiiii,comdat
	.protected	_ZN4vllm25paged_attention_v1_kernelIttLi112ELi32ELi128ELNS_18Fp8KVCacheDataTypeE0ELb1EEEvPT_PKS2_PKT0_S8_ifPKiSA_iPKfiiiSC_SC_iiiii ; -- Begin function _ZN4vllm25paged_attention_v1_kernelIttLi112ELi32ELi128ELNS_18Fp8KVCacheDataTypeE0ELb1EEEvPT_PKS2_PKT0_S8_ifPKiSA_iPKfiiiSC_SC_iiiii
	.globl	_ZN4vllm25paged_attention_v1_kernelIttLi112ELi32ELi128ELNS_18Fp8KVCacheDataTypeE0ELb1EEEvPT_PKS2_PKT0_S8_ifPKiSA_iPKfiiiSC_SC_iiiii
	.p2align	8
	.type	_ZN4vllm25paged_attention_v1_kernelIttLi112ELi32ELi128ELNS_18Fp8KVCacheDataTypeE0ELb1EEEvPT_PKS2_PKT0_S8_ifPKiSA_iPKfiiiSC_SC_iiiii,@function
_ZN4vllm25paged_attention_v1_kernelIttLi112ELi32ELi128ELNS_18Fp8KVCacheDataTypeE0ELb1EEEvPT_PKS2_PKT0_S8_ifPKiSA_iPKfiiiSC_SC_iiiii: ; @_ZN4vllm25paged_attention_v1_kernelIttLi112ELi32ELi128ELNS_18Fp8KVCacheDataTypeE0ELb1EEEvPT_PKS2_PKT0_S8_ifPKiSA_iPKfiiiSC_SC_iiiii
; %bb.0:
	s_load_dword s9, s[4:5], 0x80
	s_load_dwordx2 s[0:1], s[4:5], 0x30
	s_load_dwordx2 s[30:31], s[4:5], 0x20
	s_mov_b32 s10, s7
	s_ashr_i32 s11, s7, 31
	s_lshl_b64 s[2:3], s[10:11], 2
	s_waitcnt lgkmcnt(0)
	s_add_u32 s0, s0, s2
	s_addc_u32 s1, s1, s3
	s_abs_i32 s2, s30
	v_cvt_f32_u32_e32 v1, s2
	s_sub_i32 s11, 0, s2
	s_abs_i32 s7, s9
	s_xor_b32 s3, s9, s30
	v_rcp_iflag_f32_e32 v1, v1
	s_ashr_i32 s3, s3, 31
	s_mov_b32 s42, 0
	v_mul_f32_e32 v1, 0x4f7ffffe, v1
	v_cvt_u32_f32_e32 v1, v1
	v_readfirstlane_b32 s12, v1
	s_mul_i32 s11, s11, s12
	s_mul_hi_u32 s11, s12, s11
	s_add_i32 s12, s12, s11
	s_mul_hi_u32 s11, s7, s12
	s_mul_i32 s12, s11, s2
	s_sub_i32 s7, s7, s12
	s_add_i32 s12, s11, 1
	s_sub_i32 s13, s7, s2
	s_cmp_ge_u32 s7, s2
	s_cselect_b32 s11, s12, s11
	s_cselect_b32 s7, s13, s7
	s_add_i32 s12, s11, 1
	s_cmp_ge_u32 s7, s2
	s_cselect_b32 s2, s12, s11
	s_xor_b32 s2, s2, s3
	s_sub_i32 s12, s2, s3
	s_abs_i32 s11, s12
	v_cvt_f32_u32_e32 v1, s11
	s_load_dwordx2 s[2:3], s[4:5], 0x40
	s_sub_i32 s7, 0, s11
	s_abs_i32 s22, s6
	v_rcp_iflag_f32_e32 v1, v1
	v_mul_f32_e32 v1, 0x4f7ffffe, v1
	v_cvt_u32_f32_e32 v1, v1
	v_readfirstlane_b32 s13, v1
	s_mul_i32 s7, s7, s13
	s_mul_hi_u32 s7, s13, s7
	s_add_i32 s13, s13, s7
	s_waitcnt lgkmcnt(0)
	s_cmp_eq_u64 s[2:3], 0
	s_mul_hi_u32 s23, s22, s13
	s_cbranch_scc1 .LBB94_2
; %bb.1:
	s_ashr_i32 s7, s6, 31
	s_lshl_b64 s[14:15], s[6:7], 2
	s_add_u32 s2, s2, s14
	s_addc_u32 s3, s3, s15
	s_load_dword s42, s[2:3], 0x0
.LBB94_2:
	s_load_dword s33, s[0:1], 0x0
	s_ashr_i32 s7, s12, 31
	s_load_dwordx4 s[12:15], s[4:5], 0x48
	s_ashr_i32 s2, s6, 31
	v_and_b32_e32 v1, 1, v0
	s_movk_i32 s3, 0x70
	s_mul_i32 s20, s6, 0x70
	v_cmp_gt_u32_e32 vcc, 28, v0
	v_lshlrev_b32_e32 v31, 3, v0
	s_and_saveexec_b64 s[0:1], vcc
	s_cbranch_execz .LBB94_4
; %bb.3:
	s_load_dwordx2 s[16:17], s[4:5], 0x8
	s_waitcnt lgkmcnt(0)
	s_mul_i32 s18, s12, s10
	s_ashr_i32 s19, s18, 31
	s_lshl_b64 s[18:19], s[18:19], 1
	v_lshlrev_b32_e32 v4, 2, v0
	s_add_u32 s12, s16, s18
	s_addc_u32 s15, s17, s19
	s_ashr_i32 s21, s20, 31
	s_lshl_b64 s[16:17], s[20:21], 1
	s_add_u32 s16, s12, s16
	s_addc_u32 s17, s15, s17
	global_load_dwordx2 v[2:3], v31, s[16:17]
	v_and_b32_e32 v4, 0xff8, v4
	v_mad_u32_u24 v4, v1, s3, v4
	s_waitcnt vmcnt(0)
	ds_write_b64 v4, v[2:3]
.LBB94_4:
	s_or_b64 exec, exec, s[0:1]
	s_mul_i32 s1, s23, s11
	s_sub_i32 s1, s22, s1
	s_xor_b32 s0, s2, s7
	s_add_i32 s2, s23, 1
	s_sub_i32 s7, s1, s11
	s_load_dwordx4 s[16:19], s[4:5], 0x68
	s_load_dword s3, s[4:5], 0x78
	s_cmp_ge_u32 s1, s11
	s_cselect_b32 s2, s2, s23
	s_cselect_b32 s1, s7, s1
	s_add_i32 s7, s2, 1
	s_cmp_ge_u32 s1, s11
	s_cselect_b32 s1, s7, s2
	s_waitcnt lgkmcnt(0)
	s_abs_i32 s21, s19
	v_cvt_f32_u32_e32 v2, s21
	s_xor_b32 s1, s1, s0
	s_sub_i32 s2, s1, s0
	s_sub_i32 s0, 0, s21
	v_rcp_iflag_f32_e32 v2, v2
	s_add_i32 s11, s33, -1
	s_abs_i32 s7, s11
	v_mul_f32_e32 v2, 0x4f7ffffe, v2
	v_cvt_u32_f32_e32 v2, v2
	s_barrier
	v_readfirstlane_b32 s40, v2
	s_mul_i32 s0, s0, s40
	s_mul_hi_u32 s0, s40, s0
	s_add_i32 s40, s40, s0
	s_cmp_lt_i32 s3, 0
	s_mul_hi_u32 s12, s7, s40
	s_cbranch_scc0 .LBB94_6
; %bb.5:
	s_mul_i32 s0, s16, s30
	s_add_i32 s0, s2, s0
	s_mul_i32 s0, s0, s3
	s_sub_i32 s41, 1, s0
	s_mov_b64 s[0:1], 0
	s_branch .LBB94_7
.LBB94_6:
	s_mov_b64 s[0:1], -1
                                        ; implicit-def: $sgpr41
.LBB94_7:
	s_load_dwordx2 s[24:25], s[4:5], 0x28
	s_ashr_i32 s15, s11, 31
	s_andn2_b64 vcc, exec, s[0:1]
	s_ashr_i32 s19, s19, 31
	s_cbranch_vccnz .LBB94_9
; %bb.8:
	s_mul_i32 s0, s9, s16
	s_add_i32 s0, s0, s6
	s_mul_i32 s0, s0, s3
	s_add_i32 s41, s0, 1
.LBB94_9:
	s_load_dword s0, s[4:5], 0x38
	s_load_dwordx2 s[22:23], s[4:5], 0x0
	s_load_dwordx2 s[28:29], s[4:5], 0x18
	s_load_dword s11, s[4:5], 0x88
	s_xor_b32 s1, s15, s19
	s_waitcnt lgkmcnt(0)
	s_mul_i32 s26, s0, s10
	s_mul_i32 s0, s12, s21
	s_sub_i32 s0, s7, s0
	s_ashr_i32 s27, s26, 31
	s_add_i32 s3, s12, 1
	s_sub_i32 s6, s0, s21
	s_cmp_ge_u32 s0, s21
	s_cselect_b32 s3, s3, s12
	s_cselect_b32 s0, s6, s0
	s_add_i32 s6, s3, 1
	s_cmp_ge_u32 s0, s21
	s_cselect_b32 s0, s6, s3
	s_xor_b32 s0, s0, s1
	s_sub_i32 s12, s0, s1
	s_add_i32 s0, s33, 31
	s_ashr_i32 s1, s0, 31
	s_lshr_b32 s1, s1, 27
	s_add_i32 s0, s0, s1
	s_ashr_i32 s16, s0, 5
	v_lshrrev_b32_e32 v29, 6, v0
	v_cmp_gt_i32_e64 s[0:1], s16, v29
	v_mov_b32_e32 v37, 0xff7fffff
	s_mul_i32 s14, s2, s14
	v_lshrrev_b32_e32 v32, 4, v0
	v_lshlrev_b32_e32 v30, 5, v29
	v_mbcnt_lo_u32_b32 v33, -1, 0
	s_and_saveexec_b64 s[34:35], s[0:1]
	s_cbranch_execz .LBB94_21
; %bb.10:
	s_load_dwordx2 s[2:3], s[4:5], 0x10
	s_ashr_i32 s15, s14, 31
	s_sub_i32 s30, s12, s17
	s_lshl_b64 s[4:5], s[14:15], 1
	v_bfe_u32 v34, v0, 1, 5
	s_waitcnt lgkmcnt(0)
	s_add_u32 s4, s2, s4
	s_addc_u32 s5, s3, s5
	s_abs_i32 s15, s18
	v_cvt_f32_u32_e32 v2, s15
	v_mov_b32_e32 v5, s5
	s_sub_i32 s5, 0, s15
	v_lshlrev_b32_e32 v4, 4, v34
	v_rcp_iflag_f32_e32 v2, v2
	v_add_co_u32_e32 v4, vcc, s4, v4
	v_and_b32_e32 v3, 8, v31
	v_mul_f32_e32 v2, 0x4f7ffffe, v2
	v_cvt_u32_f32_e32 v2, v2
	v_addc_co_u32_e32 v5, vcc, 0, v5, vcc
	v_add_co_u32_e32 v35, vcc, v4, v3
	v_mul_lo_u32 v6, s5, v2
	s_lshl_b64 s[6:7], s[26:27], 2
	v_subrev_u32_e32 v3, s33, v34
	s_add_u32 s6, s24, s6
	v_mul_hi_u32 v6, v2, v6
	v_add_u32_e32 v41, 1, v3
	v_lshlrev_b32_e32 v3, 2, v34
	v_cmp_eq_u32_e64 s[2:3], 0, v1
	v_addc_co_u32_e32 v36, vcc, 0, v5, vcc
	v_mul_u32_u24_e32 v38, 0x70, v1
	v_and_b32_e32 v1, 60, v32
	s_addc_u32 s7, s25, s7
	v_lshl_or_b32 v3, v29, 7, v3
	v_mbcnt_hi_u32_b32 v44, -1, v33
	v_add_u32_e32 v39, v2, v6
	v_mov_b32_e32 v2, s7
	v_add_co_u32_e32 v1, vcc, s6, v1
	v_add_u32_e32 v42, 0xf0, v3
	v_and_b32_e32 v3, 64, v44
	s_mov_b32 s43, s13
	v_cmp_neq_f32_e64 s[4:5], s42, 0
	v_addc_co_u32_e32 v2, vcc, 0, v2, vcc
	v_lshlrev_b32_e32 v40, 5, v29
	v_mov_b32_e32 v43, 0xff7fffff
	s_mov_b64 s[36:37], 0
	s_movk_i32 s44, 0x1000
	v_xor_b32_e32 v45, 1, v44
	v_add_u32_e32 v46, 64, v3
	v_mov_b32_e32 v37, 0xff7fffff
	v_mov_b32_e32 v47, v29
	s_branch .LBB94_13
.LBB94_11:                              ;   in Loop: Header=BB94_13 Depth=1
	s_or_b64 exec, exec, s[38:39]
.LBB94_12:                              ;   in Loop: Header=BB94_13 Depth=1
	s_or_b64 exec, exec, s[6:7]
	v_add_co_u32_e32 v1, vcc, 8, v1
	v_add_u32_e32 v47, 2, v47
	v_addc_co_u32_e32 v2, vcc, 0, v2, vcc
	v_cmp_le_i32_e32 vcc, s16, v47
	v_add_u32_e32 v40, 64, v40
	s_or_b64 s[36:37], vcc, s[36:37]
	v_add_u32_e32 v42, 0x100, v42
	s_andn2_b64 exec, exec, s[36:37]
	s_cbranch_execz .LBB94_20
.LBB94_13:                              ; =>This Inner Loop Header: Depth=1
	v_mul_hi_u32 v3, v40, s40
	s_waitcnt lgkmcnt(0)
	v_mul_lo_u32 v4, v3, s21
	v_add_u32_e32 v5, 1, v3
	v_sub_u32_e32 v4, v40, v4
	v_cmp_le_u32_e32 vcc, s21, v4
	v_cndmask_b32_e32 v3, v3, v5, vcc
	v_subrev_u32_e32 v5, s21, v4
	v_cndmask_b32_e32 v4, v4, v5, vcc
	v_add_u32_e32 v5, 1, v3
	v_cmp_le_u32_e32 vcc, s21, v4
	v_cndmask_b32_e32 v3, v3, v5, vcc
	v_xor_b32_e32 v3, s19, v3
	v_subrev_u32_e32 v3, s19, v3
	v_add_u32_e32 v4, s41, v3
	v_sub_u32_e32 v5, 0, v4
	v_max_i32_e32 v5, v4, v5
	v_mul_hi_u32 v6, v5, v39
	v_ashrrev_i32_e32 v4, 31, v4
	v_cmp_ge_i32_e64 s[6:7], s30, v3
	v_mul_lo_u32 v6, v6, s15
	v_sub_u32_e32 v5, v5, v6
	v_subrev_u32_e32 v6, s15, v5
	v_cmp_le_u32_e32 vcc, s15, v5
	v_cndmask_b32_e32 v5, v5, v6, vcc
	v_subrev_u32_e32 v6, s15, v5
	v_cmp_le_u32_e32 vcc, s15, v5
	v_cndmask_b32_e32 v5, v5, v6, vcc
	v_xor_b32_e32 v5, v5, v4
	v_sub_u32_e32 v4, v5, v4
	v_cmp_ne_u32_e32 vcc, 0, v4
	s_and_b64 s[6:7], vcc, s[6:7]
	s_and_saveexec_b64 s[38:39], s[6:7]
	s_xor_b64 s[6:7], exec, s[38:39]
	s_cbranch_execz .LBB94_17
; %bb.14:                               ;   in Loop: Header=BB94_13 Depth=1
	s_and_saveexec_b64 s[38:39], s[2:3]
; %bb.15:                               ;   in Loop: Header=BB94_13 Depth=1
	ds_write_b32 v42, v43
; %bb.16:                               ;   in Loop: Header=BB94_13 Depth=1
	s_or_b64 exec, exec, s[38:39]
.LBB94_17:                              ;   in Loop: Header=BB94_13 Depth=1
	s_andn2_saveexec_b64 s[6:7], s[6:7]
	s_cbranch_execz .LBB94_12
; %bb.18:                               ;   in Loop: Header=BB94_13 Depth=1
	global_load_dword v3, v[1:2], off
	s_waitcnt vmcnt(0)
	v_mad_i64_i32 v[3:4], s[38:39], v3, s43, 0
	v_lshlrev_b64 v[3:4], 1, v[3:4]
	v_add_co_u32_e32 v3, vcc, v35, v3
	v_addc_co_u32_e32 v4, vcc, v36, v4, vcc
	global_load_dwordx2 v[5:6], v[3:4], off
	global_load_dwordx2 v[27:28], v[3:4], off offset:512
	global_load_dwordx2 v[23:24], v[3:4], off offset:1024
	ds_read_b64 v[7:8], v38
	global_load_dwordx2 v[25:26], v[3:4], off offset:1536
	global_load_dwordx2 v[21:22], v[3:4], off offset:2048
	;; [unrolled: 1-line block ×5, first 2 shown]
	v_add_co_u32_e32 v48, vcc, s44, v3
	v_addc_co_u32_e32 v49, vcc, 0, v4, vcc
	global_load_dwordx2 v[13:14], v[48:49], off
	global_load_dwordx2 v[11:12], v[48:49], off offset:512
	s_waitcnt lgkmcnt(0)
	v_lshrrev_b32_e32 v51, 16, v7
	v_and_b32_e32 v50, 0xffff, v7
	v_lshrrev_b32_e32 v55, 16, v8
	v_and_b32_e32 v54, 0xffff, v8
	v_cmp_lt_i32_e32 vcc, v45, v46
	s_waitcnt vmcnt(9)
	v_lshrrev_b32_e32 v53, 16, v5
	v_and_b32_e32 v52, 0xffff, v5
	v_lshrrev_b32_e32 v57, 16, v6
	v_and_b32_e32 v56, 0xffff, v6
	global_load_dwordx2 v[9:10], v[48:49], off offset:1024
	global_load_dwordx2 v[7:8], v[48:49], off offset:1536
	;; [unrolled: 1-line block ×4, first 2 shown]
	;;#ASMSTART
	v_cvt_f32_f16 v50, v50;
	;;#ASMEND
	;;#ASMSTART
	v_cvt_f32_f16 v51, v51;
	;;#ASMEND
	;; [unrolled: 3-line block ×8, first 2 shown]
	ds_read_b64 v[48:49], v38 offset:8
	s_waitcnt lgkmcnt(0)
	v_and_b32_e32 v58, 0xffff, v48
	v_lshrrev_b32_e32 v48, 16, v48
	;;#ASMSTART
	v_cvt_f32_f16 v58, v58;
	;;#ASMEND
	;;#ASMSTART
	v_cvt_f32_f16 v59, v48;
	;;#ASMEND
	s_waitcnt vmcnt(12)
	v_and_b32_e32 v48, 0xffff, v27
	v_lshrrev_b32_e32 v27, 16, v27
	;;#ASMSTART
	v_cvt_f32_f16 v48, v48;
	;;#ASMEND
	;;#ASMSTART
	v_cvt_f32_f16 v27, v27;
	;;#ASMEND
	v_mul_f32_e32 v48, v58, v48
	v_mul_f32_e32 v27, v59, v27
	v_fmac_f32_e32 v48, v50, v52
	v_fmac_f32_e32 v27, v51, v53
	v_lshrrev_b32_e32 v50, 16, v49
	v_and_b32_e32 v49, 0xffff, v49
	v_and_b32_e32 v51, 0xffff, v28
	v_lshrrev_b32_e32 v28, 16, v28
	;;#ASMSTART
	v_cvt_f32_f16 v49, v49;
	;;#ASMEND
	;;#ASMSTART
	v_cvt_f32_f16 v50, v50;
	;;#ASMEND
	;; [unrolled: 3-line block ×4, first 2 shown]
	v_mul_f32_e32 v49, v49, v51
	v_mul_f32_e32 v28, v50, v28
	ds_read_b64 v[50:51], v38 offset:16
	s_waitcnt vmcnt(11)
	v_and_b32_e32 v53, 0xffff, v23
	v_lshrrev_b32_e32 v23, 16, v23
	v_fmac_f32_e32 v49, v54, v56
	v_fmac_f32_e32 v28, v55, v57
	s_waitcnt lgkmcnt(0)
	v_and_b32_e32 v52, 0xffff, v50
	v_lshrrev_b32_e32 v50, 16, v50
	;;#ASMSTART
	v_cvt_f32_f16 v52, v52;
	;;#ASMEND
	;;#ASMSTART
	v_cvt_f32_f16 v50, v50;
	;;#ASMEND
	;;#ASMSTART
	v_cvt_f32_f16 v53, v53;
	;;#ASMEND
	;;#ASMSTART
	v_cvt_f32_f16 v23, v23;
	;;#ASMEND
	v_fmac_f32_e32 v27, v50, v23
	v_and_b32_e32 v23, 0xffff, v51
	v_lshrrev_b32_e32 v50, 16, v51
	;;#ASMSTART
	v_cvt_f32_f16 v23, v23;
	;;#ASMEND
	v_and_b32_e32 v51, 0xffff, v24
	;;#ASMSTART
	v_cvt_f32_f16 v50, v50;
	;;#ASMEND
	;;#ASMSTART
	v_cvt_f32_f16 v51, v51;
	;;#ASMEND
	v_fmac_f32_e32 v49, v23, v51
	v_lshrrev_b32_e32 v23, 16, v24
	;;#ASMSTART
	v_cvt_f32_f16 v23, v23;
	;;#ASMEND
	v_fmac_f32_e32 v28, v50, v23
	ds_read_b64 v[23:24], v38 offset:24
	s_waitcnt vmcnt(10)
	v_and_b32_e32 v51, 0xffff, v25
	v_lshrrev_b32_e32 v25, 16, v25
	v_fmac_f32_e32 v48, v52, v53
	s_waitcnt vmcnt(7)
	v_lshrrev_b32_e32 v53, 16, v18
	s_waitcnt lgkmcnt(0)
	v_and_b32_e32 v50, 0xffff, v23
	v_lshrrev_b32_e32 v23, 16, v23
	;;#ASMSTART
	v_cvt_f32_f16 v50, v50;
	;;#ASMEND
	;;#ASMSTART
	v_cvt_f32_f16 v23, v23;
	;;#ASMEND
	;; [unrolled: 3-line block ×4, first 2 shown]
	v_fmac_f32_e32 v27, v23, v25
	v_lshrrev_b32_e32 v25, 16, v24
	v_and_b32_e32 v23, 0xffff, v24
	v_fmac_f32_e32 v48, v50, v51
	v_and_b32_e32 v50, 0xffff, v26
	v_lshrrev_b32_e32 v26, 16, v26
	;;#ASMSTART
	v_cvt_f32_f16 v23, v23;
	;;#ASMEND
	;;#ASMSTART
	v_cvt_f32_f16 v25, v25;
	;;#ASMEND
	;; [unrolled: 3-line block ×4, first 2 shown]
	v_fmac_f32_e32 v49, v23, v24
	ds_read_b64 v[23:24], v38 offset:32
	v_and_b32_e32 v50, 0xffff, v21
	v_fmac_f32_e32 v28, v25, v26
	v_lshrrev_b32_e32 v21, 16, v21
	v_lshrrev_b32_e32 v51, 16, v20
	s_waitcnt lgkmcnt(0)
	v_and_b32_e32 v25, 0xffff, v23
	v_lshrrev_b32_e32 v26, 16, v23
	;;#ASMSTART
	v_cvt_f32_f16 v23, v25;
	;;#ASMEND
	;;#ASMSTART
	v_cvt_f32_f16 v25, v26;
	;;#ASMEND
	;; [unrolled: 3-line block ×4, first 2 shown]
	v_and_b32_e32 v50, 0xffff, v19
	v_fmac_f32_e32 v27, v25, v21
	v_lshrrev_b32_e32 v25, 16, v19
	v_lshrrev_b32_e32 v21, 16, v24
	v_and_b32_e32 v19, 0xffff, v24
	v_fmac_f32_e32 v48, v23, v26
	v_and_b32_e32 v26, 0xffff, v22
	v_lshrrev_b32_e32 v22, 16, v22
	;;#ASMSTART
	v_cvt_f32_f16 v19, v19;
	;;#ASMEND
	;;#ASMSTART
	v_cvt_f32_f16 v23, v21;
	;;#ASMEND
	;; [unrolled: 3-line block ×4, first 2 shown]
	v_fmac_f32_e32 v49, v19, v21
	ds_read_b64 v[21:22], v38 offset:40
	v_and_b32_e32 v26, 0xffff, v20
	v_and_b32_e32 v52, 0xffff, v17
	v_fmac_f32_e32 v28, v23, v24
	s_waitcnt vmcnt(6)
	v_lshrrev_b32_e32 v54, 16, v16
	s_waitcnt lgkmcnt(0)
	v_and_b32_e32 v19, 0xffff, v21
	v_lshrrev_b32_e32 v20, 16, v21
	;;#ASMSTART
	v_cvt_f32_f16 v19, v19;
	;;#ASMEND
	;;#ASMSTART
	v_cvt_f32_f16 v20, v20;
	;;#ASMEND
	;; [unrolled: 3-line block ×3, first 2 shown]
	v_and_b32_e32 v50, 0xffff, v18
	;;#ASMSTART
	v_cvt_f32_f16 v18, v25;
	;;#ASMEND
	v_fmac_f32_e32 v48, v19, v21
	v_lshrrev_b32_e32 v19, 16, v17
	v_and_b32_e32 v17, 0xffff, v15
	v_fmac_f32_e32 v27, v20, v18
	v_lshrrev_b32_e32 v18, 16, v15
	v_lshrrev_b32_e32 v20, 16, v22
	v_and_b32_e32 v15, 0xffff, v22
	;;#ASMSTART
	v_cvt_f32_f16 v15, v15;
	;;#ASMEND
	;;#ASMSTART
	v_cvt_f32_f16 v20, v20;
	;;#ASMEND
	;; [unrolled: 3-line block ×4, first 2 shown]
	ds_read_b64 v[22:23], v38 offset:48
	v_fmac_f32_e32 v49, v15, v21
	v_and_b32_e32 v51, 0xffff, v16
	v_fmac_f32_e32 v28, v20, v24
	s_waitcnt vmcnt(5)
	v_and_b32_e32 v21, 0xffff, v13
	s_waitcnt lgkmcnt(0)
	v_and_b32_e32 v15, 0xffff, v22
	v_lshrrev_b32_e32 v16, 16, v22
	;;#ASMSTART
	v_cvt_f32_f16 v15, v15;
	;;#ASMEND
	;;#ASMSTART
	v_cvt_f32_f16 v16, v16;
	;;#ASMEND
	;; [unrolled: 3-line block ×3, first 2 shown]
	v_fmac_f32_e32 v48, v15, v20
	v_lshrrev_b32_e32 v15, 16, v23
	v_and_b32_e32 v20, 0xffff, v23
	v_lshrrev_b32_e32 v22, 16, v13
	;;#ASMSTART
	v_cvt_f32_f16 v13, v19;
	;;#ASMEND
	;;#ASMSTART
	v_cvt_f32_f16 v19, v20;
	;;#ASMEND
	;; [unrolled: 3-line block ×5, first 2 shown]
	v_fmac_f32_e32 v27, v16, v13
	ds_read_b64 v[15:16], v38 offset:56
	v_and_b32_e32 v23, 0xffff, v14
	v_lshrrev_b32_e32 v24, 16, v14
	v_fmac_f32_e32 v49, v19, v26
	v_fmac_f32_e32 v28, v20, v50
	s_waitcnt lgkmcnt(0)
	v_and_b32_e32 v13, 0xffff, v15
	v_lshrrev_b32_e32 v14, 16, v15
	v_lshrrev_b32_e32 v19, 16, v16
	v_and_b32_e32 v20, 0xffff, v16
	;;#ASMSTART
	v_cvt_f32_f16 v26, v13;
	;;#ASMEND
	;;#ASMSTART
	v_cvt_f32_f16 v15, v14;
	;;#ASMEND
	;; [unrolled: 3-line block ×8, first 2 shown]
	ds_read_b64 v[13:14], v38 offset:64
	s_waitcnt vmcnt(4)
	v_and_b32_e32 v25, 0xffff, v11
	v_fmac_f32_e32 v48, v26, v50
	v_lshrrev_b32_e32 v26, 16, v11
	v_fmac_f32_e32 v49, v17, v19
	s_waitcnt lgkmcnt(0)
	v_and_b32_e32 v11, 0xffff, v13
	v_lshrrev_b32_e32 v13, 16, v13
	v_lshrrev_b32_e32 v19, 16, v14
	v_and_b32_e32 v14, 0xffff, v14
	v_fmac_f32_e32 v27, v15, v16
	v_fmac_f32_e32 v28, v18, v20
	;;#ASMSTART
	v_cvt_f32_f16 v11, v11;
	;;#ASMEND
	;;#ASMSTART
	v_cvt_f32_f16 v15, v13;
	;;#ASMEND
	;; [unrolled: 3-line block ×8, first 2 shown]
	ds_read_b64 v[13:14], v38 offset:72
	v_fmac_f32_e32 v48, v11, v16
	v_fmac_f32_e32 v27, v15, v17
	;; [unrolled: 1-line block ×3, first 2 shown]
	v_lshrrev_b32_e32 v20, 16, v12
	s_waitcnt lgkmcnt(0)
	v_and_b32_e32 v11, 0xffff, v13
	v_lshrrev_b32_e32 v15, 16, v13
	;;#ASMSTART
	v_cvt_f32_f16 v13, v11;
	;;#ASMEND
	v_lshrrev_b32_e32 v11, 16, v14
	v_and_b32_e32 v14, 0xffff, v14
	v_and_b32_e32 v12, 0xffff, v12
	v_fmac_f32_e32 v28, v19, v21
	;;#ASMSTART
	v_cvt_f32_f16 v15, v15;
	;;#ASMEND
	;;#ASMSTART
	v_cvt_f32_f16 v16, v25;
	;;#ASMEND
	;; [unrolled: 3-line block ×7, first 2 shown]
	ds_read_b64 v[11:12], v38 offset:80
	v_fmac_f32_e32 v48, v13, v16
	v_fmac_f32_e32 v49, v14, v19
	s_waitcnt vmcnt(3)
	v_and_b32_e32 v14, 0xffff, v9
	v_lshrrev_b32_e32 v9, 16, v9
	s_waitcnt lgkmcnt(0)
	v_lshrrev_b32_e32 v13, 16, v11
	v_and_b32_e32 v11, 0xffff, v11
	v_fmac_f32_e32 v27, v15, v17
	;;#ASMSTART
	v_cvt_f32_f16 v11, v11;
	;;#ASMEND
	;;#ASMSTART
	v_cvt_f32_f16 v13, v13;
	;;#ASMEND
	;; [unrolled: 3-line block ×4, first 2 shown]
	v_lshrrev_b32_e32 v9, 16, v12
	v_and_b32_e32 v12, 0xffff, v12
	;;#ASMSTART
	v_cvt_f32_f16 v12, v12;
	;;#ASMEND
	;;#ASMSTART
	v_cvt_f32_f16 v16, v9;
	;;#ASMEND
	v_lshrrev_b32_e32 v9, 16, v10
	v_and_b32_e32 v10, 0xffff, v10
	v_fmac_f32_e32 v28, v18, v20
	;;#ASMSTART
	v_cvt_f32_f16 v17, v10;
	;;#ASMEND
	;;#ASMSTART
	v_cvt_f32_f16 v18, v9;
	;;#ASMEND
	ds_read_b64 v[9:10], v38 offset:88
	v_fmac_f32_e32 v48, v11, v14
	v_fmac_f32_e32 v27, v13, v15
	s_waitcnt vmcnt(2)
	v_lshrrev_b32_e32 v13, 16, v7
	v_and_b32_e32 v7, 0xffff, v7
	s_waitcnt lgkmcnt(0)
	v_lshrrev_b32_e32 v11, 16, v9
	v_and_b32_e32 v9, 0xffff, v9
	v_fmac_f32_e32 v49, v12, v17
	;;#ASMSTART
	v_cvt_f32_f16 v9, v9;
	;;#ASMEND
	;;#ASMSTART
	v_cvt_f32_f16 v11, v11;
	;;#ASMEND
	;; [unrolled: 3-line block ×3, first 2 shown]
	v_lshrrev_b32_e32 v7, 16, v10
	v_and_b32_e32 v10, 0xffff, v10
	;;#ASMSTART
	v_cvt_f32_f16 v13, v13;
	;;#ASMEND
	;;#ASMSTART
	v_cvt_f32_f16 v10, v10;
	;;#ASMEND
	;; [unrolled: 3-line block ×3, first 2 shown]
	v_lshrrev_b32_e32 v7, 16, v8
	v_and_b32_e32 v8, 0xffff, v8
	v_fmac_f32_e32 v28, v16, v18
	;;#ASMSTART
	v_cvt_f32_f16 v15, v8;
	;;#ASMEND
	;;#ASMSTART
	v_cvt_f32_f16 v16, v7;
	;;#ASMEND
	ds_read_b64 v[7:8], v38 offset:96
	v_fmac_f32_e32 v48, v9, v12
	v_fmac_f32_e32 v27, v11, v13
	s_waitcnt vmcnt(1)
	v_lshrrev_b32_e32 v11, 16, v5
	v_and_b32_e32 v5, 0xffff, v5
	s_waitcnt lgkmcnt(0)
	v_lshrrev_b32_e32 v9, 16, v7
	v_and_b32_e32 v7, 0xffff, v7
	v_fmac_f32_e32 v49, v10, v15
	;;#ASMSTART
	v_cvt_f32_f16 v7, v7;
	;;#ASMEND
	;;#ASMSTART
	v_cvt_f32_f16 v9, v9;
	;;#ASMEND
	;; [unrolled: 3-line block ×3, first 2 shown]
	v_lshrrev_b32_e32 v5, 16, v8
	v_and_b32_e32 v8, 0xffff, v8
	;;#ASMSTART
	v_cvt_f32_f16 v11, v11;
	;;#ASMEND
	;;#ASMSTART
	v_cvt_f32_f16 v8, v8;
	;;#ASMEND
	;; [unrolled: 3-line block ×3, first 2 shown]
	v_lshrrev_b32_e32 v5, 16, v6
	v_and_b32_e32 v6, 0xffff, v6
	v_fmac_f32_e32 v28, v14, v16
	;;#ASMSTART
	v_cvt_f32_f16 v13, v6;
	;;#ASMEND
	;;#ASMSTART
	v_cvt_f32_f16 v14, v5;
	;;#ASMEND
	ds_read_b64 v[5:6], v38 offset:104
	v_fmac_f32_e32 v48, v7, v10
	v_fmac_f32_e32 v49, v8, v13
	s_waitcnt vmcnt(0)
	v_lshrrev_b32_e32 v8, 16, v3
	v_and_b32_e32 v3, 0xffff, v3
	s_waitcnt lgkmcnt(0)
	v_lshrrev_b32_e32 v7, 16, v5
	v_and_b32_e32 v5, 0xffff, v5
	;;#ASMSTART
	v_cvt_f32_f16 v5, v5;
	;;#ASMEND
	;;#ASMSTART
	v_cvt_f32_f16 v7, v7;
	;;#ASMEND
	;; [unrolled: 3-line block ×3, first 2 shown]
	v_fmac_f32_e32 v27, v9, v11
	v_fmac_f32_e32 v48, v5, v3
	v_and_b32_e32 v3, 0xffff, v6
	;;#ASMSTART
	v_cvt_f32_f16 v8, v8;
	;;#ASMEND
	v_fmac_f32_e32 v27, v7, v8
	v_lshrrev_b32_e32 v5, 16, v6
	;;#ASMSTART
	v_cvt_f32_f16 v3, v3;
	;;#ASMEND
	v_lshrrev_b32_e32 v6, 16, v4
	v_and_b32_e32 v4, 0xffff, v4
	v_fmac_f32_e32 v28, v12, v14
	;;#ASMSTART
	v_cvt_f32_f16 v5, v5;
	;;#ASMEND
	;;#ASMSTART
	v_cvt_f32_f16 v4, v4;
	;;#ASMEND
	v_fmac_f32_e32 v49, v3, v4
	v_add_f32_e32 v3, v48, v27
	;;#ASMSTART
	v_cvt_f32_f16 v6, v6;
	;;#ASMEND
	v_fmac_f32_e32 v28, v5, v6
	v_add_f32_e32 v3, v3, v49
	v_cndmask_b32_e32 v4, v44, v45, vcc
	v_add_f32_e32 v3, v28, v3
	v_lshlrev_b32_e32 v4, 2, v4
	ds_bpermute_b32 v4, v4, v3
	s_and_saveexec_b64 s[38:39], s[2:3]
	s_cbranch_execz .LBB94_11
; %bb.19:                               ;   in Loop: Header=BB94_13 Depth=1
	v_add_u32_e32 v5, v41, v40
	v_cvt_f32_i32_e32 v5, v5
	s_waitcnt lgkmcnt(0)
	v_add_f32_e32 v3, v3, v4
	v_add_u32_e32 v6, v34, v40
	v_cmp_gt_i32_e32 vcc, s33, v6
	v_mul_f32_e32 v4, s42, v5
	v_cndmask_b32_e64 v4, 0, v4, s[4:5]
	v_fmac_f32_e32 v4, s31, v3
	v_cndmask_b32_e32 v3, 0, v4, vcc
	ds_write_b32 v42, v3
	v_max_f32_e32 v3, v37, v37
	v_max_f32_e32 v3, v3, v4
	v_cndmask_b32_e32 v37, v37, v3, vcc
	s_branch .LBB94_11
.LBB94_20:
	s_or_b64 exec, exec, s[36:37]
.LBB94_21:
	s_or_b64 exec, exec, s[34:35]
	v_mbcnt_hi_u32_b32 v1, -1, v33
	v_and_b32_e32 v8, 64, v1
	v_add_u32_e32 v11, 64, v8
	v_xor_b32_e32 v2, 32, v1
	v_cmp_lt_i32_e32 vcc, v2, v11
	v_cndmask_b32_e32 v2, v1, v2, vcc
	v_lshlrev_b32_e32 v2, 2, v2
	ds_bpermute_b32 v3, v2, v37
	v_xor_b32_e32 v5, 16, v1
	s_waitcnt lgkmcnt(1)
	v_max_f32_e32 v4, v37, v37
	v_cmp_lt_i32_e32 vcc, v5, v11
	v_xor_b32_e32 v6, 8, v1
	s_waitcnt lgkmcnt(0)
	v_max_f32_e32 v3, v3, v3
	v_max_f32_e32 v4, v4, v3
	v_cndmask_b32_e32 v3, v1, v5, vcc
	v_lshlrev_b32_e32 v3, 2, v3
	ds_bpermute_b32 v5, v3, v4
	v_cmp_lt_i32_e32 vcc, v6, v11
	v_xor_b32_e32 v7, 4, v1
	v_xor_b32_e32 v9, 2, v1
	s_waitcnt lgkmcnt(0)
	v_max_f32_e32 v5, v5, v5
	v_max_f32_e32 v5, v4, v5
	v_cndmask_b32_e32 v4, v1, v6, vcc
	v_lshlrev_b32_e32 v4, 2, v4
	ds_bpermute_b32 v6, v4, v5
	v_cmp_lt_i32_e32 vcc, v7, v11
	s_waitcnt lgkmcnt(0)
	v_max_f32_e32 v6, v6, v6
	v_max_f32_e32 v6, v5, v6
	v_cndmask_b32_e32 v5, v1, v7, vcc
	v_lshlrev_b32_e32 v5, 2, v5
	ds_bpermute_b32 v7, v5, v6
	v_cmp_lt_i32_e32 vcc, v9, v11
	s_waitcnt lgkmcnt(0)
	v_max_f32_e32 v7, v7, v7
	v_max_f32_e32 v7, v6, v7
	v_cndmask_b32_e32 v6, v1, v9, vcc
	v_lshlrev_b32_e32 v10, 2, v6
	ds_bpermute_b32 v12, v10, v7
	v_and_b32_e32 v9, 63, v0
	v_cmp_eq_u32_e32 vcc, 0, v9
	v_lshlrev_b32_e32 v6, 2, v29
	s_and_saveexec_b64 s[2:3], vcc
	s_cbranch_execz .LBB94_23
; %bb.22:
	s_waitcnt lgkmcnt(0)
	v_max_f32_e32 v12, v12, v12
	v_max_f32_e32 v7, v7, v7
	;; [unrolled: 1-line block ×3, first 2 shown]
	ds_write_b32 v6, v7 offset:224
.LBB94_23:
	s_or_b64 exec, exec, s[2:3]
	v_cmp_gt_u32_e64 s[2:3], 2, v9
	s_waitcnt lgkmcnt(0)
	v_mov_b32_e32 v12, 0xff7fffff
	v_lshlrev_b32_e32 v7, 2, v9
	s_barrier
	s_and_saveexec_b64 s[4:5], s[2:3]
; %bb.24:
	ds_read_b32 v12, v7 offset:224
; %bb.25:
	s_or_b64 exec, exec, s[4:5]
	v_xor_b32_e32 v13, 1, v1
	v_cmp_lt_i32_e64 s[4:5], v13, v11
	v_cndmask_b32_e64 v11, v1, v13, s[4:5]
	v_lshlrev_b32_e32 v11, 2, v11
	s_waitcnt lgkmcnt(0)
	ds_bpermute_b32 v13, v11, v12
	v_max_f32_e32 v12, v12, v12
	v_lshlrev_b32_e32 v8, 2, v8
	s_lshl_b32 s4, s16, 5
	s_min_i32 s15, s4, s33
	s_waitcnt lgkmcnt(0)
	v_max_f32_e32 v13, v13, v13
	v_max_f32_e32 v12, v12, v13
	ds_bpermute_b32 v12, v8, v12
	v_cmp_gt_i32_e64 s[4:5], s15, v0
	v_mov_b32_e32 v8, 0
	s_and_saveexec_b64 s[30:31], s[4:5]
	s_cbranch_execz .LBB94_29
; %bb.26:
	v_mov_b32_e32 v8, 0xf0
	v_lshl_add_u32 v13, v0, 2, v8
	v_mov_b32_e32 v8, 0
	s_mov_b64 s[34:35], 0
	v_mov_b32_e32 v14, v0
.LBB94_27:                              ; =>This Inner Loop Header: Depth=1
	ds_read_b32 v15, v13
	v_add_u32_e32 v14, 0x80, v14
	v_cmp_le_i32_e64 s[6:7], s15, v14
	s_or_b64 s[34:35], s[6:7], s[34:35]
	s_waitcnt lgkmcnt(0)
	v_sub_f32_e32 v15, v15, v12
	v_mul_f32_e32 v15, 0x3fb8aa3b, v15
	v_exp_f32_e32 v15, v15
	ds_write_b32 v13, v15
	v_add_f32_e32 v8, v8, v15
	v_add_u32_e32 v13, 0x200, v13
	s_andn2_b64 exec, exec, s[34:35]
	s_cbranch_execnz .LBB94_27
; %bb.28:
	s_or_b64 exec, exec, s[34:35]
.LBB94_29:
	s_or_b64 exec, exec, s[30:31]
	ds_bpermute_b32 v2, v2, v8
	s_waitcnt lgkmcnt(0)
	v_add_f32_e32 v2, v8, v2
	ds_bpermute_b32 v3, v3, v2
	s_waitcnt lgkmcnt(0)
	v_add_f32_e32 v2, v2, v3
	ds_bpermute_b32 v3, v4, v2
	s_waitcnt lgkmcnt(0)
	v_add_f32_e32 v2, v2, v3
	ds_bpermute_b32 v3, v5, v2
	s_waitcnt lgkmcnt(0)
	v_add_f32_e32 v2, v2, v3
	ds_bpermute_b32 v3, v10, v2
	s_waitcnt lgkmcnt(0)
	v_add_f32_e32 v2, v2, v3
	ds_bpermute_b32 v3, v11, v2
	s_waitcnt lgkmcnt(0)
	v_add_f32_e32 v2, v2, v3
	s_and_saveexec_b64 s[6:7], vcc
; %bb.30:
	ds_write_b32 v6, v2 offset:232
; %bb.31:
	s_or_b64 exec, exec, s[6:7]
	s_waitcnt lgkmcnt(0)
	s_barrier
	s_and_saveexec_b64 s[6:7], s[2:3]
; %bb.32:
	ds_read_b32 v2, v7 offset:232
; %bb.33:
	s_or_b64 exec, exec, s[6:7]
	s_waitcnt lgkmcnt(0)
	ds_bpermute_b32 v3, v11, v2
	v_lshlrev_b32_e32 v1, 2, v1
	v_and_b32_e32 v1, 0x100, v1
	s_waitcnt lgkmcnt(0)
	v_add_f32_e32 v2, v2, v3
	ds_bpermute_b32 v1, v1, v2
	s_and_saveexec_b64 s[2:3], s[4:5]
	s_cbranch_execz .LBB94_36
; %bb.34:
	s_waitcnt lgkmcnt(0)
	v_add_f32_e32 v2, 0x358637bd, v1
	v_div_scale_f32 v1, s[4:5], v2, v2, 1.0
	v_div_scale_f32 v3, vcc, 1.0, v2, 1.0
	s_mov_b64 s[4:5], 0
	v_rcp_f32_e32 v4, v1
	v_fma_f32 v5, -v1, v4, 1.0
	v_fmac_f32_e32 v4, v5, v4
	v_mul_f32_e32 v5, v3, v4
	v_fma_f32 v6, -v1, v5, v3
	v_fmac_f32_e32 v5, v6, v4
	v_fma_f32 v1, -v1, v5, v3
	v_div_fmas_f32 v3, v1, v4, v5
	v_mov_b32_e32 v1, 0xf0
	v_lshl_add_u32 v1, v0, 2, v1
	v_div_fixup_f32 v2, v3, v2, 1.0
	v_mov_b32_e32 v3, v0
.LBB94_35:                              ; =>This Inner Loop Header: Depth=1
	ds_read_b32 v4, v1
	v_add_u32_e32 v3, 0x80, v3
	v_cmp_le_i32_e32 vcc, s15, v3
	s_or_b64 s[4:5], vcc, s[4:5]
	s_waitcnt lgkmcnt(0)
	v_mul_f32_e32 v4, v2, v4
	ds_write_b32 v1, v4
	v_add_u32_e32 v1, 0x200, v1
	s_andn2_b64 exec, exec, s[4:5]
	s_cbranch_execnz .LBB94_35
.LBB94_36:
	s_or_b64 exec, exec, s[2:3]
	v_mov_b32_e32 v19, 0
	v_and_b32_e32 v12, 3, v0
	v_mov_b32_e32 v20, 0
	v_mov_b32_e32 v17, 0
	;; [unrolled: 1-line block ×6, first 2 shown]
	s_waitcnt lgkmcnt(0)
	s_barrier
	s_and_saveexec_b64 s[2:3], s[0:1]
	s_cbranch_execz .LBB94_56
; %bb.37:
	s_ashr_i32 s15, s14, 31
	s_sub_i32 s17, s12, s17
	s_lshl_b64 s[0:1], s[14:15], 1
	s_add_u32 s0, s28, s0
	s_addc_u32 s1, s29, s1
	s_abs_i32 s14, s18
	v_cvt_f32_u32_e32 v1, s14
	s_sub_i32 s4, 0, s14
	v_lshlrev_b32_e32 v2, 4, v0
	v_and_b32_e32 v2, 0x3f0, v2
	v_rcp_iflag_f32_e32 v1, v1
	s_add_i32 s18, s16, -1
	v_mov_b32_e32 v5, s1
	v_add_co_u32_e32 v22, vcc, s0, v2
	v_mul_f32_e32 v1, 0x4f7ffffe, v1
	v_cvt_u32_f32_e32 v1, v1
	s_lshl_b64 s[0:1], s[26:27], 2
	s_add_u32 s0, s24, s0
	v_and_b32_e32 v3, 60, v32
	v_mul_lo_u32 v4, s4, v1
	v_addc_co_u32_e32 v23, vcc, 0, v5, vcc
	s_addc_u32 s1, s25, s1
	v_mul_hi_u32 v4, v1, v4
	v_add_co_u32_e32 v5, vcc, s0, v3
	v_and_b32_e32 v18, 24, v31
	v_add_u32_e32 v24, v1, v4
	v_mov_b32_e32 v1, s1
	v_addc_co_u32_e32 v6, vcc, 0, v1, vcc
	v_lshlrev_b32_e32 v1, 5, v12
	v_lshl_or_b32 v1, v29, 7, v1
	s_mov_b32 s15, s13
	v_mov_b32_e32 v21, 0
	v_add_u32_e32 v25, 0xf0, v1
	s_mov_b64 s[4:5], 0
	s_mov_b32 s24, 0xffff
	v_mov_b32_e32 v13, 0
	v_mov_b32_e32 v14, 0
	;; [unrolled: 1-line block ×7, first 2 shown]
	s_branch .LBB94_40
.LBB94_38:                              ;   in Loop: Header=BB94_40 Depth=1
	s_or_b64 exec, exec, s[12:13]
	v_add_f32_e32 v26, v50, v51
	v_add_f32_e32 v14, v14, v26
	;; [unrolled: 1-line block ×12, first 2 shown]
	v_lshlrev_b32_e32 v26, 16, v52
	v_and_or_b32 v1, v1, s24, v26
	v_lshlrev_b32_e32 v8, 16, v8
	v_lshlrev_b32_e32 v7, 16, v7
	v_and_or_b32 v2, v2, s24, v8
	v_and_or_b32 v3, v3, s24, v7
	;;#ASMSTART
	v_pk_mul_f16 v1, v37, v1;

	;;#ASMEND
	;;#ASMSTART
	v_pk_mul_f16 v2, v38, v2;

	;;#ASMEND
	;; [unrolled: 4-line block ×4, first 2 shown]
	;;#ASMSTART
	v_pk_add_f16 v1, v1, v2;

	;;#ASMEND
	;;#ASMSTART
	v_pk_add_f16 v1, v1, v3;

	;;#ASMEND
	;; [unrolled: 4-line block ×3, first 2 shown]
	v_lshrrev_b32_e32 v2, 16, v1
	v_and_b32_e32 v1, 0xffff, v1
	;;#ASMSTART
	v_cvt_f32_f16 v1, v1;
	;;#ASMEND
	;;#ASMSTART
	v_cvt_f32_f16 v2, v2;
	;;#ASMEND
	v_add_f32_e32 v1, v1, v2
	v_add_f32_e32 v13, v13, v1
.LBB94_39:                              ;   in Loop: Header=BB94_40 Depth=1
	s_or_b64 exec, exec, s[6:7]
	v_add_co_u32_e32 v5, vcc, 8, v5
	v_add_u32_e32 v29, 2, v29
	v_addc_co_u32_e32 v6, vcc, 0, v6, vcc
	v_cmp_le_i32_e32 vcc, s16, v29
	v_add_u32_e32 v30, 64, v30
	s_or_b64 s[4:5], vcc, s[4:5]
	v_add_u32_e32 v25, 0x100, v25
	s_andn2_b64 exec, exec, s[4:5]
	s_cbranch_execz .LBB94_55
.LBB94_40:                              ; =>This Inner Loop Header: Depth=1
	v_mul_hi_u32 v1, v30, s40
	v_mul_lo_u32 v2, v1, s21
	v_add_u32_e32 v3, 1, v1
	v_sub_u32_e32 v2, v30, v2
	v_cmp_le_u32_e32 vcc, s21, v2
	v_cndmask_b32_e32 v1, v1, v3, vcc
	v_subrev_u32_e32 v3, s21, v2
	v_cndmask_b32_e32 v2, v2, v3, vcc
	v_add_u32_e32 v3, 1, v1
	v_cmp_le_u32_e32 vcc, s21, v2
	v_cndmask_b32_e32 v1, v1, v3, vcc
	v_xor_b32_e32 v1, s19, v1
	v_subrev_u32_e32 v1, s19, v1
	v_add_u32_e32 v2, s41, v1
	v_sub_u32_e32 v3, 0, v2
	v_max_i32_e32 v3, v2, v3
	v_mul_hi_u32 v4, v3, v24
	v_ashrrev_i32_e32 v2, 31, v2
	v_cmp_lt_i32_e64 s[0:1], s17, v1
	v_mul_lo_u32 v4, v4, s14
	v_sub_u32_e32 v3, v3, v4
	v_subrev_u32_e32 v4, s14, v3
	v_cmp_le_u32_e32 vcc, s14, v3
	v_cndmask_b32_e32 v3, v3, v4, vcc
	v_subrev_u32_e32 v4, s14, v3
	v_cmp_le_u32_e32 vcc, s14, v3
	v_cndmask_b32_e32 v3, v3, v4, vcc
	v_xor_b32_e32 v3, v3, v2
	v_sub_u32_e32 v2, v3, v2
	v_cmp_eq_u32_e32 vcc, 0, v2
	s_or_b64 s[0:1], vcc, s[0:1]
	s_and_saveexec_b64 s[6:7], s[0:1]
	s_cbranch_execz .LBB94_39
; %bb.41:                               ;   in Loop: Header=BB94_40 Depth=1
	global_load_dword v7, v[5:6], off
	ds_read2_b64 v[1:4], v25 offset1:1
	ds_read2_b64 v[31:34], v25 offset0:2 offset1:3
	v_add_u32_e32 v26, v18, v30
	v_add_u32_e32 v35, 1, v26
	s_waitcnt lgkmcnt(1)
	;;#ASMSTART
	v_cvt_f16_f32 v36, v1;

	;;#ASMEND
	;;#ASMSTART
	v_cvt_f16_f32 v37, v2;

	;;#ASMEND
	;; [unrolled: 4-line block ×4, first 2 shown]
	s_waitcnt lgkmcnt(0)
	;;#ASMSTART
	v_cvt_f16_f32 v40, v31;

	;;#ASMEND
	;;#ASMSTART
	v_cvt_f16_f32 v41, v32;

	;;#ASMEND
	;; [unrolled: 4-line block ×4, first 2 shown]
	v_add_u32_e32 v34, 2, v26
	v_add_u32_e32 v33, 3, v26
	v_add_u32_e32 v32, 4, v26
	v_add_u32_e32 v31, 5, v26
	v_add_u32_e32 v28, 6, v26
	v_add_u32_e32 v27, 7, v26
	s_waitcnt vmcnt(0)
	v_mad_i64_i32 v[1:2], s[0:1], v7, s15, 0
	v_cmp_eq_u32_e64 s[0:1], s18, v29
	v_lshlrev_b64 v[1:2], 1, v[1:2]
	v_add_co_u32_e32 v7, vcc, v22, v1
	v_addc_co_u32_e32 v8, vcc, v23, v2, vcc
	global_load_dwordx4 v[1:4], v[7:8], off
	s_waitcnt vmcnt(0)
	v_lshrrev_b32_e32 v46, 16, v1
	v_lshrrev_b32_e32 v45, 16, v2
	;; [unrolled: 1-line block ×3, first 2 shown]
	s_and_saveexec_b64 s[12:13], s[0:1]
	s_cbranch_execz .LBB94_43
; %bb.42:                               ;   in Loop: Header=BB94_40 Depth=1
	v_cmp_gt_i32_e32 vcc, s33, v26
	v_cndmask_b32_e32 v1, 0, v1, vcc
	v_cmp_gt_i32_e32 vcc, s33, v35
	v_cndmask_b32_e32 v46, 0, v46, vcc
	;; [unrolled: 2-line block ×6, first 2 shown]
	v_cmp_gt_i32_e32 vcc, s33, v28
	v_cndmask_b32_sdwa v47, v21, v4, vcc dst_sel:DWORD dst_unused:UNUSED_PAD src0_sel:DWORD src1_sel:WORD_0
	v_and_b32_e32 v4, 0xffff0000, v4
	v_cmp_gt_i32_e32 vcc, s33, v27
	v_cndmask_b32_e32 v4, 0, v4, vcc
	v_or_b32_e32 v4, v47, v4
.LBB94_43:                              ;   in Loop: Header=BB94_40 Depth=1
	s_or_b64 exec, exec, s[12:13]
	v_and_b32_e32 v36, 0xffff, v36
	v_lshl_or_b32 v37, v37, 16, v36
	v_and_b32_e32 v36, 0xffff, v38
	v_lshl_or_b32 v38, v39, 16, v36
	v_and_b32_e32 v36, 0xffff, v40
	v_lshlrev_b32_e32 v40, 16, v46
	v_and_or_b32 v1, v1, s24, v40
	v_lshlrev_b32_e32 v40, 16, v45
	v_and_or_b32 v2, v2, s24, v40
	v_lshlrev_b32_e32 v40, 16, v44
	v_lshl_or_b32 v39, v41, 16, v36
	v_and_b32_e32 v36, 0xffff, v42
	v_and_or_b32 v3, v3, s24, v40
	;;#ASMSTART
	v_pk_mul_f16 v1, v37, v1;

	;;#ASMEND
	v_lshl_or_b32 v36, v43, 16, v36
	;;#ASMSTART
	v_pk_mul_f16 v2, v38, v2;

	;;#ASMEND
	;;#ASMSTART
	v_pk_mul_f16 v3, v39, v3;

	;;#ASMEND
	;; [unrolled: 4-line block ×3, first 2 shown]
	;;#ASMSTART
	v_pk_add_f16 v1, v1, v2;

	;;#ASMEND
	;;#ASMSTART
	v_pk_add_f16 v1, v1, v3;

	;;#ASMEND
	;; [unrolled: 4-line block ×3, first 2 shown]
	v_lshrrev_b32_e32 v2, 16, v1
	v_and_b32_e32 v1, 0xffff, v1
	;;#ASMSTART
	v_cvt_f32_f16 v40, v1;
	;;#ASMEND
	;;#ASMSTART
	v_cvt_f32_f16 v41, v2;
	;;#ASMEND
	global_load_dwordx4 v[1:4], v[7:8], off offset:1024
	s_waitcnt vmcnt(0)
	v_lshrrev_b32_e32 v44, 16, v1
	v_lshrrev_b32_e32 v43, 16, v2
	;; [unrolled: 1-line block ×3, first 2 shown]
	s_and_saveexec_b64 s[12:13], s[0:1]
	s_cbranch_execz .LBB94_45
; %bb.44:                               ;   in Loop: Header=BB94_40 Depth=1
	v_cmp_gt_i32_e32 vcc, s33, v26
	v_cndmask_b32_e32 v1, 0, v1, vcc
	v_cmp_gt_i32_e32 vcc, s33, v35
	v_cndmask_b32_e32 v44, 0, v44, vcc
	;; [unrolled: 2-line block ×6, first 2 shown]
	v_cmp_gt_i32_e32 vcc, s33, v28
	v_cndmask_b32_sdwa v45, v21, v4, vcc dst_sel:DWORD dst_unused:UNUSED_PAD src0_sel:DWORD src1_sel:WORD_0
	v_and_b32_e32 v4, 0xffff0000, v4
	v_cmp_gt_i32_e32 vcc, s33, v27
	v_cndmask_b32_e32 v4, 0, v4, vcc
	v_or_b32_e32 v4, v45, v4
.LBB94_45:                              ;   in Loop: Header=BB94_40 Depth=1
	s_or_b64 exec, exec, s[12:13]
	v_lshlrev_b32_e32 v44, 16, v44
	v_and_or_b32 v1, v1, s24, v44
	v_lshlrev_b32_e32 v43, 16, v43
	v_lshlrev_b32_e32 v42, 16, v42
	v_and_or_b32 v2, v2, s24, v43
	v_and_or_b32 v3, v3, s24, v42
	;;#ASMSTART
	v_pk_mul_f16 v1, v37, v1;

	;;#ASMEND
	;;#ASMSTART
	v_pk_mul_f16 v2, v38, v2;

	;;#ASMEND
	;; [unrolled: 4-line block ×4, first 2 shown]
	;;#ASMSTART
	v_pk_add_f16 v1, v1, v2;

	;;#ASMEND
	;;#ASMSTART
	v_pk_add_f16 v1, v1, v3;

	;;#ASMEND
	;; [unrolled: 4-line block ×3, first 2 shown]
	v_lshrrev_b32_e32 v2, 16, v1
	v_and_b32_e32 v1, 0xffff, v1
	;;#ASMSTART
	v_cvt_f32_f16 v42, v1;
	;;#ASMEND
	;;#ASMSTART
	v_cvt_f32_f16 v43, v2;
	;;#ASMEND
	global_load_dwordx4 v[1:4], v[7:8], off offset:2048
	s_waitcnt vmcnt(0)
	v_lshrrev_b32_e32 v46, 16, v1
	v_lshrrev_b32_e32 v45, 16, v2
	;; [unrolled: 1-line block ×3, first 2 shown]
	s_and_saveexec_b64 s[12:13], s[0:1]
	s_cbranch_execz .LBB94_47
; %bb.46:                               ;   in Loop: Header=BB94_40 Depth=1
	v_cmp_gt_i32_e32 vcc, s33, v26
	v_cndmask_b32_e32 v1, 0, v1, vcc
	v_cmp_gt_i32_e32 vcc, s33, v35
	v_cndmask_b32_e32 v46, 0, v46, vcc
	;; [unrolled: 2-line block ×6, first 2 shown]
	v_cmp_gt_i32_e32 vcc, s33, v28
	v_cndmask_b32_sdwa v47, v21, v4, vcc dst_sel:DWORD dst_unused:UNUSED_PAD src0_sel:DWORD src1_sel:WORD_0
	v_and_b32_e32 v4, 0xffff0000, v4
	v_cmp_gt_i32_e32 vcc, s33, v27
	v_cndmask_b32_e32 v4, 0, v4, vcc
	v_or_b32_e32 v4, v47, v4
.LBB94_47:                              ;   in Loop: Header=BB94_40 Depth=1
	s_or_b64 exec, exec, s[12:13]
	v_lshlrev_b32_e32 v46, 16, v46
	v_and_or_b32 v1, v1, s24, v46
	v_lshlrev_b32_e32 v45, 16, v45
	v_lshlrev_b32_e32 v44, 16, v44
	v_and_or_b32 v2, v2, s24, v45
	v_and_or_b32 v3, v3, s24, v44
	;;#ASMSTART
	v_pk_mul_f16 v1, v37, v1;

	;;#ASMEND
	;;#ASMSTART
	v_pk_mul_f16 v2, v38, v2;

	;;#ASMEND
	;; [unrolled: 4-line block ×4, first 2 shown]
	;;#ASMSTART
	v_pk_add_f16 v1, v1, v2;

	;;#ASMEND
	;;#ASMSTART
	v_pk_add_f16 v1, v1, v3;

	;;#ASMEND
	;; [unrolled: 4-line block ×3, first 2 shown]
	v_lshrrev_b32_e32 v2, 16, v1
	v_and_b32_e32 v1, 0xffff, v1
	;;#ASMSTART
	v_cvt_f32_f16 v44, v1;
	;;#ASMEND
	;;#ASMSTART
	v_cvt_f32_f16 v45, v2;
	;;#ASMEND
	global_load_dwordx4 v[1:4], v[7:8], off offset:3072
	s_waitcnt vmcnt(0)
	v_lshrrev_b32_e32 v48, 16, v1
	v_lshrrev_b32_e32 v47, 16, v2
	;; [unrolled: 1-line block ×3, first 2 shown]
	s_and_saveexec_b64 s[12:13], s[0:1]
	s_cbranch_execz .LBB94_49
; %bb.48:                               ;   in Loop: Header=BB94_40 Depth=1
	v_cmp_gt_i32_e32 vcc, s33, v26
	v_cndmask_b32_e32 v1, 0, v1, vcc
	v_cmp_gt_i32_e32 vcc, s33, v35
	v_cndmask_b32_e32 v48, 0, v48, vcc
	v_cmp_gt_i32_e32 vcc, s33, v34
	v_cndmask_b32_e32 v2, 0, v2, vcc
	v_cmp_gt_i32_e32 vcc, s33, v33
	v_cndmask_b32_e32 v47, 0, v47, vcc
	v_cmp_gt_i32_e32 vcc, s33, v32
	v_cndmask_b32_e32 v3, 0, v3, vcc
	v_cmp_gt_i32_e32 vcc, s33, v31
	v_cndmask_b32_e32 v46, 0, v46, vcc
	v_cmp_gt_i32_e32 vcc, s33, v28
	v_cndmask_b32_sdwa v49, v21, v4, vcc dst_sel:DWORD dst_unused:UNUSED_PAD src0_sel:DWORD src1_sel:WORD_0
	v_and_b32_e32 v4, 0xffff0000, v4
	v_cmp_gt_i32_e32 vcc, s33, v27
	v_cndmask_b32_e32 v4, 0, v4, vcc
	v_or_b32_e32 v4, v49, v4
.LBB94_49:                              ;   in Loop: Header=BB94_40 Depth=1
	s_or_b64 exec, exec, s[12:13]
	v_lshlrev_b32_e32 v48, 16, v48
	v_and_or_b32 v1, v1, s24, v48
	v_lshlrev_b32_e32 v47, 16, v47
	v_lshlrev_b32_e32 v46, 16, v46
	v_and_or_b32 v2, v2, s24, v47
	v_and_or_b32 v3, v3, s24, v46
	;;#ASMSTART
	v_pk_mul_f16 v1, v37, v1;

	;;#ASMEND
	;;#ASMSTART
	v_pk_mul_f16 v2, v38, v2;

	;;#ASMEND
	;; [unrolled: 4-line block ×4, first 2 shown]
	;;#ASMSTART
	v_pk_add_f16 v1, v1, v2;

	;;#ASMEND
	;;#ASMSTART
	v_pk_add_f16 v1, v1, v3;

	;;#ASMEND
	;; [unrolled: 4-line block ×3, first 2 shown]
	v_lshrrev_b32_e32 v2, 16, v1
	v_and_b32_e32 v1, 0xffff, v1
	;;#ASMSTART
	v_cvt_f32_f16 v46, v1;
	;;#ASMEND
	v_add_co_u32_e32 v1, vcc, 0x1000, v7
	;;#ASMSTART
	v_cvt_f32_f16 v47, v2;
	;;#ASMEND
	v_addc_co_u32_e32 v2, vcc, 0, v8, vcc
	global_load_dwordx4 v[1:4], v[1:2], off
	s_waitcnt vmcnt(0)
	v_lshrrev_b32_e32 v50, 16, v1
	v_lshrrev_b32_e32 v49, 16, v2
	;; [unrolled: 1-line block ×3, first 2 shown]
	s_and_saveexec_b64 s[12:13], s[0:1]
	s_cbranch_execz .LBB94_51
; %bb.50:                               ;   in Loop: Header=BB94_40 Depth=1
	v_cmp_gt_i32_e32 vcc, s33, v26
	v_cndmask_b32_e32 v1, 0, v1, vcc
	v_cmp_gt_i32_e32 vcc, s33, v35
	v_cndmask_b32_e32 v50, 0, v50, vcc
	;; [unrolled: 2-line block ×6, first 2 shown]
	v_cmp_gt_i32_e32 vcc, s33, v28
	v_cndmask_b32_sdwa v51, v21, v4, vcc dst_sel:DWORD dst_unused:UNUSED_PAD src0_sel:DWORD src1_sel:WORD_0
	v_and_b32_e32 v4, 0xffff0000, v4
	v_cmp_gt_i32_e32 vcc, s33, v27
	v_cndmask_b32_e32 v4, 0, v4, vcc
	v_or_b32_e32 v4, v51, v4
.LBB94_51:                              ;   in Loop: Header=BB94_40 Depth=1
	s_or_b64 exec, exec, s[12:13]
	v_lshlrev_b32_e32 v50, 16, v50
	v_and_or_b32 v1, v1, s24, v50
	v_lshlrev_b32_e32 v49, 16, v49
	v_lshlrev_b32_e32 v48, 16, v48
	v_and_or_b32 v2, v2, s24, v49
	v_and_or_b32 v3, v3, s24, v48
	;;#ASMSTART
	v_pk_mul_f16 v1, v37, v1;

	;;#ASMEND
	;;#ASMSTART
	v_pk_mul_f16 v2, v38, v2;

	;;#ASMEND
	;;#ASMSTART
	v_pk_mul_f16 v3, v39, v3;

	;;#ASMEND
	;;#ASMSTART
	v_pk_mul_f16 v4, v36, v4;

	;;#ASMEND
	;;#ASMSTART
	v_pk_add_f16 v1, v1, v2;

	;;#ASMEND
	;;#ASMSTART
	v_pk_add_f16 v1, v1, v3;

	;;#ASMEND
	;; [unrolled: 4-line block ×3, first 2 shown]
	v_lshrrev_b32_e32 v2, 16, v1
	v_and_b32_e32 v1, 0xffff, v1
	;;#ASMSTART
	v_cvt_f32_f16 v48, v1;
	;;#ASMEND
	v_add_co_u32_e32 v1, vcc, 0x1000, v7
	;;#ASMSTART
	v_cvt_f32_f16 v49, v2;
	;;#ASMEND
	v_addc_co_u32_e32 v2, vcc, 0, v8, vcc
	global_load_dwordx4 v[1:4], v[1:2], off offset:1024
	s_waitcnt vmcnt(0)
	v_lshrrev_b32_e32 v52, 16, v1
	v_lshrrev_b32_e32 v51, 16, v2
	;; [unrolled: 1-line block ×3, first 2 shown]
	s_and_saveexec_b64 s[12:13], s[0:1]
	s_cbranch_execz .LBB94_53
; %bb.52:                               ;   in Loop: Header=BB94_40 Depth=1
	v_cmp_gt_i32_e32 vcc, s33, v26
	v_cndmask_b32_e32 v1, 0, v1, vcc
	v_cmp_gt_i32_e32 vcc, s33, v35
	v_cndmask_b32_e32 v52, 0, v52, vcc
	;; [unrolled: 2-line block ×6, first 2 shown]
	v_cmp_gt_i32_e32 vcc, s33, v28
	v_cndmask_b32_sdwa v53, v21, v4, vcc dst_sel:DWORD dst_unused:UNUSED_PAD src0_sel:DWORD src1_sel:WORD_0
	v_and_b32_e32 v4, 0xffff0000, v4
	v_cmp_gt_i32_e32 vcc, s33, v27
	v_cndmask_b32_e32 v4, 0, v4, vcc
	v_or_b32_e32 v4, v53, v4
.LBB94_53:                              ;   in Loop: Header=BB94_40 Depth=1
	s_or_b64 exec, exec, s[12:13]
	v_lshlrev_b32_e32 v52, 16, v52
	v_and_or_b32 v1, v1, s24, v52
	v_lshlrev_b32_e32 v51, 16, v51
	v_lshlrev_b32_e32 v50, 16, v50
	v_and_or_b32 v2, v2, s24, v51
	v_and_or_b32 v3, v3, s24, v50
	;;#ASMSTART
	v_pk_mul_f16 v1, v37, v1;

	;;#ASMEND
	;;#ASMSTART
	v_pk_mul_f16 v2, v38, v2;

	;;#ASMEND
	;; [unrolled: 4-line block ×4, first 2 shown]
	;;#ASMSTART
	v_pk_add_f16 v1, v1, v2;

	;;#ASMEND
	;;#ASMSTART
	v_pk_add_f16 v1, v1, v3;

	;;#ASMEND
	;; [unrolled: 4-line block ×3, first 2 shown]
	v_lshrrev_b32_e32 v2, 16, v1
	v_and_b32_e32 v1, 0xffff, v1
	;;#ASMSTART
	v_cvt_f32_f16 v50, v1;
	;;#ASMEND
	v_add_co_u32_e32 v1, vcc, 0x1000, v7
	;;#ASMSTART
	v_cvt_f32_f16 v51, v2;
	;;#ASMEND
	v_addc_co_u32_e32 v2, vcc, 0, v8, vcc
	global_load_dwordx4 v[1:4], v[1:2], off offset:2048
	s_waitcnt vmcnt(0)
	v_lshrrev_b32_e32 v52, 16, v1
	v_lshrrev_b32_e32 v8, 16, v2
	;; [unrolled: 1-line block ×3, first 2 shown]
	s_and_saveexec_b64 s[12:13], s[0:1]
	s_cbranch_execz .LBB94_38
; %bb.54:                               ;   in Loop: Header=BB94_40 Depth=1
	v_cmp_gt_i32_e32 vcc, s33, v26
	v_cndmask_b32_e32 v1, 0, v1, vcc
	v_cmp_gt_i32_e32 vcc, s33, v35
	v_cndmask_b32_e32 v52, 0, v52, vcc
	;; [unrolled: 2-line block ×6, first 2 shown]
	v_cmp_gt_i32_e32 vcc, s33, v28
	v_cndmask_b32_sdwa v26, v21, v4, vcc dst_sel:DWORD dst_unused:UNUSED_PAD src0_sel:DWORD src1_sel:WORD_0
	v_and_b32_e32 v4, 0xffff0000, v4
	v_cmp_gt_i32_e32 vcc, s33, v27
	v_cndmask_b32_e32 v4, 0, v4, vcc
	v_or_b32_e32 v4, v26, v4
	s_branch .LBB94_38
.LBB94_55:
	s_or_b64 exec, exec, s[4:5]
.LBB94_56:
	s_or_b64 exec, exec, s[2:3]
	ds_bpermute_b32 v1, v10, v19
	ds_bpermute_b32 v2, v10, v20
	;; [unrolled: 1-line block ×4, first 2 shown]
	s_waitcnt lgkmcnt(0)
	v_add_f32_e32 v1, v19, v1
	v_add_f32_e32 v4, v20, v2
	ds_bpermute_b32 v2, v11, v1
	ds_bpermute_b32 v5, v11, v4
	v_add_f32_e32 v3, v17, v3
	ds_bpermute_b32 v7, v11, v3
	s_waitcnt lgkmcnt(0)
	s_barrier
	v_add_f32_e32 v2, v1, v2
	v_add_f32_e32 v1, v4, v5
	ds_bpermute_b32 v4, v10, v15
	v_add_f32_e32 v5, v16, v6
	ds_bpermute_b32 v6, v10, v14
	ds_bpermute_b32 v10, v10, v13
	;; [unrolled: 1-line block ×3, first 2 shown]
	s_waitcnt lgkmcnt(3)
	v_add_f32_e32 v4, v15, v4
	ds_bpermute_b32 v15, v11, v4
	s_waitcnt lgkmcnt(3)
	v_add_f32_e32 v14, v14, v6
	s_waitcnt lgkmcnt(2)
	v_add_f32_e32 v10, v13, v10
	ds_bpermute_b32 v16, v11, v14
	ds_bpermute_b32 v11, v11, v10
	s_waitcnt lgkmcnt(3)
	v_add_f32_e32 v6, v5, v8
	v_and_b32_e32 v8, 0x3c3, v0
	v_add_f32_e32 v7, v3, v7
	s_waitcnt lgkmcnt(2)
	v_add_f32_e32 v5, v4, v15
	s_waitcnt lgkmcnt(1)
	;; [unrolled: 2-line block ×3, first 2 shown]
	v_add_f32_e32 v3, v10, v11
	v_cmp_eq_u32_e32 vcc, 64, v8
	s_and_saveexec_b64 s[0:1], vcc
	s_cbranch_execz .LBB94_58
; %bb.57:
	v_add_u32_e32 v9, 0xf0, v9
	ds_write2_b32 v9, v2, v1 offset1:16
	ds_write2_b32 v9, v7, v6 offset0:32 offset1:48
	ds_write2_b32 v9, v5, v4 offset0:64 offset1:80
	ds_write_b32 v9, v3 offset:384
.LBB94_58:
	s_or_b64 exec, exec, s[0:1]
	v_cmp_gt_u32_e32 vcc, 64, v0
	v_lshrrev_b32_e32 v0, 2, v0
	s_waitcnt lgkmcnt(0)
	s_barrier
	s_and_saveexec_b64 s[0:1], vcc
	s_cbranch_execz .LBB94_68
; %bb.59:
	v_mov_b32_e32 v9, 0xf0
	v_cmp_eq_u32_e32 vcc, 0, v12
	v_lshl_add_u32 v9, v0, 2, v9
	s_and_saveexec_b64 s[2:3], vcc
	s_cbranch_execnz .LBB94_71
; %bb.60:
	s_or_b64 exec, exec, s[2:3]
	s_and_saveexec_b64 s[2:3], vcc
	s_cbranch_execnz .LBB94_72
.LBB94_61:
	s_or_b64 exec, exec, s[2:3]
	s_and_saveexec_b64 s[2:3], vcc
	s_cbranch_execnz .LBB94_73
.LBB94_62:
	s_or_b64 exec, exec, s[2:3]
	s_and_saveexec_b64 s[2:3], vcc
	s_cbranch_execnz .LBB94_74
.LBB94_63:
	s_or_b64 exec, exec, s[2:3]
	s_and_saveexec_b64 s[2:3], vcc
	s_cbranch_execnz .LBB94_75
.LBB94_64:
	s_or_b64 exec, exec, s[2:3]
	s_and_saveexec_b64 s[2:3], vcc
	s_cbranch_execnz .LBB94_76
.LBB94_65:
	s_or_b64 exec, exec, s[2:3]
	s_and_saveexec_b64 s[2:3], vcc
	s_cbranch_execz .LBB94_67
.LBB94_66:
	ds_read_b32 v9, v9 offset:384
	s_waitcnt lgkmcnt(0)
	v_add_f32_e32 v3, v3, v9
.LBB94_67:
	s_or_b64 exec, exec, s[2:3]
.LBB94_68:
	s_or_b64 exec, exec, s[0:1]
	v_cmp_eq_u32_e32 vcc, 0, v8
	s_barrier
	s_and_saveexec_b64 s[0:1], vcc
	s_cbranch_execz .LBB94_70
; %bb.69:
	s_mul_i32 s0, s10, s11
	s_mul_i32 s0, s0, s9
	s_mulk_i32 s0, 0x70
	s_ashr_i32 s1, s0, 31
	s_lshl_b64 s[0:1], s[0:1], 1
	s_add_u32 s2, s22, s0
	s_mul_i32 s0, s11, s20
	s_addc_u32 s3, s23, s1
	s_ashr_i32 s1, s0, 31
	s_lshl_b64 s[0:1], s[0:1], 1
	s_add_u32 s2, s2, s0
	s_mul_i32 s0, s8, 0x70
	s_addc_u32 s3, s3, s1
	s_ashr_i32 s1, s0, 31
	s_lshl_b64 s[0:1], s[0:1], 1
	s_add_u32 s0, s2, s0
	s_addc_u32 s1, s3, s1
	v_lshlrev_b32_e32 v0, 1, v0
	;;#ASMSTART
	v_cvt_f16_f32 v2, v2;

	;;#ASMEND
	global_store_short v0, v2, s[0:1]
	;;#ASMSTART
	v_cvt_f16_f32 v1, v1;

	;;#ASMEND
	global_store_short v0, v1, s[0:1] offset:32
	;;#ASMSTART
	v_cvt_f16_f32 v1, v7;

	;;#ASMEND
	global_store_short v0, v1, s[0:1] offset:64
	;; [unrolled: 5-line block ×6, first 2 shown]
.LBB94_70:
	s_endpgm
.LBB94_71:
	ds_read_b32 v10, v9
	s_waitcnt lgkmcnt(0)
	v_add_f32_e32 v2, v2, v10
	s_or_b64 exec, exec, s[2:3]
	s_and_saveexec_b64 s[2:3], vcc
	s_cbranch_execz .LBB94_61
.LBB94_72:
	ds_read_b32 v10, v9 offset:64
	s_waitcnt lgkmcnt(0)
	v_add_f32_e32 v1, v1, v10
	s_or_b64 exec, exec, s[2:3]
	s_and_saveexec_b64 s[2:3], vcc
	s_cbranch_execz .LBB94_62
.LBB94_73:
	ds_read_b32 v10, v9 offset:128
	s_waitcnt lgkmcnt(0)
	v_add_f32_e32 v7, v7, v10
	s_or_b64 exec, exec, s[2:3]
	s_and_saveexec_b64 s[2:3], vcc
	s_cbranch_execz .LBB94_63
.LBB94_74:
	ds_read_b32 v10, v9 offset:192
	s_waitcnt lgkmcnt(0)
	v_add_f32_e32 v6, v6, v10
	s_or_b64 exec, exec, s[2:3]
	s_and_saveexec_b64 s[2:3], vcc
	s_cbranch_execz .LBB94_64
.LBB94_75:
	ds_read_b32 v10, v9 offset:256
	s_waitcnt lgkmcnt(0)
	v_add_f32_e32 v5, v5, v10
	s_or_b64 exec, exec, s[2:3]
	s_and_saveexec_b64 s[2:3], vcc
	s_cbranch_execz .LBB94_65
.LBB94_76:
	ds_read_b32 v10, v9 offset:320
	s_waitcnt lgkmcnt(0)
	v_add_f32_e32 v4, v4, v10
	s_or_b64 exec, exec, s[2:3]
	s_and_saveexec_b64 s[2:3], vcc
	s_cbranch_execnz .LBB94_66
	s_branch .LBB94_67
	.section	.rodata,"a",@progbits
	.p2align	6, 0x0
	.amdhsa_kernel _ZN4vllm25paged_attention_v1_kernelIttLi112ELi32ELi128ELNS_18Fp8KVCacheDataTypeE0ELb1EEEvPT_PKS2_PKT0_S8_ifPKiSA_iPKfiiiSC_SC_iiiii
		.amdhsa_group_segment_fixed_size 240
		.amdhsa_private_segment_fixed_size 0
		.amdhsa_kernarg_size 384
		.amdhsa_user_sgpr_count 6
		.amdhsa_user_sgpr_private_segment_buffer 1
		.amdhsa_user_sgpr_dispatch_ptr 0
		.amdhsa_user_sgpr_queue_ptr 0
		.amdhsa_user_sgpr_kernarg_segment_ptr 1
		.amdhsa_user_sgpr_dispatch_id 0
		.amdhsa_user_sgpr_flat_scratch_init 0
		.amdhsa_user_sgpr_private_segment_size 0
		.amdhsa_uses_dynamic_stack 0
		.amdhsa_system_sgpr_private_segment_wavefront_offset 0
		.amdhsa_system_sgpr_workgroup_id_x 1
		.amdhsa_system_sgpr_workgroup_id_y 1
		.amdhsa_system_sgpr_workgroup_id_z 1
		.amdhsa_system_sgpr_workgroup_info 0
		.amdhsa_system_vgpr_workitem_id 0
		.amdhsa_next_free_vgpr 60
		.amdhsa_next_free_sgpr 45
		.amdhsa_reserve_vcc 1
		.amdhsa_reserve_flat_scratch 0
		.amdhsa_float_round_mode_32 0
		.amdhsa_float_round_mode_16_64 0
		.amdhsa_float_denorm_mode_32 3
		.amdhsa_float_denorm_mode_16_64 3
		.amdhsa_dx10_clamp 1
		.amdhsa_ieee_mode 1
		.amdhsa_fp16_overflow 0
		.amdhsa_exception_fp_ieee_invalid_op 0
		.amdhsa_exception_fp_denorm_src 0
		.amdhsa_exception_fp_ieee_div_zero 0
		.amdhsa_exception_fp_ieee_overflow 0
		.amdhsa_exception_fp_ieee_underflow 0
		.amdhsa_exception_fp_ieee_inexact 0
		.amdhsa_exception_int_div_zero 0
	.end_amdhsa_kernel
	.section	.text._ZN4vllm25paged_attention_v1_kernelIttLi112ELi32ELi128ELNS_18Fp8KVCacheDataTypeE0ELb1EEEvPT_PKS2_PKT0_S8_ifPKiSA_iPKfiiiSC_SC_iiiii,"axG",@progbits,_ZN4vllm25paged_attention_v1_kernelIttLi112ELi32ELi128ELNS_18Fp8KVCacheDataTypeE0ELb1EEEvPT_PKS2_PKT0_S8_ifPKiSA_iPKfiiiSC_SC_iiiii,comdat
.Lfunc_end94:
	.size	_ZN4vllm25paged_attention_v1_kernelIttLi112ELi32ELi128ELNS_18Fp8KVCacheDataTypeE0ELb1EEEvPT_PKS2_PKT0_S8_ifPKiSA_iPKfiiiSC_SC_iiiii, .Lfunc_end94-_ZN4vllm25paged_attention_v1_kernelIttLi112ELi32ELi128ELNS_18Fp8KVCacheDataTypeE0ELb1EEEvPT_PKS2_PKT0_S8_ifPKiSA_iPKfiiiSC_SC_iiiii
                                        ; -- End function
	.set _ZN4vllm25paged_attention_v1_kernelIttLi112ELi32ELi128ELNS_18Fp8KVCacheDataTypeE0ELb1EEEvPT_PKS2_PKT0_S8_ifPKiSA_iPKfiiiSC_SC_iiiii.num_vgpr, 60
	.set _ZN4vllm25paged_attention_v1_kernelIttLi112ELi32ELi128ELNS_18Fp8KVCacheDataTypeE0ELb1EEEvPT_PKS2_PKT0_S8_ifPKiSA_iPKfiiiSC_SC_iiiii.num_agpr, 0
	.set _ZN4vllm25paged_attention_v1_kernelIttLi112ELi32ELi128ELNS_18Fp8KVCacheDataTypeE0ELb1EEEvPT_PKS2_PKT0_S8_ifPKiSA_iPKfiiiSC_SC_iiiii.numbered_sgpr, 45
	.set _ZN4vllm25paged_attention_v1_kernelIttLi112ELi32ELi128ELNS_18Fp8KVCacheDataTypeE0ELb1EEEvPT_PKS2_PKT0_S8_ifPKiSA_iPKfiiiSC_SC_iiiii.num_named_barrier, 0
	.set _ZN4vllm25paged_attention_v1_kernelIttLi112ELi32ELi128ELNS_18Fp8KVCacheDataTypeE0ELb1EEEvPT_PKS2_PKT0_S8_ifPKiSA_iPKfiiiSC_SC_iiiii.private_seg_size, 0
	.set _ZN4vllm25paged_attention_v1_kernelIttLi112ELi32ELi128ELNS_18Fp8KVCacheDataTypeE0ELb1EEEvPT_PKS2_PKT0_S8_ifPKiSA_iPKfiiiSC_SC_iiiii.uses_vcc, 1
	.set _ZN4vllm25paged_attention_v1_kernelIttLi112ELi32ELi128ELNS_18Fp8KVCacheDataTypeE0ELb1EEEvPT_PKS2_PKT0_S8_ifPKiSA_iPKfiiiSC_SC_iiiii.uses_flat_scratch, 0
	.set _ZN4vllm25paged_attention_v1_kernelIttLi112ELi32ELi128ELNS_18Fp8KVCacheDataTypeE0ELb1EEEvPT_PKS2_PKT0_S8_ifPKiSA_iPKfiiiSC_SC_iiiii.has_dyn_sized_stack, 0
	.set _ZN4vllm25paged_attention_v1_kernelIttLi112ELi32ELi128ELNS_18Fp8KVCacheDataTypeE0ELb1EEEvPT_PKS2_PKT0_S8_ifPKiSA_iPKfiiiSC_SC_iiiii.has_recursion, 0
	.set _ZN4vllm25paged_attention_v1_kernelIttLi112ELi32ELi128ELNS_18Fp8KVCacheDataTypeE0ELb1EEEvPT_PKS2_PKT0_S8_ifPKiSA_iPKfiiiSC_SC_iiiii.has_indirect_call, 0
	.section	.AMDGPU.csdata,"",@progbits
; Kernel info:
; codeLenInByte = 7612
; TotalNumSgprs: 49
; NumVgprs: 60
; ScratchSize: 0
; MemoryBound: 0
; FloatMode: 240
; IeeeMode: 1
; LDSByteSize: 240 bytes/workgroup (compile time only)
; SGPRBlocks: 6
; VGPRBlocks: 14
; NumSGPRsForWavesPerEU: 49
; NumVGPRsForWavesPerEU: 60
; Occupancy: 4
; WaveLimiterHint : 1
; COMPUTE_PGM_RSRC2:SCRATCH_EN: 0
; COMPUTE_PGM_RSRC2:USER_SGPR: 6
; COMPUTE_PGM_RSRC2:TRAP_HANDLER: 0
; COMPUTE_PGM_RSRC2:TGID_X_EN: 1
; COMPUTE_PGM_RSRC2:TGID_Y_EN: 1
; COMPUTE_PGM_RSRC2:TGID_Z_EN: 1
; COMPUTE_PGM_RSRC2:TIDIG_COMP_CNT: 0
	.section	.text._ZN4vllm25paged_attention_v1_kernelIttLi120ELi32ELi128ELNS_18Fp8KVCacheDataTypeE0ELb1EEEvPT_PKS2_PKT0_S8_ifPKiSA_iPKfiiiSC_SC_iiiii,"axG",@progbits,_ZN4vllm25paged_attention_v1_kernelIttLi120ELi32ELi128ELNS_18Fp8KVCacheDataTypeE0ELb1EEEvPT_PKS2_PKT0_S8_ifPKiSA_iPKfiiiSC_SC_iiiii,comdat
	.protected	_ZN4vllm25paged_attention_v1_kernelIttLi120ELi32ELi128ELNS_18Fp8KVCacheDataTypeE0ELb1EEEvPT_PKS2_PKT0_S8_ifPKiSA_iPKfiiiSC_SC_iiiii ; -- Begin function _ZN4vllm25paged_attention_v1_kernelIttLi120ELi32ELi128ELNS_18Fp8KVCacheDataTypeE0ELb1EEEvPT_PKS2_PKT0_S8_ifPKiSA_iPKfiiiSC_SC_iiiii
	.globl	_ZN4vllm25paged_attention_v1_kernelIttLi120ELi32ELi128ELNS_18Fp8KVCacheDataTypeE0ELb1EEEvPT_PKS2_PKT0_S8_ifPKiSA_iPKfiiiSC_SC_iiiii
	.p2align	8
	.type	_ZN4vllm25paged_attention_v1_kernelIttLi120ELi32ELi128ELNS_18Fp8KVCacheDataTypeE0ELb1EEEvPT_PKS2_PKT0_S8_ifPKiSA_iPKfiiiSC_SC_iiiii,@function
_ZN4vllm25paged_attention_v1_kernelIttLi120ELi32ELi128ELNS_18Fp8KVCacheDataTypeE0ELb1EEEvPT_PKS2_PKT0_S8_ifPKiSA_iPKfiiiSC_SC_iiiii: ; @_ZN4vllm25paged_attention_v1_kernelIttLi120ELi32ELi128ELNS_18Fp8KVCacheDataTypeE0ELb1EEEvPT_PKS2_PKT0_S8_ifPKiSA_iPKfiiiSC_SC_iiiii
; %bb.0:
	s_load_dword s9, s[4:5], 0x80
	s_load_dwordx2 s[0:1], s[4:5], 0x30
	s_load_dwordx2 s[30:31], s[4:5], 0x20
	s_mov_b32 s10, s7
	s_ashr_i32 s11, s7, 31
	s_lshl_b64 s[2:3], s[10:11], 2
	s_waitcnt lgkmcnt(0)
	s_add_u32 s0, s0, s2
	s_addc_u32 s1, s1, s3
	s_abs_i32 s2, s30
	v_cvt_f32_u32_e32 v1, s2
	s_sub_i32 s11, 0, s2
	s_abs_i32 s7, s9
	s_xor_b32 s3, s9, s30
	v_rcp_iflag_f32_e32 v1, v1
	s_ashr_i32 s3, s3, 31
	s_mov_b32 s43, 0
	v_mul_f32_e32 v1, 0x4f7ffffe, v1
	v_cvt_u32_f32_e32 v1, v1
	v_readfirstlane_b32 s12, v1
	s_mul_i32 s11, s11, s12
	s_mul_hi_u32 s11, s12, s11
	s_add_i32 s12, s12, s11
	s_mul_hi_u32 s11, s7, s12
	s_mul_i32 s12, s11, s2
	s_sub_i32 s7, s7, s12
	s_add_i32 s12, s11, 1
	s_sub_i32 s13, s7, s2
	s_cmp_ge_u32 s7, s2
	s_cselect_b32 s11, s12, s11
	s_cselect_b32 s7, s13, s7
	s_add_i32 s12, s11, 1
	s_cmp_ge_u32 s7, s2
	s_cselect_b32 s2, s12, s11
	s_xor_b32 s2, s2, s3
	s_sub_i32 s12, s2, s3
	s_abs_i32 s11, s12
	v_cvt_f32_u32_e32 v1, s11
	s_load_dwordx2 s[2:3], s[4:5], 0x40
	s_sub_i32 s7, 0, s11
	s_abs_i32 s22, s6
	v_rcp_iflag_f32_e32 v1, v1
	v_mul_f32_e32 v1, 0x4f7ffffe, v1
	v_cvt_u32_f32_e32 v1, v1
	v_readfirstlane_b32 s13, v1
	s_mul_i32 s7, s7, s13
	s_mul_hi_u32 s7, s13, s7
	s_add_i32 s13, s13, s7
	s_waitcnt lgkmcnt(0)
	s_cmp_eq_u64 s[2:3], 0
	s_mul_hi_u32 s23, s22, s13
	s_cbranch_scc1 .LBB95_2
; %bb.1:
	s_ashr_i32 s7, s6, 31
	s_lshl_b64 s[14:15], s[6:7], 2
	s_add_u32 s2, s2, s14
	s_addc_u32 s3, s3, s15
	s_load_dword s43, s[2:3], 0x0
.LBB95_2:
	s_load_dword s33, s[0:1], 0x0
	s_ashr_i32 s7, s12, 31
	s_load_dwordx4 s[12:15], s[4:5], 0x48
	s_ashr_i32 s2, s6, 31
	v_and_b32_e32 v1, 1, v0
	s_movk_i32 s3, 0x78
	s_mul_i32 s20, s6, 0x78
	v_cmp_gt_u32_e32 vcc, 30, v0
	v_lshlrev_b32_e32 v33, 3, v0
	s_and_saveexec_b64 s[0:1], vcc
	s_cbranch_execz .LBB95_4
; %bb.3:
	s_load_dwordx2 s[16:17], s[4:5], 0x8
	s_waitcnt lgkmcnt(0)
	s_mul_i32 s18, s12, s10
	s_ashr_i32 s19, s18, 31
	s_lshl_b64 s[18:19], s[18:19], 1
	v_lshlrev_b32_e32 v4, 2, v0
	s_add_u32 s12, s16, s18
	s_addc_u32 s15, s17, s19
	s_ashr_i32 s21, s20, 31
	s_lshl_b64 s[16:17], s[20:21], 1
	s_add_u32 s16, s12, s16
	s_addc_u32 s17, s15, s17
	global_load_dwordx2 v[2:3], v33, s[16:17]
	v_and_b32_e32 v4, 0xff8, v4
	v_mad_u32_u24 v4, v1, s3, v4
	s_waitcnt vmcnt(0)
	ds_write_b64 v4, v[2:3]
.LBB95_4:
	s_or_b64 exec, exec, s[0:1]
	s_mul_i32 s1, s23, s11
	s_sub_i32 s1, s22, s1
	s_xor_b32 s0, s2, s7
	s_add_i32 s2, s23, 1
	s_sub_i32 s7, s1, s11
	s_load_dwordx4 s[16:19], s[4:5], 0x68
	s_load_dword s3, s[4:5], 0x78
	s_cmp_ge_u32 s1, s11
	s_cselect_b32 s2, s2, s23
	s_cselect_b32 s1, s7, s1
	s_add_i32 s7, s2, 1
	s_cmp_ge_u32 s1, s11
	s_cselect_b32 s1, s7, s2
	s_waitcnt lgkmcnt(0)
	s_abs_i32 s21, s19
	v_cvt_f32_u32_e32 v2, s21
	s_xor_b32 s1, s1, s0
	s_sub_i32 s2, s1, s0
	s_sub_i32 s0, 0, s21
	v_rcp_iflag_f32_e32 v2, v2
	s_add_i32 s11, s33, -1
	s_abs_i32 s7, s11
	v_mul_f32_e32 v2, 0x4f7ffffe, v2
	v_cvt_u32_f32_e32 v2, v2
	s_barrier
	v_readfirstlane_b32 s40, v2
	s_mul_i32 s0, s0, s40
	s_mul_hi_u32 s0, s40, s0
	s_add_i32 s40, s40, s0
	s_cmp_lt_i32 s3, 0
	s_mul_hi_u32 s12, s7, s40
	s_cbranch_scc0 .LBB95_6
; %bb.5:
	s_mul_i32 s0, s16, s30
	s_add_i32 s0, s2, s0
	s_mul_i32 s0, s0, s3
	s_sub_i32 s41, 1, s0
	s_mov_b64 s[0:1], 0
	s_branch .LBB95_7
.LBB95_6:
	s_mov_b64 s[0:1], -1
                                        ; implicit-def: $sgpr41
.LBB95_7:
	s_load_dwordx2 s[24:25], s[4:5], 0x28
	s_ashr_i32 s15, s11, 31
	s_andn2_b64 vcc, exec, s[0:1]
	s_ashr_i32 s19, s19, 31
	s_cbranch_vccnz .LBB95_9
; %bb.8:
	s_mul_i32 s0, s9, s16
	s_add_i32 s0, s0, s6
	s_mul_i32 s0, s0, s3
	s_add_i32 s41, s0, 1
.LBB95_9:
	s_load_dword s0, s[4:5], 0x38
	s_load_dwordx2 s[22:23], s[4:5], 0x0
	s_load_dwordx2 s[28:29], s[4:5], 0x18
	s_load_dword s11, s[4:5], 0x88
	s_xor_b32 s1, s15, s19
	s_waitcnt lgkmcnt(0)
	s_mul_i32 s26, s0, s10
	s_mul_i32 s0, s12, s21
	s_sub_i32 s0, s7, s0
	s_ashr_i32 s27, s26, 31
	s_add_i32 s3, s12, 1
	s_sub_i32 s6, s0, s21
	s_cmp_ge_u32 s0, s21
	s_cselect_b32 s3, s3, s12
	s_cselect_b32 s0, s6, s0
	s_add_i32 s6, s3, 1
	s_cmp_ge_u32 s0, s21
	s_cselect_b32 s0, s6, s3
	s_xor_b32 s0, s0, s1
	s_sub_i32 s12, s0, s1
	s_add_i32 s0, s33, 31
	s_ashr_i32 s1, s0, 31
	s_lshr_b32 s1, s1, 27
	s_add_i32 s0, s0, s1
	s_ashr_i32 s42, s0, 5
	v_lshrrev_b32_e32 v31, 6, v0
	v_cmp_le_i32_e64 s[0:1], s42, v31
	v_cmp_gt_i32_e32 vcc, s42, v31
	v_mov_b32_e32 v39, 0xff7fffff
	s_mul_i32 s14, s2, s14
	v_lshrrev_b32_e32 v34, 4, v0
	v_lshlrev_b32_e32 v32, 5, v31
	v_mbcnt_lo_u32_b32 v35, -1, 0
	s_and_saveexec_b64 s[34:35], vcc
	s_cbranch_execz .LBB95_21
; %bb.10:
	s_load_dwordx2 s[2:3], s[4:5], 0x10
	s_ashr_i32 s15, s14, 31
	s_sub_i32 s16, s12, s17
	s_lshl_b64 s[4:5], s[14:15], 1
	v_bfe_u32 v36, v0, 1, 5
	s_waitcnt lgkmcnt(0)
	s_add_u32 s4, s2, s4
	s_addc_u32 s5, s3, s5
	s_abs_i32 s15, s18
	v_cvt_f32_u32_e32 v2, s15
	v_mov_b32_e32 v5, s5
	s_sub_i32 s5, 0, s15
	v_lshlrev_b32_e32 v4, 4, v36
	v_rcp_iflag_f32_e32 v2, v2
	v_add_co_u32_e32 v4, vcc, s4, v4
	v_and_b32_e32 v3, 8, v33
	v_mul_f32_e32 v2, 0x4f7ffffe, v2
	v_cvt_u32_f32_e32 v2, v2
	v_addc_co_u32_e32 v5, vcc, 0, v5, vcc
	v_add_co_u32_e32 v37, vcc, v4, v3
	v_mul_lo_u32 v6, s5, v2
	s_lshl_b64 s[6:7], s[26:27], 2
	v_subrev_u32_e32 v3, s33, v36
	s_add_u32 s6, s24, s6
	v_mul_hi_u32 v6, v2, v6
	v_add_u32_e32 v43, 1, v3
	v_lshlrev_b32_e32 v3, 2, v36
	v_cmp_eq_u32_e64 s[2:3], 0, v1
	v_addc_co_u32_e32 v38, vcc, 0, v5, vcc
	v_mul_u32_u24_e32 v40, 0x78, v1
	v_and_b32_e32 v1, 60, v34
	s_addc_u32 s7, s25, s7
	v_lshl_or_b32 v3, v31, 7, v3
	v_mbcnt_hi_u32_b32 v46, -1, v35
	v_add_u32_e32 v41, v2, v6
	v_mov_b32_e32 v2, s7
	v_add_co_u32_e32 v1, vcc, s6, v1
	v_add_u32_e32 v44, 0x100, v3
	v_and_b32_e32 v3, 64, v46
	s_mov_b32 s30, s13
	v_cmp_neq_f32_e64 s[4:5], s43, 0
	v_addc_co_u32_e32 v2, vcc, 0, v2, vcc
	v_lshlrev_b32_e32 v42, 5, v31
	v_mov_b32_e32 v45, 0xff7fffff
	s_mov_b64 s[36:37], 0
	s_movk_i32 s44, 0x1000
	v_xor_b32_e32 v47, 1, v46
	v_add_u32_e32 v48, 64, v3
	v_mov_b32_e32 v39, 0xff7fffff
	v_mov_b32_e32 v49, v31
	s_branch .LBB95_13
.LBB95_11:                              ;   in Loop: Header=BB95_13 Depth=1
	s_or_b64 exec, exec, s[38:39]
.LBB95_12:                              ;   in Loop: Header=BB95_13 Depth=1
	s_or_b64 exec, exec, s[6:7]
	v_add_co_u32_e32 v1, vcc, 8, v1
	v_add_u32_e32 v49, 2, v49
	v_addc_co_u32_e32 v2, vcc, 0, v2, vcc
	v_cmp_le_i32_e32 vcc, s42, v49
	v_add_u32_e32 v42, 64, v42
	s_or_b64 s[36:37], vcc, s[36:37]
	v_add_u32_e32 v44, 0x100, v44
	s_andn2_b64 exec, exec, s[36:37]
	s_cbranch_execz .LBB95_20
.LBB95_13:                              ; =>This Inner Loop Header: Depth=1
	v_mul_hi_u32 v3, v42, s40
	s_waitcnt lgkmcnt(0)
	v_mul_lo_u32 v4, v3, s21
	v_add_u32_e32 v5, 1, v3
	v_sub_u32_e32 v4, v42, v4
	v_cmp_le_u32_e32 vcc, s21, v4
	v_cndmask_b32_e32 v3, v3, v5, vcc
	v_subrev_u32_e32 v5, s21, v4
	v_cndmask_b32_e32 v4, v4, v5, vcc
	v_add_u32_e32 v5, 1, v3
	v_cmp_le_u32_e32 vcc, s21, v4
	v_cndmask_b32_e32 v3, v3, v5, vcc
	v_xor_b32_e32 v3, s19, v3
	v_subrev_u32_e32 v3, s19, v3
	v_add_u32_e32 v4, s41, v3
	v_sub_u32_e32 v5, 0, v4
	v_max_i32_e32 v5, v4, v5
	v_mul_hi_u32 v6, v5, v41
	v_ashrrev_i32_e32 v4, 31, v4
	v_cmp_ge_i32_e64 s[6:7], s16, v3
	v_mul_lo_u32 v6, v6, s15
	v_sub_u32_e32 v5, v5, v6
	v_subrev_u32_e32 v6, s15, v5
	v_cmp_le_u32_e32 vcc, s15, v5
	v_cndmask_b32_e32 v5, v5, v6, vcc
	v_subrev_u32_e32 v6, s15, v5
	v_cmp_le_u32_e32 vcc, s15, v5
	v_cndmask_b32_e32 v5, v5, v6, vcc
	v_xor_b32_e32 v5, v5, v4
	v_sub_u32_e32 v4, v5, v4
	v_cmp_ne_u32_e32 vcc, 0, v4
	s_and_b64 s[6:7], vcc, s[6:7]
	s_and_saveexec_b64 s[38:39], s[6:7]
	s_xor_b64 s[6:7], exec, s[38:39]
	s_cbranch_execz .LBB95_17
; %bb.14:                               ;   in Loop: Header=BB95_13 Depth=1
	s_and_saveexec_b64 s[38:39], s[2:3]
; %bb.15:                               ;   in Loop: Header=BB95_13 Depth=1
	ds_write_b32 v44, v45
; %bb.16:                               ;   in Loop: Header=BB95_13 Depth=1
	s_or_b64 exec, exec, s[38:39]
.LBB95_17:                              ;   in Loop: Header=BB95_13 Depth=1
	s_andn2_saveexec_b64 s[6:7], s[6:7]
	s_cbranch_execz .LBB95_12
; %bb.18:                               ;   in Loop: Header=BB95_13 Depth=1
	global_load_dword v3, v[1:2], off
	s_waitcnt vmcnt(0)
	v_mad_i64_i32 v[3:4], s[38:39], v3, s30, 0
	v_lshlrev_b64 v[3:4], 1, v[3:4]
	v_add_co_u32_e32 v3, vcc, v37, v3
	v_addc_co_u32_e32 v4, vcc, v38, v4, vcc
	global_load_dwordx2 v[5:6], v[3:4], off
	global_load_dwordx2 v[29:30], v[3:4], off offset:512
	global_load_dwordx2 v[27:28], v[3:4], off offset:1024
	ds_read_b64 v[7:8], v40
	global_load_dwordx2 v[25:26], v[3:4], off offset:1536
	global_load_dwordx2 v[23:24], v[3:4], off offset:2048
	;; [unrolled: 1-line block ×5, first 2 shown]
	v_add_co_u32_e32 v50, vcc, s44, v3
	v_addc_co_u32_e32 v51, vcc, 0, v4, vcc
	global_load_dwordx2 v[15:16], v[50:51], off
	global_load_dwordx2 v[13:14], v[50:51], off offset:512
	s_waitcnt lgkmcnt(0)
	v_lshrrev_b32_e32 v53, 16, v7
	v_and_b32_e32 v52, 0xffff, v7
	v_lshrrev_b32_e32 v57, 16, v8
	v_and_b32_e32 v56, 0xffff, v8
	v_cmp_lt_i32_e32 vcc, v47, v48
	s_waitcnt vmcnt(9)
	v_lshrrev_b32_e32 v55, 16, v5
	v_and_b32_e32 v54, 0xffff, v5
	v_lshrrev_b32_e32 v59, 16, v6
	v_and_b32_e32 v58, 0xffff, v6
	global_load_dwordx2 v[11:12], v[50:51], off offset:1024
	global_load_dwordx2 v[9:10], v[50:51], off offset:1536
	;; [unrolled: 1-line block ×5, first 2 shown]
	;;#ASMSTART
	v_cvt_f32_f16 v52, v52;
	;;#ASMEND
	;;#ASMSTART
	v_cvt_f32_f16 v53, v53;
	;;#ASMEND
	;; [unrolled: 3-line block ×8, first 2 shown]
	ds_read_b64 v[50:51], v40 offset:8
	s_waitcnt lgkmcnt(0)
	v_and_b32_e32 v60, 0xffff, v50
	v_lshrrev_b32_e32 v50, 16, v50
	;;#ASMSTART
	v_cvt_f32_f16 v60, v60;
	;;#ASMEND
	;;#ASMSTART
	v_cvt_f32_f16 v61, v50;
	;;#ASMEND
	s_waitcnt vmcnt(13)
	v_and_b32_e32 v50, 0xffff, v29
	v_lshrrev_b32_e32 v29, 16, v29
	;;#ASMSTART
	v_cvt_f32_f16 v50, v50;
	;;#ASMEND
	;;#ASMSTART
	v_cvt_f32_f16 v29, v29;
	;;#ASMEND
	v_mul_f32_e32 v50, v60, v50
	v_mul_f32_e32 v29, v61, v29
	v_fmac_f32_e32 v50, v52, v54
	v_fmac_f32_e32 v29, v53, v55
	v_lshrrev_b32_e32 v52, 16, v51
	v_and_b32_e32 v51, 0xffff, v51
	v_and_b32_e32 v53, 0xffff, v30
	v_lshrrev_b32_e32 v30, 16, v30
	;;#ASMSTART
	v_cvt_f32_f16 v51, v51;
	;;#ASMEND
	;;#ASMSTART
	v_cvt_f32_f16 v52, v52;
	;;#ASMEND
	;; [unrolled: 3-line block ×4, first 2 shown]
	v_mul_f32_e32 v51, v51, v53
	v_mul_f32_e32 v30, v52, v30
	ds_read_b64 v[52:53], v40 offset:16
	s_waitcnt vmcnt(12)
	v_and_b32_e32 v55, 0xffff, v27
	v_lshrrev_b32_e32 v27, 16, v27
	v_fmac_f32_e32 v51, v56, v58
	v_fmac_f32_e32 v30, v57, v59
	s_waitcnt lgkmcnt(0)
	v_and_b32_e32 v54, 0xffff, v52
	v_lshrrev_b32_e32 v52, 16, v52
	;;#ASMSTART
	v_cvt_f32_f16 v54, v54;
	;;#ASMEND
	;;#ASMSTART
	v_cvt_f32_f16 v52, v52;
	;;#ASMEND
	;; [unrolled: 3-line block ×4, first 2 shown]
	v_fmac_f32_e32 v29, v52, v27
	v_and_b32_e32 v27, 0xffff, v53
	v_lshrrev_b32_e32 v52, 16, v53
	;;#ASMSTART
	v_cvt_f32_f16 v27, v27;
	;;#ASMEND
	v_and_b32_e32 v53, 0xffff, v28
	;;#ASMSTART
	v_cvt_f32_f16 v52, v52;
	;;#ASMEND
	;;#ASMSTART
	v_cvt_f32_f16 v53, v53;
	;;#ASMEND
	v_fmac_f32_e32 v51, v27, v53
	v_lshrrev_b32_e32 v27, 16, v28
	;;#ASMSTART
	v_cvt_f32_f16 v27, v27;
	;;#ASMEND
	v_fmac_f32_e32 v30, v52, v27
	ds_read_b64 v[27:28], v40 offset:24
	s_waitcnt vmcnt(11)
	v_and_b32_e32 v53, 0xffff, v25
	v_lshrrev_b32_e32 v25, 16, v25
	v_fmac_f32_e32 v50, v54, v55
	s_waitcnt vmcnt(7)
	v_and_b32_e32 v54, 0xffff, v18
	s_waitcnt lgkmcnt(0)
	v_and_b32_e32 v52, 0xffff, v27
	v_lshrrev_b32_e32 v27, 16, v27
	;;#ASMSTART
	v_cvt_f32_f16 v52, v52;
	;;#ASMEND
	;;#ASMSTART
	v_cvt_f32_f16 v27, v27;
	;;#ASMEND
	;;#ASMSTART
	v_cvt_f32_f16 v53, v53;
	;;#ASMEND
	;;#ASMSTART
	v_cvt_f32_f16 v25, v25;
	;;#ASMEND
	v_fmac_f32_e32 v29, v27, v25
	v_and_b32_e32 v25, 0xffff, v28
	v_lshrrev_b32_e32 v27, 16, v28
	;;#ASMSTART
	v_cvt_f32_f16 v25, v25;
	;;#ASMEND
	v_and_b32_e32 v28, 0xffff, v26
	;;#ASMSTART
	v_cvt_f32_f16 v27, v27;
	;;#ASMEND
	;;#ASMSTART
	v_cvt_f32_f16 v28, v28;
	;;#ASMEND
	v_fmac_f32_e32 v51, v25, v28
	v_lshrrev_b32_e32 v25, 16, v26
	;;#ASMSTART
	v_cvt_f32_f16 v25, v25;
	;;#ASMEND
	v_fmac_f32_e32 v30, v27, v25
	ds_read_b64 v[25:26], v40 offset:32
	v_and_b32_e32 v28, 0xffff, v23
	v_lshrrev_b32_e32 v23, 16, v23
	v_fmac_f32_e32 v50, v52, v53
	v_and_b32_e32 v52, 0xffff, v17
	s_waitcnt lgkmcnt(0)
	v_and_b32_e32 v27, 0xffff, v25
	v_lshrrev_b32_e32 v25, 16, v25
	;;#ASMSTART
	v_cvt_f32_f16 v27, v27;
	;;#ASMEND
	;;#ASMSTART
	v_cvt_f32_f16 v25, v25;
	;;#ASMEND
	;; [unrolled: 3-line block ×4, first 2 shown]
	v_fmac_f32_e32 v50, v27, v28
	v_fmac_f32_e32 v29, v25, v23
	v_and_b32_e32 v27, 0xffff, v24
	v_lshrrev_b32_e32 v28, 16, v24
	v_lshrrev_b32_e32 v24, 16, v26
	v_and_b32_e32 v23, 0xffff, v26
	;;#ASMSTART
	v_cvt_f32_f16 v23, v23;
	;;#ASMEND
	;;#ASMSTART
	v_cvt_f32_f16 v25, v24;
	;;#ASMEND
	;; [unrolled: 3-line block ×4, first 2 shown]
	v_fmac_f32_e32 v51, v23, v24
	ds_read_b64 v[23:24], v40 offset:40
	v_and_b32_e32 v27, 0xffff, v21
	v_fmac_f32_e32 v30, v25, v26
	v_lshrrev_b32_e32 v21, 16, v21
	v_lshrrev_b32_e32 v28, 16, v20
	s_waitcnt lgkmcnt(0)
	v_and_b32_e32 v25, 0xffff, v23
	v_lshrrev_b32_e32 v26, 16, v23
	;;#ASMSTART
	v_cvt_f32_f16 v23, v25;
	;;#ASMEND
	;;#ASMSTART
	v_cvt_f32_f16 v25, v26;
	;;#ASMEND
	;; [unrolled: 3-line block ×4, first 2 shown]
	v_and_b32_e32 v27, 0xffff, v19
	v_fmac_f32_e32 v29, v25, v21
	v_lshrrev_b32_e32 v25, 16, v19
	v_lshrrev_b32_e32 v21, 16, v24
	v_and_b32_e32 v19, 0xffff, v24
	v_fmac_f32_e32 v50, v23, v26
	v_and_b32_e32 v26, 0xffff, v22
	v_lshrrev_b32_e32 v22, 16, v22
	;;#ASMSTART
	v_cvt_f32_f16 v19, v19;
	;;#ASMEND
	;;#ASMSTART
	v_cvt_f32_f16 v23, v21;
	;;#ASMEND
	;; [unrolled: 3-line block ×4, first 2 shown]
	v_fmac_f32_e32 v51, v19, v21
	ds_read_b64 v[21:22], v40 offset:48
	v_and_b32_e32 v26, 0xffff, v20
	v_lshrrev_b32_e32 v53, 16, v17
	v_lshrrev_b32_e32 v55, 16, v18
	v_fmac_f32_e32 v30, v23, v24
	s_waitcnt lgkmcnt(0)
	v_and_b32_e32 v19, 0xffff, v21
	v_lshrrev_b32_e32 v20, 16, v21
	;;#ASMSTART
	v_cvt_f32_f16 v19, v19;
	;;#ASMEND
	;;#ASMSTART
	v_cvt_f32_f16 v20, v20;
	;;#ASMEND
	;; [unrolled: 3-line block ×3, first 2 shown]
	v_fmac_f32_e32 v50, v19, v21
	v_lshrrev_b32_e32 v18, 16, v22
	v_and_b32_e32 v19, 0xffff, v22
	;;#ASMSTART
	v_cvt_f32_f16 v17, v25;
	;;#ASMEND
	;;#ASMSTART
	v_cvt_f32_f16 v19, v19;
	;;#ASMEND
	;; [unrolled: 3-line block ×5, first 2 shown]
	v_fmac_f32_e32 v29, v20, v17
	ds_read_b64 v[17:18], v40 offset:56
	s_waitcnt vmcnt(6)
	v_and_b32_e32 v23, 0xffff, v15
	v_lshrrev_b32_e32 v24, 16, v15
	v_and_b32_e32 v25, 0xffff, v16
	v_lshrrev_b32_e32 v26, 16, v16
	s_waitcnt lgkmcnt(0)
	v_and_b32_e32 v15, 0xffff, v17
	v_lshrrev_b32_e32 v16, 16, v17
	v_fmac_f32_e32 v51, v19, v22
	v_lshrrev_b32_e32 v20, 16, v18
	v_and_b32_e32 v19, 0xffff, v18
	;;#ASMSTART
	v_cvt_f32_f16 v15, v15;
	;;#ASMEND
	;;#ASMSTART
	v_cvt_f32_f16 v17, v16;
	;;#ASMEND
	;; [unrolled: 3-line block ×3, first 2 shown]
	v_fmac_f32_e32 v30, v21, v27
	;;#ASMSTART
	v_cvt_f32_f16 v18, v53;
	;;#ASMEND
	;;#ASMSTART
	v_cvt_f32_f16 v19, v19;
	;;#ASMEND
	;; [unrolled: 3-line block ×5, first 2 shown]
	v_fmac_f32_e32 v50, v15, v16
	ds_read_b64 v[15:16], v40 offset:64
	v_fmac_f32_e32 v29, v17, v18
	v_fmac_f32_e32 v30, v20, v22
	;; [unrolled: 1-line block ×3, first 2 shown]
	s_waitcnt vmcnt(5)
	v_and_b32_e32 v27, 0xffff, v13
	s_waitcnt lgkmcnt(0)
	v_and_b32_e32 v17, 0xffff, v15
	v_lshrrev_b32_e32 v15, 16, v15
	v_lshrrev_b32_e32 v22, 16, v16
	v_and_b32_e32 v16, 0xffff, v16
	;;#ASMSTART
	v_cvt_f32_f16 v17, v17;
	;;#ASMEND
	;;#ASMSTART
	v_cvt_f32_f16 v18, v15;
	;;#ASMEND
	;; [unrolled: 3-line block ×8, first 2 shown]
	ds_read_b64 v[15:16], v40 offset:72
	v_fmac_f32_e32 v50, v17, v19
	v_fmac_f32_e32 v29, v18, v20
	v_lshrrev_b32_e32 v13, 16, v13
	v_fmac_f32_e32 v51, v21, v23
	s_waitcnt lgkmcnt(0)
	v_and_b32_e32 v17, 0xffff, v15
	v_lshrrev_b32_e32 v18, 16, v15
	;;#ASMSTART
	v_cvt_f32_f16 v15, v17;
	;;#ASMEND
	;;#ASMSTART
	v_cvt_f32_f16 v17, v18;
	;;#ASMEND
	;;#ASMSTART
	v_cvt_f32_f16 v18, v27;
	;;#ASMEND
	;;#ASMSTART
	v_cvt_f32_f16 v19, v13;
	;;#ASMEND
	v_lshrrev_b32_e32 v13, 16, v16
	v_and_b32_e32 v16, 0xffff, v16
	;;#ASMSTART
	v_cvt_f32_f16 v16, v16;
	;;#ASMEND
	;;#ASMSTART
	v_cvt_f32_f16 v20, v13;
	;;#ASMEND
	v_and_b32_e32 v13, 0xffff, v14
	;;#ASMSTART
	v_cvt_f32_f16 v21, v13;
	;;#ASMEND
	v_lshrrev_b32_e32 v13, 16, v14
	v_fmac_f32_e32 v30, v22, v24
	;;#ASMSTART
	v_cvt_f32_f16 v22, v13;
	;;#ASMEND
	ds_read_b64 v[13:14], v40 offset:80
	v_fmac_f32_e32 v50, v15, v18
	v_fmac_f32_e32 v51, v16, v21
	s_waitcnt vmcnt(4)
	v_and_b32_e32 v16, 0xffff, v11
	v_lshrrev_b32_e32 v11, 16, v11
	s_waitcnt lgkmcnt(0)
	v_and_b32_e32 v15, 0xffff, v13
	v_lshrrev_b32_e32 v13, 16, v13
	v_fmac_f32_e32 v29, v17, v19
	v_fmac_f32_e32 v30, v20, v22
	;;#ASMSTART
	v_cvt_f32_f16 v15, v15;
	;;#ASMEND
	;;#ASMSTART
	v_cvt_f32_f16 v13, v13;
	;;#ASMEND
	;; [unrolled: 3-line block ×4, first 2 shown]
	v_lshrrev_b32_e32 v11, 16, v14
	v_and_b32_e32 v14, 0xffff, v14
	v_lshrrev_b32_e32 v20, 16, v12
	v_and_b32_e32 v12, 0xffff, v12
	;;#ASMSTART
	v_cvt_f32_f16 v14, v14;
	;;#ASMEND
	;;#ASMSTART
	v_cvt_f32_f16 v18, v11;
	;;#ASMEND
	;; [unrolled: 3-line block ×4, first 2 shown]
	ds_read_b64 v[11:12], v40 offset:88
	v_fmac_f32_e32 v29, v13, v17
	v_fmac_f32_e32 v51, v14, v19
	s_waitcnt vmcnt(3)
	v_and_b32_e32 v14, 0xffff, v9
	v_lshrrev_b32_e32 v9, 16, v9
	s_waitcnt lgkmcnt(0)
	v_lshrrev_b32_e32 v13, 16, v11
	v_and_b32_e32 v11, 0xffff, v11
	v_fmac_f32_e32 v50, v15, v16
	;;#ASMSTART
	v_cvt_f32_f16 v11, v11;
	;;#ASMEND
	;;#ASMSTART
	v_cvt_f32_f16 v13, v13;
	;;#ASMEND
	;; [unrolled: 3-line block ×4, first 2 shown]
	v_lshrrev_b32_e32 v9, 16, v12
	v_and_b32_e32 v12, 0xffff, v12
	;;#ASMSTART
	v_cvt_f32_f16 v12, v12;
	;;#ASMEND
	;;#ASMSTART
	v_cvt_f32_f16 v16, v9;
	;;#ASMEND
	v_lshrrev_b32_e32 v9, 16, v10
	v_and_b32_e32 v10, 0xffff, v10
	v_fmac_f32_e32 v30, v18, v20
	;;#ASMSTART
	v_cvt_f32_f16 v17, v10;
	;;#ASMEND
	;;#ASMSTART
	v_cvt_f32_f16 v18, v9;
	;;#ASMEND
	ds_read_b64 v[9:10], v40 offset:96
	v_fmac_f32_e32 v50, v11, v14
	v_fmac_f32_e32 v29, v13, v15
	s_waitcnt vmcnt(2)
	v_lshrrev_b32_e32 v13, 16, v7
	v_and_b32_e32 v7, 0xffff, v7
	s_waitcnt lgkmcnt(0)
	v_lshrrev_b32_e32 v11, 16, v9
	v_and_b32_e32 v9, 0xffff, v9
	v_fmac_f32_e32 v51, v12, v17
	;;#ASMSTART
	v_cvt_f32_f16 v9, v9;
	;;#ASMEND
	;;#ASMSTART
	v_cvt_f32_f16 v11, v11;
	;;#ASMEND
	;;#ASMSTART
	v_cvt_f32_f16 v12, v7;
	;;#ASMEND
	v_lshrrev_b32_e32 v7, 16, v10
	v_and_b32_e32 v10, 0xffff, v10
	;;#ASMSTART
	v_cvt_f32_f16 v13, v13;
	;;#ASMEND
	;;#ASMSTART
	v_cvt_f32_f16 v10, v10;
	;;#ASMEND
	;; [unrolled: 3-line block ×3, first 2 shown]
	v_lshrrev_b32_e32 v7, 16, v8
	v_and_b32_e32 v8, 0xffff, v8
	v_fmac_f32_e32 v30, v16, v18
	;;#ASMSTART
	v_cvt_f32_f16 v15, v8;
	;;#ASMEND
	;;#ASMSTART
	v_cvt_f32_f16 v16, v7;
	;;#ASMEND
	ds_read_b64 v[7:8], v40 offset:104
	v_fmac_f32_e32 v50, v9, v12
	v_fmac_f32_e32 v29, v11, v13
	s_waitcnt vmcnt(1)
	v_lshrrev_b32_e32 v11, 16, v5
	v_and_b32_e32 v5, 0xffff, v5
	s_waitcnt lgkmcnt(0)
	v_lshrrev_b32_e32 v9, 16, v7
	v_and_b32_e32 v7, 0xffff, v7
	v_fmac_f32_e32 v51, v10, v15
	;;#ASMSTART
	v_cvt_f32_f16 v7, v7;
	;;#ASMEND
	;;#ASMSTART
	v_cvt_f32_f16 v9, v9;
	;;#ASMEND
	;; [unrolled: 3-line block ×3, first 2 shown]
	v_lshrrev_b32_e32 v5, 16, v8
	v_and_b32_e32 v8, 0xffff, v8
	;;#ASMSTART
	v_cvt_f32_f16 v11, v11;
	;;#ASMEND
	;;#ASMSTART
	v_cvt_f32_f16 v8, v8;
	;;#ASMEND
	;; [unrolled: 3-line block ×3, first 2 shown]
	v_lshrrev_b32_e32 v5, 16, v6
	v_and_b32_e32 v6, 0xffff, v6
	v_fmac_f32_e32 v30, v14, v16
	;;#ASMSTART
	v_cvt_f32_f16 v13, v6;
	;;#ASMEND
	;;#ASMSTART
	v_cvt_f32_f16 v14, v5;
	;;#ASMEND
	ds_read_b64 v[5:6], v40 offset:112
	v_fmac_f32_e32 v50, v7, v10
	v_fmac_f32_e32 v51, v8, v13
	s_waitcnt vmcnt(0)
	v_lshrrev_b32_e32 v8, 16, v3
	v_and_b32_e32 v3, 0xffff, v3
	s_waitcnt lgkmcnt(0)
	v_lshrrev_b32_e32 v7, 16, v5
	v_and_b32_e32 v5, 0xffff, v5
	;;#ASMSTART
	v_cvt_f32_f16 v5, v5;
	;;#ASMEND
	;;#ASMSTART
	v_cvt_f32_f16 v7, v7;
	;;#ASMEND
	;; [unrolled: 3-line block ×3, first 2 shown]
	v_fmac_f32_e32 v29, v9, v11
	v_fmac_f32_e32 v50, v5, v3
	v_and_b32_e32 v3, 0xffff, v6
	;;#ASMSTART
	v_cvt_f32_f16 v8, v8;
	;;#ASMEND
	v_fmac_f32_e32 v29, v7, v8
	v_lshrrev_b32_e32 v5, 16, v6
	;;#ASMSTART
	v_cvt_f32_f16 v3, v3;
	;;#ASMEND
	v_lshrrev_b32_e32 v6, 16, v4
	v_and_b32_e32 v4, 0xffff, v4
	v_fmac_f32_e32 v30, v12, v14
	;;#ASMSTART
	v_cvt_f32_f16 v5, v5;
	;;#ASMEND
	;;#ASMSTART
	v_cvt_f32_f16 v4, v4;
	;;#ASMEND
	v_fmac_f32_e32 v51, v3, v4
	v_add_f32_e32 v3, v50, v29
	;;#ASMSTART
	v_cvt_f32_f16 v6, v6;
	;;#ASMEND
	v_fmac_f32_e32 v30, v5, v6
	v_add_f32_e32 v3, v3, v51
	v_cndmask_b32_e32 v4, v46, v47, vcc
	v_add_f32_e32 v3, v30, v3
	v_lshlrev_b32_e32 v4, 2, v4
	ds_bpermute_b32 v4, v4, v3
	s_and_saveexec_b64 s[38:39], s[2:3]
	s_cbranch_execz .LBB95_11
; %bb.19:                               ;   in Loop: Header=BB95_13 Depth=1
	v_add_u32_e32 v5, v43, v42
	v_cvt_f32_i32_e32 v5, v5
	s_waitcnt lgkmcnt(0)
	v_add_f32_e32 v3, v3, v4
	v_add_u32_e32 v6, v36, v42
	v_cmp_gt_i32_e32 vcc, s33, v6
	v_mul_f32_e32 v4, s43, v5
	v_cndmask_b32_e64 v4, 0, v4, s[4:5]
	v_fmac_f32_e32 v4, s31, v3
	v_cndmask_b32_e32 v3, 0, v4, vcc
	ds_write_b32 v44, v3
	v_max_f32_e32 v3, v39, v39
	v_max_f32_e32 v3, v3, v4
	v_cndmask_b32_e32 v39, v39, v3, vcc
	s_branch .LBB95_11
.LBB95_20:
	s_or_b64 exec, exec, s[36:37]
.LBB95_21:
	s_or_b64 exec, exec, s[34:35]
	v_mbcnt_hi_u32_b32 v2, -1, v35
	v_and_b32_e32 v11, 64, v2
	v_add_u32_e32 v10, 64, v11
	v_xor_b32_e32 v1, 32, v2
	v_cmp_lt_i32_e32 vcc, v1, v10
	v_cndmask_b32_e32 v1, v2, v1, vcc
	v_lshlrev_b32_e32 v3, 2, v1
	ds_bpermute_b32 v1, v3, v39
	v_xor_b32_e32 v5, 16, v2
	s_waitcnt lgkmcnt(1)
	v_max_f32_e32 v4, v39, v39
	v_cmp_lt_i32_e32 vcc, v5, v10
	v_xor_b32_e32 v6, 8, v2
	s_waitcnt lgkmcnt(0)
	v_max_f32_e32 v1, v1, v1
	v_max_f32_e32 v1, v4, v1
	v_cndmask_b32_e32 v4, v2, v5, vcc
	v_lshlrev_b32_e32 v4, 2, v4
	ds_bpermute_b32 v5, v4, v1
	v_cmp_lt_i32_e32 vcc, v6, v10
	v_xor_b32_e32 v7, 4, v2
	v_xor_b32_e32 v9, 2, v2
	s_waitcnt lgkmcnt(0)
	v_max_f32_e32 v5, v5, v5
	v_max_f32_e32 v1, v1, v5
	v_cndmask_b32_e32 v5, v2, v6, vcc
	v_lshlrev_b32_e32 v5, 2, v5
	ds_bpermute_b32 v6, v5, v1
	v_cmp_lt_i32_e32 vcc, v7, v10
	s_waitcnt lgkmcnt(0)
	v_max_f32_e32 v6, v6, v6
	v_max_f32_e32 v1, v1, v6
	v_cndmask_b32_e32 v6, v2, v7, vcc
	v_lshlrev_b32_e32 v6, 2, v6
	ds_bpermute_b32 v7, v6, v1
	v_cmp_lt_i32_e32 vcc, v9, v10
	s_waitcnt lgkmcnt(0)
	v_max_f32_e32 v7, v7, v7
	v_max_f32_e32 v8, v1, v7
	v_cndmask_b32_e32 v1, v2, v9, vcc
	v_lshlrev_b32_e32 v9, 2, v1
	ds_bpermute_b32 v12, v9, v8
	v_and_b32_e32 v1, 63, v0
	v_cmp_eq_u32_e32 vcc, 0, v1
	v_lshlrev_b32_e32 v7, 2, v31
	s_and_saveexec_b64 s[2:3], vcc
	s_cbranch_execz .LBB95_23
; %bb.22:
	s_waitcnt lgkmcnt(0)
	v_max_f32_e32 v12, v12, v12
	v_max_f32_e32 v8, v8, v8
	;; [unrolled: 1-line block ×3, first 2 shown]
	ds_write_b32 v7, v8 offset:240
.LBB95_23:
	s_or_b64 exec, exec, s[2:3]
	v_cmp_gt_u32_e64 s[2:3], 2, v1
	s_waitcnt lgkmcnt(0)
	v_mov_b32_e32 v12, 0xff7fffff
	v_lshlrev_b32_e32 v8, 2, v1
	s_barrier
	s_and_saveexec_b64 s[4:5], s[2:3]
; %bb.24:
	ds_read_b32 v12, v8 offset:240
; %bb.25:
	s_or_b64 exec, exec, s[4:5]
	v_xor_b32_e32 v13, 1, v2
	v_cmp_lt_i32_e64 s[4:5], v13, v10
	v_cndmask_b32_e64 v10, v2, v13, s[4:5]
	v_lshlrev_b32_e32 v10, 2, v10
	s_waitcnt lgkmcnt(0)
	ds_bpermute_b32 v13, v10, v12
	v_max_f32_e32 v12, v12, v12
	v_lshlrev_b32_e32 v11, 2, v11
	s_lshl_b32 s4, s42, 5
	s_min_i32 s15, s4, s33
	s_waitcnt lgkmcnt(0)
	v_max_f32_e32 v13, v13, v13
	v_max_f32_e32 v12, v12, v13
	ds_bpermute_b32 v12, v11, v12
	v_cmp_gt_i32_e64 s[4:5], s15, v0
	v_mov_b32_e32 v11, 0
	s_and_saveexec_b64 s[30:31], s[4:5]
	s_cbranch_execz .LBB95_29
; %bb.26:
	v_mov_b32_e32 v11, 0x100
	v_lshl_add_u32 v13, v0, 2, v11
	v_mov_b32_e32 v11, 0
	s_mov_b64 s[34:35], 0
	v_mov_b32_e32 v14, v0
.LBB95_27:                              ; =>This Inner Loop Header: Depth=1
	ds_read_b32 v15, v13
	v_add_u32_e32 v14, 0x80, v14
	v_cmp_le_i32_e64 s[6:7], s15, v14
	s_or_b64 s[34:35], s[6:7], s[34:35]
	s_waitcnt lgkmcnt(0)
	v_sub_f32_e32 v15, v15, v12
	v_mul_f32_e32 v15, 0x3fb8aa3b, v15
	v_exp_f32_e32 v15, v15
	ds_write_b32 v13, v15
	v_add_f32_e32 v11, v11, v15
	v_add_u32_e32 v13, 0x200, v13
	s_andn2_b64 exec, exec, s[34:35]
	s_cbranch_execnz .LBB95_27
; %bb.28:
	s_or_b64 exec, exec, s[34:35]
.LBB95_29:
	s_or_b64 exec, exec, s[30:31]
	ds_bpermute_b32 v3, v3, v11
	s_waitcnt lgkmcnt(0)
	v_add_f32_e32 v3, v11, v3
	ds_bpermute_b32 v4, v4, v3
	s_waitcnt lgkmcnt(0)
	v_add_f32_e32 v3, v3, v4
	;; [unrolled: 3-line block ×6, first 2 shown]
	s_and_saveexec_b64 s[6:7], vcc
; %bb.30:
	ds_write_b32 v7, v3 offset:248
; %bb.31:
	s_or_b64 exec, exec, s[6:7]
	s_waitcnt lgkmcnt(0)
	s_barrier
	s_and_saveexec_b64 s[6:7], s[2:3]
; %bb.32:
	ds_read_b32 v3, v8 offset:248
; %bb.33:
	s_or_b64 exec, exec, s[6:7]
	s_waitcnt lgkmcnt(0)
	ds_bpermute_b32 v4, v10, v3
	v_lshlrev_b32_e32 v2, 2, v2
	v_and_b32_e32 v2, 0x100, v2
	s_waitcnt lgkmcnt(0)
	v_add_f32_e32 v3, v3, v4
	ds_bpermute_b32 v2, v2, v3
	s_and_saveexec_b64 s[2:3], s[4:5]
	s_cbranch_execz .LBB95_36
; %bb.34:
	s_waitcnt lgkmcnt(0)
	v_add_f32_e32 v3, 0x358637bd, v2
	v_div_scale_f32 v2, s[4:5], v3, v3, 1.0
	v_div_scale_f32 v4, vcc, 1.0, v3, 1.0
	s_mov_b64 s[4:5], 0
	v_rcp_f32_e32 v5, v2
	v_fma_f32 v6, -v2, v5, 1.0
	v_fmac_f32_e32 v5, v6, v5
	v_mul_f32_e32 v6, v4, v5
	v_fma_f32 v7, -v2, v6, v4
	v_fmac_f32_e32 v6, v7, v5
	v_fma_f32 v2, -v2, v6, v4
	v_div_fmas_f32 v4, v2, v5, v6
	v_mov_b32_e32 v2, 0x100
	v_lshl_add_u32 v2, v0, 2, v2
	v_div_fixup_f32 v3, v4, v3, 1.0
	v_mov_b32_e32 v4, v0
.LBB95_35:                              ; =>This Inner Loop Header: Depth=1
	ds_read_b32 v5, v2
	v_add_u32_e32 v4, 0x80, v4
	v_cmp_le_i32_e32 vcc, s15, v4
	s_or_b64 s[4:5], vcc, s[4:5]
	s_waitcnt lgkmcnt(0)
	v_mul_f32_e32 v5, v3, v5
	ds_write_b32 v2, v5
	v_add_u32_e32 v2, 0x200, v2
	s_andn2_b64 exec, exec, s[4:5]
	s_cbranch_execnz .LBB95_35
.LBB95_36:
	s_or_b64 exec, exec, s[2:3]
	v_lshrrev_b32_e32 v11, 2, v1
	s_waitcnt lgkmcnt(0)
	s_barrier
	s_and_saveexec_b64 s[2:3], s[0:1]
	s_xor_b64 s[0:1], exec, s[2:3]
; %bb.37:
	v_lshrrev_b32_e32 v11, 2, v1
                                        ; implicit-def: $vgpr32
                                        ; implicit-def: $vgpr31
                                        ; implicit-def: $vgpr33
                                        ; implicit-def: $vgpr34
; %bb.38:
	s_or_saveexec_b64 s[4:5], s[0:1]
	v_mov_b32_e32 v19, 0
	v_and_b32_e32 v12, 3, v0
	v_mov_b32_e32 v20, 0
	v_mov_b32_e32 v18, 0
	;; [unrolled: 1-line block ×7, first 2 shown]
	s_xor_b64 exec, exec, s[4:5]
	s_cbranch_execz .LBB95_62
; %bb.39:
	s_ashr_i32 s15, s14, 31
	s_sub_i32 s30, s12, s17
	s_lshl_b64 s[0:1], s[14:15], 1
	s_add_u32 s28, s28, s0
	s_addc_u32 s29, s29, s1
	s_abs_i32 s18, s18
	v_cvt_f32_u32_e32 v1, s18
	s_sub_i32 s1, 0, s18
	s_add_i32 s34, s42, -1
	s_lshl_b64 s[2:3], s[26:27], 2
	v_rcp_iflag_f32_e32 v1, v1
	s_add_u32 s2, s24, s2
	v_and_b32_e32 v3, 60, v34
	s_addc_u32 s3, s25, s3
	v_mul_f32_e32 v1, 0x4f7ffffe, v1
	v_cvt_u32_f32_e32 v1, v1
	v_add_co_u32_e32 v5, vcc, s2, v3
	v_and_b32_e32 v21, 24, v33
	v_mul_lo_u32 v4, s1, v1
	v_or_b32_e32 v2, 0x70, v11
	s_movk_i32 s0, 0x78
	v_lshl_or_b32 v7, v11, 5, v21
	v_mul_hi_u32 v4, v1, v4
	v_cmp_gt_u32_e64 s[0:1], s0, v2
	v_lshl_or_b32 v2, v2, 5, v21
	s_mov_b32 s31, s13
	v_add_u32_e32 v23, v1, v4
	v_mov_b32_e32 v1, s3
	v_addc_co_u32_e32 v6, vcc, 0, v1, vcc
	v_lshlrev_b32_e32 v1, 5, v12
	v_lshl_or_b32 v1, v31, 7, v1
	v_mov_b32_e32 v22, 0
	v_add_u32_e32 v24, 0x100, v1
	s_mov_b64 s[6:7], 0
	v_lshlrev_b32_e32 v25, 1, v7
	s_mov_b32 s24, 0xffff
	v_lshlrev_b32_e32 v26, 1, v2
	v_mov_b32_e32 v14, 0
	v_mov_b32_e32 v13, 0
	;; [unrolled: 1-line block ×8, first 2 shown]
	s_branch .LBB95_43
.LBB95_40:                              ;   in Loop: Header=BB95_43 Depth=1
	s_or_b64 exec, exec, s[16:17]
	v_lshlrev_b32_e32 v27, 16, v48
	v_and_or_b32 v1, v1, s24, v27
	v_lshlrev_b32_e32 v27, 16, v37
	v_and_or_b32 v2, v2, s24, v27
	;; [unrolled: 2-line block ×3, first 2 shown]
	;;#ASMSTART
	v_pk_mul_f16 v1, v33, v1;

	;;#ASMEND
	;;#ASMSTART
	v_pk_mul_f16 v2, v34, v2;

	;;#ASMEND
	;; [unrolled: 4-line block ×4, first 2 shown]
	;;#ASMSTART
	v_pk_add_f16 v1, v1, v2;

	;;#ASMEND
	;;#ASMSTART
	v_pk_add_f16 v1, v1, v3;

	;;#ASMEND
	;; [unrolled: 4-line block ×3, first 2 shown]
	v_lshrrev_b32_e32 v2, 16, v1
	v_and_b32_e32 v1, 0xffff, v1
	;;#ASMSTART
	v_cvt_f32_f16 v1, v1;
	;;#ASMEND
	;;#ASMSTART
	v_cvt_f32_f16 v2, v2;
	;;#ASMEND
	v_add_f32_e32 v1, v1, v2
	v_add_f32_e32 v14, v14, v1
.LBB95_41:                              ;   in Loop: Header=BB95_43 Depth=1
	s_or_b64 exec, exec, s[14:15]
	v_add_f32_e32 v1, v46, v47
	v_add_f32_e32 v15, v15, v1
	;; [unrolled: 1-line block ×14, first 2 shown]
.LBB95_42:                              ;   in Loop: Header=BB95_43 Depth=1
	s_or_b64 exec, exec, s[12:13]
	v_add_co_u32_e32 v5, vcc, 8, v5
	v_add_u32_e32 v31, 2, v31
	v_addc_co_u32_e32 v6, vcc, 0, v6, vcc
	v_cmp_le_i32_e32 vcc, s42, v31
	v_add_u32_e32 v32, 64, v32
	s_or_b64 s[6:7], vcc, s[6:7]
	v_add_u32_e32 v24, 0x100, v24
	s_andn2_b64 exec, exec, s[6:7]
	s_cbranch_execz .LBB95_61
.LBB95_43:                              ; =>This Inner Loop Header: Depth=1
	v_mul_hi_u32 v1, v32, s40
	v_mul_lo_u32 v2, v1, s21
	v_add_u32_e32 v3, 1, v1
	v_sub_u32_e32 v2, v32, v2
	v_cmp_le_u32_e32 vcc, s21, v2
	v_cndmask_b32_e32 v1, v1, v3, vcc
	v_subrev_u32_e32 v3, s21, v2
	v_cndmask_b32_e32 v2, v2, v3, vcc
	v_add_u32_e32 v3, 1, v1
	v_cmp_le_u32_e32 vcc, s21, v2
	v_cndmask_b32_e32 v1, v1, v3, vcc
	v_xor_b32_e32 v1, s19, v1
	v_subrev_u32_e32 v1, s19, v1
	v_add_u32_e32 v2, s41, v1
	v_sub_u32_e32 v3, 0, v2
	v_max_i32_e32 v3, v2, v3
	v_mul_hi_u32 v4, v3, v23
	v_ashrrev_i32_e32 v2, 31, v2
	v_cmp_lt_i32_e64 s[2:3], s30, v1
	v_mul_lo_u32 v4, v4, s18
	v_sub_u32_e32 v3, v3, v4
	v_subrev_u32_e32 v4, s18, v3
	v_cmp_le_u32_e32 vcc, s18, v3
	v_cndmask_b32_e32 v3, v3, v4, vcc
	v_subrev_u32_e32 v4, s18, v3
	v_cmp_le_u32_e32 vcc, s18, v3
	v_cndmask_b32_e32 v3, v3, v4, vcc
	v_xor_b32_e32 v3, v3, v2
	v_sub_u32_e32 v2, v3, v2
	v_cmp_eq_u32_e32 vcc, 0, v2
	s_or_b64 s[2:3], vcc, s[2:3]
	s_and_saveexec_b64 s[12:13], s[2:3]
	s_cbranch_execz .LBB95_42
; %bb.44:                               ;   in Loop: Header=BB95_43 Depth=1
	global_load_dword v7, v[5:6], off
	ds_read2_b64 v[1:4], v24 offset1:1
	ds_read2_b64 v[37:40], v24 offset0:2 offset1:3
	v_mov_b32_e32 v8, s29
	v_add_u32_e32 v27, v21, v32
	s_waitcnt lgkmcnt(1)
	;;#ASMSTART
	v_cvt_f16_f32 v28, v1;

	;;#ASMEND
	;;#ASMSTART
	v_cvt_f16_f32 v29, v2;

	;;#ASMEND
	;; [unrolled: 4-line block ×4, first 2 shown]
	s_waitcnt lgkmcnt(0)
	;;#ASMSTART
	v_cvt_f16_f32 v35, v37;

	;;#ASMEND
	;;#ASMSTART
	v_cvt_f16_f32 v38, v38;

	;;#ASMEND
	;;#ASMSTART
	v_cvt_f16_f32 v39, v39;

	;;#ASMEND
	;;#ASMSTART
	v_cvt_f16_f32 v40, v40;

	;;#ASMEND
	s_waitcnt vmcnt(0)
	v_mad_i64_i32 v[1:2], s[2:3], v7, s31, 0
	v_cmp_eq_u32_e64 s[2:3], s34, v31
	v_lshlrev_b64 v[1:2], 1, v[1:2]
	v_add_co_u32_e32 v36, vcc, s28, v1
	v_addc_co_u32_e32 v37, vcc, v8, v2, vcc
	v_add_co_u32_e32 v7, vcc, v36, v25
	v_addc_co_u32_e32 v8, vcc, 0, v37, vcc
	global_load_dwordx4 v[1:4], v[7:8], off
	s_waitcnt vmcnt(0)
	v_lshrrev_b32_e32 v43, 16, v1
	v_lshrrev_b32_e32 v42, 16, v2
	;; [unrolled: 1-line block ×3, first 2 shown]
	s_and_saveexec_b64 s[14:15], s[2:3]
	s_cbranch_execz .LBB95_46
; %bb.45:                               ;   in Loop: Header=BB95_43 Depth=1
	v_cmp_gt_i32_e32 vcc, s33, v27
	v_add_u32_e32 v33, 1, v27
	v_cndmask_b32_e32 v1, 0, v1, vcc
	v_cmp_gt_i32_e32 vcc, s33, v33
	v_add_u32_e32 v33, 2, v27
	v_cndmask_b32_e32 v43, 0, v43, vcc
	;; [unrolled: 3-line block ×6, first 2 shown]
	v_cmp_gt_i32_e32 vcc, s33, v33
	v_add_u32_e32 v44, 7, v27
	v_cndmask_b32_sdwa v33, v22, v4, vcc dst_sel:DWORD dst_unused:UNUSED_PAD src0_sel:DWORD src1_sel:WORD_0
	v_and_b32_e32 v4, 0xffff0000, v4
	v_cmp_gt_i32_e32 vcc, s33, v44
	v_cndmask_b32_e32 v4, 0, v4, vcc
	v_or_b32_e32 v4, v33, v4
.LBB95_46:                              ;   in Loop: Header=BB95_43 Depth=1
	s_or_b64 exec, exec, s[14:15]
	v_and_b32_e32 v28, 0xffff, v28
	v_lshl_or_b32 v33, v29, 16, v28
	v_and_b32_e32 v28, 0xffff, v30
	v_lshl_or_b32 v34, v34, 16, v28
	;; [unrolled: 2-line block ×4, first 2 shown]
	v_lshlrev_b32_e32 v28, 16, v43
	v_and_or_b32 v1, v1, s24, v28
	v_lshlrev_b32_e32 v28, 16, v42
	v_and_or_b32 v2, v2, s24, v28
	;; [unrolled: 2-line block ×3, first 2 shown]
	;;#ASMSTART
	v_pk_mul_f16 v1, v33, v1;

	;;#ASMEND
	;;#ASMSTART
	v_pk_mul_f16 v2, v34, v2;

	;;#ASMEND
	;; [unrolled: 4-line block ×4, first 2 shown]
	;;#ASMSTART
	v_pk_add_f16 v1, v1, v2;

	;;#ASMEND
	;;#ASMSTART
	v_pk_add_f16 v1, v1, v3;

	;;#ASMEND
	;;#ASMSTART
	v_pk_add_f16 v1, v1, v4;

	;;#ASMEND
	v_lshrrev_b32_e32 v2, 16, v1
	v_and_b32_e32 v1, 0xffff, v1
	;;#ASMSTART
	v_cvt_f32_f16 v28, v1;
	;;#ASMEND
	;;#ASMSTART
	v_cvt_f32_f16 v29, v2;
	;;#ASMEND
	global_load_dwordx4 v[1:4], v[7:8], off offset:1024
	s_waitcnt vmcnt(0)
	v_lshrrev_b32_e32 v40, 16, v1
	v_lshrrev_b32_e32 v39, 16, v2
	;; [unrolled: 1-line block ×3, first 2 shown]
	s_and_saveexec_b64 s[14:15], s[2:3]
	s_cbranch_execz .LBB95_48
; %bb.47:                               ;   in Loop: Header=BB95_43 Depth=1
	v_cmp_gt_i32_e32 vcc, s33, v27
	v_add_u32_e32 v41, 1, v27
	v_cndmask_b32_e32 v1, 0, v1, vcc
	v_cmp_gt_i32_e32 vcc, s33, v41
	v_add_u32_e32 v41, 2, v27
	v_cndmask_b32_e32 v40, 0, v40, vcc
	;; [unrolled: 3-line block ×6, first 2 shown]
	v_cmp_gt_i32_e32 vcc, s33, v41
	v_add_u32_e32 v42, 7, v27
	v_cndmask_b32_sdwa v41, v22, v4, vcc dst_sel:DWORD dst_unused:UNUSED_PAD src0_sel:DWORD src1_sel:WORD_0
	v_and_b32_e32 v4, 0xffff0000, v4
	v_cmp_gt_i32_e32 vcc, s33, v42
	v_cndmask_b32_e32 v4, 0, v4, vcc
	v_or_b32_e32 v4, v41, v4
.LBB95_48:                              ;   in Loop: Header=BB95_43 Depth=1
	s_or_b64 exec, exec, s[14:15]
	v_lshlrev_b32_e32 v40, 16, v40
	v_and_or_b32 v1, v1, s24, v40
	v_lshlrev_b32_e32 v39, 16, v39
	v_lshlrev_b32_e32 v38, 16, v38
	v_and_or_b32 v2, v2, s24, v39
	v_and_or_b32 v3, v3, s24, v38
	;;#ASMSTART
	v_pk_mul_f16 v1, v33, v1;

	;;#ASMEND
	;;#ASMSTART
	v_pk_mul_f16 v2, v34, v2;

	;;#ASMEND
	;;#ASMSTART
	v_pk_mul_f16 v3, v35, v3;

	;;#ASMEND
	;;#ASMSTART
	v_pk_mul_f16 v4, v30, v4;

	;;#ASMEND
	;;#ASMSTART
	v_pk_add_f16 v1, v1, v2;

	;;#ASMEND
	;;#ASMSTART
	v_pk_add_f16 v1, v1, v3;

	;;#ASMEND
	;; [unrolled: 4-line block ×3, first 2 shown]
	v_lshrrev_b32_e32 v2, 16, v1
	v_and_b32_e32 v1, 0xffff, v1
	;;#ASMSTART
	v_cvt_f32_f16 v38, v1;
	;;#ASMEND
	;;#ASMSTART
	v_cvt_f32_f16 v39, v2;
	;;#ASMEND
	global_load_dwordx4 v[1:4], v[7:8], off offset:2048
	s_waitcnt vmcnt(0)
	v_lshrrev_b32_e32 v42, 16, v1
	v_lshrrev_b32_e32 v41, 16, v2
	;; [unrolled: 1-line block ×3, first 2 shown]
	s_and_saveexec_b64 s[14:15], s[2:3]
	s_cbranch_execz .LBB95_50
; %bb.49:                               ;   in Loop: Header=BB95_43 Depth=1
	v_cmp_gt_i32_e32 vcc, s33, v27
	v_add_u32_e32 v43, 1, v27
	v_cndmask_b32_e32 v1, 0, v1, vcc
	v_cmp_gt_i32_e32 vcc, s33, v43
	v_add_u32_e32 v43, 2, v27
	v_cndmask_b32_e32 v42, 0, v42, vcc
	;; [unrolled: 3-line block ×6, first 2 shown]
	v_cmp_gt_i32_e32 vcc, s33, v43
	v_add_u32_e32 v44, 7, v27
	v_cndmask_b32_sdwa v43, v22, v4, vcc dst_sel:DWORD dst_unused:UNUSED_PAD src0_sel:DWORD src1_sel:WORD_0
	v_and_b32_e32 v4, 0xffff0000, v4
	v_cmp_gt_i32_e32 vcc, s33, v44
	v_cndmask_b32_e32 v4, 0, v4, vcc
	v_or_b32_e32 v4, v43, v4
.LBB95_50:                              ;   in Loop: Header=BB95_43 Depth=1
	s_or_b64 exec, exec, s[14:15]
	v_lshlrev_b32_e32 v42, 16, v42
	v_and_or_b32 v1, v1, s24, v42
	v_lshlrev_b32_e32 v41, 16, v41
	v_lshlrev_b32_e32 v40, 16, v40
	v_and_or_b32 v2, v2, s24, v41
	v_and_or_b32 v3, v3, s24, v40
	;;#ASMSTART
	v_pk_mul_f16 v1, v33, v1;

	;;#ASMEND
	;;#ASMSTART
	v_pk_mul_f16 v2, v34, v2;

	;;#ASMEND
	;; [unrolled: 4-line block ×4, first 2 shown]
	;;#ASMSTART
	v_pk_add_f16 v1, v1, v2;

	;;#ASMEND
	;;#ASMSTART
	v_pk_add_f16 v1, v1, v3;

	;;#ASMEND
	;; [unrolled: 4-line block ×3, first 2 shown]
	v_lshrrev_b32_e32 v2, 16, v1
	v_and_b32_e32 v1, 0xffff, v1
	;;#ASMSTART
	v_cvt_f32_f16 v40, v1;
	;;#ASMEND
	;;#ASMSTART
	v_cvt_f32_f16 v41, v2;
	;;#ASMEND
	global_load_dwordx4 v[1:4], v[7:8], off offset:3072
	s_waitcnt vmcnt(0)
	v_lshrrev_b32_e32 v44, 16, v1
	v_lshrrev_b32_e32 v43, 16, v2
	v_lshrrev_b32_e32 v42, 16, v3
	s_and_saveexec_b64 s[14:15], s[2:3]
	s_cbranch_execz .LBB95_52
; %bb.51:                               ;   in Loop: Header=BB95_43 Depth=1
	v_cmp_gt_i32_e32 vcc, s33, v27
	v_add_u32_e32 v45, 1, v27
	v_cndmask_b32_e32 v1, 0, v1, vcc
	v_cmp_gt_i32_e32 vcc, s33, v45
	v_add_u32_e32 v45, 2, v27
	v_cndmask_b32_e32 v44, 0, v44, vcc
	;; [unrolled: 3-line block ×6, first 2 shown]
	v_cmp_gt_i32_e32 vcc, s33, v45
	v_add_u32_e32 v46, 7, v27
	v_cndmask_b32_sdwa v45, v22, v4, vcc dst_sel:DWORD dst_unused:UNUSED_PAD src0_sel:DWORD src1_sel:WORD_0
	v_and_b32_e32 v4, 0xffff0000, v4
	v_cmp_gt_i32_e32 vcc, s33, v46
	v_cndmask_b32_e32 v4, 0, v4, vcc
	v_or_b32_e32 v4, v45, v4
.LBB95_52:                              ;   in Loop: Header=BB95_43 Depth=1
	s_or_b64 exec, exec, s[14:15]
	v_lshlrev_b32_e32 v44, 16, v44
	v_and_or_b32 v1, v1, s24, v44
	v_lshlrev_b32_e32 v43, 16, v43
	v_lshlrev_b32_e32 v42, 16, v42
	v_and_or_b32 v2, v2, s24, v43
	v_and_or_b32 v3, v3, s24, v42
	;;#ASMSTART
	v_pk_mul_f16 v1, v33, v1;

	;;#ASMEND
	;;#ASMSTART
	v_pk_mul_f16 v2, v34, v2;

	;;#ASMEND
	;; [unrolled: 4-line block ×4, first 2 shown]
	;;#ASMSTART
	v_pk_add_f16 v1, v1, v2;

	;;#ASMEND
	;;#ASMSTART
	v_pk_add_f16 v1, v1, v3;

	;;#ASMEND
	;; [unrolled: 4-line block ×3, first 2 shown]
	v_lshrrev_b32_e32 v2, 16, v1
	v_and_b32_e32 v1, 0xffff, v1
	;;#ASMSTART
	v_cvt_f32_f16 v42, v1;
	;;#ASMEND
	v_add_co_u32_e32 v1, vcc, 0x1000, v7
	;;#ASMSTART
	v_cvt_f32_f16 v43, v2;
	;;#ASMEND
	v_addc_co_u32_e32 v2, vcc, 0, v8, vcc
	global_load_dwordx4 v[1:4], v[1:2], off
	s_waitcnt vmcnt(0)
	v_lshrrev_b32_e32 v46, 16, v1
	v_lshrrev_b32_e32 v45, 16, v2
	;; [unrolled: 1-line block ×3, first 2 shown]
	s_and_saveexec_b64 s[14:15], s[2:3]
	s_cbranch_execz .LBB95_54
; %bb.53:                               ;   in Loop: Header=BB95_43 Depth=1
	v_cmp_gt_i32_e32 vcc, s33, v27
	v_add_u32_e32 v47, 1, v27
	v_cndmask_b32_e32 v1, 0, v1, vcc
	v_cmp_gt_i32_e32 vcc, s33, v47
	v_add_u32_e32 v47, 2, v27
	v_cndmask_b32_e32 v46, 0, v46, vcc
	;; [unrolled: 3-line block ×6, first 2 shown]
	v_cmp_gt_i32_e32 vcc, s33, v47
	v_add_u32_e32 v48, 7, v27
	v_cndmask_b32_sdwa v47, v22, v4, vcc dst_sel:DWORD dst_unused:UNUSED_PAD src0_sel:DWORD src1_sel:WORD_0
	v_and_b32_e32 v4, 0xffff0000, v4
	v_cmp_gt_i32_e32 vcc, s33, v48
	v_cndmask_b32_e32 v4, 0, v4, vcc
	v_or_b32_e32 v4, v47, v4
.LBB95_54:                              ;   in Loop: Header=BB95_43 Depth=1
	s_or_b64 exec, exec, s[14:15]
	v_lshlrev_b32_e32 v46, 16, v46
	v_and_or_b32 v1, v1, s24, v46
	v_lshlrev_b32_e32 v45, 16, v45
	v_lshlrev_b32_e32 v44, 16, v44
	v_and_or_b32 v2, v2, s24, v45
	v_and_or_b32 v3, v3, s24, v44
	;;#ASMSTART
	v_pk_mul_f16 v1, v33, v1;

	;;#ASMEND
	;;#ASMSTART
	v_pk_mul_f16 v2, v34, v2;

	;;#ASMEND
	;; [unrolled: 4-line block ×4, first 2 shown]
	;;#ASMSTART
	v_pk_add_f16 v1, v1, v2;

	;;#ASMEND
	;;#ASMSTART
	v_pk_add_f16 v1, v1, v3;

	;;#ASMEND
	;; [unrolled: 4-line block ×3, first 2 shown]
	v_lshrrev_b32_e32 v2, 16, v1
	v_and_b32_e32 v1, 0xffff, v1
	;;#ASMSTART
	v_cvt_f32_f16 v44, v1;
	;;#ASMEND
	v_add_co_u32_e32 v1, vcc, 0x1000, v7
	;;#ASMSTART
	v_cvt_f32_f16 v45, v2;
	;;#ASMEND
	v_addc_co_u32_e32 v2, vcc, 0, v8, vcc
	global_load_dwordx4 v[1:4], v[1:2], off offset:1024
	s_waitcnt vmcnt(0)
	v_lshrrev_b32_e32 v48, 16, v1
	v_lshrrev_b32_e32 v47, 16, v2
	;; [unrolled: 1-line block ×3, first 2 shown]
	s_and_saveexec_b64 s[14:15], s[2:3]
	s_cbranch_execz .LBB95_56
; %bb.55:                               ;   in Loop: Header=BB95_43 Depth=1
	v_cmp_gt_i32_e32 vcc, s33, v27
	v_add_u32_e32 v49, 1, v27
	v_cndmask_b32_e32 v1, 0, v1, vcc
	v_cmp_gt_i32_e32 vcc, s33, v49
	v_add_u32_e32 v49, 2, v27
	v_cndmask_b32_e32 v48, 0, v48, vcc
	;; [unrolled: 3-line block ×6, first 2 shown]
	v_cmp_gt_i32_e32 vcc, s33, v49
	v_add_u32_e32 v50, 7, v27
	v_cndmask_b32_sdwa v49, v22, v4, vcc dst_sel:DWORD dst_unused:UNUSED_PAD src0_sel:DWORD src1_sel:WORD_0
	v_and_b32_e32 v4, 0xffff0000, v4
	v_cmp_gt_i32_e32 vcc, s33, v50
	v_cndmask_b32_e32 v4, 0, v4, vcc
	v_or_b32_e32 v4, v49, v4
.LBB95_56:                              ;   in Loop: Header=BB95_43 Depth=1
	s_or_b64 exec, exec, s[14:15]
	v_lshlrev_b32_e32 v48, 16, v48
	v_and_or_b32 v1, v1, s24, v48
	v_lshlrev_b32_e32 v47, 16, v47
	v_lshlrev_b32_e32 v46, 16, v46
	v_and_or_b32 v2, v2, s24, v47
	v_and_or_b32 v3, v3, s24, v46
	;;#ASMSTART
	v_pk_mul_f16 v1, v33, v1;

	;;#ASMEND
	;;#ASMSTART
	v_pk_mul_f16 v2, v34, v2;

	;;#ASMEND
	;; [unrolled: 4-line block ×4, first 2 shown]
	;;#ASMSTART
	v_pk_add_f16 v1, v1, v2;

	;;#ASMEND
	;;#ASMSTART
	v_pk_add_f16 v1, v1, v3;

	;;#ASMEND
	;; [unrolled: 4-line block ×3, first 2 shown]
	v_lshrrev_b32_e32 v2, 16, v1
	v_and_b32_e32 v1, 0xffff, v1
	;;#ASMSTART
	v_cvt_f32_f16 v46, v1;
	;;#ASMEND
	v_add_co_u32_e32 v1, vcc, 0x1000, v7
	;;#ASMSTART
	v_cvt_f32_f16 v47, v2;
	;;#ASMEND
	v_addc_co_u32_e32 v2, vcc, 0, v8, vcc
	global_load_dwordx4 v[1:4], v[1:2], off offset:2048
	s_waitcnt vmcnt(0)
	v_lshrrev_b32_e32 v48, 16, v1
	v_lshrrev_b32_e32 v8, 16, v2
	;; [unrolled: 1-line block ×3, first 2 shown]
	s_and_saveexec_b64 s[14:15], s[2:3]
	s_cbranch_execz .LBB95_58
; %bb.57:                               ;   in Loop: Header=BB95_43 Depth=1
	v_cmp_gt_i32_e32 vcc, s33, v27
	v_add_u32_e32 v49, 1, v27
	v_cndmask_b32_e32 v1, 0, v1, vcc
	v_cmp_gt_i32_e32 vcc, s33, v49
	v_add_u32_e32 v49, 2, v27
	v_cndmask_b32_e32 v48, 0, v48, vcc
	;; [unrolled: 3-line block ×6, first 2 shown]
	v_cmp_gt_i32_e32 vcc, s33, v49
	v_add_u32_e32 v50, 7, v27
	v_cndmask_b32_sdwa v49, v22, v4, vcc dst_sel:DWORD dst_unused:UNUSED_PAD src0_sel:DWORD src1_sel:WORD_0
	v_and_b32_e32 v4, 0xffff0000, v4
	v_cmp_gt_i32_e32 vcc, s33, v50
	v_cndmask_b32_e32 v4, 0, v4, vcc
	v_or_b32_e32 v4, v49, v4
.LBB95_58:                              ;   in Loop: Header=BB95_43 Depth=1
	s_or_b64 exec, exec, s[14:15]
	v_lshlrev_b32_e32 v48, 16, v48
	v_and_or_b32 v1, v1, s24, v48
	v_lshlrev_b32_e32 v8, 16, v8
	v_lshlrev_b32_e32 v7, 16, v7
	v_and_or_b32 v2, v2, s24, v8
	v_and_or_b32 v3, v3, s24, v7
	;;#ASMSTART
	v_pk_mul_f16 v1, v33, v1;

	;;#ASMEND
	;;#ASMSTART
	v_pk_mul_f16 v2, v34, v2;

	;;#ASMEND
	;; [unrolled: 4-line block ×4, first 2 shown]
	;;#ASMSTART
	v_pk_add_f16 v1, v1, v2;

	;;#ASMEND
	;;#ASMSTART
	v_pk_add_f16 v1, v1, v3;

	;;#ASMEND
	;;#ASMSTART
	v_pk_add_f16 v1, v1, v4;

	;;#ASMEND
	v_lshrrev_b32_e32 v2, 16, v1
	v_and_b32_e32 v1, 0xffff, v1
	;;#ASMSTART
	v_cvt_f32_f16 v7, v1;
	;;#ASMEND
	;;#ASMSTART
	v_cvt_f32_f16 v8, v2;
	;;#ASMEND
	s_and_saveexec_b64 s[14:15], s[0:1]
	s_cbranch_execz .LBB95_41
; %bb.59:                               ;   in Loop: Header=BB95_43 Depth=1
	v_add_co_u32_e32 v1, vcc, v36, v26
	v_addc_co_u32_e32 v2, vcc, 0, v37, vcc
	global_load_dwordx4 v[1:4], v[1:2], off
	s_waitcnt vmcnt(0)
	v_lshrrev_b32_e32 v48, 16, v1
	v_lshrrev_b32_e32 v37, 16, v2
	;; [unrolled: 1-line block ×3, first 2 shown]
	s_and_saveexec_b64 s[16:17], s[2:3]
	s_cbranch_execz .LBB95_40
; %bb.60:                               ;   in Loop: Header=BB95_43 Depth=1
	v_cmp_gt_i32_e32 vcc, s33, v27
	v_add_u32_e32 v49, 1, v27
	v_cndmask_b32_e32 v1, 0, v1, vcc
	v_cmp_gt_i32_e32 vcc, s33, v49
	v_add_u32_e32 v49, 2, v27
	v_cndmask_b32_e32 v48, 0, v48, vcc
	;; [unrolled: 3-line block ×6, first 2 shown]
	v_cmp_gt_i32_e32 vcc, s33, v49
	v_add_u32_e32 v27, 7, v27
	v_cndmask_b32_sdwa v49, v22, v4, vcc dst_sel:DWORD dst_unused:UNUSED_PAD src0_sel:DWORD src1_sel:WORD_0
	v_and_b32_e32 v4, 0xffff0000, v4
	v_cmp_gt_i32_e32 vcc, s33, v27
	v_cndmask_b32_e32 v4, 0, v4, vcc
	v_or_b32_e32 v4, v49, v4
	s_branch .LBB95_40
.LBB95_61:
	s_or_b64 exec, exec, s[6:7]
.LBB95_62:
	s_or_b64 exec, exec, s[4:5]
	ds_bpermute_b32 v1, v9, v19
	ds_bpermute_b32 v2, v9, v20
	;; [unrolled: 1-line block ×3, first 2 shown]
	v_cmp_eq_u32_e32 vcc, 0, v12
	s_waitcnt lgkmcnt(0)
	v_add_f32_e32 v1, v19, v1
	v_add_f32_e32 v2, v20, v2
	;; [unrolled: 1-line block ×3, first 2 shown]
	ds_bpermute_b32 v4, v10, v1
	ds_bpermute_b32 v5, v10, v2
	;; [unrolled: 1-line block ×4, first 2 shown]
	s_waitcnt lgkmcnt(0)
	s_barrier
	v_add_f32_e32 v8, v1, v4
	v_add_f32_e32 v7, v2, v5
	ds_bpermute_b32 v1, v9, v16
	v_add_f32_e32 v5, v3, v6
	ds_bpermute_b32 v4, v9, v15
	ds_bpermute_b32 v6, v9, v13
	;; [unrolled: 1-line block ×3, first 2 shown]
	v_add_f32_e32 v2, v17, v18
	s_waitcnt lgkmcnt(3)
	v_add_f32_e32 v1, v16, v1
	s_waitcnt lgkmcnt(2)
	;; [unrolled: 2-line block ×4, first 2 shown]
	v_add_f32_e32 v9, v14, v9
	ds_bpermute_b32 v3, v10, v2
	ds_bpermute_b32 v16, v10, v1
	;; [unrolled: 1-line block ×5, first 2 shown]
	s_waitcnt lgkmcnt(4)
	v_add_f32_e32 v6, v2, v3
	s_waitcnt lgkmcnt(3)
	v_add_f32_e32 v4, v1, v16
	;; [unrolled: 2-line block ×5, first 2 shown]
	v_and_b32_e32 v9, 0x3c0, v0
	v_cmp_eq_u32_e64 s[0:1], 64, v9
	s_and_saveexec_b64 s[2:3], s[0:1]
	s_cbranch_execz .LBB95_67
; %bb.63:
	s_and_saveexec_b64 s[0:1], vcc
	s_cbranch_execz .LBB95_65
; %bb.64:
	v_mov_b32_e32 v9, 0x100
	v_lshl_add_u32 v9, v11, 2, v9
	ds_write2_b32 v9, v8, v7 offset1:16
	ds_write2_b32 v9, v5, v6 offset0:32 offset1:48
	ds_write2_b32 v9, v4, v3 offset0:64 offset1:80
	ds_write_b32 v9, v2 offset:384
.LBB95_65:
	s_or_b64 exec, exec, s[0:1]
	v_or_b32_e32 v9, 0x70, v11
	s_movk_i32 s0, 0x78
	v_cmp_gt_u32_e64 s[0:1], s0, v9
	s_and_b64 s[0:1], vcc, s[0:1]
	s_and_b64 exec, exec, s[0:1]
; %bb.66:
	v_mov_b32_e32 v9, 0x100
	v_lshl_add_u32 v9, v11, 2, v9
	ds_write_b32 v9, v1 offset:448
.LBB95_67:
	s_or_b64 exec, exec, s[2:3]
	v_cmp_gt_u32_e64 s[0:1], 64, v0
	v_lshrrev_b32_e32 v0, 2, v0
	s_waitcnt lgkmcnt(0)
	s_barrier
	s_and_saveexec_b64 s[4:5], s[0:1]
	s_cbranch_execz .LBB95_85
; %bb.68:
	s_and_saveexec_b64 s[2:3], vcc
	s_cbranch_execz .LBB95_70
; %bb.69:
	v_mov_b32_e32 v9, 0x100
	v_lshl_add_u32 v9, v0, 2, v9
	ds_read_b32 v9, v9
	s_waitcnt lgkmcnt(0)
	v_add_f32_e32 v8, v8, v9
.LBB95_70:
	s_or_b64 exec, exec, s[2:3]
	v_or_b32_e32 v9, 16, v0
	s_movk_i32 s6, 0x78
	v_cmp_gt_u32_e64 s[2:3], s6, v9
	s_and_b64 s[12:13], vcc, s[2:3]
	s_and_saveexec_b64 s[2:3], s[12:13]
	s_cbranch_execz .LBB95_72
; %bb.71:
	v_mov_b32_e32 v9, 0x100
	v_lshl_add_u32 v9, v0, 2, v9
	ds_read_b32 v9, v9 offset:64
	s_waitcnt lgkmcnt(0)
	v_add_f32_e32 v7, v7, v9
.LBB95_72:
	s_or_b64 exec, exec, s[2:3]
	v_or_b32_e32 v9, 32, v0
	v_cmp_gt_u32_e64 s[2:3], s6, v9
	s_and_b64 s[6:7], vcc, s[2:3]
	s_and_saveexec_b64 s[2:3], s[6:7]
	s_cbranch_execz .LBB95_74
; %bb.73:
	v_mov_b32_e32 v9, 0x100
	v_lshl_add_u32 v9, v0, 2, v9
	ds_read_b32 v9, v9 offset:128
	s_waitcnt lgkmcnt(0)
	v_add_f32_e32 v5, v5, v9
.LBB95_74:
	s_or_b64 exec, exec, s[2:3]
	v_or_b32_e32 v9, 48, v0
	s_movk_i32 s6, 0x78
	v_cmp_gt_u32_e64 s[2:3], s6, v9
	s_and_b64 s[12:13], vcc, s[2:3]
	s_and_saveexec_b64 s[2:3], s[12:13]
	s_cbranch_execz .LBB95_76
; %bb.75:
	v_mov_b32_e32 v9, 0x100
	v_lshl_add_u32 v9, v0, 2, v9
	ds_read_b32 v9, v9 offset:192
	s_waitcnt lgkmcnt(0)
	v_add_f32_e32 v6, v6, v9
.LBB95_76:
	s_or_b64 exec, exec, s[2:3]
	v_or_b32_e32 v9, 64, v0
	v_cmp_gt_u32_e64 s[2:3], s6, v9
	s_and_b64 s[6:7], vcc, s[2:3]
	s_and_saveexec_b64 s[2:3], s[6:7]
	s_cbranch_execz .LBB95_78
; %bb.77:
	v_mov_b32_e32 v9, 0x100
	v_lshl_add_u32 v9, v0, 2, v9
	ds_read_b32 v9, v9 offset:256
	s_waitcnt lgkmcnt(0)
	v_add_f32_e32 v4, v4, v9
.LBB95_78:
	s_or_b64 exec, exec, s[2:3]
	v_or_b32_e32 v9, 0x50, v0
	s_movk_i32 s6, 0x78
	v_cmp_gt_u32_e64 s[2:3], s6, v9
	s_and_b64 s[12:13], vcc, s[2:3]
	s_and_saveexec_b64 s[2:3], s[12:13]
	s_cbranch_execz .LBB95_80
; %bb.79:
	v_mov_b32_e32 v9, 0x100
	v_lshl_add_u32 v9, v0, 2, v9
	ds_read_b32 v9, v9 offset:320
	s_waitcnt lgkmcnt(0)
	v_add_f32_e32 v3, v3, v9
.LBB95_80:
	s_or_b64 exec, exec, s[2:3]
	v_or_b32_e32 v9, 0x60, v0
	v_cmp_gt_u32_e64 s[2:3], s6, v9
	s_and_b64 s[6:7], vcc, s[2:3]
	s_and_saveexec_b64 s[2:3], s[6:7]
	s_cbranch_execz .LBB95_82
; %bb.81:
	v_mov_b32_e32 v9, 0x100
	v_lshl_add_u32 v9, v0, 2, v9
	ds_read_b32 v9, v9 offset:384
	s_waitcnt lgkmcnt(0)
	v_add_f32_e32 v2, v2, v9
.LBB95_82:
	s_or_b64 exec, exec, s[2:3]
	v_or_b32_e32 v9, 0x70, v0
	s_movk_i32 s2, 0x78
	v_cmp_gt_u32_e64 s[2:3], s2, v9
	s_and_b64 s[6:7], vcc, s[2:3]
	s_and_saveexec_b64 s[2:3], s[6:7]
	s_cbranch_execz .LBB95_84
; %bb.83:
	v_mov_b32_e32 v9, 0x100
	v_lshl_add_u32 v9, v0, 2, v9
	ds_read_b32 v9, v9 offset:448
	s_waitcnt lgkmcnt(0)
	v_add_f32_e32 v1, v1, v9
.LBB95_84:
	s_or_b64 exec, exec, s[2:3]
.LBB95_85:
	s_or_b64 exec, exec, s[4:5]
	s_barrier
	s_and_saveexec_b64 s[2:3], s[0:1]
	s_cbranch_execz .LBB95_102
; %bb.86:
	s_mul_i32 s0, s10, s11
	s_mul_i32 s0, s0, s9
	s_mulk_i32 s0, 0x78
	s_ashr_i32 s1, s0, 31
	s_lshl_b64 s[0:1], s[0:1], 1
	s_add_u32 s2, s22, s0
	s_mul_i32 s0, s11, s20
	s_addc_u32 s3, s23, s1
	s_ashr_i32 s1, s0, 31
	s_lshl_b64 s[0:1], s[0:1], 1
	s_add_u32 s2, s2, s0
	s_mul_i32 s0, s8, 0x78
	s_addc_u32 s3, s3, s1
	s_ashr_i32 s1, s0, 31
	s_lshl_b64 s[0:1], s[0:1], 1
	s_add_u32 s2, s2, s0
	s_movk_i32 s4, 0x78
	s_addc_u32 s3, s3, s1
	v_lshlrev_b32_e32 v9, 1, v0
	s_and_saveexec_b64 s[0:1], vcc
	s_cbranch_execz .LBB95_88
; %bb.87:
	;;#ASMSTART
	v_cvt_f16_f32 v8, v8;

	;;#ASMEND
	global_store_short v9, v8, s[2:3]
.LBB95_88:
	s_or_b64 exec, exec, s[0:1]
	v_or_b32_e32 v8, 16, v0
	v_cmp_gt_u32_e64 s[0:1], s4, v8
	s_and_b64 s[4:5], vcc, s[0:1]
	s_and_saveexec_b64 s[0:1], s[4:5]
	s_cbranch_execz .LBB95_90
; %bb.89:
	;;#ASMSTART
	v_cvt_f16_f32 v7, v7;

	;;#ASMEND
	global_store_short v9, v7, s[2:3] offset:32
.LBB95_90:
	s_or_b64 exec, exec, s[0:1]
	v_or_b32_e32 v7, 32, v0
	s_movk_i32 s4, 0x78
	v_cmp_gt_u32_e64 s[0:1], s4, v7
	s_and_b64 s[6:7], vcc, s[0:1]
	s_and_saveexec_b64 s[0:1], s[6:7]
	s_cbranch_execz .LBB95_92
; %bb.91:
	;;#ASMSTART
	v_cvt_f16_f32 v5, v5;

	;;#ASMEND
	global_store_short v9, v5, s[2:3] offset:64
.LBB95_92:
	s_or_b64 exec, exec, s[0:1]
	v_or_b32_e32 v5, 48, v0
	v_cmp_gt_u32_e64 s[0:1], s4, v5
	s_and_b64 s[4:5], vcc, s[0:1]
	s_and_saveexec_b64 s[0:1], s[4:5]
	s_cbranch_execz .LBB95_94
; %bb.93:
	;;#ASMSTART
	v_cvt_f16_f32 v5, v6;

	;;#ASMEND
	global_store_short v9, v5, s[2:3] offset:96
.LBB95_94:
	s_or_b64 exec, exec, s[0:1]
	v_or_b32_e32 v5, 64, v0
	s_movk_i32 s4, 0x78
	v_cmp_gt_u32_e64 s[0:1], s4, v5
	s_and_b64 s[6:7], vcc, s[0:1]
	s_and_saveexec_b64 s[0:1], s[6:7]
	s_cbranch_execz .LBB95_96
; %bb.95:
	;;#ASMSTART
	v_cvt_f16_f32 v4, v4;

	;;#ASMEND
	global_store_short v9, v4, s[2:3] offset:128
.LBB95_96:
	;; [unrolled: 27-line block ×3, first 2 shown]
	s_or_b64 exec, exec, s[0:1]
	v_or_b32_e32 v0, 0x70, v0
	v_cmp_gt_u32_e64 s[0:1], s4, v0
	s_and_b64 s[0:1], vcc, s[0:1]
	s_and_b64 exec, exec, s[0:1]
	s_cbranch_execz .LBB95_102
; %bb.101:
	;;#ASMSTART
	v_cvt_f16_f32 v0, v1;

	;;#ASMEND
	global_store_short v9, v0, s[2:3] offset:224
.LBB95_102:
	s_endpgm
	.section	.rodata,"a",@progbits
	.p2align	6, 0x0
	.amdhsa_kernel _ZN4vllm25paged_attention_v1_kernelIttLi120ELi32ELi128ELNS_18Fp8KVCacheDataTypeE0ELb1EEEvPT_PKS2_PKT0_S8_ifPKiSA_iPKfiiiSC_SC_iiiii
		.amdhsa_group_segment_fixed_size 256
		.amdhsa_private_segment_fixed_size 0
		.amdhsa_kernarg_size 384
		.amdhsa_user_sgpr_count 6
		.amdhsa_user_sgpr_private_segment_buffer 1
		.amdhsa_user_sgpr_dispatch_ptr 0
		.amdhsa_user_sgpr_queue_ptr 0
		.amdhsa_user_sgpr_kernarg_segment_ptr 1
		.amdhsa_user_sgpr_dispatch_id 0
		.amdhsa_user_sgpr_flat_scratch_init 0
		.amdhsa_user_sgpr_private_segment_size 0
		.amdhsa_uses_dynamic_stack 0
		.amdhsa_system_sgpr_private_segment_wavefront_offset 0
		.amdhsa_system_sgpr_workgroup_id_x 1
		.amdhsa_system_sgpr_workgroup_id_y 1
		.amdhsa_system_sgpr_workgroup_id_z 1
		.amdhsa_system_sgpr_workgroup_info 0
		.amdhsa_system_vgpr_workitem_id 0
		.amdhsa_next_free_vgpr 62
		.amdhsa_next_free_sgpr 45
		.amdhsa_reserve_vcc 1
		.amdhsa_reserve_flat_scratch 0
		.amdhsa_float_round_mode_32 0
		.amdhsa_float_round_mode_16_64 0
		.amdhsa_float_denorm_mode_32 3
		.amdhsa_float_denorm_mode_16_64 3
		.amdhsa_dx10_clamp 1
		.amdhsa_ieee_mode 1
		.amdhsa_fp16_overflow 0
		.amdhsa_exception_fp_ieee_invalid_op 0
		.amdhsa_exception_fp_denorm_src 0
		.amdhsa_exception_fp_ieee_div_zero 0
		.amdhsa_exception_fp_ieee_overflow 0
		.amdhsa_exception_fp_ieee_underflow 0
		.amdhsa_exception_fp_ieee_inexact 0
		.amdhsa_exception_int_div_zero 0
	.end_amdhsa_kernel
	.section	.text._ZN4vllm25paged_attention_v1_kernelIttLi120ELi32ELi128ELNS_18Fp8KVCacheDataTypeE0ELb1EEEvPT_PKS2_PKT0_S8_ifPKiSA_iPKfiiiSC_SC_iiiii,"axG",@progbits,_ZN4vllm25paged_attention_v1_kernelIttLi120ELi32ELi128ELNS_18Fp8KVCacheDataTypeE0ELb1EEEvPT_PKS2_PKT0_S8_ifPKiSA_iPKfiiiSC_SC_iiiii,comdat
.Lfunc_end95:
	.size	_ZN4vllm25paged_attention_v1_kernelIttLi120ELi32ELi128ELNS_18Fp8KVCacheDataTypeE0ELb1EEEvPT_PKS2_PKT0_S8_ifPKiSA_iPKfiiiSC_SC_iiiii, .Lfunc_end95-_ZN4vllm25paged_attention_v1_kernelIttLi120ELi32ELi128ELNS_18Fp8KVCacheDataTypeE0ELb1EEEvPT_PKS2_PKT0_S8_ifPKiSA_iPKfiiiSC_SC_iiiii
                                        ; -- End function
	.set _ZN4vllm25paged_attention_v1_kernelIttLi120ELi32ELi128ELNS_18Fp8KVCacheDataTypeE0ELb1EEEvPT_PKS2_PKT0_S8_ifPKiSA_iPKfiiiSC_SC_iiiii.num_vgpr, 62
	.set _ZN4vllm25paged_attention_v1_kernelIttLi120ELi32ELi128ELNS_18Fp8KVCacheDataTypeE0ELb1EEEvPT_PKS2_PKT0_S8_ifPKiSA_iPKfiiiSC_SC_iiiii.num_agpr, 0
	.set _ZN4vllm25paged_attention_v1_kernelIttLi120ELi32ELi128ELNS_18Fp8KVCacheDataTypeE0ELb1EEEvPT_PKS2_PKT0_S8_ifPKiSA_iPKfiiiSC_SC_iiiii.numbered_sgpr, 45
	.set _ZN4vllm25paged_attention_v1_kernelIttLi120ELi32ELi128ELNS_18Fp8KVCacheDataTypeE0ELb1EEEvPT_PKS2_PKT0_S8_ifPKiSA_iPKfiiiSC_SC_iiiii.num_named_barrier, 0
	.set _ZN4vllm25paged_attention_v1_kernelIttLi120ELi32ELi128ELNS_18Fp8KVCacheDataTypeE0ELb1EEEvPT_PKS2_PKT0_S8_ifPKiSA_iPKfiiiSC_SC_iiiii.private_seg_size, 0
	.set _ZN4vllm25paged_attention_v1_kernelIttLi120ELi32ELi128ELNS_18Fp8KVCacheDataTypeE0ELb1EEEvPT_PKS2_PKT0_S8_ifPKiSA_iPKfiiiSC_SC_iiiii.uses_vcc, 1
	.set _ZN4vllm25paged_attention_v1_kernelIttLi120ELi32ELi128ELNS_18Fp8KVCacheDataTypeE0ELb1EEEvPT_PKS2_PKT0_S8_ifPKiSA_iPKfiiiSC_SC_iiiii.uses_flat_scratch, 0
	.set _ZN4vllm25paged_attention_v1_kernelIttLi120ELi32ELi128ELNS_18Fp8KVCacheDataTypeE0ELb1EEEvPT_PKS2_PKT0_S8_ifPKiSA_iPKfiiiSC_SC_iiiii.has_dyn_sized_stack, 0
	.set _ZN4vllm25paged_attention_v1_kernelIttLi120ELi32ELi128ELNS_18Fp8KVCacheDataTypeE0ELb1EEEvPT_PKS2_PKT0_S8_ifPKiSA_iPKfiiiSC_SC_iiiii.has_recursion, 0
	.set _ZN4vllm25paged_attention_v1_kernelIttLi120ELi32ELi128ELNS_18Fp8KVCacheDataTypeE0ELb1EEEvPT_PKS2_PKT0_S8_ifPKiSA_iPKfiiiSC_SC_iiiii.has_indirect_call, 0
	.section	.AMDGPU.csdata,"",@progbits
; Kernel info:
; codeLenInByte = 8844
; TotalNumSgprs: 49
; NumVgprs: 62
; ScratchSize: 0
; MemoryBound: 0
; FloatMode: 240
; IeeeMode: 1
; LDSByteSize: 256 bytes/workgroup (compile time only)
; SGPRBlocks: 6
; VGPRBlocks: 15
; NumSGPRsForWavesPerEU: 49
; NumVGPRsForWavesPerEU: 62
; Occupancy: 4
; WaveLimiterHint : 1
; COMPUTE_PGM_RSRC2:SCRATCH_EN: 0
; COMPUTE_PGM_RSRC2:USER_SGPR: 6
; COMPUTE_PGM_RSRC2:TRAP_HANDLER: 0
; COMPUTE_PGM_RSRC2:TGID_X_EN: 1
; COMPUTE_PGM_RSRC2:TGID_Y_EN: 1
; COMPUTE_PGM_RSRC2:TGID_Z_EN: 1
; COMPUTE_PGM_RSRC2:TIDIG_COMP_CNT: 0
	.section	.text._ZN4vllm25paged_attention_v1_kernelIttLi128ELi32ELi128ELNS_18Fp8KVCacheDataTypeE0ELb1EEEvPT_PKS2_PKT0_S8_ifPKiSA_iPKfiiiSC_SC_iiiii,"axG",@progbits,_ZN4vllm25paged_attention_v1_kernelIttLi128ELi32ELi128ELNS_18Fp8KVCacheDataTypeE0ELb1EEEvPT_PKS2_PKT0_S8_ifPKiSA_iPKfiiiSC_SC_iiiii,comdat
	.protected	_ZN4vllm25paged_attention_v1_kernelIttLi128ELi32ELi128ELNS_18Fp8KVCacheDataTypeE0ELb1EEEvPT_PKS2_PKT0_S8_ifPKiSA_iPKfiiiSC_SC_iiiii ; -- Begin function _ZN4vllm25paged_attention_v1_kernelIttLi128ELi32ELi128ELNS_18Fp8KVCacheDataTypeE0ELb1EEEvPT_PKS2_PKT0_S8_ifPKiSA_iPKfiiiSC_SC_iiiii
	.globl	_ZN4vllm25paged_attention_v1_kernelIttLi128ELi32ELi128ELNS_18Fp8KVCacheDataTypeE0ELb1EEEvPT_PKS2_PKT0_S8_ifPKiSA_iPKfiiiSC_SC_iiiii
	.p2align	8
	.type	_ZN4vllm25paged_attention_v1_kernelIttLi128ELi32ELi128ELNS_18Fp8KVCacheDataTypeE0ELb1EEEvPT_PKS2_PKT0_S8_ifPKiSA_iPKfiiiSC_SC_iiiii,@function
_ZN4vllm25paged_attention_v1_kernelIttLi128ELi32ELi128ELNS_18Fp8KVCacheDataTypeE0ELb1EEEvPT_PKS2_PKT0_S8_ifPKiSA_iPKfiiiSC_SC_iiiii: ; @_ZN4vllm25paged_attention_v1_kernelIttLi128ELi32ELi128ELNS_18Fp8KVCacheDataTypeE0ELb1EEEvPT_PKS2_PKT0_S8_ifPKiSA_iPKfiiiSC_SC_iiiii
; %bb.0:
	s_load_dword s9, s[4:5], 0x80
	s_load_dwordx2 s[0:1], s[4:5], 0x30
	s_load_dwordx2 s[30:31], s[4:5], 0x20
	s_mov_b32 s10, s7
	s_ashr_i32 s11, s7, 31
	s_lshl_b64 s[2:3], s[10:11], 2
	s_waitcnt lgkmcnt(0)
	s_add_u32 s0, s0, s2
	s_addc_u32 s1, s1, s3
	s_abs_i32 s2, s30
	v_cvt_f32_u32_e32 v1, s2
	s_sub_i32 s11, 0, s2
	s_abs_i32 s7, s9
	s_xor_b32 s3, s9, s30
	v_rcp_iflag_f32_e32 v1, v1
	s_ashr_i32 s3, s3, 31
	s_mov_b32 s42, 0
	v_mul_f32_e32 v1, 0x4f7ffffe, v1
	v_cvt_u32_f32_e32 v1, v1
	v_readfirstlane_b32 s12, v1
	s_mul_i32 s11, s11, s12
	s_mul_hi_u32 s11, s12, s11
	s_add_i32 s12, s12, s11
	s_mul_hi_u32 s11, s7, s12
	s_mul_i32 s12, s11, s2
	s_sub_i32 s7, s7, s12
	s_add_i32 s12, s11, 1
	s_sub_i32 s13, s7, s2
	s_cmp_ge_u32 s7, s2
	s_cselect_b32 s11, s12, s11
	s_cselect_b32 s7, s13, s7
	s_add_i32 s12, s11, 1
	s_cmp_ge_u32 s7, s2
	s_cselect_b32 s2, s12, s11
	s_xor_b32 s2, s2, s3
	s_sub_i32 s12, s2, s3
	s_abs_i32 s11, s12
	v_cvt_f32_u32_e32 v1, s11
	s_load_dwordx2 s[2:3], s[4:5], 0x40
	s_sub_i32 s7, 0, s11
	s_abs_i32 s22, s6
	v_rcp_iflag_f32_e32 v1, v1
	v_mul_f32_e32 v1, 0x4f7ffffe, v1
	v_cvt_u32_f32_e32 v1, v1
	v_readfirstlane_b32 s13, v1
	s_mul_i32 s7, s7, s13
	s_mul_hi_u32 s7, s13, s7
	s_add_i32 s13, s13, s7
	s_waitcnt lgkmcnt(0)
	s_cmp_eq_u64 s[2:3], 0
	s_mul_hi_u32 s23, s22, s13
	s_cbranch_scc1 .LBB96_2
; %bb.1:
	s_ashr_i32 s7, s6, 31
	s_lshl_b64 s[14:15], s[6:7], 2
	s_add_u32 s2, s2, s14
	s_addc_u32 s3, s3, s15
	s_load_dword s42, s[2:3], 0x0
.LBB96_2:
	s_load_dword s33, s[0:1], 0x0
	s_ashr_i32 s7, s12, 31
	s_load_dwordx4 s[12:15], s[4:5], 0x48
	s_ashr_i32 s2, s6, 31
	v_and_b32_e32 v1, 1, v0
	s_lshl_b32 s20, s6, 7
	v_cmp_gt_u32_e32 vcc, 32, v0
	v_lshlrev_b32_e32 v35, 3, v0
	s_and_saveexec_b64 s[0:1], vcc
	s_cbranch_execz .LBB96_4
; %bb.3:
	s_load_dwordx2 s[16:17], s[4:5], 0x8
	s_waitcnt lgkmcnt(0)
	s_mul_i32 s18, s12, s10
	s_ashr_i32 s19, s18, 31
	s_lshl_b64 s[18:19], s[18:19], 1
	v_lshlrev_b32_e32 v4, 2, v0
	s_add_u32 s3, s16, s18
	s_addc_u32 s12, s17, s19
	s_ashr_i32 s21, s20, 31
	s_lshl_b64 s[16:17], s[20:21], 1
	s_add_u32 s16, s3, s16
	s_addc_u32 s17, s12, s17
	global_load_dwordx2 v[2:3], v35, s[16:17]
	v_and_b32_e32 v4, 0xff8, v4
	v_lshl_add_u32 v4, v1, 7, v4
	s_waitcnt vmcnt(0)
	ds_write_b64 v4, v[2:3]
.LBB96_4:
	s_or_b64 exec, exec, s[0:1]
	s_mul_i32 s1, s23, s11
	s_sub_i32 s1, s22, s1
	s_xor_b32 s0, s2, s7
	s_add_i32 s2, s23, 1
	s_sub_i32 s7, s1, s11
	s_load_dwordx4 s[16:19], s[4:5], 0x68
	s_load_dword s3, s[4:5], 0x78
	s_cmp_ge_u32 s1, s11
	s_cselect_b32 s2, s2, s23
	s_cselect_b32 s1, s7, s1
	s_add_i32 s7, s2, 1
	s_cmp_ge_u32 s1, s11
	s_cselect_b32 s1, s7, s2
	s_waitcnt lgkmcnt(0)
	s_abs_i32 s21, s19
	v_cvt_f32_u32_e32 v2, s21
	s_xor_b32 s1, s1, s0
	s_sub_i32 s2, s1, s0
	s_sub_i32 s0, 0, s21
	v_rcp_iflag_f32_e32 v2, v2
	s_add_i32 s11, s33, -1
	s_abs_i32 s7, s11
	v_mul_f32_e32 v2, 0x4f7ffffe, v2
	v_cvt_u32_f32_e32 v2, v2
	s_barrier
	v_readfirstlane_b32 s40, v2
	s_mul_i32 s0, s0, s40
	s_mul_hi_u32 s0, s40, s0
	s_add_i32 s40, s40, s0
	s_cmp_lt_i32 s3, 0
	s_mul_hi_u32 s12, s7, s40
	s_cbranch_scc0 .LBB96_6
; %bb.5:
	s_mul_i32 s0, s16, s30
	s_add_i32 s0, s2, s0
	s_mul_i32 s0, s0, s3
	s_sub_i32 s41, 1, s0
	s_mov_b64 s[0:1], 0
	s_branch .LBB96_7
.LBB96_6:
	s_mov_b64 s[0:1], -1
                                        ; implicit-def: $sgpr41
.LBB96_7:
	s_load_dwordx2 s[24:25], s[4:5], 0x28
	s_ashr_i32 s15, s11, 31
	s_andn2_b64 vcc, exec, s[0:1]
	s_ashr_i32 s19, s19, 31
	s_cbranch_vccnz .LBB96_9
; %bb.8:
	s_mul_i32 s0, s9, s16
	s_add_i32 s0, s0, s6
	s_mul_i32 s0, s0, s3
	s_add_i32 s41, s0, 1
.LBB96_9:
	s_load_dword s0, s[4:5], 0x38
	s_load_dwordx2 s[22:23], s[4:5], 0x0
	s_load_dwordx2 s[28:29], s[4:5], 0x18
	s_load_dword s11, s[4:5], 0x88
	s_xor_b32 s1, s15, s19
	s_waitcnt lgkmcnt(0)
	s_mul_i32 s26, s0, s10
	s_mul_i32 s0, s12, s21
	s_sub_i32 s0, s7, s0
	s_ashr_i32 s27, s26, 31
	s_add_i32 s3, s12, 1
	s_sub_i32 s6, s0, s21
	s_cmp_ge_u32 s0, s21
	s_cselect_b32 s3, s3, s12
	s_cselect_b32 s0, s6, s0
	s_add_i32 s6, s3, 1
	s_cmp_ge_u32 s0, s21
	s_cselect_b32 s0, s6, s3
	s_xor_b32 s0, s0, s1
	s_sub_i32 s12, s0, s1
	s_add_i32 s0, s33, 31
	s_ashr_i32 s1, s0, 31
	s_lshr_b32 s1, s1, 27
	s_add_i32 s0, s0, s1
	s_ashr_i32 s16, s0, 5
	v_lshrrev_b32_e32 v33, 6, v0
	v_cmp_gt_i32_e64 s[0:1], s16, v33
	v_mov_b32_e32 v41, 0xff7fffff
	s_mul_i32 s14, s2, s14
	v_lshrrev_b32_e32 v36, 4, v0
	v_lshlrev_b32_e32 v34, 5, v33
	v_mbcnt_lo_u32_b32 v37, -1, 0
	s_and_saveexec_b64 s[34:35], s[0:1]
	s_cbranch_execz .LBB96_21
; %bb.10:
	s_load_dwordx2 s[2:3], s[4:5], 0x10
	s_ashr_i32 s15, s14, 31
	s_sub_i32 s30, s12, s17
	s_lshl_b64 s[4:5], s[14:15], 1
	v_bfe_u32 v38, v0, 1, 5
	s_waitcnt lgkmcnt(0)
	s_add_u32 s4, s2, s4
	s_addc_u32 s5, s3, s5
	s_abs_i32 s15, s18
	v_cvt_f32_u32_e32 v2, s15
	v_mov_b32_e32 v5, s5
	s_sub_i32 s5, 0, s15
	v_lshlrev_b32_e32 v4, 4, v38
	v_rcp_iflag_f32_e32 v2, v2
	v_add_co_u32_e32 v4, vcc, s4, v4
	v_and_b32_e32 v3, 8, v35
	v_mul_f32_e32 v2, 0x4f7ffffe, v2
	v_cvt_u32_f32_e32 v2, v2
	v_addc_co_u32_e32 v5, vcc, 0, v5, vcc
	v_add_co_u32_e32 v39, vcc, v4, v3
	v_mul_lo_u32 v6, s5, v2
	s_lshl_b64 s[6:7], s[26:27], 2
	v_subrev_u32_e32 v3, s33, v38
	s_add_u32 s6, s24, s6
	v_mul_hi_u32 v6, v2, v6
	v_add_u32_e32 v45, 1, v3
	v_lshlrev_b32_e32 v3, 2, v38
	v_cmp_eq_u32_e64 s[2:3], 0, v1
	v_addc_co_u32_e32 v40, vcc, 0, v5, vcc
	v_lshlrev_b32_e32 v42, 7, v1
	v_and_b32_e32 v1, 60, v36
	s_addc_u32 s7, s25, s7
	v_lshl_or_b32 v3, v33, 7, v3
	v_mbcnt_hi_u32_b32 v47, -1, v37
	v_add_u32_e32 v43, v2, v6
	v_mov_b32_e32 v2, s7
	v_add_co_u32_e32 v1, vcc, s6, v1
	v_add_u32_e32 v46, 0x110, v3
	v_and_b32_e32 v3, 64, v47
	s_mov_b32 s43, s13
	v_cmp_neq_f32_e64 s[4:5], s42, 0
	v_addc_co_u32_e32 v2, vcc, 0, v2, vcc
	v_lshlrev_b32_e32 v44, 5, v33
	s_mov_b64 s[36:37], 0
	s_movk_i32 s44, 0x1000
	v_xor_b32_e32 v48, 1, v47
	v_add_u32_e32 v49, 64, v3
	v_mov_b32_e32 v41, 0xff7fffff
	v_mov_b32_e32 v50, v33
	s_branch .LBB96_13
.LBB96_11:                              ;   in Loop: Header=BB96_13 Depth=1
	s_or_b64 exec, exec, s[38:39]
.LBB96_12:                              ;   in Loop: Header=BB96_13 Depth=1
	s_or_b64 exec, exec, s[6:7]
	v_add_co_u32_e32 v1, vcc, 8, v1
	v_add_u32_e32 v50, 2, v50
	v_addc_co_u32_e32 v2, vcc, 0, v2, vcc
	v_cmp_le_i32_e32 vcc, s16, v50
	v_add_u32_e32 v44, 64, v44
	s_or_b64 s[36:37], vcc, s[36:37]
	v_add_u32_e32 v46, 0x100, v46
	s_andn2_b64 exec, exec, s[36:37]
	s_cbranch_execz .LBB96_20
.LBB96_13:                              ; =>This Inner Loop Header: Depth=1
	v_mul_hi_u32 v3, v44, s40
	s_waitcnt lgkmcnt(0)
	v_mul_lo_u32 v4, v3, s21
	v_add_u32_e32 v5, 1, v3
	v_sub_u32_e32 v4, v44, v4
	v_cmp_le_u32_e32 vcc, s21, v4
	v_cndmask_b32_e32 v3, v3, v5, vcc
	v_subrev_u32_e32 v5, s21, v4
	v_cndmask_b32_e32 v4, v4, v5, vcc
	v_add_u32_e32 v5, 1, v3
	v_cmp_le_u32_e32 vcc, s21, v4
	v_cndmask_b32_e32 v3, v3, v5, vcc
	v_xor_b32_e32 v3, s19, v3
	v_subrev_u32_e32 v3, s19, v3
	v_add_u32_e32 v4, s41, v3
	v_sub_u32_e32 v5, 0, v4
	v_max_i32_e32 v5, v4, v5
	v_mul_hi_u32 v6, v5, v43
	v_ashrrev_i32_e32 v4, 31, v4
	v_cmp_ge_i32_e64 s[6:7], s30, v3
	v_mul_lo_u32 v6, v6, s15
	v_sub_u32_e32 v5, v5, v6
	v_subrev_u32_e32 v6, s15, v5
	v_cmp_le_u32_e32 vcc, s15, v5
	v_cndmask_b32_e32 v5, v5, v6, vcc
	v_subrev_u32_e32 v6, s15, v5
	v_cmp_le_u32_e32 vcc, s15, v5
	v_cndmask_b32_e32 v5, v5, v6, vcc
	v_xor_b32_e32 v5, v5, v4
	v_sub_u32_e32 v4, v5, v4
	v_cmp_ne_u32_e32 vcc, 0, v4
	s_and_b64 s[6:7], vcc, s[6:7]
	s_and_saveexec_b64 s[38:39], s[6:7]
	s_xor_b64 s[6:7], exec, s[38:39]
	s_cbranch_execz .LBB96_17
; %bb.14:                               ;   in Loop: Header=BB96_13 Depth=1
	s_and_saveexec_b64 s[38:39], s[2:3]
; %bb.15:                               ;   in Loop: Header=BB96_13 Depth=1
	v_mov_b32_e32 v3, 0xff7fffff
	ds_write_b32 v46, v3
; %bb.16:                               ;   in Loop: Header=BB96_13 Depth=1
	s_or_b64 exec, exec, s[38:39]
.LBB96_17:                              ;   in Loop: Header=BB96_13 Depth=1
	s_andn2_saveexec_b64 s[6:7], s[6:7]
	s_cbranch_execz .LBB96_12
; %bb.18:                               ;   in Loop: Header=BB96_13 Depth=1
	global_load_dword v3, v[1:2], off
	s_waitcnt vmcnt(0)
	v_mad_i64_i32 v[3:4], s[38:39], v3, s43, 0
	v_lshlrev_b64 v[3:4], 1, v[3:4]
	v_add_co_u32_e32 v3, vcc, v39, v3
	v_addc_co_u32_e32 v4, vcc, v40, v4, vcc
	global_load_dwordx2 v[5:6], v[3:4], off
	global_load_dwordx2 v[31:32], v[3:4], off offset:512
	global_load_dwordx2 v[29:30], v[3:4], off offset:1024
	;; [unrolled: 1-line block ×3, first 2 shown]
	ds_read_b64 v[7:8], v42
	v_add_co_u32_e32 v51, vcc, s44, v3
	v_addc_co_u32_e32 v52, vcc, 0, v4, vcc
	s_waitcnt lgkmcnt(0)
	v_lshrrev_b32_e32 v54, 16, v7
	v_and_b32_e32 v53, 0xffff, v7
	v_lshrrev_b32_e32 v58, 16, v8
	v_and_b32_e32 v57, 0xffff, v8
	v_cmp_lt_i32_e32 vcc, v48, v49
	s_waitcnt vmcnt(3)
	v_lshrrev_b32_e32 v56, 16, v5
	v_and_b32_e32 v55, 0xffff, v5
	v_lshrrev_b32_e32 v60, 16, v6
	v_and_b32_e32 v59, 0xffff, v6
	global_load_dwordx2 v[25:26], v[3:4], off offset:2048
	global_load_dwordx2 v[23:24], v[3:4], off offset:2560
	global_load_dwordx2 v[21:22], v[3:4], off offset:3072
	global_load_dwordx2 v[19:20], v[3:4], off offset:3584
	global_load_dwordx2 v[17:18], v[51:52], off
	global_load_dwordx2 v[15:16], v[51:52], off offset:512
	global_load_dwordx2 v[13:14], v[51:52], off offset:1024
	;; [unrolled: 1-line block ×7, first 2 shown]
	;;#ASMSTART
	v_cvt_f32_f16 v53, v53;
	;;#ASMEND
	;;#ASMSTART
	v_cvt_f32_f16 v54, v54;
	;;#ASMEND
	;; [unrolled: 3-line block ×8, first 2 shown]
	ds_read_b64 v[51:52], v42 offset:8
	s_waitcnt lgkmcnt(0)
	v_and_b32_e32 v61, 0xffff, v51
	v_lshrrev_b32_e32 v51, 16, v51
	;;#ASMSTART
	v_cvt_f32_f16 v61, v61;
	;;#ASMEND
	;;#ASMSTART
	v_cvt_f32_f16 v62, v51;
	;;#ASMEND
	s_waitcnt vmcnt(14)
	v_and_b32_e32 v51, 0xffff, v31
	v_lshrrev_b32_e32 v31, 16, v31
	;;#ASMSTART
	v_cvt_f32_f16 v51, v51;
	;;#ASMEND
	;;#ASMSTART
	v_cvt_f32_f16 v31, v31;
	;;#ASMEND
	v_mul_f32_e32 v51, v61, v51
	v_mul_f32_e32 v31, v62, v31
	v_fmac_f32_e32 v51, v53, v55
	v_fmac_f32_e32 v31, v54, v56
	v_lshrrev_b32_e32 v53, 16, v52
	v_and_b32_e32 v52, 0xffff, v52
	v_and_b32_e32 v54, 0xffff, v32
	v_lshrrev_b32_e32 v32, 16, v32
	;;#ASMSTART
	v_cvt_f32_f16 v52, v52;
	;;#ASMEND
	;;#ASMSTART
	v_cvt_f32_f16 v53, v53;
	;;#ASMEND
	;; [unrolled: 3-line block ×4, first 2 shown]
	v_mul_f32_e32 v52, v52, v54
	v_mul_f32_e32 v32, v53, v32
	ds_read_b64 v[53:54], v42 offset:16
	s_waitcnt vmcnt(13)
	v_and_b32_e32 v56, 0xffff, v29
	v_lshrrev_b32_e32 v29, 16, v29
	v_fmac_f32_e32 v52, v57, v59
	v_fmac_f32_e32 v32, v58, v60
	s_waitcnt lgkmcnt(0)
	v_and_b32_e32 v55, 0xffff, v53
	v_lshrrev_b32_e32 v53, 16, v53
	;;#ASMSTART
	v_cvt_f32_f16 v55, v55;
	;;#ASMEND
	;;#ASMSTART
	v_cvt_f32_f16 v53, v53;
	;;#ASMEND
	;;#ASMSTART
	v_cvt_f32_f16 v56, v56;
	;;#ASMEND
	;;#ASMSTART
	v_cvt_f32_f16 v29, v29;
	;;#ASMEND
	v_fmac_f32_e32 v31, v53, v29
	v_and_b32_e32 v29, 0xffff, v54
	v_lshrrev_b32_e32 v53, 16, v54
	;;#ASMSTART
	v_cvt_f32_f16 v29, v29;
	;;#ASMEND
	v_and_b32_e32 v54, 0xffff, v30
	;;#ASMSTART
	v_cvt_f32_f16 v53, v53;
	;;#ASMEND
	;;#ASMSTART
	v_cvt_f32_f16 v54, v54;
	;;#ASMEND
	v_fmac_f32_e32 v52, v29, v54
	v_lshrrev_b32_e32 v29, 16, v30
	;;#ASMSTART
	v_cvt_f32_f16 v29, v29;
	;;#ASMEND
	v_fmac_f32_e32 v32, v53, v29
	ds_read_b64 v[29:30], v42 offset:24
	s_waitcnt vmcnt(12)
	v_and_b32_e32 v54, 0xffff, v27
	v_lshrrev_b32_e32 v27, 16, v27
	v_fmac_f32_e32 v51, v55, v56
	s_waitcnt lgkmcnt(0)
	v_and_b32_e32 v53, 0xffff, v29
	v_lshrrev_b32_e32 v29, 16, v29
	;;#ASMSTART
	v_cvt_f32_f16 v53, v53;
	;;#ASMEND
	;;#ASMSTART
	v_cvt_f32_f16 v29, v29;
	;;#ASMEND
	;;#ASMSTART
	v_cvt_f32_f16 v54, v54;
	;;#ASMEND
	;;#ASMSTART
	v_cvt_f32_f16 v27, v27;
	;;#ASMEND
	v_fmac_f32_e32 v31, v29, v27
	v_and_b32_e32 v27, 0xffff, v30
	v_lshrrev_b32_e32 v29, 16, v30
	;;#ASMSTART
	v_cvt_f32_f16 v27, v27;
	;;#ASMEND
	v_and_b32_e32 v30, 0xffff, v28
	;;#ASMSTART
	v_cvt_f32_f16 v29, v29;
	;;#ASMEND
	;;#ASMSTART
	v_cvt_f32_f16 v30, v30;
	;;#ASMEND
	v_fmac_f32_e32 v52, v27, v30
	v_lshrrev_b32_e32 v27, 16, v28
	;;#ASMSTART
	v_cvt_f32_f16 v27, v27;
	;;#ASMEND
	v_fmac_f32_e32 v32, v29, v27
	ds_read_b64 v[27:28], v42 offset:32
	s_waitcnt vmcnt(11)
	v_and_b32_e32 v30, 0xffff, v25
	v_lshrrev_b32_e32 v25, 16, v25
	;; [unrolled: 39-line block ×6, first 2 shown]
	v_fmac_f32_e32 v51, v23, v24
	s_waitcnt lgkmcnt(0)
	v_and_b32_e32 v21, 0xffff, v19
	v_lshrrev_b32_e32 v19, 16, v19
	;;#ASMSTART
	v_cvt_f32_f16 v21, v21;
	;;#ASMEND
	;;#ASMSTART
	v_cvt_f32_f16 v19, v19;
	;;#ASMEND
	;; [unrolled: 3-line block ×4, first 2 shown]
	v_fmac_f32_e32 v31, v19, v17
	v_lshrrev_b32_e32 v17, 16, v20
	v_and_b32_e32 v19, 0xffff, v20
	v_and_b32_e32 v20, 0xffff, v18
	v_lshrrev_b32_e32 v18, 16, v18
	;;#ASMSTART
	v_cvt_f32_f16 v19, v19;
	;;#ASMEND
	;;#ASMSTART
	v_cvt_f32_f16 v17, v17;
	;;#ASMEND
	;; [unrolled: 3-line block ×4, first 2 shown]
	v_fmac_f32_e32 v32, v17, v18
	ds_read_b64 v[17:18], v42 offset:72
	v_fmac_f32_e32 v52, v19, v20
	s_waitcnt vmcnt(6)
	v_and_b32_e32 v20, 0xffff, v15
	v_lshrrev_b32_e32 v15, 16, v15
	v_fmac_f32_e32 v51, v21, v22
	s_waitcnt lgkmcnt(0)
	v_and_b32_e32 v19, 0xffff, v17
	v_lshrrev_b32_e32 v17, 16, v17
	;;#ASMSTART
	v_cvt_f32_f16 v19, v19;
	;;#ASMEND
	;;#ASMSTART
	v_cvt_f32_f16 v17, v17;
	;;#ASMEND
	;; [unrolled: 3-line block ×4, first 2 shown]
	v_fmac_f32_e32 v31, v17, v15
	v_and_b32_e32 v15, 0xffff, v18
	v_lshrrev_b32_e32 v17, 16, v18
	;;#ASMSTART
	v_cvt_f32_f16 v15, v15;
	;;#ASMEND
	v_and_b32_e32 v18, 0xffff, v16
	;;#ASMSTART
	v_cvt_f32_f16 v17, v17;
	;;#ASMEND
	;;#ASMSTART
	v_cvt_f32_f16 v18, v18;
	;;#ASMEND
	v_fmac_f32_e32 v52, v15, v18
	v_lshrrev_b32_e32 v15, 16, v16
	;;#ASMSTART
	v_cvt_f32_f16 v15, v15;
	;;#ASMEND
	v_fmac_f32_e32 v32, v17, v15
	ds_read_b64 v[15:16], v42 offset:80
	s_waitcnt vmcnt(5)
	v_and_b32_e32 v18, 0xffff, v13
	v_lshrrev_b32_e32 v13, 16, v13
	v_fmac_f32_e32 v51, v19, v20
	s_waitcnt lgkmcnt(0)
	v_and_b32_e32 v17, 0xffff, v15
	v_lshrrev_b32_e32 v15, 16, v15
	;;#ASMSTART
	v_cvt_f32_f16 v17, v17;
	;;#ASMEND
	;;#ASMSTART
	v_cvt_f32_f16 v15, v15;
	;;#ASMEND
	;; [unrolled: 3-line block ×4, first 2 shown]
	v_fmac_f32_e32 v31, v15, v13
	v_and_b32_e32 v13, 0xffff, v16
	v_lshrrev_b32_e32 v15, 16, v16
	;;#ASMSTART
	v_cvt_f32_f16 v13, v13;
	;;#ASMEND
	v_and_b32_e32 v16, 0xffff, v14
	;;#ASMSTART
	v_cvt_f32_f16 v15, v15;
	;;#ASMEND
	;;#ASMSTART
	v_cvt_f32_f16 v16, v16;
	;;#ASMEND
	v_fmac_f32_e32 v52, v13, v16
	v_lshrrev_b32_e32 v13, 16, v14
	;;#ASMSTART
	v_cvt_f32_f16 v13, v13;
	;;#ASMEND
	v_fmac_f32_e32 v32, v15, v13
	ds_read_b64 v[13:14], v42 offset:88
	s_waitcnt vmcnt(4)
	v_and_b32_e32 v16, 0xffff, v11
	v_lshrrev_b32_e32 v11, 16, v11
	v_fmac_f32_e32 v51, v17, v18
	s_waitcnt lgkmcnt(0)
	v_and_b32_e32 v15, 0xffff, v13
	v_lshrrev_b32_e32 v13, 16, v13
	;;#ASMSTART
	v_cvt_f32_f16 v15, v15;
	;;#ASMEND
	;;#ASMSTART
	v_cvt_f32_f16 v13, v13;
	;;#ASMEND
	;; [unrolled: 3-line block ×4, first 2 shown]
	v_fmac_f32_e32 v31, v13, v11
	v_lshrrev_b32_e32 v13, 16, v14
	v_and_b32_e32 v11, 0xffff, v14
	v_lshrrev_b32_e32 v14, 16, v12
	v_and_b32_e32 v12, 0xffff, v12
	;;#ASMSTART
	v_cvt_f32_f16 v11, v11;
	;;#ASMEND
	;;#ASMSTART
	v_cvt_f32_f16 v13, v13;
	;;#ASMEND
	;; [unrolled: 3-line block ×4, first 2 shown]
	v_fmac_f32_e32 v52, v11, v12
	ds_read_b64 v[11:12], v42 offset:96
	v_fmac_f32_e32 v32, v13, v14
	s_waitcnt vmcnt(3)
	v_and_b32_e32 v14, 0xffff, v9
	v_lshrrev_b32_e32 v9, 16, v9
	v_fmac_f32_e32 v51, v15, v16
	s_waitcnt lgkmcnt(0)
	v_lshrrev_b32_e32 v13, 16, v11
	v_and_b32_e32 v11, 0xffff, v11
	;;#ASMSTART
	v_cvt_f32_f16 v11, v11;
	;;#ASMEND
	;;#ASMSTART
	v_cvt_f32_f16 v13, v13;
	;;#ASMEND
	;; [unrolled: 3-line block ×4, first 2 shown]
	v_fmac_f32_e32 v51, v11, v14
	v_fmac_f32_e32 v31, v13, v9
	v_lshrrev_b32_e32 v9, 16, v12
	v_and_b32_e32 v11, 0xffff, v12
	;;#ASMSTART
	v_cvt_f32_f16 v11, v11;
	;;#ASMEND
	;;#ASMSTART
	v_cvt_f32_f16 v12, v9;
	;;#ASMEND
	v_lshrrev_b32_e32 v9, 16, v10
	v_and_b32_e32 v10, 0xffff, v10
	;;#ASMSTART
	v_cvt_f32_f16 v13, v10;
	;;#ASMEND
	;;#ASMSTART
	v_cvt_f32_f16 v14, v9;
	;;#ASMEND
	ds_read_b64 v[9:10], v42 offset:104
	v_fmac_f32_e32 v52, v11, v13
	v_fmac_f32_e32 v32, v12, v14
	s_waitcnt vmcnt(2)
	v_lshrrev_b32_e32 v12, 16, v7
	v_and_b32_e32 v7, 0xffff, v7
	s_waitcnt lgkmcnt(0)
	v_lshrrev_b32_e32 v11, 16, v9
	v_and_b32_e32 v9, 0xffff, v9
	;;#ASMSTART
	v_cvt_f32_f16 v9, v9;
	;;#ASMEND
	;;#ASMSTART
	v_cvt_f32_f16 v11, v11;
	;;#ASMEND
	;;#ASMSTART
	v_cvt_f32_f16 v7, v7;
	;;#ASMEND
	v_fmac_f32_e32 v51, v9, v7
	v_lshrrev_b32_e32 v7, 16, v10
	v_and_b32_e32 v9, 0xffff, v10
	;;#ASMSTART
	v_cvt_f32_f16 v12, v12;
	;;#ASMEND
	;;#ASMSTART
	v_cvt_f32_f16 v9, v9;
	;;#ASMEND
	;; [unrolled: 3-line block ×3, first 2 shown]
	v_lshrrev_b32_e32 v7, 16, v8
	v_and_b32_e32 v8, 0xffff, v8
	;;#ASMSTART
	v_cvt_f32_f16 v13, v8;
	;;#ASMEND
	;;#ASMSTART
	v_cvt_f32_f16 v14, v7;
	;;#ASMEND
	ds_read_b64 v[7:8], v42 offset:112
	v_fmac_f32_e32 v31, v11, v12
	v_fmac_f32_e32 v52, v9, v13
	s_waitcnt vmcnt(1)
	v_lshrrev_b32_e32 v11, 16, v5
	v_and_b32_e32 v5, 0xffff, v5
	s_waitcnt lgkmcnt(0)
	v_lshrrev_b32_e32 v9, 16, v7
	v_and_b32_e32 v7, 0xffff, v7
	v_fmac_f32_e32 v32, v10, v14
	;;#ASMSTART
	v_cvt_f32_f16 v7, v7;
	;;#ASMEND
	;;#ASMSTART
	v_cvt_f32_f16 v9, v9;
	;;#ASMEND
	;; [unrolled: 3-line block ×3, first 2 shown]
	v_lshrrev_b32_e32 v5, 16, v8
	v_and_b32_e32 v8, 0xffff, v8
	;;#ASMSTART
	v_cvt_f32_f16 v11, v11;
	;;#ASMEND
	;;#ASMSTART
	v_cvt_f32_f16 v8, v8;
	;;#ASMEND
	;; [unrolled: 3-line block ×3, first 2 shown]
	v_lshrrev_b32_e32 v5, 16, v6
	v_and_b32_e32 v6, 0xffff, v6
	;;#ASMSTART
	v_cvt_f32_f16 v13, v6;
	;;#ASMEND
	;;#ASMSTART
	v_cvt_f32_f16 v14, v5;
	;;#ASMEND
	ds_read_b64 v[5:6], v42 offset:120
	v_fmac_f32_e32 v51, v7, v10
	v_fmac_f32_e32 v52, v8, v13
	s_waitcnt vmcnt(0)
	v_lshrrev_b32_e32 v8, 16, v3
	v_and_b32_e32 v3, 0xffff, v3
	s_waitcnt lgkmcnt(0)
	v_lshrrev_b32_e32 v7, 16, v5
	v_and_b32_e32 v5, 0xffff, v5
	;;#ASMSTART
	v_cvt_f32_f16 v5, v5;
	;;#ASMEND
	;;#ASMSTART
	v_cvt_f32_f16 v7, v7;
	;;#ASMEND
	;; [unrolled: 3-line block ×3, first 2 shown]
	v_fmac_f32_e32 v31, v9, v11
	v_fmac_f32_e32 v51, v5, v3
	v_and_b32_e32 v3, 0xffff, v6
	;;#ASMSTART
	v_cvt_f32_f16 v8, v8;
	;;#ASMEND
	v_fmac_f32_e32 v31, v7, v8
	v_lshrrev_b32_e32 v5, 16, v6
	;;#ASMSTART
	v_cvt_f32_f16 v3, v3;
	;;#ASMEND
	v_lshrrev_b32_e32 v6, 16, v4
	v_and_b32_e32 v4, 0xffff, v4
	v_fmac_f32_e32 v32, v12, v14
	;;#ASMSTART
	v_cvt_f32_f16 v5, v5;
	;;#ASMEND
	;;#ASMSTART
	v_cvt_f32_f16 v4, v4;
	;;#ASMEND
	v_fmac_f32_e32 v52, v3, v4
	v_add_f32_e32 v3, v51, v31
	;;#ASMSTART
	v_cvt_f32_f16 v6, v6;
	;;#ASMEND
	v_fmac_f32_e32 v32, v5, v6
	v_add_f32_e32 v3, v3, v52
	v_cndmask_b32_e32 v4, v47, v48, vcc
	v_add_f32_e32 v3, v32, v3
	v_lshlrev_b32_e32 v4, 2, v4
	ds_bpermute_b32 v4, v4, v3
	s_and_saveexec_b64 s[38:39], s[2:3]
	s_cbranch_execz .LBB96_11
; %bb.19:                               ;   in Loop: Header=BB96_13 Depth=1
	v_add_u32_e32 v5, v45, v44
	v_cvt_f32_i32_e32 v5, v5
	s_waitcnt lgkmcnt(0)
	v_add_f32_e32 v3, v3, v4
	v_add_u32_e32 v6, v38, v44
	v_cmp_gt_i32_e32 vcc, s33, v6
	v_mul_f32_e32 v4, s42, v5
	v_cndmask_b32_e64 v4, 0, v4, s[4:5]
	v_fmac_f32_e32 v4, s31, v3
	v_cndmask_b32_e32 v3, 0, v4, vcc
	ds_write_b32 v46, v3
	v_max_f32_e32 v3, v41, v41
	v_max_f32_e32 v3, v3, v4
	v_cndmask_b32_e32 v41, v41, v3, vcc
	s_branch .LBB96_11
.LBB96_20:
	s_or_b64 exec, exec, s[36:37]
.LBB96_21:
	s_or_b64 exec, exec, s[34:35]
	v_mbcnt_hi_u32_b32 v1, -1, v37
	v_and_b32_e32 v8, 64, v1
	v_add_u32_e32 v11, 64, v8
	v_xor_b32_e32 v2, 32, v1
	v_cmp_lt_i32_e32 vcc, v2, v11
	v_cndmask_b32_e32 v2, v1, v2, vcc
	v_lshlrev_b32_e32 v2, 2, v2
	ds_bpermute_b32 v3, v2, v41
	v_xor_b32_e32 v5, 16, v1
	s_waitcnt lgkmcnt(1)
	v_max_f32_e32 v4, v41, v41
	v_cmp_lt_i32_e32 vcc, v5, v11
	v_xor_b32_e32 v6, 8, v1
	s_waitcnt lgkmcnt(0)
	v_max_f32_e32 v3, v3, v3
	v_max_f32_e32 v4, v4, v3
	v_cndmask_b32_e32 v3, v1, v5, vcc
	v_lshlrev_b32_e32 v3, 2, v3
	ds_bpermute_b32 v5, v3, v4
	v_cmp_lt_i32_e32 vcc, v6, v11
	v_xor_b32_e32 v7, 4, v1
	v_xor_b32_e32 v9, 2, v1
	s_waitcnt lgkmcnt(0)
	v_max_f32_e32 v5, v5, v5
	v_max_f32_e32 v5, v4, v5
	v_cndmask_b32_e32 v4, v1, v6, vcc
	v_lshlrev_b32_e32 v4, 2, v4
	ds_bpermute_b32 v6, v4, v5
	v_cmp_lt_i32_e32 vcc, v7, v11
	s_waitcnt lgkmcnt(0)
	v_max_f32_e32 v6, v6, v6
	v_max_f32_e32 v6, v5, v6
	v_cndmask_b32_e32 v5, v1, v7, vcc
	v_lshlrev_b32_e32 v5, 2, v5
	ds_bpermute_b32 v7, v5, v6
	v_cmp_lt_i32_e32 vcc, v9, v11
	s_waitcnt lgkmcnt(0)
	v_max_f32_e32 v7, v7, v7
	v_max_f32_e32 v7, v6, v7
	v_cndmask_b32_e32 v6, v1, v9, vcc
	v_lshlrev_b32_e32 v10, 2, v6
	ds_bpermute_b32 v12, v10, v7
	v_and_b32_e32 v9, 63, v0
	v_cmp_eq_u32_e32 vcc, 0, v9
	v_lshlrev_b32_e32 v6, 2, v33
	s_and_saveexec_b64 s[2:3], vcc
	s_cbranch_execz .LBB96_23
; %bb.22:
	s_waitcnt lgkmcnt(0)
	v_max_f32_e32 v12, v12, v12
	v_max_f32_e32 v7, v7, v7
	v_max_f32_e32 v7, v7, v12
	ds_write_b32 v6, v7 offset:256
.LBB96_23:
	s_or_b64 exec, exec, s[2:3]
	v_cmp_gt_u32_e64 s[2:3], 2, v9
	s_waitcnt lgkmcnt(0)
	v_mov_b32_e32 v12, 0xff7fffff
	v_lshlrev_b32_e32 v7, 2, v9
	s_barrier
	s_and_saveexec_b64 s[4:5], s[2:3]
; %bb.24:
	ds_read_b32 v12, v7 offset:256
; %bb.25:
	s_or_b64 exec, exec, s[4:5]
	v_xor_b32_e32 v13, 1, v1
	v_cmp_lt_i32_e64 s[4:5], v13, v11
	v_cndmask_b32_e64 v11, v1, v13, s[4:5]
	v_lshlrev_b32_e32 v11, 2, v11
	s_waitcnt lgkmcnt(0)
	ds_bpermute_b32 v13, v11, v12
	v_max_f32_e32 v12, v12, v12
	v_lshlrev_b32_e32 v8, 2, v8
	s_lshl_b32 s4, s16, 5
	s_min_i32 s15, s4, s33
	s_waitcnt lgkmcnt(0)
	v_max_f32_e32 v13, v13, v13
	v_max_f32_e32 v12, v12, v13
	ds_bpermute_b32 v12, v8, v12
	v_cmp_gt_i32_e64 s[4:5], s15, v0
	v_mov_b32_e32 v8, 0
	s_and_saveexec_b64 s[30:31], s[4:5]
	s_cbranch_execz .LBB96_29
; %bb.26:
	v_mov_b32_e32 v8, 0x110
	v_lshl_add_u32 v13, v0, 2, v8
	v_mov_b32_e32 v8, 0
	s_mov_b64 s[34:35], 0
	v_mov_b32_e32 v14, v0
.LBB96_27:                              ; =>This Inner Loop Header: Depth=1
	ds_read_b32 v15, v13
	v_add_u32_e32 v14, 0x80, v14
	v_cmp_le_i32_e64 s[6:7], s15, v14
	s_or_b64 s[34:35], s[6:7], s[34:35]
	s_waitcnt lgkmcnt(0)
	v_sub_f32_e32 v15, v15, v12
	v_mul_f32_e32 v15, 0x3fb8aa3b, v15
	v_exp_f32_e32 v15, v15
	ds_write_b32 v13, v15
	v_add_f32_e32 v8, v8, v15
	v_add_u32_e32 v13, 0x200, v13
	s_andn2_b64 exec, exec, s[34:35]
	s_cbranch_execnz .LBB96_27
; %bb.28:
	s_or_b64 exec, exec, s[34:35]
.LBB96_29:
	s_or_b64 exec, exec, s[30:31]
	ds_bpermute_b32 v2, v2, v8
	s_waitcnt lgkmcnt(0)
	v_add_f32_e32 v2, v8, v2
	ds_bpermute_b32 v3, v3, v2
	s_waitcnt lgkmcnt(0)
	v_add_f32_e32 v2, v2, v3
	;; [unrolled: 3-line block ×6, first 2 shown]
	s_and_saveexec_b64 s[6:7], vcc
; %bb.30:
	ds_write_b32 v6, v2 offset:264
; %bb.31:
	s_or_b64 exec, exec, s[6:7]
	s_waitcnt lgkmcnt(0)
	s_barrier
	s_and_saveexec_b64 s[6:7], s[2:3]
; %bb.32:
	ds_read_b32 v2, v7 offset:264
; %bb.33:
	s_or_b64 exec, exec, s[6:7]
	s_waitcnt lgkmcnt(0)
	ds_bpermute_b32 v3, v11, v2
	v_lshlrev_b32_e32 v1, 2, v1
	v_and_b32_e32 v1, 0x100, v1
	s_waitcnt lgkmcnt(0)
	v_add_f32_e32 v2, v2, v3
	ds_bpermute_b32 v1, v1, v2
	s_and_saveexec_b64 s[2:3], s[4:5]
	s_cbranch_execz .LBB96_36
; %bb.34:
	s_waitcnt lgkmcnt(0)
	v_add_f32_e32 v2, 0x358637bd, v1
	v_div_scale_f32 v1, s[4:5], v2, v2, 1.0
	v_div_scale_f32 v3, vcc, 1.0, v2, 1.0
	s_mov_b64 s[4:5], 0
	v_rcp_f32_e32 v4, v1
	v_fma_f32 v5, -v1, v4, 1.0
	v_fmac_f32_e32 v4, v5, v4
	v_mul_f32_e32 v5, v3, v4
	v_fma_f32 v6, -v1, v5, v3
	v_fmac_f32_e32 v5, v6, v4
	v_fma_f32 v1, -v1, v5, v3
	v_div_fmas_f32 v3, v1, v4, v5
	v_mov_b32_e32 v1, 0x110
	v_lshl_add_u32 v1, v0, 2, v1
	v_div_fixup_f32 v2, v3, v2, 1.0
	v_mov_b32_e32 v3, v0
.LBB96_35:                              ; =>This Inner Loop Header: Depth=1
	ds_read_b32 v4, v1
	v_add_u32_e32 v3, 0x80, v3
	v_cmp_le_i32_e32 vcc, s15, v3
	s_or_b64 s[4:5], vcc, s[4:5]
	s_waitcnt lgkmcnt(0)
	v_mul_f32_e32 v4, v2, v4
	ds_write_b32 v1, v4
	v_add_u32_e32 v1, 0x200, v1
	s_andn2_b64 exec, exec, s[4:5]
	s_cbranch_execnz .LBB96_35
.LBB96_36:
	s_or_b64 exec, exec, s[2:3]
	v_mov_b32_e32 v19, 0
	v_and_b32_e32 v12, 3, v0
	v_mov_b32_e32 v20, 0
	v_mov_b32_e32 v18, 0
	;; [unrolled: 1-line block ×7, first 2 shown]
	s_waitcnt lgkmcnt(0)
	s_barrier
	s_and_saveexec_b64 s[2:3], s[0:1]
	s_cbranch_execz .LBB96_58
; %bb.37:
	s_ashr_i32 s15, s14, 31
	s_sub_i32 s17, s12, s17
	s_lshl_b64 s[0:1], s[14:15], 1
	s_add_u32 s0, s28, s0
	s_addc_u32 s1, s29, s1
	s_abs_i32 s14, s18
	v_cvt_f32_u32_e32 v1, s14
	s_sub_i32 s4, 0, s14
	v_lshlrev_b32_e32 v2, 4, v0
	v_and_b32_e32 v2, 0x3f0, v2
	v_rcp_iflag_f32_e32 v1, v1
	s_add_i32 s18, s16, -1
	v_mov_b32_e32 v5, s1
	v_add_co_u32_e32 v23, vcc, s0, v2
	v_mul_f32_e32 v1, 0x4f7ffffe, v1
	v_cvt_u32_f32_e32 v1, v1
	s_lshl_b64 s[0:1], s[26:27], 2
	s_add_u32 s0, s24, s0
	v_and_b32_e32 v3, 60, v36
	v_mul_lo_u32 v4, s4, v1
	v_addc_co_u32_e32 v24, vcc, 0, v5, vcc
	s_addc_u32 s1, s25, s1
	v_mul_hi_u32 v4, v1, v4
	v_add_co_u32_e32 v5, vcc, s0, v3
	v_and_b32_e32 v21, 24, v35
	v_add_u32_e32 v25, v1, v4
	v_mov_b32_e32 v1, s1
	v_addc_co_u32_e32 v6, vcc, 0, v1, vcc
	v_lshlrev_b32_e32 v1, 5, v12
	v_lshl_or_b32 v1, v33, 7, v1
	s_mov_b32 s15, s13
	v_mov_b32_e32 v22, 0
	v_add_u32_e32 v26, 0x110, v1
	s_mov_b64 s[4:5], 0
	s_mov_b32 s24, 0xffff
	v_mov_b32_e32 v13, 0
	v_mov_b32_e32 v14, 0
	;; [unrolled: 1-line block ×8, first 2 shown]
	s_branch .LBB96_40
.LBB96_38:                              ;   in Loop: Header=BB96_40 Depth=1
	s_or_b64 exec, exec, s[12:13]
	v_add_f32_e32 v27, v53, v55
	v_add_f32_e32 v14, v14, v27
	;; [unrolled: 1-line block ×14, first 2 shown]
	v_lshlrev_b32_e32 v27, 16, v54
	v_and_or_b32 v1, v1, s24, v27
	v_lshlrev_b32_e32 v8, 16, v8
	v_lshlrev_b32_e32 v7, 16, v7
	v_and_or_b32 v2, v2, s24, v8
	v_and_or_b32 v3, v3, s24, v7
	;;#ASMSTART
	v_pk_mul_f16 v1, v38, v1;

	;;#ASMEND
	;;#ASMSTART
	v_pk_mul_f16 v2, v39, v2;

	;;#ASMEND
	;; [unrolled: 4-line block ×4, first 2 shown]
	;;#ASMSTART
	v_pk_add_f16 v1, v1, v2;

	;;#ASMEND
	;;#ASMSTART
	v_pk_add_f16 v1, v1, v3;

	;;#ASMEND
	;; [unrolled: 4-line block ×3, first 2 shown]
	v_lshrrev_b32_e32 v2, 16, v1
	v_and_b32_e32 v1, 0xffff, v1
	;;#ASMSTART
	v_cvt_f32_f16 v1, v1;
	;;#ASMEND
	;;#ASMSTART
	v_cvt_f32_f16 v2, v2;
	;;#ASMEND
	v_add_f32_e32 v1, v1, v2
	v_add_f32_e32 v13, v13, v1
.LBB96_39:                              ;   in Loop: Header=BB96_40 Depth=1
	s_or_b64 exec, exec, s[6:7]
	v_add_co_u32_e32 v5, vcc, 8, v5
	v_add_u32_e32 v33, 2, v33
	v_addc_co_u32_e32 v6, vcc, 0, v6, vcc
	v_cmp_le_i32_e32 vcc, s16, v33
	v_add_u32_e32 v34, 64, v34
	s_or_b64 s[4:5], vcc, s[4:5]
	v_add_u32_e32 v26, 0x100, v26
	s_andn2_b64 exec, exec, s[4:5]
	s_cbranch_execz .LBB96_57
.LBB96_40:                              ; =>This Inner Loop Header: Depth=1
	v_mul_hi_u32 v1, v34, s40
	v_mul_lo_u32 v2, v1, s21
	v_add_u32_e32 v3, 1, v1
	v_sub_u32_e32 v2, v34, v2
	v_cmp_le_u32_e32 vcc, s21, v2
	v_cndmask_b32_e32 v1, v1, v3, vcc
	v_subrev_u32_e32 v3, s21, v2
	v_cndmask_b32_e32 v2, v2, v3, vcc
	v_add_u32_e32 v3, 1, v1
	v_cmp_le_u32_e32 vcc, s21, v2
	v_cndmask_b32_e32 v1, v1, v3, vcc
	v_xor_b32_e32 v1, s19, v1
	v_subrev_u32_e32 v1, s19, v1
	v_add_u32_e32 v2, s41, v1
	v_sub_u32_e32 v3, 0, v2
	v_max_i32_e32 v3, v2, v3
	v_mul_hi_u32 v4, v3, v25
	v_ashrrev_i32_e32 v2, 31, v2
	v_cmp_lt_i32_e64 s[0:1], s17, v1
	v_mul_lo_u32 v4, v4, s14
	v_sub_u32_e32 v3, v3, v4
	v_subrev_u32_e32 v4, s14, v3
	v_cmp_le_u32_e32 vcc, s14, v3
	v_cndmask_b32_e32 v3, v3, v4, vcc
	v_subrev_u32_e32 v4, s14, v3
	v_cmp_le_u32_e32 vcc, s14, v3
	v_cndmask_b32_e32 v3, v3, v4, vcc
	v_xor_b32_e32 v3, v3, v2
	v_sub_u32_e32 v2, v3, v2
	v_cmp_eq_u32_e32 vcc, 0, v2
	s_or_b64 s[0:1], vcc, s[0:1]
	s_and_saveexec_b64 s[6:7], s[0:1]
	s_cbranch_execz .LBB96_39
; %bb.41:                               ;   in Loop: Header=BB96_40 Depth=1
	global_load_dword v7, v[5:6], off
	ds_read2_b64 v[1:4], v26 offset1:1
	ds_read2_b64 v[27:30], v26 offset0:2 offset1:3
	s_waitcnt lgkmcnt(1)
	;;#ASMSTART
	v_cvt_f16_f32 v37, v1;

	;;#ASMEND
	;;#ASMSTART
	v_cvt_f16_f32 v38, v2;

	;;#ASMEND
	;; [unrolled: 4-line block ×4, first 2 shown]
	s_waitcnt lgkmcnt(0)
	;;#ASMSTART
	v_cvt_f16_f32 v41, v27;

	;;#ASMEND
	;;#ASMSTART
	v_cvt_f16_f32 v42, v28;

	;;#ASMEND
	;; [unrolled: 4-line block ×4, first 2 shown]
	v_add_u32_e32 v27, v21, v34
	v_add_u32_e32 v36, 1, v27
	;; [unrolled: 1-line block ×8, first 2 shown]
	s_waitcnt vmcnt(0)
	v_mad_i64_i32 v[1:2], s[0:1], v7, s15, 0
	v_cmp_eq_u32_e64 s[0:1], s18, v33
	v_lshlrev_b64 v[1:2], 1, v[1:2]
	v_add_co_u32_e32 v7, vcc, v23, v1
	v_addc_co_u32_e32 v8, vcc, v24, v2, vcc
	global_load_dwordx4 v[1:4], v[7:8], off
	s_waitcnt vmcnt(0)
	v_lshrrev_b32_e32 v47, 16, v1
	v_lshrrev_b32_e32 v46, 16, v2
	;; [unrolled: 1-line block ×3, first 2 shown]
	s_and_saveexec_b64 s[12:13], s[0:1]
	s_cbranch_execz .LBB96_43
; %bb.42:                               ;   in Loop: Header=BB96_40 Depth=1
	v_cmp_gt_i32_e32 vcc, s33, v27
	v_cndmask_b32_e32 v1, 0, v1, vcc
	v_cmp_gt_i32_e32 vcc, s33, v36
	v_cndmask_b32_e32 v47, 0, v47, vcc
	;; [unrolled: 2-line block ×6, first 2 shown]
	v_cmp_gt_i32_e32 vcc, s33, v29
	v_cndmask_b32_sdwa v48, v22, v4, vcc dst_sel:DWORD dst_unused:UNUSED_PAD src0_sel:DWORD src1_sel:WORD_0
	v_and_b32_e32 v4, 0xffff0000, v4
	v_cmp_gt_i32_e32 vcc, s33, v28
	v_cndmask_b32_e32 v4, 0, v4, vcc
	v_or_b32_e32 v4, v48, v4
.LBB96_43:                              ;   in Loop: Header=BB96_40 Depth=1
	s_or_b64 exec, exec, s[12:13]
	v_and_b32_e32 v37, 0xffff, v37
	v_lshl_or_b32 v38, v38, 16, v37
	v_and_b32_e32 v37, 0xffff, v39
	v_lshl_or_b32 v39, v40, 16, v37
	v_and_b32_e32 v37, 0xffff, v41
	v_lshlrev_b32_e32 v41, 16, v47
	v_and_or_b32 v1, v1, s24, v41
	v_lshlrev_b32_e32 v41, 16, v46
	v_and_or_b32 v2, v2, s24, v41
	v_lshlrev_b32_e32 v41, 16, v45
	v_lshl_or_b32 v40, v42, 16, v37
	v_and_b32_e32 v37, 0xffff, v43
	v_and_or_b32 v3, v3, s24, v41
	;;#ASMSTART
	v_pk_mul_f16 v1, v38, v1;

	;;#ASMEND
	v_lshl_or_b32 v37, v44, 16, v37
	;;#ASMSTART
	v_pk_mul_f16 v2, v39, v2;

	;;#ASMEND
	;;#ASMSTART
	v_pk_mul_f16 v3, v40, v3;

	;;#ASMEND
	;; [unrolled: 4-line block ×3, first 2 shown]
	;;#ASMSTART
	v_pk_add_f16 v1, v1, v2;

	;;#ASMEND
	;;#ASMSTART
	v_pk_add_f16 v1, v1, v3;

	;;#ASMEND
	;; [unrolled: 4-line block ×3, first 2 shown]
	v_lshrrev_b32_e32 v2, 16, v1
	v_and_b32_e32 v1, 0xffff, v1
	;;#ASMSTART
	v_cvt_f32_f16 v41, v1;
	;;#ASMEND
	;;#ASMSTART
	v_cvt_f32_f16 v42, v2;
	;;#ASMEND
	global_load_dwordx4 v[1:4], v[7:8], off offset:1024
	s_waitcnt vmcnt(0)
	v_lshrrev_b32_e32 v45, 16, v1
	v_lshrrev_b32_e32 v44, 16, v2
	;; [unrolled: 1-line block ×3, first 2 shown]
	s_and_saveexec_b64 s[12:13], s[0:1]
	s_cbranch_execz .LBB96_45
; %bb.44:                               ;   in Loop: Header=BB96_40 Depth=1
	v_cmp_gt_i32_e32 vcc, s33, v27
	v_cndmask_b32_e32 v1, 0, v1, vcc
	v_cmp_gt_i32_e32 vcc, s33, v36
	v_cndmask_b32_e32 v45, 0, v45, vcc
	;; [unrolled: 2-line block ×6, first 2 shown]
	v_cmp_gt_i32_e32 vcc, s33, v29
	v_cndmask_b32_sdwa v46, v22, v4, vcc dst_sel:DWORD dst_unused:UNUSED_PAD src0_sel:DWORD src1_sel:WORD_0
	v_and_b32_e32 v4, 0xffff0000, v4
	v_cmp_gt_i32_e32 vcc, s33, v28
	v_cndmask_b32_e32 v4, 0, v4, vcc
	v_or_b32_e32 v4, v46, v4
.LBB96_45:                              ;   in Loop: Header=BB96_40 Depth=1
	s_or_b64 exec, exec, s[12:13]
	v_lshlrev_b32_e32 v45, 16, v45
	v_and_or_b32 v1, v1, s24, v45
	v_lshlrev_b32_e32 v44, 16, v44
	v_lshlrev_b32_e32 v43, 16, v43
	v_and_or_b32 v2, v2, s24, v44
	v_and_or_b32 v3, v3, s24, v43
	;;#ASMSTART
	v_pk_mul_f16 v1, v38, v1;

	;;#ASMEND
	;;#ASMSTART
	v_pk_mul_f16 v2, v39, v2;

	;;#ASMEND
	;; [unrolled: 4-line block ×4, first 2 shown]
	;;#ASMSTART
	v_pk_add_f16 v1, v1, v2;

	;;#ASMEND
	;;#ASMSTART
	v_pk_add_f16 v1, v1, v3;

	;;#ASMEND
	;; [unrolled: 4-line block ×3, first 2 shown]
	v_lshrrev_b32_e32 v2, 16, v1
	v_and_b32_e32 v1, 0xffff, v1
	;;#ASMSTART
	v_cvt_f32_f16 v43, v1;
	;;#ASMEND
	;;#ASMSTART
	v_cvt_f32_f16 v44, v2;
	;;#ASMEND
	global_load_dwordx4 v[1:4], v[7:8], off offset:2048
	s_waitcnt vmcnt(0)
	v_lshrrev_b32_e32 v47, 16, v1
	v_lshrrev_b32_e32 v46, 16, v2
	;; [unrolled: 1-line block ×3, first 2 shown]
	s_and_saveexec_b64 s[12:13], s[0:1]
	s_cbranch_execz .LBB96_47
; %bb.46:                               ;   in Loop: Header=BB96_40 Depth=1
	v_cmp_gt_i32_e32 vcc, s33, v27
	v_cndmask_b32_e32 v1, 0, v1, vcc
	v_cmp_gt_i32_e32 vcc, s33, v36
	v_cndmask_b32_e32 v47, 0, v47, vcc
	v_cmp_gt_i32_e32 vcc, s33, v35
	v_cndmask_b32_e32 v2, 0, v2, vcc
	v_cmp_gt_i32_e32 vcc, s33, v32
	v_cndmask_b32_e32 v46, 0, v46, vcc
	v_cmp_gt_i32_e32 vcc, s33, v31
	v_cndmask_b32_e32 v3, 0, v3, vcc
	v_cmp_gt_i32_e32 vcc, s33, v30
	v_cndmask_b32_e32 v45, 0, v45, vcc
	v_cmp_gt_i32_e32 vcc, s33, v29
	v_cndmask_b32_sdwa v48, v22, v4, vcc dst_sel:DWORD dst_unused:UNUSED_PAD src0_sel:DWORD src1_sel:WORD_0
	v_and_b32_e32 v4, 0xffff0000, v4
	v_cmp_gt_i32_e32 vcc, s33, v28
	v_cndmask_b32_e32 v4, 0, v4, vcc
	v_or_b32_e32 v4, v48, v4
.LBB96_47:                              ;   in Loop: Header=BB96_40 Depth=1
	s_or_b64 exec, exec, s[12:13]
	v_lshlrev_b32_e32 v47, 16, v47
	v_and_or_b32 v1, v1, s24, v47
	v_lshlrev_b32_e32 v46, 16, v46
	v_lshlrev_b32_e32 v45, 16, v45
	v_and_or_b32 v2, v2, s24, v46
	v_and_or_b32 v3, v3, s24, v45
	;;#ASMSTART
	v_pk_mul_f16 v1, v38, v1;

	;;#ASMEND
	;;#ASMSTART
	v_pk_mul_f16 v2, v39, v2;

	;;#ASMEND
	;; [unrolled: 4-line block ×4, first 2 shown]
	;;#ASMSTART
	v_pk_add_f16 v1, v1, v2;

	;;#ASMEND
	;;#ASMSTART
	v_pk_add_f16 v1, v1, v3;

	;;#ASMEND
	;; [unrolled: 4-line block ×3, first 2 shown]
	v_lshrrev_b32_e32 v2, 16, v1
	v_and_b32_e32 v1, 0xffff, v1
	;;#ASMSTART
	v_cvt_f32_f16 v45, v1;
	;;#ASMEND
	;;#ASMSTART
	v_cvt_f32_f16 v46, v2;
	;;#ASMEND
	global_load_dwordx4 v[1:4], v[7:8], off offset:3072
	s_waitcnt vmcnt(0)
	v_lshrrev_b32_e32 v49, 16, v1
	v_lshrrev_b32_e32 v48, 16, v2
	;; [unrolled: 1-line block ×3, first 2 shown]
	s_and_saveexec_b64 s[12:13], s[0:1]
	s_cbranch_execz .LBB96_49
; %bb.48:                               ;   in Loop: Header=BB96_40 Depth=1
	v_cmp_gt_i32_e32 vcc, s33, v27
	v_cndmask_b32_e32 v1, 0, v1, vcc
	v_cmp_gt_i32_e32 vcc, s33, v36
	v_cndmask_b32_e32 v49, 0, v49, vcc
	;; [unrolled: 2-line block ×6, first 2 shown]
	v_cmp_gt_i32_e32 vcc, s33, v29
	v_cndmask_b32_sdwa v50, v22, v4, vcc dst_sel:DWORD dst_unused:UNUSED_PAD src0_sel:DWORD src1_sel:WORD_0
	v_and_b32_e32 v4, 0xffff0000, v4
	v_cmp_gt_i32_e32 vcc, s33, v28
	v_cndmask_b32_e32 v4, 0, v4, vcc
	v_or_b32_e32 v4, v50, v4
.LBB96_49:                              ;   in Loop: Header=BB96_40 Depth=1
	s_or_b64 exec, exec, s[12:13]
	v_lshlrev_b32_e32 v49, 16, v49
	v_and_or_b32 v1, v1, s24, v49
	v_lshlrev_b32_e32 v48, 16, v48
	v_lshlrev_b32_e32 v47, 16, v47
	v_and_or_b32 v2, v2, s24, v48
	v_and_or_b32 v3, v3, s24, v47
	;;#ASMSTART
	v_pk_mul_f16 v1, v38, v1;

	;;#ASMEND
	;;#ASMSTART
	v_pk_mul_f16 v2, v39, v2;

	;;#ASMEND
	;;#ASMSTART
	v_pk_mul_f16 v3, v40, v3;

	;;#ASMEND
	;;#ASMSTART
	v_pk_mul_f16 v4, v37, v4;

	;;#ASMEND
	;;#ASMSTART
	v_pk_add_f16 v1, v1, v2;

	;;#ASMEND
	;;#ASMSTART
	v_pk_add_f16 v1, v1, v3;

	;;#ASMEND
	;; [unrolled: 4-line block ×3, first 2 shown]
	v_lshrrev_b32_e32 v2, 16, v1
	v_and_b32_e32 v1, 0xffff, v1
	;;#ASMSTART
	v_cvt_f32_f16 v47, v1;
	;;#ASMEND
	v_add_co_u32_e32 v1, vcc, 0x1000, v7
	;;#ASMSTART
	v_cvt_f32_f16 v48, v2;
	;;#ASMEND
	v_addc_co_u32_e32 v2, vcc, 0, v8, vcc
	global_load_dwordx4 v[1:4], v[1:2], off
	s_waitcnt vmcnt(0)
	v_lshrrev_b32_e32 v51, 16, v1
	v_lshrrev_b32_e32 v50, 16, v2
	;; [unrolled: 1-line block ×3, first 2 shown]
	s_and_saveexec_b64 s[12:13], s[0:1]
	s_cbranch_execz .LBB96_51
; %bb.50:                               ;   in Loop: Header=BB96_40 Depth=1
	v_cmp_gt_i32_e32 vcc, s33, v27
	v_cndmask_b32_e32 v1, 0, v1, vcc
	v_cmp_gt_i32_e32 vcc, s33, v36
	v_cndmask_b32_e32 v51, 0, v51, vcc
	;; [unrolled: 2-line block ×6, first 2 shown]
	v_cmp_gt_i32_e32 vcc, s33, v29
	v_cndmask_b32_sdwa v52, v22, v4, vcc dst_sel:DWORD dst_unused:UNUSED_PAD src0_sel:DWORD src1_sel:WORD_0
	v_and_b32_e32 v4, 0xffff0000, v4
	v_cmp_gt_i32_e32 vcc, s33, v28
	v_cndmask_b32_e32 v4, 0, v4, vcc
	v_or_b32_e32 v4, v52, v4
.LBB96_51:                              ;   in Loop: Header=BB96_40 Depth=1
	s_or_b64 exec, exec, s[12:13]
	v_lshlrev_b32_e32 v51, 16, v51
	v_and_or_b32 v1, v1, s24, v51
	v_lshlrev_b32_e32 v50, 16, v50
	v_lshlrev_b32_e32 v49, 16, v49
	v_and_or_b32 v2, v2, s24, v50
	v_and_or_b32 v3, v3, s24, v49
	;;#ASMSTART
	v_pk_mul_f16 v1, v38, v1;

	;;#ASMEND
	;;#ASMSTART
	v_pk_mul_f16 v2, v39, v2;

	;;#ASMEND
	;; [unrolled: 4-line block ×4, first 2 shown]
	;;#ASMSTART
	v_pk_add_f16 v1, v1, v2;

	;;#ASMEND
	;;#ASMSTART
	v_pk_add_f16 v1, v1, v3;

	;;#ASMEND
	;; [unrolled: 4-line block ×3, first 2 shown]
	v_lshrrev_b32_e32 v2, 16, v1
	v_and_b32_e32 v1, 0xffff, v1
	;;#ASMSTART
	v_cvt_f32_f16 v49, v1;
	;;#ASMEND
	v_add_co_u32_e32 v1, vcc, 0x1000, v7
	;;#ASMSTART
	v_cvt_f32_f16 v50, v2;
	;;#ASMEND
	v_addc_co_u32_e32 v2, vcc, 0, v8, vcc
	global_load_dwordx4 v[1:4], v[1:2], off offset:1024
	s_waitcnt vmcnt(0)
	v_lshrrev_b32_e32 v53, 16, v1
	v_lshrrev_b32_e32 v52, 16, v2
	;; [unrolled: 1-line block ×3, first 2 shown]
	s_and_saveexec_b64 s[12:13], s[0:1]
	s_cbranch_execz .LBB96_53
; %bb.52:                               ;   in Loop: Header=BB96_40 Depth=1
	v_cmp_gt_i32_e32 vcc, s33, v27
	v_cndmask_b32_e32 v1, 0, v1, vcc
	v_cmp_gt_i32_e32 vcc, s33, v36
	v_cndmask_b32_e32 v53, 0, v53, vcc
	;; [unrolled: 2-line block ×6, first 2 shown]
	v_cmp_gt_i32_e32 vcc, s33, v29
	v_cndmask_b32_sdwa v54, v22, v4, vcc dst_sel:DWORD dst_unused:UNUSED_PAD src0_sel:DWORD src1_sel:WORD_0
	v_and_b32_e32 v4, 0xffff0000, v4
	v_cmp_gt_i32_e32 vcc, s33, v28
	v_cndmask_b32_e32 v4, 0, v4, vcc
	v_or_b32_e32 v4, v54, v4
.LBB96_53:                              ;   in Loop: Header=BB96_40 Depth=1
	s_or_b64 exec, exec, s[12:13]
	v_lshlrev_b32_e32 v53, 16, v53
	v_and_or_b32 v1, v1, s24, v53
	v_lshlrev_b32_e32 v52, 16, v52
	v_lshlrev_b32_e32 v51, 16, v51
	v_and_or_b32 v2, v2, s24, v52
	v_and_or_b32 v3, v3, s24, v51
	;;#ASMSTART
	v_pk_mul_f16 v1, v38, v1;

	;;#ASMEND
	;;#ASMSTART
	v_pk_mul_f16 v2, v39, v2;

	;;#ASMEND
	;; [unrolled: 4-line block ×4, first 2 shown]
	;;#ASMSTART
	v_pk_add_f16 v1, v1, v2;

	;;#ASMEND
	;;#ASMSTART
	v_pk_add_f16 v1, v1, v3;

	;;#ASMEND
	;; [unrolled: 4-line block ×3, first 2 shown]
	v_lshrrev_b32_e32 v2, 16, v1
	v_and_b32_e32 v1, 0xffff, v1
	;;#ASMSTART
	v_cvt_f32_f16 v51, v1;
	;;#ASMEND
	v_add_co_u32_e32 v1, vcc, 0x1000, v7
	;;#ASMSTART
	v_cvt_f32_f16 v52, v2;
	;;#ASMEND
	v_addc_co_u32_e32 v2, vcc, 0, v8, vcc
	global_load_dwordx4 v[1:4], v[1:2], off offset:2048
	s_waitcnt vmcnt(0)
	v_lshrrev_b32_e32 v55, 16, v1
	v_lshrrev_b32_e32 v54, 16, v2
	;; [unrolled: 1-line block ×3, first 2 shown]
	s_and_saveexec_b64 s[12:13], s[0:1]
	s_cbranch_execz .LBB96_55
; %bb.54:                               ;   in Loop: Header=BB96_40 Depth=1
	v_cmp_gt_i32_e32 vcc, s33, v27
	v_cndmask_b32_e32 v1, 0, v1, vcc
	v_cmp_gt_i32_e32 vcc, s33, v36
	v_cndmask_b32_e32 v55, 0, v55, vcc
	;; [unrolled: 2-line block ×6, first 2 shown]
	v_cmp_gt_i32_e32 vcc, s33, v29
	v_cndmask_b32_sdwa v56, v22, v4, vcc dst_sel:DWORD dst_unused:UNUSED_PAD src0_sel:DWORD src1_sel:WORD_0
	v_and_b32_e32 v4, 0xffff0000, v4
	v_cmp_gt_i32_e32 vcc, s33, v28
	v_cndmask_b32_e32 v4, 0, v4, vcc
	v_or_b32_e32 v4, v56, v4
.LBB96_55:                              ;   in Loop: Header=BB96_40 Depth=1
	s_or_b64 exec, exec, s[12:13]
	v_lshlrev_b32_e32 v55, 16, v55
	v_and_or_b32 v1, v1, s24, v55
	v_lshlrev_b32_e32 v54, 16, v54
	v_lshlrev_b32_e32 v53, 16, v53
	v_and_or_b32 v2, v2, s24, v54
	v_and_or_b32 v3, v3, s24, v53
	;;#ASMSTART
	v_pk_mul_f16 v1, v38, v1;

	;;#ASMEND
	;;#ASMSTART
	v_pk_mul_f16 v2, v39, v2;

	;;#ASMEND
	;; [unrolled: 4-line block ×4, first 2 shown]
	;;#ASMSTART
	v_pk_add_f16 v1, v1, v2;

	;;#ASMEND
	;;#ASMSTART
	v_pk_add_f16 v1, v1, v3;

	;;#ASMEND
	;; [unrolled: 4-line block ×3, first 2 shown]
	v_lshrrev_b32_e32 v2, 16, v1
	v_and_b32_e32 v1, 0xffff, v1
	;;#ASMSTART
	v_cvt_f32_f16 v53, v1;
	;;#ASMEND
	v_add_co_u32_e32 v1, vcc, 0x1000, v7
	;;#ASMSTART
	v_cvt_f32_f16 v55, v2;
	;;#ASMEND
	v_addc_co_u32_e32 v2, vcc, 0, v8, vcc
	global_load_dwordx4 v[1:4], v[1:2], off offset:3072
	s_waitcnt vmcnt(0)
	v_lshrrev_b32_e32 v54, 16, v1
	v_lshrrev_b32_e32 v8, 16, v2
	;; [unrolled: 1-line block ×3, first 2 shown]
	s_and_saveexec_b64 s[12:13], s[0:1]
	s_cbranch_execz .LBB96_38
; %bb.56:                               ;   in Loop: Header=BB96_40 Depth=1
	v_cmp_gt_i32_e32 vcc, s33, v27
	v_cndmask_b32_e32 v1, 0, v1, vcc
	v_cmp_gt_i32_e32 vcc, s33, v36
	v_cndmask_b32_e32 v54, 0, v54, vcc
	;; [unrolled: 2-line block ×6, first 2 shown]
	v_cmp_gt_i32_e32 vcc, s33, v29
	v_cndmask_b32_sdwa v27, v22, v4, vcc dst_sel:DWORD dst_unused:UNUSED_PAD src0_sel:DWORD src1_sel:WORD_0
	v_and_b32_e32 v4, 0xffff0000, v4
	v_cmp_gt_i32_e32 vcc, s33, v28
	v_cndmask_b32_e32 v4, 0, v4, vcc
	v_or_b32_e32 v4, v27, v4
	s_branch .LBB96_38
.LBB96_57:
	s_or_b64 exec, exec, s[4:5]
.LBB96_58:
	s_or_b64 exec, exec, s[2:3]
	ds_bpermute_b32 v1, v10, v19
	ds_bpermute_b32 v2, v10, v20
	;; [unrolled: 1-line block ×5, first 2 shown]
	s_waitcnt lgkmcnt(4)
	v_add_f32_e32 v1, v19, v1
	s_waitcnt lgkmcnt(3)
	v_add_f32_e32 v4, v20, v2
	ds_bpermute_b32 v2, v11, v1
	ds_bpermute_b32 v5, v11, v4
	s_waitcnt lgkmcnt(4)
	v_add_f32_e32 v3, v18, v3
	ds_bpermute_b32 v6, v11, v3
	s_waitcnt lgkmcnt(3)
	v_add_f32_e32 v14, v14, v8
	s_waitcnt lgkmcnt(2)
	v_add_f32_e32 v2, v1, v2
	;; [unrolled: 2-line block ×3, first 2 shown]
	ds_bpermute_b32 v4, v10, v16
	v_add_f32_e32 v5, v17, v7
	ds_bpermute_b32 v7, v10, v15
	ds_bpermute_b32 v10, v10, v13
	s_waitcnt lgkmcnt(3)
	v_add_f32_e32 v3, v3, v6
	s_waitcnt lgkmcnt(2)
	v_add_f32_e32 v4, v16, v4
	ds_bpermute_b32 v6, v11, v5
	s_waitcnt lgkmcnt(2)
	v_add_f32_e32 v15, v15, v7
	s_waitcnt lgkmcnt(1)
	v_add_f32_e32 v10, v13, v10
	ds_bpermute_b32 v16, v11, v4
	ds_bpermute_b32 v17, v11, v15
	;; [unrolled: 1-line block ×4, first 2 shown]
	s_waitcnt lgkmcnt(4)
	v_add_f32_e32 v8, v5, v6
	s_waitcnt lgkmcnt(3)
	v_add_f32_e32 v7, v4, v16
	;; [unrolled: 2-line block ×5, first 2 shown]
	v_and_b32_e32 v10, 0x3c3, v0
	v_cmp_eq_u32_e32 vcc, 64, v10
	s_barrier
	s_and_saveexec_b64 s[0:1], vcc
	s_cbranch_execz .LBB96_60
; %bb.59:
	v_add_u32_e32 v9, 0x110, v9
	ds_write2_b32 v9, v2, v1 offset1:16
	ds_write2_b32 v9, v3, v8 offset0:32 offset1:48
	ds_write2_b32 v9, v7, v6 offset0:64 offset1:80
	;; [unrolled: 1-line block ×3, first 2 shown]
.LBB96_60:
	s_or_b64 exec, exec, s[0:1]
	v_cmp_gt_u32_e32 vcc, 64, v0
	v_lshrrev_b32_e32 v0, 2, v0
	s_waitcnt lgkmcnt(0)
	s_barrier
	s_and_saveexec_b64 s[0:1], vcc
	s_cbranch_execz .LBB96_71
; %bb.61:
	v_mov_b32_e32 v9, 0x110
	v_cmp_eq_u32_e32 vcc, 0, v12
	v_lshl_add_u32 v9, v0, 2, v9
	s_and_saveexec_b64 s[2:3], vcc
	s_cbranch_execnz .LBB96_74
; %bb.62:
	s_or_b64 exec, exec, s[2:3]
	s_and_saveexec_b64 s[2:3], vcc
	s_cbranch_execnz .LBB96_75
.LBB96_63:
	s_or_b64 exec, exec, s[2:3]
	s_and_saveexec_b64 s[2:3], vcc
	s_cbranch_execnz .LBB96_76
.LBB96_64:
	s_or_b64 exec, exec, s[2:3]
	s_and_saveexec_b64 s[2:3], vcc
	s_cbranch_execnz .LBB96_77
.LBB96_65:
	s_or_b64 exec, exec, s[2:3]
	s_and_saveexec_b64 s[2:3], vcc
	s_cbranch_execnz .LBB96_78
.LBB96_66:
	s_or_b64 exec, exec, s[2:3]
	s_and_saveexec_b64 s[2:3], vcc
	s_cbranch_execnz .LBB96_79
.LBB96_67:
	s_or_b64 exec, exec, s[2:3]
	s_and_saveexec_b64 s[2:3], vcc
	s_cbranch_execnz .LBB96_80
.LBB96_68:
	s_or_b64 exec, exec, s[2:3]
	s_and_saveexec_b64 s[2:3], vcc
	s_cbranch_execz .LBB96_70
.LBB96_69:
	ds_read_b32 v9, v9 offset:448
	s_waitcnt lgkmcnt(0)
	v_add_f32_e32 v4, v4, v9
.LBB96_70:
	s_or_b64 exec, exec, s[2:3]
.LBB96_71:
	s_or_b64 exec, exec, s[0:1]
	v_cmp_eq_u32_e32 vcc, 0, v10
	s_barrier
	s_and_saveexec_b64 s[0:1], vcc
	s_cbranch_execz .LBB96_73
; %bb.72:
	s_mul_i32 s0, s10, s11
	s_mul_i32 s0, s0, s9
	s_lshl_b32 s0, s0, 7
	s_ashr_i32 s1, s0, 31
	s_lshl_b64 s[0:1], s[0:1], 1
	s_add_u32 s2, s22, s0
	s_mul_i32 s0, s11, s20
	s_addc_u32 s3, s23, s1
	s_ashr_i32 s1, s0, 31
	s_lshl_b64 s[0:1], s[0:1], 1
	s_add_u32 s2, s2, s0
	s_addc_u32 s3, s3, s1
	s_lshl_b32 s0, s8, 7
	s_ashr_i32 s1, s0, 31
	s_lshl_b64 s[0:1], s[0:1], 1
	s_add_u32 s0, s2, s0
	s_addc_u32 s1, s3, s1
	v_lshlrev_b32_e32 v0, 1, v0
	;;#ASMSTART
	v_cvt_f16_f32 v2, v2;

	;;#ASMEND
	global_store_short v0, v2, s[0:1]
	;;#ASMSTART
	v_cvt_f16_f32 v1, v1;

	;;#ASMEND
	global_store_short v0, v1, s[0:1] offset:32
	;;#ASMSTART
	v_cvt_f16_f32 v1, v3;

	;;#ASMEND
	global_store_short v0, v1, s[0:1] offset:64
	;; [unrolled: 5-line block ×7, first 2 shown]
.LBB96_73:
	s_endpgm
.LBB96_74:
	ds_read_b32 v11, v9
	s_waitcnt lgkmcnt(0)
	v_add_f32_e32 v2, v2, v11
	s_or_b64 exec, exec, s[2:3]
	s_and_saveexec_b64 s[2:3], vcc
	s_cbranch_execz .LBB96_63
.LBB96_75:
	ds_read_b32 v11, v9 offset:64
	s_waitcnt lgkmcnt(0)
	v_add_f32_e32 v1, v1, v11
	s_or_b64 exec, exec, s[2:3]
	s_and_saveexec_b64 s[2:3], vcc
	s_cbranch_execz .LBB96_64
.LBB96_76:
	ds_read_b32 v11, v9 offset:128
	s_waitcnt lgkmcnt(0)
	v_add_f32_e32 v3, v3, v11
	s_or_b64 exec, exec, s[2:3]
	s_and_saveexec_b64 s[2:3], vcc
	s_cbranch_execz .LBB96_65
.LBB96_77:
	ds_read_b32 v11, v9 offset:192
	s_waitcnt lgkmcnt(0)
	v_add_f32_e32 v8, v8, v11
	s_or_b64 exec, exec, s[2:3]
	s_and_saveexec_b64 s[2:3], vcc
	s_cbranch_execz .LBB96_66
.LBB96_78:
	ds_read_b32 v11, v9 offset:256
	s_waitcnt lgkmcnt(0)
	v_add_f32_e32 v7, v7, v11
	s_or_b64 exec, exec, s[2:3]
	s_and_saveexec_b64 s[2:3], vcc
	s_cbranch_execz .LBB96_67
.LBB96_79:
	ds_read_b32 v11, v9 offset:320
	s_waitcnt lgkmcnt(0)
	v_add_f32_e32 v6, v6, v11
	s_or_b64 exec, exec, s[2:3]
	s_and_saveexec_b64 s[2:3], vcc
	s_cbranch_execz .LBB96_68
.LBB96_80:
	ds_read_b32 v11, v9 offset:384
	s_waitcnt lgkmcnt(0)
	v_add_f32_e32 v5, v5, v11
	s_or_b64 exec, exec, s[2:3]
	s_and_saveexec_b64 s[2:3], vcc
	s_cbranch_execnz .LBB96_69
	s_branch .LBB96_70
	.section	.rodata,"a",@progbits
	.p2align	6, 0x0
	.amdhsa_kernel _ZN4vllm25paged_attention_v1_kernelIttLi128ELi32ELi128ELNS_18Fp8KVCacheDataTypeE0ELb1EEEvPT_PKS2_PKT0_S8_ifPKiSA_iPKfiiiSC_SC_iiiii
		.amdhsa_group_segment_fixed_size 272
		.amdhsa_private_segment_fixed_size 0
		.amdhsa_kernarg_size 384
		.amdhsa_user_sgpr_count 6
		.amdhsa_user_sgpr_private_segment_buffer 1
		.amdhsa_user_sgpr_dispatch_ptr 0
		.amdhsa_user_sgpr_queue_ptr 0
		.amdhsa_user_sgpr_kernarg_segment_ptr 1
		.amdhsa_user_sgpr_dispatch_id 0
		.amdhsa_user_sgpr_flat_scratch_init 0
		.amdhsa_user_sgpr_private_segment_size 0
		.amdhsa_uses_dynamic_stack 0
		.amdhsa_system_sgpr_private_segment_wavefront_offset 0
		.amdhsa_system_sgpr_workgroup_id_x 1
		.amdhsa_system_sgpr_workgroup_id_y 1
		.amdhsa_system_sgpr_workgroup_id_z 1
		.amdhsa_system_sgpr_workgroup_info 0
		.amdhsa_system_vgpr_workitem_id 0
		.amdhsa_next_free_vgpr 63
		.amdhsa_next_free_sgpr 45
		.amdhsa_reserve_vcc 1
		.amdhsa_reserve_flat_scratch 0
		.amdhsa_float_round_mode_32 0
		.amdhsa_float_round_mode_16_64 0
		.amdhsa_float_denorm_mode_32 3
		.amdhsa_float_denorm_mode_16_64 3
		.amdhsa_dx10_clamp 1
		.amdhsa_ieee_mode 1
		.amdhsa_fp16_overflow 0
		.amdhsa_exception_fp_ieee_invalid_op 0
		.amdhsa_exception_fp_denorm_src 0
		.amdhsa_exception_fp_ieee_div_zero 0
		.amdhsa_exception_fp_ieee_overflow 0
		.amdhsa_exception_fp_ieee_underflow 0
		.amdhsa_exception_fp_ieee_inexact 0
		.amdhsa_exception_int_div_zero 0
	.end_amdhsa_kernel
	.section	.text._ZN4vllm25paged_attention_v1_kernelIttLi128ELi32ELi128ELNS_18Fp8KVCacheDataTypeE0ELb1EEEvPT_PKS2_PKT0_S8_ifPKiSA_iPKfiiiSC_SC_iiiii,"axG",@progbits,_ZN4vllm25paged_attention_v1_kernelIttLi128ELi32ELi128ELNS_18Fp8KVCacheDataTypeE0ELb1EEEvPT_PKS2_PKT0_S8_ifPKiSA_iPKfiiiSC_SC_iiiii,comdat
.Lfunc_end96:
	.size	_ZN4vllm25paged_attention_v1_kernelIttLi128ELi32ELi128ELNS_18Fp8KVCacheDataTypeE0ELb1EEEvPT_PKS2_PKT0_S8_ifPKiSA_iPKfiiiSC_SC_iiiii, .Lfunc_end96-_ZN4vllm25paged_attention_v1_kernelIttLi128ELi32ELi128ELNS_18Fp8KVCacheDataTypeE0ELb1EEEvPT_PKS2_PKT0_S8_ifPKiSA_iPKfiiiSC_SC_iiiii
                                        ; -- End function
	.set _ZN4vllm25paged_attention_v1_kernelIttLi128ELi32ELi128ELNS_18Fp8KVCacheDataTypeE0ELb1EEEvPT_PKS2_PKT0_S8_ifPKiSA_iPKfiiiSC_SC_iiiii.num_vgpr, 63
	.set _ZN4vllm25paged_attention_v1_kernelIttLi128ELi32ELi128ELNS_18Fp8KVCacheDataTypeE0ELb1EEEvPT_PKS2_PKT0_S8_ifPKiSA_iPKfiiiSC_SC_iiiii.num_agpr, 0
	.set _ZN4vllm25paged_attention_v1_kernelIttLi128ELi32ELi128ELNS_18Fp8KVCacheDataTypeE0ELb1EEEvPT_PKS2_PKT0_S8_ifPKiSA_iPKfiiiSC_SC_iiiii.numbered_sgpr, 45
	.set _ZN4vllm25paged_attention_v1_kernelIttLi128ELi32ELi128ELNS_18Fp8KVCacheDataTypeE0ELb1EEEvPT_PKS2_PKT0_S8_ifPKiSA_iPKfiiiSC_SC_iiiii.num_named_barrier, 0
	.set _ZN4vllm25paged_attention_v1_kernelIttLi128ELi32ELi128ELNS_18Fp8KVCacheDataTypeE0ELb1EEEvPT_PKS2_PKT0_S8_ifPKiSA_iPKfiiiSC_SC_iiiii.private_seg_size, 0
	.set _ZN4vllm25paged_attention_v1_kernelIttLi128ELi32ELi128ELNS_18Fp8KVCacheDataTypeE0ELb1EEEvPT_PKS2_PKT0_S8_ifPKiSA_iPKfiiiSC_SC_iiiii.uses_vcc, 1
	.set _ZN4vllm25paged_attention_v1_kernelIttLi128ELi32ELi128ELNS_18Fp8KVCacheDataTypeE0ELb1EEEvPT_PKS2_PKT0_S8_ifPKiSA_iPKfiiiSC_SC_iiiii.uses_flat_scratch, 0
	.set _ZN4vllm25paged_attention_v1_kernelIttLi128ELi32ELi128ELNS_18Fp8KVCacheDataTypeE0ELb1EEEvPT_PKS2_PKT0_S8_ifPKiSA_iPKfiiiSC_SC_iiiii.has_dyn_sized_stack, 0
	.set _ZN4vllm25paged_attention_v1_kernelIttLi128ELi32ELi128ELNS_18Fp8KVCacheDataTypeE0ELb1EEEvPT_PKS2_PKT0_S8_ifPKiSA_iPKfiiiSC_SC_iiiii.has_recursion, 0
	.set _ZN4vllm25paged_attention_v1_kernelIttLi128ELi32ELi128ELNS_18Fp8KVCacheDataTypeE0ELb1EEEvPT_PKS2_PKT0_S8_ifPKiSA_iPKfiiiSC_SC_iiiii.has_indirect_call, 0
	.section	.AMDGPU.csdata,"",@progbits
; Kernel info:
; codeLenInByte = 8276
; TotalNumSgprs: 49
; NumVgprs: 63
; ScratchSize: 0
; MemoryBound: 0
; FloatMode: 240
; IeeeMode: 1
; LDSByteSize: 272 bytes/workgroup (compile time only)
; SGPRBlocks: 6
; VGPRBlocks: 15
; NumSGPRsForWavesPerEU: 49
; NumVGPRsForWavesPerEU: 63
; Occupancy: 4
; WaveLimiterHint : 1
; COMPUTE_PGM_RSRC2:SCRATCH_EN: 0
; COMPUTE_PGM_RSRC2:USER_SGPR: 6
; COMPUTE_PGM_RSRC2:TRAP_HANDLER: 0
; COMPUTE_PGM_RSRC2:TGID_X_EN: 1
; COMPUTE_PGM_RSRC2:TGID_Y_EN: 1
; COMPUTE_PGM_RSRC2:TGID_Z_EN: 1
; COMPUTE_PGM_RSRC2:TIDIG_COMP_CNT: 0
	.section	.text._ZN4vllm25paged_attention_v1_kernelIttLi192ELi32ELi128ELNS_18Fp8KVCacheDataTypeE0ELb1EEEvPT_PKS2_PKT0_S8_ifPKiSA_iPKfiiiSC_SC_iiiii,"axG",@progbits,_ZN4vllm25paged_attention_v1_kernelIttLi192ELi32ELi128ELNS_18Fp8KVCacheDataTypeE0ELb1EEEvPT_PKS2_PKT0_S8_ifPKiSA_iPKfiiiSC_SC_iiiii,comdat
	.protected	_ZN4vllm25paged_attention_v1_kernelIttLi192ELi32ELi128ELNS_18Fp8KVCacheDataTypeE0ELb1EEEvPT_PKS2_PKT0_S8_ifPKiSA_iPKfiiiSC_SC_iiiii ; -- Begin function _ZN4vllm25paged_attention_v1_kernelIttLi192ELi32ELi128ELNS_18Fp8KVCacheDataTypeE0ELb1EEEvPT_PKS2_PKT0_S8_ifPKiSA_iPKfiiiSC_SC_iiiii
	.globl	_ZN4vllm25paged_attention_v1_kernelIttLi192ELi32ELi128ELNS_18Fp8KVCacheDataTypeE0ELb1EEEvPT_PKS2_PKT0_S8_ifPKiSA_iPKfiiiSC_SC_iiiii
	.p2align	8
	.type	_ZN4vllm25paged_attention_v1_kernelIttLi192ELi32ELi128ELNS_18Fp8KVCacheDataTypeE0ELb1EEEvPT_PKS2_PKT0_S8_ifPKiSA_iPKfiiiSC_SC_iiiii,@function
_ZN4vllm25paged_attention_v1_kernelIttLi192ELi32ELi128ELNS_18Fp8KVCacheDataTypeE0ELb1EEEvPT_PKS2_PKT0_S8_ifPKiSA_iPKfiiiSC_SC_iiiii: ; @_ZN4vllm25paged_attention_v1_kernelIttLi192ELi32ELi128ELNS_18Fp8KVCacheDataTypeE0ELb1EEEvPT_PKS2_PKT0_S8_ifPKiSA_iPKfiiiSC_SC_iiiii
; %bb.0:
	s_mov_b64 s[50:51], s[2:3]
	s_mov_b64 s[48:49], s[0:1]
	s_add_u32 s48, s48, s9
	s_addc_u32 s49, s49, 0
	buffer_store_dword v0, off, s[48:51], 0 offset:8 ; 4-byte Folded Spill
	s_load_dword s9, s[4:5], 0x80
	s_load_dwordx2 s[0:1], s[4:5], 0x30
	s_load_dwordx2 s[30:31], s[4:5], 0x20
	s_mov_b32 s10, s7
	s_ashr_i32 s11, s7, 31
	s_lshl_b64 s[2:3], s[10:11], 2
	s_waitcnt lgkmcnt(0)
	s_add_u32 s0, s0, s2
	s_addc_u32 s1, s1, s3
	s_abs_i32 s2, s30
	v_cvt_f32_u32_e32 v0, s2
	s_sub_i32 s11, 0, s2
	s_abs_i32 s7, s9
	s_xor_b32 s3, s9, s30
	v_rcp_iflag_f32_e32 v0, v0
	s_ashr_i32 s3, s3, 31
	s_mov_b32 s42, 0
	v_mul_f32_e32 v0, 0x4f7ffffe, v0
	v_cvt_u32_f32_e32 v0, v0
	v_readfirstlane_b32 s12, v0
	s_mul_i32 s11, s11, s12
	s_mul_hi_u32 s11, s12, s11
	s_add_i32 s12, s12, s11
	s_mul_hi_u32 s11, s7, s12
	s_mul_i32 s12, s11, s2
	s_sub_i32 s7, s7, s12
	s_add_i32 s12, s11, 1
	s_sub_i32 s13, s7, s2
	s_cmp_ge_u32 s7, s2
	s_cselect_b32 s11, s12, s11
	s_cselect_b32 s7, s13, s7
	s_add_i32 s12, s11, 1
	s_cmp_ge_u32 s7, s2
	s_cselect_b32 s2, s12, s11
	s_xor_b32 s2, s2, s3
	s_sub_i32 s12, s2, s3
	s_abs_i32 s11, s12
	v_cvt_f32_u32_e32 v0, s11
	s_load_dwordx2 s[2:3], s[4:5], 0x40
	s_sub_i32 s7, 0, s11
	s_abs_i32 s22, s6
	v_rcp_iflag_f32_e32 v0, v0
	v_mul_f32_e32 v0, 0x4f7ffffe, v0
	v_cvt_u32_f32_e32 v0, v0
	v_readfirstlane_b32 s13, v0
	s_mul_i32 s7, s7, s13
	s_mul_hi_u32 s7, s13, s7
	s_add_i32 s13, s13, s7
	s_waitcnt lgkmcnt(0)
	s_cmp_eq_u64 s[2:3], 0
	s_mul_hi_u32 s23, s22, s13
	s_cbranch_scc1 .LBB97_2
; %bb.1:
	s_ashr_i32 s7, s6, 31
	s_lshl_b64 s[14:15], s[6:7], 2
	s_add_u32 s2, s2, s14
	s_addc_u32 s3, s3, s15
	s_load_dword s42, s[2:3], 0x0
.LBB97_2:
	buffer_load_dword v0, off, s[48:51], 0 offset:8 ; 4-byte Folded Reload
	s_load_dword s33, s[0:1], 0x0
	s_ashr_i32 s7, s12, 31
	s_load_dwordx4 s[12:15], s[4:5], 0x48
	s_ashr_i32 s2, s6, 31
	s_movk_i32 s3, 0xc0
	s_mul_i32 s20, s6, 0xc0
	s_waitcnt vmcnt(0)
	v_and_b32_e32 v1, 1, v0
	v_cmp_gt_u32_e32 vcc, 48, v0
	v_lshlrev_b32_e32 v25, 3, v0
	s_and_saveexec_b64 s[0:1], vcc
	s_cbranch_execz .LBB97_4
; %bb.3:
	s_load_dwordx2 s[16:17], s[4:5], 0x8
	s_waitcnt lgkmcnt(0)
	s_mul_i32 s18, s12, s10
	s_ashr_i32 s19, s18, 31
	s_lshl_b64 s[18:19], s[18:19], 1
	buffer_load_dword v0, off, s[48:51], 0 offset:8 ; 4-byte Folded Reload
	s_add_u32 s12, s16, s18
	s_addc_u32 s15, s17, s19
	s_ashr_i32 s21, s20, 31
	s_lshl_b64 s[16:17], s[20:21], 1
	s_add_u32 s16, s12, s16
	s_addc_u32 s17, s15, s17
	global_load_dwordx2 v[2:3], v25, s[16:17]
	s_waitcnt vmcnt(1)
	v_lshlrev_b32_e32 v0, 2, v0
	v_and_b32_e32 v0, 0xff8, v0
	v_mad_u32_u24 v0, v1, s3, v0
	s_waitcnt vmcnt(0)
	ds_write_b64 v0, v[2:3]
.LBB97_4:
	s_or_b64 exec, exec, s[0:1]
	s_mul_i32 s1, s23, s11
	s_sub_i32 s1, s22, s1
	s_xor_b32 s0, s2, s7
	s_add_i32 s2, s23, 1
	s_sub_i32 s7, s1, s11
	s_load_dwordx4 s[16:19], s[4:5], 0x68
	s_load_dword s3, s[4:5], 0x78
	s_cmp_ge_u32 s1, s11
	s_cselect_b32 s2, s2, s23
	s_cselect_b32 s1, s7, s1
	s_add_i32 s7, s2, 1
	s_cmp_ge_u32 s1, s11
	s_cselect_b32 s1, s7, s2
	s_waitcnt lgkmcnt(0)
	s_abs_i32 s21, s19
	v_cvt_f32_u32_e32 v0, s21
	s_xor_b32 s1, s1, s0
	s_sub_i32 s2, s1, s0
	s_sub_i32 s0, 0, s21
	v_rcp_iflag_f32_e32 v0, v0
	s_add_i32 s11, s33, -1
	s_abs_i32 s7, s11
	v_mul_f32_e32 v0, 0x4f7ffffe, v0
	v_cvt_u32_f32_e32 v0, v0
	s_barrier
	v_readfirstlane_b32 s40, v0
	s_mul_i32 s0, s0, s40
	s_mul_hi_u32 s0, s40, s0
	s_add_i32 s40, s40, s0
	s_cmp_lt_i32 s3, 0
	s_mul_hi_u32 s12, s7, s40
	s_cbranch_scc0 .LBB97_6
; %bb.5:
	s_mul_i32 s0, s16, s30
	s_add_i32 s0, s2, s0
	s_mul_i32 s0, s0, s3
	s_sub_i32 s41, 1, s0
	s_mov_b64 s[0:1], 0
	s_branch .LBB97_7
.LBB97_6:
	s_mov_b64 s[0:1], -1
                                        ; implicit-def: $sgpr41
.LBB97_7:
	s_load_dwordx2 s[24:25], s[4:5], 0x28
	s_ashr_i32 s15, s11, 31
	s_andn2_b64 vcc, exec, s[0:1]
	s_ashr_i32 s19, s19, 31
	s_cbranch_vccnz .LBB97_9
; %bb.8:
	s_mul_i32 s0, s9, s16
	s_add_i32 s0, s0, s6
	s_mul_i32 s0, s0, s3
	s_add_i32 s41, s0, 1
.LBB97_9:
	s_load_dword s0, s[4:5], 0x38
	s_load_dwordx2 s[22:23], s[4:5], 0x0
	s_load_dwordx2 s[28:29], s[4:5], 0x18
	s_load_dword s11, s[4:5], 0x88
	buffer_load_dword v0, off, s[48:51], 0 offset:8 ; 4-byte Folded Reload
	s_waitcnt lgkmcnt(0)
	s_mul_i32 s26, s0, s10
	s_mul_i32 s0, s12, s21
	s_sub_i32 s0, s7, s0
	s_xor_b32 s1, s15, s19
	s_ashr_i32 s27, s26, 31
	s_add_i32 s3, s12, 1
	s_sub_i32 s6, s0, s21
	s_cmp_ge_u32 s0, s21
	s_cselect_b32 s3, s3, s12
	s_cselect_b32 s0, s6, s0
	s_add_i32 s6, s3, 1
	s_cmp_ge_u32 s0, s21
	s_cselect_b32 s0, s6, s3
	s_xor_b32 s0, s0, s1
	s_sub_i32 s12, s0, s1
	s_add_i32 s0, s33, 31
	s_ashr_i32 s1, s0, 31
	s_lshr_b32 s1, s1, 27
	s_add_i32 s0, s0, s1
	s_ashr_i32 s16, s0, 5
	v_mov_b32_e32 v3, 0xff7fffff
	s_mul_i32 s14, s2, s14
	v_mbcnt_lo_u32_b32 v6, -1, 0
	s_waitcnt vmcnt(0)
	v_lshrrev_b32_e32 v11, 6, v0
	v_cmp_gt_i32_e64 s[0:1], s16, v11
	v_lshrrev_b32_e32 v27, 4, v0
	v_lshlrev_b32_e32 v50, 5, v11
	s_and_saveexec_b64 s[34:35], s[0:1]
	s_cbranch_execz .LBB97_21
; %bb.10:
	buffer_load_dword v2, off, s[48:51], 0 offset:8 ; 4-byte Folded Reload
	s_load_dwordx2 s[2:3], s[4:5], 0x10
	s_ashr_i32 s15, s14, 31
	s_sub_i32 s30, s12, s17
	s_lshl_b64 s[4:5], s[14:15], 1
	v_mul_u32_u24_e32 v57, 0xc0, v1
	s_waitcnt lgkmcnt(0)
	s_add_u32 s4, s2, s4
	s_addc_u32 s5, s3, s5
	s_abs_i32 s15, s18
	v_cvt_f32_u32_e32 v0, s15
	v_mov_b32_e32 v4, s5
	s_sub_i32 s5, 0, s15
	s_lshl_b64 s[6:7], s[26:27], 2
	v_rcp_iflag_f32_e32 v0, v0
	s_add_u32 s6, s24, s6
	v_cmp_eq_u32_e64 s[2:3], 0, v1
	buffer_store_dword v25, off, s[48:51], 0 offset:52 ; 4-byte Folded Spill
	v_mul_f32_e32 v0, 0x4f7ffffe, v0
	v_cvt_u32_f32_e32 v0, v0
	buffer_store_dword v27, off, s[48:51], 0 offset:56 ; 4-byte Folded Spill
	s_addc_u32 s7, s25, s7
	s_mov_b32 s43, s13
	v_mul_lo_u32 v5, s5, v0
	v_lshlrev_b32_e32 v60, 5, v11
	s_mov_b64 s[36:37], 0
	s_movk_i32 s44, 0x1000
	v_mul_hi_u32 v5, v0, v5
	s_movk_i32 s45, 0x2000
	v_mov_b32_e32 v49, v11
	v_add_u32_e32 v8, v0, v5
	v_and_b32_e32 v0, 60, v27
	s_waitcnt vmcnt(2)
	v_bfe_u32 v7, v2, 1, 5
	v_lshlrev_b32_e32 v3, 4, v7
	v_add_co_u32_e32 v3, vcc, s4, v3
	v_and_b32_e32 v2, 8, v25
	v_addc_co_u32_e32 v4, vcc, 0, v4, vcc
	v_add_co_u32_e32 v2, vcc, v3, v2
	buffer_store_dword v2, off, s[48:51], 0 offset:20 ; 4-byte Folded Spill
	v_addc_co_u32_e32 v2, vcc, 0, v4, vcc
	v_add_co_u32_e32 v1, vcc, s6, v0
	v_subrev_u32_e32 v0, s33, v7
	v_add_u32_e32 v0, 1, v0
	buffer_store_dword v2, off, s[48:51], 0 offset:24 ; 4-byte Folded Spill
	buffer_store_dword v0, off, s[48:51], 0 offset:48 ; 4-byte Folded Spill
	;; [unrolled: 1-line block ×3, first 2 shown]
	v_lshlrev_b32_e32 v0, 2, v7
	v_lshl_or_b32 v0, v11, 7, v0
	v_add_u32_e32 v62, 0x190, v0
	v_mbcnt_hi_u32_b32 v0, -1, v6
	v_xor_b32_e32 v3, 1, v0
	buffer_store_dword v3, off, s[48:51], 0 offset:36 ; 4-byte Folded Spill
	buffer_store_dword v0, off, s[48:51], 0 offset:32 ; 4-byte Folded Spill
	v_and_b32_e32 v0, 64, v0
	v_mov_b32_e32 v2, s7
	v_add_u32_e32 v0, 64, v0
	v_cmp_neq_f32_e64 s[4:5], s42, 0
	v_addc_co_u32_e32 v2, vcc, 0, v2, vcc
	buffer_store_dword v0, off, s[48:51], 0 offset:40 ; 4-byte Folded Spill
	v_mov_b32_e32 v0, 0xff7fffff
	buffer_store_dword v0, off, s[48:51], 0 offset:12 ; 4-byte Folded Spill
	buffer_store_dword v11, off, s[48:51], 0 offset:16 ; 4-byte Folded Spill
	buffer_store_dword v8, off, s[48:51], 0 offset:28 ; 4-byte Folded Spill
	s_branch .LBB97_13
.LBB97_11:                              ;   in Loop: Header=BB97_13 Depth=1
	s_or_b64 exec, exec, s[38:39]
	buffer_load_dword v11, off, s[48:51], 0 offset:16 ; 4-byte Folded Reload
	buffer_load_dword v8, off, s[48:51], 0 offset:28 ; 4-byte Folded Reload
.LBB97_12:                              ;   in Loop: Header=BB97_13 Depth=1
	s_or_b64 exec, exec, s[6:7]
	v_add_co_u32_e32 v1, vcc, 8, v1
	v_add_u32_e32 v49, 2, v49
	v_addc_co_u32_e32 v2, vcc, 0, v2, vcc
	v_cmp_le_i32_e32 vcc, s16, v49
	v_add_u32_e32 v60, 64, v60
	s_or_b64 s[36:37], vcc, s[36:37]
	v_add_u32_e32 v62, 0x100, v62
	s_andn2_b64 exec, exec, s[36:37]
	s_cbranch_execz .LBB97_20
.LBB97_13:                              ; =>This Inner Loop Header: Depth=1
	v_mul_hi_u32 v0, v60, s40
	s_waitcnt lgkmcnt(0)
	v_mul_lo_u32 v3, v0, s21
	v_add_u32_e32 v4, 1, v0
	v_sub_u32_e32 v3, v60, v3
	v_cmp_le_u32_e32 vcc, s21, v3
	v_cndmask_b32_e32 v0, v0, v4, vcc
	v_subrev_u32_e32 v4, s21, v3
	v_cndmask_b32_e32 v3, v3, v4, vcc
	v_add_u32_e32 v4, 1, v0
	v_cmp_le_u32_e32 vcc, s21, v3
	v_cndmask_b32_e32 v0, v0, v4, vcc
	v_xor_b32_e32 v0, s19, v0
	v_subrev_u32_e32 v0, s19, v0
	v_add_u32_e32 v3, s41, v0
	v_sub_u32_e32 v4, 0, v3
	v_max_i32_e32 v4, v3, v4
	s_waitcnt vmcnt(0)
	v_mul_hi_u32 v5, v4, v8
	v_ashrrev_i32_e32 v3, 31, v3
	v_cmp_ge_i32_e64 s[6:7], s30, v0
	v_mul_lo_u32 v5, v5, s15
	v_sub_u32_e32 v4, v4, v5
	v_subrev_u32_e32 v5, s15, v4
	v_cmp_le_u32_e32 vcc, s15, v4
	v_cndmask_b32_e32 v4, v4, v5, vcc
	v_subrev_u32_e32 v5, s15, v4
	v_cmp_le_u32_e32 vcc, s15, v4
	v_cndmask_b32_e32 v4, v4, v5, vcc
	v_xor_b32_e32 v4, v4, v3
	v_sub_u32_e32 v3, v4, v3
	v_cmp_ne_u32_e32 vcc, 0, v3
	s_and_b64 s[6:7], vcc, s[6:7]
	s_and_saveexec_b64 s[38:39], s[6:7]
	s_xor_b64 s[6:7], exec, s[38:39]
	s_cbranch_execz .LBB97_17
; %bb.14:                               ;   in Loop: Header=BB97_13 Depth=1
	s_and_saveexec_b64 s[38:39], s[2:3]
; %bb.15:                               ;   in Loop: Header=BB97_13 Depth=1
	v_mov_b32_e32 v0, 0xff7fffff
	ds_write_b32 v62, v0
; %bb.16:                               ;   in Loop: Header=BB97_13 Depth=1
	s_or_b64 exec, exec, s[38:39]
.LBB97_17:                              ;   in Loop: Header=BB97_13 Depth=1
	s_andn2_saveexec_b64 s[6:7], s[6:7]
	s_cbranch_execz .LBB97_12
; %bb.18:                               ;   in Loop: Header=BB97_13 Depth=1
	global_load_dword v0, v[1:2], off
	s_waitcnt vmcnt(0)
	v_mad_i64_i32 v[3:4], s[38:39], v0, s43, 0
	buffer_load_dword v0, off, s[48:51], 0 offset:20 ; 4-byte Folded Reload
	v_lshlrev_b64 v[3:4], 1, v[3:4]
	s_waitcnt vmcnt(0)
	v_add_co_u32_e32 v5, vcc, v0, v3
	buffer_load_dword v0, off, s[48:51], 0 offset:24 ; 4-byte Folded Reload
	s_waitcnt vmcnt(0)
	v_addc_co_u32_e32 v6, vcc, v0, v4, vcc
	global_load_dwordx2 v[3:4], v[5:6], off
	global_load_dwordx2 v[47:48], v[5:6], off offset:512
	ds_read_b64 v[7:8], v57
	global_load_dwordx2 v[45:46], v[5:6], off offset:1024
	global_load_dwordx2 v[43:44], v[5:6], off offset:1536
	;; [unrolled: 1-line block ×6, first 2 shown]
	s_waitcnt lgkmcnt(0)
	v_lshrrev_b32_e32 v12, 16, v7
	v_and_b32_e32 v0, 0xffff, v7
	v_add_co_u32_e32 v7, vcc, s44, v5
	v_lshrrev_b32_e32 v51, 16, v8
	v_and_b32_e32 v53, 0xffff, v8
	v_addc_co_u32_e32 v8, vcc, 0, v6, vcc
	v_add_co_u32_e32 v54, vcc, s45, v5
	v_addc_co_u32_e32 v55, vcc, 0, v6, vcc
	global_load_dwordx2 v[31:32], v[7:8], off offset:512
	global_load_dwordx2 v[29:30], v[7:8], off offset:1024
	;; [unrolled: 1-line block ×7, first 2 shown]
	global_load_dwordx2 v[33:34], v[54:55], off offset:-4096
	global_load_dwordx2 v[17:18], v[54:55], off
	global_load_dwordx2 v[15:16], v[54:55], off offset:512
	global_load_dwordx2 v[13:14], v[54:55], off offset:1024
	;; [unrolled: 1-line block ×3, first 2 shown]
	s_waitcnt vmcnt(19)
	v_lshrrev_b32_e32 v58, 16, v3
	v_and_b32_e32 v56, 0xffff, v3
	v_lshrrev_b32_e32 v59, 16, v4
	v_and_b32_e32 v11, 0xffff, v4
	global_load_dwordx2 v[3:4], v[54:55], off offset:2048
	global_load_dwordx2 v[7:8], v[54:55], off offset:2560
	;; [unrolled: 1-line block ×3, first 2 shown]
	s_nop 0
	global_load_dwordx2 v[54:55], v[54:55], off offset:3584
	s_waitcnt vmcnt(0)
	buffer_store_dword v54, off, s[48:51], 0 ; 4-byte Folded Spill
	s_nop 0
	buffer_store_dword v55, off, s[48:51], 0 offset:4 ; 4-byte Folded Spill
	;;#ASMSTART
	v_cvt_f32_f16 v0, v0;
	;;#ASMEND
	;;#ASMSTART
	v_cvt_f32_f16 v52, v12;
	;;#ASMEND
	;; [unrolled: 3-line block ×8, first 2 shown]
	ds_read_b64 v[54:55], v57 offset:8
	s_waitcnt lgkmcnt(0)
	v_and_b32_e32 v11, 0xffff, v54
	;;#ASMSTART
	v_cvt_f32_f16 v53, v11;
	;;#ASMEND
	v_lshrrev_b32_e32 v11, 16, v54
	;;#ASMSTART
	v_cvt_f32_f16 v12, v11;
	;;#ASMEND
	v_and_b32_e32 v11, 0xffff, v47
	;;#ASMSTART
	v_cvt_f32_f16 v54, v11;
	;;#ASMEND
	v_mul_f32_e32 v54, v53, v54
	v_fmac_f32_e32 v54, v0, v56
	v_lshrrev_b32_e32 v0, 16, v47
	;;#ASMSTART
	v_cvt_f32_f16 v0, v0;
	;;#ASMEND
	v_mul_f32_e32 v47, v12, v0
	v_lshrrev_b32_e32 v12, 16, v55
	v_and_b32_e32 v0, 0xffff, v55
	v_fmac_f32_e32 v47, v52, v61
	v_and_b32_e32 v11, 0xffff, v48
	v_lshrrev_b32_e32 v52, 16, v48
	;;#ASMSTART
	v_cvt_f32_f16 v0, v0;
	;;#ASMEND
	;;#ASMSTART
	v_cvt_f32_f16 v12, v12;
	;;#ASMEND
	;; [unrolled: 3-line block ×3, first 2 shown]
	v_mul_f32_e32 v48, v0, v48
	;;#ASMSTART
	v_cvt_f32_f16 v0, v52;
	;;#ASMEND
	ds_read_b64 v[55:56], v57 offset:16
	v_mul_f32_e32 v61, v12, v0
	v_fmac_f32_e32 v61, v51, v59
	v_fmac_f32_e32 v48, v63, v58
	v_lshrrev_b32_e32 v53, 16, v43
	s_waitcnt lgkmcnt(0)
	v_and_b32_e32 v0, 0xffff, v55
	v_lshrrev_b32_e32 v11, 16, v55
	;;#ASMSTART
	v_cvt_f32_f16 v0, v0;
	;;#ASMEND
	;;#ASMSTART
	v_cvt_f32_f16 v12, v11;
	;;#ASMEND
	v_and_b32_e32 v11, 0xffff, v45
	;;#ASMSTART
	v_cvt_f32_f16 v51, v11;
	;;#ASMEND
	v_fmac_f32_e32 v54, v0, v51
	v_lshrrev_b32_e32 v0, 16, v45
	;;#ASMSTART
	v_cvt_f32_f16 v0, v0;
	;;#ASMEND
	v_fmac_f32_e32 v47, v12, v0
	v_lshrrev_b32_e32 v12, 16, v56
	v_and_b32_e32 v0, 0xffff, v56
	v_and_b32_e32 v11, 0xffff, v46
	v_lshrrev_b32_e32 v45, 16, v46
	v_and_b32_e32 v51, 0xffff, v43
	v_and_b32_e32 v46, 0xffff, v44
	v_lshrrev_b32_e32 v63, 16, v44
	;;#ASMSTART
	v_cvt_f32_f16 v0, v0;
	;;#ASMEND
	;;#ASMSTART
	v_cvt_f32_f16 v12, v12;
	;;#ASMEND
	;; [unrolled: 3-line block ×4, first 2 shown]
	ds_read_b64 v[55:56], v57 offset:24
	v_fmac_f32_e32 v48, v0, v43
	v_fmac_f32_e32 v61, v12, v44
	v_lshrrev_b32_e32 v52, 16, v41
	v_and_b32_e32 v44, 0xffff, v39
	s_waitcnt lgkmcnt(0)
	v_and_b32_e32 v0, 0xffff, v55
	v_lshrrev_b32_e32 v11, 16, v55
	;;#ASMSTART
	v_cvt_f32_f16 v0, v0;
	;;#ASMEND
	;;#ASMSTART
	v_cvt_f32_f16 v12, v11;
	;;#ASMEND
	;;#ASMSTART
	v_cvt_f32_f16 v43, v51;
	;;#ASMEND
	v_fmac_f32_e32 v54, v0, v43
	v_and_b32_e32 v11, 0xffff, v41
	v_and_b32_e32 v0, 0xffff, v42
	v_lshrrev_b32_e32 v41, 16, v42
	;;#ASMSTART
	v_cvt_f32_f16 v42, v53;
	;;#ASMEND
	v_fmac_f32_e32 v47, v12, v42
	v_lshrrev_b32_e32 v45, 16, v39
	v_lshrrev_b32_e32 v39, 16, v56
	v_and_b32_e32 v12, 0xffff, v56
	;;#ASMSTART
	v_cvt_f32_f16 v12, v12;
	;;#ASMEND
	;;#ASMSTART
	v_cvt_f32_f16 v51, v39;
	;;#ASMEND
	;; [unrolled: 3-line block ×3, first 2 shown]
	v_and_b32_e32 v42, 0xffff, v40
	v_lshrrev_b32_e32 v43, 16, v40
	;;#ASMSTART
	v_cvt_f32_f16 v46, v63;
	;;#ASMEND
	v_fmac_f32_e32 v48, v12, v39
	ds_read_b64 v[39:40], v57 offset:32
	v_fmac_f32_e32 v61, v51, v46
	v_lshrrev_b32_e32 v46, 16, v37
	v_and_b32_e32 v63, 0xffff, v35
	s_waitcnt lgkmcnt(0)
	v_and_b32_e32 v12, 0xffff, v39
	v_lshrrev_b32_e32 v39, 16, v39
	;;#ASMSTART
	v_cvt_f32_f16 v12, v12;
	;;#ASMEND
	;;#ASMSTART
	v_cvt_f32_f16 v51, v39;
	;;#ASMEND
	;; [unrolled: 3-line block ×3, first 2 shown]
	v_fmac_f32_e32 v54, v12, v39
	;;#ASMSTART
	v_cvt_f32_f16 v12, v52;
	;;#ASMEND
	v_fmac_f32_e32 v47, v51, v12
	v_and_b32_e32 v12, 0xffff, v40
	v_lshrrev_b32_e32 v11, 16, v40
	;;#ASMSTART
	v_cvt_f32_f16 v12, v12;
	;;#ASMEND
	;;#ASMSTART
	v_cvt_f32_f16 v51, v11;
	;;#ASMEND
	;; [unrolled: 3-line block ×4, first 2 shown]
	ds_read_b64 v[40:41], v57 offset:40
	v_fmac_f32_e32 v48, v12, v0
	v_fmac_f32_e32 v61, v51, v53
	v_and_b32_e32 v39, 0xffff, v37
	v_and_b32_e32 v37, 0xffff, v38
	s_waitcnt lgkmcnt(0)
	v_and_b32_e32 v0, 0xffff, v40
	v_lshrrev_b32_e32 v11, 16, v40
	v_lshrrev_b32_e32 v51, 16, v41
	v_and_b32_e32 v41, 0xffff, v41
	;;#ASMSTART
	v_cvt_f32_f16 v0, v0;
	;;#ASMEND
	;;#ASMSTART
	v_cvt_f32_f16 v12, v11;
	;;#ASMEND
	;;#ASMSTART
	v_cvt_f32_f16 v40, v44;
	;;#ASMEND
	;;#ASMSTART
	v_cvt_f32_f16 v44, v45;
	;;#ASMEND
	;;#ASMSTART
	v_cvt_f32_f16 v45, v41;
	;;#ASMEND
	;;#ASMSTART
	v_cvt_f32_f16 v51, v51;
	;;#ASMEND
	;;#ASMSTART
	v_cvt_f32_f16 v42, v42;
	;;#ASMEND
	;;#ASMSTART
	v_cvt_f32_f16 v43, v43;
	;;#ASMEND
	v_fmac_f32_e32 v54, v0, v40
	ds_read_b64 v[40:41], v57 offset:48
	v_lshrrev_b32_e32 v38, 16, v38
	v_fmac_f32_e32 v47, v12, v44
	v_fmac_f32_e32 v48, v45, v42
	;; [unrolled: 1-line block ×3, first 2 shown]
	s_waitcnt lgkmcnt(0)
	v_and_b32_e32 v0, 0xffff, v40
	v_lshrrev_b32_e32 v12, 16, v40
	v_lshrrev_b32_e32 v42, 16, v41
	v_and_b32_e32 v41, 0xffff, v41
	;;#ASMSTART
	v_cvt_f32_f16 v0, v0;
	;;#ASMEND
	;;#ASMSTART
	v_cvt_f32_f16 v12, v12;
	;;#ASMEND
	;; [unrolled: 3-line block ×8, first 2 shown]
	ds_read_b64 v[37:38], v57 offset:56
	v_lshrrev_b32_e32 v52, 16, v35
	v_and_b32_e32 v35, 0xffff, v36
	v_lshrrev_b32_e32 v36, 16, v36
	v_fmac_f32_e32 v54, v0, v39
	v_fmac_f32_e32 v47, v12, v40
	s_waitcnt lgkmcnt(0)
	v_and_b32_e32 v0, 0xffff, v37
	v_lshrrev_b32_e32 v12, 16, v37
	v_lshrrev_b32_e32 v40, 16, v38
	v_and_b32_e32 v39, 0xffff, v38
	v_fmac_f32_e32 v48, v41, v43
	v_fmac_f32_e32 v61, v42, v44
	;;#ASMSTART
	v_cvt_f32_f16 v0, v0;
	;;#ASMEND
	;;#ASMSTART
	v_cvt_f32_f16 v12, v12;
	;;#ASMEND
	;; [unrolled: 3-line block ×8, first 2 shown]
	ds_read_b64 v[35:36], v57 offset:64
	v_and_b32_e32 v11, 0xffff, v33
	v_fmac_f32_e32 v54, v0, v37
	v_fmac_f32_e32 v47, v12, v38
	;; [unrolled: 1-line block ×3, first 2 shown]
	s_waitcnt lgkmcnt(0)
	v_and_b32_e32 v0, 0xffff, v35
	v_lshrrev_b32_e32 v12, 16, v35
	;;#ASMSTART
	v_cvt_f32_f16 v0, v0;
	;;#ASMEND
	;;#ASMSTART
	v_cvt_f32_f16 v12, v12;
	;;#ASMEND
	;; [unrolled: 3-line block ×3, first 2 shown]
	v_lshrrev_b32_e32 v11, 16, v33
	;;#ASMSTART
	v_cvt_f32_f16 v37, v11;
	;;#ASMEND
	v_lshrrev_b32_e32 v11, 16, v36
	v_and_b32_e32 v33, 0xffff, v36
	;;#ASMSTART
	v_cvt_f32_f16 v36, v33;
	;;#ASMEND
	;;#ASMSTART
	v_cvt_f32_f16 v38, v11;
	;;#ASMEND
	v_and_b32_e32 v11, 0xffff, v34
	v_fmac_f32_e32 v61, v40, v42
	;;#ASMSTART
	v_cvt_f32_f16 v39, v11;
	;;#ASMEND
	v_lshrrev_b32_e32 v11, 16, v34
	;;#ASMSTART
	v_cvt_f32_f16 v40, v11;
	;;#ASMEND
	ds_read_b64 v[33:34], v57 offset:72
	v_fmac_f32_e32 v54, v0, v35
	v_fmac_f32_e32 v47, v12, v37
	v_fmac_f32_e32 v48, v36, v39
	v_fmac_f32_e32 v61, v38, v40
	s_waitcnt lgkmcnt(0)
	v_and_b32_e32 v0, 0xffff, v33
	v_lshrrev_b32_e32 v11, 16, v33
	;;#ASMSTART
	v_cvt_f32_f16 v0, v0;
	;;#ASMEND
	;;#ASMSTART
	v_cvt_f32_f16 v12, v11;
	;;#ASMEND
	v_and_b32_e32 v11, 0xffff, v31
	;;#ASMSTART
	v_cvt_f32_f16 v33, v11;
	;;#ASMEND
	v_lshrrev_b32_e32 v11, 16, v31
	;;#ASMSTART
	v_cvt_f32_f16 v35, v11;
	;;#ASMEND
	v_lshrrev_b32_e32 v11, 16, v34
	v_and_b32_e32 v31, 0xffff, v34
	;;#ASMSTART
	v_cvt_f32_f16 v34, v31;
	;;#ASMEND
	;;#ASMSTART
	v_cvt_f32_f16 v36, v11;
	;;#ASMEND
	v_and_b32_e32 v11, 0xffff, v32
	;;#ASMSTART
	v_cvt_f32_f16 v37, v11;
	;;#ASMEND
	v_lshrrev_b32_e32 v11, 16, v32
	;;#ASMSTART
	v_cvt_f32_f16 v38, v11;
	;;#ASMEND
	ds_read_b64 v[31:32], v57 offset:80
	v_fmac_f32_e32 v54, v0, v33
	v_fmac_f32_e32 v47, v12, v35
	v_fmac_f32_e32 v48, v34, v37
	v_fmac_f32_e32 v61, v36, v38
	s_waitcnt lgkmcnt(0)
	v_and_b32_e32 v0, 0xffff, v31
	v_lshrrev_b32_e32 v11, 16, v31
	;;#ASMSTART
	v_cvt_f32_f16 v0, v0;
	;;#ASMEND
	;;#ASMSTART
	v_cvt_f32_f16 v12, v11;
	;;#ASMEND
	v_and_b32_e32 v11, 0xffff, v29
	;;#ASMSTART
	v_cvt_f32_f16 v31, v11;
	;;#ASMEND
	v_lshrrev_b32_e32 v11, 16, v29
	;;#ASMSTART
	v_cvt_f32_f16 v33, v11;
	;;#ASMEND
	v_lshrrev_b32_e32 v11, 16, v32
	v_and_b32_e32 v29, 0xffff, v32
	;;#ASMSTART
	v_cvt_f32_f16 v32, v29;
	;;#ASMEND
	;;#ASMSTART
	v_cvt_f32_f16 v34, v11;
	;;#ASMEND
	v_and_b32_e32 v11, 0xffff, v30
	;;#ASMSTART
	v_cvt_f32_f16 v35, v11;
	;;#ASMEND
	v_lshrrev_b32_e32 v11, 16, v30
	;;#ASMSTART
	v_cvt_f32_f16 v36, v11;
	;;#ASMEND
	ds_read_b64 v[29:30], v57 offset:88
	v_fmac_f32_e32 v54, v0, v31
	v_fmac_f32_e32 v47, v12, v33
	v_fmac_f32_e32 v48, v32, v35
	v_fmac_f32_e32 v61, v34, v36
	s_waitcnt lgkmcnt(0)
	v_and_b32_e32 v0, 0xffff, v29
	v_lshrrev_b32_e32 v11, 16, v29
	;;#ASMSTART
	v_cvt_f32_f16 v0, v0;
	;;#ASMEND
	;;#ASMSTART
	v_cvt_f32_f16 v12, v11;
	;;#ASMEND
	v_and_b32_e32 v11, 0xffff, v27
	;;#ASMSTART
	v_cvt_f32_f16 v29, v11;
	;;#ASMEND
	v_lshrrev_b32_e32 v11, 16, v27
	;;#ASMSTART
	v_cvt_f32_f16 v31, v11;
	;;#ASMEND
	v_lshrrev_b32_e32 v11, 16, v30
	v_and_b32_e32 v27, 0xffff, v30
	;;#ASMSTART
	v_cvt_f32_f16 v30, v27;
	;;#ASMEND
	;;#ASMSTART
	v_cvt_f32_f16 v32, v11;
	;;#ASMEND
	v_and_b32_e32 v11, 0xffff, v28
	;;#ASMSTART
	v_cvt_f32_f16 v33, v11;
	;;#ASMEND
	v_lshrrev_b32_e32 v11, 16, v28
	;;#ASMSTART
	v_cvt_f32_f16 v34, v11;
	;;#ASMEND
	ds_read_b64 v[27:28], v57 offset:96
	v_fmac_f32_e32 v54, v0, v29
	v_fmac_f32_e32 v47, v12, v31
	v_fmac_f32_e32 v48, v30, v33
	v_fmac_f32_e32 v61, v32, v34
	s_waitcnt lgkmcnt(0)
	v_and_b32_e32 v0, 0xffff, v27
	v_lshrrev_b32_e32 v11, 16, v27
	;;#ASMSTART
	v_cvt_f32_f16 v0, v0;
	;;#ASMEND
	;;#ASMSTART
	v_cvt_f32_f16 v12, v11;
	;;#ASMEND
	v_and_b32_e32 v11, 0xffff, v25
	;;#ASMSTART
	v_cvt_f32_f16 v27, v11;
	;;#ASMEND
	v_lshrrev_b32_e32 v11, 16, v25
	;;#ASMSTART
	v_cvt_f32_f16 v29, v11;
	;;#ASMEND
	v_lshrrev_b32_e32 v11, 16, v28
	v_and_b32_e32 v25, 0xffff, v28
	;;#ASMSTART
	v_cvt_f32_f16 v28, v25;
	;;#ASMEND
	;;#ASMSTART
	v_cvt_f32_f16 v30, v11;
	;;#ASMEND
	v_and_b32_e32 v11, 0xffff, v26
	;;#ASMSTART
	v_cvt_f32_f16 v31, v11;
	;;#ASMEND
	v_lshrrev_b32_e32 v11, 16, v26
	;;#ASMSTART
	v_cvt_f32_f16 v32, v11;
	;;#ASMEND
	ds_read_b64 v[25:26], v57 offset:104
	v_fmac_f32_e32 v54, v0, v27
	v_fmac_f32_e32 v47, v12, v29
	v_fmac_f32_e32 v48, v28, v31
	v_fmac_f32_e32 v61, v30, v32
	s_waitcnt lgkmcnt(0)
	v_and_b32_e32 v0, 0xffff, v25
	v_lshrrev_b32_e32 v11, 16, v25
	;;#ASMSTART
	v_cvt_f32_f16 v0, v0;
	;;#ASMEND
	;;#ASMSTART
	v_cvt_f32_f16 v12, v11;
	;;#ASMEND
	v_and_b32_e32 v11, 0xffff, v23
	;;#ASMSTART
	v_cvt_f32_f16 v25, v11;
	;;#ASMEND
	v_lshrrev_b32_e32 v11, 16, v23
	;;#ASMSTART
	v_cvt_f32_f16 v27, v11;
	;;#ASMEND
	v_lshrrev_b32_e32 v11, 16, v26
	v_and_b32_e32 v23, 0xffff, v26
	;;#ASMSTART
	v_cvt_f32_f16 v26, v23;
	;;#ASMEND
	;;#ASMSTART
	v_cvt_f32_f16 v28, v11;
	;;#ASMEND
	v_and_b32_e32 v11, 0xffff, v24
	;;#ASMSTART
	v_cvt_f32_f16 v29, v11;
	;;#ASMEND
	v_lshrrev_b32_e32 v11, 16, v24
	;;#ASMSTART
	v_cvt_f32_f16 v30, v11;
	;;#ASMEND
	ds_read_b64 v[23:24], v57 offset:112
	v_fmac_f32_e32 v54, v0, v25
	v_fmac_f32_e32 v47, v12, v27
	v_fmac_f32_e32 v48, v26, v29
	v_fmac_f32_e32 v61, v28, v30
	s_waitcnt lgkmcnt(0)
	v_and_b32_e32 v0, 0xffff, v23
	v_lshrrev_b32_e32 v11, 16, v23
	;;#ASMSTART
	v_cvt_f32_f16 v0, v0;
	;;#ASMEND
	;;#ASMSTART
	v_cvt_f32_f16 v12, v11;
	;;#ASMEND
	v_and_b32_e32 v11, 0xffff, v21
	;;#ASMSTART
	v_cvt_f32_f16 v23, v11;
	;;#ASMEND
	v_lshrrev_b32_e32 v11, 16, v21
	;;#ASMSTART
	v_cvt_f32_f16 v25, v11;
	;;#ASMEND
	v_lshrrev_b32_e32 v11, 16, v24
	v_and_b32_e32 v21, 0xffff, v24
	;;#ASMSTART
	v_cvt_f32_f16 v24, v21;
	;;#ASMEND
	;;#ASMSTART
	v_cvt_f32_f16 v26, v11;
	;;#ASMEND
	v_and_b32_e32 v11, 0xffff, v22
	;;#ASMSTART
	v_cvt_f32_f16 v27, v11;
	;;#ASMEND
	v_lshrrev_b32_e32 v11, 16, v22
	;;#ASMSTART
	v_cvt_f32_f16 v28, v11;
	;;#ASMEND
	ds_read_b64 v[21:22], v57 offset:120
	v_fmac_f32_e32 v54, v0, v23
	v_fmac_f32_e32 v47, v12, v25
	v_fmac_f32_e32 v48, v24, v27
	v_fmac_f32_e32 v61, v26, v28
	s_waitcnt lgkmcnt(0)
	v_and_b32_e32 v0, 0xffff, v21
	v_lshrrev_b32_e32 v11, 16, v21
	;;#ASMSTART
	v_cvt_f32_f16 v0, v0;
	;;#ASMEND
	;;#ASMSTART
	v_cvt_f32_f16 v12, v11;
	;;#ASMEND
	v_and_b32_e32 v11, 0xffff, v19
	;;#ASMSTART
	v_cvt_f32_f16 v21, v11;
	;;#ASMEND
	v_lshrrev_b32_e32 v11, 16, v19
	;;#ASMSTART
	v_cvt_f32_f16 v23, v11;
	;;#ASMEND
	v_lshrrev_b32_e32 v11, 16, v22
	v_and_b32_e32 v19, 0xffff, v22
	;;#ASMSTART
	v_cvt_f32_f16 v22, v19;
	;;#ASMEND
	;;#ASMSTART
	v_cvt_f32_f16 v24, v11;
	;;#ASMEND
	v_and_b32_e32 v11, 0xffff, v20
	;;#ASMSTART
	v_cvt_f32_f16 v25, v11;
	;;#ASMEND
	v_lshrrev_b32_e32 v11, 16, v20
	;;#ASMSTART
	v_cvt_f32_f16 v26, v11;
	;;#ASMEND
	ds_read_b64 v[19:20], v57 offset:128
	v_fmac_f32_e32 v54, v0, v21
	v_fmac_f32_e32 v47, v12, v23
	v_fmac_f32_e32 v48, v22, v25
	v_fmac_f32_e32 v61, v24, v26
	s_waitcnt lgkmcnt(0)
	v_and_b32_e32 v0, 0xffff, v19
	v_lshrrev_b32_e32 v11, 16, v19
	;;#ASMSTART
	v_cvt_f32_f16 v0, v0;
	;;#ASMEND
	;;#ASMSTART
	v_cvt_f32_f16 v12, v11;
	;;#ASMEND
	v_and_b32_e32 v11, 0xffff, v17
	;;#ASMSTART
	v_cvt_f32_f16 v19, v11;
	;;#ASMEND
	v_lshrrev_b32_e32 v11, 16, v17
	;;#ASMSTART
	v_cvt_f32_f16 v21, v11;
	;;#ASMEND
	v_lshrrev_b32_e32 v11, 16, v20
	v_and_b32_e32 v17, 0xffff, v20
	;;#ASMSTART
	v_cvt_f32_f16 v20, v17;
	;;#ASMEND
	;;#ASMSTART
	v_cvt_f32_f16 v22, v11;
	;;#ASMEND
	v_and_b32_e32 v11, 0xffff, v18
	;;#ASMSTART
	v_cvt_f32_f16 v23, v11;
	;;#ASMEND
	v_lshrrev_b32_e32 v11, 16, v18
	;;#ASMSTART
	v_cvt_f32_f16 v24, v11;
	;;#ASMEND
	ds_read_b64 v[17:18], v57 offset:136
	v_fmac_f32_e32 v54, v0, v19
	v_fmac_f32_e32 v47, v12, v21
	v_fmac_f32_e32 v48, v20, v23
	v_fmac_f32_e32 v61, v22, v24
	s_waitcnt lgkmcnt(0)
	v_and_b32_e32 v0, 0xffff, v17
	v_lshrrev_b32_e32 v11, 16, v17
	;;#ASMSTART
	v_cvt_f32_f16 v0, v0;
	;;#ASMEND
	;;#ASMSTART
	v_cvt_f32_f16 v12, v11;
	;;#ASMEND
	v_and_b32_e32 v11, 0xffff, v15
	;;#ASMSTART
	v_cvt_f32_f16 v17, v11;
	;;#ASMEND
	v_lshrrev_b32_e32 v11, 16, v15
	;;#ASMSTART
	v_cvt_f32_f16 v19, v11;
	;;#ASMEND
	v_lshrrev_b32_e32 v11, 16, v18
	v_and_b32_e32 v15, 0xffff, v18
	;;#ASMSTART
	v_cvt_f32_f16 v18, v15;
	;;#ASMEND
	;;#ASMSTART
	v_cvt_f32_f16 v20, v11;
	;;#ASMEND
	v_and_b32_e32 v11, 0xffff, v16
	;;#ASMSTART
	v_cvt_f32_f16 v21, v11;
	;;#ASMEND
	v_lshrrev_b32_e32 v11, 16, v16
	;;#ASMSTART
	v_cvt_f32_f16 v22, v11;
	;;#ASMEND
	ds_read_b64 v[15:16], v57 offset:144
	v_fmac_f32_e32 v54, v0, v17
	v_fmac_f32_e32 v47, v12, v19
	v_fmac_f32_e32 v48, v18, v21
	v_fmac_f32_e32 v61, v20, v22
	s_waitcnt lgkmcnt(0)
	v_and_b32_e32 v0, 0xffff, v15
	v_lshrrev_b32_e32 v11, 16, v15
	;;#ASMSTART
	v_cvt_f32_f16 v0, v0;
	;;#ASMEND
	;;#ASMSTART
	v_cvt_f32_f16 v12, v11;
	;;#ASMEND
	v_and_b32_e32 v11, 0xffff, v13
	;;#ASMSTART
	v_cvt_f32_f16 v15, v11;
	;;#ASMEND
	v_lshrrev_b32_e32 v11, 16, v13
	;;#ASMSTART
	v_cvt_f32_f16 v17, v11;
	;;#ASMEND
	v_lshrrev_b32_e32 v11, 16, v16
	v_and_b32_e32 v13, 0xffff, v16
	;;#ASMSTART
	v_cvt_f32_f16 v16, v13;
	;;#ASMEND
	;;#ASMSTART
	v_cvt_f32_f16 v18, v11;
	;;#ASMEND
	v_and_b32_e32 v11, 0xffff, v14
	;;#ASMSTART
	v_cvt_f32_f16 v19, v11;
	;;#ASMEND
	v_lshrrev_b32_e32 v11, 16, v14
	;;#ASMSTART
	v_cvt_f32_f16 v20, v11;
	;;#ASMEND
	ds_read_b64 v[13:14], v57 offset:152
	v_fmac_f32_e32 v54, v0, v15
	v_fmac_f32_e32 v47, v12, v17
	;; [unrolled: 1-line block ×3, first 2 shown]
	v_lshrrev_b32_e32 v18, 16, v10
	s_waitcnt lgkmcnt(0)
	v_and_b32_e32 v0, 0xffff, v13
	v_lshrrev_b32_e32 v11, 16, v13
	;;#ASMSTART
	v_cvt_f32_f16 v0, v0;
	;;#ASMEND
	;;#ASMSTART
	v_cvt_f32_f16 v12, v11;
	;;#ASMEND
	v_and_b32_e32 v11, 0xffff, v9
	v_lshrrev_b32_e32 v9, 16, v9
	;;#ASMSTART
	v_cvt_f32_f16 v13, v11;
	;;#ASMEND
	;;#ASMSTART
	v_cvt_f32_f16 v15, v9;
	;;#ASMEND
	v_lshrrev_b32_e32 v9, 16, v14
	v_and_b32_e32 v10, 0xffff, v10
	v_fmac_f32_e32 v48, v16, v19
	v_and_b32_e32 v11, 0xffff, v14
	;;#ASMSTART
	v_cvt_f32_f16 v14, v11;
	;;#ASMEND
	;;#ASMSTART
	v_cvt_f32_f16 v16, v9;
	;;#ASMEND
	;; [unrolled: 3-line block ×4, first 2 shown]
	ds_read_b64 v[9:10], v57 offset:160
	v_fmac_f32_e32 v54, v0, v13
	v_fmac_f32_e32 v47, v12, v15
	;; [unrolled: 1-line block ×4, first 2 shown]
	s_waitcnt lgkmcnt(0)
	v_lshrrev_b32_e32 v11, 16, v9
	v_and_b32_e32 v0, 0xffff, v9
	v_and_b32_e32 v9, 0xffff, v3
	;;#ASMSTART
	v_cvt_f32_f16 v0, v0;
	;;#ASMEND
	;;#ASMSTART
	v_cvt_f32_f16 v12, v11;
	;;#ASMEND
	;; [unrolled: 3-line block ×3, first 2 shown]
	v_lshrrev_b32_e32 v3, 16, v3
	v_lshrrev_b32_e32 v9, 16, v10
	;;#ASMSTART
	v_cvt_f32_f16 v3, v3;
	;;#ASMEND
	v_and_b32_e32 v10, 0xffff, v10
	;;#ASMSTART
	v_cvt_f32_f16 v14, v10;
	;;#ASMEND
	;;#ASMSTART
	v_cvt_f32_f16 v15, v9;
	;;#ASMEND
	v_lshrrev_b32_e32 v9, 16, v4
	v_and_b32_e32 v4, 0xffff, v4
	;;#ASMSTART
	v_cvt_f32_f16 v4, v4;
	;;#ASMEND
	;;#ASMSTART
	v_cvt_f32_f16 v16, v9;
	;;#ASMEND
	ds_read_b64 v[9:10], v57 offset:168
	v_fmac_f32_e32 v54, v0, v13
	v_fmac_f32_e32 v47, v12, v3
	;; [unrolled: 1-line block ×3, first 2 shown]
	v_and_b32_e32 v4, 0xffff, v7
	s_waitcnt lgkmcnt(0)
	v_lshrrev_b32_e32 v3, 16, v9
	v_and_b32_e32 v0, 0xffff, v9
	v_lshrrev_b32_e32 v9, 16, v7
	v_lshrrev_b32_e32 v7, 16, v10
	v_and_b32_e32 v10, 0xffff, v10
	;;#ASMSTART
	v_cvt_f32_f16 v0, v0;
	;;#ASMEND
	;;#ASMSTART
	v_cvt_f32_f16 v3, v3;
	;;#ASMEND
	;; [unrolled: 3-line block ×6, first 2 shown]
	v_lshrrev_b32_e32 v7, 16, v8
	v_and_b32_e32 v8, 0xffff, v8
	;;#ASMSTART
	v_cvt_f32_f16 v13, v8;
	;;#ASMEND
	;;#ASMSTART
	v_cvt_f32_f16 v14, v7;
	;;#ASMEND
	ds_read_b64 v[7:8], v57 offset:176
	v_fmac_f32_e32 v54, v0, v4
	v_fmac_f32_e32 v47, v3, v9
	v_and_b32_e32 v4, 0xffff, v5
	v_fmac_f32_e32 v61, v15, v16
	s_waitcnt lgkmcnt(0)
	v_lshrrev_b32_e32 v3, 16, v7
	v_and_b32_e32 v0, 0xffff, v7
	v_lshrrev_b32_e32 v7, 16, v5
	v_lshrrev_b32_e32 v5, 16, v8
	v_and_b32_e32 v8, 0xffff, v8
	;;#ASMSTART
	v_cvt_f32_f16 v0, v0;
	;;#ASMEND
	;;#ASMSTART
	v_cvt_f32_f16 v3, v3;
	;;#ASMEND
	;; [unrolled: 3-line block ×6, first 2 shown]
	v_lshrrev_b32_e32 v5, 16, v6
	v_and_b32_e32 v6, 0xffff, v6
	v_fmac_f32_e32 v48, v10, v13
	v_fmac_f32_e32 v61, v12, v14
	;;#ASMSTART
	v_cvt_f32_f16 v10, v6;
	;;#ASMEND
	;;#ASMSTART
	v_cvt_f32_f16 v12, v5;
	;;#ASMEND
	ds_read_b64 v[5:6], v57 offset:184
	v_fmac_f32_e32 v54, v0, v4
	v_fmac_f32_e32 v47, v3, v7
	;; [unrolled: 1-line block ×4, first 2 shown]
	s_waitcnt lgkmcnt(0)
	v_lshrrev_b32_e32 v3, 16, v5
	v_and_b32_e32 v0, 0xffff, v5
	;;#ASMSTART
	v_cvt_f32_f16 v0, v0;
	;;#ASMEND
	;;#ASMSTART
	v_cvt_f32_f16 v3, v3;
	;;#ASMEND
	buffer_load_dword v7, off, s[48:51], 0  ; 4-byte Folded Reload
	buffer_load_dword v8, off, s[48:51], 0 offset:4 ; 4-byte Folded Reload
	s_waitcnt vmcnt(1)
	v_and_b32_e32 v4, 0xffff, v7
	v_lshrrev_b32_e32 v5, 16, v7
	;;#ASMSTART
	v_cvt_f32_f16 v4, v4;
	;;#ASMEND
	;;#ASMSTART
	v_cvt_f32_f16 v5, v5;
	;;#ASMEND
	v_fmac_f32_e32 v54, v0, v4
	v_fmac_f32_e32 v47, v3, v5
	v_lshrrev_b32_e32 v3, 16, v6
	v_and_b32_e32 v0, 0xffff, v6
	s_waitcnt vmcnt(0)
	v_and_b32_e32 v4, 0xffff, v8
	;;#ASMSTART
	v_cvt_f32_f16 v0, v0;
	;;#ASMEND
	;;#ASMSTART
	v_cvt_f32_f16 v3, v3;
	;;#ASMEND
	v_lshrrev_b32_e32 v5, 16, v8
	;;#ASMSTART
	v_cvt_f32_f16 v4, v4;
	;;#ASMEND
	;;#ASMSTART
	v_cvt_f32_f16 v5, v5;
	;;#ASMEND
	v_fmac_f32_e32 v48, v0, v4
	v_fmac_f32_e32 v61, v3, v5
	buffer_load_dword v4, off, s[48:51], 0 offset:36 ; 4-byte Folded Reload
	buffer_load_dword v3, off, s[48:51], 0 offset:40 ; 4-byte Folded Reload
	v_add_f32_e32 v0, v54, v47
	v_add_f32_e32 v0, v0, v48
	;; [unrolled: 1-line block ×3, first 2 shown]
	s_waitcnt vmcnt(0)
	v_cmp_lt_i32_e32 vcc, v4, v3
	buffer_load_dword v3, off, s[48:51], 0 offset:32 ; 4-byte Folded Reload
	s_waitcnt vmcnt(0)
	v_cndmask_b32_e32 v3, v3, v4, vcc
	v_lshlrev_b32_e32 v3, 2, v3
	ds_bpermute_b32 v3, v3, v0
	s_and_saveexec_b64 s[38:39], s[2:3]
	s_cbranch_execz .LBB97_11
; %bb.19:                               ;   in Loop: Header=BB97_13 Depth=1
	buffer_load_dword v4, off, s[48:51], 0 offset:48 ; 4-byte Folded Reload
	buffer_load_dword v5, off, s[48:51], 0 offset:44 ; 4-byte Folded Reload
	s_waitcnt lgkmcnt(0)
	v_add_f32_e32 v0, v0, v3
	s_waitcnt vmcnt(1)
	v_add_u32_e32 v4, v4, v60
	v_cvt_f32_i32_e32 v4, v4
	v_mul_f32_e32 v3, s42, v4
	buffer_load_dword v4, off, s[48:51], 0 offset:12 ; 4-byte Folded Reload
	s_waitcnt vmcnt(1)
	v_add_u32_e32 v5, v5, v60
	v_cndmask_b32_e64 v3, 0, v3, s[4:5]
	v_fmac_f32_e32 v3, s31, v0
	v_cmp_gt_i32_e32 vcc, s33, v5
	v_cndmask_b32_e32 v0, 0, v3, vcc
	ds_write_b32 v62, v0
	s_waitcnt vmcnt(0)
	v_max_f32_e32 v0, v4, v4
	v_max_f32_e32 v0, v0, v3
	v_cndmask_b32_e32 v4, v4, v0, vcc
	buffer_store_dword v4, off, s[48:51], 0 offset:12 ; 4-byte Folded Spill
	s_branch .LBB97_11
.LBB97_20:
	s_or_b64 exec, exec, s[36:37]
	buffer_load_dword v25, off, s[48:51], 0 offset:52 ; 4-byte Folded Reload
	buffer_load_dword v27, off, s[48:51], 0 offset:56 ; 4-byte Folded Reload
	s_waitcnt lgkmcnt(0)
	buffer_load_dword v3, off, s[48:51], 0 offset:12 ; 4-byte Folded Reload
	v_mbcnt_lo_u32_b32 v6, -1, 0
.LBB97_21:
	s_or_b64 exec, exec, s[34:35]
	v_mbcnt_hi_u32_b32 v1, -1, v6
	s_waitcnt vmcnt(3)
	v_and_b32_e32 v8, 64, v1
	v_add_u32_e32 v9, 64, v8
	v_xor_b32_e32 v0, 32, v1
	v_cmp_lt_i32_e32 vcc, v0, v9
	v_cndmask_b32_e32 v0, v1, v0, vcc
	v_lshlrev_b32_e32 v2, 2, v0
	s_waitcnt vmcnt(0)
	ds_bpermute_b32 v0, v2, v3
	v_xor_b32_e32 v4, 16, v1
	v_max_f32_e32 v3, v3, v3
	v_cmp_lt_i32_e32 vcc, v4, v9
	v_xor_b32_e32 v5, 8, v1
	s_waitcnt lgkmcnt(0)
	v_max_f32_e32 v0, v0, v0
	v_max_f32_e32 v0, v3, v0
	v_cndmask_b32_e32 v3, v1, v4, vcc
	v_lshlrev_b32_e32 v3, 2, v3
	ds_bpermute_b32 v4, v3, v0
	v_cmp_lt_i32_e32 vcc, v5, v9
	v_xor_b32_e32 v6, 4, v1
	v_xor_b32_e32 v7, 2, v1
	s_waitcnt lgkmcnt(0)
	v_max_f32_e32 v4, v4, v4
	v_max_f32_e32 v0, v0, v4
	v_cndmask_b32_e32 v4, v1, v5, vcc
	v_lshlrev_b32_e32 v4, 2, v4
	ds_bpermute_b32 v5, v4, v0
	v_cmp_lt_i32_e32 vcc, v6, v9
	s_waitcnt lgkmcnt(0)
	v_max_f32_e32 v5, v5, v5
	v_max_f32_e32 v0, v0, v5
	v_cndmask_b32_e32 v5, v1, v6, vcc
	v_lshlrev_b32_e32 v5, 2, v5
	ds_bpermute_b32 v6, v5, v0
	v_cmp_lt_i32_e32 vcc, v7, v9
	s_waitcnt lgkmcnt(0)
	v_max_f32_e32 v6, v6, v6
	v_max_f32_e32 v0, v0, v6
	v_cndmask_b32_e32 v6, v1, v7, vcc
	v_lshlrev_b32_e32 v10, 2, v6
	buffer_load_dword v6, off, s[48:51], 0 offset:8 ; 4-byte Folded Reload
	ds_bpermute_b32 v7, v10, v0
	s_waitcnt vmcnt(0)
	v_and_b32_e32 v26, 63, v6
	v_cmp_eq_u32_e32 vcc, 0, v26
	v_lshlrev_b32_e32 v6, 2, v11
	s_and_saveexec_b64 s[2:3], vcc
	s_cbranch_execz .LBB97_23
; %bb.22:
	s_waitcnt lgkmcnt(0)
	v_max_f32_e32 v7, v7, v7
	v_max_f32_e32 v0, v0, v0
	;; [unrolled: 1-line block ×3, first 2 shown]
	ds_write_b32 v6, v0 offset:384
.LBB97_23:
	s_or_b64 exec, exec, s[2:3]
	v_cmp_gt_u32_e64 s[2:3], 2, v26
	v_mov_b32_e32 v0, 0xff7fffff
	s_waitcnt lgkmcnt(0)
	v_lshlrev_b32_e32 v7, 2, v26
	s_barrier
	s_and_saveexec_b64 s[4:5], s[2:3]
; %bb.24:
	ds_read_b32 v0, v7 offset:384
; %bb.25:
	s_or_b64 exec, exec, s[4:5]
	v_xor_b32_e32 v12, 1, v1
	v_cmp_lt_i32_e64 s[4:5], v12, v9
	v_cndmask_b32_e64 v9, v1, v12, s[4:5]
	v_lshlrev_b32_e32 v53, 2, v9
	s_waitcnt lgkmcnt(0)
	ds_bpermute_b32 v9, v53, v0
	v_max_f32_e32 v0, v0, v0
	v_lshlrev_b32_e32 v8, 2, v8
	s_lshl_b32 s4, s16, 5
	s_min_i32 s15, s4, s33
	s_waitcnt lgkmcnt(0)
	v_max_f32_e32 v9, v9, v9
	v_max_f32_e32 v0, v0, v9
	ds_bpermute_b32 v8, v8, v0
	buffer_load_dword v0, off, s[48:51], 0 offset:8 ; 4-byte Folded Reload
	s_waitcnt vmcnt(0)
	v_cmp_gt_i32_e64 s[4:5], s15, v0
	v_mov_b32_e32 v0, 0
	s_and_saveexec_b64 s[30:31], s[4:5]
	s_cbranch_execz .LBB97_29
; %bb.26:
	buffer_load_dword v12, off, s[48:51], 0 offset:8 ; 4-byte Folded Reload
	v_mov_b32_e32 v0, 0x190
	s_mov_b64 s[34:35], 0
	s_waitcnt vmcnt(0)
	v_lshl_add_u32 v9, v12, 2, v0
	v_mov_b32_e32 v0, 0
.LBB97_27:                              ; =>This Inner Loop Header: Depth=1
	ds_read_b32 v13, v9
	v_add_u32_e32 v12, 0x80, v12
	v_cmp_le_i32_e64 s[6:7], s15, v12
	s_or_b64 s[34:35], s[6:7], s[34:35]
	s_waitcnt lgkmcnt(0)
	v_sub_f32_e32 v13, v13, v8
	v_mul_f32_e32 v13, 0x3fb8aa3b, v13
	v_exp_f32_e32 v13, v13
	ds_write_b32 v9, v13
	v_add_f32_e32 v0, v0, v13
	v_add_u32_e32 v9, 0x200, v9
	s_andn2_b64 exec, exec, s[34:35]
	s_cbranch_execnz .LBB97_27
; %bb.28:
	s_or_b64 exec, exec, s[34:35]
.LBB97_29:
	s_or_b64 exec, exec, s[30:31]
	ds_bpermute_b32 v2, v2, v0
	s_waitcnt lgkmcnt(0)
	v_add_f32_e32 v0, v0, v2
	ds_bpermute_b32 v2, v3, v0
	s_waitcnt lgkmcnt(0)
	v_add_f32_e32 v0, v0, v2
	;; [unrolled: 3-line block ×6, first 2 shown]
	s_and_saveexec_b64 s[6:7], vcc
; %bb.30:
	ds_write_b32 v6, v0 offset:392
; %bb.31:
	s_or_b64 exec, exec, s[6:7]
	s_waitcnt lgkmcnt(0)
	s_barrier
	s_and_saveexec_b64 s[6:7], s[2:3]
; %bb.32:
	ds_read_b32 v0, v7 offset:392
; %bb.33:
	s_or_b64 exec, exec, s[6:7]
	s_waitcnt lgkmcnt(0)
	ds_bpermute_b32 v2, v53, v0
	v_lshlrev_b32_e32 v1, 2, v1
	v_and_b32_e32 v1, 0x100, v1
	s_waitcnt lgkmcnt(0)
	v_add_f32_e32 v0, v0, v2
	ds_bpermute_b32 v0, v1, v0
	s_and_saveexec_b64 s[2:3], s[4:5]
	s_cbranch_execz .LBB97_36
; %bb.34:
	s_waitcnt lgkmcnt(0)
	v_add_f32_e32 v1, 0x358637bd, v0
	v_div_scale_f32 v0, s[4:5], v1, v1, 1.0
	v_div_scale_f32 v2, vcc, 1.0, v1, 1.0
	s_mov_b64 s[4:5], 0
	v_rcp_f32_e32 v3, v0
	v_fma_f32 v4, -v0, v3, 1.0
	v_fmac_f32_e32 v3, v4, v3
	v_mul_f32_e32 v4, v2, v3
	v_fma_f32 v5, -v0, v4, v2
	v_fmac_f32_e32 v4, v5, v3
	v_fma_f32 v0, -v0, v4, v2
	v_div_fmas_f32 v2, v0, v3, v4
	buffer_load_dword v3, off, s[48:51], 0 offset:8 ; 4-byte Folded Reload
	v_mov_b32_e32 v0, 0x190
	v_div_fixup_f32 v1, v2, v1, 1.0
	s_waitcnt vmcnt(0)
	v_lshl_add_u32 v0, v3, 2, v0
	v_mov_b32_e32 v2, v3
.LBB97_35:                              ; =>This Inner Loop Header: Depth=1
	ds_read_b32 v3, v0
	v_add_u32_e32 v2, 0x80, v2
	v_cmp_le_i32_e32 vcc, s15, v2
	s_or_b64 s[4:5], vcc, s[4:5]
	s_waitcnt lgkmcnt(0)
	v_mul_f32_e32 v3, v1, v3
	ds_write_b32 v0, v3
	v_add_u32_e32 v0, 0x200, v0
	s_andn2_b64 exec, exec, s[4:5]
	s_cbranch_execnz .LBB97_35
.LBB97_36:
	s_or_b64 exec, exec, s[2:3]
	s_waitcnt lgkmcnt(0)
	s_barrier
	buffer_load_dword v0, off, s[48:51], 0 offset:8 ; 4-byte Folded Reload
	v_mov_b32_e32 v23, 0
	v_mov_b32_e32 v24, 0
	;; [unrolled: 1-line block ×12, first 2 shown]
	s_waitcnt vmcnt(0)
	v_and_b32_e32 v30, 3, v0
	s_and_saveexec_b64 s[2:3], s[0:1]
	s_cbranch_execz .LBB97_66
; %bb.37:
	v_and_b32_e32 v1, 24, v25
	buffer_store_dword v1, off, s[48:51], 0 ; 4-byte Folded Spill
	buffer_load_dword v1, off, s[48:51], 0 offset:8 ; 4-byte Folded Reload
	s_ashr_i32 s15, s14, 31
	s_sub_i32 s17, s12, s17
	s_lshl_b64 s[0:1], s[14:15], 1
	s_add_u32 s0, s28, s0
	s_addc_u32 s1, s29, s1
	s_abs_i32 s14, s18
	v_cvt_f32_u32_e32 v0, s14
	s_sub_i32 s4, 0, s14
	s_add_i32 s18, s16, -1
	v_mov_b32_e32 v4, s1
	v_rcp_iflag_f32_e32 v0, v0
	v_and_b32_e32 v2, 60, v27
	buffer_store_dword v26, off, s[48:51], 0 offset:20 ; 4-byte Folded Spill
	s_mov_b32 s15, s13
	v_mul_f32_e32 v0, 0x4f7ffffe, v0
	v_cvt_u32_f32_e32 v0, v0
	v_mov_b32_e32 v26, 0
	buffer_store_dword v30, off, s[48:51], 0 offset:24 ; 4-byte Folded Spill
	v_mov_b32_e32 v13, 0
	v_mul_lo_u32 v3, s4, v0
	s_mov_b64 s[4:5], 0
	v_mov_b32_e32 v14, 0
	v_mov_b32_e32 v15, 0
	v_mul_hi_u32 v3, v0, v3
	v_mov_b32_e32 v16, 0
	v_mov_b32_e32 v17, 0
	;; [unrolled: 1-line block ×3, first 2 shown]
	v_add_u32_e32 v29, v0, v3
	v_mov_b32_e32 v19, 0
	v_mov_b32_e32 v20, 0
	;; [unrolled: 1-line block ×6, first 2 shown]
	s_waitcnt vmcnt(2)
	v_lshlrev_b32_e32 v1, 4, v1
	v_and_b32_e32 v1, 0x3f0, v1
	v_add_co_u32_e32 v1, vcc, s0, v1
	s_lshl_b64 s[0:1], s[26:27], 2
	s_add_u32 s0, s24, s0
	v_addc_co_u32_e32 v28, vcc, 0, v4, vcc
	s_addc_u32 s1, s25, s1
	v_mov_b32_e32 v0, s1
	v_add_co_u32_e32 v5, vcc, s0, v2
	v_addc_co_u32_e32 v6, vcc, 0, v0, vcc
	v_lshlrev_b32_e32 v0, 5, v30
	v_lshl_or_b32 v0, v11, 7, v0
	v_add_u32_e32 v30, 0x190, v0
	s_mov_b32 s24, 0xffff
	buffer_store_dword v1, off, s[48:51], 0 offset:12 ; 4-byte Folded Spill
	s_branch .LBB97_40
.LBB97_38:                              ;   in Loop: Header=BB97_40 Depth=1
	s_or_b64 exec, exec, s[12:13]
	v_add_f32_e32 v0, v25, v0
	v_add_f32_e32 v14, v14, v0
	;; [unrolled: 1-line block ×22, first 2 shown]
	v_lshlrev_b32_e32 v0, 16, v9
	v_and_or_b32 v0, v1, s24, v0
	v_lshlrev_b32_e32 v1, 16, v8
	v_and_or_b32 v1, v2, s24, v1
	;; [unrolled: 2-line block ×3, first 2 shown]
	;;#ASMSTART
	v_pk_mul_f16 v0, v37, v0;

	;;#ASMEND
	;;#ASMSTART
	v_pk_mul_f16 v1, v38, v1;

	;;#ASMEND
	;; [unrolled: 4-line block ×4, first 2 shown]
	;;#ASMSTART
	v_pk_add_f16 v0, v0, v1;

	;;#ASMEND
	;;#ASMSTART
	v_pk_add_f16 v0, v0, v2;

	;;#ASMEND
	;; [unrolled: 4-line block ×3, first 2 shown]
	v_lshrrev_b32_e32 v1, 16, v0
	v_and_b32_e32 v0, 0xffff, v0
	;;#ASMSTART
	v_cvt_f32_f16 v0, v0;
	;;#ASMEND
	;;#ASMSTART
	v_cvt_f32_f16 v1, v1;
	;;#ASMEND
	v_add_f32_e32 v0, v0, v1
	v_add_f32_e32 v13, v13, v0
.LBB97_39:                              ;   in Loop: Header=BB97_40 Depth=1
	s_or_b64 exec, exec, s[6:7]
	v_add_co_u32_e32 v5, vcc, 8, v5
	v_add_u32_e32 v11, 2, v11
	v_addc_co_u32_e32 v6, vcc, 0, v6, vcc
	v_cmp_le_i32_e32 vcc, s16, v11
	v_add_u32_e32 v50, 64, v50
	s_or_b64 s[4:5], vcc, s[4:5]
	v_add_u32_e32 v30, 0x100, v30
	s_andn2_b64 exec, exec, s[4:5]
	s_cbranch_execz .LBB97_65
.LBB97_40:                              ; =>This Inner Loop Header: Depth=1
	v_mul_hi_u32 v0, v50, s40
	v_mul_lo_u32 v1, v0, s21
	v_add_u32_e32 v2, 1, v0
	v_sub_u32_e32 v1, v50, v1
	v_cmp_le_u32_e32 vcc, s21, v1
	v_cndmask_b32_e32 v0, v0, v2, vcc
	v_subrev_u32_e32 v2, s21, v1
	v_cndmask_b32_e32 v1, v1, v2, vcc
	v_add_u32_e32 v2, 1, v0
	v_cmp_le_u32_e32 vcc, s21, v1
	v_cndmask_b32_e32 v0, v0, v2, vcc
	v_xor_b32_e32 v0, s19, v0
	v_subrev_u32_e32 v0, s19, v0
	v_add_u32_e32 v1, s41, v0
	v_sub_u32_e32 v2, 0, v1
	v_max_i32_e32 v2, v1, v2
	v_mul_hi_u32 v3, v2, v29
	v_ashrrev_i32_e32 v1, 31, v1
	v_cmp_lt_i32_e64 s[0:1], s17, v0
	v_mul_lo_u32 v3, v3, s14
	v_sub_u32_e32 v2, v2, v3
	v_subrev_u32_e32 v3, s14, v2
	v_cmp_le_u32_e32 vcc, s14, v2
	v_cndmask_b32_e32 v2, v2, v3, vcc
	v_subrev_u32_e32 v3, s14, v2
	v_cmp_le_u32_e32 vcc, s14, v2
	v_cndmask_b32_e32 v2, v2, v3, vcc
	v_xor_b32_e32 v2, v2, v1
	v_sub_u32_e32 v1, v2, v1
	v_cmp_eq_u32_e32 vcc, 0, v1
	s_or_b64 s[0:1], vcc, s[0:1]
	s_and_saveexec_b64 s[6:7], s[0:1]
	s_cbranch_execz .LBB97_39
; %bb.41:                               ;   in Loop: Header=BB97_40 Depth=1
	global_load_dword v4, v[5:6], off
	ds_read2_b64 v[0:3], v30 offset1:1
	ds_read2_b64 v[31:34], v30 offset0:2 offset1:3
	s_waitcnt lgkmcnt(1)
	;;#ASMSTART
	v_cvt_f16_f32 v12, v0;

	;;#ASMEND
	;;#ASMSTART
	v_cvt_f16_f32 v35, v1;

	;;#ASMEND
	;; [unrolled: 4-line block ×4, first 2 shown]
	s_waitcnt lgkmcnt(0)
	;;#ASMSTART
	v_cvt_f16_f32 v43, v31;

	;;#ASMEND
	;;#ASMSTART
	v_cvt_f16_f32 v44, v32;

	;;#ASMEND
	;;#ASMSTART
	v_cvt_f16_f32 v45, v33;

	;;#ASMEND
	;;#ASMSTART
	v_cvt_f16_f32 v46, v34;

	;;#ASMEND
	buffer_load_dword v2, off, s[48:51], 0 offset:12 ; 4-byte Folded Reload
	s_waitcnt vmcnt(1)
	v_mad_i64_i32 v[0:1], s[0:1], v4, s15, 0
	v_cmp_eq_u32_e64 s[0:1], s18, v11
	v_lshlrev_b64 v[0:1], 1, v[0:1]
	s_waitcnt vmcnt(0)
	v_add_co_u32_e32 v7, vcc, v2, v0
	v_addc_co_u32_e32 v8, vcc, v28, v1, vcc
	buffer_load_dword v0, off, s[48:51], 0  ; 4-byte Folded Reload
	global_load_dwordx4 v[1:4], v[7:8], off
	s_waitcnt vmcnt(1)
	v_add_u32_e32 v31, v0, v50
	v_add_u32_e32 v42, 1, v31
	;; [unrolled: 1-line block ×7, first 2 shown]
	s_waitcnt vmcnt(0)
	v_lshrrev_b32_e32 v25, 16, v1
	v_lshrrev_b32_e32 v9, 16, v2
	;; [unrolled: 1-line block ×3, first 2 shown]
	v_add_u32_e32 v32, 7, v31
	s_and_saveexec_b64 s[12:13], s[0:1]
	s_cbranch_execz .LBB97_43
; %bb.42:                               ;   in Loop: Header=BB97_40 Depth=1
	v_cmp_gt_i32_e32 vcc, s33, v31
	v_cndmask_b32_e32 v1, 0, v1, vcc
	v_cmp_gt_i32_e32 vcc, s33, v42
	v_cndmask_b32_e32 v25, 0, v25, vcc
	;; [unrolled: 2-line block ×6, first 2 shown]
	v_cmp_gt_i32_e32 vcc, s33, v33
	v_cndmask_b32_sdwa v37, v26, v4, vcc dst_sel:DWORD dst_unused:UNUSED_PAD src0_sel:DWORD src1_sel:WORD_0
	v_and_b32_e32 v4, 0xffff0000, v4
	v_cmp_gt_i32_e32 vcc, s33, v32
	v_cndmask_b32_e32 v4, 0, v4, vcc
	v_or_b32_e32 v4, v37, v4
.LBB97_43:                              ;   in Loop: Header=BB97_40 Depth=1
	s_or_b64 exec, exec, s[12:13]
	v_and_b32_e32 v12, 0xffff, v12
	v_lshl_or_b32 v37, v35, 16, v12
	v_and_b32_e32 v12, 0xffff, v38
	v_lshl_or_b32 v38, v39, 16, v12
	;; [unrolled: 2-line block ×4, first 2 shown]
	v_lshlrev_b32_e32 v12, 16, v25
	v_lshlrev_b32_e32 v9, 16, v9
	;; [unrolled: 1-line block ×3, first 2 shown]
	v_and_or_b32 v1, v1, s24, v12
	v_and_or_b32 v2, v2, s24, v9
	v_and_or_b32 v0, v3, s24, v0
	;;#ASMSTART
	v_pk_mul_f16 v1, v37, v1;

	;;#ASMEND
	;;#ASMSTART
	v_pk_mul_f16 v2, v38, v2;

	;;#ASMEND
	;; [unrolled: 4-line block ×4, first 2 shown]
	;;#ASMSTART
	v_pk_add_f16 v1, v1, v2;

	;;#ASMEND
	;;#ASMSTART
	v_pk_add_f16 v0, v1, v0;

	;;#ASMEND
	;; [unrolled: 4-line block ×3, first 2 shown]
	v_lshrrev_b32_e32 v1, 16, v0
	v_and_b32_e32 v0, 0xffff, v0
	;;#ASMSTART
	v_cvt_f32_f16 v43, v0;
	;;#ASMEND
	;;#ASMSTART
	v_cvt_f32_f16 v44, v1;
	;;#ASMEND
	global_load_dwordx4 v[1:4], v[7:8], off offset:1024
	s_waitcnt vmcnt(0)
	v_lshrrev_b32_e32 v12, 16, v1
	v_lshrrev_b32_e32 v9, 16, v2
	;; [unrolled: 1-line block ×3, first 2 shown]
	s_and_saveexec_b64 s[12:13], s[0:1]
	s_cbranch_execz .LBB97_45
; %bb.44:                               ;   in Loop: Header=BB97_40 Depth=1
	v_cmp_gt_i32_e32 vcc, s33, v31
	v_cndmask_b32_e32 v1, 0, v1, vcc
	v_cmp_gt_i32_e32 vcc, s33, v42
	v_cndmask_b32_e32 v12, 0, v12, vcc
	;; [unrolled: 2-line block ×6, first 2 shown]
	v_cmp_gt_i32_e32 vcc, s33, v33
	v_cndmask_b32_sdwa v25, v26, v4, vcc dst_sel:DWORD dst_unused:UNUSED_PAD src0_sel:DWORD src1_sel:WORD_0
	v_and_b32_e32 v4, 0xffff0000, v4
	v_cmp_gt_i32_e32 vcc, s33, v32
	v_cndmask_b32_e32 v4, 0, v4, vcc
	v_or_b32_e32 v4, v25, v4
.LBB97_45:                              ;   in Loop: Header=BB97_40 Depth=1
	s_or_b64 exec, exec, s[12:13]
	v_lshlrev_b32_e32 v12, 16, v12
	v_lshlrev_b32_e32 v9, 16, v9
	;; [unrolled: 1-line block ×3, first 2 shown]
	v_and_or_b32 v1, v1, s24, v12
	v_and_or_b32 v2, v2, s24, v9
	;; [unrolled: 1-line block ×3, first 2 shown]
	;;#ASMSTART
	v_pk_mul_f16 v1, v37, v1;

	;;#ASMEND
	;;#ASMSTART
	v_pk_mul_f16 v2, v38, v2;

	;;#ASMEND
	;;#ASMSTART
	v_pk_mul_f16 v0, v39, v0;

	;;#ASMEND
	;;#ASMSTART
	v_pk_mul_f16 v3, v35, v4;

	;;#ASMEND
	;;#ASMSTART
	v_pk_add_f16 v1, v1, v2;

	;;#ASMEND
	;;#ASMSTART
	v_pk_add_f16 v0, v1, v0;

	;;#ASMEND
	;; [unrolled: 4-line block ×3, first 2 shown]
	v_lshrrev_b32_e32 v1, 16, v0
	v_and_b32_e32 v0, 0xffff, v0
	;;#ASMSTART
	v_cvt_f32_f16 v45, v0;
	;;#ASMEND
	;;#ASMSTART
	v_cvt_f32_f16 v46, v1;
	;;#ASMEND
	global_load_dwordx4 v[1:4], v[7:8], off offset:2048
	s_waitcnt vmcnt(0)
	v_lshrrev_b32_e32 v12, 16, v1
	v_lshrrev_b32_e32 v9, 16, v2
	;; [unrolled: 1-line block ×3, first 2 shown]
	s_and_saveexec_b64 s[12:13], s[0:1]
	s_cbranch_execz .LBB97_47
; %bb.46:                               ;   in Loop: Header=BB97_40 Depth=1
	v_cmp_gt_i32_e32 vcc, s33, v31
	v_cndmask_b32_e32 v1, 0, v1, vcc
	v_cmp_gt_i32_e32 vcc, s33, v42
	v_cndmask_b32_e32 v12, 0, v12, vcc
	v_cmp_gt_i32_e32 vcc, s33, v41
	v_cndmask_b32_e32 v2, 0, v2, vcc
	v_cmp_gt_i32_e32 vcc, s33, v40
	v_cndmask_b32_e32 v9, 0, v9, vcc
	v_cmp_gt_i32_e32 vcc, s33, v36
	v_cndmask_b32_e32 v3, 0, v3, vcc
	v_cmp_gt_i32_e32 vcc, s33, v34
	v_cndmask_b32_e32 v0, 0, v0, vcc
	v_cmp_gt_i32_e32 vcc, s33, v33
	v_cndmask_b32_sdwa v25, v26, v4, vcc dst_sel:DWORD dst_unused:UNUSED_PAD src0_sel:DWORD src1_sel:WORD_0
	v_and_b32_e32 v4, 0xffff0000, v4
	v_cmp_gt_i32_e32 vcc, s33, v32
	v_cndmask_b32_e32 v4, 0, v4, vcc
	v_or_b32_e32 v4, v25, v4
.LBB97_47:                              ;   in Loop: Header=BB97_40 Depth=1
	s_or_b64 exec, exec, s[12:13]
	v_lshlrev_b32_e32 v12, 16, v12
	v_lshlrev_b32_e32 v9, 16, v9
	;; [unrolled: 1-line block ×3, first 2 shown]
	v_and_or_b32 v1, v1, s24, v12
	v_and_or_b32 v2, v2, s24, v9
	;; [unrolled: 1-line block ×3, first 2 shown]
	;;#ASMSTART
	v_pk_mul_f16 v1, v37, v1;

	;;#ASMEND
	;;#ASMSTART
	v_pk_mul_f16 v2, v38, v2;

	;;#ASMEND
	;; [unrolled: 4-line block ×4, first 2 shown]
	;;#ASMSTART
	v_pk_add_f16 v1, v1, v2;

	;;#ASMEND
	;;#ASMSTART
	v_pk_add_f16 v0, v1, v0;

	;;#ASMEND
	;; [unrolled: 4-line block ×3, first 2 shown]
	v_lshrrev_b32_e32 v1, 16, v0
	v_and_b32_e32 v0, 0xffff, v0
	;;#ASMSTART
	v_cvt_f32_f16 v47, v0;
	;;#ASMEND
	;;#ASMSTART
	v_cvt_f32_f16 v48, v1;
	;;#ASMEND
	global_load_dwordx4 v[1:4], v[7:8], off offset:3072
	s_waitcnt vmcnt(0)
	v_lshrrev_b32_e32 v12, 16, v1
	v_lshrrev_b32_e32 v9, 16, v2
	v_lshrrev_b32_e32 v0, 16, v3
	s_and_saveexec_b64 s[12:13], s[0:1]
	s_cbranch_execz .LBB97_49
; %bb.48:                               ;   in Loop: Header=BB97_40 Depth=1
	v_cmp_gt_i32_e32 vcc, s33, v31
	v_cndmask_b32_e32 v1, 0, v1, vcc
	v_cmp_gt_i32_e32 vcc, s33, v42
	v_cndmask_b32_e32 v12, 0, v12, vcc
	;; [unrolled: 2-line block ×6, first 2 shown]
	v_cmp_gt_i32_e32 vcc, s33, v33
	v_cndmask_b32_sdwa v25, v26, v4, vcc dst_sel:DWORD dst_unused:UNUSED_PAD src0_sel:DWORD src1_sel:WORD_0
	v_and_b32_e32 v4, 0xffff0000, v4
	v_cmp_gt_i32_e32 vcc, s33, v32
	v_cndmask_b32_e32 v4, 0, v4, vcc
	v_or_b32_e32 v4, v25, v4
.LBB97_49:                              ;   in Loop: Header=BB97_40 Depth=1
	s_or_b64 exec, exec, s[12:13]
	v_lshlrev_b32_e32 v12, 16, v12
	v_lshlrev_b32_e32 v9, 16, v9
	;; [unrolled: 1-line block ×3, first 2 shown]
	v_and_or_b32 v1, v1, s24, v12
	v_and_or_b32 v2, v2, s24, v9
	;; [unrolled: 1-line block ×3, first 2 shown]
	;;#ASMSTART
	v_pk_mul_f16 v1, v37, v1;

	;;#ASMEND
	;;#ASMSTART
	v_pk_mul_f16 v2, v38, v2;

	;;#ASMEND
	;; [unrolled: 4-line block ×4, first 2 shown]
	;;#ASMSTART
	v_pk_add_f16 v1, v1, v2;

	;;#ASMEND
	;;#ASMSTART
	v_pk_add_f16 v0, v1, v0;

	;;#ASMEND
	;; [unrolled: 4-line block ×3, first 2 shown]
	v_lshrrev_b32_e32 v1, 16, v0
	v_and_b32_e32 v0, 0xffff, v0
	;;#ASMSTART
	v_cvt_f32_f16 v49, v0;
	;;#ASMEND
	v_add_co_u32_e32 v0, vcc, 0x1000, v7
	;;#ASMSTART
	v_cvt_f32_f16 v51, v1;
	;;#ASMEND
	v_addc_co_u32_e32 v1, vcc, 0, v8, vcc
	global_load_dwordx4 v[1:4], v[0:1], off
	s_waitcnt vmcnt(0)
	v_lshrrev_b32_e32 v12, 16, v1
	v_lshrrev_b32_e32 v9, 16, v2
	;; [unrolled: 1-line block ×3, first 2 shown]
	s_and_saveexec_b64 s[12:13], s[0:1]
	s_cbranch_execz .LBB97_51
; %bb.50:                               ;   in Loop: Header=BB97_40 Depth=1
	v_cmp_gt_i32_e32 vcc, s33, v31
	v_cndmask_b32_e32 v1, 0, v1, vcc
	v_cmp_gt_i32_e32 vcc, s33, v42
	v_cndmask_b32_e32 v12, 0, v12, vcc
	v_cmp_gt_i32_e32 vcc, s33, v41
	v_cndmask_b32_e32 v2, 0, v2, vcc
	v_cmp_gt_i32_e32 vcc, s33, v40
	v_cndmask_b32_e32 v9, 0, v9, vcc
	v_cmp_gt_i32_e32 vcc, s33, v36
	v_cndmask_b32_e32 v3, 0, v3, vcc
	v_cmp_gt_i32_e32 vcc, s33, v34
	v_cndmask_b32_e32 v0, 0, v0, vcc
	v_cmp_gt_i32_e32 vcc, s33, v33
	v_cndmask_b32_sdwa v25, v26, v4, vcc dst_sel:DWORD dst_unused:UNUSED_PAD src0_sel:DWORD src1_sel:WORD_0
	v_and_b32_e32 v4, 0xffff0000, v4
	v_cmp_gt_i32_e32 vcc, s33, v32
	v_cndmask_b32_e32 v4, 0, v4, vcc
	v_or_b32_e32 v4, v25, v4
.LBB97_51:                              ;   in Loop: Header=BB97_40 Depth=1
	s_or_b64 exec, exec, s[12:13]
	v_lshlrev_b32_e32 v12, 16, v12
	v_lshlrev_b32_e32 v9, 16, v9
	;; [unrolled: 1-line block ×3, first 2 shown]
	v_and_or_b32 v1, v1, s24, v12
	v_and_or_b32 v2, v2, s24, v9
	v_and_or_b32 v0, v3, s24, v0
	;;#ASMSTART
	v_pk_mul_f16 v1, v37, v1;

	;;#ASMEND
	;;#ASMSTART
	v_pk_mul_f16 v2, v38, v2;

	;;#ASMEND
	;; [unrolled: 4-line block ×4, first 2 shown]
	;;#ASMSTART
	v_pk_add_f16 v1, v1, v2;

	;;#ASMEND
	;;#ASMSTART
	v_pk_add_f16 v0, v1, v0;

	;;#ASMEND
	;; [unrolled: 4-line block ×3, first 2 shown]
	v_lshrrev_b32_e32 v1, 16, v0
	v_and_b32_e32 v0, 0xffff, v0
	;;#ASMSTART
	v_cvt_f32_f16 v52, v0;
	;;#ASMEND
	v_add_co_u32_e32 v0, vcc, 0x1000, v7
	;;#ASMSTART
	v_cvt_f32_f16 v54, v1;
	;;#ASMEND
	v_addc_co_u32_e32 v1, vcc, 0, v8, vcc
	global_load_dwordx4 v[1:4], v[0:1], off offset:1024
	s_waitcnt vmcnt(0)
	v_lshrrev_b32_e32 v12, 16, v1
	v_lshrrev_b32_e32 v9, 16, v2
	;; [unrolled: 1-line block ×3, first 2 shown]
	s_and_saveexec_b64 s[12:13], s[0:1]
	s_cbranch_execz .LBB97_53
; %bb.52:                               ;   in Loop: Header=BB97_40 Depth=1
	v_cmp_gt_i32_e32 vcc, s33, v31
	v_cndmask_b32_e32 v1, 0, v1, vcc
	v_cmp_gt_i32_e32 vcc, s33, v42
	v_cndmask_b32_e32 v12, 0, v12, vcc
	;; [unrolled: 2-line block ×6, first 2 shown]
	v_cmp_gt_i32_e32 vcc, s33, v33
	v_cndmask_b32_sdwa v25, v26, v4, vcc dst_sel:DWORD dst_unused:UNUSED_PAD src0_sel:DWORD src1_sel:WORD_0
	v_and_b32_e32 v4, 0xffff0000, v4
	v_cmp_gt_i32_e32 vcc, s33, v32
	v_cndmask_b32_e32 v4, 0, v4, vcc
	v_or_b32_e32 v4, v25, v4
.LBB97_53:                              ;   in Loop: Header=BB97_40 Depth=1
	s_or_b64 exec, exec, s[12:13]
	v_lshlrev_b32_e32 v12, 16, v12
	v_lshlrev_b32_e32 v9, 16, v9
	;; [unrolled: 1-line block ×3, first 2 shown]
	v_and_or_b32 v1, v1, s24, v12
	v_and_or_b32 v2, v2, s24, v9
	;; [unrolled: 1-line block ×3, first 2 shown]
	;;#ASMSTART
	v_pk_mul_f16 v1, v37, v1;

	;;#ASMEND
	;;#ASMSTART
	v_pk_mul_f16 v2, v38, v2;

	;;#ASMEND
	;; [unrolled: 4-line block ×4, first 2 shown]
	;;#ASMSTART
	v_pk_add_f16 v1, v1, v2;

	;;#ASMEND
	;;#ASMSTART
	v_pk_add_f16 v0, v1, v0;

	;;#ASMEND
	;; [unrolled: 4-line block ×3, first 2 shown]
	v_lshrrev_b32_e32 v1, 16, v0
	v_and_b32_e32 v0, 0xffff, v0
	;;#ASMSTART
	v_cvt_f32_f16 v55, v0;
	;;#ASMEND
	v_add_co_u32_e32 v0, vcc, 0x1000, v7
	;;#ASMSTART
	v_cvt_f32_f16 v56, v1;
	;;#ASMEND
	v_addc_co_u32_e32 v1, vcc, 0, v8, vcc
	global_load_dwordx4 v[1:4], v[0:1], off offset:2048
	s_waitcnt vmcnt(0)
	v_lshrrev_b32_e32 v12, 16, v1
	v_lshrrev_b32_e32 v9, 16, v2
	;; [unrolled: 1-line block ×3, first 2 shown]
	s_and_saveexec_b64 s[12:13], s[0:1]
	s_cbranch_execz .LBB97_55
; %bb.54:                               ;   in Loop: Header=BB97_40 Depth=1
	v_cmp_gt_i32_e32 vcc, s33, v31
	v_cndmask_b32_e32 v1, 0, v1, vcc
	v_cmp_gt_i32_e32 vcc, s33, v42
	v_cndmask_b32_e32 v12, 0, v12, vcc
	;; [unrolled: 2-line block ×6, first 2 shown]
	v_cmp_gt_i32_e32 vcc, s33, v33
	v_cndmask_b32_sdwa v25, v26, v4, vcc dst_sel:DWORD dst_unused:UNUSED_PAD src0_sel:DWORD src1_sel:WORD_0
	v_and_b32_e32 v4, 0xffff0000, v4
	v_cmp_gt_i32_e32 vcc, s33, v32
	v_cndmask_b32_e32 v4, 0, v4, vcc
	v_or_b32_e32 v4, v25, v4
.LBB97_55:                              ;   in Loop: Header=BB97_40 Depth=1
	s_or_b64 exec, exec, s[12:13]
	v_lshlrev_b32_e32 v12, 16, v12
	v_lshlrev_b32_e32 v9, 16, v9
	;; [unrolled: 1-line block ×3, first 2 shown]
	v_and_or_b32 v1, v1, s24, v12
	v_and_or_b32 v2, v2, s24, v9
	;; [unrolled: 1-line block ×3, first 2 shown]
	;;#ASMSTART
	v_pk_mul_f16 v1, v37, v1;

	;;#ASMEND
	;;#ASMSTART
	v_pk_mul_f16 v2, v38, v2;

	;;#ASMEND
	;; [unrolled: 4-line block ×4, first 2 shown]
	;;#ASMSTART
	v_pk_add_f16 v1, v1, v2;

	;;#ASMEND
	;;#ASMSTART
	v_pk_add_f16 v0, v1, v0;

	;;#ASMEND
	;; [unrolled: 4-line block ×3, first 2 shown]
	v_lshrrev_b32_e32 v1, 16, v0
	v_and_b32_e32 v0, 0xffff, v0
	;;#ASMSTART
	v_cvt_f32_f16 v57, v0;
	;;#ASMEND
	v_add_co_u32_e32 v0, vcc, 0x1000, v7
	;;#ASMSTART
	v_cvt_f32_f16 v58, v1;
	;;#ASMEND
	v_addc_co_u32_e32 v1, vcc, 0, v8, vcc
	global_load_dwordx4 v[1:4], v[0:1], off offset:3072
	s_waitcnt vmcnt(0)
	v_lshrrev_b32_e32 v12, 16, v1
	v_lshrrev_b32_e32 v9, 16, v2
	;; [unrolled: 1-line block ×3, first 2 shown]
	s_and_saveexec_b64 s[12:13], s[0:1]
	s_cbranch_execz .LBB97_57
; %bb.56:                               ;   in Loop: Header=BB97_40 Depth=1
	v_cmp_gt_i32_e32 vcc, s33, v31
	v_cndmask_b32_e32 v1, 0, v1, vcc
	v_cmp_gt_i32_e32 vcc, s33, v42
	v_cndmask_b32_e32 v12, 0, v12, vcc
	;; [unrolled: 2-line block ×6, first 2 shown]
	v_cmp_gt_i32_e32 vcc, s33, v33
	v_cndmask_b32_sdwa v25, v26, v4, vcc dst_sel:DWORD dst_unused:UNUSED_PAD src0_sel:DWORD src1_sel:WORD_0
	v_and_b32_e32 v4, 0xffff0000, v4
	v_cmp_gt_i32_e32 vcc, s33, v32
	v_cndmask_b32_e32 v4, 0, v4, vcc
	v_or_b32_e32 v4, v25, v4
.LBB97_57:                              ;   in Loop: Header=BB97_40 Depth=1
	s_or_b64 exec, exec, s[12:13]
	v_lshlrev_b32_e32 v12, 16, v12
	v_lshlrev_b32_e32 v9, 16, v9
	;; [unrolled: 1-line block ×3, first 2 shown]
	v_and_or_b32 v1, v1, s24, v12
	v_and_or_b32 v2, v2, s24, v9
	v_and_or_b32 v0, v3, s24, v0
	;;#ASMSTART
	v_pk_mul_f16 v1, v37, v1;

	;;#ASMEND
	;;#ASMSTART
	v_pk_mul_f16 v2, v38, v2;

	;;#ASMEND
	;; [unrolled: 4-line block ×4, first 2 shown]
	;;#ASMSTART
	v_pk_add_f16 v1, v1, v2;

	;;#ASMEND
	;;#ASMSTART
	v_pk_add_f16 v0, v1, v0;

	;;#ASMEND
	;; [unrolled: 4-line block ×3, first 2 shown]
	v_lshrrev_b32_e32 v1, 16, v0
	v_and_b32_e32 v0, 0xffff, v0
	;;#ASMSTART
	v_cvt_f32_f16 v59, v0;
	;;#ASMEND
	v_add_co_u32_e32 v0, vcc, 0x2000, v7
	;;#ASMSTART
	v_cvt_f32_f16 v60, v1;
	;;#ASMEND
	v_addc_co_u32_e32 v1, vcc, 0, v8, vcc
	global_load_dwordx4 v[1:4], v[0:1], off
	s_waitcnt vmcnt(0)
	v_lshrrev_b32_e32 v12, 16, v1
	v_lshrrev_b32_e32 v9, 16, v2
	;; [unrolled: 1-line block ×3, first 2 shown]
	s_and_saveexec_b64 s[12:13], s[0:1]
	s_cbranch_execz .LBB97_59
; %bb.58:                               ;   in Loop: Header=BB97_40 Depth=1
	v_cmp_gt_i32_e32 vcc, s33, v31
	v_cndmask_b32_e32 v1, 0, v1, vcc
	v_cmp_gt_i32_e32 vcc, s33, v42
	v_cndmask_b32_e32 v12, 0, v12, vcc
	;; [unrolled: 2-line block ×6, first 2 shown]
	v_cmp_gt_i32_e32 vcc, s33, v33
	v_cndmask_b32_sdwa v25, v26, v4, vcc dst_sel:DWORD dst_unused:UNUSED_PAD src0_sel:DWORD src1_sel:WORD_0
	v_and_b32_e32 v4, 0xffff0000, v4
	v_cmp_gt_i32_e32 vcc, s33, v32
	v_cndmask_b32_e32 v4, 0, v4, vcc
	v_or_b32_e32 v4, v25, v4
.LBB97_59:                              ;   in Loop: Header=BB97_40 Depth=1
	s_or_b64 exec, exec, s[12:13]
	v_lshlrev_b32_e32 v12, 16, v12
	v_lshlrev_b32_e32 v9, 16, v9
	v_lshlrev_b32_e32 v0, 16, v0
	v_and_or_b32 v1, v1, s24, v12
	v_and_or_b32 v2, v2, s24, v9
	;; [unrolled: 1-line block ×3, first 2 shown]
	;;#ASMSTART
	v_pk_mul_f16 v1, v37, v1;

	;;#ASMEND
	;;#ASMSTART
	v_pk_mul_f16 v2, v38, v2;

	;;#ASMEND
	;; [unrolled: 4-line block ×4, first 2 shown]
	;;#ASMSTART
	v_pk_add_f16 v1, v1, v2;

	;;#ASMEND
	;;#ASMSTART
	v_pk_add_f16 v0, v1, v0;

	;;#ASMEND
	;; [unrolled: 4-line block ×3, first 2 shown]
	v_lshrrev_b32_e32 v1, 16, v0
	v_and_b32_e32 v0, 0xffff, v0
	;;#ASMSTART
	v_cvt_f32_f16 v61, v0;
	;;#ASMEND
	v_add_co_u32_e32 v0, vcc, 0x2000, v7
	;;#ASMSTART
	v_cvt_f32_f16 v62, v1;
	;;#ASMEND
	v_addc_co_u32_e32 v1, vcc, 0, v8, vcc
	global_load_dwordx4 v[1:4], v[0:1], off offset:1024
	s_waitcnt vmcnt(0)
	v_lshrrev_b32_e32 v12, 16, v1
	v_lshrrev_b32_e32 v9, 16, v2
	;; [unrolled: 1-line block ×3, first 2 shown]
	s_and_saveexec_b64 s[12:13], s[0:1]
	s_cbranch_execz .LBB97_61
; %bb.60:                               ;   in Loop: Header=BB97_40 Depth=1
	v_cmp_gt_i32_e32 vcc, s33, v31
	v_cndmask_b32_e32 v1, 0, v1, vcc
	v_cmp_gt_i32_e32 vcc, s33, v42
	v_cndmask_b32_e32 v12, 0, v12, vcc
	;; [unrolled: 2-line block ×6, first 2 shown]
	v_cmp_gt_i32_e32 vcc, s33, v33
	v_cndmask_b32_sdwa v25, v26, v4, vcc dst_sel:DWORD dst_unused:UNUSED_PAD src0_sel:DWORD src1_sel:WORD_0
	v_and_b32_e32 v4, 0xffff0000, v4
	v_cmp_gt_i32_e32 vcc, s33, v32
	v_cndmask_b32_e32 v4, 0, v4, vcc
	v_or_b32_e32 v4, v25, v4
.LBB97_61:                              ;   in Loop: Header=BB97_40 Depth=1
	s_or_b64 exec, exec, s[12:13]
	v_lshlrev_b32_e32 v12, 16, v12
	v_lshlrev_b32_e32 v9, 16, v9
	;; [unrolled: 1-line block ×3, first 2 shown]
	v_and_or_b32 v1, v1, s24, v12
	v_and_or_b32 v2, v2, s24, v9
	v_and_or_b32 v0, v3, s24, v0
	;;#ASMSTART
	v_pk_mul_f16 v1, v37, v1;

	;;#ASMEND
	;;#ASMSTART
	v_pk_mul_f16 v2, v38, v2;

	;;#ASMEND
	;; [unrolled: 4-line block ×4, first 2 shown]
	;;#ASMSTART
	v_pk_add_f16 v1, v1, v2;

	;;#ASMEND
	;;#ASMSTART
	v_pk_add_f16 v0, v1, v0;

	;;#ASMEND
	;; [unrolled: 4-line block ×3, first 2 shown]
	v_lshrrev_b32_e32 v1, 16, v0
	v_and_b32_e32 v0, 0xffff, v0
	;;#ASMSTART
	v_cvt_f32_f16 v63, v0;
	;;#ASMEND
	v_add_co_u32_e32 v0, vcc, 0x2000, v7
	;;#ASMSTART
	v_cvt_f32_f16 v12, v1;
	;;#ASMEND
	v_addc_co_u32_e32 v1, vcc, 0, v8, vcc
	global_load_dwordx4 v[1:4], v[0:1], off offset:2048
	s_waitcnt vmcnt(0)
	v_lshrrev_b32_e32 v25, 16, v1
	v_lshrrev_b32_e32 v9, 16, v2
	;; [unrolled: 1-line block ×3, first 2 shown]
	s_and_saveexec_b64 s[12:13], s[0:1]
	s_cbranch_execz .LBB97_63
; %bb.62:                               ;   in Loop: Header=BB97_40 Depth=1
	v_cmp_gt_i32_e32 vcc, s33, v31
	v_cndmask_b32_e32 v1, 0, v1, vcc
	v_cmp_gt_i32_e32 vcc, s33, v42
	v_cndmask_b32_e32 v25, 0, v25, vcc
	;; [unrolled: 2-line block ×6, first 2 shown]
	v_cmp_gt_i32_e32 vcc, s33, v33
	v_cndmask_b32_sdwa v27, v26, v4, vcc dst_sel:DWORD dst_unused:UNUSED_PAD src0_sel:DWORD src1_sel:WORD_0
	v_and_b32_e32 v4, 0xffff0000, v4
	v_cmp_gt_i32_e32 vcc, s33, v32
	v_cndmask_b32_e32 v4, 0, v4, vcc
	v_or_b32_e32 v4, v27, v4
.LBB97_63:                              ;   in Loop: Header=BB97_40 Depth=1
	s_or_b64 exec, exec, s[12:13]
	v_lshlrev_b32_e32 v25, 16, v25
	v_lshlrev_b32_e32 v9, 16, v9
	v_lshlrev_b32_e32 v0, 16, v0
	v_and_or_b32 v1, v1, s24, v25
	v_and_or_b32 v2, v2, s24, v9
	;; [unrolled: 1-line block ×3, first 2 shown]
	;;#ASMSTART
	v_pk_mul_f16 v1, v37, v1;

	;;#ASMEND
	;;#ASMSTART
	v_pk_mul_f16 v2, v38, v2;

	;;#ASMEND
	;; [unrolled: 4-line block ×4, first 2 shown]
	;;#ASMSTART
	v_pk_add_f16 v1, v1, v2;

	;;#ASMEND
	;;#ASMSTART
	v_pk_add_f16 v0, v1, v0;

	;;#ASMEND
	;; [unrolled: 4-line block ×3, first 2 shown]
	v_lshrrev_b32_e32 v1, 16, v0
	v_and_b32_e32 v0, 0xffff, v0
	;;#ASMSTART
	v_cvt_f32_f16 v25, v0;
	;;#ASMEND
	;;#ASMSTART
	v_cvt_f32_f16 v0, v1;
	;;#ASMEND
	v_add_co_u32_e32 v1, vcc, 0x2000, v7
	v_addc_co_u32_e32 v2, vcc, 0, v8, vcc
	global_load_dwordx4 v[1:4], v[1:2], off offset:3072
	s_waitcnt vmcnt(0)
	v_lshrrev_b32_e32 v9, 16, v1
	v_lshrrev_b32_e32 v8, 16, v2
	;; [unrolled: 1-line block ×3, first 2 shown]
	s_and_saveexec_b64 s[12:13], s[0:1]
	s_cbranch_execz .LBB97_38
; %bb.64:                               ;   in Loop: Header=BB97_40 Depth=1
	v_cmp_gt_i32_e32 vcc, s33, v31
	v_cndmask_b32_e32 v1, 0, v1, vcc
	v_cmp_gt_i32_e32 vcc, s33, v42
	v_cndmask_b32_e32 v9, 0, v9, vcc
	;; [unrolled: 2-line block ×6, first 2 shown]
	v_cmp_gt_i32_e32 vcc, s33, v33
	v_cndmask_b32_sdwa v27, v26, v4, vcc dst_sel:DWORD dst_unused:UNUSED_PAD src0_sel:DWORD src1_sel:WORD_0
	v_and_b32_e32 v4, 0xffff0000, v4
	v_cmp_gt_i32_e32 vcc, s33, v32
	v_cndmask_b32_e32 v4, 0, v4, vcc
	v_or_b32_e32 v4, v27, v4
	s_branch .LBB97_38
.LBB97_65:
	s_or_b64 exec, exec, s[4:5]
	buffer_load_dword v26, off, s[48:51], 0 offset:20 ; 4-byte Folded Reload
	buffer_load_dword v30, off, s[48:51], 0 offset:24 ; 4-byte Folded Reload
.LBB97_66:
	s_or_b64 exec, exec, s[2:3]
	ds_bpermute_b32 v0, v10, v23
	ds_bpermute_b32 v1, v10, v24
	ds_bpermute_b32 v2, v10, v22
	ds_bpermute_b32 v3, v10, v21
	ds_bpermute_b32 v11, v10, v17
	s_waitcnt lgkmcnt(4)
	v_add_f32_e32 v0, v23, v0
	ds_bpermute_b32 v4, v53, v0
	s_waitcnt lgkmcnt(4)
	v_add_f32_e32 v1, v24, v1
	s_waitcnt lgkmcnt(3)
	v_add_f32_e32 v2, v22, v2
	;; [unrolled: 2-line block ×3, first 2 shown]
	ds_bpermute_b32 v5, v53, v1
	ds_bpermute_b32 v7, v53, v2
	s_waitcnt lgkmcnt(2)
	v_add_f32_e32 v3, v0, v4
	ds_bpermute_b32 v0, v53, v6
	ds_bpermute_b32 v12, v10, v14
	s_waitcnt lgkmcnt(3)
	v_add_f32_e32 v1, v1, v5
	ds_bpermute_b32 v5, v10, v20
	s_waitcnt lgkmcnt(3)
	v_add_f32_e32 v2, v2, v7
	;; [unrolled: 3-line block ×7, first 2 shown]
	v_add_f32_e32 v12, v14, v12
	s_waitcnt lgkmcnt(1)
	v_add_f32_e32 v5, v7, v8
	s_waitcnt lgkmcnt(0)
	v_add_f32_e32 v7, v0, v9
	v_add_f32_e32 v0, v17, v11
	ds_bpermute_b32 v9, v53, v0
	s_waitcnt vmcnt(0) lgkmcnt(0)
	s_barrier
	ds_bpermute_b32 v11, v10, v15
	ds_bpermute_b32 v8, v10, v16
	v_add_f32_e32 v14, v0, v9
	buffer_load_dword v0, off, s[48:51], 0 offset:8 ; 4-byte Folded Reload
	ds_bpermute_b32 v10, v10, v13
	s_waitcnt lgkmcnt(2)
	v_add_f32_e32 v11, v15, v11
	s_waitcnt lgkmcnt(1)
	v_add_f32_e32 v8, v16, v8
	ds_bpermute_b32 v15, v53, v11
	ds_bpermute_b32 v16, v53, v8
	s_waitcnt lgkmcnt(2)
	v_add_f32_e32 v18, v13, v10
	ds_bpermute_b32 v17, v53, v12
	ds_bpermute_b32 v19, v53, v18
	s_waitcnt lgkmcnt(3)
	v_add_f32_e32 v11, v11, v15
	s_waitcnt lgkmcnt(2)
	v_add_f32_e32 v13, v8, v16
	;; [unrolled: 2-line block ×4, first 2 shown]
	s_waitcnt vmcnt(0)
	v_and_b32_e32 v15, 0x3c3, v0
	v_cmp_eq_u32_e32 vcc, 64, v15
	s_and_saveexec_b64 s[0:1], vcc
	s_cbranch_execz .LBB97_68
; %bb.67:
	v_add_u32_e32 v0, 0x190, v26
	ds_write2_b32 v0, v3, v1 offset1:16
	ds_write2_b32 v0, v2, v4 offset0:32 offset1:48
	ds_write2_b32 v0, v6, v5 offset0:64 offset1:80
	;; [unrolled: 1-line block ×5, first 2 shown]
.LBB97_68:
	s_or_b64 exec, exec, s[0:1]
	buffer_load_dword v0, off, s[48:51], 0 offset:8 ; 4-byte Folded Reload
	s_waitcnt vmcnt(0) lgkmcnt(0)
	s_barrier
	v_cmp_gt_u32_e32 vcc, 64, v0
	v_lshrrev_b32_e32 v0, 2, v0
	s_and_saveexec_b64 s[0:1], vcc
	s_cbranch_execz .LBB97_83
; %bb.69:
	v_mov_b32_e32 v9, 0x190
	v_cmp_eq_u32_e32 vcc, 0, v30
	v_lshl_add_u32 v9, v0, 2, v9
	s_and_saveexec_b64 s[2:3], vcc
	s_cbranch_execnz .LBB97_86
; %bb.70:
	s_or_b64 exec, exec, s[2:3]
	s_and_saveexec_b64 s[2:3], vcc
	s_cbranch_execnz .LBB97_87
.LBB97_71:
	s_or_b64 exec, exec, s[2:3]
	s_and_saveexec_b64 s[2:3], vcc
	s_cbranch_execnz .LBB97_88
.LBB97_72:
	s_or_b64 exec, exec, s[2:3]
	s_and_saveexec_b64 s[2:3], vcc
	s_cbranch_execnz .LBB97_89
.LBB97_73:
	s_or_b64 exec, exec, s[2:3]
	s_and_saveexec_b64 s[2:3], vcc
	s_cbranch_execnz .LBB97_90
.LBB97_74:
	s_or_b64 exec, exec, s[2:3]
	s_and_saveexec_b64 s[2:3], vcc
	s_cbranch_execnz .LBB97_91
.LBB97_75:
	s_or_b64 exec, exec, s[2:3]
	s_and_saveexec_b64 s[2:3], vcc
	s_cbranch_execnz .LBB97_92
.LBB97_76:
	s_or_b64 exec, exec, s[2:3]
	s_and_saveexec_b64 s[2:3], vcc
	s_cbranch_execnz .LBB97_93
.LBB97_77:
	s_or_b64 exec, exec, s[2:3]
	s_and_saveexec_b64 s[2:3], vcc
	s_cbranch_execnz .LBB97_94
.LBB97_78:
	s_or_b64 exec, exec, s[2:3]
	s_and_saveexec_b64 s[2:3], vcc
	s_cbranch_execnz .LBB97_95
.LBB97_79:
	s_or_b64 exec, exec, s[2:3]
	s_and_saveexec_b64 s[2:3], vcc
	s_cbranch_execnz .LBB97_96
.LBB97_80:
	s_or_b64 exec, exec, s[2:3]
	s_and_saveexec_b64 s[2:3], vcc
	s_cbranch_execz .LBB97_82
.LBB97_81:
	ds_read_b32 v9, v9 offset:704
	s_waitcnt lgkmcnt(0)
	v_add_f32_e32 v8, v8, v9
.LBB97_82:
	s_or_b64 exec, exec, s[2:3]
.LBB97_83:
	s_or_b64 exec, exec, s[0:1]
	v_cmp_eq_u32_e32 vcc, 0, v15
	s_barrier
	s_and_saveexec_b64 s[0:1], vcc
	s_cbranch_execz .LBB97_85
; %bb.84:
	s_mul_i32 s0, s10, s11
	s_mul_i32 s0, s0, s9
	s_mulk_i32 s0, 0xc0
	s_ashr_i32 s1, s0, 31
	s_lshl_b64 s[0:1], s[0:1], 1
	s_add_u32 s2, s22, s0
	s_mul_i32 s0, s11, s20
	s_addc_u32 s3, s23, s1
	s_ashr_i32 s1, s0, 31
	s_lshl_b64 s[0:1], s[0:1], 1
	s_add_u32 s2, s2, s0
	s_mul_i32 s0, s8, 0xc0
	s_addc_u32 s3, s3, s1
	s_ashr_i32 s1, s0, 31
	s_lshl_b64 s[0:1], s[0:1], 1
	s_add_u32 s0, s2, s0
	s_addc_u32 s1, s3, s1
	v_lshlrev_b32_e32 v0, 1, v0
	;;#ASMSTART
	v_cvt_f16_f32 v3, v3;

	;;#ASMEND
	global_store_short v0, v3, s[0:1]
	;;#ASMSTART
	v_cvt_f16_f32 v1, v1;

	;;#ASMEND
	global_store_short v0, v1, s[0:1] offset:32
	;;#ASMSTART
	v_cvt_f16_f32 v1, v2;

	;;#ASMEND
	global_store_short v0, v1, s[0:1] offset:64
	;; [unrolled: 5-line block ×11, first 2 shown]
.LBB97_85:
	s_endpgm
.LBB97_86:
	ds_read_b32 v12, v9
	s_waitcnt lgkmcnt(0)
	v_add_f32_e32 v3, v3, v12
	s_or_b64 exec, exec, s[2:3]
	s_and_saveexec_b64 s[2:3], vcc
	s_cbranch_execz .LBB97_71
.LBB97_87:
	ds_read_b32 v12, v9 offset:64
	s_waitcnt lgkmcnt(0)
	v_add_f32_e32 v1, v1, v12
	s_or_b64 exec, exec, s[2:3]
	s_and_saveexec_b64 s[2:3], vcc
	s_cbranch_execz .LBB97_72
.LBB97_88:
	ds_read_b32 v12, v9 offset:128
	s_waitcnt lgkmcnt(0)
	v_add_f32_e32 v2, v2, v12
	s_or_b64 exec, exec, s[2:3]
	s_and_saveexec_b64 s[2:3], vcc
	s_cbranch_execz .LBB97_73
.LBB97_89:
	ds_read_b32 v12, v9 offset:192
	s_waitcnt lgkmcnt(0)
	v_add_f32_e32 v4, v4, v12
	s_or_b64 exec, exec, s[2:3]
	s_and_saveexec_b64 s[2:3], vcc
	s_cbranch_execz .LBB97_74
.LBB97_90:
	ds_read_b32 v12, v9 offset:256
	s_waitcnt lgkmcnt(0)
	v_add_f32_e32 v6, v6, v12
	s_or_b64 exec, exec, s[2:3]
	s_and_saveexec_b64 s[2:3], vcc
	s_cbranch_execz .LBB97_75
.LBB97_91:
	ds_read_b32 v12, v9 offset:320
	s_waitcnt lgkmcnt(0)
	v_add_f32_e32 v5, v5, v12
	s_or_b64 exec, exec, s[2:3]
	s_and_saveexec_b64 s[2:3], vcc
	s_cbranch_execz .LBB97_76
.LBB97_92:
	ds_read_b32 v12, v9 offset:384
	s_waitcnt lgkmcnt(0)
	v_add_f32_e32 v7, v7, v12
	s_or_b64 exec, exec, s[2:3]
	s_and_saveexec_b64 s[2:3], vcc
	s_cbranch_execz .LBB97_77
.LBB97_93:
	ds_read_b32 v12, v9 offset:448
	s_waitcnt lgkmcnt(0)
	v_add_f32_e32 v14, v14, v12
	s_or_b64 exec, exec, s[2:3]
	s_and_saveexec_b64 s[2:3], vcc
	s_cbranch_execz .LBB97_78
.LBB97_94:
	ds_read_b32 v12, v9 offset:512
	s_waitcnt lgkmcnt(0)
	v_add_f32_e32 v13, v13, v12
	s_or_b64 exec, exec, s[2:3]
	s_and_saveexec_b64 s[2:3], vcc
	s_cbranch_execz .LBB97_79
.LBB97_95:
	ds_read_b32 v12, v9 offset:576
	s_waitcnt lgkmcnt(0)
	v_add_f32_e32 v11, v11, v12
	s_or_b64 exec, exec, s[2:3]
	s_and_saveexec_b64 s[2:3], vcc
	s_cbranch_execz .LBB97_80
.LBB97_96:
	ds_read_b32 v12, v9 offset:640
	s_waitcnt lgkmcnt(0)
	v_add_f32_e32 v10, v10, v12
	s_or_b64 exec, exec, s[2:3]
	s_and_saveexec_b64 s[2:3], vcc
	s_cbranch_execnz .LBB97_81
	s_branch .LBB97_82
	.section	.rodata,"a",@progbits
	.p2align	6, 0x0
	.amdhsa_kernel _ZN4vllm25paged_attention_v1_kernelIttLi192ELi32ELi128ELNS_18Fp8KVCacheDataTypeE0ELb1EEEvPT_PKS2_PKT0_S8_ifPKiSA_iPKfiiiSC_SC_iiiii
		.amdhsa_group_segment_fixed_size 400
		.amdhsa_private_segment_fixed_size 64
		.amdhsa_kernarg_size 384
		.amdhsa_user_sgpr_count 6
		.amdhsa_user_sgpr_private_segment_buffer 1
		.amdhsa_user_sgpr_dispatch_ptr 0
		.amdhsa_user_sgpr_queue_ptr 0
		.amdhsa_user_sgpr_kernarg_segment_ptr 1
		.amdhsa_user_sgpr_dispatch_id 0
		.amdhsa_user_sgpr_flat_scratch_init 0
		.amdhsa_user_sgpr_private_segment_size 0
		.amdhsa_uses_dynamic_stack 0
		.amdhsa_system_sgpr_private_segment_wavefront_offset 1
		.amdhsa_system_sgpr_workgroup_id_x 1
		.amdhsa_system_sgpr_workgroup_id_y 1
		.amdhsa_system_sgpr_workgroup_id_z 1
		.amdhsa_system_sgpr_workgroup_info 0
		.amdhsa_system_vgpr_workitem_id 0
		.amdhsa_next_free_vgpr 64
		.amdhsa_next_free_sgpr 52
		.amdhsa_reserve_vcc 1
		.amdhsa_reserve_flat_scratch 0
		.amdhsa_float_round_mode_32 0
		.amdhsa_float_round_mode_16_64 0
		.amdhsa_float_denorm_mode_32 3
		.amdhsa_float_denorm_mode_16_64 3
		.amdhsa_dx10_clamp 1
		.amdhsa_ieee_mode 1
		.amdhsa_fp16_overflow 0
		.amdhsa_exception_fp_ieee_invalid_op 0
		.amdhsa_exception_fp_denorm_src 0
		.amdhsa_exception_fp_ieee_div_zero 0
		.amdhsa_exception_fp_ieee_overflow 0
		.amdhsa_exception_fp_ieee_underflow 0
		.amdhsa_exception_fp_ieee_inexact 0
		.amdhsa_exception_int_div_zero 0
	.end_amdhsa_kernel
	.section	.text._ZN4vllm25paged_attention_v1_kernelIttLi192ELi32ELi128ELNS_18Fp8KVCacheDataTypeE0ELb1EEEvPT_PKS2_PKT0_S8_ifPKiSA_iPKfiiiSC_SC_iiiii,"axG",@progbits,_ZN4vllm25paged_attention_v1_kernelIttLi192ELi32ELi128ELNS_18Fp8KVCacheDataTypeE0ELb1EEEvPT_PKS2_PKT0_S8_ifPKiSA_iPKfiiiSC_SC_iiiii,comdat
.Lfunc_end97:
	.size	_ZN4vllm25paged_attention_v1_kernelIttLi192ELi32ELi128ELNS_18Fp8KVCacheDataTypeE0ELb1EEEvPT_PKS2_PKT0_S8_ifPKiSA_iPKfiiiSC_SC_iiiii, .Lfunc_end97-_ZN4vllm25paged_attention_v1_kernelIttLi192ELi32ELi128ELNS_18Fp8KVCacheDataTypeE0ELb1EEEvPT_PKS2_PKT0_S8_ifPKiSA_iPKfiiiSC_SC_iiiii
                                        ; -- End function
	.set _ZN4vllm25paged_attention_v1_kernelIttLi192ELi32ELi128ELNS_18Fp8KVCacheDataTypeE0ELb1EEEvPT_PKS2_PKT0_S8_ifPKiSA_iPKfiiiSC_SC_iiiii.num_vgpr, 64
	.set _ZN4vllm25paged_attention_v1_kernelIttLi192ELi32ELi128ELNS_18Fp8KVCacheDataTypeE0ELb1EEEvPT_PKS2_PKT0_S8_ifPKiSA_iPKfiiiSC_SC_iiiii.num_agpr, 0
	.set _ZN4vllm25paged_attention_v1_kernelIttLi192ELi32ELi128ELNS_18Fp8KVCacheDataTypeE0ELb1EEEvPT_PKS2_PKT0_S8_ifPKiSA_iPKfiiiSC_SC_iiiii.numbered_sgpr, 52
	.set _ZN4vllm25paged_attention_v1_kernelIttLi192ELi32ELi128ELNS_18Fp8KVCacheDataTypeE0ELb1EEEvPT_PKS2_PKT0_S8_ifPKiSA_iPKfiiiSC_SC_iiiii.num_named_barrier, 0
	.set _ZN4vllm25paged_attention_v1_kernelIttLi192ELi32ELi128ELNS_18Fp8KVCacheDataTypeE0ELb1EEEvPT_PKS2_PKT0_S8_ifPKiSA_iPKfiiiSC_SC_iiiii.private_seg_size, 64
	.set _ZN4vllm25paged_attention_v1_kernelIttLi192ELi32ELi128ELNS_18Fp8KVCacheDataTypeE0ELb1EEEvPT_PKS2_PKT0_S8_ifPKiSA_iPKfiiiSC_SC_iiiii.uses_vcc, 1
	.set _ZN4vllm25paged_attention_v1_kernelIttLi192ELi32ELi128ELNS_18Fp8KVCacheDataTypeE0ELb1EEEvPT_PKS2_PKT0_S8_ifPKiSA_iPKfiiiSC_SC_iiiii.uses_flat_scratch, 0
	.set _ZN4vllm25paged_attention_v1_kernelIttLi192ELi32ELi128ELNS_18Fp8KVCacheDataTypeE0ELb1EEEvPT_PKS2_PKT0_S8_ifPKiSA_iPKfiiiSC_SC_iiiii.has_dyn_sized_stack, 0
	.set _ZN4vllm25paged_attention_v1_kernelIttLi192ELi32ELi128ELNS_18Fp8KVCacheDataTypeE0ELb1EEEvPT_PKS2_PKT0_S8_ifPKiSA_iPKfiiiSC_SC_iiiii.has_recursion, 0
	.set _ZN4vllm25paged_attention_v1_kernelIttLi192ELi32ELi128ELNS_18Fp8KVCacheDataTypeE0ELb1EEEvPT_PKS2_PKT0_S8_ifPKiSA_iPKfiiiSC_SC_iiiii.has_indirect_call, 0
	.section	.AMDGPU.csdata,"",@progbits
; Kernel info:
; codeLenInByte = 11388
; TotalNumSgprs: 56
; NumVgprs: 64
; ScratchSize: 64
; MemoryBound: 0
; FloatMode: 240
; IeeeMode: 1
; LDSByteSize: 400 bytes/workgroup (compile time only)
; SGPRBlocks: 6
; VGPRBlocks: 15
; NumSGPRsForWavesPerEU: 56
; NumVGPRsForWavesPerEU: 64
; Occupancy: 4
; WaveLimiterHint : 1
; COMPUTE_PGM_RSRC2:SCRATCH_EN: 1
; COMPUTE_PGM_RSRC2:USER_SGPR: 6
; COMPUTE_PGM_RSRC2:TRAP_HANDLER: 0
; COMPUTE_PGM_RSRC2:TGID_X_EN: 1
; COMPUTE_PGM_RSRC2:TGID_Y_EN: 1
; COMPUTE_PGM_RSRC2:TGID_Z_EN: 1
; COMPUTE_PGM_RSRC2:TIDIG_COMP_CNT: 0
	.section	.text._ZN4vllm25paged_attention_v1_kernelIttLi256ELi32ELi128ELNS_18Fp8KVCacheDataTypeE0ELb1EEEvPT_PKS2_PKT0_S8_ifPKiSA_iPKfiiiSC_SC_iiiii,"axG",@progbits,_ZN4vllm25paged_attention_v1_kernelIttLi256ELi32ELi128ELNS_18Fp8KVCacheDataTypeE0ELb1EEEvPT_PKS2_PKT0_S8_ifPKiSA_iPKfiiiSC_SC_iiiii,comdat
	.protected	_ZN4vllm25paged_attention_v1_kernelIttLi256ELi32ELi128ELNS_18Fp8KVCacheDataTypeE0ELb1EEEvPT_PKS2_PKT0_S8_ifPKiSA_iPKfiiiSC_SC_iiiii ; -- Begin function _ZN4vllm25paged_attention_v1_kernelIttLi256ELi32ELi128ELNS_18Fp8KVCacheDataTypeE0ELb1EEEvPT_PKS2_PKT0_S8_ifPKiSA_iPKfiiiSC_SC_iiiii
	.globl	_ZN4vllm25paged_attention_v1_kernelIttLi256ELi32ELi128ELNS_18Fp8KVCacheDataTypeE0ELb1EEEvPT_PKS2_PKT0_S8_ifPKiSA_iPKfiiiSC_SC_iiiii
	.p2align	8
	.type	_ZN4vllm25paged_attention_v1_kernelIttLi256ELi32ELi128ELNS_18Fp8KVCacheDataTypeE0ELb1EEEvPT_PKS2_PKT0_S8_ifPKiSA_iPKfiiiSC_SC_iiiii,@function
_ZN4vllm25paged_attention_v1_kernelIttLi256ELi32ELi128ELNS_18Fp8KVCacheDataTypeE0ELb1EEEvPT_PKS2_PKT0_S8_ifPKiSA_iPKfiiiSC_SC_iiiii: ; @_ZN4vllm25paged_attention_v1_kernelIttLi256ELi32ELi128ELNS_18Fp8KVCacheDataTypeE0ELb1EEEvPT_PKS2_PKT0_S8_ifPKiSA_iPKfiiiSC_SC_iiiii
; %bb.0:
	s_mov_b64 s[54:55], s[2:3]
	s_mov_b64 s[52:53], s[0:1]
	s_add_u32 s52, s52, s9
	s_load_dword s9, s[4:5], 0x80
	s_load_dwordx2 s[0:1], s[4:5], 0x30
	s_load_dwordx2 s[34:35], s[4:5], 0x20
	s_addc_u32 s53, s53, 0
	s_mov_b32 s20, s7
	s_ashr_i32 s21, s7, 31
	s_lshl_b64 s[2:3], s[20:21], 2
	s_waitcnt lgkmcnt(0)
	s_add_u32 s0, s0, s2
	s_addc_u32 s1, s1, s3
	s_abs_i32 s2, s34
	v_mov_b32_e32 v12, v0
	v_cvt_f32_u32_e32 v0, s2
	s_sub_i32 s10, 0, s2
	s_abs_i32 s7, s9
	s_xor_b32 s3, s9, s34
	v_rcp_iflag_f32_e32 v0, v0
	s_ashr_i32 s3, s3, 31
	s_mov_b32 s44, 0
	v_mul_f32_e32 v0, 0x4f7ffffe, v0
	v_cvt_u32_f32_e32 v0, v0
	v_readfirstlane_b32 s11, v0
	s_mul_i32 s10, s10, s11
	s_mul_hi_u32 s10, s11, s10
	s_add_i32 s11, s11, s10
	s_mul_hi_u32 s10, s7, s11
	s_mul_i32 s11, s10, s2
	s_sub_i32 s7, s7, s11
	s_add_i32 s11, s10, 1
	s_sub_i32 s12, s7, s2
	s_cmp_ge_u32 s7, s2
	s_cselect_b32 s10, s11, s10
	s_cselect_b32 s7, s12, s7
	s_add_i32 s11, s10, 1
	s_cmp_ge_u32 s7, s2
	s_cselect_b32 s2, s11, s10
	s_xor_b32 s2, s2, s3
	s_sub_i32 s12, s2, s3
	s_abs_i32 s10, s12
	v_cvt_f32_u32_e32 v0, s10
	s_load_dwordx2 s[2:3], s[4:5], 0x40
	s_sub_i32 s7, 0, s10
	s_abs_i32 s11, s6
	v_rcp_iflag_f32_e32 v0, v0
	v_mul_f32_e32 v0, 0x4f7ffffe, v0
	v_cvt_u32_f32_e32 v0, v0
	v_readfirstlane_b32 s13, v0
	s_mul_i32 s7, s7, s13
	s_mul_hi_u32 s7, s13, s7
	s_add_i32 s13, s13, s7
	s_waitcnt lgkmcnt(0)
	s_cmp_eq_u64 s[2:3], 0
	s_mul_hi_u32 s24, s11, s13
	s_cbranch_scc1 .LBB98_2
; %bb.1:
	s_ashr_i32 s7, s6, 31
	s_lshl_b64 s[14:15], s[6:7], 2
	s_add_u32 s2, s2, s14
	s_addc_u32 s3, s3, s15
	s_load_dword s44, s[2:3], 0x0
.LBB98_2:
	s_load_dword s21, s[0:1], 0x0
	s_ashr_i32 s25, s12, 31
	s_load_dwordx4 s[12:15], s[4:5], 0x48
	s_ashr_i32 s7, s6, 31
	v_and_b32_e32 v0, 1, v12
	s_lshl_b32 s22, s6, 8
	v_cmp_gt_u32_e64 s[0:1], 64, v12
	v_lshlrev_b32_e32 v13, 3, v12
	s_and_saveexec_b64 s[2:3], s[0:1]
	s_cbranch_execz .LBB98_4
; %bb.3:
	s_load_dwordx2 s[16:17], s[4:5], 0x8
	s_waitcnt lgkmcnt(0)
	s_mul_i32 s18, s12, s20
	s_ashr_i32 s19, s18, 31
	s_lshl_b64 s[18:19], s[18:19], 1
	v_lshlrev_b32_e32 v3, 2, v12
	s_add_u32 s12, s16, s18
	s_addc_u32 s15, s17, s19
	s_ashr_i32 s23, s22, 31
	s_lshl_b64 s[16:17], s[22:23], 1
	s_add_u32 s16, s12, s16
	s_addc_u32 s17, s15, s17
	global_load_dwordx2 v[1:2], v13, s[16:17]
	v_and_b32_e32 v3, 0xff8, v3
	v_lshl_add_u32 v3, v0, 8, v3
	s_waitcnt vmcnt(0)
	ds_write_b64 v3, v[1:2]
.LBB98_4:
	s_or_b64 exec, exec, s[2:3]
	s_mul_i32 s3, s24, s10
	s_sub_i32 s3, s11, s3
	s_xor_b32 s2, s7, s25
	s_add_i32 s7, s24, 1
	s_sub_i32 s11, s3, s10
	s_load_dwordx4 s[16:19], s[4:5], 0x68
	s_waitcnt lgkmcnt(0)
	s_load_dword s12, s[4:5], 0x78
	s_cmp_ge_u32 s3, s10
	s_cselect_b32 s7, s7, s24
	s_cselect_b32 s3, s11, s3
	s_add_i32 s11, s7, 1
	s_cmp_ge_u32 s3, s10
	s_cselect_b32 s3, s11, s7
	s_abs_i32 s23, s19
	v_cvt_f32_u32_e32 v1, s23
	s_xor_b32 s3, s3, s2
	s_sub_i32 s7, s3, s2
	s_sub_i32 s2, 0, s23
	v_rcp_iflag_f32_e32 v1, v1
	s_add_i32 s15, s21, -1
	s_abs_i32 s10, s15
	s_waitcnt lgkmcnt(0)
	v_mul_f32_e32 v1, 0x4f7ffffe, v1
	v_cvt_u32_f32_e32 v1, v1
	s_barrier
	v_readfirstlane_b32 s33, v1
	s_mul_i32 s2, s2, s33
	s_mul_hi_u32 s2, s33, s2
	s_add_i32 s33, s33, s2
	s_cmp_lt_i32 s12, 0
	s_mul_hi_u32 s11, s10, s33
	s_cbranch_scc0 .LBB98_6
; %bb.5:
	s_mul_i32 s2, s16, s34
	s_add_i32 s2, s7, s2
	s_mul_i32 s2, s2, s12
	s_sub_i32 s42, 1, s2
	s_mov_b64 s[2:3], 0
	s_branch .LBB98_7
.LBB98_6:
	s_mov_b64 s[2:3], -1
                                        ; implicit-def: $sgpr42
.LBB98_7:
	s_load_dwordx2 s[26:27], s[4:5], 0x28
	s_ashr_i32 s15, s15, 31
	s_andn2_b64 vcc, exec, s[2:3]
	s_ashr_i32 s19, s19, 31
	s_cbranch_vccnz .LBB98_9
; %bb.8:
	s_mul_i32 s2, s9, s16
	s_add_i32 s2, s2, s6
	s_mul_i32 s2, s2, s12
	s_add_i32 s42, s2, 1
.LBB98_9:
	s_load_dword s2, s[4:5], 0x38
	s_load_dwordx2 s[24:25], s[4:5], 0x0
	s_load_dwordx2 s[30:31], s[4:5], 0x18
	s_load_dword s16, s[4:5], 0x88
	s_xor_b32 s3, s15, s19
	s_waitcnt lgkmcnt(0)
	s_mul_i32 s28, s2, s20
	s_mul_i32 s2, s11, s23
	s_sub_i32 s2, s10, s2
	s_ashr_i32 s29, s28, 31
	s_add_i32 s6, s11, 1
	s_sub_i32 s10, s2, s23
	s_cmp_ge_u32 s2, s23
	s_cselect_b32 s6, s6, s11
	s_cselect_b32 s2, s10, s2
	s_add_i32 s10, s6, 1
	s_cmp_ge_u32 s2, s23
	s_cselect_b32 s2, s10, s6
	s_xor_b32 s2, s2, s3
	s_sub_i32 s12, s2, s3
	s_add_i32 s2, s21, 31
	s_ashr_i32 s3, s2, 31
	s_lshr_b32 s3, s3, 27
	s_add_i32 s2, s2, s3
	s_ashr_i32 s43, s2, 5
	v_lshrrev_b32_e32 v22, 6, v12
	v_cmp_gt_i32_e64 s[2:3], s43, v22
	v_mov_b32_e32 v3, 0xff7fffff
	s_mul_i32 s14, s7, s14
	v_lshrrev_b32_e32 v14, 4, v12
	v_lshlrev_b32_e32 v1, 5, v22
	v_mbcnt_lo_u32_b32 v6, -1, 0
	buffer_store_dword v1, off, s[52:55], 0 offset:116 ; 4-byte Folded Spill
	s_mov_b64 s[36:37], exec
	s_and_b64 s[6:7], s[36:37], s[2:3]
	buffer_store_dword v12, off, s[52:55], 0 offset:112 ; 4-byte Folded Spill
	s_mov_b64 exec, s[6:7]
	s_cbranch_execz .LBB98_21
; %bb.10:
	s_load_dwordx2 s[4:5], s[4:5], 0x10
	s_ashr_i32 s15, s14, 31
	s_sub_i32 s34, s12, s17
	s_lshl_b64 s[6:7], s[14:15], 1
	v_bfe_u32 v9, v12, 1, 5
	s_waitcnt lgkmcnt(0)
	s_add_u32 s6, s4, s6
	s_addc_u32 s7, s5, s7
	s_abs_i32 s15, s18
	v_cvt_f32_u32_e32 v1, s15
	v_mov_b32_e32 v4, s7
	s_sub_i32 s7, 0, s15
	v_lshlrev_b32_e32 v3, 4, v9
	v_rcp_iflag_f32_e32 v1, v1
	v_add_co_u32_e32 v3, vcc, s6, v3
	v_and_b32_e32 v2, 8, v13
	v_mul_f32_e32 v1, 0x4f7ffffe, v1
	v_cvt_u32_f32_e32 v1, v1
	v_addc_co_u32_e32 v4, vcc, 0, v4, vcc
	v_add_co_u32_e32 v2, vcc, v3, v2
	v_mul_lo_u32 v5, s7, v1
	s_lshl_b64 s[10:11], s[28:29], 2
	buffer_store_dword v2, off, s[52:55], 0 offset:80 ; 4-byte Folded Spill
	v_addc_co_u32_e32 v2, vcc, 0, v4, vcc
	v_mul_hi_u32 v5, v1, v5
	s_add_u32 s10, s26, s10
	buffer_store_dword v13, off, s[52:55], 0 offset:120 ; 4-byte Folded Spill
	buffer_store_dword v2, off, s[52:55], 0 offset:84 ; 4-byte Folded Spill
	v_add_u32_e32 v5, v1, v5
	v_and_b32_e32 v1, 60, v14
	v_add_co_u32_e32 v7, vcc, s10, v1
	v_subrev_u32_e32 v1, s21, v9
	v_add_u32_e32 v1, 1, v1
	buffer_store_dword v14, off, s[52:55], 0 offset:124 ; 4-byte Folded Spill
	buffer_store_dword v1, off, s[52:55], 0 offset:108 ; 4-byte Folded Spill
	;; [unrolled: 1-line block ×3, first 2 shown]
	v_lshlrev_b32_e32 v1, 2, v9
	s_addc_u32 s11, s27, s11
	v_lshl_or_b32 v1, v22, 7, v1
	v_mov_b32_e32 v2, s11
	v_add_u32_e32 v23, 0x210, v1
	v_mbcnt_hi_u32_b32 v1, -1, v6
	v_addc_co_u32_e32 v8, vcc, 0, v2, vcc
	v_xor_b32_e32 v2, 1, v1
	buffer_store_dword v2, off, s[52:55], 0 offset:96 ; 4-byte Folded Spill
	buffer_store_dword v1, off, s[52:55], 0 offset:92 ; 4-byte Folded Spill
	v_and_b32_e32 v1, 64, v1
	v_add_u32_e32 v1, 64, v1
	v_cmp_eq_u32_e64 s[4:5], 0, v0
	s_mov_b32 s45, s13
	v_lshlrev_b32_e32 v0, 8, v0
	v_cmp_neq_f32_e64 s[6:7], s44, 0
	v_lshlrev_b32_e32 v10, 5, v22
	s_mov_b64 s[38:39], 0
	s_movk_i32 s46, 0x1000
	s_movk_i32 s47, 0x2000
	;; [unrolled: 1-line block ×3, first 2 shown]
	buffer_store_dword v1, off, s[52:55], 0 offset:100 ; 4-byte Folded Spill
	v_mov_b32_e32 v1, 0xff7fffff
	v_mov_b32_e32 v63, v22
	buffer_store_dword v1, off, s[52:55], 0 offset:72 ; 4-byte Folded Spill
	buffer_store_dword v22, off, s[52:55], 0 offset:76 ; 4-byte Folded Spill
	;; [unrolled: 1-line block ×3, first 2 shown]
	s_branch .LBB98_13
.LBB98_11:                              ;   in Loop: Header=BB98_13 Depth=1
	s_or_b64 exec, exec, s[40:41]
	buffer_load_dword v22, off, s[52:55], 0 offset:76 ; 4-byte Folded Reload
	buffer_load_dword v5, off, s[52:55], 0 offset:88 ; 4-byte Folded Reload
.LBB98_12:                              ;   in Loop: Header=BB98_13 Depth=1
	s_or_b64 exec, exec, s[10:11]
	v_add_co_u32_e32 v7, vcc, 8, v7
	v_add_u32_e32 v63, 2, v63
	v_addc_co_u32_e32 v8, vcc, 0, v8, vcc
	v_cmp_le_i32_e32 vcc, s43, v63
	v_add_u32_e32 v10, 64, v10
	s_or_b64 s[38:39], vcc, s[38:39]
	v_add_u32_e32 v23, 0x100, v23
	s_andn2_b64 exec, exec, s[38:39]
	s_cbranch_execz .LBB98_20
.LBB98_13:                              ; =>This Inner Loop Header: Depth=1
	v_mul_hi_u32 v1, v10, s33
	s_waitcnt lgkmcnt(0)
	v_mul_lo_u32 v2, v1, s23
	v_add_u32_e32 v3, 1, v1
	v_sub_u32_e32 v2, v10, v2
	v_cmp_le_u32_e32 vcc, s23, v2
	v_cndmask_b32_e32 v1, v1, v3, vcc
	v_subrev_u32_e32 v3, s23, v2
	v_cndmask_b32_e32 v2, v2, v3, vcc
	v_add_u32_e32 v3, 1, v1
	v_cmp_le_u32_e32 vcc, s23, v2
	v_cndmask_b32_e32 v1, v1, v3, vcc
	v_xor_b32_e32 v1, s19, v1
	v_subrev_u32_e32 v1, s19, v1
	v_add_u32_e32 v2, s42, v1
	v_sub_u32_e32 v3, 0, v2
	v_max_i32_e32 v3, v2, v3
	s_waitcnt vmcnt(0)
	v_mul_hi_u32 v4, v3, v5
	v_ashrrev_i32_e32 v2, 31, v2
	v_cmp_ge_i32_e64 s[10:11], s34, v1
	v_mul_lo_u32 v4, v4, s15
	v_sub_u32_e32 v3, v3, v4
	v_subrev_u32_e32 v4, s15, v3
	v_cmp_le_u32_e32 vcc, s15, v3
	v_cndmask_b32_e32 v3, v3, v4, vcc
	v_subrev_u32_e32 v4, s15, v3
	v_cmp_le_u32_e32 vcc, s15, v3
	v_cndmask_b32_e32 v3, v3, v4, vcc
	v_xor_b32_e32 v3, v3, v2
	v_sub_u32_e32 v2, v3, v2
	v_cmp_ne_u32_e32 vcc, 0, v2
	s_and_b64 s[10:11], vcc, s[10:11]
	s_and_saveexec_b64 s[40:41], s[10:11]
	s_xor_b64 s[10:11], exec, s[40:41]
	s_cbranch_execz .LBB98_17
; %bb.14:                               ;   in Loop: Header=BB98_13 Depth=1
	s_and_saveexec_b64 s[40:41], s[4:5]
; %bb.15:                               ;   in Loop: Header=BB98_13 Depth=1
	v_mov_b32_e32 v1, 0xff7fffff
	ds_write_b32 v23, v1
; %bb.16:                               ;   in Loop: Header=BB98_13 Depth=1
	s_or_b64 exec, exec, s[40:41]
.LBB98_17:                              ;   in Loop: Header=BB98_13 Depth=1
	s_andn2_saveexec_b64 s[10:11], s[10:11]
	s_cbranch_execz .LBB98_12
; %bb.18:                               ;   in Loop: Header=BB98_13 Depth=1
	global_load_dword v1, v[7:8], off
	buffer_load_dword v3, off, s[52:55], 0 offset:80 ; 4-byte Folded Reload
	s_waitcnt vmcnt(1)
	v_mad_i64_i32 v[1:2], s[40:41], v1, s45, 0
	v_lshlrev_b64 v[1:2], 1, v[1:2]
	s_waitcnt vmcnt(0)
	v_add_co_u32_e32 v13, vcc, v3, v1
	buffer_load_dword v1, off, s[52:55], 0 offset:84 ; 4-byte Folded Reload
	s_waitcnt vmcnt(0)
	v_addc_co_u32_e32 v14, vcc, v1, v2, vcc
	global_load_dwordx2 v[5:6], v[13:14], off
	global_load_dwordx2 v[61:62], v[13:14], off offset:512
	ds_read_b64 v[1:2], v0
	v_add_co_u32_e32 v3, vcc, s48, v13
	v_addc_co_u32_e32 v4, vcc, 0, v14, vcc
	v_add_co_u32_e32 v15, vcc, s46, v13
	v_addc_co_u32_e32 v16, vcc, 0, v14, vcc
	s_waitcnt lgkmcnt(0)
	v_lshrrev_b32_e32 v12, 16, v1
	v_and_b32_e32 v9, 0xffff, v1
	v_lshrrev_b32_e32 v21, 16, v2
	v_and_b32_e32 v22, 0xffff, v2
	global_load_dwordx2 v[1:2], v[13:14], off offset:1024
	global_load_dwordx2 v[59:60], v[13:14], off offset:1536
	;; [unrolled: 1-line block ×6, first 2 shown]
	v_add_co_u32_e32 v13, vcc, s47, v13
	v_addc_co_u32_e32 v14, vcc, 0, v14, vcc
	global_load_dwordx2 v[47:48], v[15:16], off offset:512
	global_load_dwordx2 v[45:46], v[15:16], off offset:1024
	;; [unrolled: 1-line block ×7, first 2 shown]
	global_load_dwordx2 v[49:50], v[13:14], off offset:-4096
	global_load_dwordx2 v[33:34], v[13:14], off
	global_load_dwordx2 v[31:32], v[13:14], off offset:512
	global_load_dwordx2 v[29:30], v[13:14], off offset:1024
	;; [unrolled: 1-line block ×3, first 2 shown]
	s_waitcnt vmcnt(19)
	v_lshrrev_b32_e32 v11, 16, v5
	v_and_b32_e32 v17, 0xffff, v5
	v_lshrrev_b32_e32 v19, 16, v6
	v_and_b32_e32 v20, 0xffff, v6
	global_load_dwordx2 v[27:28], v[13:14], off offset:2048
	global_load_dwordx2 v[5:6], v[13:14], off offset:2560
	;; [unrolled: 1-line block ×3, first 2 shown]
	s_nop 0
	global_load_dwordx2 v[13:14], v[13:14], off offset:3584
	s_waitcnt vmcnt(22)
	v_and_b32_e32 v24, 0xffff, v61
	s_waitcnt vmcnt(0)
	buffer_store_dword v13, off, s[52:55], 0 offset:64 ; 4-byte Folded Spill
	s_nop 0
	buffer_store_dword v14, off, s[52:55], 0 offset:68 ; 4-byte Folded Spill
	global_load_dwordx2 v[13:14], v[3:4], off offset:512
	s_waitcnt vmcnt(0)
	buffer_store_dword v13, off, s[52:55], 0 offset:48 ; 4-byte Folded Spill
	s_nop 0
	buffer_store_dword v14, off, s[52:55], 0 offset:52 ; 4-byte Folded Spill
	global_load_dwordx2 v[13:14], v[3:4], off offset:1024
	;; [unrolled: 5-line block ×4, first 2 shown]
	s_waitcnt vmcnt(0)
	buffer_store_dword v13, off, s[52:55], 0 offset:24 ; 4-byte Folded Spill
	s_nop 0
	buffer_store_dword v14, off, s[52:55], 0 offset:28 ; 4-byte Folded Spill
	global_load_dwordx2 v[13:14], v[3:4], off
	s_waitcnt vmcnt(0)
	buffer_store_dword v13, off, s[52:55], 0 offset:56 ; 4-byte Folded Spill
	s_nop 0
	buffer_store_dword v14, off, s[52:55], 0 offset:60 ; 4-byte Folded Spill
	global_load_dwordx2 v[13:14], v[3:4], off offset:2560
	s_waitcnt vmcnt(0)
	buffer_store_dword v13, off, s[52:55], 0 offset:16 ; 4-byte Folded Spill
	s_nop 0
	buffer_store_dword v14, off, s[52:55], 0 offset:20 ; 4-byte Folded Spill
	global_load_dwordx2 v[13:14], v[3:4], off offset:3072
	s_waitcnt vmcnt(0)
	buffer_store_dword v13, off, s[52:55], 0 offset:8 ; 4-byte Folded Spill
	s_nop 0
	buffer_store_dword v14, off, s[52:55], 0 offset:12 ; 4-byte Folded Spill
	global_load_dwordx2 v[3:4], v[3:4], off offset:3584
	s_waitcnt vmcnt(0)
	buffer_store_dword v3, off, s[52:55], 0 ; 4-byte Folded Spill
	s_nop 0
	buffer_store_dword v4, off, s[52:55], 0 offset:4 ; 4-byte Folded Spill
	;;#ASMSTART
	v_cvt_f32_f16 v4, v9;
	;;#ASMEND
	;;#ASMSTART
	v_cvt_f32_f16 v9, v12;
	;;#ASMEND
	;; [unrolled: 3-line block ×8, first 2 shown]
	ds_read_b64 v[21:22], v0 offset:8
	s_waitcnt lgkmcnt(0)
	v_and_b32_e32 v3, 0xffff, v21
	;;#ASMSTART
	v_cvt_f32_f16 v3, v3;
	;;#ASMEND
	v_lshrrev_b32_e32 v21, 16, v21
	;;#ASMSTART
	v_cvt_f32_f16 v21, v21;
	;;#ASMEND
	;;#ASMSTART
	v_cvt_f32_f16 v24, v24;
	;;#ASMEND
	v_mul_f32_e32 v3, v3, v24
	v_fmac_f32_e32 v3, v4, v12
	v_lshrrev_b32_e32 v4, 16, v61
	;;#ASMSTART
	v_cvt_f32_f16 v4, v4;
	;;#ASMEND
	v_mul_f32_e32 v4, v21, v4
	v_fmac_f32_e32 v4, v9, v11
	v_and_b32_e32 v9, 0xffff, v22
	v_lshrrev_b32_e32 v11, 16, v22
	;;#ASMSTART
	v_cvt_f32_f16 v9, v9;
	;;#ASMEND
	v_and_b32_e32 v12, 0xffff, v62
	;;#ASMSTART
	v_cvt_f32_f16 v11, v11;
	;;#ASMEND
	;;#ASMSTART
	v_cvt_f32_f16 v12, v12;
	;;#ASMEND
	v_mul_f32_e32 v61, v9, v12
	v_lshrrev_b32_e32 v9, 16, v62
	;;#ASMSTART
	v_cvt_f32_f16 v9, v9;
	;;#ASMEND
	ds_read_b64 v[21:22], v0 offset:16
	v_mul_f32_e32 v62, v11, v9
	v_and_b32_e32 v12, 0xffff, v1
	v_lshrrev_b32_e32 v1, 16, v1
	v_fmac_f32_e32 v61, v18, v20
	s_waitcnt lgkmcnt(0)
	v_and_b32_e32 v9, 0xffff, v21
	v_lshrrev_b32_e32 v11, 16, v21
	;;#ASMSTART
	v_cvt_f32_f16 v9, v9;
	;;#ASMEND
	;;#ASMSTART
	v_cvt_f32_f16 v11, v11;
	;;#ASMEND
	;; [unrolled: 3-line block ×4, first 2 shown]
	v_fmac_f32_e32 v4, v11, v1
	v_and_b32_e32 v1, 0xffff, v22
	v_fmac_f32_e32 v3, v9, v12
	v_lshrrev_b32_e32 v9, 16, v22
	;;#ASMSTART
	v_cvt_f32_f16 v1, v1;
	;;#ASMEND
	v_and_b32_e32 v11, 0xffff, v2
	;;#ASMSTART
	v_cvt_f32_f16 v9, v9;
	;;#ASMEND
	;;#ASMSTART
	v_cvt_f32_f16 v11, v11;
	;;#ASMEND
	v_fmac_f32_e32 v61, v1, v11
	v_lshrrev_b32_e32 v1, 16, v2
	v_fmac_f32_e32 v62, v17, v19
	;;#ASMSTART
	v_cvt_f32_f16 v1, v1;
	;;#ASMEND
	v_fmac_f32_e32 v62, v9, v1
	ds_read_b64 v[1:2], v0 offset:24
	v_and_b32_e32 v11, 0xffff, v59
	s_waitcnt lgkmcnt(0)
	v_and_b32_e32 v9, 0xffff, v1
	;;#ASMSTART
	v_cvt_f32_f16 v9, v9;
	;;#ASMEND
	v_lshrrev_b32_e32 v1, 16, v1
	;;#ASMSTART
	v_cvt_f32_f16 v1, v1;
	;;#ASMEND
	;;#ASMSTART
	v_cvt_f32_f16 v11, v11;
	;;#ASMEND
	v_fmac_f32_e32 v3, v9, v11
	v_lshrrev_b32_e32 v9, 16, v59
	;;#ASMSTART
	v_cvt_f32_f16 v9, v9;
	;;#ASMEND
	v_fmac_f32_e32 v4, v1, v9
	v_lshrrev_b32_e32 v9, 16, v2
	v_and_b32_e32 v1, 0xffff, v2
	;;#ASMSTART
	v_cvt_f32_f16 v1, v1;
	;;#ASMEND
	;;#ASMSTART
	v_cvt_f32_f16 v2, v9;
	;;#ASMEND
	v_and_b32_e32 v9, 0xffff, v60
	;;#ASMSTART
	v_cvt_f32_f16 v9, v9;
	;;#ASMEND
	v_fmac_f32_e32 v61, v1, v9
	v_lshrrev_b32_e32 v1, 16, v60
	;;#ASMSTART
	v_cvt_f32_f16 v1, v1;
	;;#ASMEND
	v_fmac_f32_e32 v62, v2, v1
	ds_read_b64 v[1:2], v0 offset:32
	v_and_b32_e32 v11, 0xffff, v57
	s_waitcnt lgkmcnt(0)
	v_and_b32_e32 v9, 0xffff, v1
	;;#ASMSTART
	v_cvt_f32_f16 v9, v9;
	;;#ASMEND
	v_lshrrev_b32_e32 v1, 16, v1
	;;#ASMSTART
	v_cvt_f32_f16 v1, v1;
	;;#ASMEND
	;;#ASMSTART
	v_cvt_f32_f16 v11, v11;
	;;#ASMEND
	v_fmac_f32_e32 v3, v9, v11
	v_lshrrev_b32_e32 v9, 16, v57
	;;#ASMSTART
	v_cvt_f32_f16 v9, v9;
	;;#ASMEND
	v_fmac_f32_e32 v4, v1, v9
	v_lshrrev_b32_e32 v9, 16, v2
	v_and_b32_e32 v1, 0xffff, v2
	;;#ASMSTART
	v_cvt_f32_f16 v1, v1;
	;;#ASMEND
	;;#ASMSTART
	v_cvt_f32_f16 v2, v9;
	;;#ASMEND
	v_and_b32_e32 v9, 0xffff, v58
	;;#ASMSTART
	v_cvt_f32_f16 v9, v9;
	;;#ASMEND
	v_fmac_f32_e32 v61, v1, v9
	v_lshrrev_b32_e32 v1, 16, v58
	;;#ASMSTART
	v_cvt_f32_f16 v1, v1;
	;;#ASMEND
	v_fmac_f32_e32 v62, v2, v1
	ds_read_b64 v[1:2], v0 offset:40
	v_and_b32_e32 v11, 0xffff, v55
	s_waitcnt lgkmcnt(0)
	v_and_b32_e32 v9, 0xffff, v1
	;;#ASMSTART
	v_cvt_f32_f16 v9, v9;
	;;#ASMEND
	v_lshrrev_b32_e32 v1, 16, v1
	;;#ASMSTART
	v_cvt_f32_f16 v1, v1;
	;;#ASMEND
	;;#ASMSTART
	v_cvt_f32_f16 v11, v11;
	;;#ASMEND
	v_fmac_f32_e32 v3, v9, v11
	v_lshrrev_b32_e32 v9, 16, v55
	;;#ASMSTART
	v_cvt_f32_f16 v9, v9;
	;;#ASMEND
	v_fmac_f32_e32 v4, v1, v9
	v_lshrrev_b32_e32 v9, 16, v2
	v_and_b32_e32 v1, 0xffff, v2
	;;#ASMSTART
	v_cvt_f32_f16 v1, v1;
	;;#ASMEND
	;;#ASMSTART
	v_cvt_f32_f16 v2, v9;
	;;#ASMEND
	v_and_b32_e32 v9, 0xffff, v56
	;;#ASMSTART
	v_cvt_f32_f16 v9, v9;
	;;#ASMEND
	v_fmac_f32_e32 v61, v1, v9
	v_lshrrev_b32_e32 v1, 16, v56
	;;#ASMSTART
	v_cvt_f32_f16 v1, v1;
	;;#ASMEND
	v_fmac_f32_e32 v62, v2, v1
	ds_read_b64 v[1:2], v0 offset:48
	v_and_b32_e32 v11, 0xffff, v53
	s_waitcnt lgkmcnt(0)
	v_and_b32_e32 v9, 0xffff, v1
	;;#ASMSTART
	v_cvt_f32_f16 v9, v9;
	;;#ASMEND
	v_lshrrev_b32_e32 v1, 16, v1
	;;#ASMSTART
	v_cvt_f32_f16 v1, v1;
	;;#ASMEND
	;;#ASMSTART
	v_cvt_f32_f16 v11, v11;
	;;#ASMEND
	v_fmac_f32_e32 v3, v9, v11
	v_lshrrev_b32_e32 v9, 16, v53
	;;#ASMSTART
	v_cvt_f32_f16 v9, v9;
	;;#ASMEND
	v_fmac_f32_e32 v4, v1, v9
	v_lshrrev_b32_e32 v9, 16, v2
	v_and_b32_e32 v1, 0xffff, v2
	;;#ASMSTART
	v_cvt_f32_f16 v1, v1;
	;;#ASMEND
	;;#ASMSTART
	v_cvt_f32_f16 v2, v9;
	;;#ASMEND
	v_and_b32_e32 v9, 0xffff, v54
	;;#ASMSTART
	v_cvt_f32_f16 v9, v9;
	;;#ASMEND
	v_fmac_f32_e32 v61, v1, v9
	v_lshrrev_b32_e32 v1, 16, v54
	;;#ASMSTART
	v_cvt_f32_f16 v1, v1;
	;;#ASMEND
	v_fmac_f32_e32 v62, v2, v1
	ds_read_b64 v[1:2], v0 offset:56
	v_and_b32_e32 v11, 0xffff, v51
	s_waitcnt lgkmcnt(0)
	v_and_b32_e32 v9, 0xffff, v1
	;;#ASMSTART
	v_cvt_f32_f16 v9, v9;
	;;#ASMEND
	v_lshrrev_b32_e32 v1, 16, v1
	;;#ASMSTART
	v_cvt_f32_f16 v1, v1;
	;;#ASMEND
	;;#ASMSTART
	v_cvt_f32_f16 v11, v11;
	;;#ASMEND
	v_fmac_f32_e32 v3, v9, v11
	v_lshrrev_b32_e32 v9, 16, v51
	;;#ASMSTART
	v_cvt_f32_f16 v9, v9;
	;;#ASMEND
	v_fmac_f32_e32 v4, v1, v9
	v_lshrrev_b32_e32 v9, 16, v2
	v_and_b32_e32 v1, 0xffff, v2
	;;#ASMSTART
	v_cvt_f32_f16 v1, v1;
	;;#ASMEND
	;;#ASMSTART
	v_cvt_f32_f16 v2, v9;
	;;#ASMEND
	v_and_b32_e32 v9, 0xffff, v52
	;;#ASMSTART
	v_cvt_f32_f16 v9, v9;
	;;#ASMEND
	v_fmac_f32_e32 v61, v1, v9
	v_lshrrev_b32_e32 v1, 16, v52
	;;#ASMSTART
	v_cvt_f32_f16 v1, v1;
	;;#ASMEND
	v_fmac_f32_e32 v62, v2, v1
	ds_read_b64 v[1:2], v0 offset:64
	v_and_b32_e32 v11, 0xffff, v49
	s_waitcnt lgkmcnt(0)
	v_and_b32_e32 v9, 0xffff, v1
	;;#ASMSTART
	v_cvt_f32_f16 v9, v9;
	;;#ASMEND
	v_lshrrev_b32_e32 v1, 16, v1
	;;#ASMSTART
	v_cvt_f32_f16 v1, v1;
	;;#ASMEND
	;;#ASMSTART
	v_cvt_f32_f16 v11, v11;
	;;#ASMEND
	v_fmac_f32_e32 v3, v9, v11
	v_lshrrev_b32_e32 v9, 16, v49
	;;#ASMSTART
	v_cvt_f32_f16 v9, v9;
	;;#ASMEND
	v_fmac_f32_e32 v4, v1, v9
	v_lshrrev_b32_e32 v9, 16, v2
	v_and_b32_e32 v1, 0xffff, v2
	;;#ASMSTART
	v_cvt_f32_f16 v1, v1;
	;;#ASMEND
	;;#ASMSTART
	v_cvt_f32_f16 v2, v9;
	;;#ASMEND
	v_and_b32_e32 v9, 0xffff, v50
	;;#ASMSTART
	v_cvt_f32_f16 v9, v9;
	;;#ASMEND
	v_fmac_f32_e32 v61, v1, v9
	v_lshrrev_b32_e32 v1, 16, v50
	;;#ASMSTART
	v_cvt_f32_f16 v1, v1;
	;;#ASMEND
	v_fmac_f32_e32 v62, v2, v1
	ds_read_b64 v[1:2], v0 offset:72
	v_and_b32_e32 v11, 0xffff, v47
	s_waitcnt lgkmcnt(0)
	v_and_b32_e32 v9, 0xffff, v1
	;;#ASMSTART
	v_cvt_f32_f16 v9, v9;
	;;#ASMEND
	v_lshrrev_b32_e32 v1, 16, v1
	;;#ASMSTART
	v_cvt_f32_f16 v1, v1;
	;;#ASMEND
	;;#ASMSTART
	v_cvt_f32_f16 v11, v11;
	;;#ASMEND
	v_fmac_f32_e32 v3, v9, v11
	v_lshrrev_b32_e32 v9, 16, v47
	;;#ASMSTART
	v_cvt_f32_f16 v9, v9;
	;;#ASMEND
	v_fmac_f32_e32 v4, v1, v9
	v_and_b32_e32 v1, 0xffff, v2
	v_lshrrev_b32_e32 v9, 16, v2
	;;#ASMSTART
	v_cvt_f32_f16 v1, v1;
	;;#ASMEND
	v_and_b32_e32 v2, 0xffff, v48
	;;#ASMSTART
	v_cvt_f32_f16 v9, v9;
	;;#ASMEND
	;;#ASMSTART
	v_cvt_f32_f16 v2, v2;
	;;#ASMEND
	v_fmac_f32_e32 v61, v1, v2
	v_lshrrev_b32_e32 v1, 16, v48
	;;#ASMSTART
	v_cvt_f32_f16 v11, v1;
	;;#ASMEND
	ds_read_b64 v[1:2], v0 offset:80
	v_fmac_f32_e32 v62, v9, v11
	v_and_b32_e32 v11, 0xffff, v45
	s_waitcnt lgkmcnt(0)
	v_and_b32_e32 v9, 0xffff, v1
	;;#ASMSTART
	v_cvt_f32_f16 v9, v9;
	;;#ASMEND
	v_lshrrev_b32_e32 v1, 16, v1
	;;#ASMSTART
	v_cvt_f32_f16 v1, v1;
	;;#ASMEND
	;;#ASMSTART
	v_cvt_f32_f16 v11, v11;
	;;#ASMEND
	v_fmac_f32_e32 v3, v9, v11
	v_lshrrev_b32_e32 v9, 16, v45
	;;#ASMSTART
	v_cvt_f32_f16 v9, v9;
	;;#ASMEND
	v_fmac_f32_e32 v4, v1, v9
	v_lshrrev_b32_e32 v1, 16, v2
	v_and_b32_e32 v2, 0xffff, v2
	;;#ASMSTART
	v_cvt_f32_f16 v9, v2;
	;;#ASMEND
	;;#ASMSTART
	v_cvt_f32_f16 v11, v1;
	;;#ASMEND
	v_and_b32_e32 v1, 0xffff, v46
	;;#ASMSTART
	v_cvt_f32_f16 v12, v1;
	;;#ASMEND
	v_lshrrev_b32_e32 v1, 16, v46
	;;#ASMSTART
	v_cvt_f32_f16 v17, v1;
	;;#ASMEND
	ds_read_b64 v[1:2], v0 offset:88
	v_fmac_f32_e32 v61, v9, v12
	v_fmac_f32_e32 v62, v11, v17
	s_waitcnt lgkmcnt(0)
	v_and_b32_e32 v9, 0xffff, v1
	v_lshrrev_b32_e32 v1, 16, v1
	;;#ASMSTART
	v_cvt_f32_f16 v9, v9;
	;;#ASMEND
	;;#ASMSTART
	v_cvt_f32_f16 v11, v1;
	;;#ASMEND
	v_and_b32_e32 v1, 0xffff, v43
	;;#ASMSTART
	v_cvt_f32_f16 v1, v1;
	;;#ASMEND
	v_fmac_f32_e32 v3, v9, v1
	v_lshrrev_b32_e32 v1, 16, v43
	;;#ASMSTART
	v_cvt_f32_f16 v9, v1;
	;;#ASMEND
	v_lshrrev_b32_e32 v1, 16, v2
	v_and_b32_e32 v2, 0xffff, v2
	;;#ASMSTART
	v_cvt_f32_f16 v12, v2;
	;;#ASMEND
	;;#ASMSTART
	v_cvt_f32_f16 v17, v1;
	;;#ASMEND
	v_and_b32_e32 v1, 0xffff, v44
	;;#ASMSTART
	v_cvt_f32_f16 v18, v1;
	;;#ASMEND
	v_lshrrev_b32_e32 v1, 16, v44
	;;#ASMSTART
	v_cvt_f32_f16 v19, v1;
	;;#ASMEND
	ds_read_b64 v[1:2], v0 offset:96
	v_fmac_f32_e32 v4, v11, v9
	v_fmac_f32_e32 v61, v12, v18
	v_fmac_f32_e32 v62, v17, v19
	s_waitcnt lgkmcnt(0)
	v_and_b32_e32 v9, 0xffff, v1
	v_lshrrev_b32_e32 v1, 16, v1
	;;#ASMSTART
	v_cvt_f32_f16 v9, v9;
	;;#ASMEND
	;;#ASMSTART
	v_cvt_f32_f16 v11, v1;
	;;#ASMEND
	v_and_b32_e32 v1, 0xffff, v41
	;;#ASMSTART
	v_cvt_f32_f16 v12, v1;
	;;#ASMEND
	v_lshrrev_b32_e32 v1, 16, v41
	;;#ASMSTART
	v_cvt_f32_f16 v17, v1;
	;;#ASMEND
	v_lshrrev_b32_e32 v1, 16, v2
	v_and_b32_e32 v2, 0xffff, v2
	;;#ASMSTART
	v_cvt_f32_f16 v18, v2;
	;;#ASMEND
	;;#ASMSTART
	v_cvt_f32_f16 v19, v1;
	;;#ASMEND
	v_and_b32_e32 v1, 0xffff, v42
	;;#ASMSTART
	v_cvt_f32_f16 v20, v1;
	;;#ASMEND
	v_lshrrev_b32_e32 v1, 16, v42
	;;#ASMSTART
	v_cvt_f32_f16 v21, v1;
	;;#ASMEND
	ds_read_b64 v[1:2], v0 offset:104
	v_fmac_f32_e32 v3, v9, v12
	v_fmac_f32_e32 v4, v11, v17
	v_fmac_f32_e32 v61, v18, v20
	v_fmac_f32_e32 v62, v19, v21
	s_waitcnt lgkmcnt(0)
	v_and_b32_e32 v9, 0xffff, v1
	v_lshrrev_b32_e32 v1, 16, v1
	;;#ASMSTART
	v_cvt_f32_f16 v9, v9;
	;;#ASMEND
	;;#ASMSTART
	v_cvt_f32_f16 v11, v1;
	;;#ASMEND
	v_and_b32_e32 v1, 0xffff, v39
	;;#ASMSTART
	v_cvt_f32_f16 v12, v1;
	;;#ASMEND
	v_lshrrev_b32_e32 v1, 16, v39
	;;#ASMSTART
	v_cvt_f32_f16 v17, v1;
	;;#ASMEND
	v_lshrrev_b32_e32 v1, 16, v2
	v_and_b32_e32 v2, 0xffff, v2
	;;#ASMSTART
	v_cvt_f32_f16 v18, v2;
	;;#ASMEND
	;;#ASMSTART
	v_cvt_f32_f16 v19, v1;
	;;#ASMEND
	v_and_b32_e32 v1, 0xffff, v40
	;;#ASMSTART
	v_cvt_f32_f16 v20, v1;
	;;#ASMEND
	v_lshrrev_b32_e32 v1, 16, v40
	;;#ASMSTART
	v_cvt_f32_f16 v21, v1;
	;;#ASMEND
	ds_read_b64 v[1:2], v0 offset:112
	v_fmac_f32_e32 v3, v9, v12
	;; [unrolled: 38-line block ×11, first 2 shown]
	v_fmac_f32_e32 v4, v6, v11
	v_fmac_f32_e32 v61, v12, v17
	;; [unrolled: 1-line block ×3, first 2 shown]
	s_waitcnt lgkmcnt(0)
	v_and_b32_e32 v5, 0xffff, v1
	;;#ASMSTART
	v_cvt_f32_f16 v5, v5;
	;;#ASMEND
	v_lshrrev_b32_e32 v1, 16, v1
	;;#ASMSTART
	v_cvt_f32_f16 v6, v1;
	;;#ASMEND
	buffer_load_dword v13, off, s[52:55], 0 offset:64 ; 4-byte Folded Reload
	buffer_load_dword v14, off, s[52:55], 0 offset:68 ; 4-byte Folded Reload
	s_waitcnt vmcnt(1)
	v_and_b32_e32 v1, 0xffff, v13
	;;#ASMSTART
	v_cvt_f32_f16 v9, v1;
	;;#ASMEND
	v_lshrrev_b32_e32 v1, 16, v13
	;;#ASMSTART
	v_cvt_f32_f16 v11, v1;
	;;#ASMEND
	v_lshrrev_b32_e32 v1, 16, v2
	v_and_b32_e32 v2, 0xffff, v2
	;;#ASMSTART
	v_cvt_f32_f16 v12, v2;
	;;#ASMEND
	;;#ASMSTART
	v_cvt_f32_f16 v13, v1;
	;;#ASMEND
	s_waitcnt vmcnt(0)
	v_and_b32_e32 v1, 0xffff, v14
	;;#ASMSTART
	v_cvt_f32_f16 v15, v1;
	;;#ASMEND
	v_lshrrev_b32_e32 v1, 16, v14
	;;#ASMSTART
	v_cvt_f32_f16 v14, v1;
	;;#ASMEND
	ds_read_b64 v[1:2], v0 offset:192
	v_fmac_f32_e32 v3, v5, v9
	v_fmac_f32_e32 v4, v6, v11
	v_fmac_f32_e32 v62, v13, v14
	v_fmac_f32_e32 v61, v12, v15
	s_waitcnt lgkmcnt(0)
	v_and_b32_e32 v5, 0xffff, v1
	;;#ASMSTART
	v_cvt_f32_f16 v5, v5;
	;;#ASMEND
	v_lshrrev_b32_e32 v1, 16, v1
	;;#ASMSTART
	v_cvt_f32_f16 v6, v1;
	;;#ASMEND
	buffer_load_dword v13, off, s[52:55], 0 offset:56 ; 4-byte Folded Reload
	buffer_load_dword v14, off, s[52:55], 0 offset:60 ; 4-byte Folded Reload
	s_waitcnt vmcnt(1)
	v_and_b32_e32 v1, 0xffff, v13
	;;#ASMSTART
	v_cvt_f32_f16 v9, v1;
	;;#ASMEND
	v_lshrrev_b32_e32 v1, 16, v13
	;;#ASMSTART
	v_cvt_f32_f16 v11, v1;
	;;#ASMEND
	v_lshrrev_b32_e32 v1, 16, v2
	v_and_b32_e32 v2, 0xffff, v2
	;;#ASMSTART
	v_cvt_f32_f16 v12, v2;
	;;#ASMEND
	;;#ASMSTART
	v_cvt_f32_f16 v13, v1;
	;;#ASMEND
	s_waitcnt vmcnt(0)
	v_and_b32_e32 v1, 0xffff, v14
	v_mov_b32_e32 v2, v14
	;;#ASMSTART
	v_cvt_f32_f16 v14, v1;
	;;#ASMEND
	v_lshrrev_b32_e32 v1, 16, v2
	;;#ASMSTART
	v_cvt_f32_f16 v15, v1;
	;;#ASMEND
	ds_read_b64 v[1:2], v0 offset:200
	v_fmac_f32_e32 v3, v5, v9
	v_fmac_f32_e32 v4, v6, v11
	v_fmac_f32_e32 v61, v12, v14
	v_fmac_f32_e32 v62, v13, v15
	s_waitcnt lgkmcnt(0)
	v_and_b32_e32 v5, 0xffff, v1
	;;#ASMSTART
	v_cvt_f32_f16 v5, v5;
	;;#ASMEND
	v_lshrrev_b32_e32 v1, 16, v1
	;;#ASMSTART
	v_cvt_f32_f16 v6, v1;
	;;#ASMEND
	buffer_load_dword v13, off, s[52:55], 0 offset:48 ; 4-byte Folded Reload
	buffer_load_dword v14, off, s[52:55], 0 offset:52 ; 4-byte Folded Reload
	s_waitcnt vmcnt(1)
	v_and_b32_e32 v1, 0xffff, v13
	;;#ASMSTART
	v_cvt_f32_f16 v9, v1;
	;;#ASMEND
	v_lshrrev_b32_e32 v1, 16, v13
	;;#ASMSTART
	v_cvt_f32_f16 v11, v1;
	;;#ASMEND
	v_lshrrev_b32_e32 v1, 16, v2
	v_and_b32_e32 v2, 0xffff, v2
	;;#ASMSTART
	v_cvt_f32_f16 v12, v2;
	;;#ASMEND
	;;#ASMSTART
	v_cvt_f32_f16 v13, v1;
	;;#ASMEND
	s_waitcnt vmcnt(0)
	v_and_b32_e32 v1, 0xffff, v14
	v_mov_b32_e32 v2, v14
	;; [unrolled: 43-line block ×3, first 2 shown]
	;;#ASMSTART
	v_cvt_f32_f16 v14, v1;
	;;#ASMEND
	v_lshrrev_b32_e32 v1, 16, v2
	;;#ASMSTART
	v_cvt_f32_f16 v15, v1;
	;;#ASMEND
	ds_read_b64 v[1:2], v0 offset:216
	v_fmac_f32_e32 v3, v5, v9
	v_fmac_f32_e32 v4, v6, v11
	;; [unrolled: 1-line block ×4, first 2 shown]
	s_waitcnt lgkmcnt(0)
	v_and_b32_e32 v5, 0xffff, v1
	;;#ASMSTART
	v_cvt_f32_f16 v5, v5;
	;;#ASMEND
	v_lshrrev_b32_e32 v1, 16, v1
	;;#ASMSTART
	v_cvt_f32_f16 v6, v1;
	;;#ASMEND
	buffer_load_dword v11, off, s[52:55], 0 offset:32 ; 4-byte Folded Reload
	buffer_load_dword v12, off, s[52:55], 0 offset:36 ; 4-byte Folded Reload
	s_waitcnt vmcnt(1)
	v_and_b32_e32 v1, 0xffff, v11
	;;#ASMSTART
	v_cvt_f32_f16 v9, v1;
	;;#ASMEND
	v_lshrrev_b32_e32 v1, 16, v11
	;;#ASMSTART
	v_cvt_f32_f16 v11, v1;
	;;#ASMEND
	v_lshrrev_b32_e32 v1, 16, v2
	v_and_b32_e32 v2, 0xffff, v2
	s_waitcnt vmcnt(0)
	v_lshrrev_b32_e32 v15, 16, v12
	v_and_b32_e32 v14, 0xffff, v12
	;;#ASMSTART
	v_cvt_f32_f16 v12, v2;
	;;#ASMEND
	;;#ASMSTART
	v_cvt_f32_f16 v13, v1;
	;;#ASMEND
	;; [unrolled: 3-line block ×4, first 2 shown]
	ds_read_b64 v[1:2], v0 offset:224
	v_fmac_f32_e32 v4, v6, v11
	v_fmac_f32_e32 v3, v5, v9
	;; [unrolled: 1-line block ×4, first 2 shown]
	s_waitcnt lgkmcnt(0)
	v_lshrrev_b32_e32 v6, 16, v1
	v_and_b32_e32 v1, 0xffff, v1
	;;#ASMSTART
	v_cvt_f32_f16 v5, v1;
	;;#ASMEND
	;;#ASMSTART
	v_cvt_f32_f16 v6, v6;
	;;#ASMEND
	buffer_load_dword v13, off, s[52:55], 0 offset:24 ; 4-byte Folded Reload
	buffer_load_dword v14, off, s[52:55], 0 offset:28 ; 4-byte Folded Reload
	s_waitcnt vmcnt(1)
	v_and_b32_e32 v1, 0xffff, v13
	;;#ASMSTART
	v_cvt_f32_f16 v9, v1;
	;;#ASMEND
	v_lshrrev_b32_e32 v1, 16, v13
	;;#ASMSTART
	v_cvt_f32_f16 v11, v1;
	;;#ASMEND
	v_lshrrev_b32_e32 v1, 16, v2
	v_and_b32_e32 v2, 0xffff, v2
	;;#ASMSTART
	v_cvt_f32_f16 v12, v2;
	;;#ASMEND
	;;#ASMSTART
	v_cvt_f32_f16 v13, v1;
	;;#ASMEND
	s_waitcnt vmcnt(0)
	v_lshrrev_b32_e32 v1, 16, v14
	v_and_b32_e32 v2, 0xffff, v14
	;;#ASMSTART
	v_cvt_f32_f16 v14, v2;
	;;#ASMEND
	;;#ASMSTART
	v_cvt_f32_f16 v15, v1;
	;;#ASMEND
	ds_read_b64 v[1:2], v0 offset:232
	v_fmac_f32_e32 v4, v6, v11
	v_fmac_f32_e32 v3, v5, v9
	;; [unrolled: 1-line block ×4, first 2 shown]
	s_waitcnt lgkmcnt(0)
	v_lshrrev_b32_e32 v6, 16, v1
	v_and_b32_e32 v1, 0xffff, v1
	;;#ASMSTART
	v_cvt_f32_f16 v5, v1;
	;;#ASMEND
	;;#ASMSTART
	v_cvt_f32_f16 v6, v6;
	;;#ASMEND
	buffer_load_dword v11, off, s[52:55], 0 offset:16 ; 4-byte Folded Reload
	buffer_load_dword v12, off, s[52:55], 0 offset:20 ; 4-byte Folded Reload
	s_waitcnt vmcnt(1)
	v_lshrrev_b32_e32 v1, 16, v11
	v_and_b32_e32 v9, 0xffff, v11
	s_waitcnt vmcnt(0)
	v_mov_b32_e32 v14, v12
	;;#ASMSTART
	v_cvt_f32_f16 v9, v9;
	;;#ASMEND
	;;#ASMSTART
	v_cvt_f32_f16 v11, v1;
	;;#ASMEND
	v_lshrrev_b32_e32 v1, 16, v2
	v_and_b32_e32 v2, 0xffff, v2
	;;#ASMSTART
	v_cvt_f32_f16 v12, v2;
	;;#ASMEND
	;;#ASMSTART
	v_cvt_f32_f16 v13, v1;
	;;#ASMEND
	v_lshrrev_b32_e32 v1, 16, v14
	v_and_b32_e32 v2, 0xffff, v14
	;;#ASMSTART
	v_cvt_f32_f16 v14, v2;
	;;#ASMEND
	;;#ASMSTART
	v_cvt_f32_f16 v15, v1;
	;;#ASMEND
	ds_read_b64 v[1:2], v0 offset:240
	v_fmac_f32_e32 v4, v6, v11
	v_fmac_f32_e32 v3, v5, v9
	;; [unrolled: 1-line block ×4, first 2 shown]
	s_waitcnt lgkmcnt(0)
	v_lshrrev_b32_e32 v6, 16, v1
	v_and_b32_e32 v1, 0xffff, v1
	;;#ASMSTART
	v_cvt_f32_f16 v5, v1;
	;;#ASMEND
	;;#ASMSTART
	v_cvt_f32_f16 v6, v6;
	;;#ASMEND
	buffer_load_dword v11, off, s[52:55], 0 offset:8 ; 4-byte Folded Reload
	buffer_load_dword v12, off, s[52:55], 0 offset:12 ; 4-byte Folded Reload
	s_waitcnt vmcnt(1)
	v_lshrrev_b32_e32 v1, 16, v11
	v_and_b32_e32 v9, 0xffff, v11
	s_waitcnt vmcnt(0)
	v_mov_b32_e32 v14, v12
	;;#ASMSTART
	v_cvt_f32_f16 v9, v9;
	;;#ASMEND
	;;#ASMSTART
	v_cvt_f32_f16 v11, v1;
	;;#ASMEND
	v_lshrrev_b32_e32 v1, 16, v2
	v_and_b32_e32 v2, 0xffff, v2
	;;#ASMSTART
	v_cvt_f32_f16 v12, v2;
	;;#ASMEND
	;;#ASMSTART
	v_cvt_f32_f16 v13, v1;
	;;#ASMEND
	v_lshrrev_b32_e32 v1, 16, v14
	v_and_b32_e32 v2, 0xffff, v14
	;;#ASMSTART
	v_cvt_f32_f16 v14, v2;
	;;#ASMEND
	;;#ASMSTART
	v_cvt_f32_f16 v15, v1;
	;;#ASMEND
	ds_read_b64 v[1:2], v0 offset:248
	v_fmac_f32_e32 v3, v5, v9
	v_fmac_f32_e32 v4, v6, v11
	;; [unrolled: 1-line block ×4, first 2 shown]
	s_waitcnt lgkmcnt(0)
	v_lshrrev_b32_e32 v5, 16, v1
	v_and_b32_e32 v1, 0xffff, v1
	;;#ASMSTART
	v_cvt_f32_f16 v1, v1;
	;;#ASMEND
	;;#ASMSTART
	v_cvt_f32_f16 v5, v5;
	;;#ASMEND
	buffer_load_dword v11, off, s[52:55], 0 ; 4-byte Folded Reload
	buffer_load_dword v12, off, s[52:55], 0 offset:4 ; 4-byte Folded Reload
	s_waitcnt vmcnt(1)
	v_lshrrev_b32_e32 v9, 16, v11
	v_and_b32_e32 v6, 0xffff, v11
	;;#ASMSTART
	v_cvt_f32_f16 v6, v6;
	;;#ASMEND
	;;#ASMSTART
	v_cvt_f32_f16 v9, v9;
	;;#ASMEND
	v_fmac_f32_e32 v3, v1, v6
	v_fmac_f32_e32 v4, v5, v9
	v_lshrrev_b32_e32 v5, 16, v2
	v_and_b32_e32 v1, 0xffff, v2
	;;#ASMSTART
	v_cvt_f32_f16 v1, v1;
	;;#ASMEND
	;;#ASMSTART
	v_cvt_f32_f16 v2, v5;
	;;#ASMEND
	s_waitcnt vmcnt(0)
	v_lshrrev_b32_e32 v6, 16, v12
	v_and_b32_e32 v5, 0xffff, v12
	;;#ASMSTART
	v_cvt_f32_f16 v5, v5;
	;;#ASMEND
	;;#ASMSTART
	v_cvt_f32_f16 v6, v6;
	;;#ASMEND
	v_fmac_f32_e32 v61, v1, v5
	v_fmac_f32_e32 v62, v2, v6
	v_add_f32_e32 v1, v3, v4
	buffer_load_dword v3, off, s[52:55], 0 offset:96 ; 4-byte Folded Reload
	buffer_load_dword v2, off, s[52:55], 0 offset:100 ; 4-byte Folded Reload
	v_add_f32_e32 v1, v1, v61
	v_add_f32_e32 v1, v62, v1
	s_waitcnt vmcnt(0)
	v_cmp_lt_i32_e32 vcc, v3, v2
	buffer_load_dword v2, off, s[52:55], 0 offset:92 ; 4-byte Folded Reload
	s_waitcnt vmcnt(0)
	v_cndmask_b32_e32 v2, v2, v3, vcc
	v_lshlrev_b32_e32 v2, 2, v2
	ds_bpermute_b32 v2, v2, v1
	s_and_saveexec_b64 s[40:41], s[4:5]
	s_cbranch_execz .LBB98_11
; %bb.19:                               ;   in Loop: Header=BB98_13 Depth=1
	buffer_load_dword v3, off, s[52:55], 0 offset:108 ; 4-byte Folded Reload
	buffer_load_dword v4, off, s[52:55], 0 offset:104 ; 4-byte Folded Reload
	s_waitcnt lgkmcnt(0)
	v_add_f32_e32 v1, v1, v2
	s_waitcnt vmcnt(1)
	v_add_u32_e32 v3, v3, v10
	v_cvt_f32_i32_e32 v3, v3
	v_mul_f32_e32 v2, s44, v3
	buffer_load_dword v3, off, s[52:55], 0 offset:72 ; 4-byte Folded Reload
	s_waitcnt vmcnt(1)
	v_add_u32_e32 v4, v4, v10
	v_cndmask_b32_e64 v2, 0, v2, s[6:7]
	v_fmac_f32_e32 v2, s35, v1
	v_cmp_gt_i32_e32 vcc, s21, v4
	v_cndmask_b32_e32 v1, 0, v2, vcc
	ds_write_b32 v23, v1
	s_waitcnt vmcnt(0)
	v_max_f32_e32 v1, v3, v3
	v_max_f32_e32 v1, v1, v2
	v_cndmask_b32_e32 v3, v3, v1, vcc
	buffer_store_dword v3, off, s[52:55], 0 offset:72 ; 4-byte Folded Spill
	s_branch .LBB98_11
.LBB98_20:
	s_or_b64 exec, exec, s[38:39]
	buffer_load_dword v12, off, s[52:55], 0 offset:112 ; 4-byte Folded Reload
	buffer_load_dword v13, off, s[52:55], 0 offset:120 ; 4-byte Folded Reload
	buffer_load_dword v14, off, s[52:55], 0 offset:124 ; 4-byte Folded Reload
	buffer_load_dword v3, off, s[52:55], 0 offset:72 ; 4-byte Folded Reload
	v_mbcnt_lo_u32_b32 v6, -1, 0
.LBB98_21:
	s_or_b64 exec, exec, s[36:37]
	v_mbcnt_hi_u32_b32 v0, -1, v6
	v_and_b32_e32 v7, 64, v0
	v_add_u32_e32 v8, 64, v7
	v_xor_b32_e32 v1, 32, v0
	v_cmp_lt_i32_e32 vcc, v1, v8
	v_cndmask_b32_e32 v1, v0, v1, vcc
	v_lshlrev_b32_e32 v1, 2, v1
	s_waitcnt vmcnt(0) lgkmcnt(0)
	ds_bpermute_b32 v2, v1, v3
	v_xor_b32_e32 v4, 16, v0
	v_max_f32_e32 v3, v3, v3
	v_cmp_lt_i32_e32 vcc, v4, v8
	v_xor_b32_e32 v5, 8, v0
	s_waitcnt lgkmcnt(0)
	v_max_f32_e32 v2, v2, v2
	v_max_f32_e32 v3, v3, v2
	v_cndmask_b32_e32 v2, v0, v4, vcc
	v_lshlrev_b32_e32 v2, 2, v2
	ds_bpermute_b32 v4, v2, v3
	v_cmp_lt_i32_e32 vcc, v5, v8
	v_xor_b32_e32 v6, 4, v0
	v_xor_b32_e32 v9, 2, v0
	v_and_b32_e32 v30, 63, v12
	s_waitcnt lgkmcnt(0)
	v_max_f32_e32 v4, v4, v4
	v_max_f32_e32 v4, v3, v4
	v_cndmask_b32_e32 v3, v0, v5, vcc
	v_lshlrev_b32_e32 v3, 2, v3
	ds_bpermute_b32 v5, v3, v4
	v_cmp_lt_i32_e32 vcc, v6, v8
	s_waitcnt lgkmcnt(0)
	v_max_f32_e32 v5, v5, v5
	v_max_f32_e32 v5, v4, v5
	v_cndmask_b32_e32 v4, v0, v6, vcc
	v_lshlrev_b32_e32 v4, 2, v4
	ds_bpermute_b32 v6, v4, v5
	v_cmp_lt_i32_e32 vcc, v9, v8
	s_waitcnt lgkmcnt(0)
	v_max_f32_e32 v6, v6, v6
	v_max_f32_e32 v6, v5, v6
	v_cndmask_b32_e32 v5, v0, v9, vcc
	v_lshlrev_b32_e32 v17, 2, v5
	ds_bpermute_b32 v10, v17, v6
	v_cmp_eq_u32_e32 vcc, 0, v30
	v_lshlrev_b32_e32 v5, 2, v22
	s_and_saveexec_b64 s[4:5], vcc
	s_cbranch_execz .LBB98_23
; %bb.22:
	s_waitcnt lgkmcnt(0)
	v_max_f32_e32 v9, v10, v10
	v_max_f32_e32 v6, v6, v6
	;; [unrolled: 1-line block ×3, first 2 shown]
	ds_write_b32 v5, v6 offset:512
.LBB98_23:
	s_or_b64 exec, exec, s[4:5]
	v_cmp_gt_u32_e64 s[4:5], 2, v30
	s_waitcnt lgkmcnt(0)
	v_mov_b32_e32 v10, 0xff7fffff
	v_lshlrev_b32_e32 v6, 2, v30
	s_barrier
	s_and_saveexec_b64 s[6:7], s[4:5]
; %bb.24:
	ds_read_b32 v10, v6 offset:512
; %bb.25:
	s_or_b64 exec, exec, s[6:7]
	v_xor_b32_e32 v9, 1, v0
	v_cmp_lt_i32_e64 s[6:7], v9, v8
	v_cndmask_b32_e64 v8, v0, v9, s[6:7]
	v_lshlrev_b32_e32 v31, 2, v8
	s_waitcnt lgkmcnt(0)
	ds_bpermute_b32 v8, v31, v10
	v_max_f32_e32 v9, v10, v10
	v_lshlrev_b32_e32 v7, 2, v7
	s_lshl_b32 s6, s43, 5
	s_min_i32 s15, s6, s21
	s_waitcnt lgkmcnt(0)
	v_max_f32_e32 v8, v8, v8
	v_max_f32_e32 v8, v9, v8
	ds_bpermute_b32 v8, v7, v8
	v_cmp_gt_i32_e64 s[6:7], s15, v12
	v_mov_b32_e32 v7, 0
	s_and_saveexec_b64 s[34:35], s[6:7]
	s_cbranch_execz .LBB98_29
; %bb.26:
	v_mov_b32_e32 v7, 0x210
	v_lshl_add_u32 v10, v12, 2, v7
	v_mov_b32_e32 v7, 0
	s_mov_b64 s[36:37], 0
	v_mov_b32_e32 v11, v12
.LBB98_27:                              ; =>This Inner Loop Header: Depth=1
	ds_read_b32 v9, v10
	v_add_u32_e32 v11, 0x80, v11
	v_cmp_le_i32_e64 s[10:11], s15, v11
	s_or_b64 s[36:37], s[10:11], s[36:37]
	s_waitcnt lgkmcnt(0)
	v_sub_f32_e32 v9, v9, v8
	v_mul_f32_e32 v9, 0x3fb8aa3b, v9
	v_exp_f32_e32 v9, v9
	ds_write_b32 v10, v9
	v_add_f32_e32 v7, v7, v9
	v_add_u32_e32 v10, 0x200, v10
	s_andn2_b64 exec, exec, s[36:37]
	s_cbranch_execnz .LBB98_27
; %bb.28:
	s_or_b64 exec, exec, s[36:37]
.LBB98_29:
	s_or_b64 exec, exec, s[34:35]
	ds_bpermute_b32 v1, v1, v7
	s_waitcnt lgkmcnt(0)
	v_add_f32_e32 v1, v7, v1
	ds_bpermute_b32 v2, v2, v1
	s_waitcnt lgkmcnt(0)
	v_add_f32_e32 v1, v1, v2
	;; [unrolled: 3-line block ×6, first 2 shown]
	s_and_saveexec_b64 s[10:11], vcc
; %bb.30:
	ds_write_b32 v5, v1 offset:520
; %bb.31:
	s_or_b64 exec, exec, s[10:11]
	s_waitcnt lgkmcnt(0)
	s_barrier
	s_and_saveexec_b64 s[10:11], s[4:5]
; %bb.32:
	ds_read_b32 v1, v6 offset:520
; %bb.33:
	s_or_b64 exec, exec, s[10:11]
	s_waitcnt lgkmcnt(0)
	ds_bpermute_b32 v2, v31, v1
	v_lshlrev_b32_e32 v0, 2, v0
	v_and_b32_e32 v0, 0x100, v0
	s_waitcnt lgkmcnt(0)
	v_add_f32_e32 v1, v1, v2
	ds_bpermute_b32 v0, v0, v1
	s_and_saveexec_b64 s[4:5], s[6:7]
	s_cbranch_execz .LBB98_36
; %bb.34:
	s_waitcnt lgkmcnt(0)
	v_add_f32_e32 v1, 0x358637bd, v0
	v_div_scale_f32 v0, s[6:7], v1, v1, 1.0
	v_div_scale_f32 v2, vcc, 1.0, v1, 1.0
	s_mov_b64 s[6:7], 0
	v_rcp_f32_e32 v3, v0
	v_fma_f32 v4, -v0, v3, 1.0
	v_fmac_f32_e32 v3, v4, v3
	v_mul_f32_e32 v4, v2, v3
	v_fma_f32 v5, -v0, v4, v2
	v_fmac_f32_e32 v4, v5, v3
	v_fma_f32 v0, -v0, v4, v2
	v_div_fmas_f32 v2, v0, v3, v4
	v_mov_b32_e32 v0, 0x210
	v_lshl_add_u32 v0, v12, 2, v0
	v_div_fixup_f32 v1, v2, v1, 1.0
	v_mov_b32_e32 v2, v12
.LBB98_35:                              ; =>This Inner Loop Header: Depth=1
	ds_read_b32 v3, v0
	v_add_u32_e32 v2, 0x80, v2
	v_cmp_le_i32_e32 vcc, s15, v2
	s_or_b64 s[6:7], vcc, s[6:7]
	s_waitcnt lgkmcnt(0)
	v_mul_f32_e32 v3, v1, v3
	ds_write_b32 v0, v3
	v_add_u32_e32 v0, 0x200, v0
	s_andn2_b64 exec, exec, s[6:7]
	s_cbranch_execnz .LBB98_35
.LBB98_36:
	s_or_b64 exec, exec, s[4:5]
	v_mov_b32_e32 v28, 0
	v_and_b32_e32 v32, 3, v12
	v_mov_b32_e32 v29, 0
	v_mov_b32_e32 v27, 0
	;; [unrolled: 1-line block ×15, first 2 shown]
	s_waitcnt lgkmcnt(0)
	s_barrier
	s_and_saveexec_b64 s[4:5], s[2:3]
	s_cbranch_execz .LBB98_74
; %bb.37:
	s_ashr_i32 s15, s14, 31
	s_sub_i32 s17, s12, s17
	s_lshl_b64 s[2:3], s[14:15], 1
	s_add_u32 s14, s30, s2
	s_addc_u32 s15, s31, s3
	s_abs_i32 s18, s18
	v_cvt_f32_u32_e32 v0, s18
	s_sub_i32 s2, 0, s18
	buffer_store_dword v31, off, s[52:55], 0 offset:100 ; 4-byte Folded Spill
	buffer_store_dword v17, off, s[52:55], 0 offset:96 ; 4-byte Folded Spill
	;; [unrolled: 1-line block ×3, first 2 shown]
	s_add_i32 s31, s43, -1
	v_rcp_iflag_f32_e32 v0, v0
	v_and_b32_e32 v1, 24, v13
	buffer_store_dword v1, off, s[52:55], 0 offset:80 ; 4-byte Folded Spill
	v_and_b32_e32 v1, 0x1f8, v13
	v_mul_f32_e32 v0, 0x4f7ffffe, v0
	v_cvt_u32_f32_e32 v0, v0
	v_and_b32_e32 v4, 60, v14
	v_or_b32_e32 v2, 0x1e00, v13
	s_mov_b32 s30, s13
	v_mul_lo_u32 v3, s2, v0
	s_lshl_b64 s[2:3], s[28:29], 2
	s_add_u32 s2, s26, s2
	s_addc_u32 s3, s27, s3
	v_mul_hi_u32 v3, v0, v3
	v_mov_b32_e32 v6, s3
	v_add_co_u32_e32 v5, vcc, s2, v4
	v_add_u32_e32 v0, v0, v3
	buffer_load_dword v3, off, s[52:55], 0 offset:116 ; 4-byte Folded Reload
	v_mov_b32_e32 v31, 0
	buffer_store_dword v0, off, s[52:55], 0 ; 4-byte Folded Spill
	v_lshlrev_b32_e32 v0, 5, v32
	v_lshl_or_b32 v0, v22, 7, v0
	v_add_u32_e32 v33, 0x210, v0
	v_lshlrev_b32_e32 v0, 1, v1
	v_addc_co_u32_e32 v6, vcc, 0, v6, vcc
	s_mov_b64 s[6:7], 0
	buffer_store_dword v0, off, s[52:55], 0 offset:84 ; 4-byte Folded Spill
	s_mov_b32 s26, 0xffff
	v_lshlrev_b32_e32 v0, 1, v2
	v_mov_b32_e32 v34, 0
	v_mov_b32_e32 v23, 0
	;; [unrolled: 1-line block ×16, first 2 shown]
	buffer_store_dword v32, off, s[52:55], 0 offset:104 ; 4-byte Folded Spill
	buffer_store_dword v0, off, s[52:55], 0 offset:88 ; 4-byte Folded Spill
	s_branch .LBB98_40
.LBB98_38:                              ;   in Loop: Header=BB98_40 Depth=1
	s_or_b64 exec, exec, s[12:13]
	v_add_f32_e32 v12, v20, v21
	v_add_f32_e32 v23, v23, v12
	;; [unrolled: 1-line block ×7, first 2 shown]
	buffer_load_dword v16, off, s[52:55], 0 offset:16 ; 4-byte Folded Reload
	buffer_load_dword v15, off, s[52:55], 0 offset:24 ; 4-byte Folded Reload
	;; [unrolled: 1-line block ×5, first 2 shown]
	v_add_f32_e32 v10, v35, v10
	v_add_f32_e32 v11, v11, v32
	;; [unrolled: 1-line block ×3, first 2 shown]
	s_waitcnt vmcnt(4)
	v_add_f32_e32 v16, v16, v12
	buffer_load_dword v12, off, s[52:55], 0 offset:48 ; 4-byte Folded Reload
	s_waitcnt vmcnt(3)
	v_add_f32_e32 v18, v18, v10
	v_add_f32_e32 v10, v30, v34
	s_waitcnt vmcnt(2)
	v_add_f32_e32 v19, v19, v10
	buffer_load_dword v10, off, s[52:55], 0 offset:56 ; 4-byte Folded Reload
	v_add_f32_e32 v15, v15, v11
	buffer_load_dword v11, off, s[52:55], 0 offset:64 ; 4-byte Folded Reload
	s_waitcnt vmcnt(2)
	v_add_f32_e32 v12, v12, v0
	v_add_f32_e32 v0, v62, v63
	s_waitcnt vmcnt(1)
	v_add_f32_e32 v10, v10, v0
	v_add_f32_e32 v0, v60, v61
	;; [unrolled: 3-line block ×3, first 2 shown]
	v_add_f32_e32 v20, v20, v0
	v_add_f32_e32 v0, v56, v57
	;; [unrolled: 1-line block ×9, first 2 shown]
	v_lshlrev_b32_e32 v0, 16, v48
	v_and_or_b32 v0, v1, s26, v0
	v_lshlrev_b32_e32 v1, 16, v8
	v_and_or_b32 v1, v2, s26, v1
	;; [unrolled: 2-line block ×3, first 2 shown]
	;;#ASMSTART
	v_pk_mul_f16 v0, v37, v0;

	;;#ASMEND
	;;#ASMSTART
	v_pk_mul_f16 v1, v38, v1;

	;;#ASMEND
	;; [unrolled: 4-line block ×4, first 2 shown]
	;;#ASMSTART
	v_pk_add_f16 v0, v0, v1;

	;;#ASMEND
	;;#ASMSTART
	v_pk_add_f16 v0, v0, v2;

	;;#ASMEND
	;; [unrolled: 4-line block ×3, first 2 shown]
	v_lshrrev_b32_e32 v1, 16, v0
	v_and_b32_e32 v0, 0xffff, v0
	;;#ASMSTART
	v_cvt_f32_f16 v0, v0;
	;;#ASMEND
	;;#ASMSTART
	v_cvt_f32_f16 v1, v1;
	;;#ASMEND
	buffer_load_dword v34, off, s[52:55], 0 offset:8 ; 4-byte Folded Reload
	v_add_f32_e32 v0, v0, v1
	s_waitcnt vmcnt(0)
	v_add_f32_e32 v34, v34, v0
.LBB98_39:                              ;   in Loop: Header=BB98_40 Depth=1
	s_or_b64 exec, exec, s[10:11]
	v_add_co_u32_e32 v5, vcc, 8, v5
	v_add_u32_e32 v22, 2, v22
	v_addc_co_u32_e32 v6, vcc, 0, v6, vcc
	v_mov_b32_e32 v3, v9
	v_cmp_le_i32_e32 vcc, s43, v22
	v_add_u32_e32 v3, 64, v3
	s_or_b64 s[6:7], vcc, s[6:7]
	v_add_u32_e32 v33, 0x100, v33
	s_andn2_b64 exec, exec, s[6:7]
	s_cbranch_execz .LBB98_73
.LBB98_40:                              ; =>This Inner Loop Header: Depth=1
	s_waitcnt vmcnt(4)
	v_mul_hi_u32 v0, v3, s33
	v_mov_b32_e32 v9, v3
	v_mul_lo_u32 v1, v0, s23
	v_add_u32_e32 v2, 1, v0
	v_sub_u32_e32 v1, v3, v1
	buffer_load_dword v3, off, s[52:55], 0  ; 4-byte Folded Reload
	v_cmp_le_u32_e32 vcc, s23, v1
	v_cndmask_b32_e32 v0, v0, v2, vcc
	v_subrev_u32_e32 v2, s23, v1
	v_cndmask_b32_e32 v1, v1, v2, vcc
	v_add_u32_e32 v2, 1, v0
	v_cmp_le_u32_e32 vcc, s23, v1
	v_cndmask_b32_e32 v0, v0, v2, vcc
	v_xor_b32_e32 v0, s19, v0
	v_subrev_u32_e32 v0, s19, v0
	v_add_u32_e32 v1, s42, v0
	v_sub_u32_e32 v2, 0, v1
	v_max_i32_e32 v2, v1, v2
	v_ashrrev_i32_e32 v1, 31, v1
	v_cmp_lt_i32_e64 s[2:3], s17, v0
	s_waitcnt vmcnt(0)
	v_mul_hi_u32 v3, v2, v3
	v_mul_lo_u32 v3, v3, s18
	v_sub_u32_e32 v2, v2, v3
	v_subrev_u32_e32 v3, s18, v2
	v_cmp_le_u32_e32 vcc, s18, v2
	v_cndmask_b32_e32 v2, v2, v3, vcc
	v_subrev_u32_e32 v3, s18, v2
	v_cmp_le_u32_e32 vcc, s18, v2
	v_cndmask_b32_e32 v2, v2, v3, vcc
	v_xor_b32_e32 v2, v2, v1
	v_sub_u32_e32 v1, v2, v1
	v_cmp_eq_u32_e32 vcc, 0, v1
	s_or_b64 s[2:3], vcc, s[2:3]
	s_and_saveexec_b64 s[10:11], s[2:3]
	s_cbranch_execz .LBB98_39
; %bb.41:                               ;   in Loop: Header=BB98_40 Depth=1
	buffer_store_dword v20, off, s[52:55], 0 offset:72 ; 4-byte Folded Spill
	buffer_store_dword v11, off, s[52:55], 0 offset:64 ; 4-byte Folded Spill
	;; [unrolled: 1-line block ×9, first 2 shown]
	global_load_dword v4, v[5:6], off
	ds_read2_b64 v[0:3], v33 offset1:1
	ds_read2_b64 v[14:17], v33 offset0:2 offset1:3
	v_mov_b32_e32 v7, s15
	s_waitcnt lgkmcnt(1)
	;;#ASMSTART
	v_cvt_f16_f32 v0, v0;

	;;#ASMEND
	;;#ASMSTART
	v_cvt_f16_f32 v10, v1;

	;;#ASMEND
	;; [unrolled: 4-line block ×4, first 2 shown]
	s_waitcnt lgkmcnt(0)
	;;#ASMSTART
	v_cvt_f16_f32 v14, v14;

	;;#ASMEND
	;;#ASMSTART
	v_cvt_f16_f32 v15, v15;

	;;#ASMEND
	;;#ASMSTART
	v_cvt_f16_f32 v16, v16;

	;;#ASMEND
	;;#ASMSTART
	v_cvt_f16_f32 v17, v17;

	;;#ASMEND
	buffer_load_dword v12, off, s[52:55], 0 offset:80 ; 4-byte Folded Reload
	s_waitcnt vmcnt(1)
	v_mad_i64_i32 v[1:2], s[2:3], v4, s30, 0
	v_cmp_eq_u32_e64 s[2:3], s31, v22
	v_lshlrev_b64 v[1:2], 1, v[1:2]
	v_add_co_u32_e32 v48, vcc, s14, v1
	buffer_load_dword v1, off, s[52:55], 0 offset:84 ; 4-byte Folded Reload
	v_addc_co_u32_e32 v49, vcc, v7, v2, vcc
	s_waitcnt vmcnt(1)
	v_add_u32_e32 v40, v12, v9
	v_add_u32_e32 v47, 1, v40
	;; [unrolled: 1-line block ×8, first 2 shown]
	s_waitcnt vmcnt(0)
	v_add_co_u32_e32 v7, vcc, v48, v1
	v_addc_co_u32_e32 v8, vcc, 0, v49, vcc
	global_load_dwordx4 v[1:4], v[7:8], off
	s_waitcnt vmcnt(0)
	v_lshrrev_b32_e32 v20, 16, v1
	v_lshrrev_b32_e32 v19, 16, v2
	;; [unrolled: 1-line block ×3, first 2 shown]
	s_and_saveexec_b64 s[12:13], s[2:3]
	s_cbranch_execz .LBB98_43
; %bb.42:                               ;   in Loop: Header=BB98_40 Depth=1
	v_cmp_gt_i32_e32 vcc, s21, v40
	v_cndmask_b32_e32 v1, 0, v1, vcc
	v_cmp_gt_i32_e32 vcc, s21, v47
	v_cndmask_b32_e32 v20, 0, v20, vcc
	;; [unrolled: 2-line block ×6, first 2 shown]
	v_cmp_gt_i32_e32 vcc, s21, v42
	v_cndmask_b32_sdwa v12, v31, v4, vcc dst_sel:DWORD dst_unused:UNUSED_PAD src0_sel:DWORD src1_sel:WORD_0
	v_and_b32_e32 v4, 0xffff0000, v4
	v_cmp_gt_i32_e32 vcc, s21, v41
	v_cndmask_b32_e32 v4, 0, v4, vcc
	v_or_b32_e32 v4, v12, v4
.LBB98_43:                              ;   in Loop: Header=BB98_40 Depth=1
	s_or_b64 exec, exec, s[12:13]
	v_and_b32_e32 v0, 0xffff, v0
	v_lshl_or_b32 v37, v10, 16, v0
	v_and_b32_e32 v0, 0xffff, v11
	v_lshl_or_b32 v38, v13, 16, v0
	;; [unrolled: 2-line block ×4, first 2 shown]
	v_lshlrev_b32_e32 v0, 16, v20
	v_and_or_b32 v0, v1, s26, v0
	v_lshlrev_b32_e32 v1, 16, v19
	v_and_or_b32 v1, v2, s26, v1
	;; [unrolled: 2-line block ×3, first 2 shown]
	;;#ASMSTART
	v_pk_mul_f16 v0, v37, v0;

	;;#ASMEND
	;;#ASMSTART
	v_pk_mul_f16 v1, v38, v1;

	;;#ASMEND
	;; [unrolled: 4-line block ×4, first 2 shown]
	;;#ASMSTART
	v_pk_add_f16 v0, v0, v1;

	;;#ASMEND
	;;#ASMSTART
	v_pk_add_f16 v0, v0, v2;

	;;#ASMEND
	;; [unrolled: 4-line block ×3, first 2 shown]
	v_lshrrev_b32_e32 v1, 16, v0
	v_and_b32_e32 v0, 0xffff, v0
	;;#ASMSTART
	v_cvt_f32_f16 v50, v0;
	;;#ASMEND
	;;#ASMSTART
	v_cvt_f32_f16 v51, v1;
	;;#ASMEND
	global_load_dwordx4 v[1:4], v[7:8], off offset:1024
	s_waitcnt vmcnt(0)
	v_lshrrev_b32_e32 v11, 16, v1
	v_lshrrev_b32_e32 v10, 16, v2
	;; [unrolled: 1-line block ×3, first 2 shown]
	s_and_saveexec_b64 s[12:13], s[2:3]
	s_cbranch_execz .LBB98_45
; %bb.44:                               ;   in Loop: Header=BB98_40 Depth=1
	v_cmp_gt_i32_e32 vcc, s21, v40
	v_cndmask_b32_e32 v1, 0, v1, vcc
	v_cmp_gt_i32_e32 vcc, s21, v47
	v_cndmask_b32_e32 v11, 0, v11, vcc
	;; [unrolled: 2-line block ×6, first 2 shown]
	v_cmp_gt_i32_e32 vcc, s21, v42
	v_cndmask_b32_sdwa v12, v31, v4, vcc dst_sel:DWORD dst_unused:UNUSED_PAD src0_sel:DWORD src1_sel:WORD_0
	v_and_b32_e32 v4, 0xffff0000, v4
	v_cmp_gt_i32_e32 vcc, s21, v41
	v_cndmask_b32_e32 v4, 0, v4, vcc
	v_or_b32_e32 v4, v12, v4
.LBB98_45:                              ;   in Loop: Header=BB98_40 Depth=1
	s_or_b64 exec, exec, s[12:13]
	v_lshlrev_b32_e32 v11, 16, v11
	v_lshlrev_b32_e32 v10, 16, v10
	;; [unrolled: 1-line block ×3, first 2 shown]
	v_and_or_b32 v1, v1, s26, v11
	v_and_or_b32 v2, v2, s26, v10
	v_and_or_b32 v0, v3, s26, v0
	;;#ASMSTART
	v_pk_mul_f16 v1, v37, v1;

	;;#ASMEND
	;;#ASMSTART
	v_pk_mul_f16 v2, v38, v2;

	;;#ASMEND
	;; [unrolled: 4-line block ×4, first 2 shown]
	;;#ASMSTART
	v_pk_add_f16 v1, v1, v2;

	;;#ASMEND
	;;#ASMSTART
	v_pk_add_f16 v0, v1, v0;

	;;#ASMEND
	;; [unrolled: 4-line block ×3, first 2 shown]
	v_lshrrev_b32_e32 v1, 16, v0
	v_and_b32_e32 v0, 0xffff, v0
	;;#ASMSTART
	v_cvt_f32_f16 v52, v0;
	;;#ASMEND
	;;#ASMSTART
	v_cvt_f32_f16 v53, v1;
	;;#ASMEND
	global_load_dwordx4 v[1:4], v[7:8], off offset:2048
	s_waitcnt vmcnt(0)
	v_lshrrev_b32_e32 v11, 16, v1
	v_lshrrev_b32_e32 v10, 16, v2
	;; [unrolled: 1-line block ×3, first 2 shown]
	s_and_saveexec_b64 s[12:13], s[2:3]
	s_cbranch_execz .LBB98_47
; %bb.46:                               ;   in Loop: Header=BB98_40 Depth=1
	v_cmp_gt_i32_e32 vcc, s21, v40
	v_cndmask_b32_e32 v1, 0, v1, vcc
	v_cmp_gt_i32_e32 vcc, s21, v47
	v_cndmask_b32_e32 v11, 0, v11, vcc
	;; [unrolled: 2-line block ×6, first 2 shown]
	v_cmp_gt_i32_e32 vcc, s21, v42
	v_cndmask_b32_sdwa v12, v31, v4, vcc dst_sel:DWORD dst_unused:UNUSED_PAD src0_sel:DWORD src1_sel:WORD_0
	v_and_b32_e32 v4, 0xffff0000, v4
	v_cmp_gt_i32_e32 vcc, s21, v41
	v_cndmask_b32_e32 v4, 0, v4, vcc
	v_or_b32_e32 v4, v12, v4
.LBB98_47:                              ;   in Loop: Header=BB98_40 Depth=1
	s_or_b64 exec, exec, s[12:13]
	v_lshlrev_b32_e32 v11, 16, v11
	v_lshlrev_b32_e32 v10, 16, v10
	;; [unrolled: 1-line block ×3, first 2 shown]
	v_and_or_b32 v1, v1, s26, v11
	v_and_or_b32 v2, v2, s26, v10
	;; [unrolled: 1-line block ×3, first 2 shown]
	;;#ASMSTART
	v_pk_mul_f16 v1, v37, v1;

	;;#ASMEND
	;;#ASMSTART
	v_pk_mul_f16 v2, v38, v2;

	;;#ASMEND
	;; [unrolled: 4-line block ×4, first 2 shown]
	;;#ASMSTART
	v_pk_add_f16 v1, v1, v2;

	;;#ASMEND
	;;#ASMSTART
	v_pk_add_f16 v0, v1, v0;

	;;#ASMEND
	;;#ASMSTART
	v_pk_add_f16 v0, v0, v3;

	;;#ASMEND
	v_lshrrev_b32_e32 v1, 16, v0
	v_and_b32_e32 v0, 0xffff, v0
	;;#ASMSTART
	v_cvt_f32_f16 v54, v0;
	;;#ASMEND
	;;#ASMSTART
	v_cvt_f32_f16 v55, v1;
	;;#ASMEND
	global_load_dwordx4 v[1:4], v[7:8], off offset:3072
	s_waitcnt vmcnt(0)
	v_lshrrev_b32_e32 v11, 16, v1
	v_lshrrev_b32_e32 v10, 16, v2
	v_lshrrev_b32_e32 v0, 16, v3
	s_and_saveexec_b64 s[12:13], s[2:3]
	s_cbranch_execz .LBB98_49
; %bb.48:                               ;   in Loop: Header=BB98_40 Depth=1
	v_cmp_gt_i32_e32 vcc, s21, v40
	v_cndmask_b32_e32 v1, 0, v1, vcc
	v_cmp_gt_i32_e32 vcc, s21, v47
	v_cndmask_b32_e32 v11, 0, v11, vcc
	v_cmp_gt_i32_e32 vcc, s21, v46
	v_cndmask_b32_e32 v2, 0, v2, vcc
	v_cmp_gt_i32_e32 vcc, s21, v45
	v_cndmask_b32_e32 v10, 0, v10, vcc
	v_cmp_gt_i32_e32 vcc, s21, v44
	v_cndmask_b32_e32 v3, 0, v3, vcc
	v_cmp_gt_i32_e32 vcc, s21, v43
	v_cndmask_b32_e32 v0, 0, v0, vcc
	v_cmp_gt_i32_e32 vcc, s21, v42
	v_cndmask_b32_sdwa v12, v31, v4, vcc dst_sel:DWORD dst_unused:UNUSED_PAD src0_sel:DWORD src1_sel:WORD_0
	v_and_b32_e32 v4, 0xffff0000, v4
	v_cmp_gt_i32_e32 vcc, s21, v41
	v_cndmask_b32_e32 v4, 0, v4, vcc
	v_or_b32_e32 v4, v12, v4
.LBB98_49:                              ;   in Loop: Header=BB98_40 Depth=1
	s_or_b64 exec, exec, s[12:13]
	v_lshlrev_b32_e32 v11, 16, v11
	v_lshlrev_b32_e32 v10, 16, v10
	;; [unrolled: 1-line block ×3, first 2 shown]
	v_and_or_b32 v1, v1, s26, v11
	v_and_or_b32 v2, v2, s26, v10
	;; [unrolled: 1-line block ×3, first 2 shown]
	;;#ASMSTART
	v_pk_mul_f16 v1, v37, v1;

	;;#ASMEND
	;;#ASMSTART
	v_pk_mul_f16 v2, v38, v2;

	;;#ASMEND
	;; [unrolled: 4-line block ×4, first 2 shown]
	;;#ASMSTART
	v_pk_add_f16 v1, v1, v2;

	;;#ASMEND
	;;#ASMSTART
	v_pk_add_f16 v0, v1, v0;

	;;#ASMEND
	;; [unrolled: 4-line block ×3, first 2 shown]
	v_lshrrev_b32_e32 v1, 16, v0
	v_and_b32_e32 v0, 0xffff, v0
	;;#ASMSTART
	v_cvt_f32_f16 v56, v0;
	;;#ASMEND
	v_add_co_u32_e32 v0, vcc, 0x1000, v7
	;;#ASMSTART
	v_cvt_f32_f16 v57, v1;
	;;#ASMEND
	v_addc_co_u32_e32 v1, vcc, 0, v8, vcc
	global_load_dwordx4 v[1:4], v[0:1], off
	s_waitcnt vmcnt(0)
	v_lshrrev_b32_e32 v11, 16, v1
	v_lshrrev_b32_e32 v10, 16, v2
	;; [unrolled: 1-line block ×3, first 2 shown]
	s_and_saveexec_b64 s[12:13], s[2:3]
	s_cbranch_execz .LBB98_51
; %bb.50:                               ;   in Loop: Header=BB98_40 Depth=1
	v_cmp_gt_i32_e32 vcc, s21, v40
	v_cndmask_b32_e32 v1, 0, v1, vcc
	v_cmp_gt_i32_e32 vcc, s21, v47
	v_cndmask_b32_e32 v11, 0, v11, vcc
	;; [unrolled: 2-line block ×6, first 2 shown]
	v_cmp_gt_i32_e32 vcc, s21, v42
	v_cndmask_b32_sdwa v12, v31, v4, vcc dst_sel:DWORD dst_unused:UNUSED_PAD src0_sel:DWORD src1_sel:WORD_0
	v_and_b32_e32 v4, 0xffff0000, v4
	v_cmp_gt_i32_e32 vcc, s21, v41
	v_cndmask_b32_e32 v4, 0, v4, vcc
	v_or_b32_e32 v4, v12, v4
.LBB98_51:                              ;   in Loop: Header=BB98_40 Depth=1
	s_or_b64 exec, exec, s[12:13]
	v_lshlrev_b32_e32 v11, 16, v11
	v_lshlrev_b32_e32 v10, 16, v10
	v_lshlrev_b32_e32 v0, 16, v0
	v_and_or_b32 v1, v1, s26, v11
	v_and_or_b32 v2, v2, s26, v10
	;; [unrolled: 1-line block ×3, first 2 shown]
	;;#ASMSTART
	v_pk_mul_f16 v1, v37, v1;

	;;#ASMEND
	;;#ASMSTART
	v_pk_mul_f16 v2, v38, v2;

	;;#ASMEND
	;;#ASMSTART
	v_pk_mul_f16 v0, v39, v0;

	;;#ASMEND
	;;#ASMSTART
	v_pk_mul_f16 v3, v36, v4;

	;;#ASMEND
	;;#ASMSTART
	v_pk_add_f16 v1, v1, v2;

	;;#ASMEND
	;;#ASMSTART
	v_pk_add_f16 v0, v1, v0;

	;;#ASMEND
	;; [unrolled: 4-line block ×3, first 2 shown]
	v_lshrrev_b32_e32 v1, 16, v0
	v_and_b32_e32 v0, 0xffff, v0
	;;#ASMSTART
	v_cvt_f32_f16 v58, v0;
	;;#ASMEND
	v_add_co_u32_e32 v0, vcc, 0x1000, v7
	;;#ASMSTART
	v_cvt_f32_f16 v59, v1;
	;;#ASMEND
	v_addc_co_u32_e32 v1, vcc, 0, v8, vcc
	global_load_dwordx4 v[1:4], v[0:1], off offset:1024
	s_waitcnt vmcnt(0)
	v_lshrrev_b32_e32 v11, 16, v1
	v_lshrrev_b32_e32 v10, 16, v2
	;; [unrolled: 1-line block ×3, first 2 shown]
	s_and_saveexec_b64 s[12:13], s[2:3]
	s_cbranch_execz .LBB98_53
; %bb.52:                               ;   in Loop: Header=BB98_40 Depth=1
	v_cmp_gt_i32_e32 vcc, s21, v40
	v_cndmask_b32_e32 v1, 0, v1, vcc
	v_cmp_gt_i32_e32 vcc, s21, v47
	v_cndmask_b32_e32 v11, 0, v11, vcc
	;; [unrolled: 2-line block ×6, first 2 shown]
	v_cmp_gt_i32_e32 vcc, s21, v42
	v_cndmask_b32_sdwa v12, v31, v4, vcc dst_sel:DWORD dst_unused:UNUSED_PAD src0_sel:DWORD src1_sel:WORD_0
	v_and_b32_e32 v4, 0xffff0000, v4
	v_cmp_gt_i32_e32 vcc, s21, v41
	v_cndmask_b32_e32 v4, 0, v4, vcc
	v_or_b32_e32 v4, v12, v4
.LBB98_53:                              ;   in Loop: Header=BB98_40 Depth=1
	s_or_b64 exec, exec, s[12:13]
	v_lshlrev_b32_e32 v11, 16, v11
	v_lshlrev_b32_e32 v10, 16, v10
	;; [unrolled: 1-line block ×3, first 2 shown]
	v_and_or_b32 v1, v1, s26, v11
	v_and_or_b32 v2, v2, s26, v10
	;; [unrolled: 1-line block ×3, first 2 shown]
	;;#ASMSTART
	v_pk_mul_f16 v1, v37, v1;

	;;#ASMEND
	;;#ASMSTART
	v_pk_mul_f16 v2, v38, v2;

	;;#ASMEND
	;; [unrolled: 4-line block ×4, first 2 shown]
	;;#ASMSTART
	v_pk_add_f16 v1, v1, v2;

	;;#ASMEND
	;;#ASMSTART
	v_pk_add_f16 v0, v1, v0;

	;;#ASMEND
	;; [unrolled: 4-line block ×3, first 2 shown]
	v_lshrrev_b32_e32 v1, 16, v0
	v_and_b32_e32 v0, 0xffff, v0
	;;#ASMSTART
	v_cvt_f32_f16 v60, v0;
	;;#ASMEND
	v_add_co_u32_e32 v0, vcc, 0x1000, v7
	;;#ASMSTART
	v_cvt_f32_f16 v61, v1;
	;;#ASMEND
	v_addc_co_u32_e32 v1, vcc, 0, v8, vcc
	global_load_dwordx4 v[1:4], v[0:1], off offset:2048
	s_waitcnt vmcnt(0)
	v_lshrrev_b32_e32 v11, 16, v1
	v_lshrrev_b32_e32 v10, 16, v2
	;; [unrolled: 1-line block ×3, first 2 shown]
	s_and_saveexec_b64 s[12:13], s[2:3]
	s_cbranch_execz .LBB98_55
; %bb.54:                               ;   in Loop: Header=BB98_40 Depth=1
	v_cmp_gt_i32_e32 vcc, s21, v40
	v_cndmask_b32_e32 v1, 0, v1, vcc
	v_cmp_gt_i32_e32 vcc, s21, v47
	v_cndmask_b32_e32 v11, 0, v11, vcc
	;; [unrolled: 2-line block ×6, first 2 shown]
	v_cmp_gt_i32_e32 vcc, s21, v42
	v_cndmask_b32_sdwa v12, v31, v4, vcc dst_sel:DWORD dst_unused:UNUSED_PAD src0_sel:DWORD src1_sel:WORD_0
	v_and_b32_e32 v4, 0xffff0000, v4
	v_cmp_gt_i32_e32 vcc, s21, v41
	v_cndmask_b32_e32 v4, 0, v4, vcc
	v_or_b32_e32 v4, v12, v4
.LBB98_55:                              ;   in Loop: Header=BB98_40 Depth=1
	s_or_b64 exec, exec, s[12:13]
	v_lshlrev_b32_e32 v11, 16, v11
	v_lshlrev_b32_e32 v10, 16, v10
	;; [unrolled: 1-line block ×3, first 2 shown]
	v_and_or_b32 v1, v1, s26, v11
	v_and_or_b32 v2, v2, s26, v10
	;; [unrolled: 1-line block ×3, first 2 shown]
	;;#ASMSTART
	v_pk_mul_f16 v1, v37, v1;

	;;#ASMEND
	;;#ASMSTART
	v_pk_mul_f16 v2, v38, v2;

	;;#ASMEND
	;; [unrolled: 4-line block ×4, first 2 shown]
	;;#ASMSTART
	v_pk_add_f16 v1, v1, v2;

	;;#ASMEND
	;;#ASMSTART
	v_pk_add_f16 v0, v1, v0;

	;;#ASMEND
	;;#ASMSTART
	v_pk_add_f16 v0, v0, v3;

	;;#ASMEND
	v_lshrrev_b32_e32 v1, 16, v0
	v_and_b32_e32 v0, 0xffff, v0
	;;#ASMSTART
	v_cvt_f32_f16 v62, v0;
	;;#ASMEND
	v_add_co_u32_e32 v0, vcc, 0x1000, v7
	;;#ASMSTART
	v_cvt_f32_f16 v63, v1;
	;;#ASMEND
	v_addc_co_u32_e32 v1, vcc, 0, v8, vcc
	global_load_dwordx4 v[1:4], v[0:1], off offset:3072
	s_waitcnt vmcnt(0)
	v_lshrrev_b32_e32 v11, 16, v1
	v_lshrrev_b32_e32 v10, 16, v2
	;; [unrolled: 1-line block ×3, first 2 shown]
	s_and_saveexec_b64 s[12:13], s[2:3]
	s_cbranch_execz .LBB98_57
; %bb.56:                               ;   in Loop: Header=BB98_40 Depth=1
	v_cmp_gt_i32_e32 vcc, s21, v40
	v_cndmask_b32_e32 v1, 0, v1, vcc
	v_cmp_gt_i32_e32 vcc, s21, v47
	v_cndmask_b32_e32 v11, 0, v11, vcc
	;; [unrolled: 2-line block ×6, first 2 shown]
	v_cmp_gt_i32_e32 vcc, s21, v42
	v_cndmask_b32_sdwa v12, v31, v4, vcc dst_sel:DWORD dst_unused:UNUSED_PAD src0_sel:DWORD src1_sel:WORD_0
	v_and_b32_e32 v4, 0xffff0000, v4
	v_cmp_gt_i32_e32 vcc, s21, v41
	v_cndmask_b32_e32 v4, 0, v4, vcc
	v_or_b32_e32 v4, v12, v4
.LBB98_57:                              ;   in Loop: Header=BB98_40 Depth=1
	s_or_b64 exec, exec, s[12:13]
	v_lshlrev_b32_e32 v11, 16, v11
	v_lshlrev_b32_e32 v10, 16, v10
	;; [unrolled: 1-line block ×3, first 2 shown]
	v_and_or_b32 v1, v1, s26, v11
	v_and_or_b32 v2, v2, s26, v10
	;; [unrolled: 1-line block ×3, first 2 shown]
	;;#ASMSTART
	v_pk_mul_f16 v1, v37, v1;

	;;#ASMEND
	;;#ASMSTART
	v_pk_mul_f16 v2, v38, v2;

	;;#ASMEND
	;; [unrolled: 4-line block ×4, first 2 shown]
	;;#ASMSTART
	v_pk_add_f16 v1, v1, v2;

	;;#ASMEND
	;;#ASMSTART
	v_pk_add_f16 v0, v1, v0;

	;;#ASMEND
	;; [unrolled: 4-line block ×3, first 2 shown]
	v_lshrrev_b32_e32 v1, 16, v0
	v_and_b32_e32 v0, 0xffff, v0
	;;#ASMSTART
	v_cvt_f32_f16 v13, v0;
	;;#ASMEND
	;;#ASMSTART
	v_cvt_f32_f16 v0, v1;
	;;#ASMEND
	v_add_co_u32_e32 v1, vcc, 0x2000, v7
	v_addc_co_u32_e32 v2, vcc, 0, v8, vcc
	global_load_dwordx4 v[1:4], v[1:2], off
	s_waitcnt vmcnt(0)
	v_lshrrev_b32_e32 v14, 16, v1
	v_lshrrev_b32_e32 v11, 16, v2
	;; [unrolled: 1-line block ×3, first 2 shown]
	s_and_saveexec_b64 s[12:13], s[2:3]
	s_cbranch_execz .LBB98_59
; %bb.58:                               ;   in Loop: Header=BB98_40 Depth=1
	v_cmp_gt_i32_e32 vcc, s21, v40
	v_cndmask_b32_e32 v1, 0, v1, vcc
	v_cmp_gt_i32_e32 vcc, s21, v47
	v_cndmask_b32_e32 v14, 0, v14, vcc
	;; [unrolled: 2-line block ×6, first 2 shown]
	v_cmp_gt_i32_e32 vcc, s21, v42
	v_cndmask_b32_sdwa v12, v31, v4, vcc dst_sel:DWORD dst_unused:UNUSED_PAD src0_sel:DWORD src1_sel:WORD_0
	v_and_b32_e32 v4, 0xffff0000, v4
	v_cmp_gt_i32_e32 vcc, s21, v41
	v_cndmask_b32_e32 v4, 0, v4, vcc
	v_or_b32_e32 v4, v12, v4
.LBB98_59:                              ;   in Loop: Header=BB98_40 Depth=1
	s_or_b64 exec, exec, s[12:13]
	v_lshlrev_b32_e32 v12, 16, v14
	v_and_or_b32 v1, v1, s26, v12
	v_lshlrev_b32_e32 v11, 16, v11
	v_lshlrev_b32_e32 v10, 16, v10
	v_and_or_b32 v2, v2, s26, v11
	v_and_or_b32 v3, v3, s26, v10
	;;#ASMSTART
	v_pk_mul_f16 v1, v37, v1;

	;;#ASMEND
	;;#ASMSTART
	v_pk_mul_f16 v2, v38, v2;

	;;#ASMEND
	;; [unrolled: 4-line block ×4, first 2 shown]
	;;#ASMSTART
	v_pk_add_f16 v1, v1, v2;

	;;#ASMEND
	;;#ASMSTART
	v_pk_add_f16 v1, v1, v3;

	;;#ASMEND
	;;#ASMSTART
	v_pk_add_f16 v1, v1, v4;

	;;#ASMEND
	v_lshrrev_b32_e32 v2, 16, v1
	v_and_b32_e32 v1, 0xffff, v1
	;;#ASMSTART
	v_cvt_f32_f16 v30, v1;
	;;#ASMEND
	v_add_co_u32_e32 v1, vcc, 0x2000, v7
	;;#ASMSTART
	v_cvt_f32_f16 v34, v2;
	;;#ASMEND
	v_addc_co_u32_e32 v2, vcc, 0, v8, vcc
	global_load_dwordx4 v[1:4], v[1:2], off offset:1024
	s_waitcnt vmcnt(0)
	v_lshrrev_b32_e32 v14, 16, v1
	v_lshrrev_b32_e32 v11, 16, v2
	;; [unrolled: 1-line block ×3, first 2 shown]
	s_and_saveexec_b64 s[12:13], s[2:3]
	s_cbranch_execz .LBB98_61
; %bb.60:                               ;   in Loop: Header=BB98_40 Depth=1
	v_cmp_gt_i32_e32 vcc, s21, v40
	v_cndmask_b32_e32 v1, 0, v1, vcc
	v_cmp_gt_i32_e32 vcc, s21, v47
	v_cndmask_b32_e32 v14, 0, v14, vcc
	;; [unrolled: 2-line block ×6, first 2 shown]
	v_cmp_gt_i32_e32 vcc, s21, v42
	v_cndmask_b32_sdwa v12, v31, v4, vcc dst_sel:DWORD dst_unused:UNUSED_PAD src0_sel:DWORD src1_sel:WORD_0
	v_and_b32_e32 v4, 0xffff0000, v4
	v_cmp_gt_i32_e32 vcc, s21, v41
	v_cndmask_b32_e32 v4, 0, v4, vcc
	v_or_b32_e32 v4, v12, v4
.LBB98_61:                              ;   in Loop: Header=BB98_40 Depth=1
	s_or_b64 exec, exec, s[12:13]
	v_lshlrev_b32_e32 v12, 16, v14
	v_and_or_b32 v1, v1, s26, v12
	v_lshlrev_b32_e32 v11, 16, v11
	v_lshlrev_b32_e32 v10, 16, v10
	v_and_or_b32 v2, v2, s26, v11
	v_and_or_b32 v3, v3, s26, v10
	;;#ASMSTART
	v_pk_mul_f16 v1, v37, v1;

	;;#ASMEND
	;;#ASMSTART
	v_pk_mul_f16 v2, v38, v2;

	;;#ASMEND
	;; [unrolled: 4-line block ×4, first 2 shown]
	;;#ASMSTART
	v_pk_add_f16 v1, v1, v2;

	;;#ASMEND
	;;#ASMSTART
	v_pk_add_f16 v1, v1, v3;

	;;#ASMEND
	;; [unrolled: 4-line block ×3, first 2 shown]
	v_lshrrev_b32_e32 v2, 16, v1
	v_and_b32_e32 v1, 0xffff, v1
	;;#ASMSTART
	v_cvt_f32_f16 v35, v1;
	;;#ASMEND
	v_add_co_u32_e32 v1, vcc, 0x2000, v7
	;;#ASMSTART
	v_cvt_f32_f16 v10, v2;
	;;#ASMEND
	v_addc_co_u32_e32 v2, vcc, 0, v8, vcc
	global_load_dwordx4 v[1:4], v[1:2], off offset:2048
	s_waitcnt vmcnt(0)
	v_lshrrev_b32_e32 v15, 16, v1
	v_lshrrev_b32_e32 v14, 16, v2
	;; [unrolled: 1-line block ×3, first 2 shown]
	s_and_saveexec_b64 s[12:13], s[2:3]
	s_cbranch_execz .LBB98_63
; %bb.62:                               ;   in Loop: Header=BB98_40 Depth=1
	v_cmp_gt_i32_e32 vcc, s21, v40
	v_cndmask_b32_e32 v1, 0, v1, vcc
	v_cmp_gt_i32_e32 vcc, s21, v47
	v_cndmask_b32_e32 v15, 0, v15, vcc
	;; [unrolled: 2-line block ×6, first 2 shown]
	v_cmp_gt_i32_e32 vcc, s21, v42
	v_cndmask_b32_sdwa v12, v31, v4, vcc dst_sel:DWORD dst_unused:UNUSED_PAD src0_sel:DWORD src1_sel:WORD_0
	v_and_b32_e32 v4, 0xffff0000, v4
	v_cmp_gt_i32_e32 vcc, s21, v41
	v_cndmask_b32_e32 v4, 0, v4, vcc
	v_or_b32_e32 v4, v12, v4
.LBB98_63:                              ;   in Loop: Header=BB98_40 Depth=1
	s_or_b64 exec, exec, s[12:13]
	v_lshlrev_b32_e32 v12, 16, v15
	v_and_or_b32 v1, v1, s26, v12
	v_lshlrev_b32_e32 v12, 16, v14
	v_lshlrev_b32_e32 v11, 16, v11
	v_and_or_b32 v2, v2, s26, v12
	v_and_or_b32 v3, v3, s26, v11
	;;#ASMSTART
	v_pk_mul_f16 v1, v37, v1;

	;;#ASMEND
	;;#ASMSTART
	v_pk_mul_f16 v2, v38, v2;

	;;#ASMEND
	;; [unrolled: 4-line block ×4, first 2 shown]
	;;#ASMSTART
	v_pk_add_f16 v1, v1, v2;

	;;#ASMEND
	;;#ASMSTART
	v_pk_add_f16 v1, v1, v3;

	;;#ASMEND
	;; [unrolled: 4-line block ×3, first 2 shown]
	v_lshrrev_b32_e32 v2, 16, v1
	v_and_b32_e32 v1, 0xffff, v1
	;;#ASMSTART
	v_cvt_f32_f16 v11, v1;
	;;#ASMEND
	v_add_co_u32_e32 v1, vcc, 0x2000, v7
	;;#ASMSTART
	v_cvt_f32_f16 v32, v2;
	;;#ASMEND
	v_addc_co_u32_e32 v2, vcc, 0, v8, vcc
	global_load_dwordx4 v[1:4], v[1:2], off offset:3072
	s_waitcnt vmcnt(0)
	v_lshrrev_b32_e32 v16, 16, v1
	v_lshrrev_b32_e32 v15, 16, v2
	;; [unrolled: 1-line block ×3, first 2 shown]
	s_and_saveexec_b64 s[12:13], s[2:3]
	s_cbranch_execz .LBB98_65
; %bb.64:                               ;   in Loop: Header=BB98_40 Depth=1
	v_cmp_gt_i32_e32 vcc, s21, v40
	v_cndmask_b32_e32 v1, 0, v1, vcc
	v_cmp_gt_i32_e32 vcc, s21, v47
	v_cndmask_b32_e32 v16, 0, v16, vcc
	;; [unrolled: 2-line block ×6, first 2 shown]
	v_cmp_gt_i32_e32 vcc, s21, v42
	v_cndmask_b32_sdwa v12, v31, v4, vcc dst_sel:DWORD dst_unused:UNUSED_PAD src0_sel:DWORD src1_sel:WORD_0
	v_and_b32_e32 v4, 0xffff0000, v4
	v_cmp_gt_i32_e32 vcc, s21, v41
	v_cndmask_b32_e32 v4, 0, v4, vcc
	v_or_b32_e32 v4, v12, v4
.LBB98_65:                              ;   in Loop: Header=BB98_40 Depth=1
	s_or_b64 exec, exec, s[12:13]
	v_lshlrev_b32_e32 v12, 16, v16
	v_and_or_b32 v1, v1, s26, v12
	v_lshlrev_b32_e32 v12, 16, v15
	v_and_or_b32 v2, v2, s26, v12
	;; [unrolled: 2-line block ×3, first 2 shown]
	;;#ASMSTART
	v_pk_mul_f16 v1, v37, v1;

	;;#ASMEND
	;;#ASMSTART
	v_pk_mul_f16 v2, v38, v2;

	;;#ASMEND
	;; [unrolled: 4-line block ×4, first 2 shown]
	;;#ASMSTART
	v_pk_add_f16 v1, v1, v2;

	;;#ASMEND
	;;#ASMSTART
	v_pk_add_f16 v1, v1, v3;

	;;#ASMEND
	;; [unrolled: 4-line block ×3, first 2 shown]
	v_lshrrev_b32_e32 v2, 16, v1
	v_and_b32_e32 v1, 0xffff, v1
	;;#ASMSTART
	v_cvt_f32_f16 v14, v1;
	;;#ASMEND
	v_add_co_u32_e32 v1, vcc, 0x3000, v7
	;;#ASMSTART
	v_cvt_f32_f16 v15, v2;
	;;#ASMEND
	v_addc_co_u32_e32 v2, vcc, 0, v8, vcc
	global_load_dwordx4 v[1:4], v[1:2], off
	s_waitcnt vmcnt(0)
	v_lshrrev_b32_e32 v18, 16, v1
	v_lshrrev_b32_e32 v17, 16, v2
	;; [unrolled: 1-line block ×3, first 2 shown]
	s_and_saveexec_b64 s[12:13], s[2:3]
	s_cbranch_execz .LBB98_67
; %bb.66:                               ;   in Loop: Header=BB98_40 Depth=1
	v_cmp_gt_i32_e32 vcc, s21, v40
	v_cndmask_b32_e32 v1, 0, v1, vcc
	v_cmp_gt_i32_e32 vcc, s21, v47
	v_cndmask_b32_e32 v18, 0, v18, vcc
	;; [unrolled: 2-line block ×6, first 2 shown]
	v_cmp_gt_i32_e32 vcc, s21, v42
	v_cndmask_b32_sdwa v12, v31, v4, vcc dst_sel:DWORD dst_unused:UNUSED_PAD src0_sel:DWORD src1_sel:WORD_0
	v_and_b32_e32 v4, 0xffff0000, v4
	v_cmp_gt_i32_e32 vcc, s21, v41
	v_cndmask_b32_e32 v4, 0, v4, vcc
	v_or_b32_e32 v4, v12, v4
.LBB98_67:                              ;   in Loop: Header=BB98_40 Depth=1
	s_or_b64 exec, exec, s[12:13]
	v_lshlrev_b32_e32 v12, 16, v18
	v_and_or_b32 v1, v1, s26, v12
	v_lshlrev_b32_e32 v12, 16, v17
	v_and_or_b32 v2, v2, s26, v12
	;; [unrolled: 2-line block ×3, first 2 shown]
	;;#ASMSTART
	v_pk_mul_f16 v1, v37, v1;

	;;#ASMEND
	;;#ASMSTART
	v_pk_mul_f16 v2, v38, v2;

	;;#ASMEND
	;; [unrolled: 4-line block ×4, first 2 shown]
	;;#ASMSTART
	v_pk_add_f16 v1, v1, v2;

	;;#ASMEND
	;;#ASMSTART
	v_pk_add_f16 v1, v1, v3;

	;;#ASMEND
	;; [unrolled: 4-line block ×3, first 2 shown]
	v_lshrrev_b32_e32 v2, 16, v1
	v_and_b32_e32 v1, 0xffff, v1
	;;#ASMSTART
	v_cvt_f32_f16 v16, v1;
	;;#ASMEND
	v_add_co_u32_e32 v1, vcc, 0x3000, v7
	;;#ASMSTART
	v_cvt_f32_f16 v17, v2;
	;;#ASMEND
	v_addc_co_u32_e32 v2, vcc, 0, v8, vcc
	global_load_dwordx4 v[1:4], v[1:2], off offset:1024
	s_waitcnt vmcnt(0)
	v_lshrrev_b32_e32 v20, 16, v1
	v_lshrrev_b32_e32 v19, 16, v2
	;; [unrolled: 1-line block ×3, first 2 shown]
	s_and_saveexec_b64 s[12:13], s[2:3]
	s_cbranch_execz .LBB98_69
; %bb.68:                               ;   in Loop: Header=BB98_40 Depth=1
	v_cmp_gt_i32_e32 vcc, s21, v40
	v_cndmask_b32_e32 v1, 0, v1, vcc
	v_cmp_gt_i32_e32 vcc, s21, v47
	v_cndmask_b32_e32 v20, 0, v20, vcc
	v_cmp_gt_i32_e32 vcc, s21, v46
	v_cndmask_b32_e32 v2, 0, v2, vcc
	v_cmp_gt_i32_e32 vcc, s21, v45
	v_cndmask_b32_e32 v19, 0, v19, vcc
	v_cmp_gt_i32_e32 vcc, s21, v44
	v_cndmask_b32_e32 v3, 0, v3, vcc
	v_cmp_gt_i32_e32 vcc, s21, v43
	v_cndmask_b32_e32 v18, 0, v18, vcc
	v_cmp_gt_i32_e32 vcc, s21, v42
	v_cndmask_b32_sdwa v12, v31, v4, vcc dst_sel:DWORD dst_unused:UNUSED_PAD src0_sel:DWORD src1_sel:WORD_0
	v_and_b32_e32 v4, 0xffff0000, v4
	v_cmp_gt_i32_e32 vcc, s21, v41
	v_cndmask_b32_e32 v4, 0, v4, vcc
	v_or_b32_e32 v4, v12, v4
.LBB98_69:                              ;   in Loop: Header=BB98_40 Depth=1
	s_or_b64 exec, exec, s[12:13]
	v_lshlrev_b32_e32 v12, 16, v20
	v_and_or_b32 v1, v1, s26, v12
	v_lshlrev_b32_e32 v12, 16, v19
	v_and_or_b32 v2, v2, s26, v12
	;; [unrolled: 2-line block ×3, first 2 shown]
	;;#ASMSTART
	v_pk_mul_f16 v1, v37, v1;

	;;#ASMEND
	;;#ASMSTART
	v_pk_mul_f16 v2, v38, v2;

	;;#ASMEND
	;; [unrolled: 4-line block ×4, first 2 shown]
	;;#ASMSTART
	v_pk_add_f16 v1, v1, v2;

	;;#ASMEND
	;;#ASMSTART
	v_pk_add_f16 v1, v1, v3;

	;;#ASMEND
	;;#ASMSTART
	v_pk_add_f16 v1, v1, v4;

	;;#ASMEND
	v_lshrrev_b32_e32 v2, 16, v1
	v_and_b32_e32 v1, 0xffff, v1
	;;#ASMSTART
	v_cvt_f32_f16 v18, v1;
	;;#ASMEND
	v_add_co_u32_e32 v1, vcc, 0x3000, v7
	;;#ASMSTART
	v_cvt_f32_f16 v19, v2;
	;;#ASMEND
	v_addc_co_u32_e32 v2, vcc, 0, v8, vcc
	global_load_dwordx4 v[1:4], v[1:2], off offset:2048
	s_waitcnt vmcnt(0)
	v_lshrrev_b32_e32 v20, 16, v1
	v_lshrrev_b32_e32 v8, 16, v2
	;; [unrolled: 1-line block ×3, first 2 shown]
	s_and_saveexec_b64 s[12:13], s[2:3]
	s_cbranch_execz .LBB98_71
; %bb.70:                               ;   in Loop: Header=BB98_40 Depth=1
	v_cmp_gt_i32_e32 vcc, s21, v40
	v_cndmask_b32_e32 v1, 0, v1, vcc
	v_cmp_gt_i32_e32 vcc, s21, v47
	v_cndmask_b32_e32 v20, 0, v20, vcc
	;; [unrolled: 2-line block ×6, first 2 shown]
	v_cmp_gt_i32_e32 vcc, s21, v42
	v_cndmask_b32_sdwa v12, v31, v4, vcc dst_sel:DWORD dst_unused:UNUSED_PAD src0_sel:DWORD src1_sel:WORD_0
	v_and_b32_e32 v4, 0xffff0000, v4
	v_cmp_gt_i32_e32 vcc, s21, v41
	v_cndmask_b32_e32 v4, 0, v4, vcc
	v_or_b32_e32 v4, v12, v4
.LBB98_71:                              ;   in Loop: Header=BB98_40 Depth=1
	s_or_b64 exec, exec, s[12:13]
	v_lshlrev_b32_e32 v12, 16, v20
	v_and_or_b32 v1, v1, s26, v12
	v_lshlrev_b32_e32 v8, 16, v8
	v_lshlrev_b32_e32 v7, 16, v7
	v_and_or_b32 v2, v2, s26, v8
	v_and_or_b32 v3, v3, s26, v7
	;;#ASMSTART
	v_pk_mul_f16 v1, v37, v1;

	;;#ASMEND
	;;#ASMSTART
	v_pk_mul_f16 v2, v38, v2;

	;;#ASMEND
	;; [unrolled: 4-line block ×4, first 2 shown]
	;;#ASMSTART
	v_pk_add_f16 v1, v1, v2;

	;;#ASMEND
	;;#ASMSTART
	v_pk_add_f16 v1, v1, v3;

	;;#ASMEND
	;; [unrolled: 4-line block ×3, first 2 shown]
	v_lshrrev_b32_e32 v2, 16, v1
	v_and_b32_e32 v1, 0xffff, v1
	;;#ASMSTART
	v_cvt_f32_f16 v20, v1;
	;;#ASMEND
	;;#ASMSTART
	v_cvt_f32_f16 v21, v2;
	;;#ASMEND
	buffer_load_dword v1, off, s[52:55], 0 offset:88 ; 4-byte Folded Reload
	s_waitcnt vmcnt(0)
	v_add_co_u32_e32 v1, vcc, v48, v1
	v_addc_co_u32_e32 v2, vcc, 0, v49, vcc
	global_load_dwordx4 v[1:4], v[1:2], off
	s_waitcnt vmcnt(0)
	v_lshrrev_b32_e32 v48, 16, v1
	v_lshrrev_b32_e32 v8, 16, v2
	;; [unrolled: 1-line block ×3, first 2 shown]
	s_and_saveexec_b64 s[12:13], s[2:3]
	s_cbranch_execz .LBB98_38
; %bb.72:                               ;   in Loop: Header=BB98_40 Depth=1
	v_cmp_gt_i32_e32 vcc, s21, v40
	v_cndmask_b32_e32 v1, 0, v1, vcc
	v_cmp_gt_i32_e32 vcc, s21, v47
	v_cndmask_b32_e32 v48, 0, v48, vcc
	;; [unrolled: 2-line block ×6, first 2 shown]
	v_cmp_gt_i32_e32 vcc, s21, v42
	v_cndmask_b32_sdwa v12, v31, v4, vcc dst_sel:DWORD dst_unused:UNUSED_PAD src0_sel:DWORD src1_sel:WORD_0
	v_and_b32_e32 v4, 0xffff0000, v4
	v_cmp_gt_i32_e32 vcc, s21, v41
	v_cndmask_b32_e32 v4, 0, v4, vcc
	v_or_b32_e32 v4, v12, v4
	s_branch .LBB98_38
.LBB98_73:
	s_or_b64 exec, exec, s[6:7]
	buffer_load_dword v30, off, s[52:55], 0 offset:92 ; 4-byte Folded Reload
	buffer_load_dword v17, off, s[52:55], 0 offset:96 ; 4-byte Folded Reload
	;; [unrolled: 1-line block ×4, first 2 shown]
.LBB98_74:
	s_or_b64 exec, exec, s[4:5]
	s_waitcnt vmcnt(2)
	ds_bpermute_b32 v0, v17, v28
	ds_bpermute_b32 v1, v17, v29
	;; [unrolled: 1-line block ×5, first 2 shown]
	s_waitcnt lgkmcnt(4)
	v_add_f32_e32 v0, v28, v0
	s_waitcnt lgkmcnt(3)
	v_add_f32_e32 v3, v29, v1
	s_waitcnt vmcnt(1)
	ds_bpermute_b32 v1, v31, v0
	ds_bpermute_b32 v4, v31, v3
	s_waitcnt lgkmcnt(4)
	v_add_f32_e32 v2, v27, v2
	s_waitcnt lgkmcnt(2)
	v_add_f32_e32 v6, v20, v6
	ds_bpermute_b32 v7, v31, v6
	s_waitcnt lgkmcnt(2)
	v_add_f32_e32 v1, v0, v1
	s_waitcnt lgkmcnt(1)
	v_add_f32_e32 v0, v3, v4
	v_add_f32_e32 v4, v26, v5
	ds_bpermute_b32 v3, v31, v2
	ds_bpermute_b32 v5, v31, v4
	;; [unrolled: 1-line block ×3, first 2 shown]
	s_waitcnt vmcnt(0) lgkmcnt(0)
	s_barrier
	v_add_f32_e32 v2, v2, v3
	v_add_f32_e32 v3, v4, v5
	ds_bpermute_b32 v5, v17, v10
	v_add_f32_e32 v4, v6, v7
	ds_bpermute_b32 v6, v17, v12
	;; [unrolled: 2-line block ×3, first 2 shown]
	s_waitcnt lgkmcnt(2)
	v_add_f32_e32 v10, v10, v5
	ds_bpermute_b32 v11, v31, v10
	s_waitcnt lgkmcnt(2)
	v_add_f32_e32 v9, v12, v6
	ds_bpermute_b32 v12, v31, v9
	;; [unrolled: 3-line block ×8, first 2 shown]
	ds_bpermute_b32 v15, v17, v16
	s_waitcnt lgkmcnt(3)
	v_add_f32_e32 v9, v8, v11
	s_waitcnt lgkmcnt(2)
	v_add_f32_e32 v8, v10, v12
	;; [unrolled: 2-line block ×3, first 2 shown]
	ds_bpermute_b32 v14, v17, v24
	v_add_f32_e32 v12, v16, v15
	ds_bpermute_b32 v13, v31, v12
	ds_bpermute_b32 v15, v17, v23
	;; [unrolled: 1-line block ×3, first 2 shown]
	s_waitcnt lgkmcnt(3)
	v_add_f32_e32 v18, v24, v14
	ds_bpermute_b32 v19, v31, v18
	ds_bpermute_b32 v17, v17, v34
	s_waitcnt lgkmcnt(3)
	v_add_f32_e32 v20, v23, v15
	v_add_f32_e32 v15, v12, v13
	s_waitcnt lgkmcnt(2)
	v_add_f32_e32 v11, v25, v11
	s_waitcnt lgkmcnt(1)
	v_add_f32_e32 v13, v18, v19
	buffer_load_dword v18, off, s[52:55], 0 offset:112 ; 4-byte Folded Reload
	s_waitcnt lgkmcnt(0)
	v_add_f32_e32 v17, v34, v17
	ds_bpermute_b32 v16, v31, v11
	ds_bpermute_b32 v22, v31, v17
	;; [unrolled: 1-line block ×3, first 2 shown]
	s_waitcnt lgkmcnt(2)
	v_add_f32_e32 v14, v11, v16
	s_waitcnt lgkmcnt(1)
	v_add_f32_e32 v11, v17, v22
	;; [unrolled: 2-line block ×3, first 2 shown]
	s_waitcnt vmcnt(0)
	v_and_b32_e32 v17, 0x3c3, v18
	v_cmp_eq_u32_e32 vcc, 64, v17
	s_and_saveexec_b64 s[2:3], vcc
	s_cbranch_execz .LBB98_76
; %bb.75:
	v_add_u32_e32 v16, 0x210, v30
	ds_write2_b32 v16, v1, v0 offset1:16
	ds_write2_b32 v16, v2, v3 offset0:32 offset1:48
	ds_write2_b32 v16, v4, v5 offset0:64 offset1:80
	;; [unrolled: 1-line block ×7, first 2 shown]
.LBB98_76:
	s_or_b64 exec, exec, s[2:3]
	v_lshrrev_b32_e32 v16, 2, v18
	s_waitcnt lgkmcnt(0)
	s_barrier
	s_and_saveexec_b64 s[2:3], s[0:1]
	s_cbranch_execz .LBB98_95
; %bb.77:
	v_mov_b32_e32 v18, 0x210
	v_cmp_eq_u32_e32 vcc, 0, v32
	v_lshl_add_u32 v18, v16, 2, v18
	s_and_saveexec_b64 s[0:1], vcc
	s_cbranch_execnz .LBB98_98
; %bb.78:
	s_or_b64 exec, exec, s[0:1]
	s_and_saveexec_b64 s[0:1], vcc
	s_cbranch_execnz .LBB98_99
.LBB98_79:
	s_or_b64 exec, exec, s[0:1]
	s_and_saveexec_b64 s[0:1], vcc
	s_cbranch_execnz .LBB98_100
.LBB98_80:
	s_or_b64 exec, exec, s[0:1]
	s_and_saveexec_b64 s[0:1], vcc
	s_cbranch_execnz .LBB98_101
.LBB98_81:
	s_or_b64 exec, exec, s[0:1]
	s_and_saveexec_b64 s[0:1], vcc
	s_cbranch_execnz .LBB98_102
.LBB98_82:
	s_or_b64 exec, exec, s[0:1]
	s_and_saveexec_b64 s[0:1], vcc
	s_cbranch_execnz .LBB98_103
.LBB98_83:
	s_or_b64 exec, exec, s[0:1]
	s_and_saveexec_b64 s[0:1], vcc
	s_cbranch_execnz .LBB98_104
.LBB98_84:
	s_or_b64 exec, exec, s[0:1]
	s_and_saveexec_b64 s[0:1], vcc
	s_cbranch_execnz .LBB98_105
.LBB98_85:
	s_or_b64 exec, exec, s[0:1]
	s_and_saveexec_b64 s[0:1], vcc
	s_cbranch_execnz .LBB98_106
.LBB98_86:
	s_or_b64 exec, exec, s[0:1]
	s_and_saveexec_b64 s[0:1], vcc
	s_cbranch_execnz .LBB98_107
.LBB98_87:
	s_or_b64 exec, exec, s[0:1]
	s_and_saveexec_b64 s[0:1], vcc
	s_cbranch_execnz .LBB98_108
.LBB98_88:
	s_or_b64 exec, exec, s[0:1]
	s_and_saveexec_b64 s[0:1], vcc
	s_cbranch_execnz .LBB98_109
.LBB98_89:
	s_or_b64 exec, exec, s[0:1]
	s_and_saveexec_b64 s[0:1], vcc
	s_cbranch_execnz .LBB98_110
.LBB98_90:
	s_or_b64 exec, exec, s[0:1]
	s_and_saveexec_b64 s[0:1], vcc
	s_cbranch_execnz .LBB98_111
.LBB98_91:
	s_or_b64 exec, exec, s[0:1]
	s_and_saveexec_b64 s[0:1], vcc
	s_cbranch_execnz .LBB98_112
.LBB98_92:
	s_or_b64 exec, exec, s[0:1]
	s_and_saveexec_b64 s[0:1], vcc
	s_cbranch_execz .LBB98_94
.LBB98_93:
	ds_read_b32 v18, v18 offset:960
	s_waitcnt lgkmcnt(0)
	v_add_f32_e32 v11, v11, v18
.LBB98_94:
	s_or_b64 exec, exec, s[0:1]
.LBB98_95:
	s_or_b64 exec, exec, s[2:3]
	v_cmp_eq_u32_e32 vcc, 0, v17
	s_barrier
	s_and_saveexec_b64 s[0:1], vcc
	s_cbranch_execz .LBB98_97
; %bb.96:
	s_mul_i32 s0, s20, s16
	s_mul_i32 s0, s0, s9
	s_lshl_b32 s0, s0, 8
	s_ashr_i32 s1, s0, 31
	s_lshl_b64 s[0:1], s[0:1], 1
	s_add_u32 s2, s24, s0
	s_mul_i32 s0, s16, s22
	s_addc_u32 s3, s25, s1
	s_ashr_i32 s1, s0, 31
	s_lshl_b64 s[0:1], s[0:1], 1
	s_add_u32 s2, s2, s0
	s_addc_u32 s3, s3, s1
	s_lshl_b32 s0, s8, 8
	s_ashr_i32 s1, s0, 31
	s_lshl_b64 s[0:1], s[0:1], 1
	s_add_u32 s0, s2, s0
	s_addc_u32 s1, s3, s1
	v_lshlrev_b32_e32 v16, 1, v16
	;;#ASMSTART
	v_cvt_f16_f32 v1, v1;

	;;#ASMEND
	global_store_short v16, v1, s[0:1]
	;;#ASMSTART
	v_cvt_f16_f32 v0, v0;

	;;#ASMEND
	global_store_short v16, v0, s[0:1] offset:32
	;;#ASMSTART
	v_cvt_f16_f32 v0, v2;

	;;#ASMEND
	global_store_short v16, v0, s[0:1] offset:64
	;; [unrolled: 5-line block ×15, first 2 shown]
.LBB98_97:
	s_endpgm
.LBB98_98:
	ds_read_b32 v19, v18
	s_waitcnt lgkmcnt(0)
	v_add_f32_e32 v1, v1, v19
	s_or_b64 exec, exec, s[0:1]
	s_and_saveexec_b64 s[0:1], vcc
	s_cbranch_execz .LBB98_79
.LBB98_99:
	ds_read_b32 v19, v18 offset:64
	s_waitcnt lgkmcnt(0)
	v_add_f32_e32 v0, v0, v19
	s_or_b64 exec, exec, s[0:1]
	s_and_saveexec_b64 s[0:1], vcc
	s_cbranch_execz .LBB98_80
.LBB98_100:
	ds_read_b32 v19, v18 offset:128
	s_waitcnt lgkmcnt(0)
	v_add_f32_e32 v2, v2, v19
	s_or_b64 exec, exec, s[0:1]
	s_and_saveexec_b64 s[0:1], vcc
	s_cbranch_execz .LBB98_81
.LBB98_101:
	ds_read_b32 v19, v18 offset:192
	s_waitcnt lgkmcnt(0)
	v_add_f32_e32 v3, v3, v19
	s_or_b64 exec, exec, s[0:1]
	s_and_saveexec_b64 s[0:1], vcc
	s_cbranch_execz .LBB98_82
.LBB98_102:
	ds_read_b32 v19, v18 offset:256
	s_waitcnt lgkmcnt(0)
	v_add_f32_e32 v4, v4, v19
	s_or_b64 exec, exec, s[0:1]
	s_and_saveexec_b64 s[0:1], vcc
	s_cbranch_execz .LBB98_83
.LBB98_103:
	ds_read_b32 v19, v18 offset:320
	s_waitcnt lgkmcnt(0)
	v_add_f32_e32 v5, v5, v19
	s_or_b64 exec, exec, s[0:1]
	s_and_saveexec_b64 s[0:1], vcc
	s_cbranch_execz .LBB98_84
.LBB98_104:
	ds_read_b32 v19, v18 offset:384
	s_waitcnt lgkmcnt(0)
	v_add_f32_e32 v6, v6, v19
	s_or_b64 exec, exec, s[0:1]
	s_and_saveexec_b64 s[0:1], vcc
	s_cbranch_execz .LBB98_85
.LBB98_105:
	ds_read_b32 v19, v18 offset:448
	s_waitcnt lgkmcnt(0)
	v_add_f32_e32 v7, v7, v19
	s_or_b64 exec, exec, s[0:1]
	s_and_saveexec_b64 s[0:1], vcc
	s_cbranch_execz .LBB98_86
.LBB98_106:
	ds_read_b32 v19, v18 offset:512
	s_waitcnt lgkmcnt(0)
	v_add_f32_e32 v9, v9, v19
	s_or_b64 exec, exec, s[0:1]
	s_and_saveexec_b64 s[0:1], vcc
	s_cbranch_execz .LBB98_87
.LBB98_107:
	ds_read_b32 v19, v18 offset:576
	s_waitcnt lgkmcnt(0)
	v_add_f32_e32 v8, v8, v19
	s_or_b64 exec, exec, s[0:1]
	s_and_saveexec_b64 s[0:1], vcc
	s_cbranch_execz .LBB98_88
.LBB98_108:
	ds_read_b32 v19, v18 offset:640
	s_waitcnt lgkmcnt(0)
	v_add_f32_e32 v10, v10, v19
	s_or_b64 exec, exec, s[0:1]
	s_and_saveexec_b64 s[0:1], vcc
	s_cbranch_execz .LBB98_89
.LBB98_109:
	ds_read_b32 v19, v18 offset:704
	s_waitcnt lgkmcnt(0)
	v_add_f32_e32 v15, v15, v19
	s_or_b64 exec, exec, s[0:1]
	s_and_saveexec_b64 s[0:1], vcc
	s_cbranch_execz .LBB98_90
.LBB98_110:
	ds_read_b32 v19, v18 offset:768
	s_waitcnt lgkmcnt(0)
	v_add_f32_e32 v14, v14, v19
	s_or_b64 exec, exec, s[0:1]
	s_and_saveexec_b64 s[0:1], vcc
	s_cbranch_execz .LBB98_91
.LBB98_111:
	ds_read_b32 v19, v18 offset:832
	s_waitcnt lgkmcnt(0)
	v_add_f32_e32 v13, v13, v19
	s_or_b64 exec, exec, s[0:1]
	s_and_saveexec_b64 s[0:1], vcc
	s_cbranch_execz .LBB98_92
.LBB98_112:
	ds_read_b32 v19, v18 offset:896
	s_waitcnt lgkmcnt(0)
	v_add_f32_e32 v12, v12, v19
	s_or_b64 exec, exec, s[0:1]
	s_and_saveexec_b64 s[0:1], vcc
	s_cbranch_execnz .LBB98_93
	s_branch .LBB98_94
	.section	.rodata,"a",@progbits
	.p2align	6, 0x0
	.amdhsa_kernel _ZN4vllm25paged_attention_v1_kernelIttLi256ELi32ELi128ELNS_18Fp8KVCacheDataTypeE0ELb1EEEvPT_PKS2_PKT0_S8_ifPKiSA_iPKfiiiSC_SC_iiiii
		.amdhsa_group_segment_fixed_size 528
		.amdhsa_private_segment_fixed_size 132
		.amdhsa_kernarg_size 384
		.amdhsa_user_sgpr_count 6
		.amdhsa_user_sgpr_private_segment_buffer 1
		.amdhsa_user_sgpr_dispatch_ptr 0
		.amdhsa_user_sgpr_queue_ptr 0
		.amdhsa_user_sgpr_kernarg_segment_ptr 1
		.amdhsa_user_sgpr_dispatch_id 0
		.amdhsa_user_sgpr_flat_scratch_init 0
		.amdhsa_user_sgpr_private_segment_size 0
		.amdhsa_uses_dynamic_stack 0
		.amdhsa_system_sgpr_private_segment_wavefront_offset 1
		.amdhsa_system_sgpr_workgroup_id_x 1
		.amdhsa_system_sgpr_workgroup_id_y 1
		.amdhsa_system_sgpr_workgroup_id_z 1
		.amdhsa_system_sgpr_workgroup_info 0
		.amdhsa_system_vgpr_workitem_id 0
		.amdhsa_next_free_vgpr 64
		.amdhsa_next_free_sgpr 56
		.amdhsa_reserve_vcc 1
		.amdhsa_reserve_flat_scratch 0
		.amdhsa_float_round_mode_32 0
		.amdhsa_float_round_mode_16_64 0
		.amdhsa_float_denorm_mode_32 3
		.amdhsa_float_denorm_mode_16_64 3
		.amdhsa_dx10_clamp 1
		.amdhsa_ieee_mode 1
		.amdhsa_fp16_overflow 0
		.amdhsa_exception_fp_ieee_invalid_op 0
		.amdhsa_exception_fp_denorm_src 0
		.amdhsa_exception_fp_ieee_div_zero 0
		.amdhsa_exception_fp_ieee_overflow 0
		.amdhsa_exception_fp_ieee_underflow 0
		.amdhsa_exception_fp_ieee_inexact 0
		.amdhsa_exception_int_div_zero 0
	.end_amdhsa_kernel
	.section	.text._ZN4vllm25paged_attention_v1_kernelIttLi256ELi32ELi128ELNS_18Fp8KVCacheDataTypeE0ELb1EEEvPT_PKS2_PKT0_S8_ifPKiSA_iPKfiiiSC_SC_iiiii,"axG",@progbits,_ZN4vllm25paged_attention_v1_kernelIttLi256ELi32ELi128ELNS_18Fp8KVCacheDataTypeE0ELb1EEEvPT_PKS2_PKT0_S8_ifPKiSA_iPKfiiiSC_SC_iiiii,comdat
.Lfunc_end98:
	.size	_ZN4vllm25paged_attention_v1_kernelIttLi256ELi32ELi128ELNS_18Fp8KVCacheDataTypeE0ELb1EEEvPT_PKS2_PKT0_S8_ifPKiSA_iPKfiiiSC_SC_iiiii, .Lfunc_end98-_ZN4vllm25paged_attention_v1_kernelIttLi256ELi32ELi128ELNS_18Fp8KVCacheDataTypeE0ELb1EEEvPT_PKS2_PKT0_S8_ifPKiSA_iPKfiiiSC_SC_iiiii
                                        ; -- End function
	.set _ZN4vllm25paged_attention_v1_kernelIttLi256ELi32ELi128ELNS_18Fp8KVCacheDataTypeE0ELb1EEEvPT_PKS2_PKT0_S8_ifPKiSA_iPKfiiiSC_SC_iiiii.num_vgpr, 64
	.set _ZN4vllm25paged_attention_v1_kernelIttLi256ELi32ELi128ELNS_18Fp8KVCacheDataTypeE0ELb1EEEvPT_PKS2_PKT0_S8_ifPKiSA_iPKfiiiSC_SC_iiiii.num_agpr, 0
	.set _ZN4vllm25paged_attention_v1_kernelIttLi256ELi32ELi128ELNS_18Fp8KVCacheDataTypeE0ELb1EEEvPT_PKS2_PKT0_S8_ifPKiSA_iPKfiiiSC_SC_iiiii.numbered_sgpr, 56
	.set _ZN4vllm25paged_attention_v1_kernelIttLi256ELi32ELi128ELNS_18Fp8KVCacheDataTypeE0ELb1EEEvPT_PKS2_PKT0_S8_ifPKiSA_iPKfiiiSC_SC_iiiii.num_named_barrier, 0
	.set _ZN4vllm25paged_attention_v1_kernelIttLi256ELi32ELi128ELNS_18Fp8KVCacheDataTypeE0ELb1EEEvPT_PKS2_PKT0_S8_ifPKiSA_iPKfiiiSC_SC_iiiii.private_seg_size, 132
	.set _ZN4vllm25paged_attention_v1_kernelIttLi256ELi32ELi128ELNS_18Fp8KVCacheDataTypeE0ELb1EEEvPT_PKS2_PKT0_S8_ifPKiSA_iPKfiiiSC_SC_iiiii.uses_vcc, 1
	.set _ZN4vllm25paged_attention_v1_kernelIttLi256ELi32ELi128ELNS_18Fp8KVCacheDataTypeE0ELb1EEEvPT_PKS2_PKT0_S8_ifPKiSA_iPKfiiiSC_SC_iiiii.uses_flat_scratch, 0
	.set _ZN4vllm25paged_attention_v1_kernelIttLi256ELi32ELi128ELNS_18Fp8KVCacheDataTypeE0ELb1EEEvPT_PKS2_PKT0_S8_ifPKiSA_iPKfiiiSC_SC_iiiii.has_dyn_sized_stack, 0
	.set _ZN4vllm25paged_attention_v1_kernelIttLi256ELi32ELi128ELNS_18Fp8KVCacheDataTypeE0ELb1EEEvPT_PKS2_PKT0_S8_ifPKiSA_iPKfiiiSC_SC_iiiii.has_recursion, 0
	.set _ZN4vllm25paged_attention_v1_kernelIttLi256ELi32ELi128ELNS_18Fp8KVCacheDataTypeE0ELb1EEEvPT_PKS2_PKT0_S8_ifPKiSA_iPKfiiiSC_SC_iiiii.has_indirect_call, 0
	.section	.AMDGPU.csdata,"",@progbits
; Kernel info:
; codeLenInByte = 14564
; TotalNumSgprs: 60
; NumVgprs: 64
; ScratchSize: 132
; MemoryBound: 0
; FloatMode: 240
; IeeeMode: 1
; LDSByteSize: 528 bytes/workgroup (compile time only)
; SGPRBlocks: 7
; VGPRBlocks: 15
; NumSGPRsForWavesPerEU: 60
; NumVGPRsForWavesPerEU: 64
; Occupancy: 4
; WaveLimiterHint : 1
; COMPUTE_PGM_RSRC2:SCRATCH_EN: 1
; COMPUTE_PGM_RSRC2:USER_SGPR: 6
; COMPUTE_PGM_RSRC2:TRAP_HANDLER: 0
; COMPUTE_PGM_RSRC2:TGID_X_EN: 1
; COMPUTE_PGM_RSRC2:TGID_Y_EN: 1
; COMPUTE_PGM_RSRC2:TGID_Z_EN: 1
; COMPUTE_PGM_RSRC2:TIDIG_COMP_CNT: 0
	.section	.text._ZN4vllm25paged_attention_v1_kernelIttLi32ELi32ELi128ELNS_18Fp8KVCacheDataTypeE0ELb0EEEvPT_PKS2_PKT0_S8_ifPKiSA_iPKfiiiSC_SC_iiiii,"axG",@progbits,_ZN4vllm25paged_attention_v1_kernelIttLi32ELi32ELi128ELNS_18Fp8KVCacheDataTypeE0ELb0EEEvPT_PKS2_PKT0_S8_ifPKiSA_iPKfiiiSC_SC_iiiii,comdat
	.protected	_ZN4vllm25paged_attention_v1_kernelIttLi32ELi32ELi128ELNS_18Fp8KVCacheDataTypeE0ELb0EEEvPT_PKS2_PKT0_S8_ifPKiSA_iPKfiiiSC_SC_iiiii ; -- Begin function _ZN4vllm25paged_attention_v1_kernelIttLi32ELi32ELi128ELNS_18Fp8KVCacheDataTypeE0ELb0EEEvPT_PKS2_PKT0_S8_ifPKiSA_iPKfiiiSC_SC_iiiii
	.globl	_ZN4vllm25paged_attention_v1_kernelIttLi32ELi32ELi128ELNS_18Fp8KVCacheDataTypeE0ELb0EEEvPT_PKS2_PKT0_S8_ifPKiSA_iPKfiiiSC_SC_iiiii
	.p2align	8
	.type	_ZN4vllm25paged_attention_v1_kernelIttLi32ELi32ELi128ELNS_18Fp8KVCacheDataTypeE0ELb0EEEvPT_PKS2_PKT0_S8_ifPKiSA_iPKfiiiSC_SC_iiiii,@function
_ZN4vllm25paged_attention_v1_kernelIttLi32ELi32ELi128ELNS_18Fp8KVCacheDataTypeE0ELb0EEEvPT_PKS2_PKT0_S8_ifPKiSA_iPKfiiiSC_SC_iiiii: ; @_ZN4vllm25paged_attention_v1_kernelIttLi32ELi32ELi128ELNS_18Fp8KVCacheDataTypeE0ELb0EEEvPT_PKS2_PKT0_S8_ifPKiSA_iPKfiiiSC_SC_iiiii
; %bb.0:
	s_load_dword s9, s[4:5], 0x80
	s_load_dwordx2 s[0:1], s[4:5], 0x30
	s_load_dwordx2 s[26:27], s[4:5], 0x20
	s_mov_b32 s10, s7
	s_ashr_i32 s11, s7, 31
	s_lshl_b64 s[2:3], s[10:11], 2
	s_waitcnt lgkmcnt(0)
	s_add_u32 s0, s0, s2
	s_addc_u32 s1, s1, s3
	s_abs_i32 s2, s26
	v_cvt_f32_u32_e32 v1, s2
	s_sub_i32 s11, 0, s2
	s_abs_i32 s7, s9
	s_xor_b32 s3, s9, s26
	v_rcp_iflag_f32_e32 v1, v1
	s_ashr_i32 s3, s3, 31
	s_mov_b32 s26, 0
	v_mul_f32_e32 v1, 0x4f7ffffe, v1
	v_cvt_u32_f32_e32 v1, v1
	v_readfirstlane_b32 s12, v1
	s_mul_i32 s11, s11, s12
	s_mul_hi_u32 s11, s12, s11
	s_add_i32 s12, s12, s11
	s_mul_hi_u32 s11, s7, s12
	s_mul_i32 s12, s11, s2
	s_sub_i32 s7, s7, s12
	s_add_i32 s12, s11, 1
	s_sub_i32 s13, s7, s2
	s_cmp_ge_u32 s7, s2
	s_cselect_b32 s11, s12, s11
	s_cselect_b32 s7, s13, s7
	s_add_i32 s12, s11, 1
	s_cmp_ge_u32 s7, s2
	s_cselect_b32 s2, s12, s11
	s_xor_b32 s2, s2, s3
	s_sub_i32 s12, s2, s3
	s_abs_i32 s11, s12
	v_cvt_f32_u32_e32 v1, s11
	s_load_dwordx2 s[2:3], s[4:5], 0x40
	s_sub_i32 s7, 0, s11
	s_abs_i32 s18, s6
	v_rcp_iflag_f32_e32 v1, v1
	v_mul_f32_e32 v1, 0x4f7ffffe, v1
	v_cvt_u32_f32_e32 v1, v1
	v_readfirstlane_b32 s13, v1
	s_mul_i32 s7, s7, s13
	s_mul_hi_u32 s7, s13, s7
	s_add_i32 s13, s13, s7
	s_waitcnt lgkmcnt(0)
	s_cmp_eq_u64 s[2:3], 0
	s_mul_hi_u32 s19, s18, s13
	s_cbranch_scc1 .LBB99_2
; %bb.1:
	s_ashr_i32 s7, s6, 31
	s_lshl_b64 s[14:15], s[6:7], 2
	s_add_u32 s2, s2, s14
	s_addc_u32 s3, s3, s15
	s_load_dword s26, s[2:3], 0x0
.LBB99_2:
	s_load_dword s33, s[0:1], 0x0
	s_ashr_i32 s3, s12, 31
	s_load_dwordx4 s[12:15], s[4:5], 0x48
	s_ashr_i32 s2, s6, 31
	v_and_b32_e32 v1, 1, v0
	s_lshl_b32 s16, s6, 5
	v_cmp_gt_u32_e32 vcc, 8, v0
	v_lshlrev_b32_e32 v14, 3, v0
	s_and_saveexec_b64 s[0:1], vcc
	s_cbranch_execz .LBB99_4
; %bb.3:
	s_load_dwordx2 s[6:7], s[4:5], 0x8
	s_waitcnt lgkmcnt(0)
	s_mul_i32 s20, s12, s10
	s_ashr_i32 s21, s20, 31
	s_lshl_b64 s[20:21], s[20:21], 1
	v_lshlrev_b32_e32 v4, 2, v0
	s_add_u32 s12, s6, s20
	s_addc_u32 s15, s7, s21
	s_ashr_i32 s17, s16, 31
	s_lshl_b64 s[6:7], s[16:17], 1
	s_add_u32 s6, s12, s6
	s_addc_u32 s7, s15, s7
	global_load_dwordx2 v[2:3], v14, s[6:7]
	v_and_b32_e32 v4, 0xff8, v4
	v_lshl_add_u32 v4, v1, 5, v4
	s_waitcnt vmcnt(0)
	ds_write_b64 v4, v[2:3]
.LBB99_4:
	s_or_b64 exec, exec, s[0:1]
	s_waitcnt lgkmcnt(0)
	s_add_i32 s1, s33, 31
	s_ashr_i32 s6, s1, 31
	s_lshr_b32 s6, s6, 27
	s_add_i32 s1, s1, s6
	s_ashr_i32 s12, s1, 5
	s_xor_b32 s1, s2, s3
	s_mul_i32 s2, s19, s11
	s_sub_i32 s2, s18, s2
	s_add_i32 s3, s19, 1
	s_sub_i32 s6, s2, s11
	s_load_dwordx2 s[20:21], s[4:5], 0x28
	s_load_dword s0, s[4:5], 0x38
	s_cmp_ge_u32 s2, s11
	s_cselect_b32 s3, s3, s19
	s_cselect_b32 s2, s6, s2
	s_add_i32 s6, s3, 1
	s_cmp_ge_u32 s2, s11
	s_cselect_b32 s2, s6, s3
	v_lshrrev_b32_e32 v13, 6, v0
	s_xor_b32 s2, s2, s1
	s_waitcnt lgkmcnt(0)
	s_mul_i32 s22, s0, s10
	s_sub_i32 s15, s2, s1
	s_ashr_i32 s23, s22, 31
	v_cmp_gt_i32_e64 s[0:1], s12, v13
	v_cmp_le_i32_e32 vcc, s12, v13
	v_mbcnt_lo_u32_b32 v3, -1, 0
	s_barrier
                                        ; implicit-def: $vgpr16
                                        ; implicit-def: $vgpr17
                                        ; implicit-def: $vgpr18
	s_and_saveexec_b64 s[2:3], vcc
	s_xor_b64 s[2:3], exec, s[2:3]
; %bb.5:
	v_mbcnt_hi_u32_b32 v16, -1, v3
	v_and_b32_e32 v17, 64, v16
	v_add_u32_e32 v18, 64, v17
                                        ; implicit-def: $vgpr1
                                        ; implicit-def: $vgpr3
; %bb.6:
	s_or_saveexec_b64 s[6:7], s[2:3]
	s_load_dwordx2 s[18:19], s[4:5], 0x0
	s_load_dwordx2 s[24:25], s[4:5], 0x18
	s_load_dword s11, s[4:5], 0x88
	v_mov_b32_e32 v19, 0xff7fffff
	s_mul_i32 s14, s15, s14
	v_lshrrev_b32_e32 v15, 4, v0
	s_xor_b64 exec, exec, s[6:7]
	s_cbranch_execz .LBB99_12
; %bb.7:
	s_load_dwordx2 s[2:3], s[4:5], 0x10
	s_ashr_i32 s15, s14, 31
	s_lshl_b64 s[4:5], s[14:15], 1
	v_bfe_u32 v2, v0, 1, 5
	v_lshlrev_b32_e32 v4, 4, v2
	s_waitcnt lgkmcnt(0)
	s_add_u32 s2, s2, s4
	s_addc_u32 s3, s3, s5
	v_mov_b32_e32 v5, s3
	v_add_co_u32_e32 v4, vcc, s2, v4
	v_addc_co_u32_e32 v5, vcc, 0, v5, vcc
	v_and_b32_e32 v6, 8, v14
	v_add_co_u32_e32 v20, vcc, v4, v6
	v_addc_co_u32_e32 v21, vcc, 0, v5, vcc
	v_lshlrev_b32_e32 v22, 5, v1
	v_cmp_eq_u32_e32 vcc, 0, v1
	s_sub_i32 s15, 1, s33
	v_lshlrev_b32_e32 v1, 2, v2
	s_lshl_b64 s[4:5], s[22:23], 2
	v_lshl_or_b32 v1, v13, 7, v1
	s_add_u32 s4, s20, s4
	v_add_u32_e32 v24, 0x50, v1
	v_and_b32_e32 v1, 60, v15
	s_addc_u32 s5, s21, s5
	v_mbcnt_hi_u32_b32 v16, -1, v3
	v_lshl_or_b32 v23, v13, 5, v2
	v_mov_b32_e32 v2, s5
	v_add_co_u32_e64 v1, s[4:5], s4, v1
	v_and_b32_e32 v17, 64, v16
	s_mov_b32 s17, s13
	v_cmp_neq_f32_e64 s[2:3], s26, 0
	v_addc_co_u32_e64 v2, s[4:5], 0, v2, s[4:5]
	v_mov_b32_e32 v19, 0xff7fffff
	s_mov_b64 s[28:29], 0
	v_xor_b32_e32 v25, 1, v16
	v_add_u32_e32 v18, 64, v17
	v_mov_b32_e32 v26, v13
	s_branch .LBB99_9
.LBB99_8:                               ;   in Loop: Header=BB99_9 Depth=1
	s_or_b64 exec, exec, s[30:31]
	v_add_u32_e32 v26, 2, v26
	v_cmp_le_i32_e64 s[4:5], s12, v26
	s_or_b64 s[28:29], s[4:5], s[28:29]
	v_add_co_u32_e64 v1, s[4:5], 8, v1
	v_add_u32_e32 v23, 64, v23
	v_add_u32_e32 v24, 0x100, v24
	v_addc_co_u32_e64 v2, s[4:5], 0, v2, s[4:5]
	s_andn2_b64 exec, exec, s[28:29]
	s_cbranch_execz .LBB99_11
.LBB99_9:                               ; =>This Inner Loop Header: Depth=1
	global_load_dword v3, v[1:2], off
	s_waitcnt vmcnt(0) lgkmcnt(0)
	v_mad_i64_i32 v[3:4], s[4:5], v3, s17, 0
	v_lshlrev_b64 v[3:4], 1, v[3:4]
	v_add_co_u32_e64 v11, s[4:5], v20, v3
	v_addc_co_u32_e64 v12, s[4:5], v21, v4, s[4:5]
	global_load_dwordx2 v[7:8], v[11:12], off
	global_load_dwordx2 v[5:6], v[11:12], off offset:512
	global_load_dwordx2 v[9:10], v[11:12], off offset:1024
	;; [unrolled: 1-line block ×3, first 2 shown]
	ds_read_b64 v[11:12], v22
	v_cmp_lt_i32_e64 s[4:5], v25, v18
	v_cndmask_b32_e64 v27, v16, v25, s[4:5]
	s_waitcnt lgkmcnt(0)
	v_lshrrev_b32_e32 v28, 16, v11
	v_and_b32_e32 v11, 0xffff, v11
	v_lshrrev_b32_e32 v29, 16, v12
	v_and_b32_e32 v30, 0xffff, v12
	;;#ASMSTART
	v_cvt_f32_f16 v11, v11;
	;;#ASMEND
	;;#ASMSTART
	v_cvt_f32_f16 v12, v28;
	;;#ASMEND
	s_waitcnt vmcnt(3)
	v_lshrrev_b32_e32 v28, 16, v7
	v_and_b32_e32 v7, 0xffff, v7
	v_lshrrev_b32_e32 v31, 16, v8
	v_and_b32_e32 v32, 0xffff, v8
	s_waitcnt vmcnt(2)
	v_and_b32_e32 v33, 0xffff, v5
	v_lshrrev_b32_e32 v34, 16, v5
	v_lshrrev_b32_e32 v35, 16, v6
	v_and_b32_e32 v36, 0xffff, v6
	s_waitcnt vmcnt(1)
	v_and_b32_e32 v37, 0xffff, v9
	v_lshrrev_b32_e32 v38, 16, v9
	v_lshrrev_b32_e32 v39, 16, v10
	v_and_b32_e32 v40, 0xffff, v10
	;;#ASMSTART
	v_cvt_f32_f16 v7, v7;
	;;#ASMEND
	;;#ASMSTART
	v_cvt_f32_f16 v8, v28;
	;;#ASMEND
	;; [unrolled: 3-line block ×6, first 2 shown]
	ds_read_b64 v[5:6], v22 offset:8
	s_waitcnt vmcnt(0)
	v_and_b32_e32 v41, 0xffff, v3
	v_lshrrev_b32_e32 v42, 16, v3
	v_lshrrev_b32_e32 v43, 16, v4
	v_and_b32_e32 v44, 0xffff, v4
	s_waitcnt lgkmcnt(0)
	v_and_b32_e32 v3, 0xffff, v5
	v_lshrrev_b32_e32 v4, 16, v5
	v_and_b32_e32 v32, 0xffff, v6
	v_lshrrev_b32_e32 v45, 16, v6
	;;#ASMSTART
	v_cvt_f32_f16 v5, v3;
	;;#ASMEND
	;;#ASMSTART
	v_cvt_f32_f16 v6, v4;
	;;#ASMEND
	;; [unrolled: 3-line block ×8, first 2 shown]
	ds_read_b64 v[3:4], v22 offset:16
	v_mul_f32_e32 v6, v6, v31
	v_mul_f32_e32 v5, v5, v30
	;; [unrolled: 1-line block ×4, first 2 shown]
	v_fmac_f32_e32 v6, v12, v8
	s_waitcnt lgkmcnt(0)
	v_lshrrev_b32_e32 v8, 16, v3
	v_and_b32_e32 v3, 0xffff, v3
	v_lshrrev_b32_e32 v12, 16, v4
	v_and_b32_e32 v4, 0xffff, v4
	v_fmac_f32_e32 v5, v11, v7
	v_fmac_f32_e32 v30, v9, v28
	;; [unrolled: 1-line block ×3, first 2 shown]
	;;#ASMSTART
	v_cvt_f32_f16 v7, v3;
	;;#ASMEND
	;;#ASMSTART
	v_cvt_f32_f16 v8, v8;
	;;#ASMEND
	;; [unrolled: 3-line block ×8, first 2 shown]
	ds_read_b64 v[3:4], v22 offset:24
	v_fmac_f32_e32 v5, v7, v9
	v_fmac_f32_e32 v6, v8, v10
	;; [unrolled: 1-line block ×4, first 2 shown]
	s_waitcnt lgkmcnt(0)
	v_lshrrev_b32_e32 v7, 16, v3
	v_and_b32_e32 v3, 0xffff, v3
	v_lshrrev_b32_e32 v10, 16, v4
	v_and_b32_e32 v9, 0xffff, v4
	;;#ASMSTART
	v_cvt_f32_f16 v3, v3;
	;;#ASMEND
	;;#ASMSTART
	v_cvt_f32_f16 v4, v7;
	;;#ASMEND
	;; [unrolled: 3-line block ×4, first 2 shown]
	v_fmac_f32_e32 v5, v3, v7
	v_fmac_f32_e32 v6, v4, v8
	;;#ASMSTART
	v_cvt_f32_f16 v9, v9;
	;;#ASMEND
	;;#ASMSTART
	v_cvt_f32_f16 v10, v10;
	;;#ASMEND
	;; [unrolled: 3-line block ×3, first 2 shown]
	v_fmac_f32_e32 v30, v9, v11
	v_add_f32_e32 v3, v5, v6
	;;#ASMSTART
	v_cvt_f32_f16 v12, v43;
	;;#ASMEND
	v_fmac_f32_e32 v31, v10, v12
	v_add_f32_e32 v3, v3, v30
	v_add_f32_e32 v3, v31, v3
	v_lshlrev_b32_e32 v4, 2, v27
	ds_bpermute_b32 v4, v4, v3
	s_and_saveexec_b64 s[30:31], vcc
	s_cbranch_execz .LBB99_8
; %bb.10:                               ;   in Loop: Header=BB99_9 Depth=1
	v_add_u32_e32 v5, s15, v23
	v_cvt_f32_i32_e32 v5, v5
	s_waitcnt lgkmcnt(0)
	v_add_f32_e32 v3, v3, v4
	v_cmp_gt_i32_e64 s[4:5], s33, v23
	v_max_f32_e32 v4, v19, v19
	v_mul_f32_e32 v5, s26, v5
	v_cndmask_b32_e64 v5, 0, v5, s[2:3]
	v_fmac_f32_e32 v5, s27, v3
	v_cndmask_b32_e64 v3, 0, v5, s[4:5]
	ds_write_b32 v24, v3
	v_max_f32_e32 v3, v4, v5
	v_cndmask_b32_e64 v19, v19, v3, s[4:5]
	s_branch .LBB99_8
.LBB99_11:
	s_or_b64 exec, exec, s[28:29]
.LBB99_12:
	s_or_b64 exec, exec, s[6:7]
	v_xor_b32_e32 v1, 32, v16
	v_cmp_lt_i32_e32 vcc, v1, v18
	v_cndmask_b32_e32 v1, v16, v1, vcc
	v_lshlrev_b32_e32 v1, 2, v1
	ds_bpermute_b32 v2, v1, v19
	s_waitcnt lgkmcnt(0)
	v_xor_b32_e32 v4, 16, v16
	v_max_f32_e32 v3, v19, v19
	v_cmp_lt_i32_e32 vcc, v4, v18
	v_xor_b32_e32 v5, 8, v16
	v_max_f32_e32 v2, v2, v2
	v_max_f32_e32 v3, v3, v2
	v_cndmask_b32_e32 v2, v16, v4, vcc
	v_lshlrev_b32_e32 v2, 2, v2
	ds_bpermute_b32 v4, v2, v3
	v_cmp_lt_i32_e32 vcc, v5, v18
	v_xor_b32_e32 v6, 4, v16
	v_xor_b32_e32 v7, 2, v16
	v_and_b32_e32 v9, 63, v0
	s_waitcnt lgkmcnt(0)
	v_max_f32_e32 v4, v4, v4
	v_max_f32_e32 v4, v3, v4
	v_cndmask_b32_e32 v3, v16, v5, vcc
	v_lshlrev_b32_e32 v3, 2, v3
	ds_bpermute_b32 v5, v3, v4
	v_cmp_lt_i32_e32 vcc, v6, v18
	s_waitcnt lgkmcnt(0)
	v_max_f32_e32 v5, v5, v5
	v_max_f32_e32 v5, v4, v5
	v_cndmask_b32_e32 v4, v16, v6, vcc
	v_lshlrev_b32_e32 v4, 2, v4
	ds_bpermute_b32 v6, v4, v5
	v_cmp_lt_i32_e32 vcc, v7, v18
	s_waitcnt lgkmcnt(0)
	v_max_f32_e32 v6, v6, v6
	v_max_f32_e32 v6, v5, v6
	v_cndmask_b32_e32 v5, v16, v7, vcc
	v_lshlrev_b32_e32 v10, 2, v5
	ds_bpermute_b32 v7, v10, v6
	v_cmp_eq_u32_e32 vcc, 0, v9
	v_lshlrev_b32_e32 v5, 2, v13
	s_and_saveexec_b64 s[2:3], vcc
	s_cbranch_execz .LBB99_14
; %bb.13:
	s_waitcnt lgkmcnt(0)
	v_max_f32_e32 v7, v7, v7
	v_max_f32_e32 v6, v6, v6
	;; [unrolled: 1-line block ×3, first 2 shown]
	ds_write_b32 v5, v6 offset:64
.LBB99_14:
	s_or_b64 exec, exec, s[2:3]
	v_cmp_gt_u32_e64 s[2:3], 2, v9
	s_waitcnt lgkmcnt(0)
	v_mov_b32_e32 v7, 0xff7fffff
	v_lshlrev_b32_e32 v6, 2, v9
	s_barrier
	s_and_saveexec_b64 s[4:5], s[2:3]
; %bb.15:
	ds_read_b32 v7, v6 offset:64
; %bb.16:
	s_or_b64 exec, exec, s[4:5]
	v_xor_b32_e32 v8, 1, v16
	v_cmp_lt_i32_e64 s[4:5], v8, v18
	v_cndmask_b32_e64 v8, v16, v8, s[4:5]
	v_lshlrev_b32_e32 v11, 2, v8
	s_waitcnt lgkmcnt(0)
	ds_bpermute_b32 v8, v11, v7
	v_max_f32_e32 v7, v7, v7
	s_lshl_b32 s4, s12, 5
	s_min_i32 s15, s4, s33
	v_cmp_gt_i32_e64 s[4:5], s15, v0
	s_waitcnt lgkmcnt(0)
	v_max_f32_e32 v8, v8, v8
	v_max_f32_e32 v7, v7, v8
	v_lshlrev_b32_e32 v8, 2, v17
	ds_bpermute_b32 v8, v8, v7
	v_mov_b32_e32 v7, 0
	s_and_saveexec_b64 s[26:27], s[4:5]
	s_cbranch_execz .LBB99_20
; %bb.17:
	v_mov_b32_e32 v7, 0x50
	v_lshl_add_u32 v12, v0, 2, v7
	v_mov_b32_e32 v7, 0
	s_mov_b64 s[28:29], 0
	v_mov_b32_e32 v17, v0
.LBB99_18:                              ; =>This Inner Loop Header: Depth=1
	ds_read_b32 v18, v12
	v_add_u32_e32 v17, 0x80, v17
	v_cmp_le_i32_e64 s[6:7], s15, v17
	s_or_b64 s[28:29], s[6:7], s[28:29]
	s_waitcnt lgkmcnt(0)
	v_sub_f32_e32 v18, v18, v8
	v_mul_f32_e32 v18, 0x3fb8aa3b, v18
	v_exp_f32_e32 v18, v18
	ds_write_b32 v12, v18
	v_add_f32_e32 v7, v7, v18
	v_add_u32_e32 v12, 0x200, v12
	s_andn2_b64 exec, exec, s[28:29]
	s_cbranch_execnz .LBB99_18
; %bb.19:
	s_or_b64 exec, exec, s[28:29]
.LBB99_20:
	s_or_b64 exec, exec, s[26:27]
	ds_bpermute_b32 v1, v1, v7
	s_waitcnt lgkmcnt(0)
	v_add_f32_e32 v1, v7, v1
	ds_bpermute_b32 v2, v2, v1
	s_waitcnt lgkmcnt(0)
	v_add_f32_e32 v1, v1, v2
	ds_bpermute_b32 v2, v3, v1
	s_waitcnt lgkmcnt(0)
	v_add_f32_e32 v1, v1, v2
	ds_bpermute_b32 v2, v4, v1
	s_waitcnt lgkmcnt(0)
	v_add_f32_e32 v1, v1, v2
	ds_bpermute_b32 v2, v10, v1
	s_waitcnt lgkmcnt(0)
	v_add_f32_e32 v1, v1, v2
	ds_bpermute_b32 v2, v11, v1
	s_waitcnt lgkmcnt(0)
	v_add_f32_e32 v1, v1, v2
	s_and_saveexec_b64 s[6:7], vcc
; %bb.21:
	ds_write_b32 v5, v1 offset:72
; %bb.22:
	s_or_b64 exec, exec, s[6:7]
	s_waitcnt lgkmcnt(0)
	s_barrier
	s_and_saveexec_b64 s[6:7], s[2:3]
; %bb.23:
	ds_read_b32 v1, v6 offset:72
; %bb.24:
	s_or_b64 exec, exec, s[6:7]
	s_waitcnt lgkmcnt(0)
	ds_bpermute_b32 v2, v11, v1
	v_lshlrev_b32_e32 v3, 2, v16
	s_waitcnt lgkmcnt(0)
	v_add_f32_e32 v1, v1, v2
	v_and_b32_e32 v2, 0xffffff00, v3
	ds_bpermute_b32 v1, v2, v1
	s_and_saveexec_b64 s[2:3], s[4:5]
	s_cbranch_execz .LBB99_27
; %bb.25:
	s_waitcnt lgkmcnt(0)
	v_add_f32_e32 v2, 0x358637bd, v1
	v_div_scale_f32 v1, s[4:5], v2, v2, 1.0
	v_div_scale_f32 v3, vcc, 1.0, v2, 1.0
	s_mov_b64 s[4:5], 0
	v_rcp_f32_e32 v4, v1
	v_fma_f32 v5, -v1, v4, 1.0
	v_fmac_f32_e32 v4, v5, v4
	v_mul_f32_e32 v5, v3, v4
	v_fma_f32 v6, -v1, v5, v3
	v_fmac_f32_e32 v5, v6, v4
	v_fma_f32 v1, -v1, v5, v3
	v_div_fmas_f32 v3, v1, v4, v5
	v_mov_b32_e32 v1, 0x50
	v_lshl_add_u32 v1, v0, 2, v1
	v_div_fixup_f32 v2, v3, v2, 1.0
	v_mov_b32_e32 v3, v0
.LBB99_26:                              ; =>This Inner Loop Header: Depth=1
	ds_read_b32 v4, v1
	v_add_u32_e32 v3, 0x80, v3
	v_cmp_le_i32_e32 vcc, s15, v3
	s_or_b64 s[4:5], vcc, s[4:5]
	s_waitcnt lgkmcnt(0)
	v_mul_f32_e32 v4, v2, v4
	ds_write_b32 v1, v4
	v_add_u32_e32 v1, 0x200, v1
	s_andn2_b64 exec, exec, s[4:5]
	s_cbranch_execnz .LBB99_26
.LBB99_27:
	s_or_b64 exec, exec, s[2:3]
	v_mov_b32_e32 v16, 0
	v_and_b32_e32 v12, 3, v0
	v_mov_b32_e32 v17, 0
	s_waitcnt lgkmcnt(0)
	s_barrier
	s_and_saveexec_b64 s[2:3], s[0:1]
	s_cbranch_execz .LBB99_35
; %bb.28:
	s_ashr_i32 s15, s14, 31
	s_lshl_b64 s[0:1], s[14:15], 1
	v_lshlrev_b32_e32 v2, 4, v0
	s_add_u32 s0, s24, s0
	v_and_b32_e32 v2, 0x3f0, v2
	v_and_b32_e32 v1, 24, v14
	s_addc_u32 s1, s25, s1
	v_add_co_u32_e32 v18, vcc, s0, v2
	v_lshlrev_b32_e32 v2, 5, v13
	s_add_i32 s14, s12, -1
	v_mov_b32_e32 v3, s1
	v_or3_b32 v20, v2, v1, 7
	v_lshlrev_b32_e32 v1, 5, v12
	s_lshl_b64 s[0:1], s[22:23], 2
	v_lshl_or_b32 v1, v13, 7, v1
	s_add_u32 s0, s20, s0
	v_addc_co_u32_e32 v19, vcc, 0, v3, vcc
	v_add_u32_e32 v21, 0x50, v1
	v_and_b32_e32 v1, 60, v15
	s_addc_u32 s1, s21, s1
	v_mov_b32_e32 v2, s1
	v_add_co_u32_e32 v5, vcc, s0, v1
	v_mov_b32_e32 v14, 0
	v_addc_co_u32_e32 v6, vcc, 0, v2, vcc
	s_mov_b64 s[4:5], 0
	s_mov_b32 s15, 0xffff
	v_mov_b32_e32 v17, 0
	v_mov_b32_e32 v16, 0
	s_branch .LBB99_30
.LBB99_29:                              ;   in Loop: Header=BB99_30 Depth=1
	s_or_b64 exec, exec, s[6:7]
	v_add_f32_e32 v15, v32, v33
	v_add_f32_e32 v17, v17, v15
	v_lshlrev_b32_e32 v15, 16, v34
	v_and_or_b32 v1, v1, s15, v15
	v_lshlrev_b32_e32 v8, 16, v8
	v_lshlrev_b32_e32 v7, 16, v7
	v_and_or_b32 v2, v2, s15, v8
	v_and_or_b32 v3, v3, s15, v7
	;;#ASMSTART
	v_pk_mul_f16 v1, v28, v1;

	;;#ASMEND
	;;#ASMSTART
	v_pk_mul_f16 v2, v29, v2;

	;;#ASMEND
	;;#ASMSTART
	v_pk_mul_f16 v3, v30, v3;

	;;#ASMEND
	;;#ASMSTART
	v_pk_mul_f16 v4, v31, v4;

	;;#ASMEND
	;;#ASMSTART
	v_pk_add_f16 v1, v1, v2;

	;;#ASMEND
	;;#ASMSTART
	v_pk_add_f16 v1, v1, v3;

	;;#ASMEND
	;; [unrolled: 4-line block ×3, first 2 shown]
	v_lshrrev_b32_e32 v2, 16, v1
	v_and_b32_e32 v1, 0xffff, v1
	v_add_u32_e32 v13, 2, v13
	;;#ASMSTART
	v_cvt_f32_f16 v1, v1;
	;;#ASMEND
	v_cmp_le_i32_e32 vcc, s12, v13
	;;#ASMSTART
	v_cvt_f32_f16 v2, v2;
	;;#ASMEND
	v_add_f32_e32 v1, v1, v2
	s_or_b64 s[4:5], vcc, s[4:5]
	v_add_co_u32_e32 v5, vcc, 8, v5
	v_add_f32_e32 v16, v16, v1
	v_add_u32_e32 v20, 64, v20
	v_add_u32_e32 v21, 0x100, v21
	v_addc_co_u32_e32 v6, vcc, 0, v6, vcc
	s_andn2_b64 exec, exec, s[4:5]
	s_cbranch_execz .LBB99_34
.LBB99_30:                              ; =>This Inner Loop Header: Depth=1
	global_load_dword v7, v[5:6], off
	ds_read2_b64 v[1:4], v21 offset1:1
	ds_read2_b64 v[22:25], v21 offset0:2 offset1:3
	v_add_u32_e32 v15, -7, v20
	v_add_u32_e32 v27, -6, v20
	s_waitcnt lgkmcnt(1)
	;;#ASMSTART
	v_cvt_f16_f32 v28, v1;

	;;#ASMEND
	;;#ASMSTART
	v_cvt_f16_f32 v29, v2;

	;;#ASMEND
	;; [unrolled: 4-line block ×4, first 2 shown]
	s_waitcnt lgkmcnt(0)
	;;#ASMSTART
	v_cvt_f16_f32 v32, v22;

	;;#ASMEND
	;;#ASMSTART
	v_cvt_f16_f32 v33, v23;

	;;#ASMEND
	;; [unrolled: 4-line block ×4, first 2 shown]
	v_add_u32_e32 v26, -5, v20
	v_add_u32_e32 v24, -4, v20
	;; [unrolled: 1-line block ×5, first 2 shown]
	s_waitcnt vmcnt(0)
	v_mad_i64_i32 v[1:2], s[0:1], v7, s13, 0
	v_cmp_eq_u32_e64 s[0:1], s14, v13
	v_lshlrev_b64 v[1:2], 1, v[1:2]
	v_add_co_u32_e32 v7, vcc, v18, v1
	v_addc_co_u32_e32 v8, vcc, v19, v2, vcc
	global_load_dwordx4 v[1:4], v[7:8], off
	s_waitcnt vmcnt(0)
	v_lshrrev_b32_e32 v38, 16, v1
	v_lshrrev_b32_e32 v37, 16, v2
	;; [unrolled: 1-line block ×3, first 2 shown]
	s_and_saveexec_b64 s[6:7], s[0:1]
	s_cbranch_execz .LBB99_32
; %bb.31:                               ;   in Loop: Header=BB99_30 Depth=1
	v_cmp_gt_i32_e32 vcc, s33, v15
	v_cndmask_b32_e32 v1, 0, v1, vcc
	v_cmp_gt_i32_e32 vcc, s33, v27
	v_cndmask_b32_e32 v38, 0, v38, vcc
	;; [unrolled: 2-line block ×6, first 2 shown]
	v_cmp_gt_i32_e32 vcc, s33, v25
	v_cndmask_b32_sdwa v39, v14, v4, vcc dst_sel:DWORD dst_unused:UNUSED_PAD src0_sel:DWORD src1_sel:WORD_0
	v_and_b32_e32 v4, 0xffff0000, v4
	v_cmp_gt_i32_e32 vcc, s33, v20
	v_cndmask_b32_e32 v4, 0, v4, vcc
	v_or_b32_e32 v4, v39, v4
.LBB99_32:                              ;   in Loop: Header=BB99_30 Depth=1
	s_or_b64 exec, exec, s[6:7]
	v_and_b32_e32 v28, 0xffff, v28
	v_lshl_or_b32 v28, v29, 16, v28
	v_and_b32_e32 v29, 0xffff, v30
	v_and_b32_e32 v30, 0xffff, v32
	v_lshlrev_b32_e32 v32, 16, v38
	v_and_or_b32 v1, v1, s15, v32
	v_lshlrev_b32_e32 v32, 16, v37
	v_and_or_b32 v2, v2, s15, v32
	v_lshlrev_b32_e32 v32, 16, v36
	v_lshl_or_b32 v29, v31, 16, v29
	v_and_b32_e32 v31, 0xffff, v34
	v_and_or_b32 v3, v3, s15, v32
	;;#ASMSTART
	v_pk_mul_f16 v1, v28, v1;

	;;#ASMEND
	v_lshl_or_b32 v30, v33, 16, v30
	v_lshl_or_b32 v31, v35, 16, v31
	;;#ASMSTART
	v_pk_mul_f16 v2, v29, v2;

	;;#ASMEND
	;;#ASMSTART
	v_pk_mul_f16 v3, v30, v3;

	;;#ASMEND
	;;#ASMSTART
	v_pk_mul_f16 v4, v31, v4;

	;;#ASMEND
	;;#ASMSTART
	v_pk_add_f16 v1, v1, v2;

	;;#ASMEND
	;;#ASMSTART
	v_pk_add_f16 v1, v1, v3;

	;;#ASMEND
	;; [unrolled: 4-line block ×3, first 2 shown]
	v_lshrrev_b32_e32 v2, 16, v1
	v_and_b32_e32 v1, 0xffff, v1
	;;#ASMSTART
	v_cvt_f32_f16 v32, v1;
	;;#ASMEND
	;;#ASMSTART
	v_cvt_f32_f16 v33, v2;
	;;#ASMEND
	global_load_dwordx4 v[1:4], v[7:8], off offset:1024
	s_waitcnt vmcnt(0)
	v_lshrrev_b32_e32 v34, 16, v1
	v_lshrrev_b32_e32 v8, 16, v2
	;; [unrolled: 1-line block ×3, first 2 shown]
	s_and_saveexec_b64 s[6:7], s[0:1]
	s_cbranch_execz .LBB99_29
; %bb.33:                               ;   in Loop: Header=BB99_30 Depth=1
	v_cmp_gt_i32_e32 vcc, s33, v15
	v_cndmask_b32_e32 v1, 0, v1, vcc
	v_cmp_gt_i32_e32 vcc, s33, v27
	v_cndmask_b32_e32 v34, 0, v34, vcc
	;; [unrolled: 2-line block ×6, first 2 shown]
	v_cmp_gt_i32_e32 vcc, s33, v25
	v_cndmask_b32_sdwa v15, v14, v4, vcc dst_sel:DWORD dst_unused:UNUSED_PAD src0_sel:DWORD src1_sel:WORD_0
	v_and_b32_e32 v4, 0xffff0000, v4
	v_cmp_gt_i32_e32 vcc, s33, v20
	v_cndmask_b32_e32 v4, 0, v4, vcc
	v_or_b32_e32 v4, v15, v4
	s_branch .LBB99_29
.LBB99_34:
	s_or_b64 exec, exec, s[4:5]
.LBB99_35:
	s_or_b64 exec, exec, s[2:3]
	ds_bpermute_b32 v1, v10, v17
	ds_bpermute_b32 v2, v10, v16
	v_and_b32_e32 v3, 0x3c3, v0
	v_cmp_eq_u32_e32 vcc, 64, v3
	s_waitcnt lgkmcnt(0)
	v_add_f32_e32 v1, v17, v1
	v_add_f32_e32 v4, v16, v2
	ds_bpermute_b32 v2, v11, v1
	ds_bpermute_b32 v5, v11, v4
	s_waitcnt lgkmcnt(0)
	s_barrier
	v_add_f32_e32 v2, v1, v2
	v_add_f32_e32 v1, v4, v5
	s_and_saveexec_b64 s[0:1], vcc
; %bb.36:
	v_add_u32_e32 v4, 0x50, v9
	ds_write2_b32 v4, v2, v1 offset1:16
; %bb.37:
	s_or_b64 exec, exec, s[0:1]
	v_cmp_gt_u32_e32 vcc, 64, v0
	v_lshrrev_b32_e32 v0, 2, v0
	s_waitcnt lgkmcnt(0)
	s_barrier
	s_and_saveexec_b64 s[0:1], vcc
	s_cbranch_execz .LBB99_43
; %bb.38:
	v_mov_b32_e32 v4, 0x50
	v_cmp_eq_u32_e32 vcc, 0, v12
	v_lshl_add_u32 v4, v0, 2, v4
	s_and_saveexec_b64 s[2:3], vcc
	s_cbranch_execz .LBB99_40
; %bb.39:
	ds_read_b32 v5, v4
	s_waitcnt lgkmcnt(0)
	v_add_f32_e32 v2, v2, v5
.LBB99_40:
	s_or_b64 exec, exec, s[2:3]
	s_and_saveexec_b64 s[2:3], vcc
	s_cbranch_execz .LBB99_42
; %bb.41:
	ds_read_b32 v4, v4 offset:64
	s_waitcnt lgkmcnt(0)
	v_add_f32_e32 v1, v1, v4
.LBB99_42:
	s_or_b64 exec, exec, s[2:3]
.LBB99_43:
	s_or_b64 exec, exec, s[0:1]
	v_cmp_eq_u32_e32 vcc, 0, v3
	s_barrier
	s_and_saveexec_b64 s[0:1], vcc
	s_cbranch_execz .LBB99_45
; %bb.44:
	s_mul_i32 s0, s10, s11
	s_mul_i32 s0, s0, s9
	s_lshl_b32 s0, s0, 5
	s_ashr_i32 s1, s0, 31
	s_lshl_b64 s[0:1], s[0:1], 1
	s_add_u32 s2, s18, s0
	s_mul_i32 s0, s11, s16
	s_addc_u32 s3, s19, s1
	s_ashr_i32 s1, s0, 31
	s_lshl_b64 s[0:1], s[0:1], 1
	s_add_u32 s2, s2, s0
	s_addc_u32 s3, s3, s1
	s_lshl_b32 s0, s8, 5
	s_ashr_i32 s1, s0, 31
	s_lshl_b64 s[0:1], s[0:1], 1
	s_add_u32 s0, s2, s0
	s_addc_u32 s1, s3, s1
	v_lshlrev_b32_e32 v0, 1, v0
	;;#ASMSTART
	v_cvt_f16_f32 v2, v2;

	;;#ASMEND
	global_store_short v0, v2, s[0:1]
	;;#ASMSTART
	v_cvt_f16_f32 v1, v1;

	;;#ASMEND
	global_store_short v0, v1, s[0:1] offset:32
.LBB99_45:
	s_endpgm
	.section	.rodata,"a",@progbits
	.p2align	6, 0x0
	.amdhsa_kernel _ZN4vllm25paged_attention_v1_kernelIttLi32ELi32ELi128ELNS_18Fp8KVCacheDataTypeE0ELb0EEEvPT_PKS2_PKT0_S8_ifPKiSA_iPKfiiiSC_SC_iiiii
		.amdhsa_group_segment_fixed_size 80
		.amdhsa_private_segment_fixed_size 0
		.amdhsa_kernarg_size 384
		.amdhsa_user_sgpr_count 6
		.amdhsa_user_sgpr_private_segment_buffer 1
		.amdhsa_user_sgpr_dispatch_ptr 0
		.amdhsa_user_sgpr_queue_ptr 0
		.amdhsa_user_sgpr_kernarg_segment_ptr 1
		.amdhsa_user_sgpr_dispatch_id 0
		.amdhsa_user_sgpr_flat_scratch_init 0
		.amdhsa_user_sgpr_private_segment_size 0
		.amdhsa_uses_dynamic_stack 0
		.amdhsa_system_sgpr_private_segment_wavefront_offset 0
		.amdhsa_system_sgpr_workgroup_id_x 1
		.amdhsa_system_sgpr_workgroup_id_y 1
		.amdhsa_system_sgpr_workgroup_id_z 1
		.amdhsa_system_sgpr_workgroup_info 0
		.amdhsa_system_vgpr_workitem_id 0
		.amdhsa_next_free_vgpr 46
		.amdhsa_next_free_sgpr 34
		.amdhsa_reserve_vcc 1
		.amdhsa_reserve_flat_scratch 0
		.amdhsa_float_round_mode_32 0
		.amdhsa_float_round_mode_16_64 0
		.amdhsa_float_denorm_mode_32 3
		.amdhsa_float_denorm_mode_16_64 3
		.amdhsa_dx10_clamp 1
		.amdhsa_ieee_mode 1
		.amdhsa_fp16_overflow 0
		.amdhsa_exception_fp_ieee_invalid_op 0
		.amdhsa_exception_fp_denorm_src 0
		.amdhsa_exception_fp_ieee_div_zero 0
		.amdhsa_exception_fp_ieee_overflow 0
		.amdhsa_exception_fp_ieee_underflow 0
		.amdhsa_exception_fp_ieee_inexact 0
		.amdhsa_exception_int_div_zero 0
	.end_amdhsa_kernel
	.section	.text._ZN4vllm25paged_attention_v1_kernelIttLi32ELi32ELi128ELNS_18Fp8KVCacheDataTypeE0ELb0EEEvPT_PKS2_PKT0_S8_ifPKiSA_iPKfiiiSC_SC_iiiii,"axG",@progbits,_ZN4vllm25paged_attention_v1_kernelIttLi32ELi32ELi128ELNS_18Fp8KVCacheDataTypeE0ELb0EEEvPT_PKS2_PKT0_S8_ifPKiSA_iPKfiiiSC_SC_iiiii,comdat
.Lfunc_end99:
	.size	_ZN4vllm25paged_attention_v1_kernelIttLi32ELi32ELi128ELNS_18Fp8KVCacheDataTypeE0ELb0EEEvPT_PKS2_PKT0_S8_ifPKiSA_iPKfiiiSC_SC_iiiii, .Lfunc_end99-_ZN4vllm25paged_attention_v1_kernelIttLi32ELi32ELi128ELNS_18Fp8KVCacheDataTypeE0ELb0EEEvPT_PKS2_PKT0_S8_ifPKiSA_iPKfiiiSC_SC_iiiii
                                        ; -- End function
	.set _ZN4vllm25paged_attention_v1_kernelIttLi32ELi32ELi128ELNS_18Fp8KVCacheDataTypeE0ELb0EEEvPT_PKS2_PKT0_S8_ifPKiSA_iPKfiiiSC_SC_iiiii.num_vgpr, 46
	.set _ZN4vllm25paged_attention_v1_kernelIttLi32ELi32ELi128ELNS_18Fp8KVCacheDataTypeE0ELb0EEEvPT_PKS2_PKT0_S8_ifPKiSA_iPKfiiiSC_SC_iiiii.num_agpr, 0
	.set _ZN4vllm25paged_attention_v1_kernelIttLi32ELi32ELi128ELNS_18Fp8KVCacheDataTypeE0ELb0EEEvPT_PKS2_PKT0_S8_ifPKiSA_iPKfiiiSC_SC_iiiii.numbered_sgpr, 34
	.set _ZN4vllm25paged_attention_v1_kernelIttLi32ELi32ELi128ELNS_18Fp8KVCacheDataTypeE0ELb0EEEvPT_PKS2_PKT0_S8_ifPKiSA_iPKfiiiSC_SC_iiiii.num_named_barrier, 0
	.set _ZN4vllm25paged_attention_v1_kernelIttLi32ELi32ELi128ELNS_18Fp8KVCacheDataTypeE0ELb0EEEvPT_PKS2_PKT0_S8_ifPKiSA_iPKfiiiSC_SC_iiiii.private_seg_size, 0
	.set _ZN4vllm25paged_attention_v1_kernelIttLi32ELi32ELi128ELNS_18Fp8KVCacheDataTypeE0ELb0EEEvPT_PKS2_PKT0_S8_ifPKiSA_iPKfiiiSC_SC_iiiii.uses_vcc, 1
	.set _ZN4vllm25paged_attention_v1_kernelIttLi32ELi32ELi128ELNS_18Fp8KVCacheDataTypeE0ELb0EEEvPT_PKS2_PKT0_S8_ifPKiSA_iPKfiiiSC_SC_iiiii.uses_flat_scratch, 0
	.set _ZN4vllm25paged_attention_v1_kernelIttLi32ELi32ELi128ELNS_18Fp8KVCacheDataTypeE0ELb0EEEvPT_PKS2_PKT0_S8_ifPKiSA_iPKfiiiSC_SC_iiiii.has_dyn_sized_stack, 0
	.set _ZN4vllm25paged_attention_v1_kernelIttLi32ELi32ELi128ELNS_18Fp8KVCacheDataTypeE0ELb0EEEvPT_PKS2_PKT0_S8_ifPKiSA_iPKfiiiSC_SC_iiiii.has_recursion, 0
	.set _ZN4vllm25paged_attention_v1_kernelIttLi32ELi32ELi128ELNS_18Fp8KVCacheDataTypeE0ELb0EEEvPT_PKS2_PKT0_S8_ifPKiSA_iPKfiiiSC_SC_iiiii.has_indirect_call, 0
	.section	.AMDGPU.csdata,"",@progbits
; Kernel info:
; codeLenInByte = 3708
; TotalNumSgprs: 38
; NumVgprs: 46
; ScratchSize: 0
; MemoryBound: 0
; FloatMode: 240
; IeeeMode: 1
; LDSByteSize: 80 bytes/workgroup (compile time only)
; SGPRBlocks: 4
; VGPRBlocks: 11
; NumSGPRsForWavesPerEU: 38
; NumVGPRsForWavesPerEU: 46
; Occupancy: 5
; WaveLimiterHint : 1
; COMPUTE_PGM_RSRC2:SCRATCH_EN: 0
; COMPUTE_PGM_RSRC2:USER_SGPR: 6
; COMPUTE_PGM_RSRC2:TRAP_HANDLER: 0
; COMPUTE_PGM_RSRC2:TGID_X_EN: 1
; COMPUTE_PGM_RSRC2:TGID_Y_EN: 1
; COMPUTE_PGM_RSRC2:TGID_Z_EN: 1
; COMPUTE_PGM_RSRC2:TIDIG_COMP_CNT: 0
	.section	.text._ZN4vllm25paged_attention_v1_kernelIttLi64ELi32ELi128ELNS_18Fp8KVCacheDataTypeE0ELb0EEEvPT_PKS2_PKT0_S8_ifPKiSA_iPKfiiiSC_SC_iiiii,"axG",@progbits,_ZN4vllm25paged_attention_v1_kernelIttLi64ELi32ELi128ELNS_18Fp8KVCacheDataTypeE0ELb0EEEvPT_PKS2_PKT0_S8_ifPKiSA_iPKfiiiSC_SC_iiiii,comdat
	.protected	_ZN4vllm25paged_attention_v1_kernelIttLi64ELi32ELi128ELNS_18Fp8KVCacheDataTypeE0ELb0EEEvPT_PKS2_PKT0_S8_ifPKiSA_iPKfiiiSC_SC_iiiii ; -- Begin function _ZN4vllm25paged_attention_v1_kernelIttLi64ELi32ELi128ELNS_18Fp8KVCacheDataTypeE0ELb0EEEvPT_PKS2_PKT0_S8_ifPKiSA_iPKfiiiSC_SC_iiiii
	.globl	_ZN4vllm25paged_attention_v1_kernelIttLi64ELi32ELi128ELNS_18Fp8KVCacheDataTypeE0ELb0EEEvPT_PKS2_PKT0_S8_ifPKiSA_iPKfiiiSC_SC_iiiii
	.p2align	8
	.type	_ZN4vllm25paged_attention_v1_kernelIttLi64ELi32ELi128ELNS_18Fp8KVCacheDataTypeE0ELb0EEEvPT_PKS2_PKT0_S8_ifPKiSA_iPKfiiiSC_SC_iiiii,@function
_ZN4vllm25paged_attention_v1_kernelIttLi64ELi32ELi128ELNS_18Fp8KVCacheDataTypeE0ELb0EEEvPT_PKS2_PKT0_S8_ifPKiSA_iPKfiiiSC_SC_iiiii: ; @_ZN4vllm25paged_attention_v1_kernelIttLi64ELi32ELi128ELNS_18Fp8KVCacheDataTypeE0ELb0EEEvPT_PKS2_PKT0_S8_ifPKiSA_iPKfiiiSC_SC_iiiii
; %bb.0:
	s_load_dword s9, s[4:5], 0x80
	s_load_dwordx2 s[0:1], s[4:5], 0x30
	s_load_dwordx2 s[26:27], s[4:5], 0x20
	s_mov_b32 s10, s7
	s_ashr_i32 s11, s7, 31
	s_lshl_b64 s[2:3], s[10:11], 2
	s_waitcnt lgkmcnt(0)
	s_add_u32 s0, s0, s2
	s_addc_u32 s1, s1, s3
	s_abs_i32 s2, s26
	v_cvt_f32_u32_e32 v1, s2
	s_sub_i32 s11, 0, s2
	s_abs_i32 s7, s9
	s_xor_b32 s3, s9, s26
	v_rcp_iflag_f32_e32 v1, v1
	s_ashr_i32 s3, s3, 31
	s_mov_b32 s26, 0
	v_mul_f32_e32 v1, 0x4f7ffffe, v1
	v_cvt_u32_f32_e32 v1, v1
	v_readfirstlane_b32 s12, v1
	s_mul_i32 s11, s11, s12
	s_mul_hi_u32 s11, s12, s11
	s_add_i32 s12, s12, s11
	s_mul_hi_u32 s11, s7, s12
	s_mul_i32 s12, s11, s2
	s_sub_i32 s7, s7, s12
	s_add_i32 s12, s11, 1
	s_sub_i32 s13, s7, s2
	s_cmp_ge_u32 s7, s2
	s_cselect_b32 s11, s12, s11
	s_cselect_b32 s7, s13, s7
	s_add_i32 s12, s11, 1
	s_cmp_ge_u32 s7, s2
	s_cselect_b32 s2, s12, s11
	s_xor_b32 s2, s2, s3
	s_sub_i32 s12, s2, s3
	s_abs_i32 s11, s12
	v_cvt_f32_u32_e32 v1, s11
	s_load_dwordx2 s[2:3], s[4:5], 0x40
	s_sub_i32 s7, 0, s11
	s_abs_i32 s18, s6
	v_rcp_iflag_f32_e32 v1, v1
	v_mul_f32_e32 v1, 0x4f7ffffe, v1
	v_cvt_u32_f32_e32 v1, v1
	v_readfirstlane_b32 s13, v1
	s_mul_i32 s7, s7, s13
	s_mul_hi_u32 s7, s13, s7
	s_add_i32 s13, s13, s7
	s_waitcnt lgkmcnt(0)
	s_cmp_eq_u64 s[2:3], 0
	s_mul_hi_u32 s19, s18, s13
	s_cbranch_scc1 .LBB100_2
; %bb.1:
	s_ashr_i32 s7, s6, 31
	s_lshl_b64 s[14:15], s[6:7], 2
	s_add_u32 s2, s2, s14
	s_addc_u32 s3, s3, s15
	s_load_dword s26, s[2:3], 0x0
.LBB100_2:
	s_load_dword s33, s[0:1], 0x0
	s_ashr_i32 s3, s12, 31
	s_load_dwordx4 s[12:15], s[4:5], 0x48
	s_ashr_i32 s2, s6, 31
	v_and_b32_e32 v1, 1, v0
	s_lshl_b32 s16, s6, 6
	v_cmp_gt_u32_e32 vcc, 16, v0
	v_lshlrev_b32_e32 v16, 3, v0
	s_and_saveexec_b64 s[0:1], vcc
	s_cbranch_execz .LBB100_4
; %bb.3:
	s_load_dwordx2 s[6:7], s[4:5], 0x8
	s_waitcnt lgkmcnt(0)
	s_mul_i32 s20, s12, s10
	s_ashr_i32 s21, s20, 31
	s_lshl_b64 s[20:21], s[20:21], 1
	v_lshlrev_b32_e32 v4, 2, v0
	s_add_u32 s12, s6, s20
	s_addc_u32 s15, s7, s21
	s_ashr_i32 s17, s16, 31
	s_lshl_b64 s[6:7], s[16:17], 1
	s_add_u32 s6, s12, s6
	s_addc_u32 s7, s15, s7
	global_load_dwordx2 v[2:3], v16, s[6:7]
	v_and_b32_e32 v4, 0xff8, v4
	v_lshl_add_u32 v4, v1, 6, v4
	s_waitcnt vmcnt(0)
	ds_write_b64 v4, v[2:3]
.LBB100_4:
	s_or_b64 exec, exec, s[0:1]
	s_waitcnt lgkmcnt(0)
	s_add_i32 s1, s33, 31
	s_ashr_i32 s6, s1, 31
	s_lshr_b32 s6, s6, 27
	s_add_i32 s1, s1, s6
	s_ashr_i32 s12, s1, 5
	s_xor_b32 s1, s2, s3
	s_mul_i32 s2, s19, s11
	s_sub_i32 s2, s18, s2
	s_add_i32 s3, s19, 1
	s_sub_i32 s6, s2, s11
	s_load_dwordx2 s[20:21], s[4:5], 0x28
	s_load_dword s0, s[4:5], 0x38
	s_cmp_ge_u32 s2, s11
	s_cselect_b32 s3, s3, s19
	s_cselect_b32 s2, s6, s2
	s_add_i32 s6, s3, 1
	s_cmp_ge_u32 s2, s11
	s_cselect_b32 s2, s6, s3
	v_lshrrev_b32_e32 v15, 6, v0
	s_xor_b32 s2, s2, s1
	s_waitcnt lgkmcnt(0)
	s_mul_i32 s22, s0, s10
	s_sub_i32 s15, s2, s1
	s_ashr_i32 s23, s22, 31
	v_cmp_gt_i32_e64 s[0:1], s12, v15
	v_cmp_le_i32_e32 vcc, s12, v15
	v_mbcnt_lo_u32_b32 v3, -1, 0
	s_barrier
                                        ; implicit-def: $vgpr18
                                        ; implicit-def: $vgpr19
                                        ; implicit-def: $vgpr20
	s_and_saveexec_b64 s[2:3], vcc
	s_xor_b64 s[2:3], exec, s[2:3]
; %bb.5:
	v_mbcnt_hi_u32_b32 v18, -1, v3
	v_and_b32_e32 v19, 64, v18
	v_add_u32_e32 v20, 64, v19
                                        ; implicit-def: $vgpr1
                                        ; implicit-def: $vgpr3
; %bb.6:
	s_or_saveexec_b64 s[6:7], s[2:3]
	s_load_dwordx2 s[18:19], s[4:5], 0x0
	s_load_dwordx2 s[24:25], s[4:5], 0x18
	s_load_dword s11, s[4:5], 0x88
	v_mov_b32_e32 v21, 0xff7fffff
	s_mul_i32 s14, s15, s14
	v_lshrrev_b32_e32 v17, 4, v0
	s_xor_b64 exec, exec, s[6:7]
	s_cbranch_execz .LBB100_12
; %bb.7:
	s_load_dwordx2 s[2:3], s[4:5], 0x10
	s_ashr_i32 s15, s14, 31
	s_lshl_b64 s[4:5], s[14:15], 1
	v_bfe_u32 v2, v0, 1, 5
	v_lshlrev_b32_e32 v4, 4, v2
	s_waitcnt lgkmcnt(0)
	s_add_u32 s2, s2, s4
	s_addc_u32 s3, s3, s5
	v_mov_b32_e32 v5, s3
	v_add_co_u32_e32 v4, vcc, s2, v4
	v_addc_co_u32_e32 v5, vcc, 0, v5, vcc
	v_and_b32_e32 v6, 8, v16
	v_add_co_u32_e32 v22, vcc, v4, v6
	v_addc_co_u32_e32 v23, vcc, 0, v5, vcc
	v_lshlrev_b32_e32 v24, 6, v1
	v_cmp_eq_u32_e32 vcc, 0, v1
	s_sub_i32 s15, 1, s33
	v_lshlrev_b32_e32 v1, 2, v2
	s_lshl_b64 s[4:5], s[22:23], 2
	v_lshl_or_b32 v1, v15, 7, v1
	s_add_u32 s4, s20, s4
	v_add_u32_e32 v26, 0x90, v1
	v_and_b32_e32 v1, 60, v17
	s_addc_u32 s5, s21, s5
	v_mbcnt_hi_u32_b32 v18, -1, v3
	v_lshl_or_b32 v25, v15, 5, v2
	v_mov_b32_e32 v2, s5
	v_add_co_u32_e64 v1, s[4:5], s4, v1
	v_and_b32_e32 v19, 64, v18
	s_mov_b32 s17, s13
	v_cmp_neq_f32_e64 s[2:3], s26, 0
	v_addc_co_u32_e64 v2, s[4:5], 0, v2, s[4:5]
	v_mov_b32_e32 v21, 0xff7fffff
	s_mov_b64 s[28:29], 0
	v_xor_b32_e32 v27, 1, v18
	v_add_u32_e32 v20, 64, v19
	v_mov_b32_e32 v28, v15
	s_branch .LBB100_9
.LBB100_8:                              ;   in Loop: Header=BB100_9 Depth=1
	s_or_b64 exec, exec, s[30:31]
	v_add_u32_e32 v28, 2, v28
	v_cmp_le_i32_e64 s[4:5], s12, v28
	s_or_b64 s[28:29], s[4:5], s[28:29]
	v_add_co_u32_e64 v1, s[4:5], 8, v1
	v_add_u32_e32 v25, 64, v25
	v_add_u32_e32 v26, 0x100, v26
	v_addc_co_u32_e64 v2, s[4:5], 0, v2, s[4:5]
	s_andn2_b64 exec, exec, s[28:29]
	s_cbranch_execz .LBB100_11
.LBB100_9:                              ; =>This Inner Loop Header: Depth=1
	global_load_dword v3, v[1:2], off
	s_waitcnt vmcnt(0) lgkmcnt(0)
	v_mad_i64_i32 v[3:4], s[4:5], v3, s17, 0
	v_lshlrev_b64 v[3:4], 1, v[3:4]
	v_add_co_u32_e64 v3, s[4:5], v22, v3
	v_addc_co_u32_e64 v4, s[4:5], v23, v4, s[4:5]
	global_load_dwordx2 v[31:32], v[3:4], off
	global_load_dwordx2 v[41:42], v[3:4], off offset:512
	global_load_dwordx2 v[13:14], v[3:4], off offset:1024
	;; [unrolled: 1-line block ×6, first 2 shown]
	s_nop 0
	global_load_dwordx2 v[3:4], v[3:4], off offset:3584
	ds_read_b64 v[29:30], v24
	v_cmp_lt_i32_e64 s[4:5], v27, v20
	s_waitcnt lgkmcnt(0)
	v_lshrrev_b32_e32 v33, 16, v29
	v_and_b32_e32 v29, 0xffff, v29
	v_lshrrev_b32_e32 v34, 16, v30
	v_and_b32_e32 v35, 0xffff, v30
	;;#ASMSTART
	v_cvt_f32_f16 v30, v29;
	;;#ASMEND
	;;#ASMSTART
	v_cvt_f32_f16 v29, v33;
	;;#ASMEND
	s_waitcnt vmcnt(7)
	v_lshrrev_b32_e32 v38, 16, v31
	v_and_b32_e32 v40, 0xffff, v31
	v_lshrrev_b32_e32 v37, 16, v32
	v_and_b32_e32 v39, 0xffff, v32
	;;#ASMSTART
	v_cvt_f32_f16 v40, v40;
	;;#ASMEND
	;;#ASMSTART
	v_cvt_f32_f16 v48, v38;
	;;#ASMEND
	;; [unrolled: 3-line block ×6, first 2 shown]
	ds_read_b64 v[37:38], v24 offset:8
	s_waitcnt vmcnt(6)
	v_and_b32_e32 v36, 0xffff, v41
	v_lshrrev_b32_e32 v31, 16, v41
	v_and_b32_e32 v32, 0xffff, v42
	v_lshrrev_b32_e32 v33, 16, v42
	s_waitcnt vmcnt(5)
	v_and_b32_e32 v43, 0xffff, v13
	v_lshrrev_b32_e32 v53, 16, v13
	v_and_b32_e32 v46, 0xffff, v14
	v_lshrrev_b32_e32 v47, 16, v14
	;; [unrolled: 5-line block ×4, first 2 shown]
	s_waitcnt vmcnt(2)
	v_and_b32_e32 v9, 0xffff, v7
	v_lshrrev_b32_e32 v10, 16, v7
	s_waitcnt lgkmcnt(0)
	v_and_b32_e32 v7, 0xffff, v37
	v_lshrrev_b32_e32 v34, 16, v8
	v_and_b32_e32 v35, 0xffff, v8
	v_lshrrev_b32_e32 v8, 16, v37
	;;#ASMSTART
	v_cvt_f32_f16 v7, v7;
	;;#ASMEND
	;;#ASMSTART
	v_cvt_f32_f16 v52, v8;
	;;#ASMEND
	;; [unrolled: 3-line block ×3, first 2 shown]
	v_mul_f32_e32 v7, v7, v8
	v_fmac_f32_e32 v7, v30, v40
	s_waitcnt vmcnt(0)
	v_lshrrev_b32_e32 v37, 16, v4
	v_and_b32_e32 v55, 0xffff, v4
	v_lshrrev_b32_e32 v40, 16, v38
	v_and_b32_e32 v4, 0xffff, v38
	v_and_b32_e32 v8, 0xffff, v5
	v_lshrrev_b32_e32 v36, 16, v5
	v_and_b32_e32 v5, 0xffff, v3
	v_lshrrev_b32_e32 v54, 16, v3
	;;#ASMSTART
	v_cvt_f32_f16 v3, v31;
	;;#ASMEND
	;;#ASMSTART
	v_cvt_f32_f16 v4, v4;
	;;#ASMEND
	;; [unrolled: 3-line block ×5, first 2 shown]
	ds_read_b64 v[31:32], v24 offset:16
	v_mul_f32_e32 v4, v4, v40
	v_mul_f32_e32 v3, v52, v3
	;; [unrolled: 1-line block ×3, first 2 shown]
	v_fmac_f32_e32 v4, v49, v39
	s_waitcnt lgkmcnt(0)
	v_and_b32_e32 v38, 0xffff, v31
	v_lshrrev_b32_e32 v31, 16, v31
	v_lshrrev_b32_e32 v49, 16, v32
	v_and_b32_e32 v32, 0xffff, v32
	v_fmac_f32_e32 v3, v29, v48
	;;#ASMSTART
	v_cvt_f32_f16 v38, v38;
	;;#ASMEND
	;;#ASMSTART
	v_cvt_f32_f16 v39, v31;
	;;#ASMEND
	;; [unrolled: 3-line block ×8, first 2 shown]
	ds_read_b64 v[31:32], v24 offset:24
	v_fmac_f32_e32 v7, v38, v40
	v_fmac_f32_e32 v3, v39, v43
	;; [unrolled: 1-line block ×3, first 2 shown]
	v_lshrrev_b32_e32 v30, 16, v6
	s_waitcnt lgkmcnt(0)
	v_and_b32_e32 v38, 0xffff, v31
	v_lshrrev_b32_e32 v39, 16, v31
	v_lshrrev_b32_e32 v43, 16, v32
	v_and_b32_e32 v40, 0xffff, v32
	;;#ASMSTART
	v_cvt_f32_f16 v31, v38;
	;;#ASMEND
	;;#ASMSTART
	v_cvt_f32_f16 v32, v39;
	;;#ASMEND
	;; [unrolled: 3-line block ×8, first 2 shown]
	ds_read_b64 v[13:14], v24 offset:32
	v_fmac_f32_e32 v7, v31, v38
	v_fmac_f32_e32 v3, v32, v39
	;; [unrolled: 1-line block ×3, first 2 shown]
	v_and_b32_e32 v6, 0xffff, v6
	s_waitcnt lgkmcnt(0)
	v_and_b32_e32 v31, 0xffff, v13
	v_lshrrev_b32_e32 v32, 16, v13
	v_lshrrev_b32_e32 v39, 16, v14
	v_and_b32_e32 v38, 0xffff, v14
	;;#ASMSTART
	v_cvt_f32_f16 v13, v31;
	;;#ASMEND
	;;#ASMSTART
	v_cvt_f32_f16 v14, v32;
	;;#ASMEND
	;; [unrolled: 3-line block ×8, first 2 shown]
	ds_read_b64 v[11:12], v24 offset:40
	v_fmac_f32_e32 v7, v13, v31
	v_fmac_f32_e32 v3, v14, v32
	;; [unrolled: 1-line block ×4, first 2 shown]
	s_waitcnt lgkmcnt(0)
	v_and_b32_e32 v13, 0xffff, v11
	v_lshrrev_b32_e32 v14, 16, v11
	v_lshrrev_b32_e32 v32, 16, v12
	v_and_b32_e32 v31, 0xffff, v12
	;;#ASMSTART
	v_cvt_f32_f16 v11, v13;
	;;#ASMEND
	;;#ASMSTART
	v_cvt_f32_f16 v12, v14;
	;;#ASMEND
	;; [unrolled: 3-line block ×8, first 2 shown]
	ds_read_b64 v[9:10], v24 offset:48
	v_fmac_f32_e32 v7, v11, v13
	v_fmac_f32_e32 v3, v12, v14
	;; [unrolled: 1-line block ×4, first 2 shown]
	s_waitcnt lgkmcnt(0)
	v_lshrrev_b32_e32 v11, 16, v9
	v_and_b32_e32 v9, 0xffff, v9
	v_lshrrev_b32_e32 v31, 16, v10
	v_and_b32_e32 v14, 0xffff, v10
	;;#ASMSTART
	v_cvt_f32_f16 v10, v9;
	;;#ASMEND
	;;#ASMSTART
	v_cvt_f32_f16 v11, v11;
	;;#ASMEND
	;; [unrolled: 3-line block ×8, first 2 shown]
	ds_read_b64 v[8:9], v24 offset:56
	v_fmac_f32_e32 v33, v43, v45
	v_fmac_f32_e32 v33, v39, v41
	;; [unrolled: 1-line block ×5, first 2 shown]
	s_waitcnt lgkmcnt(0)
	v_and_b32_e32 v6, 0xffff, v8
	v_fmac_f32_e32 v33, v32, v34
	v_lshrrev_b32_e32 v10, 16, v8
	v_lshrrev_b32_e32 v11, 16, v9
	v_and_b32_e32 v12, 0xffff, v9
	;;#ASMSTART
	v_cvt_f32_f16 v6, v6;
	;;#ASMEND
	;;#ASMSTART
	v_cvt_f32_f16 v8, v10;
	;;#ASMEND
	;; [unrolled: 3-line block ×4, first 2 shown]
	v_fmac_f32_e32 v7, v6, v5
	v_fmac_f32_e32 v3, v8, v9
	;; [unrolled: 1-line block ×3, first 2 shown]
	;;#ASMSTART
	v_cvt_f32_f16 v10, v12;
	;;#ASMEND
	;;#ASMSTART
	v_cvt_f32_f16 v11, v11;
	;;#ASMEND
	;; [unrolled: 3-line block ×3, first 2 shown]
	v_fmac_f32_e32 v4, v10, v12
	v_add_f32_e32 v3, v7, v3
	v_cndmask_b32_e64 v29, v18, v27, s[4:5]
	;;#ASMSTART
	v_cvt_f32_f16 v13, v37;
	;;#ASMEND
	v_fmac_f32_e32 v33, v11, v13
	v_add_f32_e32 v3, v3, v4
	v_add_f32_e32 v3, v33, v3
	v_lshlrev_b32_e32 v4, 2, v29
	ds_bpermute_b32 v4, v4, v3
	s_and_saveexec_b64 s[30:31], vcc
	s_cbranch_execz .LBB100_8
; %bb.10:                               ;   in Loop: Header=BB100_9 Depth=1
	v_add_u32_e32 v5, s15, v25
	v_cvt_f32_i32_e32 v5, v5
	s_waitcnt lgkmcnt(0)
	v_add_f32_e32 v3, v3, v4
	v_cmp_gt_i32_e64 s[4:5], s33, v25
	v_max_f32_e32 v4, v21, v21
	v_mul_f32_e32 v5, s26, v5
	v_cndmask_b32_e64 v5, 0, v5, s[2:3]
	v_fmac_f32_e32 v5, s27, v3
	v_cndmask_b32_e64 v3, 0, v5, s[4:5]
	ds_write_b32 v26, v3
	v_max_f32_e32 v3, v4, v5
	v_cndmask_b32_e64 v21, v21, v3, s[4:5]
	s_branch .LBB100_8
.LBB100_11:
	s_or_b64 exec, exec, s[28:29]
.LBB100_12:
	s_or_b64 exec, exec, s[6:7]
	v_xor_b32_e32 v1, 32, v18
	v_cmp_lt_i32_e32 vcc, v1, v20
	v_cndmask_b32_e32 v1, v18, v1, vcc
	v_lshlrev_b32_e32 v1, 2, v1
	ds_bpermute_b32 v2, v1, v21
	s_waitcnt lgkmcnt(0)
	v_xor_b32_e32 v4, 16, v18
	v_max_f32_e32 v3, v21, v21
	v_cmp_lt_i32_e32 vcc, v4, v20
	v_xor_b32_e32 v5, 8, v18
	v_max_f32_e32 v2, v2, v2
	v_max_f32_e32 v3, v3, v2
	v_cndmask_b32_e32 v2, v18, v4, vcc
	v_lshlrev_b32_e32 v2, 2, v2
	ds_bpermute_b32 v4, v2, v3
	v_cmp_lt_i32_e32 vcc, v5, v20
	v_xor_b32_e32 v6, 4, v18
	v_xor_b32_e32 v7, 2, v18
	v_and_b32_e32 v9, 63, v0
	s_waitcnt lgkmcnt(0)
	v_max_f32_e32 v4, v4, v4
	v_max_f32_e32 v4, v3, v4
	v_cndmask_b32_e32 v3, v18, v5, vcc
	v_lshlrev_b32_e32 v3, 2, v3
	ds_bpermute_b32 v5, v3, v4
	v_cmp_lt_i32_e32 vcc, v6, v20
	s_waitcnt lgkmcnt(0)
	v_max_f32_e32 v5, v5, v5
	v_max_f32_e32 v5, v4, v5
	v_cndmask_b32_e32 v4, v18, v6, vcc
	v_lshlrev_b32_e32 v4, 2, v4
	ds_bpermute_b32 v6, v4, v5
	v_cmp_lt_i32_e32 vcc, v7, v20
	s_waitcnt lgkmcnt(0)
	v_max_f32_e32 v6, v6, v6
	v_max_f32_e32 v6, v5, v6
	v_cndmask_b32_e32 v5, v18, v7, vcc
	v_lshlrev_b32_e32 v10, 2, v5
	ds_bpermute_b32 v7, v10, v6
	v_cmp_eq_u32_e32 vcc, 0, v9
	v_lshlrev_b32_e32 v5, 2, v15
	s_and_saveexec_b64 s[2:3], vcc
	s_cbranch_execz .LBB100_14
; %bb.13:
	s_waitcnt lgkmcnt(0)
	v_max_f32_e32 v7, v7, v7
	v_max_f32_e32 v6, v6, v6
	;; [unrolled: 1-line block ×3, first 2 shown]
	ds_write_b32 v5, v6 offset:128
.LBB100_14:
	s_or_b64 exec, exec, s[2:3]
	v_cmp_gt_u32_e64 s[2:3], 2, v9
	s_waitcnt lgkmcnt(0)
	v_mov_b32_e32 v7, 0xff7fffff
	v_lshlrev_b32_e32 v6, 2, v9
	s_barrier
	s_and_saveexec_b64 s[4:5], s[2:3]
; %bb.15:
	ds_read_b32 v7, v6 offset:128
; %bb.16:
	s_or_b64 exec, exec, s[4:5]
	v_xor_b32_e32 v8, 1, v18
	v_cmp_lt_i32_e64 s[4:5], v8, v20
	v_cndmask_b32_e64 v8, v18, v8, s[4:5]
	v_lshlrev_b32_e32 v11, 2, v8
	s_waitcnt lgkmcnt(0)
	ds_bpermute_b32 v8, v11, v7
	v_max_f32_e32 v7, v7, v7
	s_lshl_b32 s4, s12, 5
	s_min_i32 s15, s4, s33
	v_cmp_gt_i32_e64 s[4:5], s15, v0
	s_waitcnt lgkmcnt(0)
	v_max_f32_e32 v8, v8, v8
	v_max_f32_e32 v7, v7, v8
	v_lshlrev_b32_e32 v8, 2, v19
	ds_bpermute_b32 v8, v8, v7
	v_mov_b32_e32 v7, 0
	s_and_saveexec_b64 s[26:27], s[4:5]
	s_cbranch_execz .LBB100_20
; %bb.17:
	v_mov_b32_e32 v7, 0x90
	v_lshl_add_u32 v12, v0, 2, v7
	v_mov_b32_e32 v7, 0
	s_mov_b64 s[28:29], 0
	v_mov_b32_e32 v13, v0
.LBB100_18:                             ; =>This Inner Loop Header: Depth=1
	ds_read_b32 v14, v12
	v_add_u32_e32 v13, 0x80, v13
	v_cmp_le_i32_e64 s[6:7], s15, v13
	s_or_b64 s[28:29], s[6:7], s[28:29]
	s_waitcnt lgkmcnt(0)
	v_sub_f32_e32 v14, v14, v8
	v_mul_f32_e32 v14, 0x3fb8aa3b, v14
	v_exp_f32_e32 v14, v14
	ds_write_b32 v12, v14
	v_add_f32_e32 v7, v7, v14
	v_add_u32_e32 v12, 0x200, v12
	s_andn2_b64 exec, exec, s[28:29]
	s_cbranch_execnz .LBB100_18
; %bb.19:
	s_or_b64 exec, exec, s[28:29]
.LBB100_20:
	s_or_b64 exec, exec, s[26:27]
	ds_bpermute_b32 v1, v1, v7
	s_waitcnt lgkmcnt(0)
	v_add_f32_e32 v1, v7, v1
	ds_bpermute_b32 v2, v2, v1
	s_waitcnt lgkmcnt(0)
	v_add_f32_e32 v1, v1, v2
	;; [unrolled: 3-line block ×6, first 2 shown]
	s_and_saveexec_b64 s[6:7], vcc
; %bb.21:
	ds_write_b32 v5, v1 offset:136
; %bb.22:
	s_or_b64 exec, exec, s[6:7]
	s_waitcnt lgkmcnt(0)
	s_barrier
	s_and_saveexec_b64 s[6:7], s[2:3]
; %bb.23:
	ds_read_b32 v1, v6 offset:136
; %bb.24:
	s_or_b64 exec, exec, s[6:7]
	s_waitcnt lgkmcnt(0)
	ds_bpermute_b32 v2, v11, v1
	v_lshlrev_b32_e32 v3, 2, v18
	s_waitcnt lgkmcnt(0)
	v_add_f32_e32 v1, v1, v2
	v_and_b32_e32 v2, 0xffffff00, v3
	ds_bpermute_b32 v1, v2, v1
	s_and_saveexec_b64 s[2:3], s[4:5]
	s_cbranch_execz .LBB100_27
; %bb.25:
	s_waitcnt lgkmcnt(0)
	v_add_f32_e32 v2, 0x358637bd, v1
	v_div_scale_f32 v1, s[4:5], v2, v2, 1.0
	v_div_scale_f32 v3, vcc, 1.0, v2, 1.0
	s_mov_b64 s[4:5], 0
	v_rcp_f32_e32 v4, v1
	v_fma_f32 v5, -v1, v4, 1.0
	v_fmac_f32_e32 v4, v5, v4
	v_mul_f32_e32 v5, v3, v4
	v_fma_f32 v6, -v1, v5, v3
	v_fmac_f32_e32 v5, v6, v4
	v_fma_f32 v1, -v1, v5, v3
	v_div_fmas_f32 v3, v1, v4, v5
	v_mov_b32_e32 v1, 0x90
	v_lshl_add_u32 v1, v0, 2, v1
	v_div_fixup_f32 v2, v3, v2, 1.0
	v_mov_b32_e32 v3, v0
.LBB100_26:                             ; =>This Inner Loop Header: Depth=1
	ds_read_b32 v4, v1
	v_add_u32_e32 v3, 0x80, v3
	v_cmp_le_i32_e32 vcc, s15, v3
	s_or_b64 s[4:5], vcc, s[4:5]
	s_waitcnt lgkmcnt(0)
	v_mul_f32_e32 v4, v2, v4
	ds_write_b32 v1, v4
	v_add_u32_e32 v1, 0x200, v1
	s_andn2_b64 exec, exec, s[4:5]
	s_cbranch_execnz .LBB100_26
.LBB100_27:
	s_or_b64 exec, exec, s[2:3]
	v_mov_b32_e32 v18, 0
	v_and_b32_e32 v12, 3, v0
	v_mov_b32_e32 v19, 0
	v_mov_b32_e32 v14, 0
	;; [unrolled: 1-line block ×3, first 2 shown]
	s_waitcnt lgkmcnt(0)
	s_barrier
	s_and_saveexec_b64 s[2:3], s[0:1]
	s_cbranch_execz .LBB100_39
; %bb.28:
	s_ashr_i32 s15, s14, 31
	s_lshl_b64 s[0:1], s[14:15], 1
	v_lshlrev_b32_e32 v2, 4, v0
	s_add_u32 s0, s24, s0
	v_and_b32_e32 v2, 0x3f0, v2
	v_and_b32_e32 v1, 24, v16
	s_addc_u32 s1, s25, s1
	v_add_co_u32_e32 v20, vcc, s0, v2
	v_lshlrev_b32_e32 v2, 5, v15
	s_add_i32 s14, s12, -1
	v_mov_b32_e32 v3, s1
	v_or3_b32 v22, v2, v1, 7
	v_lshlrev_b32_e32 v1, 5, v12
	s_lshl_b64 s[0:1], s[22:23], 2
	v_lshl_or_b32 v1, v15, 7, v1
	s_add_u32 s0, s20, s0
	v_addc_co_u32_e32 v21, vcc, 0, v3, vcc
	v_add_u32_e32 v23, 0x90, v1
	v_and_b32_e32 v1, 60, v17
	s_addc_u32 s1, s21, s1
	v_mov_b32_e32 v2, s1
	v_add_co_u32_e32 v5, vcc, s0, v1
	v_mov_b32_e32 v16, 0
	v_addc_co_u32_e32 v6, vcc, 0, v2, vcc
	s_mov_b64 s[4:5], 0
	s_mov_b32 s15, 0xffff
	v_mov_b32_e32 v13, 0
	v_mov_b32_e32 v14, 0
	;; [unrolled: 1-line block ×4, first 2 shown]
	s_branch .LBB100_30
.LBB100_29:                             ;   in Loop: Header=BB100_30 Depth=1
	s_or_b64 exec, exec, s[6:7]
	v_add_f32_e32 v17, v38, v39
	v_add_f32_e32 v14, v14, v17
	;; [unrolled: 1-line block ×6, first 2 shown]
	v_lshlrev_b32_e32 v17, 16, v40
	v_and_or_b32 v1, v1, s15, v17
	v_lshlrev_b32_e32 v8, 16, v8
	v_lshlrev_b32_e32 v7, 16, v7
	v_and_or_b32 v2, v2, s15, v8
	v_and_or_b32 v3, v3, s15, v7
	;;#ASMSTART
	v_pk_mul_f16 v1, v30, v1;

	;;#ASMEND
	;;#ASMSTART
	v_pk_mul_f16 v2, v31, v2;

	;;#ASMEND
	;;#ASMSTART
	v_pk_mul_f16 v3, v32, v3;

	;;#ASMEND
	;;#ASMSTART
	v_pk_mul_f16 v4, v33, v4;

	;;#ASMEND
	;;#ASMSTART
	v_pk_add_f16 v1, v1, v2;

	;;#ASMEND
	;;#ASMSTART
	v_pk_add_f16 v1, v1, v3;

	;;#ASMEND
	;; [unrolled: 4-line block ×3, first 2 shown]
	v_lshrrev_b32_e32 v2, 16, v1
	v_and_b32_e32 v1, 0xffff, v1
	v_add_u32_e32 v15, 2, v15
	;;#ASMSTART
	v_cvt_f32_f16 v1, v1;
	;;#ASMEND
	v_cmp_le_i32_e32 vcc, s12, v15
	;;#ASMSTART
	v_cvt_f32_f16 v2, v2;
	;;#ASMEND
	v_add_f32_e32 v1, v1, v2
	s_or_b64 s[4:5], vcc, s[4:5]
	v_add_co_u32_e32 v5, vcc, 8, v5
	v_add_f32_e32 v13, v13, v1
	v_add_u32_e32 v22, 64, v22
	v_add_u32_e32 v23, 0x100, v23
	v_addc_co_u32_e32 v6, vcc, 0, v6, vcc
	s_andn2_b64 exec, exec, s[4:5]
	s_cbranch_execz .LBB100_38
.LBB100_30:                             ; =>This Inner Loop Header: Depth=1
	global_load_dword v7, v[5:6], off
	ds_read2_b64 v[1:4], v23 offset1:1
	ds_read2_b64 v[24:27], v23 offset0:2 offset1:3
	v_add_u32_e32 v17, -7, v22
	v_add_u32_e32 v29, -6, v22
	s_waitcnt lgkmcnt(1)
	;;#ASMSTART
	v_cvt_f16_f32 v30, v1;

	;;#ASMEND
	;;#ASMSTART
	v_cvt_f16_f32 v31, v2;

	;;#ASMEND
	;; [unrolled: 4-line block ×4, first 2 shown]
	s_waitcnt lgkmcnt(0)
	;;#ASMSTART
	v_cvt_f16_f32 v34, v24;

	;;#ASMEND
	;;#ASMSTART
	v_cvt_f16_f32 v35, v25;

	;;#ASMEND
	;; [unrolled: 4-line block ×4, first 2 shown]
	v_add_u32_e32 v28, -5, v22
	v_add_u32_e32 v26, -4, v22
	;; [unrolled: 1-line block ×5, first 2 shown]
	s_waitcnt vmcnt(0)
	v_mad_i64_i32 v[1:2], s[0:1], v7, s13, 0
	v_cmp_eq_u32_e64 s[0:1], s14, v15
	v_lshlrev_b64 v[1:2], 1, v[1:2]
	v_add_co_u32_e32 v7, vcc, v20, v1
	v_addc_co_u32_e32 v8, vcc, v21, v2, vcc
	global_load_dwordx4 v[1:4], v[7:8], off
	s_waitcnt vmcnt(0)
	v_lshrrev_b32_e32 v40, 16, v1
	v_lshrrev_b32_e32 v39, 16, v2
	;; [unrolled: 1-line block ×3, first 2 shown]
	s_and_saveexec_b64 s[6:7], s[0:1]
	s_cbranch_execz .LBB100_32
; %bb.31:                               ;   in Loop: Header=BB100_30 Depth=1
	v_cmp_gt_i32_e32 vcc, s33, v17
	v_cndmask_b32_e32 v1, 0, v1, vcc
	v_cmp_gt_i32_e32 vcc, s33, v29
	v_cndmask_b32_e32 v40, 0, v40, vcc
	;; [unrolled: 2-line block ×6, first 2 shown]
	v_cmp_gt_i32_e32 vcc, s33, v27
	v_cndmask_b32_sdwa v41, v16, v4, vcc dst_sel:DWORD dst_unused:UNUSED_PAD src0_sel:DWORD src1_sel:WORD_0
	v_and_b32_e32 v4, 0xffff0000, v4
	v_cmp_gt_i32_e32 vcc, s33, v22
	v_cndmask_b32_e32 v4, 0, v4, vcc
	v_or_b32_e32 v4, v41, v4
.LBB100_32:                             ;   in Loop: Header=BB100_30 Depth=1
	s_or_b64 exec, exec, s[6:7]
	v_and_b32_e32 v30, 0xffff, v30
	v_lshl_or_b32 v30, v31, 16, v30
	v_and_b32_e32 v31, 0xffff, v32
	v_and_b32_e32 v32, 0xffff, v34
	v_lshlrev_b32_e32 v34, 16, v40
	v_and_or_b32 v1, v1, s15, v34
	v_lshlrev_b32_e32 v34, 16, v39
	v_and_or_b32 v2, v2, s15, v34
	v_lshlrev_b32_e32 v34, 16, v38
	v_lshl_or_b32 v31, v33, 16, v31
	v_and_b32_e32 v33, 0xffff, v36
	v_and_or_b32 v3, v3, s15, v34
	;;#ASMSTART
	v_pk_mul_f16 v1, v30, v1;

	;;#ASMEND
	v_lshl_or_b32 v32, v35, 16, v32
	v_lshl_or_b32 v33, v37, 16, v33
	;;#ASMSTART
	v_pk_mul_f16 v2, v31, v2;

	;;#ASMEND
	;;#ASMSTART
	v_pk_mul_f16 v3, v32, v3;

	;;#ASMEND
	;; [unrolled: 4-line block ×3, first 2 shown]
	;;#ASMSTART
	v_pk_add_f16 v1, v1, v2;

	;;#ASMEND
	;;#ASMSTART
	v_pk_add_f16 v1, v1, v3;

	;;#ASMEND
	;; [unrolled: 4-line block ×3, first 2 shown]
	v_lshrrev_b32_e32 v2, 16, v1
	v_and_b32_e32 v1, 0xffff, v1
	;;#ASMSTART
	v_cvt_f32_f16 v34, v1;
	;;#ASMEND
	;;#ASMSTART
	v_cvt_f32_f16 v35, v2;
	;;#ASMEND
	global_load_dwordx4 v[1:4], v[7:8], off offset:1024
	s_waitcnt vmcnt(0)
	v_lshrrev_b32_e32 v38, 16, v1
	v_lshrrev_b32_e32 v37, 16, v2
	;; [unrolled: 1-line block ×3, first 2 shown]
	s_and_saveexec_b64 s[6:7], s[0:1]
	s_cbranch_execz .LBB100_34
; %bb.33:                               ;   in Loop: Header=BB100_30 Depth=1
	v_cmp_gt_i32_e32 vcc, s33, v17
	v_cndmask_b32_e32 v1, 0, v1, vcc
	v_cmp_gt_i32_e32 vcc, s33, v29
	v_cndmask_b32_e32 v38, 0, v38, vcc
	;; [unrolled: 2-line block ×6, first 2 shown]
	v_cmp_gt_i32_e32 vcc, s33, v27
	v_cndmask_b32_sdwa v39, v16, v4, vcc dst_sel:DWORD dst_unused:UNUSED_PAD src0_sel:DWORD src1_sel:WORD_0
	v_and_b32_e32 v4, 0xffff0000, v4
	v_cmp_gt_i32_e32 vcc, s33, v22
	v_cndmask_b32_e32 v4, 0, v4, vcc
	v_or_b32_e32 v4, v39, v4
.LBB100_34:                             ;   in Loop: Header=BB100_30 Depth=1
	s_or_b64 exec, exec, s[6:7]
	v_lshlrev_b32_e32 v38, 16, v38
	v_and_or_b32 v1, v1, s15, v38
	v_lshlrev_b32_e32 v37, 16, v37
	v_lshlrev_b32_e32 v36, 16, v36
	v_and_or_b32 v2, v2, s15, v37
	v_and_or_b32 v3, v3, s15, v36
	;;#ASMSTART
	v_pk_mul_f16 v1, v30, v1;

	;;#ASMEND
	;;#ASMSTART
	v_pk_mul_f16 v2, v31, v2;

	;;#ASMEND
	;; [unrolled: 4-line block ×4, first 2 shown]
	;;#ASMSTART
	v_pk_add_f16 v1, v1, v2;

	;;#ASMEND
	;;#ASMSTART
	v_pk_add_f16 v1, v1, v3;

	;;#ASMEND
	;;#ASMSTART
	v_pk_add_f16 v1, v1, v4;

	;;#ASMEND
	v_lshrrev_b32_e32 v2, 16, v1
	v_and_b32_e32 v1, 0xffff, v1
	;;#ASMSTART
	v_cvt_f32_f16 v36, v1;
	;;#ASMEND
	;;#ASMSTART
	v_cvt_f32_f16 v37, v2;
	;;#ASMEND
	global_load_dwordx4 v[1:4], v[7:8], off offset:2048
	s_waitcnt vmcnt(0)
	v_lshrrev_b32_e32 v40, 16, v1
	v_lshrrev_b32_e32 v39, 16, v2
	;; [unrolled: 1-line block ×3, first 2 shown]
	s_and_saveexec_b64 s[6:7], s[0:1]
	s_cbranch_execz .LBB100_36
; %bb.35:                               ;   in Loop: Header=BB100_30 Depth=1
	v_cmp_gt_i32_e32 vcc, s33, v17
	v_cndmask_b32_e32 v1, 0, v1, vcc
	v_cmp_gt_i32_e32 vcc, s33, v29
	v_cndmask_b32_e32 v40, 0, v40, vcc
	;; [unrolled: 2-line block ×6, first 2 shown]
	v_cmp_gt_i32_e32 vcc, s33, v27
	v_cndmask_b32_sdwa v41, v16, v4, vcc dst_sel:DWORD dst_unused:UNUSED_PAD src0_sel:DWORD src1_sel:WORD_0
	v_and_b32_e32 v4, 0xffff0000, v4
	v_cmp_gt_i32_e32 vcc, s33, v22
	v_cndmask_b32_e32 v4, 0, v4, vcc
	v_or_b32_e32 v4, v41, v4
.LBB100_36:                             ;   in Loop: Header=BB100_30 Depth=1
	s_or_b64 exec, exec, s[6:7]
	v_lshlrev_b32_e32 v40, 16, v40
	v_and_or_b32 v1, v1, s15, v40
	v_lshlrev_b32_e32 v39, 16, v39
	v_lshlrev_b32_e32 v38, 16, v38
	v_and_or_b32 v2, v2, s15, v39
	v_and_or_b32 v3, v3, s15, v38
	;;#ASMSTART
	v_pk_mul_f16 v1, v30, v1;

	;;#ASMEND
	;;#ASMSTART
	v_pk_mul_f16 v2, v31, v2;

	;;#ASMEND
	;; [unrolled: 4-line block ×4, first 2 shown]
	;;#ASMSTART
	v_pk_add_f16 v1, v1, v2;

	;;#ASMEND
	;;#ASMSTART
	v_pk_add_f16 v1, v1, v3;

	;;#ASMEND
	;;#ASMSTART
	v_pk_add_f16 v1, v1, v4;

	;;#ASMEND
	v_lshrrev_b32_e32 v2, 16, v1
	v_and_b32_e32 v1, 0xffff, v1
	;;#ASMSTART
	v_cvt_f32_f16 v38, v1;
	;;#ASMEND
	;;#ASMSTART
	v_cvt_f32_f16 v39, v2;
	;;#ASMEND
	global_load_dwordx4 v[1:4], v[7:8], off offset:3072
	s_waitcnt vmcnt(0)
	v_lshrrev_b32_e32 v40, 16, v1
	v_lshrrev_b32_e32 v8, 16, v2
	;; [unrolled: 1-line block ×3, first 2 shown]
	s_and_saveexec_b64 s[6:7], s[0:1]
	s_cbranch_execz .LBB100_29
; %bb.37:                               ;   in Loop: Header=BB100_30 Depth=1
	v_cmp_gt_i32_e32 vcc, s33, v17
	v_cndmask_b32_e32 v1, 0, v1, vcc
	v_cmp_gt_i32_e32 vcc, s33, v29
	v_cndmask_b32_e32 v40, 0, v40, vcc
	;; [unrolled: 2-line block ×6, first 2 shown]
	v_cmp_gt_i32_e32 vcc, s33, v27
	v_cndmask_b32_sdwa v17, v16, v4, vcc dst_sel:DWORD dst_unused:UNUSED_PAD src0_sel:DWORD src1_sel:WORD_0
	v_and_b32_e32 v4, 0xffff0000, v4
	v_cmp_gt_i32_e32 vcc, s33, v22
	v_cndmask_b32_e32 v4, 0, v4, vcc
	v_or_b32_e32 v4, v17, v4
	s_branch .LBB100_29
.LBB100_38:
	s_or_b64 exec, exec, s[4:5]
.LBB100_39:
	s_or_b64 exec, exec, s[2:3]
	ds_bpermute_b32 v1, v10, v18
	ds_bpermute_b32 v2, v10, v19
	;; [unrolled: 1-line block ×4, first 2 shown]
	s_waitcnt lgkmcnt(0)
	v_add_f32_e32 v1, v18, v1
	v_add_f32_e32 v2, v19, v2
	ds_bpermute_b32 v5, v11, v1
	v_add_f32_e32 v7, v14, v3
	v_add_f32_e32 v10, v13, v4
	ds_bpermute_b32 v6, v11, v2
	ds_bpermute_b32 v8, v11, v7
	;; [unrolled: 1-line block ×3, first 2 shown]
	s_waitcnt lgkmcnt(3)
	v_add_f32_e32 v4, v1, v5
	v_and_b32_e32 v5, 0x3c3, v0
	s_waitcnt lgkmcnt(2)
	v_add_f32_e32 v3, v2, v6
	s_waitcnt lgkmcnt(1)
	v_add_f32_e32 v2, v7, v8
	;; [unrolled: 2-line block ×3, first 2 shown]
	v_cmp_eq_u32_e32 vcc, 64, v5
	s_barrier
	s_and_saveexec_b64 s[0:1], vcc
	s_cbranch_execz .LBB100_41
; %bb.40:
	v_add_u32_e32 v6, 0x90, v9
	ds_write2_b32 v6, v4, v3 offset1:16
	ds_write2_b32 v6, v2, v1 offset0:32 offset1:48
.LBB100_41:
	s_or_b64 exec, exec, s[0:1]
	v_cmp_gt_u32_e32 vcc, 64, v0
	v_lshrrev_b32_e32 v0, 2, v0
	s_waitcnt lgkmcnt(0)
	s_barrier
	s_and_saveexec_b64 s[0:1], vcc
	s_cbranch_execz .LBB100_48
; %bb.42:
	v_mov_b32_e32 v6, 0x90
	v_cmp_eq_u32_e32 vcc, 0, v12
	v_lshl_add_u32 v6, v0, 2, v6
	s_and_saveexec_b64 s[2:3], vcc
	s_cbranch_execnz .LBB100_51
; %bb.43:
	s_or_b64 exec, exec, s[2:3]
	s_and_saveexec_b64 s[2:3], vcc
	s_cbranch_execnz .LBB100_52
.LBB100_44:
	s_or_b64 exec, exec, s[2:3]
	s_and_saveexec_b64 s[2:3], vcc
	s_cbranch_execnz .LBB100_53
.LBB100_45:
	s_or_b64 exec, exec, s[2:3]
	s_and_saveexec_b64 s[2:3], vcc
	s_cbranch_execz .LBB100_47
.LBB100_46:
	ds_read_b32 v6, v6 offset:192
	s_waitcnt lgkmcnt(0)
	v_add_f32_e32 v1, v1, v6
.LBB100_47:
	s_or_b64 exec, exec, s[2:3]
.LBB100_48:
	s_or_b64 exec, exec, s[0:1]
	v_cmp_eq_u32_e32 vcc, 0, v5
	s_barrier
	s_and_saveexec_b64 s[0:1], vcc
	s_cbranch_execz .LBB100_50
; %bb.49:
	s_mul_i32 s0, s10, s11
	s_mul_i32 s0, s0, s9
	s_lshl_b32 s0, s0, 6
	s_ashr_i32 s1, s0, 31
	s_lshl_b64 s[0:1], s[0:1], 1
	s_add_u32 s2, s18, s0
	s_mul_i32 s0, s11, s16
	s_addc_u32 s3, s19, s1
	s_ashr_i32 s1, s0, 31
	s_lshl_b64 s[0:1], s[0:1], 1
	s_add_u32 s2, s2, s0
	s_addc_u32 s3, s3, s1
	s_lshl_b32 s0, s8, 6
	s_ashr_i32 s1, s0, 31
	s_lshl_b64 s[0:1], s[0:1], 1
	s_add_u32 s0, s2, s0
	s_addc_u32 s1, s3, s1
	v_lshlrev_b32_e32 v0, 1, v0
	;;#ASMSTART
	v_cvt_f16_f32 v4, v4;

	;;#ASMEND
	global_store_short v0, v4, s[0:1]
	;;#ASMSTART
	v_cvt_f16_f32 v3, v3;

	;;#ASMEND
	global_store_short v0, v3, s[0:1] offset:32
	;;#ASMSTART
	v_cvt_f16_f32 v2, v2;

	;;#ASMEND
	global_store_short v0, v2, s[0:1] offset:64
	;; [unrolled: 5-line block ×3, first 2 shown]
.LBB100_50:
	s_endpgm
.LBB100_51:
	ds_read_b32 v7, v6
	s_waitcnt lgkmcnt(0)
	v_add_f32_e32 v4, v4, v7
	s_or_b64 exec, exec, s[2:3]
	s_and_saveexec_b64 s[2:3], vcc
	s_cbranch_execz .LBB100_44
.LBB100_52:
	ds_read_b32 v7, v6 offset:64
	s_waitcnt lgkmcnt(0)
	v_add_f32_e32 v3, v3, v7
	s_or_b64 exec, exec, s[2:3]
	s_and_saveexec_b64 s[2:3], vcc
	s_cbranch_execz .LBB100_45
.LBB100_53:
	ds_read_b32 v7, v6 offset:128
	s_waitcnt lgkmcnt(0)
	v_add_f32_e32 v2, v2, v7
	s_or_b64 exec, exec, s[2:3]
	s_and_saveexec_b64 s[2:3], vcc
	s_cbranch_execnz .LBB100_46
	s_branch .LBB100_47
	.section	.rodata,"a",@progbits
	.p2align	6, 0x0
	.amdhsa_kernel _ZN4vllm25paged_attention_v1_kernelIttLi64ELi32ELi128ELNS_18Fp8KVCacheDataTypeE0ELb0EEEvPT_PKS2_PKT0_S8_ifPKiSA_iPKfiiiSC_SC_iiiii
		.amdhsa_group_segment_fixed_size 144
		.amdhsa_private_segment_fixed_size 0
		.amdhsa_kernarg_size 384
		.amdhsa_user_sgpr_count 6
		.amdhsa_user_sgpr_private_segment_buffer 1
		.amdhsa_user_sgpr_dispatch_ptr 0
		.amdhsa_user_sgpr_queue_ptr 0
		.amdhsa_user_sgpr_kernarg_segment_ptr 1
		.amdhsa_user_sgpr_dispatch_id 0
		.amdhsa_user_sgpr_flat_scratch_init 0
		.amdhsa_user_sgpr_private_segment_size 0
		.amdhsa_uses_dynamic_stack 0
		.amdhsa_system_sgpr_private_segment_wavefront_offset 0
		.amdhsa_system_sgpr_workgroup_id_x 1
		.amdhsa_system_sgpr_workgroup_id_y 1
		.amdhsa_system_sgpr_workgroup_id_z 1
		.amdhsa_system_sgpr_workgroup_info 0
		.amdhsa_system_vgpr_workitem_id 0
		.amdhsa_next_free_vgpr 56
		.amdhsa_next_free_sgpr 34
		.amdhsa_reserve_vcc 1
		.amdhsa_reserve_flat_scratch 0
		.amdhsa_float_round_mode_32 0
		.amdhsa_float_round_mode_16_64 0
		.amdhsa_float_denorm_mode_32 3
		.amdhsa_float_denorm_mode_16_64 3
		.amdhsa_dx10_clamp 1
		.amdhsa_ieee_mode 1
		.amdhsa_fp16_overflow 0
		.amdhsa_exception_fp_ieee_invalid_op 0
		.amdhsa_exception_fp_denorm_src 0
		.amdhsa_exception_fp_ieee_div_zero 0
		.amdhsa_exception_fp_ieee_overflow 0
		.amdhsa_exception_fp_ieee_underflow 0
		.amdhsa_exception_fp_ieee_inexact 0
		.amdhsa_exception_int_div_zero 0
	.end_amdhsa_kernel
	.section	.text._ZN4vllm25paged_attention_v1_kernelIttLi64ELi32ELi128ELNS_18Fp8KVCacheDataTypeE0ELb0EEEvPT_PKS2_PKT0_S8_ifPKiSA_iPKfiiiSC_SC_iiiii,"axG",@progbits,_ZN4vllm25paged_attention_v1_kernelIttLi64ELi32ELi128ELNS_18Fp8KVCacheDataTypeE0ELb0EEEvPT_PKS2_PKT0_S8_ifPKiSA_iPKfiiiSC_SC_iiiii,comdat
.Lfunc_end100:
	.size	_ZN4vllm25paged_attention_v1_kernelIttLi64ELi32ELi128ELNS_18Fp8KVCacheDataTypeE0ELb0EEEvPT_PKS2_PKT0_S8_ifPKiSA_iPKfiiiSC_SC_iiiii, .Lfunc_end100-_ZN4vllm25paged_attention_v1_kernelIttLi64ELi32ELi128ELNS_18Fp8KVCacheDataTypeE0ELb0EEEvPT_PKS2_PKT0_S8_ifPKiSA_iPKfiiiSC_SC_iiiii
                                        ; -- End function
	.set _ZN4vllm25paged_attention_v1_kernelIttLi64ELi32ELi128ELNS_18Fp8KVCacheDataTypeE0ELb0EEEvPT_PKS2_PKT0_S8_ifPKiSA_iPKfiiiSC_SC_iiiii.num_vgpr, 56
	.set _ZN4vllm25paged_attention_v1_kernelIttLi64ELi32ELi128ELNS_18Fp8KVCacheDataTypeE0ELb0EEEvPT_PKS2_PKT0_S8_ifPKiSA_iPKfiiiSC_SC_iiiii.num_agpr, 0
	.set _ZN4vllm25paged_attention_v1_kernelIttLi64ELi32ELi128ELNS_18Fp8KVCacheDataTypeE0ELb0EEEvPT_PKS2_PKT0_S8_ifPKiSA_iPKfiiiSC_SC_iiiii.numbered_sgpr, 34
	.set _ZN4vllm25paged_attention_v1_kernelIttLi64ELi32ELi128ELNS_18Fp8KVCacheDataTypeE0ELb0EEEvPT_PKS2_PKT0_S8_ifPKiSA_iPKfiiiSC_SC_iiiii.num_named_barrier, 0
	.set _ZN4vllm25paged_attention_v1_kernelIttLi64ELi32ELi128ELNS_18Fp8KVCacheDataTypeE0ELb0EEEvPT_PKS2_PKT0_S8_ifPKiSA_iPKfiiiSC_SC_iiiii.private_seg_size, 0
	.set _ZN4vllm25paged_attention_v1_kernelIttLi64ELi32ELi128ELNS_18Fp8KVCacheDataTypeE0ELb0EEEvPT_PKS2_PKT0_S8_ifPKiSA_iPKfiiiSC_SC_iiiii.uses_vcc, 1
	.set _ZN4vllm25paged_attention_v1_kernelIttLi64ELi32ELi128ELNS_18Fp8KVCacheDataTypeE0ELb0EEEvPT_PKS2_PKT0_S8_ifPKiSA_iPKfiiiSC_SC_iiiii.uses_flat_scratch, 0
	.set _ZN4vllm25paged_attention_v1_kernelIttLi64ELi32ELi128ELNS_18Fp8KVCacheDataTypeE0ELb0EEEvPT_PKS2_PKT0_S8_ifPKiSA_iPKfiiiSC_SC_iiiii.has_dyn_sized_stack, 0
	.set _ZN4vllm25paged_attention_v1_kernelIttLi64ELi32ELi128ELNS_18Fp8KVCacheDataTypeE0ELb0EEEvPT_PKS2_PKT0_S8_ifPKiSA_iPKfiiiSC_SC_iiiii.has_recursion, 0
	.set _ZN4vllm25paged_attention_v1_kernelIttLi64ELi32ELi128ELNS_18Fp8KVCacheDataTypeE0ELb0EEEvPT_PKS2_PKT0_S8_ifPKiSA_iPKfiiiSC_SC_iiiii.has_indirect_call, 0
	.section	.AMDGPU.csdata,"",@progbits
; Kernel info:
; codeLenInByte = 5020
; TotalNumSgprs: 38
; NumVgprs: 56
; ScratchSize: 0
; MemoryBound: 0
; FloatMode: 240
; IeeeMode: 1
; LDSByteSize: 144 bytes/workgroup (compile time only)
; SGPRBlocks: 4
; VGPRBlocks: 13
; NumSGPRsForWavesPerEU: 38
; NumVGPRsForWavesPerEU: 56
; Occupancy: 4
; WaveLimiterHint : 1
; COMPUTE_PGM_RSRC2:SCRATCH_EN: 0
; COMPUTE_PGM_RSRC2:USER_SGPR: 6
; COMPUTE_PGM_RSRC2:TRAP_HANDLER: 0
; COMPUTE_PGM_RSRC2:TGID_X_EN: 1
; COMPUTE_PGM_RSRC2:TGID_Y_EN: 1
; COMPUTE_PGM_RSRC2:TGID_Z_EN: 1
; COMPUTE_PGM_RSRC2:TIDIG_COMP_CNT: 0
	.section	.text._ZN4vllm25paged_attention_v1_kernelIttLi80ELi32ELi128ELNS_18Fp8KVCacheDataTypeE0ELb0EEEvPT_PKS2_PKT0_S8_ifPKiSA_iPKfiiiSC_SC_iiiii,"axG",@progbits,_ZN4vllm25paged_attention_v1_kernelIttLi80ELi32ELi128ELNS_18Fp8KVCacheDataTypeE0ELb0EEEvPT_PKS2_PKT0_S8_ifPKiSA_iPKfiiiSC_SC_iiiii,comdat
	.protected	_ZN4vllm25paged_attention_v1_kernelIttLi80ELi32ELi128ELNS_18Fp8KVCacheDataTypeE0ELb0EEEvPT_PKS2_PKT0_S8_ifPKiSA_iPKfiiiSC_SC_iiiii ; -- Begin function _ZN4vllm25paged_attention_v1_kernelIttLi80ELi32ELi128ELNS_18Fp8KVCacheDataTypeE0ELb0EEEvPT_PKS2_PKT0_S8_ifPKiSA_iPKfiiiSC_SC_iiiii
	.globl	_ZN4vllm25paged_attention_v1_kernelIttLi80ELi32ELi128ELNS_18Fp8KVCacheDataTypeE0ELb0EEEvPT_PKS2_PKT0_S8_ifPKiSA_iPKfiiiSC_SC_iiiii
	.p2align	8
	.type	_ZN4vllm25paged_attention_v1_kernelIttLi80ELi32ELi128ELNS_18Fp8KVCacheDataTypeE0ELb0EEEvPT_PKS2_PKT0_S8_ifPKiSA_iPKfiiiSC_SC_iiiii,@function
_ZN4vllm25paged_attention_v1_kernelIttLi80ELi32ELi128ELNS_18Fp8KVCacheDataTypeE0ELb0EEEvPT_PKS2_PKT0_S8_ifPKiSA_iPKfiiiSC_SC_iiiii: ; @_ZN4vllm25paged_attention_v1_kernelIttLi80ELi32ELi128ELNS_18Fp8KVCacheDataTypeE0ELb0EEEvPT_PKS2_PKT0_S8_ifPKiSA_iPKfiiiSC_SC_iiiii
; %bb.0:
	s_load_dword s9, s[4:5], 0x80
	s_load_dwordx2 s[0:1], s[4:5], 0x30
	s_load_dwordx2 s[26:27], s[4:5], 0x20
	s_mov_b32 s10, s7
	s_ashr_i32 s11, s7, 31
	s_lshl_b64 s[2:3], s[10:11], 2
	s_waitcnt lgkmcnt(0)
	s_add_u32 s0, s0, s2
	s_addc_u32 s1, s1, s3
	s_abs_i32 s2, s26
	v_cvt_f32_u32_e32 v1, s2
	s_sub_i32 s11, 0, s2
	s_abs_i32 s7, s9
	s_xor_b32 s3, s9, s26
	v_rcp_iflag_f32_e32 v1, v1
	s_ashr_i32 s3, s3, 31
	s_mov_b32 s26, 0
	v_mul_f32_e32 v1, 0x4f7ffffe, v1
	v_cvt_u32_f32_e32 v1, v1
	v_readfirstlane_b32 s12, v1
	s_mul_i32 s11, s11, s12
	s_mul_hi_u32 s11, s12, s11
	s_add_i32 s12, s12, s11
	s_mul_hi_u32 s11, s7, s12
	s_mul_i32 s12, s11, s2
	s_sub_i32 s7, s7, s12
	s_add_i32 s12, s11, 1
	s_sub_i32 s13, s7, s2
	s_cmp_ge_u32 s7, s2
	s_cselect_b32 s11, s12, s11
	s_cselect_b32 s7, s13, s7
	s_add_i32 s12, s11, 1
	s_cmp_ge_u32 s7, s2
	s_cselect_b32 s2, s12, s11
	s_xor_b32 s2, s2, s3
	s_sub_i32 s12, s2, s3
	s_abs_i32 s11, s12
	v_cvt_f32_u32_e32 v1, s11
	s_load_dwordx2 s[2:3], s[4:5], 0x40
	s_sub_i32 s7, 0, s11
	s_abs_i32 s18, s6
	v_rcp_iflag_f32_e32 v1, v1
	v_mul_f32_e32 v1, 0x4f7ffffe, v1
	v_cvt_u32_f32_e32 v1, v1
	v_readfirstlane_b32 s13, v1
	s_mul_i32 s7, s7, s13
	s_mul_hi_u32 s7, s13, s7
	s_add_i32 s13, s13, s7
	s_waitcnt lgkmcnt(0)
	s_cmp_eq_u64 s[2:3], 0
	s_mul_hi_u32 s19, s18, s13
	s_cbranch_scc1 .LBB101_2
; %bb.1:
	s_ashr_i32 s7, s6, 31
	s_lshl_b64 s[14:15], s[6:7], 2
	s_add_u32 s2, s2, s14
	s_addc_u32 s3, s3, s15
	s_load_dword s26, s[2:3], 0x0
.LBB101_2:
	s_load_dword s33, s[0:1], 0x0
	s_ashr_i32 s3, s12, 31
	s_load_dwordx4 s[12:15], s[4:5], 0x48
	s_ashr_i32 s2, s6, 31
	v_and_b32_e32 v1, 1, v0
	s_movk_i32 s7, 0x50
	s_mul_i32 s16, s6, 0x50
	v_cmp_gt_u32_e32 vcc, 20, v0
	v_lshlrev_b32_e32 v20, 3, v0
	s_and_saveexec_b64 s[0:1], vcc
	s_cbranch_execz .LBB101_4
; %bb.3:
	s_load_dwordx2 s[20:21], s[4:5], 0x8
	s_waitcnt lgkmcnt(0)
	s_mul_i32 s22, s12, s10
	s_ashr_i32 s23, s22, 31
	s_lshl_b64 s[22:23], s[22:23], 1
	v_lshlrev_b32_e32 v4, 2, v0
	s_add_u32 s6, s20, s22
	s_addc_u32 s12, s21, s23
	s_ashr_i32 s17, s16, 31
	s_lshl_b64 s[20:21], s[16:17], 1
	s_add_u32 s20, s6, s20
	s_addc_u32 s21, s12, s21
	global_load_dwordx2 v[2:3], v20, s[20:21]
	v_and_b32_e32 v4, 0xff8, v4
	v_mad_u32_u24 v4, v1, s7, v4
	s_waitcnt vmcnt(0)
	ds_write_b64 v4, v[2:3]
.LBB101_4:
	s_or_b64 exec, exec, s[0:1]
	s_waitcnt lgkmcnt(0)
	s_add_i32 s1, s33, 31
	s_ashr_i32 s6, s1, 31
	s_lshr_b32 s6, s6, 27
	s_add_i32 s1, s1, s6
	s_ashr_i32 s12, s1, 5
	s_xor_b32 s1, s2, s3
	s_mul_i32 s2, s19, s11
	s_sub_i32 s2, s18, s2
	s_add_i32 s3, s19, 1
	s_sub_i32 s6, s2, s11
	s_load_dwordx2 s[20:21], s[4:5], 0x28
	s_load_dword s0, s[4:5], 0x38
	s_cmp_ge_u32 s2, s11
	s_cselect_b32 s3, s3, s19
	s_cselect_b32 s2, s6, s2
	s_add_i32 s6, s3, 1
	s_cmp_ge_u32 s2, s11
	s_cselect_b32 s2, s6, s3
	v_lshrrev_b32_e32 v19, 6, v0
	s_xor_b32 s2, s2, s1
	s_waitcnt lgkmcnt(0)
	s_mul_i32 s22, s0, s10
	s_sub_i32 s15, s2, s1
	s_ashr_i32 s23, s22, 31
	v_cmp_gt_i32_e64 s[0:1], s12, v19
	v_cmp_le_i32_e32 vcc, s12, v19
	v_mbcnt_lo_u32_b32 v3, -1, 0
	s_barrier
                                        ; implicit-def: $vgpr22
                                        ; implicit-def: $vgpr23
                                        ; implicit-def: $vgpr24
	s_and_saveexec_b64 s[2:3], vcc
	s_xor_b64 s[2:3], exec, s[2:3]
; %bb.5:
	v_mbcnt_hi_u32_b32 v22, -1, v3
	v_and_b32_e32 v23, 64, v22
	v_add_u32_e32 v24, 64, v23
                                        ; implicit-def: $vgpr1
                                        ; implicit-def: $vgpr3
; %bb.6:
	s_or_saveexec_b64 s[6:7], s[2:3]
	s_load_dwordx2 s[18:19], s[4:5], 0x0
	s_load_dwordx2 s[24:25], s[4:5], 0x18
	s_load_dword s11, s[4:5], 0x88
	v_mov_b32_e32 v25, 0xff7fffff
	s_mul_i32 s14, s15, s14
	v_lshrrev_b32_e32 v21, 4, v0
	s_xor_b64 exec, exec, s[6:7]
	s_cbranch_execz .LBB101_12
; %bb.7:
	s_load_dwordx2 s[2:3], s[4:5], 0x10
	s_ashr_i32 s15, s14, 31
	s_lshl_b64 s[4:5], s[14:15], 1
	v_bfe_u32 v2, v0, 1, 5
	v_lshlrev_b32_e32 v4, 4, v2
	s_waitcnt lgkmcnt(0)
	s_add_u32 s2, s2, s4
	s_addc_u32 s3, s3, s5
	v_mov_b32_e32 v5, s3
	v_add_co_u32_e32 v4, vcc, s2, v4
	v_addc_co_u32_e32 v5, vcc, 0, v5, vcc
	v_and_b32_e32 v6, 8, v20
	v_add_co_u32_e32 v26, vcc, v4, v6
	v_addc_co_u32_e32 v27, vcc, 0, v5, vcc
	v_mul_u32_u24_e32 v28, 0x50, v1
	v_cmp_eq_u32_e32 vcc, 0, v1
	s_sub_i32 s15, 1, s33
	v_lshlrev_b32_e32 v1, 2, v2
	s_lshl_b64 s[4:5], s[22:23], 2
	v_lshl_or_b32 v1, v19, 7, v1
	s_add_u32 s4, s20, s4
	v_add_u32_e32 v30, 0xb0, v1
	v_and_b32_e32 v1, 60, v21
	s_addc_u32 s5, s21, s5
	v_mbcnt_hi_u32_b32 v22, -1, v3
	v_lshl_or_b32 v29, v19, 5, v2
	v_mov_b32_e32 v2, s5
	v_add_co_u32_e64 v1, s[4:5], s4, v1
	v_and_b32_e32 v23, 64, v22
	s_mov_b32 s17, s13
	v_cmp_neq_f32_e64 s[2:3], s26, 0
	v_addc_co_u32_e64 v2, s[4:5], 0, v2, s[4:5]
	v_mov_b32_e32 v25, 0xff7fffff
	s_mov_b64 s[28:29], 0
	s_movk_i32 s34, 0x1000
	v_xor_b32_e32 v31, 1, v22
	v_add_u32_e32 v24, 64, v23
	v_mov_b32_e32 v32, v19
	s_branch .LBB101_9
.LBB101_8:                              ;   in Loop: Header=BB101_9 Depth=1
	s_or_b64 exec, exec, s[30:31]
	v_add_u32_e32 v32, 2, v32
	v_cmp_le_i32_e64 s[4:5], s12, v32
	s_or_b64 s[28:29], s[4:5], s[28:29]
	v_add_co_u32_e64 v1, s[4:5], 8, v1
	v_add_u32_e32 v29, 64, v29
	v_add_u32_e32 v30, 0x100, v30
	v_addc_co_u32_e64 v2, s[4:5], 0, v2, s[4:5]
	s_andn2_b64 exec, exec, s[28:29]
	s_cbranch_execz .LBB101_11
.LBB101_9:                              ; =>This Inner Loop Header: Depth=1
	global_load_dword v3, v[1:2], off
	s_waitcnt vmcnt(0) lgkmcnt(0)
	v_mad_i64_i32 v[3:4], s[4:5], v3, s17, 0
	v_lshlrev_b64 v[3:4], 1, v[3:4]
	v_add_co_u32_e64 v3, s[4:5], v26, v3
	v_addc_co_u32_e64 v4, s[4:5], v27, v4, s[4:5]
	global_load_dwordx2 v[13:14], v[3:4], off
	global_load_dwordx2 v[33:34], v[3:4], off offset:512
	global_load_dwordx2 v[35:36], v[3:4], off offset:1024
	;; [unrolled: 1-line block ×7, first 2 shown]
	v_add_co_u32_e64 v3, s[4:5], s34, v3
	v_addc_co_u32_e64 v4, s[4:5], 0, v4, s[4:5]
	global_load_dwordx2 v[5:6], v[3:4], off
	ds_read_b64 v[37:38], v28
	global_load_dwordx2 v[3:4], v[3:4], off offset:512
	v_cmp_lt_i32_e64 s[4:5], v31, v24
	s_waitcnt lgkmcnt(0)
	v_lshrrev_b32_e32 v39, 16, v37
	v_and_b32_e32 v37, 0xffff, v37
	v_lshrrev_b32_e32 v41, 16, v38
	v_and_b32_e32 v42, 0xffff, v38
	;;#ASMSTART
	v_cvt_f32_f16 v38, v37;
	;;#ASMEND
	;;#ASMSTART
	v_cvt_f32_f16 v37, v39;
	;;#ASMEND
	s_waitcnt vmcnt(9)
	v_lshrrev_b32_e32 v39, 16, v13
	v_and_b32_e32 v13, 0xffff, v13
	v_lshrrev_b32_e32 v45, 16, v14
	v_and_b32_e32 v14, 0xffff, v14
	s_waitcnt vmcnt(8)
	v_and_b32_e32 v47, 0xffff, v33
	v_lshrrev_b32_e32 v52, 16, v33
	v_and_b32_e32 v48, 0xffff, v34
	v_lshrrev_b32_e32 v49, 16, v34
	s_waitcnt vmcnt(7)
	v_and_b32_e32 v50, 0xffff, v35
	v_lshrrev_b32_e32 v40, 16, v35
	v_and_b32_e32 v43, 0xffff, v36
	v_lshrrev_b32_e32 v44, 16, v36
	;;#ASMSTART
	v_cvt_f32_f16 v46, v13;
	;;#ASMEND
	;;#ASMSTART
	v_cvt_f32_f16 v39, v39;
	;;#ASMEND
	;; [unrolled: 3-line block ×6, first 2 shown]
	ds_read_b64 v[13:14], v28 offset:8
	s_waitcnt vmcnt(6)
	v_and_b32_e32 v41, 0xffff, v17
	v_lshrrev_b32_e32 v42, 16, v17
	s_waitcnt vmcnt(2)
	v_lshrrev_b32_e32 v54, 16, v8
	v_and_b32_e32 v55, 0xffff, v8
	s_waitcnt lgkmcnt(0)
	v_and_b32_e32 v17, 0xffff, v13
	v_lshrrev_b32_e32 v51, 16, v13
	;;#ASMSTART
	v_cvt_f32_f16 v13, v17;
	;;#ASMEND
	;;#ASMSTART
	v_cvt_f32_f16 v53, v51;
	;;#ASMEND
	;; [unrolled: 3-line block ×3, first 2 shown]
	v_mul_f32_e32 v13, v13, v17
	v_fmac_f32_e32 v13, v38, v46
	v_and_b32_e32 v46, 0xffff, v11
	v_lshrrev_b32_e32 v47, 16, v11
	;;#ASMSTART
	v_cvt_f32_f16 v11, v52;
	;;#ASMEND
	v_mul_f32_e32 v11, v53, v11
	v_and_b32_e32 v52, 0xffff, v7
	v_lshrrev_b32_e32 v53, 16, v7
	v_lshrrev_b32_e32 v8, 16, v14
	v_and_b32_e32 v7, 0xffff, v14
	;;#ASMSTART
	v_cvt_f32_f16 v7, v7;
	;;#ASMEND
	;;#ASMSTART
	v_cvt_f32_f16 v8, v8;
	;;#ASMEND
	;; [unrolled: 3-line block ×3, first 2 shown]
	v_mul_f32_e32 v7, v7, v14
	;;#ASMSTART
	v_cvt_f32_f16 v14, v49;
	;;#ASMEND
	ds_read_b64 v[48:49], v28 offset:16
	v_mul_f32_e32 v8, v8, v14
	v_fmac_f32_e32 v8, v33, v35
	v_fmac_f32_e32 v11, v37, v39
	;; [unrolled: 1-line block ×3, first 2 shown]
	s_waitcnt lgkmcnt(0)
	v_and_b32_e32 v14, 0xffff, v48
	v_lshrrev_b32_e32 v33, 16, v48
	;;#ASMSTART
	v_cvt_f32_f16 v14, v14;
	;;#ASMEND
	;;#ASMSTART
	v_cvt_f32_f16 v34, v33;
	;;#ASMEND
	;;#ASMSTART
	v_cvt_f32_f16 v33, v50;
	;;#ASMEND
	v_lshrrev_b32_e32 v36, 16, v49
	v_and_b32_e32 v48, 0xffff, v49
	;;#ASMSTART
	v_cvt_f32_f16 v35, v40;
	;;#ASMEND
	;;#ASMSTART
	v_cvt_f32_f16 v40, v48;
	;;#ASMEND
	;; [unrolled: 3-line block ×5, first 2 shown]
	v_fmac_f32_e32 v11, v34, v35
	ds_read_b64 v[35:36], v28 offset:24
	v_fmac_f32_e32 v7, v40, v43
	v_and_b32_e32 v45, 0xffff, v18
	v_lshrrev_b32_e32 v18, 16, v18
	v_fmac_f32_e32 v13, v14, v33
	s_waitcnt lgkmcnt(0)
	v_and_b32_e32 v40, 0xffff, v35
	v_fmac_f32_e32 v8, v48, v44
	v_lshrrev_b32_e32 v43, 16, v35
	v_lshrrev_b32_e32 v44, 16, v36
	v_and_b32_e32 v48, 0xffff, v36
	;;#ASMSTART
	v_cvt_f32_f16 v35, v40;
	;;#ASMEND
	;;#ASMSTART
	v_cvt_f32_f16 v40, v43;
	;;#ASMEND
	;; [unrolled: 3-line block ×8, first 2 shown]
	v_fmac_f32_e32 v13, v35, v36
	ds_read_b64 v[35:36], v28 offset:32
	v_and_b32_e32 v17, 0xffff, v15
	v_lshrrev_b32_e32 v15, 16, v15
	v_and_b32_e32 v38, 0xffff, v16
	v_lshrrev_b32_e32 v16, 16, v16
	s_waitcnt vmcnt(0)
	v_lshrrev_b32_e32 v34, 16, v3
	v_and_b32_e32 v45, 0xffff, v3
	v_fmac_f32_e32 v11, v40, v41
	v_fmac_f32_e32 v8, v43, v18
	s_waitcnt lgkmcnt(0)
	v_and_b32_e32 v3, 0xffff, v35
	v_lshrrev_b32_e32 v18, 16, v35
	v_lshrrev_b32_e32 v40, 16, v36
	v_and_b32_e32 v36, 0xffff, v36
	;;#ASMSTART
	v_cvt_f32_f16 v3, v3;
	;;#ASMEND
	;;#ASMSTART
	v_cvt_f32_f16 v18, v18;
	;;#ASMEND
	;; [unrolled: 3-line block ×8, first 2 shown]
	ds_read_b64 v[15:16], v28 offset:40
	v_fmac_f32_e32 v7, v42, v44
	v_and_b32_e32 v51, 0xffff, v12
	v_lshrrev_b32_e32 v12, 16, v12
	v_fmac_f32_e32 v13, v3, v17
	v_fmac_f32_e32 v7, v36, v38
	s_waitcnt lgkmcnt(0)
	v_and_b32_e32 v3, 0xffff, v15
	v_lshrrev_b32_e32 v15, 16, v15
	v_lshrrev_b32_e32 v38, 16, v16
	v_and_b32_e32 v16, 0xffff, v16
	v_fmac_f32_e32 v11, v18, v35
	v_fmac_f32_e32 v8, v40, v41
	;;#ASMSTART
	v_cvt_f32_f16 v3, v3;
	;;#ASMEND
	;;#ASMSTART
	v_cvt_f32_f16 v17, v15;
	;;#ASMEND
	;; [unrolled: 3-line block ×8, first 2 shown]
	ds_read_b64 v[15:16], v28 offset:48
	v_and_b32_e32 v37, 0xffff, v9
	v_lshrrev_b32_e32 v9, 16, v9
	v_and_b32_e32 v39, 0xffff, v10
	v_lshrrev_b32_e32 v10, 16, v10
	v_fmac_f32_e32 v13, v3, v18
	v_fmac_f32_e32 v11, v17, v35
	;; [unrolled: 1-line block ×3, first 2 shown]
	s_waitcnt lgkmcnt(0)
	v_and_b32_e32 v3, 0xffff, v15
	v_lshrrev_b32_e32 v12, 16, v15
	v_lshrrev_b32_e32 v18, 16, v16
	v_and_b32_e32 v17, 0xffff, v16
	v_fmac_f32_e32 v7, v36, v40
	;;#ASMSTART
	v_cvt_f32_f16 v3, v3;
	;;#ASMEND
	;;#ASMSTART
	v_cvt_f32_f16 v12, v12;
	;;#ASMEND
	;; [unrolled: 3-line block ×8, first 2 shown]
	ds_read_b64 v[9:10], v28 offset:56
	v_fmac_f32_e32 v13, v3, v15
	v_fmac_f32_e32 v8, v18, v36
	;; [unrolled: 1-line block ×4, first 2 shown]
	s_waitcnt lgkmcnt(0)
	v_and_b32_e32 v3, 0xffff, v9
	v_lshrrev_b32_e32 v9, 16, v9
	v_lshrrev_b32_e32 v18, 16, v10
	v_and_b32_e32 v10, 0xffff, v10
	;;#ASMSTART
	v_cvt_f32_f16 v3, v3;
	;;#ASMEND
	;;#ASMSTART
	v_cvt_f32_f16 v12, v9;
	;;#ASMEND
	;; [unrolled: 3-line block ×8, first 2 shown]
	ds_read_b64 v[9:10], v28 offset:64
	v_and_b32_e32 v14, 0xffff, v5
	v_lshrrev_b32_e32 v5, 16, v5
	v_lshrrev_b32_e32 v33, 16, v6
	v_and_b32_e32 v6, 0xffff, v6
	v_fmac_f32_e32 v13, v3, v15
	v_fmac_f32_e32 v11, v12, v16
	s_waitcnt lgkmcnt(0)
	v_lshrrev_b32_e32 v12, 16, v9
	v_and_b32_e32 v3, 0xffff, v9
	v_lshrrev_b32_e32 v15, 16, v10
	v_and_b32_e32 v16, 0xffff, v10
	v_fmac_f32_e32 v7, v17, v35
	;;#ASMSTART
	v_cvt_f32_f16 v3, v3;
	;;#ASMEND
	;;#ASMSTART
	v_cvt_f32_f16 v9, v12;
	;;#ASMEND
	;; [unrolled: 3-line block ×8, first 2 shown]
	ds_read_b64 v[5:6], v28 offset:72
	v_fmac_f32_e32 v13, v3, v10
	v_fmac_f32_e32 v8, v18, v36
	;; [unrolled: 1-line block ×4, first 2 shown]
	s_waitcnt lgkmcnt(0)
	v_and_b32_e32 v3, 0xffff, v5
	v_lshrrev_b32_e32 v9, 16, v5
	v_and_b32_e32 v10, 0xffff, v6
	;;#ASMSTART
	v_cvt_f32_f16 v3, v3;
	;;#ASMEND
	;;#ASMSTART
	v_cvt_f32_f16 v5, v9;
	;;#ASMEND
	v_fmac_f32_e32 v8, v15, v17
	v_lshrrev_b32_e32 v12, 16, v6
	;;#ASMSTART
	v_cvt_f32_f16 v6, v45;
	;;#ASMEND
	;;#ASMSTART
	v_cvt_f32_f16 v9, v34;
	;;#ASMEND
	;; [unrolled: 3-line block ×3, first 2 shown]
	v_fmac_f32_e32 v13, v3, v6
	v_fmac_f32_e32 v11, v5, v9
	;;#ASMSTART
	v_cvt_f32_f16 v3, v12;
	;;#ASMEND
	v_lshrrev_b32_e32 v5, 16, v4
	v_and_b32_e32 v4, 0xffff, v4
	;;#ASMSTART
	v_cvt_f32_f16 v4, v4;
	;;#ASMEND
	;;#ASMSTART
	v_cvt_f32_f16 v5, v5;
	;;#ASMEND
	v_fmac_f32_e32 v7, v10, v4
	v_fmac_f32_e32 v8, v3, v5
	v_add_f32_e32 v3, v13, v11
	v_add_f32_e32 v3, v3, v7
	v_cndmask_b32_e64 v4, v22, v31, s[4:5]
	v_add_f32_e32 v3, v8, v3
	v_lshlrev_b32_e32 v4, 2, v4
	ds_bpermute_b32 v4, v4, v3
	s_and_saveexec_b64 s[30:31], vcc
	s_cbranch_execz .LBB101_8
; %bb.10:                               ;   in Loop: Header=BB101_9 Depth=1
	v_add_u32_e32 v5, s15, v29
	v_cvt_f32_i32_e32 v5, v5
	s_waitcnt lgkmcnt(0)
	v_add_f32_e32 v3, v3, v4
	v_cmp_gt_i32_e64 s[4:5], s33, v29
	v_max_f32_e32 v4, v25, v25
	v_mul_f32_e32 v5, s26, v5
	v_cndmask_b32_e64 v5, 0, v5, s[2:3]
	v_fmac_f32_e32 v5, s27, v3
	v_cndmask_b32_e64 v3, 0, v5, s[4:5]
	ds_write_b32 v30, v3
	v_max_f32_e32 v3, v4, v5
	v_cndmask_b32_e64 v25, v25, v3, s[4:5]
	s_branch .LBB101_8
.LBB101_11:
	s_or_b64 exec, exec, s[28:29]
.LBB101_12:
	s_or_b64 exec, exec, s[6:7]
	v_xor_b32_e32 v1, 32, v22
	v_cmp_lt_i32_e32 vcc, v1, v24
	v_cndmask_b32_e32 v1, v22, v1, vcc
	v_lshlrev_b32_e32 v1, 2, v1
	ds_bpermute_b32 v2, v1, v25
	s_waitcnt lgkmcnt(0)
	v_xor_b32_e32 v4, 16, v22
	v_max_f32_e32 v3, v25, v25
	v_cmp_lt_i32_e32 vcc, v4, v24
	v_xor_b32_e32 v5, 8, v22
	v_max_f32_e32 v2, v2, v2
	v_max_f32_e32 v3, v3, v2
	v_cndmask_b32_e32 v2, v22, v4, vcc
	v_lshlrev_b32_e32 v2, 2, v2
	ds_bpermute_b32 v4, v2, v3
	v_cmp_lt_i32_e32 vcc, v5, v24
	v_xor_b32_e32 v6, 4, v22
	v_xor_b32_e32 v7, 2, v22
	v_and_b32_e32 v9, 63, v0
	s_waitcnt lgkmcnt(0)
	v_max_f32_e32 v4, v4, v4
	v_max_f32_e32 v4, v3, v4
	v_cndmask_b32_e32 v3, v22, v5, vcc
	v_lshlrev_b32_e32 v3, 2, v3
	ds_bpermute_b32 v5, v3, v4
	v_cmp_lt_i32_e32 vcc, v6, v24
	s_waitcnt lgkmcnt(0)
	v_max_f32_e32 v5, v5, v5
	v_max_f32_e32 v5, v4, v5
	v_cndmask_b32_e32 v4, v22, v6, vcc
	v_lshlrev_b32_e32 v4, 2, v4
	ds_bpermute_b32 v6, v4, v5
	v_cmp_lt_i32_e32 vcc, v7, v24
	s_waitcnt lgkmcnt(0)
	v_max_f32_e32 v6, v6, v6
	v_max_f32_e32 v6, v5, v6
	v_cndmask_b32_e32 v5, v22, v7, vcc
	v_lshlrev_b32_e32 v10, 2, v5
	ds_bpermute_b32 v7, v10, v6
	v_cmp_eq_u32_e32 vcc, 0, v9
	v_lshlrev_b32_e32 v5, 2, v19
	s_and_saveexec_b64 s[2:3], vcc
	s_cbranch_execz .LBB101_14
; %bb.13:
	s_waitcnt lgkmcnt(0)
	v_max_f32_e32 v7, v7, v7
	v_max_f32_e32 v6, v6, v6
	v_max_f32_e32 v6, v6, v7
	ds_write_b32 v5, v6 offset:160
.LBB101_14:
	s_or_b64 exec, exec, s[2:3]
	v_cmp_gt_u32_e64 s[2:3], 2, v9
	s_waitcnt lgkmcnt(0)
	v_mov_b32_e32 v7, 0xff7fffff
	v_lshlrev_b32_e32 v6, 2, v9
	s_barrier
	s_and_saveexec_b64 s[4:5], s[2:3]
; %bb.15:
	ds_read_b32 v7, v6 offset:160
; %bb.16:
	s_or_b64 exec, exec, s[4:5]
	v_xor_b32_e32 v8, 1, v22
	v_cmp_lt_i32_e64 s[4:5], v8, v24
	v_cndmask_b32_e64 v8, v22, v8, s[4:5]
	v_lshlrev_b32_e32 v11, 2, v8
	s_waitcnt lgkmcnt(0)
	ds_bpermute_b32 v8, v11, v7
	v_max_f32_e32 v7, v7, v7
	s_lshl_b32 s4, s12, 5
	s_min_i32 s15, s4, s33
	v_cmp_gt_i32_e64 s[4:5], s15, v0
	s_waitcnt lgkmcnt(0)
	v_max_f32_e32 v8, v8, v8
	v_max_f32_e32 v7, v7, v8
	v_lshlrev_b32_e32 v8, 2, v23
	ds_bpermute_b32 v8, v8, v7
	v_mov_b32_e32 v7, 0
	s_and_saveexec_b64 s[26:27], s[4:5]
	s_cbranch_execz .LBB101_20
; %bb.17:
	v_mov_b32_e32 v7, 0xb0
	v_lshl_add_u32 v12, v0, 2, v7
	v_mov_b32_e32 v7, 0
	s_mov_b64 s[28:29], 0
	v_mov_b32_e32 v13, v0
.LBB101_18:                             ; =>This Inner Loop Header: Depth=1
	ds_read_b32 v14, v12
	v_add_u32_e32 v13, 0x80, v13
	v_cmp_le_i32_e64 s[6:7], s15, v13
	s_or_b64 s[28:29], s[6:7], s[28:29]
	s_waitcnt lgkmcnt(0)
	v_sub_f32_e32 v14, v14, v8
	v_mul_f32_e32 v14, 0x3fb8aa3b, v14
	v_exp_f32_e32 v14, v14
	ds_write_b32 v12, v14
	v_add_f32_e32 v7, v7, v14
	v_add_u32_e32 v12, 0x200, v12
	s_andn2_b64 exec, exec, s[28:29]
	s_cbranch_execnz .LBB101_18
; %bb.19:
	s_or_b64 exec, exec, s[28:29]
.LBB101_20:
	s_or_b64 exec, exec, s[26:27]
	ds_bpermute_b32 v1, v1, v7
	s_waitcnt lgkmcnt(0)
	v_add_f32_e32 v1, v7, v1
	ds_bpermute_b32 v2, v2, v1
	s_waitcnt lgkmcnt(0)
	v_add_f32_e32 v1, v1, v2
	;; [unrolled: 3-line block ×6, first 2 shown]
	s_and_saveexec_b64 s[6:7], vcc
; %bb.21:
	ds_write_b32 v5, v1 offset:168
; %bb.22:
	s_or_b64 exec, exec, s[6:7]
	s_waitcnt lgkmcnt(0)
	s_barrier
	s_and_saveexec_b64 s[6:7], s[2:3]
; %bb.23:
	ds_read_b32 v1, v6 offset:168
; %bb.24:
	s_or_b64 exec, exec, s[6:7]
	s_waitcnt lgkmcnt(0)
	ds_bpermute_b32 v2, v11, v1
	v_lshlrev_b32_e32 v3, 2, v22
	s_waitcnt lgkmcnt(0)
	v_add_f32_e32 v1, v1, v2
	v_and_b32_e32 v2, 0xffffff00, v3
	ds_bpermute_b32 v1, v2, v1
	s_and_saveexec_b64 s[2:3], s[4:5]
	s_cbranch_execz .LBB101_27
; %bb.25:
	s_waitcnt lgkmcnt(0)
	v_add_f32_e32 v2, 0x358637bd, v1
	v_div_scale_f32 v1, s[4:5], v2, v2, 1.0
	v_div_scale_f32 v3, vcc, 1.0, v2, 1.0
	s_mov_b64 s[4:5], 0
	v_rcp_f32_e32 v4, v1
	v_fma_f32 v5, -v1, v4, 1.0
	v_fmac_f32_e32 v4, v5, v4
	v_mul_f32_e32 v5, v3, v4
	v_fma_f32 v6, -v1, v5, v3
	v_fmac_f32_e32 v5, v6, v4
	v_fma_f32 v1, -v1, v5, v3
	v_div_fmas_f32 v3, v1, v4, v5
	v_mov_b32_e32 v1, 0xb0
	v_lshl_add_u32 v1, v0, 2, v1
	v_div_fixup_f32 v2, v3, v2, 1.0
	v_mov_b32_e32 v3, v0
.LBB101_26:                             ; =>This Inner Loop Header: Depth=1
	ds_read_b32 v4, v1
	v_add_u32_e32 v3, 0x80, v3
	v_cmp_le_i32_e32 vcc, s15, v3
	s_or_b64 s[4:5], vcc, s[4:5]
	s_waitcnt lgkmcnt(0)
	v_mul_f32_e32 v4, v2, v4
	ds_write_b32 v1, v4
	v_add_u32_e32 v1, 0x200, v1
	s_andn2_b64 exec, exec, s[4:5]
	s_cbranch_execnz .LBB101_26
.LBB101_27:
	s_or_b64 exec, exec, s[2:3]
	v_mov_b32_e32 v16, 0
	v_and_b32_e32 v12, 3, v0
	v_mov_b32_e32 v17, 0
	v_mov_b32_e32 v15, 0
	;; [unrolled: 1-line block ×4, first 2 shown]
	s_waitcnt lgkmcnt(0)
	s_barrier
	s_and_saveexec_b64 s[2:3], s[0:1]
	s_cbranch_execz .LBB101_41
; %bb.28:
	s_ashr_i32 s15, s14, 31
	s_lshl_b64 s[0:1], s[14:15], 1
	v_lshlrev_b32_e32 v2, 4, v0
	s_add_u32 s0, s24, s0
	v_and_b32_e32 v2, 0x3f0, v2
	v_and_b32_e32 v1, 24, v20
	s_addc_u32 s1, s25, s1
	v_add_co_u32_e32 v20, vcc, s0, v2
	v_lshlrev_b32_e32 v2, 5, v19
	s_add_i32 s14, s12, -1
	v_mov_b32_e32 v3, s1
	v_or3_b32 v23, v2, v1, 7
	v_lshlrev_b32_e32 v1, 5, v12
	s_lshl_b64 s[0:1], s[22:23], 2
	v_lshl_or_b32 v1, v19, 7, v1
	s_add_u32 s0, s20, s0
	v_addc_co_u32_e32 v22, vcc, 0, v3, vcc
	v_add_u32_e32 v24, 0xb0, v1
	v_and_b32_e32 v1, 60, v21
	s_addc_u32 s1, s21, s1
	v_mov_b32_e32 v2, s1
	v_add_co_u32_e32 v5, vcc, s0, v1
	v_mov_b32_e32 v18, 0
	v_addc_co_u32_e32 v6, vcc, 0, v2, vcc
	s_mov_b64 s[4:5], 0
	s_mov_b32 s15, 0xffff
	v_mov_b32_e32 v13, 0
	v_mov_b32_e32 v14, 0
	;; [unrolled: 1-line block ×5, first 2 shown]
	s_branch .LBB101_30
.LBB101_29:                             ;   in Loop: Header=BB101_30 Depth=1
	s_or_b64 exec, exec, s[6:7]
	v_add_f32_e32 v21, v41, v42
	v_add_f32_e32 v14, v14, v21
	;; [unrolled: 1-line block ×8, first 2 shown]
	v_lshlrev_b32_e32 v21, 16, v43
	v_and_or_b32 v1, v1, s15, v21
	v_lshlrev_b32_e32 v8, 16, v8
	v_lshlrev_b32_e32 v7, 16, v7
	v_and_or_b32 v2, v2, s15, v8
	v_and_or_b32 v3, v3, s15, v7
	;;#ASMSTART
	v_pk_mul_f16 v1, v31, v1;

	;;#ASMEND
	;;#ASMSTART
	v_pk_mul_f16 v2, v32, v2;

	;;#ASMEND
	;; [unrolled: 4-line block ×4, first 2 shown]
	;;#ASMSTART
	v_pk_add_f16 v1, v1, v2;

	;;#ASMEND
	;;#ASMSTART
	v_pk_add_f16 v1, v1, v3;

	;;#ASMEND
	;; [unrolled: 4-line block ×3, first 2 shown]
	v_lshrrev_b32_e32 v2, 16, v1
	v_and_b32_e32 v1, 0xffff, v1
	v_add_u32_e32 v19, 2, v19
	;;#ASMSTART
	v_cvt_f32_f16 v1, v1;
	;;#ASMEND
	v_cmp_le_i32_e32 vcc, s12, v19
	;;#ASMSTART
	v_cvt_f32_f16 v2, v2;
	;;#ASMEND
	v_add_f32_e32 v1, v1, v2
	s_or_b64 s[4:5], vcc, s[4:5]
	v_add_co_u32_e32 v5, vcc, 8, v5
	v_add_f32_e32 v13, v13, v1
	v_add_u32_e32 v23, 64, v23
	v_add_u32_e32 v24, 0x100, v24
	v_addc_co_u32_e32 v6, vcc, 0, v6, vcc
	s_andn2_b64 exec, exec, s[4:5]
	s_cbranch_execz .LBB101_40
.LBB101_30:                             ; =>This Inner Loop Header: Depth=1
	global_load_dword v7, v[5:6], off
	ds_read2_b64 v[1:4], v24 offset1:1
	ds_read2_b64 v[25:28], v24 offset0:2 offset1:3
	v_add_u32_e32 v21, -7, v23
	v_add_u32_e32 v30, -6, v23
	s_waitcnt lgkmcnt(1)
	;;#ASMSTART
	v_cvt_f16_f32 v31, v1;

	;;#ASMEND
	;;#ASMSTART
	v_cvt_f16_f32 v32, v2;

	;;#ASMEND
	;; [unrolled: 4-line block ×4, first 2 shown]
	s_waitcnt lgkmcnt(0)
	;;#ASMSTART
	v_cvt_f16_f32 v35, v25;

	;;#ASMEND
	;;#ASMSTART
	v_cvt_f16_f32 v36, v26;

	;;#ASMEND
	;; [unrolled: 4-line block ×4, first 2 shown]
	v_add_u32_e32 v29, -5, v23
	v_add_u32_e32 v27, -4, v23
	;; [unrolled: 1-line block ×5, first 2 shown]
	s_waitcnt vmcnt(0)
	v_mad_i64_i32 v[1:2], s[0:1], v7, s13, 0
	v_cmp_eq_u32_e64 s[0:1], s14, v19
	v_lshlrev_b64 v[1:2], 1, v[1:2]
	v_add_co_u32_e32 v7, vcc, v20, v1
	v_addc_co_u32_e32 v8, vcc, v22, v2, vcc
	global_load_dwordx4 v[1:4], v[7:8], off
	s_waitcnt vmcnt(0)
	v_lshrrev_b32_e32 v41, 16, v1
	v_lshrrev_b32_e32 v40, 16, v2
	;; [unrolled: 1-line block ×3, first 2 shown]
	s_and_saveexec_b64 s[6:7], s[0:1]
	s_cbranch_execz .LBB101_32
; %bb.31:                               ;   in Loop: Header=BB101_30 Depth=1
	v_cmp_gt_i32_e32 vcc, s33, v21
	v_cndmask_b32_e32 v1, 0, v1, vcc
	v_cmp_gt_i32_e32 vcc, s33, v30
	v_cndmask_b32_e32 v41, 0, v41, vcc
	;; [unrolled: 2-line block ×6, first 2 shown]
	v_cmp_gt_i32_e32 vcc, s33, v28
	v_cndmask_b32_sdwa v42, v18, v4, vcc dst_sel:DWORD dst_unused:UNUSED_PAD src0_sel:DWORD src1_sel:WORD_0
	v_and_b32_e32 v4, 0xffff0000, v4
	v_cmp_gt_i32_e32 vcc, s33, v23
	v_cndmask_b32_e32 v4, 0, v4, vcc
	v_or_b32_e32 v4, v42, v4
.LBB101_32:                             ;   in Loop: Header=BB101_30 Depth=1
	s_or_b64 exec, exec, s[6:7]
	v_and_b32_e32 v31, 0xffff, v31
	v_lshl_or_b32 v31, v32, 16, v31
	v_and_b32_e32 v32, 0xffff, v33
	v_and_b32_e32 v33, 0xffff, v35
	v_lshlrev_b32_e32 v35, 16, v41
	v_and_or_b32 v1, v1, s15, v35
	v_lshlrev_b32_e32 v35, 16, v40
	v_and_or_b32 v2, v2, s15, v35
	v_lshlrev_b32_e32 v35, 16, v39
	v_lshl_or_b32 v32, v34, 16, v32
	v_and_b32_e32 v34, 0xffff, v37
	v_and_or_b32 v3, v3, s15, v35
	;;#ASMSTART
	v_pk_mul_f16 v1, v31, v1;

	;;#ASMEND
	v_lshl_or_b32 v33, v36, 16, v33
	v_lshl_or_b32 v34, v38, 16, v34
	;;#ASMSTART
	v_pk_mul_f16 v2, v32, v2;

	;;#ASMEND
	;;#ASMSTART
	v_pk_mul_f16 v3, v33, v3;

	;;#ASMEND
	;;#ASMSTART
	v_pk_mul_f16 v4, v34, v4;

	;;#ASMEND
	;;#ASMSTART
	v_pk_add_f16 v1, v1, v2;

	;;#ASMEND
	;;#ASMSTART
	v_pk_add_f16 v1, v1, v3;

	;;#ASMEND
	;; [unrolled: 4-line block ×3, first 2 shown]
	v_lshrrev_b32_e32 v2, 16, v1
	v_and_b32_e32 v1, 0xffff, v1
	;;#ASMSTART
	v_cvt_f32_f16 v35, v1;
	;;#ASMEND
	;;#ASMSTART
	v_cvt_f32_f16 v36, v2;
	;;#ASMEND
	global_load_dwordx4 v[1:4], v[7:8], off offset:1024
	s_waitcnt vmcnt(0)
	v_lshrrev_b32_e32 v39, 16, v1
	v_lshrrev_b32_e32 v38, 16, v2
	;; [unrolled: 1-line block ×3, first 2 shown]
	s_and_saveexec_b64 s[6:7], s[0:1]
	s_cbranch_execz .LBB101_34
; %bb.33:                               ;   in Loop: Header=BB101_30 Depth=1
	v_cmp_gt_i32_e32 vcc, s33, v21
	v_cndmask_b32_e32 v1, 0, v1, vcc
	v_cmp_gt_i32_e32 vcc, s33, v30
	v_cndmask_b32_e32 v39, 0, v39, vcc
	;; [unrolled: 2-line block ×6, first 2 shown]
	v_cmp_gt_i32_e32 vcc, s33, v28
	v_cndmask_b32_sdwa v40, v18, v4, vcc dst_sel:DWORD dst_unused:UNUSED_PAD src0_sel:DWORD src1_sel:WORD_0
	v_and_b32_e32 v4, 0xffff0000, v4
	v_cmp_gt_i32_e32 vcc, s33, v23
	v_cndmask_b32_e32 v4, 0, v4, vcc
	v_or_b32_e32 v4, v40, v4
.LBB101_34:                             ;   in Loop: Header=BB101_30 Depth=1
	s_or_b64 exec, exec, s[6:7]
	v_lshlrev_b32_e32 v39, 16, v39
	v_and_or_b32 v1, v1, s15, v39
	v_lshlrev_b32_e32 v38, 16, v38
	v_lshlrev_b32_e32 v37, 16, v37
	v_and_or_b32 v2, v2, s15, v38
	v_and_or_b32 v3, v3, s15, v37
	;;#ASMSTART
	v_pk_mul_f16 v1, v31, v1;

	;;#ASMEND
	;;#ASMSTART
	v_pk_mul_f16 v2, v32, v2;

	;;#ASMEND
	;;#ASMSTART
	v_pk_mul_f16 v3, v33, v3;

	;;#ASMEND
	;;#ASMSTART
	v_pk_mul_f16 v4, v34, v4;

	;;#ASMEND
	;;#ASMSTART
	v_pk_add_f16 v1, v1, v2;

	;;#ASMEND
	;;#ASMSTART
	v_pk_add_f16 v1, v1, v3;

	;;#ASMEND
	;; [unrolled: 4-line block ×3, first 2 shown]
	v_lshrrev_b32_e32 v2, 16, v1
	v_and_b32_e32 v1, 0xffff, v1
	;;#ASMSTART
	v_cvt_f32_f16 v37, v1;
	;;#ASMEND
	;;#ASMSTART
	v_cvt_f32_f16 v38, v2;
	;;#ASMEND
	global_load_dwordx4 v[1:4], v[7:8], off offset:2048
	s_waitcnt vmcnt(0)
	v_lshrrev_b32_e32 v41, 16, v1
	v_lshrrev_b32_e32 v40, 16, v2
	;; [unrolled: 1-line block ×3, first 2 shown]
	s_and_saveexec_b64 s[6:7], s[0:1]
	s_cbranch_execz .LBB101_36
; %bb.35:                               ;   in Loop: Header=BB101_30 Depth=1
	v_cmp_gt_i32_e32 vcc, s33, v21
	v_cndmask_b32_e32 v1, 0, v1, vcc
	v_cmp_gt_i32_e32 vcc, s33, v30
	v_cndmask_b32_e32 v41, 0, v41, vcc
	;; [unrolled: 2-line block ×6, first 2 shown]
	v_cmp_gt_i32_e32 vcc, s33, v28
	v_cndmask_b32_sdwa v42, v18, v4, vcc dst_sel:DWORD dst_unused:UNUSED_PAD src0_sel:DWORD src1_sel:WORD_0
	v_and_b32_e32 v4, 0xffff0000, v4
	v_cmp_gt_i32_e32 vcc, s33, v23
	v_cndmask_b32_e32 v4, 0, v4, vcc
	v_or_b32_e32 v4, v42, v4
.LBB101_36:                             ;   in Loop: Header=BB101_30 Depth=1
	s_or_b64 exec, exec, s[6:7]
	v_lshlrev_b32_e32 v41, 16, v41
	v_and_or_b32 v1, v1, s15, v41
	v_lshlrev_b32_e32 v40, 16, v40
	v_lshlrev_b32_e32 v39, 16, v39
	v_and_or_b32 v2, v2, s15, v40
	v_and_or_b32 v3, v3, s15, v39
	;;#ASMSTART
	v_pk_mul_f16 v1, v31, v1;

	;;#ASMEND
	;;#ASMSTART
	v_pk_mul_f16 v2, v32, v2;

	;;#ASMEND
	;; [unrolled: 4-line block ×4, first 2 shown]
	;;#ASMSTART
	v_pk_add_f16 v1, v1, v2;

	;;#ASMEND
	;;#ASMSTART
	v_pk_add_f16 v1, v1, v3;

	;;#ASMEND
	;; [unrolled: 4-line block ×3, first 2 shown]
	v_lshrrev_b32_e32 v2, 16, v1
	v_and_b32_e32 v1, 0xffff, v1
	;;#ASMSTART
	v_cvt_f32_f16 v39, v1;
	;;#ASMEND
	;;#ASMSTART
	v_cvt_f32_f16 v40, v2;
	;;#ASMEND
	global_load_dwordx4 v[1:4], v[7:8], off offset:3072
	s_waitcnt vmcnt(0)
	v_lshrrev_b32_e32 v43, 16, v1
	v_lshrrev_b32_e32 v42, 16, v2
	;; [unrolled: 1-line block ×3, first 2 shown]
	s_and_saveexec_b64 s[6:7], s[0:1]
	s_cbranch_execz .LBB101_38
; %bb.37:                               ;   in Loop: Header=BB101_30 Depth=1
	v_cmp_gt_i32_e32 vcc, s33, v21
	v_cndmask_b32_e32 v1, 0, v1, vcc
	v_cmp_gt_i32_e32 vcc, s33, v30
	v_cndmask_b32_e32 v43, 0, v43, vcc
	;; [unrolled: 2-line block ×6, first 2 shown]
	v_cmp_gt_i32_e32 vcc, s33, v28
	v_cndmask_b32_sdwa v44, v18, v4, vcc dst_sel:DWORD dst_unused:UNUSED_PAD src0_sel:DWORD src1_sel:WORD_0
	v_and_b32_e32 v4, 0xffff0000, v4
	v_cmp_gt_i32_e32 vcc, s33, v23
	v_cndmask_b32_e32 v4, 0, v4, vcc
	v_or_b32_e32 v4, v44, v4
.LBB101_38:                             ;   in Loop: Header=BB101_30 Depth=1
	s_or_b64 exec, exec, s[6:7]
	v_lshlrev_b32_e32 v43, 16, v43
	v_and_or_b32 v1, v1, s15, v43
	v_lshlrev_b32_e32 v42, 16, v42
	v_lshlrev_b32_e32 v41, 16, v41
	v_and_or_b32 v2, v2, s15, v42
	v_and_or_b32 v3, v3, s15, v41
	;;#ASMSTART
	v_pk_mul_f16 v1, v31, v1;

	;;#ASMEND
	;;#ASMSTART
	v_pk_mul_f16 v2, v32, v2;

	;;#ASMEND
	;; [unrolled: 4-line block ×4, first 2 shown]
	;;#ASMSTART
	v_pk_add_f16 v1, v1, v2;

	;;#ASMEND
	;;#ASMSTART
	v_pk_add_f16 v1, v1, v3;

	;;#ASMEND
	;;#ASMSTART
	v_pk_add_f16 v1, v1, v4;

	;;#ASMEND
	v_lshrrev_b32_e32 v2, 16, v1
	v_and_b32_e32 v1, 0xffff, v1
	;;#ASMSTART
	v_cvt_f32_f16 v41, v1;
	;;#ASMEND
	v_add_co_u32_e32 v1, vcc, 0x1000, v7
	;;#ASMSTART
	v_cvt_f32_f16 v42, v2;
	;;#ASMEND
	v_addc_co_u32_e32 v2, vcc, 0, v8, vcc
	global_load_dwordx4 v[1:4], v[1:2], off
	s_waitcnt vmcnt(0)
	v_lshrrev_b32_e32 v43, 16, v1
	v_lshrrev_b32_e32 v8, 16, v2
	;; [unrolled: 1-line block ×3, first 2 shown]
	s_and_saveexec_b64 s[6:7], s[0:1]
	s_cbranch_execz .LBB101_29
; %bb.39:                               ;   in Loop: Header=BB101_30 Depth=1
	v_cmp_gt_i32_e32 vcc, s33, v21
	v_cndmask_b32_e32 v1, 0, v1, vcc
	v_cmp_gt_i32_e32 vcc, s33, v30
	v_cndmask_b32_e32 v43, 0, v43, vcc
	;; [unrolled: 2-line block ×6, first 2 shown]
	v_cmp_gt_i32_e32 vcc, s33, v28
	v_cndmask_b32_sdwa v21, v18, v4, vcc dst_sel:DWORD dst_unused:UNUSED_PAD src0_sel:DWORD src1_sel:WORD_0
	v_and_b32_e32 v4, 0xffff0000, v4
	v_cmp_gt_i32_e32 vcc, s33, v23
	v_cndmask_b32_e32 v4, 0, v4, vcc
	v_or_b32_e32 v4, v21, v4
	s_branch .LBB101_29
.LBB101_40:
	s_or_b64 exec, exec, s[4:5]
.LBB101_41:
	s_or_b64 exec, exec, s[2:3]
	ds_bpermute_b32 v2, v10, v17
	ds_bpermute_b32 v1, v10, v16
	;; [unrolled: 1-line block ×5, first 2 shown]
	s_waitcnt lgkmcnt(4)
	v_add_f32_e32 v2, v17, v2
	s_waitcnt lgkmcnt(3)
	v_add_f32_e32 v1, v16, v1
	ds_bpermute_b32 v6, v11, v2
	s_waitcnt lgkmcnt(3)
	v_add_f32_e32 v3, v15, v3
	s_waitcnt lgkmcnt(2)
	v_add_f32_e32 v10, v14, v4
	;; [unrolled: 2-line block ×3, first 2 shown]
	ds_bpermute_b32 v5, v11, v1
	ds_bpermute_b32 v8, v11, v3
	;; [unrolled: 1-line block ×4, first 2 shown]
	s_waitcnt lgkmcnt(4)
	v_add_f32_e32 v4, v2, v6
	v_and_b32_e32 v6, 0x3c3, v0
	s_waitcnt lgkmcnt(3)
	v_add_f32_e32 v5, v1, v5
	s_waitcnt lgkmcnt(2)
	v_add_f32_e32 v3, v3, v8
	;; [unrolled: 2-line block ×4, first 2 shown]
	v_cmp_eq_u32_e32 vcc, 64, v6
	s_barrier
	s_and_saveexec_b64 s[0:1], vcc
	s_cbranch_execz .LBB101_43
; %bb.42:
	v_add_u32_e32 v7, 0xb0, v9
	ds_write2_b32 v7, v5, v4 offset1:16
	ds_write2_b32 v7, v3, v2 offset0:32 offset1:48
	ds_write_b32 v7, v1 offset:256
.LBB101_43:
	s_or_b64 exec, exec, s[0:1]
	v_cmp_gt_u32_e32 vcc, 64, v0
	v_lshrrev_b32_e32 v0, 2, v0
	s_waitcnt lgkmcnt(0)
	s_barrier
	s_and_saveexec_b64 s[0:1], vcc
	s_cbranch_execz .LBB101_51
; %bb.44:
	v_mov_b32_e32 v7, 0xb0
	v_cmp_eq_u32_e32 vcc, 0, v12
	v_lshl_add_u32 v7, v0, 2, v7
	s_and_saveexec_b64 s[2:3], vcc
	s_cbranch_execnz .LBB101_54
; %bb.45:
	s_or_b64 exec, exec, s[2:3]
	s_and_saveexec_b64 s[2:3], vcc
	s_cbranch_execnz .LBB101_55
.LBB101_46:
	s_or_b64 exec, exec, s[2:3]
	s_and_saveexec_b64 s[2:3], vcc
	s_cbranch_execnz .LBB101_56
.LBB101_47:
	s_or_b64 exec, exec, s[2:3]
	s_and_saveexec_b64 s[2:3], vcc
	s_cbranch_execnz .LBB101_57
.LBB101_48:
	s_or_b64 exec, exec, s[2:3]
	s_and_saveexec_b64 s[2:3], vcc
	s_cbranch_execz .LBB101_50
.LBB101_49:
	ds_read_b32 v7, v7 offset:256
	s_waitcnt lgkmcnt(0)
	v_add_f32_e32 v1, v1, v7
.LBB101_50:
	s_or_b64 exec, exec, s[2:3]
.LBB101_51:
	s_or_b64 exec, exec, s[0:1]
	v_cmp_eq_u32_e32 vcc, 0, v6
	s_barrier
	s_and_saveexec_b64 s[0:1], vcc
	s_cbranch_execz .LBB101_53
; %bb.52:
	s_mul_i32 s0, s10, s11
	s_mul_i32 s0, s0, s9
	s_mulk_i32 s0, 0x50
	s_ashr_i32 s1, s0, 31
	s_lshl_b64 s[0:1], s[0:1], 1
	s_add_u32 s2, s18, s0
	s_mul_i32 s0, s11, s16
	s_addc_u32 s3, s19, s1
	s_ashr_i32 s1, s0, 31
	s_lshl_b64 s[0:1], s[0:1], 1
	s_add_u32 s2, s2, s0
	s_mul_i32 s0, s8, 0x50
	s_addc_u32 s3, s3, s1
	s_ashr_i32 s1, s0, 31
	s_lshl_b64 s[0:1], s[0:1], 1
	s_add_u32 s0, s2, s0
	s_addc_u32 s1, s3, s1
	v_lshlrev_b32_e32 v0, 1, v0
	;;#ASMSTART
	v_cvt_f16_f32 v5, v5;

	;;#ASMEND
	global_store_short v0, v5, s[0:1]
	;;#ASMSTART
	v_cvt_f16_f32 v4, v4;

	;;#ASMEND
	global_store_short v0, v4, s[0:1] offset:32
	;;#ASMSTART
	v_cvt_f16_f32 v3, v3;

	;;#ASMEND
	global_store_short v0, v3, s[0:1] offset:64
	;; [unrolled: 5-line block ×4, first 2 shown]
.LBB101_53:
	s_endpgm
.LBB101_54:
	ds_read_b32 v8, v7
	s_waitcnt lgkmcnt(0)
	v_add_f32_e32 v5, v5, v8
	s_or_b64 exec, exec, s[2:3]
	s_and_saveexec_b64 s[2:3], vcc
	s_cbranch_execz .LBB101_46
.LBB101_55:
	ds_read_b32 v8, v7 offset:64
	s_waitcnt lgkmcnt(0)
	v_add_f32_e32 v4, v4, v8
	s_or_b64 exec, exec, s[2:3]
	s_and_saveexec_b64 s[2:3], vcc
	s_cbranch_execz .LBB101_47
.LBB101_56:
	ds_read_b32 v8, v7 offset:128
	s_waitcnt lgkmcnt(0)
	v_add_f32_e32 v3, v3, v8
	s_or_b64 exec, exec, s[2:3]
	s_and_saveexec_b64 s[2:3], vcc
	s_cbranch_execz .LBB101_48
.LBB101_57:
	ds_read_b32 v8, v7 offset:192
	s_waitcnt lgkmcnt(0)
	v_add_f32_e32 v2, v2, v8
	s_or_b64 exec, exec, s[2:3]
	s_and_saveexec_b64 s[2:3], vcc
	s_cbranch_execnz .LBB101_49
	s_branch .LBB101_50
	.section	.rodata,"a",@progbits
	.p2align	6, 0x0
	.amdhsa_kernel _ZN4vllm25paged_attention_v1_kernelIttLi80ELi32ELi128ELNS_18Fp8KVCacheDataTypeE0ELb0EEEvPT_PKS2_PKT0_S8_ifPKiSA_iPKfiiiSC_SC_iiiii
		.amdhsa_group_segment_fixed_size 176
		.amdhsa_private_segment_fixed_size 0
		.amdhsa_kernarg_size 384
		.amdhsa_user_sgpr_count 6
		.amdhsa_user_sgpr_private_segment_buffer 1
		.amdhsa_user_sgpr_dispatch_ptr 0
		.amdhsa_user_sgpr_queue_ptr 0
		.amdhsa_user_sgpr_kernarg_segment_ptr 1
		.amdhsa_user_sgpr_dispatch_id 0
		.amdhsa_user_sgpr_flat_scratch_init 0
		.amdhsa_user_sgpr_private_segment_size 0
		.amdhsa_uses_dynamic_stack 0
		.amdhsa_system_sgpr_private_segment_wavefront_offset 0
		.amdhsa_system_sgpr_workgroup_id_x 1
		.amdhsa_system_sgpr_workgroup_id_y 1
		.amdhsa_system_sgpr_workgroup_id_z 1
		.amdhsa_system_sgpr_workgroup_info 0
		.amdhsa_system_vgpr_workitem_id 0
		.amdhsa_next_free_vgpr 56
		.amdhsa_next_free_sgpr 35
		.amdhsa_reserve_vcc 1
		.amdhsa_reserve_flat_scratch 0
		.amdhsa_float_round_mode_32 0
		.amdhsa_float_round_mode_16_64 0
		.amdhsa_float_denorm_mode_32 3
		.amdhsa_float_denorm_mode_16_64 3
		.amdhsa_dx10_clamp 1
		.amdhsa_ieee_mode 1
		.amdhsa_fp16_overflow 0
		.amdhsa_exception_fp_ieee_invalid_op 0
		.amdhsa_exception_fp_denorm_src 0
		.amdhsa_exception_fp_ieee_div_zero 0
		.amdhsa_exception_fp_ieee_overflow 0
		.amdhsa_exception_fp_ieee_underflow 0
		.amdhsa_exception_fp_ieee_inexact 0
		.amdhsa_exception_int_div_zero 0
	.end_amdhsa_kernel
	.section	.text._ZN4vllm25paged_attention_v1_kernelIttLi80ELi32ELi128ELNS_18Fp8KVCacheDataTypeE0ELb0EEEvPT_PKS2_PKT0_S8_ifPKiSA_iPKfiiiSC_SC_iiiii,"axG",@progbits,_ZN4vllm25paged_attention_v1_kernelIttLi80ELi32ELi128ELNS_18Fp8KVCacheDataTypeE0ELb0EEEvPT_PKS2_PKT0_S8_ifPKiSA_iPKfiiiSC_SC_iiiii,comdat
.Lfunc_end101:
	.size	_ZN4vllm25paged_attention_v1_kernelIttLi80ELi32ELi128ELNS_18Fp8KVCacheDataTypeE0ELb0EEEvPT_PKS2_PKT0_S8_ifPKiSA_iPKfiiiSC_SC_iiiii, .Lfunc_end101-_ZN4vllm25paged_attention_v1_kernelIttLi80ELi32ELi128ELNS_18Fp8KVCacheDataTypeE0ELb0EEEvPT_PKS2_PKT0_S8_ifPKiSA_iPKfiiiSC_SC_iiiii
                                        ; -- End function
	.set _ZN4vllm25paged_attention_v1_kernelIttLi80ELi32ELi128ELNS_18Fp8KVCacheDataTypeE0ELb0EEEvPT_PKS2_PKT0_S8_ifPKiSA_iPKfiiiSC_SC_iiiii.num_vgpr, 56
	.set _ZN4vllm25paged_attention_v1_kernelIttLi80ELi32ELi128ELNS_18Fp8KVCacheDataTypeE0ELb0EEEvPT_PKS2_PKT0_S8_ifPKiSA_iPKfiiiSC_SC_iiiii.num_agpr, 0
	.set _ZN4vllm25paged_attention_v1_kernelIttLi80ELi32ELi128ELNS_18Fp8KVCacheDataTypeE0ELb0EEEvPT_PKS2_PKT0_S8_ifPKiSA_iPKfiiiSC_SC_iiiii.numbered_sgpr, 35
	.set _ZN4vllm25paged_attention_v1_kernelIttLi80ELi32ELi128ELNS_18Fp8KVCacheDataTypeE0ELb0EEEvPT_PKS2_PKT0_S8_ifPKiSA_iPKfiiiSC_SC_iiiii.num_named_barrier, 0
	.set _ZN4vllm25paged_attention_v1_kernelIttLi80ELi32ELi128ELNS_18Fp8KVCacheDataTypeE0ELb0EEEvPT_PKS2_PKT0_S8_ifPKiSA_iPKfiiiSC_SC_iiiii.private_seg_size, 0
	.set _ZN4vllm25paged_attention_v1_kernelIttLi80ELi32ELi128ELNS_18Fp8KVCacheDataTypeE0ELb0EEEvPT_PKS2_PKT0_S8_ifPKiSA_iPKfiiiSC_SC_iiiii.uses_vcc, 1
	.set _ZN4vllm25paged_attention_v1_kernelIttLi80ELi32ELi128ELNS_18Fp8KVCacheDataTypeE0ELb0EEEvPT_PKS2_PKT0_S8_ifPKiSA_iPKfiiiSC_SC_iiiii.uses_flat_scratch, 0
	.set _ZN4vllm25paged_attention_v1_kernelIttLi80ELi32ELi128ELNS_18Fp8KVCacheDataTypeE0ELb0EEEvPT_PKS2_PKT0_S8_ifPKiSA_iPKfiiiSC_SC_iiiii.has_dyn_sized_stack, 0
	.set _ZN4vllm25paged_attention_v1_kernelIttLi80ELi32ELi128ELNS_18Fp8KVCacheDataTypeE0ELb0EEEvPT_PKS2_PKT0_S8_ifPKiSA_iPKfiiiSC_SC_iiiii.has_recursion, 0
	.set _ZN4vllm25paged_attention_v1_kernelIttLi80ELi32ELi128ELNS_18Fp8KVCacheDataTypeE0ELb0EEEvPT_PKS2_PKT0_S8_ifPKiSA_iPKfiiiSC_SC_iiiii.has_indirect_call, 0
	.section	.AMDGPU.csdata,"",@progbits
; Kernel info:
; codeLenInByte = 5716
; TotalNumSgprs: 39
; NumVgprs: 56
; ScratchSize: 0
; MemoryBound: 0
; FloatMode: 240
; IeeeMode: 1
; LDSByteSize: 176 bytes/workgroup (compile time only)
; SGPRBlocks: 4
; VGPRBlocks: 13
; NumSGPRsForWavesPerEU: 39
; NumVGPRsForWavesPerEU: 56
; Occupancy: 4
; WaveLimiterHint : 1
; COMPUTE_PGM_RSRC2:SCRATCH_EN: 0
; COMPUTE_PGM_RSRC2:USER_SGPR: 6
; COMPUTE_PGM_RSRC2:TRAP_HANDLER: 0
; COMPUTE_PGM_RSRC2:TGID_X_EN: 1
; COMPUTE_PGM_RSRC2:TGID_Y_EN: 1
; COMPUTE_PGM_RSRC2:TGID_Z_EN: 1
; COMPUTE_PGM_RSRC2:TIDIG_COMP_CNT: 0
	.section	.text._ZN4vllm25paged_attention_v1_kernelIttLi96ELi32ELi128ELNS_18Fp8KVCacheDataTypeE0ELb0EEEvPT_PKS2_PKT0_S8_ifPKiSA_iPKfiiiSC_SC_iiiii,"axG",@progbits,_ZN4vllm25paged_attention_v1_kernelIttLi96ELi32ELi128ELNS_18Fp8KVCacheDataTypeE0ELb0EEEvPT_PKS2_PKT0_S8_ifPKiSA_iPKfiiiSC_SC_iiiii,comdat
	.protected	_ZN4vllm25paged_attention_v1_kernelIttLi96ELi32ELi128ELNS_18Fp8KVCacheDataTypeE0ELb0EEEvPT_PKS2_PKT0_S8_ifPKiSA_iPKfiiiSC_SC_iiiii ; -- Begin function _ZN4vllm25paged_attention_v1_kernelIttLi96ELi32ELi128ELNS_18Fp8KVCacheDataTypeE0ELb0EEEvPT_PKS2_PKT0_S8_ifPKiSA_iPKfiiiSC_SC_iiiii
	.globl	_ZN4vllm25paged_attention_v1_kernelIttLi96ELi32ELi128ELNS_18Fp8KVCacheDataTypeE0ELb0EEEvPT_PKS2_PKT0_S8_ifPKiSA_iPKfiiiSC_SC_iiiii
	.p2align	8
	.type	_ZN4vllm25paged_attention_v1_kernelIttLi96ELi32ELi128ELNS_18Fp8KVCacheDataTypeE0ELb0EEEvPT_PKS2_PKT0_S8_ifPKiSA_iPKfiiiSC_SC_iiiii,@function
_ZN4vllm25paged_attention_v1_kernelIttLi96ELi32ELi128ELNS_18Fp8KVCacheDataTypeE0ELb0EEEvPT_PKS2_PKT0_S8_ifPKiSA_iPKfiiiSC_SC_iiiii: ; @_ZN4vllm25paged_attention_v1_kernelIttLi96ELi32ELi128ELNS_18Fp8KVCacheDataTypeE0ELb0EEEvPT_PKS2_PKT0_S8_ifPKiSA_iPKfiiiSC_SC_iiiii
; %bb.0:
	s_load_dword s9, s[4:5], 0x80
	s_load_dwordx2 s[0:1], s[4:5], 0x30
	s_load_dwordx2 s[26:27], s[4:5], 0x20
	s_mov_b32 s10, s7
	s_ashr_i32 s11, s7, 31
	s_lshl_b64 s[2:3], s[10:11], 2
	s_waitcnt lgkmcnt(0)
	s_add_u32 s0, s0, s2
	s_addc_u32 s1, s1, s3
	s_abs_i32 s2, s26
	v_cvt_f32_u32_e32 v1, s2
	s_sub_i32 s11, 0, s2
	s_abs_i32 s7, s9
	s_xor_b32 s3, s9, s26
	v_rcp_iflag_f32_e32 v1, v1
	s_ashr_i32 s3, s3, 31
	s_mov_b32 s26, 0
	v_mul_f32_e32 v1, 0x4f7ffffe, v1
	v_cvt_u32_f32_e32 v1, v1
	v_readfirstlane_b32 s12, v1
	s_mul_i32 s11, s11, s12
	s_mul_hi_u32 s11, s12, s11
	s_add_i32 s12, s12, s11
	s_mul_hi_u32 s11, s7, s12
	s_mul_i32 s12, s11, s2
	s_sub_i32 s7, s7, s12
	s_add_i32 s12, s11, 1
	s_sub_i32 s13, s7, s2
	s_cmp_ge_u32 s7, s2
	s_cselect_b32 s11, s12, s11
	s_cselect_b32 s7, s13, s7
	s_add_i32 s12, s11, 1
	s_cmp_ge_u32 s7, s2
	s_cselect_b32 s2, s12, s11
	s_xor_b32 s2, s2, s3
	s_sub_i32 s12, s2, s3
	s_abs_i32 s11, s12
	v_cvt_f32_u32_e32 v1, s11
	s_load_dwordx2 s[2:3], s[4:5], 0x40
	s_sub_i32 s7, 0, s11
	s_abs_i32 s18, s6
	v_rcp_iflag_f32_e32 v1, v1
	v_mul_f32_e32 v1, 0x4f7ffffe, v1
	v_cvt_u32_f32_e32 v1, v1
	v_readfirstlane_b32 s13, v1
	s_mul_i32 s7, s7, s13
	s_mul_hi_u32 s7, s13, s7
	s_add_i32 s13, s13, s7
	s_waitcnt lgkmcnt(0)
	s_cmp_eq_u64 s[2:3], 0
	s_mul_hi_u32 s19, s18, s13
	s_cbranch_scc1 .LBB102_2
; %bb.1:
	s_ashr_i32 s7, s6, 31
	s_lshl_b64 s[14:15], s[6:7], 2
	s_add_u32 s2, s2, s14
	s_addc_u32 s3, s3, s15
	s_load_dword s26, s[2:3], 0x0
.LBB102_2:
	s_load_dword s33, s[0:1], 0x0
	s_ashr_i32 s3, s12, 31
	s_load_dwordx4 s[12:15], s[4:5], 0x48
	s_ashr_i32 s2, s6, 31
	v_and_b32_e32 v1, 1, v0
	s_movk_i32 s7, 0x60
	s_mul_i32 s16, s6, 0x60
	v_cmp_gt_u32_e32 vcc, 24, v0
	v_lshlrev_b32_e32 v26, 3, v0
	s_and_saveexec_b64 s[0:1], vcc
	s_cbranch_execz .LBB102_4
; %bb.3:
	s_load_dwordx2 s[20:21], s[4:5], 0x8
	s_waitcnt lgkmcnt(0)
	s_mul_i32 s22, s12, s10
	s_ashr_i32 s23, s22, 31
	s_lshl_b64 s[22:23], s[22:23], 1
	v_lshlrev_b32_e32 v4, 2, v0
	s_add_u32 s6, s20, s22
	s_addc_u32 s12, s21, s23
	s_ashr_i32 s17, s16, 31
	s_lshl_b64 s[20:21], s[16:17], 1
	s_add_u32 s20, s6, s20
	s_addc_u32 s21, s12, s21
	global_load_dwordx2 v[2:3], v26, s[20:21]
	v_and_b32_e32 v4, 0xff8, v4
	v_mad_u32_u24 v4, v1, s7, v4
	s_waitcnt vmcnt(0)
	ds_write_b64 v4, v[2:3]
.LBB102_4:
	s_or_b64 exec, exec, s[0:1]
	s_waitcnt lgkmcnt(0)
	s_add_i32 s1, s33, 31
	s_ashr_i32 s6, s1, 31
	s_lshr_b32 s6, s6, 27
	s_add_i32 s1, s1, s6
	s_ashr_i32 s12, s1, 5
	s_xor_b32 s1, s2, s3
	s_mul_i32 s2, s19, s11
	s_sub_i32 s2, s18, s2
	s_add_i32 s3, s19, 1
	s_sub_i32 s6, s2, s11
	s_load_dwordx2 s[20:21], s[4:5], 0x28
	s_load_dword s0, s[4:5], 0x38
	s_cmp_ge_u32 s2, s11
	s_cselect_b32 s3, s3, s19
	s_cselect_b32 s2, s6, s2
	s_add_i32 s6, s3, 1
	s_cmp_ge_u32 s2, s11
	s_cselect_b32 s2, s6, s3
	v_lshrrev_b32_e32 v25, 6, v0
	s_xor_b32 s2, s2, s1
	s_waitcnt lgkmcnt(0)
	s_mul_i32 s22, s0, s10
	s_sub_i32 s15, s2, s1
	s_ashr_i32 s23, s22, 31
	v_cmp_gt_i32_e64 s[0:1], s12, v25
	v_cmp_le_i32_e32 vcc, s12, v25
	v_mbcnt_lo_u32_b32 v3, -1, 0
	s_barrier
                                        ; implicit-def: $vgpr28
                                        ; implicit-def: $vgpr29
                                        ; implicit-def: $vgpr30
	s_and_saveexec_b64 s[2:3], vcc
	s_xor_b64 s[2:3], exec, s[2:3]
; %bb.5:
	v_mbcnt_hi_u32_b32 v28, -1, v3
	v_and_b32_e32 v29, 64, v28
	v_add_u32_e32 v30, 64, v29
                                        ; implicit-def: $vgpr1
                                        ; implicit-def: $vgpr3
; %bb.6:
	s_or_saveexec_b64 s[6:7], s[2:3]
	s_load_dwordx2 s[18:19], s[4:5], 0x0
	s_load_dwordx2 s[24:25], s[4:5], 0x18
	s_load_dword s11, s[4:5], 0x88
	v_mov_b32_e32 v31, 0xff7fffff
	s_mul_i32 s14, s15, s14
	v_lshrrev_b32_e32 v27, 4, v0
	s_xor_b64 exec, exec, s[6:7]
	s_cbranch_execz .LBB102_12
; %bb.7:
	s_load_dwordx2 s[2:3], s[4:5], 0x10
	s_ashr_i32 s15, s14, 31
	s_lshl_b64 s[4:5], s[14:15], 1
	v_bfe_u32 v2, v0, 1, 5
	v_lshlrev_b32_e32 v4, 4, v2
	s_waitcnt lgkmcnt(0)
	s_add_u32 s2, s2, s4
	s_addc_u32 s3, s3, s5
	v_mov_b32_e32 v5, s3
	v_add_co_u32_e32 v4, vcc, s2, v4
	v_addc_co_u32_e32 v5, vcc, 0, v5, vcc
	v_and_b32_e32 v6, 8, v26
	v_add_co_u32_e32 v32, vcc, v4, v6
	v_addc_co_u32_e32 v33, vcc, 0, v5, vcc
	v_mul_u32_u24_e32 v34, 0x60, v1
	v_cmp_eq_u32_e32 vcc, 0, v1
	s_sub_i32 s15, 1, s33
	v_lshlrev_b32_e32 v1, 2, v2
	s_lshl_b64 s[4:5], s[22:23], 2
	v_lshl_or_b32 v1, v25, 7, v1
	s_add_u32 s4, s20, s4
	v_add_u32_e32 v36, 0xd0, v1
	v_and_b32_e32 v1, 60, v27
	s_addc_u32 s5, s21, s5
	v_mbcnt_hi_u32_b32 v28, -1, v3
	v_lshl_or_b32 v35, v25, 5, v2
	v_mov_b32_e32 v2, s5
	v_add_co_u32_e64 v1, s[4:5], s4, v1
	v_and_b32_e32 v29, 64, v28
	s_mov_b32 s17, s13
	v_cmp_neq_f32_e64 s[2:3], s26, 0
	v_addc_co_u32_e64 v2, s[4:5], 0, v2, s[4:5]
	v_mov_b32_e32 v31, 0xff7fffff
	s_mov_b64 s[28:29], 0
	s_movk_i32 s34, 0x1000
	v_xor_b32_e32 v37, 1, v28
	v_add_u32_e32 v30, 64, v29
	v_mov_b32_e32 v38, v25
	s_branch .LBB102_9
.LBB102_8:                              ;   in Loop: Header=BB102_9 Depth=1
	s_or_b64 exec, exec, s[30:31]
	v_add_u32_e32 v38, 2, v38
	v_cmp_le_i32_e64 s[4:5], s12, v38
	s_or_b64 s[28:29], s[4:5], s[28:29]
	v_add_co_u32_e64 v1, s[4:5], 8, v1
	v_add_u32_e32 v35, 64, v35
	v_add_u32_e32 v36, 0x100, v36
	v_addc_co_u32_e64 v2, s[4:5], 0, v2, s[4:5]
	s_andn2_b64 exec, exec, s[28:29]
	s_cbranch_execz .LBB102_11
.LBB102_9:                              ; =>This Inner Loop Header: Depth=1
	global_load_dword v3, v[1:2], off
	s_waitcnt vmcnt(0) lgkmcnt(0)
	v_mad_i64_i32 v[3:4], s[4:5], v3, s17, 0
	v_lshlrev_b64 v[3:4], 1, v[3:4]
	v_add_co_u32_e64 v3, s[4:5], v32, v3
	v_addc_co_u32_e64 v4, s[4:5], v33, v4, s[4:5]
	global_load_dwordx2 v[5:6], v[3:4], off
	global_load_dwordx2 v[23:24], v[3:4], off offset:512
	global_load_dwordx2 v[21:22], v[3:4], off offset:1024
	;; [unrolled: 1-line block ×4, first 2 shown]
	ds_read_b64 v[7:8], v34
	v_add_co_u32_e64 v39, s[4:5], s34, v3
	v_addc_co_u32_e64 v40, s[4:5], 0, v4, s[4:5]
	s_waitcnt lgkmcnt(0)
	v_lshrrev_b32_e32 v42, 16, v7
	v_and_b32_e32 v41, 0xffff, v7
	v_lshrrev_b32_e32 v46, 16, v8
	v_and_b32_e32 v45, 0xffff, v8
	global_load_dwordx2 v[15:16], v[3:4], off offset:2560
	global_load_dwordx2 v[13:14], v[3:4], off offset:3072
	;; [unrolled: 1-line block ×3, first 2 shown]
	global_load_dwordx2 v[9:10], v[39:40], off
	global_load_dwordx2 v[7:8], v[39:40], off offset:512
	v_cmp_lt_i32_e64 s[4:5], v37, v30
	s_waitcnt vmcnt(9)
	v_lshrrev_b32_e32 v44, 16, v5
	v_and_b32_e32 v43, 0xffff, v5
	v_lshrrev_b32_e32 v48, 16, v6
	v_and_b32_e32 v47, 0xffff, v6
	global_load_dwordx2 v[5:6], v[39:40], off offset:1024
	global_load_dwordx2 v[3:4], v[39:40], off offset:1536
	;;#ASMSTART
	v_cvt_f32_f16 v41, v41;
	;;#ASMEND
	;;#ASMSTART
	v_cvt_f32_f16 v42, v42;
	;;#ASMEND
	;; [unrolled: 3-line block ×8, first 2 shown]
	ds_read_b64 v[39:40], v34 offset:8
	s_waitcnt lgkmcnt(0)
	v_and_b32_e32 v49, 0xffff, v39
	v_lshrrev_b32_e32 v39, 16, v39
	;;#ASMSTART
	v_cvt_f32_f16 v49, v49;
	;;#ASMEND
	;;#ASMSTART
	v_cvt_f32_f16 v50, v39;
	;;#ASMEND
	s_waitcnt vmcnt(10)
	v_and_b32_e32 v39, 0xffff, v23
	v_lshrrev_b32_e32 v23, 16, v23
	;;#ASMSTART
	v_cvt_f32_f16 v39, v39;
	;;#ASMEND
	;;#ASMSTART
	v_cvt_f32_f16 v23, v23;
	;;#ASMEND
	v_mul_f32_e32 v39, v49, v39
	v_mul_f32_e32 v23, v50, v23
	v_fmac_f32_e32 v39, v41, v43
	v_fmac_f32_e32 v23, v42, v44
	v_and_b32_e32 v41, 0xffff, v24
	v_lshrrev_b32_e32 v42, 16, v24
	v_and_b32_e32 v24, 0xffff, v40
	v_lshrrev_b32_e32 v43, 16, v40
	;;#ASMSTART
	v_cvt_f32_f16 v24, v24;
	;;#ASMEND
	;;#ASMSTART
	v_cvt_f32_f16 v40, v43;
	;;#ASMEND
	;; [unrolled: 3-line block ×3, first 2 shown]
	v_mul_f32_e32 v24, v24, v41
	;;#ASMSTART
	v_cvt_f32_f16 v43, v42;
	;;#ASMEND
	ds_read_b64 v[41:42], v34 offset:16
	v_mul_f32_e32 v40, v40, v43
	s_waitcnt vmcnt(9)
	v_and_b32_e32 v44, 0xffff, v21
	v_lshrrev_b32_e32 v21, 16, v21
	v_fmac_f32_e32 v24, v45, v47
	s_waitcnt lgkmcnt(0)
	v_and_b32_e32 v43, 0xffff, v41
	v_lshrrev_b32_e32 v45, 16, v41
	;;#ASMSTART
	v_cvt_f32_f16 v41, v43;
	;;#ASMEND
	;;#ASMSTART
	v_cvt_f32_f16 v43, v45;
	;;#ASMEND
	;; [unrolled: 3-line block ×4, first 2 shown]
	v_fmac_f32_e32 v40, v46, v48
	v_fmac_f32_e32 v39, v41, v44
	v_and_b32_e32 v41, 0xffff, v22
	s_waitcnt vmcnt(8)
	v_and_b32_e32 v45, 0xffff, v19
	v_fmac_f32_e32 v23, v43, v21
	v_lshrrev_b32_e32 v46, 16, v19
	v_lshrrev_b32_e32 v21, 16, v42
	v_and_b32_e32 v19, 0xffff, v42
	v_lshrrev_b32_e32 v44, 16, v22
	;;#ASMSTART
	v_cvt_f32_f16 v19, v19;
	;;#ASMEND
	;;#ASMSTART
	v_cvt_f32_f16 v21, v21;
	;;#ASMEND
	;; [unrolled: 3-line block ×4, first 2 shown]
	ds_read_b64 v[41:42], v34 offset:24
	v_fmac_f32_e32 v24, v19, v22
	v_and_b32_e32 v44, 0xffff, v20
	v_lshrrev_b32_e32 v47, 16, v20
	s_waitcnt vmcnt(7)
	v_and_b32_e32 v48, 0xffff, v17
	s_waitcnt lgkmcnt(0)
	v_and_b32_e32 v19, 0xffff, v41
	v_lshrrev_b32_e32 v20, 16, v41
	;;#ASMSTART
	v_cvt_f32_f16 v19, v19;
	;;#ASMEND
	;;#ASMSTART
	v_cvt_f32_f16 v41, v20;
	;;#ASMEND
	;; [unrolled: 3-line block ×3, first 2 shown]
	v_fmac_f32_e32 v39, v19, v20
	v_lshrrev_b32_e32 v20, 16, v17
	;;#ASMSTART
	v_cvt_f32_f16 v17, v46;
	;;#ASMEND
	v_fmac_f32_e32 v40, v21, v43
	v_and_b32_e32 v19, 0xffff, v18
	v_lshrrev_b32_e32 v21, 16, v18
	v_fmac_f32_e32 v23, v41, v17
	v_lshrrev_b32_e32 v18, 16, v42
	v_and_b32_e32 v17, 0xffff, v42
	;;#ASMSTART
	v_cvt_f32_f16 v17, v17;
	;;#ASMEND
	;;#ASMSTART
	v_cvt_f32_f16 v18, v18;
	;;#ASMEND
	;; [unrolled: 3-line block ×4, first 2 shown]
	ds_read_b64 v[45:46], v34 offset:32
	v_fmac_f32_e32 v24, v17, v41
	v_fmac_f32_e32 v40, v18, v44
	s_waitcnt vmcnt(5)
	v_and_b32_e32 v44, 0xffff, v14
	v_and_b32_e32 v22, 0xffff, v15
	s_waitcnt lgkmcnt(0)
	v_and_b32_e32 v17, 0xffff, v45
	v_lshrrev_b32_e32 v18, 16, v45
	;;#ASMSTART
	v_cvt_f32_f16 v17, v17;
	;;#ASMEND
	;;#ASMSTART
	v_cvt_f32_f16 v18, v18;
	;;#ASMEND
	;; [unrolled: 3-line block ×3, first 2 shown]
	v_lshrrev_b32_e32 v45, 16, v14
	;;#ASMSTART
	v_cvt_f32_f16 v14, v20;
	;;#ASMEND
	v_fmac_f32_e32 v39, v17, v41
	s_waitcnt vmcnt(4)
	v_and_b32_e32 v17, 0xffff, v11
	v_fmac_f32_e32 v23, v18, v14
	v_lshrrev_b32_e32 v18, 16, v11
	v_lshrrev_b32_e32 v14, 16, v46
	v_and_b32_e32 v11, 0xffff, v46
	;;#ASMSTART
	v_cvt_f32_f16 v11, v11;
	;;#ASMEND
	;;#ASMSTART
	v_cvt_f32_f16 v14, v14;
	;;#ASMEND
	;; [unrolled: 3-line block ×4, first 2 shown]
	ds_read_b64 v[46:47], v34 offset:40
	v_fmac_f32_e32 v24, v11, v19
	v_and_b32_e32 v19, 0xffff, v12
	v_lshrrev_b32_e32 v20, 16, v12
	v_fmac_f32_e32 v40, v14, v41
	s_waitcnt lgkmcnt(0)
	v_and_b32_e32 v11, 0xffff, v46
	v_lshrrev_b32_e32 v12, 16, v46
	;;#ASMSTART
	v_cvt_f32_f16 v11, v11;
	;;#ASMEND
	;;#ASMSTART
	v_cvt_f32_f16 v12, v12;
	;;#ASMEND
	;; [unrolled: 3-line block ×3, first 2 shown]
	v_lshrrev_b32_e32 v15, 16, v15
	v_fmac_f32_e32 v39, v11, v14
	v_lshrrev_b32_e32 v11, 16, v47
	v_and_b32_e32 v14, 0xffff, v47
	v_and_b32_e32 v42, 0xffff, v16
	v_lshrrev_b32_e32 v43, 16, v16
	s_waitcnt vmcnt(3)
	v_and_b32_e32 v21, 0xffff, v9
	v_lshrrev_b32_e32 v22, 16, v9
	;;#ASMSTART
	v_cvt_f32_f16 v9, v15;
	;;#ASMEND
	;;#ASMSTART
	v_cvt_f32_f16 v14, v14;
	;;#ASMEND
	;; [unrolled: 3-line block ×5, first 2 shown]
	v_fmac_f32_e32 v23, v12, v9
	ds_read_b64 v[11:12], v34 offset:48
	v_and_b32_e32 v16, 0xffff, v13
	v_lshrrev_b32_e32 v13, 16, v13
	v_and_b32_e32 v41, 0xffff, v10
	v_lshrrev_b32_e32 v43, 16, v10
	v_fmac_f32_e32 v24, v14, v46
	v_fmac_f32_e32 v40, v15, v47
	s_waitcnt lgkmcnt(0)
	v_and_b32_e32 v9, 0xffff, v11
	v_lshrrev_b32_e32 v10, 16, v11
	v_lshrrev_b32_e32 v14, 16, v12
	v_and_b32_e32 v15, 0xffff, v12
	;;#ASMSTART
	v_cvt_f32_f16 v46, v9;
	;;#ASMEND
	;;#ASMSTART
	v_cvt_f32_f16 v11, v10;
	;;#ASMEND
	;; [unrolled: 3-line block ×8, first 2 shown]
	ds_read_b64 v[9:10], v34 offset:56
	v_fmac_f32_e32 v23, v11, v12
	v_fmac_f32_e32 v40, v14, v16
	;; [unrolled: 1-line block ×4, first 2 shown]
	s_waitcnt lgkmcnt(0)
	v_and_b32_e32 v11, 0xffff, v9
	v_lshrrev_b32_e32 v9, 16, v9
	v_lshrrev_b32_e32 v16, 16, v10
	v_and_b32_e32 v10, 0xffff, v10
	;;#ASMSTART
	v_cvt_f32_f16 v11, v11;
	;;#ASMEND
	;;#ASMSTART
	v_cvt_f32_f16 v12, v9;
	;;#ASMEND
	;; [unrolled: 3-line block ×8, first 2 shown]
	ds_read_b64 v[9:10], v34 offset:64
	v_fmac_f32_e32 v39, v11, v13
	v_fmac_f32_e32 v40, v16, v18
	;; [unrolled: 1-line block ×4, first 2 shown]
	s_waitcnt lgkmcnt(0)
	v_and_b32_e32 v11, 0xffff, v9
	v_lshrrev_b32_e32 v9, 16, v9
	v_lshrrev_b32_e32 v16, 16, v10
	v_and_b32_e32 v10, 0xffff, v10
	;;#ASMSTART
	v_cvt_f32_f16 v11, v11;
	;;#ASMEND
	;;#ASMSTART
	v_cvt_f32_f16 v12, v9;
	;;#ASMEND
	;; [unrolled: 3-line block ×8, first 2 shown]
	ds_read_b64 v[9:10], v34 offset:72
	s_waitcnt vmcnt(2)
	v_and_b32_e32 v42, 0xffff, v7
	v_lshrrev_b32_e32 v7, 16, v7
	v_fmac_f32_e32 v39, v11, v13
	v_fmac_f32_e32 v23, v12, v14
	s_waitcnt lgkmcnt(0)
	v_and_b32_e32 v11, 0xffff, v9
	v_lshrrev_b32_e32 v12, 16, v9
	v_lshrrev_b32_e32 v14, 16, v10
	v_and_b32_e32 v13, 0xffff, v10
	;;#ASMSTART
	v_cvt_f32_f16 v9, v11;
	;;#ASMEND
	;;#ASMSTART
	v_cvt_f32_f16 v10, v12;
	;;#ASMEND
	;; [unrolled: 3-line block ×4, first 2 shown]
	v_lshrrev_b32_e32 v7, 16, v8
	v_and_b32_e32 v8, 0xffff, v8
	v_fmac_f32_e32 v24, v15, v17
	v_fmac_f32_e32 v40, v16, v18
	;;#ASMSTART
	v_cvt_f32_f16 v13, v13;
	;;#ASMEND
	;;#ASMSTART
	v_cvt_f32_f16 v14, v14;
	;;#ASMEND
	;; [unrolled: 3-line block ×4, first 2 shown]
	ds_read_b64 v[7:8], v34 offset:80
	v_fmac_f32_e32 v39, v9, v11
	v_fmac_f32_e32 v23, v10, v12
	s_waitcnt vmcnt(1)
	v_and_b32_e32 v10, 0xffff, v5
	v_lshrrev_b32_e32 v5, 16, v5
	s_waitcnt lgkmcnt(0)
	v_lshrrev_b32_e32 v9, 16, v7
	v_and_b32_e32 v7, 0xffff, v7
	;;#ASMSTART
	v_cvt_f32_f16 v7, v7;
	;;#ASMEND
	;;#ASMSTART
	v_cvt_f32_f16 v9, v9;
	;;#ASMEND
	;; [unrolled: 3-line block ×4, first 2 shown]
	v_lshrrev_b32_e32 v5, 16, v8
	v_and_b32_e32 v8, 0xffff, v8
	;;#ASMSTART
	v_cvt_f32_f16 v8, v8;
	;;#ASMEND
	;;#ASMSTART
	v_cvt_f32_f16 v12, v5;
	;;#ASMEND
	v_lshrrev_b32_e32 v5, 16, v6
	v_and_b32_e32 v6, 0xffff, v6
	v_fmac_f32_e32 v24, v13, v15
	v_fmac_f32_e32 v40, v14, v16
	;;#ASMSTART
	v_cvt_f32_f16 v13, v6;
	;;#ASMEND
	;;#ASMSTART
	v_cvt_f32_f16 v14, v5;
	;;#ASMEND
	ds_read_b64 v[5:6], v34 offset:88
	v_fmac_f32_e32 v39, v7, v10
	v_fmac_f32_e32 v24, v8, v13
	s_waitcnt vmcnt(0)
	v_lshrrev_b32_e32 v8, 16, v3
	v_and_b32_e32 v3, 0xffff, v3
	s_waitcnt lgkmcnt(0)
	v_lshrrev_b32_e32 v7, 16, v5
	v_and_b32_e32 v5, 0xffff, v5
	;;#ASMSTART
	v_cvt_f32_f16 v5, v5;
	;;#ASMEND
	;;#ASMSTART
	v_cvt_f32_f16 v7, v7;
	;;#ASMEND
	;; [unrolled: 3-line block ×3, first 2 shown]
	v_fmac_f32_e32 v23, v9, v11
	v_fmac_f32_e32 v39, v5, v3
	v_and_b32_e32 v3, 0xffff, v6
	;;#ASMSTART
	v_cvt_f32_f16 v8, v8;
	;;#ASMEND
	v_fmac_f32_e32 v23, v7, v8
	v_lshrrev_b32_e32 v5, 16, v6
	;;#ASMSTART
	v_cvt_f32_f16 v3, v3;
	;;#ASMEND
	v_lshrrev_b32_e32 v6, 16, v4
	v_and_b32_e32 v4, 0xffff, v4
	v_fmac_f32_e32 v40, v12, v14
	;;#ASMSTART
	v_cvt_f32_f16 v5, v5;
	;;#ASMEND
	;;#ASMSTART
	v_cvt_f32_f16 v4, v4;
	;;#ASMEND
	v_fmac_f32_e32 v24, v3, v4
	v_add_f32_e32 v3, v39, v23
	;;#ASMSTART
	v_cvt_f32_f16 v6, v6;
	;;#ASMEND
	v_fmac_f32_e32 v40, v5, v6
	v_add_f32_e32 v3, v3, v24
	v_cndmask_b32_e64 v4, v28, v37, s[4:5]
	v_add_f32_e32 v3, v40, v3
	v_lshlrev_b32_e32 v4, 2, v4
	ds_bpermute_b32 v4, v4, v3
	s_and_saveexec_b64 s[30:31], vcc
	s_cbranch_execz .LBB102_8
; %bb.10:                               ;   in Loop: Header=BB102_9 Depth=1
	v_add_u32_e32 v5, s15, v35
	v_cvt_f32_i32_e32 v5, v5
	s_waitcnt lgkmcnt(0)
	v_add_f32_e32 v3, v3, v4
	v_cmp_gt_i32_e64 s[4:5], s33, v35
	v_max_f32_e32 v4, v31, v31
	v_mul_f32_e32 v5, s26, v5
	v_cndmask_b32_e64 v5, 0, v5, s[2:3]
	v_fmac_f32_e32 v5, s27, v3
	v_cndmask_b32_e64 v3, 0, v5, s[4:5]
	ds_write_b32 v36, v3
	v_max_f32_e32 v3, v4, v5
	v_cndmask_b32_e64 v31, v31, v3, s[4:5]
	s_branch .LBB102_8
.LBB102_11:
	s_or_b64 exec, exec, s[28:29]
.LBB102_12:
	s_or_b64 exec, exec, s[6:7]
	v_xor_b32_e32 v1, 32, v28
	v_cmp_lt_i32_e32 vcc, v1, v30
	v_cndmask_b32_e32 v1, v28, v1, vcc
	v_lshlrev_b32_e32 v1, 2, v1
	ds_bpermute_b32 v2, v1, v31
	s_waitcnt lgkmcnt(0)
	v_xor_b32_e32 v4, 16, v28
	v_max_f32_e32 v3, v31, v31
	v_cmp_lt_i32_e32 vcc, v4, v30
	v_xor_b32_e32 v5, 8, v28
	v_max_f32_e32 v2, v2, v2
	v_max_f32_e32 v3, v3, v2
	v_cndmask_b32_e32 v2, v28, v4, vcc
	v_lshlrev_b32_e32 v2, 2, v2
	ds_bpermute_b32 v4, v2, v3
	v_cmp_lt_i32_e32 vcc, v5, v30
	v_xor_b32_e32 v6, 4, v28
	v_xor_b32_e32 v7, 2, v28
	v_and_b32_e32 v9, 63, v0
	s_waitcnt lgkmcnt(0)
	v_max_f32_e32 v4, v4, v4
	v_max_f32_e32 v4, v3, v4
	v_cndmask_b32_e32 v3, v28, v5, vcc
	v_lshlrev_b32_e32 v3, 2, v3
	ds_bpermute_b32 v5, v3, v4
	v_cmp_lt_i32_e32 vcc, v6, v30
	s_waitcnt lgkmcnt(0)
	v_max_f32_e32 v5, v5, v5
	v_max_f32_e32 v5, v4, v5
	v_cndmask_b32_e32 v4, v28, v6, vcc
	v_lshlrev_b32_e32 v4, 2, v4
	ds_bpermute_b32 v6, v4, v5
	v_cmp_lt_i32_e32 vcc, v7, v30
	s_waitcnt lgkmcnt(0)
	v_max_f32_e32 v6, v6, v6
	v_max_f32_e32 v6, v5, v6
	v_cndmask_b32_e32 v5, v28, v7, vcc
	v_lshlrev_b32_e32 v10, 2, v5
	ds_bpermute_b32 v7, v10, v6
	v_cmp_eq_u32_e32 vcc, 0, v9
	v_lshlrev_b32_e32 v5, 2, v25
	s_and_saveexec_b64 s[2:3], vcc
	s_cbranch_execz .LBB102_14
; %bb.13:
	s_waitcnt lgkmcnt(0)
	v_max_f32_e32 v7, v7, v7
	v_max_f32_e32 v6, v6, v6
	;; [unrolled: 1-line block ×3, first 2 shown]
	ds_write_b32 v5, v6 offset:192
.LBB102_14:
	s_or_b64 exec, exec, s[2:3]
	v_cmp_gt_u32_e64 s[2:3], 2, v9
	s_waitcnt lgkmcnt(0)
	v_mov_b32_e32 v7, 0xff7fffff
	v_lshlrev_b32_e32 v6, 2, v9
	s_barrier
	s_and_saveexec_b64 s[4:5], s[2:3]
; %bb.15:
	ds_read_b32 v7, v6 offset:192
; %bb.16:
	s_or_b64 exec, exec, s[4:5]
	v_xor_b32_e32 v8, 1, v28
	v_cmp_lt_i32_e64 s[4:5], v8, v30
	v_cndmask_b32_e64 v8, v28, v8, s[4:5]
	v_lshlrev_b32_e32 v11, 2, v8
	s_waitcnt lgkmcnt(0)
	ds_bpermute_b32 v8, v11, v7
	v_max_f32_e32 v7, v7, v7
	s_lshl_b32 s4, s12, 5
	s_min_i32 s15, s4, s33
	v_cmp_gt_i32_e64 s[4:5], s15, v0
	s_waitcnt lgkmcnt(0)
	v_max_f32_e32 v8, v8, v8
	v_max_f32_e32 v7, v7, v8
	v_lshlrev_b32_e32 v8, 2, v29
	ds_bpermute_b32 v8, v8, v7
	v_mov_b32_e32 v7, 0
	s_and_saveexec_b64 s[26:27], s[4:5]
	s_cbranch_execz .LBB102_20
; %bb.17:
	v_mov_b32_e32 v7, 0xd0
	v_lshl_add_u32 v12, v0, 2, v7
	v_mov_b32_e32 v7, 0
	s_mov_b64 s[28:29], 0
	v_mov_b32_e32 v13, v0
.LBB102_18:                             ; =>This Inner Loop Header: Depth=1
	ds_read_b32 v14, v12
	v_add_u32_e32 v13, 0x80, v13
	v_cmp_le_i32_e64 s[6:7], s15, v13
	s_or_b64 s[28:29], s[6:7], s[28:29]
	s_waitcnt lgkmcnt(0)
	v_sub_f32_e32 v14, v14, v8
	v_mul_f32_e32 v14, 0x3fb8aa3b, v14
	v_exp_f32_e32 v14, v14
	ds_write_b32 v12, v14
	v_add_f32_e32 v7, v7, v14
	v_add_u32_e32 v12, 0x200, v12
	s_andn2_b64 exec, exec, s[28:29]
	s_cbranch_execnz .LBB102_18
; %bb.19:
	s_or_b64 exec, exec, s[28:29]
.LBB102_20:
	s_or_b64 exec, exec, s[26:27]
	ds_bpermute_b32 v1, v1, v7
	s_waitcnt lgkmcnt(0)
	v_add_f32_e32 v1, v7, v1
	ds_bpermute_b32 v2, v2, v1
	s_waitcnt lgkmcnt(0)
	v_add_f32_e32 v1, v1, v2
	;; [unrolled: 3-line block ×6, first 2 shown]
	s_and_saveexec_b64 s[6:7], vcc
; %bb.21:
	ds_write_b32 v5, v1 offset:200
; %bb.22:
	s_or_b64 exec, exec, s[6:7]
	s_waitcnt lgkmcnt(0)
	s_barrier
	s_and_saveexec_b64 s[6:7], s[2:3]
; %bb.23:
	ds_read_b32 v1, v6 offset:200
; %bb.24:
	s_or_b64 exec, exec, s[6:7]
	s_waitcnt lgkmcnt(0)
	ds_bpermute_b32 v2, v11, v1
	v_lshlrev_b32_e32 v3, 2, v28
	s_waitcnt lgkmcnt(0)
	v_add_f32_e32 v1, v1, v2
	v_and_b32_e32 v2, 0xffffff00, v3
	ds_bpermute_b32 v1, v2, v1
	s_and_saveexec_b64 s[2:3], s[4:5]
	s_cbranch_execz .LBB102_27
; %bb.25:
	s_waitcnt lgkmcnt(0)
	v_add_f32_e32 v2, 0x358637bd, v1
	v_div_scale_f32 v1, s[4:5], v2, v2, 1.0
	v_div_scale_f32 v3, vcc, 1.0, v2, 1.0
	s_mov_b64 s[4:5], 0
	v_rcp_f32_e32 v4, v1
	v_fma_f32 v5, -v1, v4, 1.0
	v_fmac_f32_e32 v4, v5, v4
	v_mul_f32_e32 v5, v3, v4
	v_fma_f32 v6, -v1, v5, v3
	v_fmac_f32_e32 v5, v6, v4
	v_fma_f32 v1, -v1, v5, v3
	v_div_fmas_f32 v3, v1, v4, v5
	v_mov_b32_e32 v1, 0xd0
	v_lshl_add_u32 v1, v0, 2, v1
	v_div_fixup_f32 v2, v3, v2, 1.0
	v_mov_b32_e32 v3, v0
.LBB102_26:                             ; =>This Inner Loop Header: Depth=1
	ds_read_b32 v4, v1
	v_add_u32_e32 v3, 0x80, v3
	v_cmp_le_i32_e32 vcc, s15, v3
	s_or_b64 s[4:5], vcc, s[4:5]
	s_waitcnt lgkmcnt(0)
	v_mul_f32_e32 v4, v2, v4
	ds_write_b32 v1, v4
	v_add_u32_e32 v1, 0x200, v1
	s_andn2_b64 exec, exec, s[4:5]
	s_cbranch_execnz .LBB102_26
.LBB102_27:
	s_or_b64 exec, exec, s[2:3]
	v_mov_b32_e32 v17, 0
	v_and_b32_e32 v12, 3, v0
	v_mov_b32_e32 v18, 0
	v_mov_b32_e32 v16, 0
	;; [unrolled: 1-line block ×5, first 2 shown]
	s_waitcnt lgkmcnt(0)
	s_barrier
	s_and_saveexec_b64 s[2:3], s[0:1]
	s_cbranch_execz .LBB102_43
; %bb.28:
	s_ashr_i32 s15, s14, 31
	s_lshl_b64 s[0:1], s[14:15], 1
	v_lshlrev_b32_e32 v2, 4, v0
	s_add_u32 s0, s24, s0
	v_and_b32_e32 v2, 0x3f0, v2
	v_and_b32_e32 v1, 24, v26
	s_addc_u32 s1, s25, s1
	v_add_co_u32_e32 v20, vcc, s0, v2
	v_lshlrev_b32_e32 v2, 5, v25
	s_add_i32 s14, s12, -1
	v_mov_b32_e32 v3, s1
	v_or3_b32 v22, v2, v1, 7
	v_lshlrev_b32_e32 v1, 5, v12
	s_lshl_b64 s[0:1], s[22:23], 2
	v_lshl_or_b32 v1, v25, 7, v1
	s_add_u32 s0, s20, s0
	v_addc_co_u32_e32 v21, vcc, 0, v3, vcc
	v_add_u32_e32 v23, 0xd0, v1
	v_and_b32_e32 v1, 60, v27
	s_addc_u32 s1, s21, s1
	v_mov_b32_e32 v2, s1
	v_add_co_u32_e32 v5, vcc, s0, v1
	v_mov_b32_e32 v19, 0
	v_addc_co_u32_e32 v6, vcc, 0, v2, vcc
	s_mov_b64 s[4:5], 0
	s_mov_b32 s15, 0xffff
	v_mov_b32_e32 v13, 0
	v_mov_b32_e32 v14, 0
	;; [unrolled: 1-line block ×6, first 2 shown]
	s_branch .LBB102_30
.LBB102_29:                             ;   in Loop: Header=BB102_30 Depth=1
	s_or_b64 exec, exec, s[6:7]
	v_add_f32_e32 v24, v44, v45
	v_add_f32_e32 v14, v14, v24
	;; [unrolled: 1-line block ×10, first 2 shown]
	v_lshlrev_b32_e32 v24, 16, v46
	v_and_or_b32 v1, v1, s15, v24
	v_lshlrev_b32_e32 v8, 16, v8
	v_lshlrev_b32_e32 v7, 16, v7
	v_and_or_b32 v2, v2, s15, v8
	v_and_or_b32 v3, v3, s15, v7
	;;#ASMSTART
	v_pk_mul_f16 v1, v32, v1;

	;;#ASMEND
	;;#ASMSTART
	v_pk_mul_f16 v2, v33, v2;

	;;#ASMEND
	;; [unrolled: 4-line block ×4, first 2 shown]
	;;#ASMSTART
	v_pk_add_f16 v1, v1, v2;

	;;#ASMEND
	;;#ASMSTART
	v_pk_add_f16 v1, v1, v3;

	;;#ASMEND
	;;#ASMSTART
	v_pk_add_f16 v1, v1, v4;

	;;#ASMEND
	v_lshrrev_b32_e32 v2, 16, v1
	v_and_b32_e32 v1, 0xffff, v1
	v_add_u32_e32 v25, 2, v25
	;;#ASMSTART
	v_cvt_f32_f16 v1, v1;
	;;#ASMEND
	v_cmp_le_i32_e32 vcc, s12, v25
	;;#ASMSTART
	v_cvt_f32_f16 v2, v2;
	;;#ASMEND
	v_add_f32_e32 v1, v1, v2
	s_or_b64 s[4:5], vcc, s[4:5]
	v_add_co_u32_e32 v5, vcc, 8, v5
	v_add_f32_e32 v13, v13, v1
	v_add_u32_e32 v22, 64, v22
	v_add_u32_e32 v23, 0x100, v23
	v_addc_co_u32_e32 v6, vcc, 0, v6, vcc
	s_andn2_b64 exec, exec, s[4:5]
	s_cbranch_execz .LBB102_42
.LBB102_30:                             ; =>This Inner Loop Header: Depth=1
	global_load_dword v7, v[5:6], off
	ds_read2_b64 v[1:4], v23 offset1:1
	ds_read2_b64 v[26:29], v23 offset0:2 offset1:3
	v_add_u32_e32 v24, -7, v22
	v_add_u32_e32 v31, -6, v22
	s_waitcnt lgkmcnt(1)
	;;#ASMSTART
	v_cvt_f16_f32 v32, v1;

	;;#ASMEND
	;;#ASMSTART
	v_cvt_f16_f32 v33, v2;

	;;#ASMEND
	;; [unrolled: 4-line block ×4, first 2 shown]
	s_waitcnt lgkmcnt(0)
	;;#ASMSTART
	v_cvt_f16_f32 v36, v26;

	;;#ASMEND
	;;#ASMSTART
	v_cvt_f16_f32 v37, v27;

	;;#ASMEND
	;;#ASMSTART
	v_cvt_f16_f32 v38, v28;

	;;#ASMEND
	;;#ASMSTART
	v_cvt_f16_f32 v39, v29;

	;;#ASMEND
	v_add_u32_e32 v30, -5, v22
	v_add_u32_e32 v28, -4, v22
	;; [unrolled: 1-line block ×5, first 2 shown]
	s_waitcnt vmcnt(0)
	v_mad_i64_i32 v[1:2], s[0:1], v7, s13, 0
	v_cmp_eq_u32_e64 s[0:1], s14, v25
	v_lshlrev_b64 v[1:2], 1, v[1:2]
	v_add_co_u32_e32 v7, vcc, v20, v1
	v_addc_co_u32_e32 v8, vcc, v21, v2, vcc
	global_load_dwordx4 v[1:4], v[7:8], off
	s_waitcnt vmcnt(0)
	v_lshrrev_b32_e32 v42, 16, v1
	v_lshrrev_b32_e32 v41, 16, v2
	;; [unrolled: 1-line block ×3, first 2 shown]
	s_and_saveexec_b64 s[6:7], s[0:1]
	s_cbranch_execz .LBB102_32
; %bb.31:                               ;   in Loop: Header=BB102_30 Depth=1
	v_cmp_gt_i32_e32 vcc, s33, v24
	v_cndmask_b32_e32 v1, 0, v1, vcc
	v_cmp_gt_i32_e32 vcc, s33, v31
	v_cndmask_b32_e32 v42, 0, v42, vcc
	;; [unrolled: 2-line block ×6, first 2 shown]
	v_cmp_gt_i32_e32 vcc, s33, v29
	v_cndmask_b32_sdwa v43, v19, v4, vcc dst_sel:DWORD dst_unused:UNUSED_PAD src0_sel:DWORD src1_sel:WORD_0
	v_and_b32_e32 v4, 0xffff0000, v4
	v_cmp_gt_i32_e32 vcc, s33, v22
	v_cndmask_b32_e32 v4, 0, v4, vcc
	v_or_b32_e32 v4, v43, v4
.LBB102_32:                             ;   in Loop: Header=BB102_30 Depth=1
	s_or_b64 exec, exec, s[6:7]
	v_and_b32_e32 v32, 0xffff, v32
	v_lshl_or_b32 v32, v33, 16, v32
	v_and_b32_e32 v33, 0xffff, v34
	v_and_b32_e32 v34, 0xffff, v36
	v_lshlrev_b32_e32 v36, 16, v42
	v_and_or_b32 v1, v1, s15, v36
	v_lshlrev_b32_e32 v36, 16, v41
	v_and_or_b32 v2, v2, s15, v36
	v_lshlrev_b32_e32 v36, 16, v40
	v_lshl_or_b32 v33, v35, 16, v33
	v_and_b32_e32 v35, 0xffff, v38
	v_and_or_b32 v3, v3, s15, v36
	;;#ASMSTART
	v_pk_mul_f16 v1, v32, v1;

	;;#ASMEND
	v_lshl_or_b32 v34, v37, 16, v34
	v_lshl_or_b32 v35, v39, 16, v35
	;;#ASMSTART
	v_pk_mul_f16 v2, v33, v2;

	;;#ASMEND
	;;#ASMSTART
	v_pk_mul_f16 v3, v34, v3;

	;;#ASMEND
	;; [unrolled: 4-line block ×3, first 2 shown]
	;;#ASMSTART
	v_pk_add_f16 v1, v1, v2;

	;;#ASMEND
	;;#ASMSTART
	v_pk_add_f16 v1, v1, v3;

	;;#ASMEND
	;;#ASMSTART
	v_pk_add_f16 v1, v1, v4;

	;;#ASMEND
	v_lshrrev_b32_e32 v2, 16, v1
	v_and_b32_e32 v1, 0xffff, v1
	;;#ASMSTART
	v_cvt_f32_f16 v36, v1;
	;;#ASMEND
	;;#ASMSTART
	v_cvt_f32_f16 v37, v2;
	;;#ASMEND
	global_load_dwordx4 v[1:4], v[7:8], off offset:1024
	s_waitcnt vmcnt(0)
	v_lshrrev_b32_e32 v40, 16, v1
	v_lshrrev_b32_e32 v39, 16, v2
	;; [unrolled: 1-line block ×3, first 2 shown]
	s_and_saveexec_b64 s[6:7], s[0:1]
	s_cbranch_execz .LBB102_34
; %bb.33:                               ;   in Loop: Header=BB102_30 Depth=1
	v_cmp_gt_i32_e32 vcc, s33, v24
	v_cndmask_b32_e32 v1, 0, v1, vcc
	v_cmp_gt_i32_e32 vcc, s33, v31
	v_cndmask_b32_e32 v40, 0, v40, vcc
	v_cmp_gt_i32_e32 vcc, s33, v30
	v_cndmask_b32_e32 v2, 0, v2, vcc
	v_cmp_gt_i32_e32 vcc, s33, v28
	v_cndmask_b32_e32 v39, 0, v39, vcc
	v_cmp_gt_i32_e32 vcc, s33, v27
	v_cndmask_b32_e32 v3, 0, v3, vcc
	v_cmp_gt_i32_e32 vcc, s33, v26
	v_cndmask_b32_e32 v38, 0, v38, vcc
	v_cmp_gt_i32_e32 vcc, s33, v29
	v_cndmask_b32_sdwa v41, v19, v4, vcc dst_sel:DWORD dst_unused:UNUSED_PAD src0_sel:DWORD src1_sel:WORD_0
	v_and_b32_e32 v4, 0xffff0000, v4
	v_cmp_gt_i32_e32 vcc, s33, v22
	v_cndmask_b32_e32 v4, 0, v4, vcc
	v_or_b32_e32 v4, v41, v4
.LBB102_34:                             ;   in Loop: Header=BB102_30 Depth=1
	s_or_b64 exec, exec, s[6:7]
	v_lshlrev_b32_e32 v40, 16, v40
	v_and_or_b32 v1, v1, s15, v40
	v_lshlrev_b32_e32 v39, 16, v39
	v_lshlrev_b32_e32 v38, 16, v38
	v_and_or_b32 v2, v2, s15, v39
	v_and_or_b32 v3, v3, s15, v38
	;;#ASMSTART
	v_pk_mul_f16 v1, v32, v1;

	;;#ASMEND
	;;#ASMSTART
	v_pk_mul_f16 v2, v33, v2;

	;;#ASMEND
	;; [unrolled: 4-line block ×4, first 2 shown]
	;;#ASMSTART
	v_pk_add_f16 v1, v1, v2;

	;;#ASMEND
	;;#ASMSTART
	v_pk_add_f16 v1, v1, v3;

	;;#ASMEND
	;; [unrolled: 4-line block ×3, first 2 shown]
	v_lshrrev_b32_e32 v2, 16, v1
	v_and_b32_e32 v1, 0xffff, v1
	;;#ASMSTART
	v_cvt_f32_f16 v38, v1;
	;;#ASMEND
	;;#ASMSTART
	v_cvt_f32_f16 v39, v2;
	;;#ASMEND
	global_load_dwordx4 v[1:4], v[7:8], off offset:2048
	s_waitcnt vmcnt(0)
	v_lshrrev_b32_e32 v42, 16, v1
	v_lshrrev_b32_e32 v41, 16, v2
	;; [unrolled: 1-line block ×3, first 2 shown]
	s_and_saveexec_b64 s[6:7], s[0:1]
	s_cbranch_execz .LBB102_36
; %bb.35:                               ;   in Loop: Header=BB102_30 Depth=1
	v_cmp_gt_i32_e32 vcc, s33, v24
	v_cndmask_b32_e32 v1, 0, v1, vcc
	v_cmp_gt_i32_e32 vcc, s33, v31
	v_cndmask_b32_e32 v42, 0, v42, vcc
	;; [unrolled: 2-line block ×6, first 2 shown]
	v_cmp_gt_i32_e32 vcc, s33, v29
	v_cndmask_b32_sdwa v43, v19, v4, vcc dst_sel:DWORD dst_unused:UNUSED_PAD src0_sel:DWORD src1_sel:WORD_0
	v_and_b32_e32 v4, 0xffff0000, v4
	v_cmp_gt_i32_e32 vcc, s33, v22
	v_cndmask_b32_e32 v4, 0, v4, vcc
	v_or_b32_e32 v4, v43, v4
.LBB102_36:                             ;   in Loop: Header=BB102_30 Depth=1
	s_or_b64 exec, exec, s[6:7]
	v_lshlrev_b32_e32 v42, 16, v42
	v_and_or_b32 v1, v1, s15, v42
	v_lshlrev_b32_e32 v41, 16, v41
	v_lshlrev_b32_e32 v40, 16, v40
	v_and_or_b32 v2, v2, s15, v41
	v_and_or_b32 v3, v3, s15, v40
	;;#ASMSTART
	v_pk_mul_f16 v1, v32, v1;

	;;#ASMEND
	;;#ASMSTART
	v_pk_mul_f16 v2, v33, v2;

	;;#ASMEND
	;; [unrolled: 4-line block ×4, first 2 shown]
	;;#ASMSTART
	v_pk_add_f16 v1, v1, v2;

	;;#ASMEND
	;;#ASMSTART
	v_pk_add_f16 v1, v1, v3;

	;;#ASMEND
	;; [unrolled: 4-line block ×3, first 2 shown]
	v_lshrrev_b32_e32 v2, 16, v1
	v_and_b32_e32 v1, 0xffff, v1
	;;#ASMSTART
	v_cvt_f32_f16 v40, v1;
	;;#ASMEND
	;;#ASMSTART
	v_cvt_f32_f16 v41, v2;
	;;#ASMEND
	global_load_dwordx4 v[1:4], v[7:8], off offset:3072
	s_waitcnt vmcnt(0)
	v_lshrrev_b32_e32 v44, 16, v1
	v_lshrrev_b32_e32 v43, 16, v2
	;; [unrolled: 1-line block ×3, first 2 shown]
	s_and_saveexec_b64 s[6:7], s[0:1]
	s_cbranch_execz .LBB102_38
; %bb.37:                               ;   in Loop: Header=BB102_30 Depth=1
	v_cmp_gt_i32_e32 vcc, s33, v24
	v_cndmask_b32_e32 v1, 0, v1, vcc
	v_cmp_gt_i32_e32 vcc, s33, v31
	v_cndmask_b32_e32 v44, 0, v44, vcc
	;; [unrolled: 2-line block ×6, first 2 shown]
	v_cmp_gt_i32_e32 vcc, s33, v29
	v_cndmask_b32_sdwa v45, v19, v4, vcc dst_sel:DWORD dst_unused:UNUSED_PAD src0_sel:DWORD src1_sel:WORD_0
	v_and_b32_e32 v4, 0xffff0000, v4
	v_cmp_gt_i32_e32 vcc, s33, v22
	v_cndmask_b32_e32 v4, 0, v4, vcc
	v_or_b32_e32 v4, v45, v4
.LBB102_38:                             ;   in Loop: Header=BB102_30 Depth=1
	s_or_b64 exec, exec, s[6:7]
	v_lshlrev_b32_e32 v44, 16, v44
	v_and_or_b32 v1, v1, s15, v44
	v_lshlrev_b32_e32 v43, 16, v43
	v_lshlrev_b32_e32 v42, 16, v42
	v_and_or_b32 v2, v2, s15, v43
	v_and_or_b32 v3, v3, s15, v42
	;;#ASMSTART
	v_pk_mul_f16 v1, v32, v1;

	;;#ASMEND
	;;#ASMSTART
	v_pk_mul_f16 v2, v33, v2;

	;;#ASMEND
	;; [unrolled: 4-line block ×4, first 2 shown]
	;;#ASMSTART
	v_pk_add_f16 v1, v1, v2;

	;;#ASMEND
	;;#ASMSTART
	v_pk_add_f16 v1, v1, v3;

	;;#ASMEND
	;; [unrolled: 4-line block ×3, first 2 shown]
	v_lshrrev_b32_e32 v2, 16, v1
	v_and_b32_e32 v1, 0xffff, v1
	;;#ASMSTART
	v_cvt_f32_f16 v42, v1;
	;;#ASMEND
	v_add_co_u32_e32 v1, vcc, 0x1000, v7
	;;#ASMSTART
	v_cvt_f32_f16 v43, v2;
	;;#ASMEND
	v_addc_co_u32_e32 v2, vcc, 0, v8, vcc
	global_load_dwordx4 v[1:4], v[1:2], off
	s_waitcnt vmcnt(0)
	v_lshrrev_b32_e32 v46, 16, v1
	v_lshrrev_b32_e32 v45, 16, v2
	;; [unrolled: 1-line block ×3, first 2 shown]
	s_and_saveexec_b64 s[6:7], s[0:1]
	s_cbranch_execz .LBB102_40
; %bb.39:                               ;   in Loop: Header=BB102_30 Depth=1
	v_cmp_gt_i32_e32 vcc, s33, v24
	v_cndmask_b32_e32 v1, 0, v1, vcc
	v_cmp_gt_i32_e32 vcc, s33, v31
	v_cndmask_b32_e32 v46, 0, v46, vcc
	;; [unrolled: 2-line block ×6, first 2 shown]
	v_cmp_gt_i32_e32 vcc, s33, v29
	v_cndmask_b32_sdwa v47, v19, v4, vcc dst_sel:DWORD dst_unused:UNUSED_PAD src0_sel:DWORD src1_sel:WORD_0
	v_and_b32_e32 v4, 0xffff0000, v4
	v_cmp_gt_i32_e32 vcc, s33, v22
	v_cndmask_b32_e32 v4, 0, v4, vcc
	v_or_b32_e32 v4, v47, v4
.LBB102_40:                             ;   in Loop: Header=BB102_30 Depth=1
	s_or_b64 exec, exec, s[6:7]
	v_lshlrev_b32_e32 v46, 16, v46
	v_and_or_b32 v1, v1, s15, v46
	v_lshlrev_b32_e32 v45, 16, v45
	v_lshlrev_b32_e32 v44, 16, v44
	v_and_or_b32 v2, v2, s15, v45
	v_and_or_b32 v3, v3, s15, v44
	;;#ASMSTART
	v_pk_mul_f16 v1, v32, v1;

	;;#ASMEND
	;;#ASMSTART
	v_pk_mul_f16 v2, v33, v2;

	;;#ASMEND
	;; [unrolled: 4-line block ×4, first 2 shown]
	;;#ASMSTART
	v_pk_add_f16 v1, v1, v2;

	;;#ASMEND
	;;#ASMSTART
	v_pk_add_f16 v1, v1, v3;

	;;#ASMEND
	;; [unrolled: 4-line block ×3, first 2 shown]
	v_lshrrev_b32_e32 v2, 16, v1
	v_and_b32_e32 v1, 0xffff, v1
	;;#ASMSTART
	v_cvt_f32_f16 v44, v1;
	;;#ASMEND
	v_add_co_u32_e32 v1, vcc, 0x1000, v7
	;;#ASMSTART
	v_cvt_f32_f16 v45, v2;
	;;#ASMEND
	v_addc_co_u32_e32 v2, vcc, 0, v8, vcc
	global_load_dwordx4 v[1:4], v[1:2], off offset:1024
	s_waitcnt vmcnt(0)
	v_lshrrev_b32_e32 v46, 16, v1
	v_lshrrev_b32_e32 v8, 16, v2
	;; [unrolled: 1-line block ×3, first 2 shown]
	s_and_saveexec_b64 s[6:7], s[0:1]
	s_cbranch_execz .LBB102_29
; %bb.41:                               ;   in Loop: Header=BB102_30 Depth=1
	v_cmp_gt_i32_e32 vcc, s33, v24
	v_cndmask_b32_e32 v1, 0, v1, vcc
	v_cmp_gt_i32_e32 vcc, s33, v31
	v_cndmask_b32_e32 v46, 0, v46, vcc
	;; [unrolled: 2-line block ×6, first 2 shown]
	v_cmp_gt_i32_e32 vcc, s33, v29
	v_cndmask_b32_sdwa v24, v19, v4, vcc dst_sel:DWORD dst_unused:UNUSED_PAD src0_sel:DWORD src1_sel:WORD_0
	v_and_b32_e32 v4, 0xffff0000, v4
	v_cmp_gt_i32_e32 vcc, s33, v22
	v_cndmask_b32_e32 v4, 0, v4, vcc
	v_or_b32_e32 v4, v24, v4
	s_branch .LBB102_29
.LBB102_42:
	s_or_b64 exec, exec, s[4:5]
.LBB102_43:
	s_or_b64 exec, exec, s[2:3]
	ds_bpermute_b32 v1, v10, v17
	ds_bpermute_b32 v2, v10, v18
	;; [unrolled: 1-line block ×5, first 2 shown]
	s_waitcnt lgkmcnt(4)
	v_add_f32_e32 v1, v17, v1
	ds_bpermute_b32 v6, v11, v1
	s_waitcnt lgkmcnt(4)
	v_add_f32_e32 v2, v18, v2
	s_waitcnt lgkmcnt(3)
	v_add_f32_e32 v3, v16, v3
	ds_bpermute_b32 v7, v11, v2
	s_waitcnt lgkmcnt(3)
	v_add_f32_e32 v4, v15, v4
	s_waitcnt lgkmcnt(1)
	v_add_f32_e32 v1, v1, v6
	ds_bpermute_b32 v6, v10, v13
	v_add_f32_e32 v14, v14, v5
	ds_bpermute_b32 v8, v11, v3
	ds_bpermute_b32 v10, v11, v4
	;; [unrolled: 1-line block ×3, first 2 shown]
	s_waitcnt lgkmcnt(3)
	v_add_f32_e32 v13, v13, v6
	ds_bpermute_b32 v11, v11, v13
	v_add_f32_e32 v6, v2, v7
	v_and_b32_e32 v7, 0x3c3, v0
	s_waitcnt lgkmcnt(3)
	v_add_f32_e32 v5, v3, v8
	s_waitcnt lgkmcnt(2)
	v_add_f32_e32 v4, v4, v10
	;; [unrolled: 2-line block ×4, first 2 shown]
	v_cmp_eq_u32_e32 vcc, 64, v7
	s_barrier
	s_and_saveexec_b64 s[0:1], vcc
	s_cbranch_execz .LBB102_45
; %bb.44:
	v_add_u32_e32 v8, 0xd0, v9
	ds_write2_b32 v8, v1, v6 offset1:16
	ds_write2_b32 v8, v5, v4 offset0:32 offset1:48
	ds_write2_b32 v8, v3, v2 offset0:64 offset1:80
.LBB102_45:
	s_or_b64 exec, exec, s[0:1]
	v_cmp_gt_u32_e32 vcc, 64, v0
	v_lshrrev_b32_e32 v0, 2, v0
	s_waitcnt lgkmcnt(0)
	s_barrier
	s_and_saveexec_b64 s[0:1], vcc
	s_cbranch_execz .LBB102_54
; %bb.46:
	v_mov_b32_e32 v8, 0xd0
	v_cmp_eq_u32_e32 vcc, 0, v12
	v_lshl_add_u32 v8, v0, 2, v8
	s_and_saveexec_b64 s[2:3], vcc
	s_cbranch_execnz .LBB102_57
; %bb.47:
	s_or_b64 exec, exec, s[2:3]
	s_and_saveexec_b64 s[2:3], vcc
	s_cbranch_execnz .LBB102_58
.LBB102_48:
	s_or_b64 exec, exec, s[2:3]
	s_and_saveexec_b64 s[2:3], vcc
	s_cbranch_execnz .LBB102_59
.LBB102_49:
	s_or_b64 exec, exec, s[2:3]
	s_and_saveexec_b64 s[2:3], vcc
	s_cbranch_execnz .LBB102_60
.LBB102_50:
	s_or_b64 exec, exec, s[2:3]
	s_and_saveexec_b64 s[2:3], vcc
	s_cbranch_execnz .LBB102_61
.LBB102_51:
	s_or_b64 exec, exec, s[2:3]
	s_and_saveexec_b64 s[2:3], vcc
	s_cbranch_execz .LBB102_53
.LBB102_52:
	ds_read_b32 v8, v8 offset:320
	s_waitcnt lgkmcnt(0)
	v_add_f32_e32 v2, v2, v8
.LBB102_53:
	s_or_b64 exec, exec, s[2:3]
.LBB102_54:
	s_or_b64 exec, exec, s[0:1]
	v_cmp_eq_u32_e32 vcc, 0, v7
	s_barrier
	s_and_saveexec_b64 s[0:1], vcc
	s_cbranch_execz .LBB102_56
; %bb.55:
	s_mul_i32 s0, s10, s11
	s_mul_i32 s0, s0, s9
	s_mulk_i32 s0, 0x60
	s_ashr_i32 s1, s0, 31
	s_lshl_b64 s[0:1], s[0:1], 1
	s_add_u32 s2, s18, s0
	s_mul_i32 s0, s11, s16
	s_addc_u32 s3, s19, s1
	s_ashr_i32 s1, s0, 31
	s_lshl_b64 s[0:1], s[0:1], 1
	s_add_u32 s2, s2, s0
	s_mul_i32 s0, s8, 0x60
	s_addc_u32 s3, s3, s1
	s_ashr_i32 s1, s0, 31
	s_lshl_b64 s[0:1], s[0:1], 1
	s_add_u32 s0, s2, s0
	s_addc_u32 s1, s3, s1
	v_lshlrev_b32_e32 v0, 1, v0
	;;#ASMSTART
	v_cvt_f16_f32 v1, v1;

	;;#ASMEND
	global_store_short v0, v1, s[0:1]
	;;#ASMSTART
	v_cvt_f16_f32 v1, v6;

	;;#ASMEND
	global_store_short v0, v1, s[0:1] offset:32
	;;#ASMSTART
	v_cvt_f16_f32 v1, v5;

	;;#ASMEND
	global_store_short v0, v1, s[0:1] offset:64
	;; [unrolled: 5-line block ×5, first 2 shown]
.LBB102_56:
	s_endpgm
.LBB102_57:
	ds_read_b32 v9, v8
	s_waitcnt lgkmcnt(0)
	v_add_f32_e32 v1, v1, v9
	s_or_b64 exec, exec, s[2:3]
	s_and_saveexec_b64 s[2:3], vcc
	s_cbranch_execz .LBB102_48
.LBB102_58:
	ds_read_b32 v9, v8 offset:64
	s_waitcnt lgkmcnt(0)
	v_add_f32_e32 v6, v6, v9
	s_or_b64 exec, exec, s[2:3]
	s_and_saveexec_b64 s[2:3], vcc
	s_cbranch_execz .LBB102_49
.LBB102_59:
	ds_read_b32 v9, v8 offset:128
	s_waitcnt lgkmcnt(0)
	v_add_f32_e32 v5, v5, v9
	s_or_b64 exec, exec, s[2:3]
	s_and_saveexec_b64 s[2:3], vcc
	s_cbranch_execz .LBB102_50
.LBB102_60:
	ds_read_b32 v9, v8 offset:192
	s_waitcnt lgkmcnt(0)
	v_add_f32_e32 v4, v4, v9
	s_or_b64 exec, exec, s[2:3]
	s_and_saveexec_b64 s[2:3], vcc
	s_cbranch_execz .LBB102_51
.LBB102_61:
	ds_read_b32 v9, v8 offset:256
	s_waitcnt lgkmcnt(0)
	v_add_f32_e32 v3, v3, v9
	s_or_b64 exec, exec, s[2:3]
	s_and_saveexec_b64 s[2:3], vcc
	s_cbranch_execnz .LBB102_52
	s_branch .LBB102_53
	.section	.rodata,"a",@progbits
	.p2align	6, 0x0
	.amdhsa_kernel _ZN4vllm25paged_attention_v1_kernelIttLi96ELi32ELi128ELNS_18Fp8KVCacheDataTypeE0ELb0EEEvPT_PKS2_PKT0_S8_ifPKiSA_iPKfiiiSC_SC_iiiii
		.amdhsa_group_segment_fixed_size 208
		.amdhsa_private_segment_fixed_size 0
		.amdhsa_kernarg_size 384
		.amdhsa_user_sgpr_count 6
		.amdhsa_user_sgpr_private_segment_buffer 1
		.amdhsa_user_sgpr_dispatch_ptr 0
		.amdhsa_user_sgpr_queue_ptr 0
		.amdhsa_user_sgpr_kernarg_segment_ptr 1
		.amdhsa_user_sgpr_dispatch_id 0
		.amdhsa_user_sgpr_flat_scratch_init 0
		.amdhsa_user_sgpr_private_segment_size 0
		.amdhsa_uses_dynamic_stack 0
		.amdhsa_system_sgpr_private_segment_wavefront_offset 0
		.amdhsa_system_sgpr_workgroup_id_x 1
		.amdhsa_system_sgpr_workgroup_id_y 1
		.amdhsa_system_sgpr_workgroup_id_z 1
		.amdhsa_system_sgpr_workgroup_info 0
		.amdhsa_system_vgpr_workitem_id 0
		.amdhsa_next_free_vgpr 51
		.amdhsa_next_free_sgpr 35
		.amdhsa_reserve_vcc 1
		.amdhsa_reserve_flat_scratch 0
		.amdhsa_float_round_mode_32 0
		.amdhsa_float_round_mode_16_64 0
		.amdhsa_float_denorm_mode_32 3
		.amdhsa_float_denorm_mode_16_64 3
		.amdhsa_dx10_clamp 1
		.amdhsa_ieee_mode 1
		.amdhsa_fp16_overflow 0
		.amdhsa_exception_fp_ieee_invalid_op 0
		.amdhsa_exception_fp_denorm_src 0
		.amdhsa_exception_fp_ieee_div_zero 0
		.amdhsa_exception_fp_ieee_overflow 0
		.amdhsa_exception_fp_ieee_underflow 0
		.amdhsa_exception_fp_ieee_inexact 0
		.amdhsa_exception_int_div_zero 0
	.end_amdhsa_kernel
	.section	.text._ZN4vllm25paged_attention_v1_kernelIttLi96ELi32ELi128ELNS_18Fp8KVCacheDataTypeE0ELb0EEEvPT_PKS2_PKT0_S8_ifPKiSA_iPKfiiiSC_SC_iiiii,"axG",@progbits,_ZN4vllm25paged_attention_v1_kernelIttLi96ELi32ELi128ELNS_18Fp8KVCacheDataTypeE0ELb0EEEvPT_PKS2_PKT0_S8_ifPKiSA_iPKfiiiSC_SC_iiiii,comdat
.Lfunc_end102:
	.size	_ZN4vllm25paged_attention_v1_kernelIttLi96ELi32ELi128ELNS_18Fp8KVCacheDataTypeE0ELb0EEEvPT_PKS2_PKT0_S8_ifPKiSA_iPKfiiiSC_SC_iiiii, .Lfunc_end102-_ZN4vllm25paged_attention_v1_kernelIttLi96ELi32ELi128ELNS_18Fp8KVCacheDataTypeE0ELb0EEEvPT_PKS2_PKT0_S8_ifPKiSA_iPKfiiiSC_SC_iiiii
                                        ; -- End function
	.set _ZN4vllm25paged_attention_v1_kernelIttLi96ELi32ELi128ELNS_18Fp8KVCacheDataTypeE0ELb0EEEvPT_PKS2_PKT0_S8_ifPKiSA_iPKfiiiSC_SC_iiiii.num_vgpr, 51
	.set _ZN4vllm25paged_attention_v1_kernelIttLi96ELi32ELi128ELNS_18Fp8KVCacheDataTypeE0ELb0EEEvPT_PKS2_PKT0_S8_ifPKiSA_iPKfiiiSC_SC_iiiii.num_agpr, 0
	.set _ZN4vllm25paged_attention_v1_kernelIttLi96ELi32ELi128ELNS_18Fp8KVCacheDataTypeE0ELb0EEEvPT_PKS2_PKT0_S8_ifPKiSA_iPKfiiiSC_SC_iiiii.numbered_sgpr, 35
	.set _ZN4vllm25paged_attention_v1_kernelIttLi96ELi32ELi128ELNS_18Fp8KVCacheDataTypeE0ELb0EEEvPT_PKS2_PKT0_S8_ifPKiSA_iPKfiiiSC_SC_iiiii.num_named_barrier, 0
	.set _ZN4vllm25paged_attention_v1_kernelIttLi96ELi32ELi128ELNS_18Fp8KVCacheDataTypeE0ELb0EEEvPT_PKS2_PKT0_S8_ifPKiSA_iPKfiiiSC_SC_iiiii.private_seg_size, 0
	.set _ZN4vllm25paged_attention_v1_kernelIttLi96ELi32ELi128ELNS_18Fp8KVCacheDataTypeE0ELb0EEEvPT_PKS2_PKT0_S8_ifPKiSA_iPKfiiiSC_SC_iiiii.uses_vcc, 1
	.set _ZN4vllm25paged_attention_v1_kernelIttLi96ELi32ELi128ELNS_18Fp8KVCacheDataTypeE0ELb0EEEvPT_PKS2_PKT0_S8_ifPKiSA_iPKfiiiSC_SC_iiiii.uses_flat_scratch, 0
	.set _ZN4vllm25paged_attention_v1_kernelIttLi96ELi32ELi128ELNS_18Fp8KVCacheDataTypeE0ELb0EEEvPT_PKS2_PKT0_S8_ifPKiSA_iPKfiiiSC_SC_iiiii.has_dyn_sized_stack, 0
	.set _ZN4vllm25paged_attention_v1_kernelIttLi96ELi32ELi128ELNS_18Fp8KVCacheDataTypeE0ELb0EEEvPT_PKS2_PKT0_S8_ifPKiSA_iPKfiiiSC_SC_iiiii.has_recursion, 0
	.set _ZN4vllm25paged_attention_v1_kernelIttLi96ELi32ELi128ELNS_18Fp8KVCacheDataTypeE0ELb0EEEvPT_PKS2_PKT0_S8_ifPKiSA_iPKfiiiSC_SC_iiiii.has_indirect_call, 0
	.section	.AMDGPU.csdata,"",@progbits
; Kernel info:
; codeLenInByte = 6376
; TotalNumSgprs: 39
; NumVgprs: 51
; ScratchSize: 0
; MemoryBound: 0
; FloatMode: 240
; IeeeMode: 1
; LDSByteSize: 208 bytes/workgroup (compile time only)
; SGPRBlocks: 4
; VGPRBlocks: 12
; NumSGPRsForWavesPerEU: 39
; NumVGPRsForWavesPerEU: 51
; Occupancy: 4
; WaveLimiterHint : 1
; COMPUTE_PGM_RSRC2:SCRATCH_EN: 0
; COMPUTE_PGM_RSRC2:USER_SGPR: 6
; COMPUTE_PGM_RSRC2:TRAP_HANDLER: 0
; COMPUTE_PGM_RSRC2:TGID_X_EN: 1
; COMPUTE_PGM_RSRC2:TGID_Y_EN: 1
; COMPUTE_PGM_RSRC2:TGID_Z_EN: 1
; COMPUTE_PGM_RSRC2:TIDIG_COMP_CNT: 0
	.section	.text._ZN4vllm25paged_attention_v1_kernelIttLi112ELi32ELi128ELNS_18Fp8KVCacheDataTypeE0ELb0EEEvPT_PKS2_PKT0_S8_ifPKiSA_iPKfiiiSC_SC_iiiii,"axG",@progbits,_ZN4vllm25paged_attention_v1_kernelIttLi112ELi32ELi128ELNS_18Fp8KVCacheDataTypeE0ELb0EEEvPT_PKS2_PKT0_S8_ifPKiSA_iPKfiiiSC_SC_iiiii,comdat
	.protected	_ZN4vllm25paged_attention_v1_kernelIttLi112ELi32ELi128ELNS_18Fp8KVCacheDataTypeE0ELb0EEEvPT_PKS2_PKT0_S8_ifPKiSA_iPKfiiiSC_SC_iiiii ; -- Begin function _ZN4vllm25paged_attention_v1_kernelIttLi112ELi32ELi128ELNS_18Fp8KVCacheDataTypeE0ELb0EEEvPT_PKS2_PKT0_S8_ifPKiSA_iPKfiiiSC_SC_iiiii
	.globl	_ZN4vllm25paged_attention_v1_kernelIttLi112ELi32ELi128ELNS_18Fp8KVCacheDataTypeE0ELb0EEEvPT_PKS2_PKT0_S8_ifPKiSA_iPKfiiiSC_SC_iiiii
	.p2align	8
	.type	_ZN4vllm25paged_attention_v1_kernelIttLi112ELi32ELi128ELNS_18Fp8KVCacheDataTypeE0ELb0EEEvPT_PKS2_PKT0_S8_ifPKiSA_iPKfiiiSC_SC_iiiii,@function
_ZN4vllm25paged_attention_v1_kernelIttLi112ELi32ELi128ELNS_18Fp8KVCacheDataTypeE0ELb0EEEvPT_PKS2_PKT0_S8_ifPKiSA_iPKfiiiSC_SC_iiiii: ; @_ZN4vllm25paged_attention_v1_kernelIttLi112ELi32ELi128ELNS_18Fp8KVCacheDataTypeE0ELb0EEEvPT_PKS2_PKT0_S8_ifPKiSA_iPKfiiiSC_SC_iiiii
; %bb.0:
	s_load_dword s9, s[4:5], 0x80
	s_load_dwordx2 s[0:1], s[4:5], 0x30
	s_load_dwordx2 s[26:27], s[4:5], 0x20
	s_mov_b32 s10, s7
	s_ashr_i32 s11, s7, 31
	s_lshl_b64 s[2:3], s[10:11], 2
	s_waitcnt lgkmcnt(0)
	s_add_u32 s0, s0, s2
	s_addc_u32 s1, s1, s3
	s_abs_i32 s2, s26
	v_cvt_f32_u32_e32 v1, s2
	s_sub_i32 s11, 0, s2
	s_abs_i32 s7, s9
	s_xor_b32 s3, s9, s26
	v_rcp_iflag_f32_e32 v1, v1
	s_ashr_i32 s3, s3, 31
	s_mov_b32 s26, 0
	v_mul_f32_e32 v1, 0x4f7ffffe, v1
	v_cvt_u32_f32_e32 v1, v1
	v_readfirstlane_b32 s12, v1
	s_mul_i32 s11, s11, s12
	s_mul_hi_u32 s11, s12, s11
	s_add_i32 s12, s12, s11
	s_mul_hi_u32 s11, s7, s12
	s_mul_i32 s12, s11, s2
	s_sub_i32 s7, s7, s12
	s_add_i32 s12, s11, 1
	s_sub_i32 s13, s7, s2
	s_cmp_ge_u32 s7, s2
	s_cselect_b32 s11, s12, s11
	s_cselect_b32 s7, s13, s7
	s_add_i32 s12, s11, 1
	s_cmp_ge_u32 s7, s2
	s_cselect_b32 s2, s12, s11
	s_xor_b32 s2, s2, s3
	s_sub_i32 s12, s2, s3
	s_abs_i32 s11, s12
	v_cvt_f32_u32_e32 v1, s11
	s_load_dwordx2 s[2:3], s[4:5], 0x40
	s_sub_i32 s7, 0, s11
	s_abs_i32 s18, s6
	v_rcp_iflag_f32_e32 v1, v1
	v_mul_f32_e32 v1, 0x4f7ffffe, v1
	v_cvt_u32_f32_e32 v1, v1
	v_readfirstlane_b32 s13, v1
	s_mul_i32 s7, s7, s13
	s_mul_hi_u32 s7, s13, s7
	s_add_i32 s13, s13, s7
	s_waitcnt lgkmcnt(0)
	s_cmp_eq_u64 s[2:3], 0
	s_mul_hi_u32 s19, s18, s13
	s_cbranch_scc1 .LBB103_2
; %bb.1:
	s_ashr_i32 s7, s6, 31
	s_lshl_b64 s[14:15], s[6:7], 2
	s_add_u32 s2, s2, s14
	s_addc_u32 s3, s3, s15
	s_load_dword s26, s[2:3], 0x0
.LBB103_2:
	s_load_dword s33, s[0:1], 0x0
	s_ashr_i32 s3, s12, 31
	s_load_dwordx4 s[12:15], s[4:5], 0x48
	s_ashr_i32 s2, s6, 31
	v_and_b32_e32 v1, 1, v0
	s_movk_i32 s7, 0x70
	s_mul_i32 s16, s6, 0x70
	v_cmp_gt_u32_e32 vcc, 28, v0
	v_lshlrev_b32_e32 v30, 3, v0
	s_and_saveexec_b64 s[0:1], vcc
	s_cbranch_execz .LBB103_4
; %bb.3:
	s_load_dwordx2 s[20:21], s[4:5], 0x8
	s_waitcnt lgkmcnt(0)
	s_mul_i32 s22, s12, s10
	s_ashr_i32 s23, s22, 31
	s_lshl_b64 s[22:23], s[22:23], 1
	v_lshlrev_b32_e32 v4, 2, v0
	s_add_u32 s6, s20, s22
	s_addc_u32 s12, s21, s23
	s_ashr_i32 s17, s16, 31
	s_lshl_b64 s[20:21], s[16:17], 1
	s_add_u32 s20, s6, s20
	s_addc_u32 s21, s12, s21
	global_load_dwordx2 v[2:3], v30, s[20:21]
	v_and_b32_e32 v4, 0xff8, v4
	v_mad_u32_u24 v4, v1, s7, v4
	s_waitcnt vmcnt(0)
	ds_write_b64 v4, v[2:3]
.LBB103_4:
	s_or_b64 exec, exec, s[0:1]
	s_waitcnt lgkmcnt(0)
	s_add_i32 s1, s33, 31
	s_ashr_i32 s6, s1, 31
	s_lshr_b32 s6, s6, 27
	s_add_i32 s1, s1, s6
	s_ashr_i32 s12, s1, 5
	s_xor_b32 s1, s2, s3
	s_mul_i32 s2, s19, s11
	s_sub_i32 s2, s18, s2
	s_add_i32 s3, s19, 1
	s_sub_i32 s6, s2, s11
	s_load_dwordx2 s[20:21], s[4:5], 0x28
	s_load_dword s0, s[4:5], 0x38
	s_cmp_ge_u32 s2, s11
	s_cselect_b32 s3, s3, s19
	s_cselect_b32 s2, s6, s2
	s_add_i32 s6, s3, 1
	s_cmp_ge_u32 s2, s11
	s_cselect_b32 s2, s6, s3
	v_lshrrev_b32_e32 v29, 6, v0
	s_xor_b32 s2, s2, s1
	s_waitcnt lgkmcnt(0)
	s_mul_i32 s22, s0, s10
	s_sub_i32 s15, s2, s1
	s_ashr_i32 s23, s22, 31
	v_cmp_gt_i32_e64 s[0:1], s12, v29
	v_cmp_le_i32_e32 vcc, s12, v29
	v_mbcnt_lo_u32_b32 v3, -1, 0
	s_barrier
                                        ; implicit-def: $vgpr32
                                        ; implicit-def: $vgpr33
                                        ; implicit-def: $vgpr34
	s_and_saveexec_b64 s[2:3], vcc
	s_xor_b64 s[2:3], exec, s[2:3]
; %bb.5:
	v_mbcnt_hi_u32_b32 v32, -1, v3
	v_and_b32_e32 v33, 64, v32
	v_add_u32_e32 v34, 64, v33
                                        ; implicit-def: $vgpr1
                                        ; implicit-def: $vgpr3
; %bb.6:
	s_or_saveexec_b64 s[6:7], s[2:3]
	s_load_dwordx2 s[18:19], s[4:5], 0x0
	s_load_dwordx2 s[24:25], s[4:5], 0x18
	s_load_dword s11, s[4:5], 0x88
	v_mov_b32_e32 v35, 0xff7fffff
	s_mul_i32 s14, s15, s14
	v_lshrrev_b32_e32 v31, 4, v0
	s_xor_b64 exec, exec, s[6:7]
	s_cbranch_execz .LBB103_12
; %bb.7:
	s_load_dwordx2 s[2:3], s[4:5], 0x10
	s_ashr_i32 s15, s14, 31
	s_lshl_b64 s[4:5], s[14:15], 1
	v_bfe_u32 v2, v0, 1, 5
	v_lshlrev_b32_e32 v4, 4, v2
	s_waitcnt lgkmcnt(0)
	s_add_u32 s2, s2, s4
	s_addc_u32 s3, s3, s5
	v_mov_b32_e32 v5, s3
	v_add_co_u32_e32 v4, vcc, s2, v4
	v_addc_co_u32_e32 v5, vcc, 0, v5, vcc
	v_and_b32_e32 v6, 8, v30
	v_add_co_u32_e32 v36, vcc, v4, v6
	v_addc_co_u32_e32 v37, vcc, 0, v5, vcc
	v_mul_u32_u24_e32 v38, 0x70, v1
	v_cmp_eq_u32_e32 vcc, 0, v1
	s_sub_i32 s15, 1, s33
	v_lshlrev_b32_e32 v1, 2, v2
	s_lshl_b64 s[4:5], s[22:23], 2
	v_lshl_or_b32 v1, v29, 7, v1
	s_add_u32 s4, s20, s4
	v_add_u32_e32 v40, 0xf0, v1
	v_and_b32_e32 v1, 60, v31
	s_addc_u32 s5, s21, s5
	v_mbcnt_hi_u32_b32 v32, -1, v3
	v_lshl_or_b32 v39, v29, 5, v2
	v_mov_b32_e32 v2, s5
	v_add_co_u32_e64 v1, s[4:5], s4, v1
	v_and_b32_e32 v33, 64, v32
	s_mov_b32 s17, s13
	v_cmp_neq_f32_e64 s[2:3], s26, 0
	v_addc_co_u32_e64 v2, s[4:5], 0, v2, s[4:5]
	v_mov_b32_e32 v35, 0xff7fffff
	s_mov_b64 s[28:29], 0
	s_movk_i32 s34, 0x1000
	v_xor_b32_e32 v41, 1, v32
	v_add_u32_e32 v34, 64, v33
	v_mov_b32_e32 v42, v29
	s_branch .LBB103_9
.LBB103_8:                              ;   in Loop: Header=BB103_9 Depth=1
	s_or_b64 exec, exec, s[30:31]
	v_add_u32_e32 v42, 2, v42
	v_cmp_le_i32_e64 s[4:5], s12, v42
	s_or_b64 s[28:29], s[4:5], s[28:29]
	v_add_co_u32_e64 v1, s[4:5], 8, v1
	v_add_u32_e32 v39, 64, v39
	v_add_u32_e32 v40, 0x100, v40
	v_addc_co_u32_e64 v2, s[4:5], 0, v2, s[4:5]
	s_andn2_b64 exec, exec, s[28:29]
	s_cbranch_execz .LBB103_11
.LBB103_9:                              ; =>This Inner Loop Header: Depth=1
	global_load_dword v3, v[1:2], off
	s_waitcnt vmcnt(0) lgkmcnt(0)
	v_mad_i64_i32 v[3:4], s[4:5], v3, s17, 0
	v_lshlrev_b64 v[3:4], 1, v[3:4]
	v_add_co_u32_e64 v3, s[4:5], v36, v3
	v_addc_co_u32_e64 v4, s[4:5], v37, v4, s[4:5]
	global_load_dwordx2 v[5:6], v[3:4], off
	global_load_dwordx2 v[27:28], v[3:4], off offset:512
	global_load_dwordx2 v[25:26], v[3:4], off offset:1024
	;; [unrolled: 1-line block ×3, first 2 shown]
	v_add_co_u32_e64 v43, s[4:5], s34, v3
	ds_read_b64 v[7:8], v38
	v_addc_co_u32_e64 v44, s[4:5], 0, v4, s[4:5]
	global_load_dwordx2 v[21:22], v[3:4], off offset:2048
	global_load_dwordx2 v[19:20], v[3:4], off offset:2560
	;; [unrolled: 1-line block ×4, first 2 shown]
	global_load_dwordx2 v[13:14], v[43:44], off
	global_load_dwordx2 v[11:12], v[43:44], off offset:512
	v_cmp_lt_i32_e64 s[4:5], v41, v34
	s_waitcnt lgkmcnt(0)
	v_lshrrev_b32_e32 v46, 16, v7
	v_and_b32_e32 v45, 0xffff, v7
	v_lshrrev_b32_e32 v50, 16, v8
	v_and_b32_e32 v49, 0xffff, v8
	s_waitcnt vmcnt(9)
	v_lshrrev_b32_e32 v48, 16, v5
	v_and_b32_e32 v47, 0xffff, v5
	v_lshrrev_b32_e32 v52, 16, v6
	v_and_b32_e32 v51, 0xffff, v6
	global_load_dwordx2 v[9:10], v[43:44], off offset:1024
	global_load_dwordx2 v[7:8], v[43:44], off offset:1536
	;; [unrolled: 1-line block ×4, first 2 shown]
	;;#ASMSTART
	v_cvt_f32_f16 v45, v45;
	;;#ASMEND
	;;#ASMSTART
	v_cvt_f32_f16 v46, v46;
	;;#ASMEND
	;; [unrolled: 3-line block ×8, first 2 shown]
	ds_read_b64 v[43:44], v38 offset:8
	s_waitcnt lgkmcnt(0)
	v_and_b32_e32 v53, 0xffff, v43
	v_lshrrev_b32_e32 v43, 16, v43
	;;#ASMSTART
	v_cvt_f32_f16 v53, v53;
	;;#ASMEND
	;;#ASMSTART
	v_cvt_f32_f16 v54, v43;
	;;#ASMEND
	s_waitcnt vmcnt(12)
	v_and_b32_e32 v43, 0xffff, v27
	v_lshrrev_b32_e32 v27, 16, v27
	;;#ASMSTART
	v_cvt_f32_f16 v43, v43;
	;;#ASMEND
	;;#ASMSTART
	v_cvt_f32_f16 v27, v27;
	;;#ASMEND
	v_mul_f32_e32 v43, v53, v43
	v_mul_f32_e32 v27, v54, v27
	v_fmac_f32_e32 v43, v45, v47
	v_fmac_f32_e32 v27, v46, v48
	v_lshrrev_b32_e32 v45, 16, v44
	v_and_b32_e32 v44, 0xffff, v44
	v_and_b32_e32 v46, 0xffff, v28
	v_lshrrev_b32_e32 v28, 16, v28
	;;#ASMSTART
	v_cvt_f32_f16 v44, v44;
	;;#ASMEND
	;;#ASMSTART
	v_cvt_f32_f16 v45, v45;
	;;#ASMEND
	;; [unrolled: 3-line block ×4, first 2 shown]
	v_mul_f32_e32 v44, v44, v46
	v_mul_f32_e32 v28, v45, v28
	ds_read_b64 v[45:46], v38 offset:16
	s_waitcnt vmcnt(11)
	v_and_b32_e32 v48, 0xffff, v25
	v_lshrrev_b32_e32 v25, 16, v25
	v_fmac_f32_e32 v44, v49, v51
	v_fmac_f32_e32 v28, v50, v52
	s_waitcnt lgkmcnt(0)
	v_and_b32_e32 v47, 0xffff, v45
	v_lshrrev_b32_e32 v45, 16, v45
	;;#ASMSTART
	v_cvt_f32_f16 v47, v47;
	;;#ASMEND
	;;#ASMSTART
	v_cvt_f32_f16 v45, v45;
	;;#ASMEND
	;; [unrolled: 3-line block ×4, first 2 shown]
	v_fmac_f32_e32 v27, v45, v25
	v_and_b32_e32 v25, 0xffff, v46
	v_lshrrev_b32_e32 v45, 16, v46
	;;#ASMSTART
	v_cvt_f32_f16 v25, v25;
	;;#ASMEND
	v_and_b32_e32 v46, 0xffff, v26
	;;#ASMSTART
	v_cvt_f32_f16 v45, v45;
	;;#ASMEND
	;;#ASMSTART
	v_cvt_f32_f16 v46, v46;
	;;#ASMEND
	v_fmac_f32_e32 v44, v25, v46
	v_lshrrev_b32_e32 v25, 16, v26
	;;#ASMSTART
	v_cvt_f32_f16 v25, v25;
	;;#ASMEND
	v_fmac_f32_e32 v28, v45, v25
	ds_read_b64 v[25:26], v38 offset:24
	s_waitcnt vmcnt(10)
	v_and_b32_e32 v46, 0xffff, v23
	v_lshrrev_b32_e32 v23, 16, v23
	v_fmac_f32_e32 v43, v47, v48
	s_waitcnt vmcnt(7)
	v_lshrrev_b32_e32 v48, 16, v18
	s_waitcnt lgkmcnt(0)
	v_and_b32_e32 v45, 0xffff, v25
	v_lshrrev_b32_e32 v25, 16, v25
	;;#ASMSTART
	v_cvt_f32_f16 v45, v45;
	;;#ASMEND
	;;#ASMSTART
	v_cvt_f32_f16 v25, v25;
	;;#ASMEND
	;; [unrolled: 3-line block ×4, first 2 shown]
	v_fmac_f32_e32 v43, v45, v46
	v_fmac_f32_e32 v27, v25, v23
	v_and_b32_e32 v45, 0xffff, v24
	v_lshrrev_b32_e32 v46, 16, v24
	v_lshrrev_b32_e32 v24, 16, v26
	v_and_b32_e32 v23, 0xffff, v26
	;;#ASMSTART
	v_cvt_f32_f16 v23, v23;
	;;#ASMEND
	;;#ASMSTART
	v_cvt_f32_f16 v25, v24;
	;;#ASMEND
	;; [unrolled: 3-line block ×4, first 2 shown]
	v_fmac_f32_e32 v44, v23, v24
	ds_read_b64 v[23:24], v38 offset:32
	v_and_b32_e32 v45, 0xffff, v21
	v_fmac_f32_e32 v28, v25, v26
	v_lshrrev_b32_e32 v21, 16, v21
	v_lshrrev_b32_e32 v46, 16, v20
	s_waitcnt lgkmcnt(0)
	v_and_b32_e32 v25, 0xffff, v23
	v_lshrrev_b32_e32 v26, 16, v23
	;;#ASMSTART
	v_cvt_f32_f16 v23, v25;
	;;#ASMEND
	;;#ASMSTART
	v_cvt_f32_f16 v25, v26;
	;;#ASMEND
	;;#ASMSTART
	v_cvt_f32_f16 v26, v45;
	;;#ASMEND
	;;#ASMSTART
	v_cvt_f32_f16 v21, v21;
	;;#ASMEND
	v_and_b32_e32 v45, 0xffff, v19
	v_fmac_f32_e32 v27, v25, v21
	v_lshrrev_b32_e32 v25, 16, v19
	v_lshrrev_b32_e32 v21, 16, v24
	v_and_b32_e32 v19, 0xffff, v24
	v_fmac_f32_e32 v43, v23, v26
	v_and_b32_e32 v26, 0xffff, v22
	v_lshrrev_b32_e32 v22, 16, v22
	;;#ASMSTART
	v_cvt_f32_f16 v19, v19;
	;;#ASMEND
	;;#ASMSTART
	v_cvt_f32_f16 v23, v21;
	;;#ASMEND
	;; [unrolled: 3-line block ×4, first 2 shown]
	v_fmac_f32_e32 v44, v19, v21
	ds_read_b64 v[21:22], v38 offset:40
	v_and_b32_e32 v26, 0xffff, v20
	v_and_b32_e32 v47, 0xffff, v17
	v_fmac_f32_e32 v28, v23, v24
	s_waitcnt vmcnt(6)
	v_lshrrev_b32_e32 v49, 16, v16
	s_waitcnt lgkmcnt(0)
	v_and_b32_e32 v19, 0xffff, v21
	v_lshrrev_b32_e32 v20, 16, v21
	;;#ASMSTART
	v_cvt_f32_f16 v19, v19;
	;;#ASMEND
	;;#ASMSTART
	v_cvt_f32_f16 v20, v20;
	;;#ASMEND
	;; [unrolled: 3-line block ×3, first 2 shown]
	v_and_b32_e32 v45, 0xffff, v18
	;;#ASMSTART
	v_cvt_f32_f16 v18, v25;
	;;#ASMEND
	v_fmac_f32_e32 v43, v19, v21
	v_lshrrev_b32_e32 v19, 16, v17
	v_and_b32_e32 v17, 0xffff, v15
	v_fmac_f32_e32 v27, v20, v18
	v_lshrrev_b32_e32 v18, 16, v15
	v_lshrrev_b32_e32 v20, 16, v22
	v_and_b32_e32 v15, 0xffff, v22
	;;#ASMSTART
	v_cvt_f32_f16 v15, v15;
	;;#ASMEND
	;;#ASMSTART
	v_cvt_f32_f16 v20, v20;
	;;#ASMEND
	;; [unrolled: 3-line block ×4, first 2 shown]
	ds_read_b64 v[22:23], v38 offset:48
	v_fmac_f32_e32 v44, v15, v21
	v_and_b32_e32 v46, 0xffff, v16
	v_fmac_f32_e32 v28, v20, v24
	s_waitcnt vmcnt(5)
	v_and_b32_e32 v21, 0xffff, v13
	s_waitcnt lgkmcnt(0)
	v_and_b32_e32 v15, 0xffff, v22
	v_lshrrev_b32_e32 v16, 16, v22
	;;#ASMSTART
	v_cvt_f32_f16 v15, v15;
	;;#ASMEND
	;;#ASMSTART
	v_cvt_f32_f16 v16, v16;
	;;#ASMEND
	;; [unrolled: 3-line block ×3, first 2 shown]
	v_fmac_f32_e32 v43, v15, v20
	v_lshrrev_b32_e32 v15, 16, v23
	v_and_b32_e32 v20, 0xffff, v23
	v_lshrrev_b32_e32 v22, 16, v13
	;;#ASMSTART
	v_cvt_f32_f16 v13, v19;
	;;#ASMEND
	;;#ASMSTART
	v_cvt_f32_f16 v19, v20;
	;;#ASMEND
	;; [unrolled: 3-line block ×5, first 2 shown]
	v_fmac_f32_e32 v27, v16, v13
	ds_read_b64 v[15:16], v38 offset:56
	v_and_b32_e32 v23, 0xffff, v14
	v_lshrrev_b32_e32 v24, 16, v14
	v_fmac_f32_e32 v44, v19, v26
	v_fmac_f32_e32 v28, v20, v45
	s_waitcnt lgkmcnt(0)
	v_and_b32_e32 v13, 0xffff, v15
	v_lshrrev_b32_e32 v14, 16, v15
	v_lshrrev_b32_e32 v19, 16, v16
	v_and_b32_e32 v20, 0xffff, v16
	;;#ASMSTART
	v_cvt_f32_f16 v26, v13;
	;;#ASMEND
	;;#ASMSTART
	v_cvt_f32_f16 v15, v14;
	;;#ASMEND
	;; [unrolled: 3-line block ×8, first 2 shown]
	ds_read_b64 v[13:14], v38 offset:64
	s_waitcnt vmcnt(4)
	v_and_b32_e32 v25, 0xffff, v11
	v_fmac_f32_e32 v43, v26, v45
	v_lshrrev_b32_e32 v26, 16, v11
	v_fmac_f32_e32 v44, v17, v19
	s_waitcnt lgkmcnt(0)
	v_and_b32_e32 v11, 0xffff, v13
	v_lshrrev_b32_e32 v13, 16, v13
	v_lshrrev_b32_e32 v19, 16, v14
	v_and_b32_e32 v14, 0xffff, v14
	v_fmac_f32_e32 v27, v15, v16
	v_fmac_f32_e32 v28, v18, v20
	;;#ASMSTART
	v_cvt_f32_f16 v11, v11;
	;;#ASMEND
	;;#ASMSTART
	v_cvt_f32_f16 v15, v13;
	;;#ASMEND
	;; [unrolled: 3-line block ×8, first 2 shown]
	ds_read_b64 v[13:14], v38 offset:72
	v_fmac_f32_e32 v43, v11, v16
	v_fmac_f32_e32 v27, v15, v17
	;; [unrolled: 1-line block ×4, first 2 shown]
	s_waitcnt lgkmcnt(0)
	v_and_b32_e32 v11, 0xffff, v13
	v_lshrrev_b32_e32 v15, 16, v13
	;;#ASMSTART
	v_cvt_f32_f16 v13, v11;
	;;#ASMEND
	v_lshrrev_b32_e32 v11, 16, v14
	v_and_b32_e32 v14, 0xffff, v14
	;;#ASMSTART
	v_cvt_f32_f16 v15, v15;
	;;#ASMEND
	;;#ASMSTART
	v_cvt_f32_f16 v16, v25;
	;;#ASMEND
	;; [unrolled: 3-line block ×5, first 2 shown]
	v_and_b32_e32 v11, 0xffff, v12
	;;#ASMSTART
	v_cvt_f32_f16 v19, v11;
	;;#ASMEND
	v_lshrrev_b32_e32 v11, 16, v12
	;;#ASMSTART
	v_cvt_f32_f16 v20, v11;
	;;#ASMEND
	ds_read_b64 v[11:12], v38 offset:80
	v_fmac_f32_e32 v43, v13, v16
	v_fmac_f32_e32 v44, v14, v19
	s_waitcnt vmcnt(3)
	v_and_b32_e32 v14, 0xffff, v9
	v_lshrrev_b32_e32 v9, 16, v9
	s_waitcnt lgkmcnt(0)
	v_and_b32_e32 v13, 0xffff, v11
	v_lshrrev_b32_e32 v11, 16, v11
	v_fmac_f32_e32 v27, v15, v17
	;;#ASMSTART
	v_cvt_f32_f16 v13, v13;
	;;#ASMEND
	;;#ASMSTART
	v_cvt_f32_f16 v11, v11;
	;;#ASMEND
	;; [unrolled: 3-line block ×4, first 2 shown]
	v_lshrrev_b32_e32 v9, 16, v12
	v_and_b32_e32 v12, 0xffff, v12
	;;#ASMSTART
	v_cvt_f32_f16 v12, v12;
	;;#ASMEND
	;;#ASMSTART
	v_cvt_f32_f16 v16, v9;
	;;#ASMEND
	v_and_b32_e32 v9, 0xffff, v10
	;;#ASMSTART
	v_cvt_f32_f16 v17, v9;
	;;#ASMEND
	v_lshrrev_b32_e32 v9, 16, v10
	v_fmac_f32_e32 v28, v18, v20
	;;#ASMSTART
	v_cvt_f32_f16 v18, v9;
	;;#ASMEND
	ds_read_b64 v[9:10], v38 offset:88
	v_fmac_f32_e32 v27, v11, v15
	v_fmac_f32_e32 v44, v12, v17
	s_waitcnt vmcnt(2)
	v_and_b32_e32 v12, 0xffff, v7
	v_lshrrev_b32_e32 v7, 16, v7
	s_waitcnt lgkmcnt(0)
	v_and_b32_e32 v11, 0xffff, v9
	v_lshrrev_b32_e32 v9, 16, v9
	v_fmac_f32_e32 v43, v13, v14
	v_fmac_f32_e32 v28, v16, v18
	;;#ASMSTART
	v_cvt_f32_f16 v11, v11;
	;;#ASMEND
	;;#ASMSTART
	v_cvt_f32_f16 v9, v9;
	;;#ASMEND
	;; [unrolled: 3-line block ×4, first 2 shown]
	v_lshrrev_b32_e32 v7, 16, v10
	v_and_b32_e32 v10, 0xffff, v10
	v_lshrrev_b32_e32 v16, 16, v8
	v_and_b32_e32 v8, 0xffff, v8
	;;#ASMSTART
	v_cvt_f32_f16 v10, v10;
	;;#ASMEND
	;;#ASMSTART
	v_cvt_f32_f16 v14, v7;
	;;#ASMEND
	;; [unrolled: 3-line block ×4, first 2 shown]
	ds_read_b64 v[7:8], v38 offset:96
	v_fmac_f32_e32 v27, v9, v13
	v_fmac_f32_e32 v44, v10, v15
	s_waitcnt vmcnt(1)
	v_and_b32_e32 v10, 0xffff, v5
	v_lshrrev_b32_e32 v5, 16, v5
	s_waitcnt lgkmcnt(0)
	v_lshrrev_b32_e32 v9, 16, v7
	v_and_b32_e32 v7, 0xffff, v7
	v_fmac_f32_e32 v43, v11, v12
	;;#ASMSTART
	v_cvt_f32_f16 v7, v7;
	;;#ASMEND
	;;#ASMSTART
	v_cvt_f32_f16 v9, v9;
	;;#ASMEND
	;; [unrolled: 3-line block ×4, first 2 shown]
	v_lshrrev_b32_e32 v5, 16, v8
	v_and_b32_e32 v8, 0xffff, v8
	;;#ASMSTART
	v_cvt_f32_f16 v8, v8;
	;;#ASMEND
	;;#ASMSTART
	v_cvt_f32_f16 v12, v5;
	;;#ASMEND
	v_lshrrev_b32_e32 v5, 16, v6
	v_and_b32_e32 v6, 0xffff, v6
	v_fmac_f32_e32 v28, v14, v16
	;;#ASMSTART
	v_cvt_f32_f16 v13, v6;
	;;#ASMEND
	;;#ASMSTART
	v_cvt_f32_f16 v14, v5;
	;;#ASMEND
	ds_read_b64 v[5:6], v38 offset:104
	v_fmac_f32_e32 v43, v7, v10
	v_fmac_f32_e32 v44, v8, v13
	s_waitcnt vmcnt(0)
	v_lshrrev_b32_e32 v8, 16, v3
	v_and_b32_e32 v3, 0xffff, v3
	s_waitcnt lgkmcnt(0)
	v_lshrrev_b32_e32 v7, 16, v5
	v_and_b32_e32 v5, 0xffff, v5
	;;#ASMSTART
	v_cvt_f32_f16 v5, v5;
	;;#ASMEND
	;;#ASMSTART
	v_cvt_f32_f16 v7, v7;
	;;#ASMEND
	;; [unrolled: 3-line block ×3, first 2 shown]
	v_fmac_f32_e32 v27, v9, v11
	v_fmac_f32_e32 v43, v5, v3
	v_and_b32_e32 v3, 0xffff, v6
	;;#ASMSTART
	v_cvt_f32_f16 v8, v8;
	;;#ASMEND
	v_fmac_f32_e32 v27, v7, v8
	v_lshrrev_b32_e32 v5, 16, v6
	;;#ASMSTART
	v_cvt_f32_f16 v3, v3;
	;;#ASMEND
	v_lshrrev_b32_e32 v6, 16, v4
	v_and_b32_e32 v4, 0xffff, v4
	v_fmac_f32_e32 v28, v12, v14
	;;#ASMSTART
	v_cvt_f32_f16 v5, v5;
	;;#ASMEND
	;;#ASMSTART
	v_cvt_f32_f16 v4, v4;
	;;#ASMEND
	v_fmac_f32_e32 v44, v3, v4
	v_add_f32_e32 v3, v43, v27
	;;#ASMSTART
	v_cvt_f32_f16 v6, v6;
	;;#ASMEND
	v_fmac_f32_e32 v28, v5, v6
	v_add_f32_e32 v3, v3, v44
	v_cndmask_b32_e64 v4, v32, v41, s[4:5]
	v_add_f32_e32 v3, v28, v3
	v_lshlrev_b32_e32 v4, 2, v4
	ds_bpermute_b32 v4, v4, v3
	s_and_saveexec_b64 s[30:31], vcc
	s_cbranch_execz .LBB103_8
; %bb.10:                               ;   in Loop: Header=BB103_9 Depth=1
	v_add_u32_e32 v5, s15, v39
	v_cvt_f32_i32_e32 v5, v5
	s_waitcnt lgkmcnt(0)
	v_add_f32_e32 v3, v3, v4
	v_cmp_gt_i32_e64 s[4:5], s33, v39
	v_max_f32_e32 v4, v35, v35
	v_mul_f32_e32 v5, s26, v5
	v_cndmask_b32_e64 v5, 0, v5, s[2:3]
	v_fmac_f32_e32 v5, s27, v3
	v_cndmask_b32_e64 v3, 0, v5, s[4:5]
	ds_write_b32 v40, v3
	v_max_f32_e32 v3, v4, v5
	v_cndmask_b32_e64 v35, v35, v3, s[4:5]
	s_branch .LBB103_8
.LBB103_11:
	s_or_b64 exec, exec, s[28:29]
.LBB103_12:
	s_or_b64 exec, exec, s[6:7]
	v_xor_b32_e32 v1, 32, v32
	v_cmp_lt_i32_e32 vcc, v1, v34
	v_cndmask_b32_e32 v1, v32, v1, vcc
	v_lshlrev_b32_e32 v1, 2, v1
	ds_bpermute_b32 v2, v1, v35
	s_waitcnt lgkmcnt(0)
	v_xor_b32_e32 v4, 16, v32
	v_max_f32_e32 v3, v35, v35
	v_cmp_lt_i32_e32 vcc, v4, v34
	v_xor_b32_e32 v5, 8, v32
	v_max_f32_e32 v2, v2, v2
	v_max_f32_e32 v3, v3, v2
	v_cndmask_b32_e32 v2, v32, v4, vcc
	v_lshlrev_b32_e32 v2, 2, v2
	ds_bpermute_b32 v4, v2, v3
	v_cmp_lt_i32_e32 vcc, v5, v34
	v_xor_b32_e32 v6, 4, v32
	v_xor_b32_e32 v7, 2, v32
	v_and_b32_e32 v9, 63, v0
	s_waitcnt lgkmcnt(0)
	v_max_f32_e32 v4, v4, v4
	v_max_f32_e32 v4, v3, v4
	v_cndmask_b32_e32 v3, v32, v5, vcc
	v_lshlrev_b32_e32 v3, 2, v3
	ds_bpermute_b32 v5, v3, v4
	v_cmp_lt_i32_e32 vcc, v6, v34
	s_waitcnt lgkmcnt(0)
	v_max_f32_e32 v5, v5, v5
	v_max_f32_e32 v5, v4, v5
	v_cndmask_b32_e32 v4, v32, v6, vcc
	v_lshlrev_b32_e32 v4, 2, v4
	ds_bpermute_b32 v6, v4, v5
	v_cmp_lt_i32_e32 vcc, v7, v34
	s_waitcnt lgkmcnt(0)
	v_max_f32_e32 v6, v6, v6
	v_max_f32_e32 v6, v5, v6
	v_cndmask_b32_e32 v5, v32, v7, vcc
	v_lshlrev_b32_e32 v10, 2, v5
	ds_bpermute_b32 v7, v10, v6
	v_cmp_eq_u32_e32 vcc, 0, v9
	v_lshlrev_b32_e32 v5, 2, v29
	s_and_saveexec_b64 s[2:3], vcc
	s_cbranch_execz .LBB103_14
; %bb.13:
	s_waitcnt lgkmcnt(0)
	v_max_f32_e32 v7, v7, v7
	v_max_f32_e32 v6, v6, v6
	;; [unrolled: 1-line block ×3, first 2 shown]
	ds_write_b32 v5, v6 offset:224
.LBB103_14:
	s_or_b64 exec, exec, s[2:3]
	v_cmp_gt_u32_e64 s[2:3], 2, v9
	s_waitcnt lgkmcnt(0)
	v_mov_b32_e32 v7, 0xff7fffff
	v_lshlrev_b32_e32 v6, 2, v9
	s_barrier
	s_and_saveexec_b64 s[4:5], s[2:3]
; %bb.15:
	ds_read_b32 v7, v6 offset:224
; %bb.16:
	s_or_b64 exec, exec, s[4:5]
	v_xor_b32_e32 v8, 1, v32
	v_cmp_lt_i32_e64 s[4:5], v8, v34
	v_cndmask_b32_e64 v8, v32, v8, s[4:5]
	v_lshlrev_b32_e32 v11, 2, v8
	s_waitcnt lgkmcnt(0)
	ds_bpermute_b32 v8, v11, v7
	v_max_f32_e32 v7, v7, v7
	s_lshl_b32 s4, s12, 5
	s_min_i32 s15, s4, s33
	v_cmp_gt_i32_e64 s[4:5], s15, v0
	s_waitcnt lgkmcnt(0)
	v_max_f32_e32 v8, v8, v8
	v_max_f32_e32 v7, v7, v8
	v_lshlrev_b32_e32 v8, 2, v33
	ds_bpermute_b32 v8, v8, v7
	v_mov_b32_e32 v7, 0
	s_and_saveexec_b64 s[26:27], s[4:5]
	s_cbranch_execz .LBB103_20
; %bb.17:
	v_mov_b32_e32 v7, 0xf0
	v_lshl_add_u32 v12, v0, 2, v7
	v_mov_b32_e32 v7, 0
	s_mov_b64 s[28:29], 0
	v_mov_b32_e32 v13, v0
.LBB103_18:                             ; =>This Inner Loop Header: Depth=1
	ds_read_b32 v14, v12
	v_add_u32_e32 v13, 0x80, v13
	v_cmp_le_i32_e64 s[6:7], s15, v13
	s_or_b64 s[28:29], s[6:7], s[28:29]
	s_waitcnt lgkmcnt(0)
	v_sub_f32_e32 v14, v14, v8
	v_mul_f32_e32 v14, 0x3fb8aa3b, v14
	v_exp_f32_e32 v14, v14
	ds_write_b32 v12, v14
	v_add_f32_e32 v7, v7, v14
	v_add_u32_e32 v12, 0x200, v12
	s_andn2_b64 exec, exec, s[28:29]
	s_cbranch_execnz .LBB103_18
; %bb.19:
	s_or_b64 exec, exec, s[28:29]
.LBB103_20:
	s_or_b64 exec, exec, s[26:27]
	ds_bpermute_b32 v1, v1, v7
	s_waitcnt lgkmcnt(0)
	v_add_f32_e32 v1, v7, v1
	ds_bpermute_b32 v2, v2, v1
	s_waitcnt lgkmcnt(0)
	v_add_f32_e32 v1, v1, v2
	;; [unrolled: 3-line block ×6, first 2 shown]
	s_and_saveexec_b64 s[6:7], vcc
; %bb.21:
	ds_write_b32 v5, v1 offset:232
; %bb.22:
	s_or_b64 exec, exec, s[6:7]
	s_waitcnt lgkmcnt(0)
	s_barrier
	s_and_saveexec_b64 s[6:7], s[2:3]
; %bb.23:
	ds_read_b32 v1, v6 offset:232
; %bb.24:
	s_or_b64 exec, exec, s[6:7]
	s_waitcnt lgkmcnt(0)
	ds_bpermute_b32 v2, v11, v1
	v_lshlrev_b32_e32 v3, 2, v32
	s_waitcnt lgkmcnt(0)
	v_add_f32_e32 v1, v1, v2
	v_and_b32_e32 v2, 0xffffff00, v3
	ds_bpermute_b32 v1, v2, v1
	s_and_saveexec_b64 s[2:3], s[4:5]
	s_cbranch_execz .LBB103_27
; %bb.25:
	s_waitcnt lgkmcnt(0)
	v_add_f32_e32 v2, 0x358637bd, v1
	v_div_scale_f32 v1, s[4:5], v2, v2, 1.0
	v_div_scale_f32 v3, vcc, 1.0, v2, 1.0
	s_mov_b64 s[4:5], 0
	v_rcp_f32_e32 v4, v1
	v_fma_f32 v5, -v1, v4, 1.0
	v_fmac_f32_e32 v4, v5, v4
	v_mul_f32_e32 v5, v3, v4
	v_fma_f32 v6, -v1, v5, v3
	v_fmac_f32_e32 v5, v6, v4
	v_fma_f32 v1, -v1, v5, v3
	v_div_fmas_f32 v3, v1, v4, v5
	v_mov_b32_e32 v1, 0xf0
	v_lshl_add_u32 v1, v0, 2, v1
	v_div_fixup_f32 v2, v3, v2, 1.0
	v_mov_b32_e32 v3, v0
.LBB103_26:                             ; =>This Inner Loop Header: Depth=1
	ds_read_b32 v4, v1
	v_add_u32_e32 v3, 0x80, v3
	v_cmp_le_i32_e32 vcc, s15, v3
	s_or_b64 s[4:5], vcc, s[4:5]
	s_waitcnt lgkmcnt(0)
	v_mul_f32_e32 v4, v2, v4
	ds_write_b32 v1, v4
	v_add_u32_e32 v1, 0x200, v1
	s_andn2_b64 exec, exec, s[4:5]
	s_cbranch_execnz .LBB103_26
.LBB103_27:
	s_or_b64 exec, exec, s[2:3]
	v_mov_b32_e32 v18, 0
	v_and_b32_e32 v12, 3, v0
	v_mov_b32_e32 v19, 0
	v_mov_b32_e32 v17, 0
	;; [unrolled: 1-line block ×6, first 2 shown]
	s_waitcnt lgkmcnt(0)
	s_barrier
	s_and_saveexec_b64 s[2:3], s[0:1]
	s_cbranch_execz .LBB103_45
; %bb.28:
	s_ashr_i32 s15, s14, 31
	s_lshl_b64 s[0:1], s[14:15], 1
	v_lshlrev_b32_e32 v2, 4, v0
	s_add_u32 s0, s24, s0
	v_and_b32_e32 v2, 0x3f0, v2
	v_and_b32_e32 v1, 24, v30
	s_addc_u32 s1, s25, s1
	v_add_co_u32_e32 v21, vcc, s0, v2
	v_lshlrev_b32_e32 v2, 5, v29
	s_add_i32 s14, s12, -1
	v_mov_b32_e32 v3, s1
	v_or3_b32 v23, v2, v1, 7
	v_lshlrev_b32_e32 v1, 5, v12
	s_lshl_b64 s[0:1], s[22:23], 2
	v_lshl_or_b32 v1, v29, 7, v1
	s_add_u32 s0, s20, s0
	v_addc_co_u32_e32 v22, vcc, 0, v3, vcc
	v_add_u32_e32 v24, 0xf0, v1
	v_and_b32_e32 v1, 60, v31
	s_addc_u32 s1, s21, s1
	v_mov_b32_e32 v2, s1
	v_add_co_u32_e32 v5, vcc, s0, v1
	v_mov_b32_e32 v20, 0
	v_addc_co_u32_e32 v6, vcc, 0, v2, vcc
	s_mov_b64 s[4:5], 0
	s_mov_b32 s15, 0xffff
	v_mov_b32_e32 v13, 0
	v_mov_b32_e32 v14, 0
	;; [unrolled: 1-line block ×7, first 2 shown]
	s_branch .LBB103_30
.LBB103_29:                             ;   in Loop: Header=BB103_30 Depth=1
	s_or_b64 exec, exec, s[6:7]
	v_add_f32_e32 v25, v47, v48
	v_add_f32_e32 v14, v14, v25
	;; [unrolled: 1-line block ×12, first 2 shown]
	v_lshlrev_b32_e32 v25, 16, v49
	v_and_or_b32 v1, v1, s15, v25
	v_lshlrev_b32_e32 v8, 16, v8
	v_lshlrev_b32_e32 v7, 16, v7
	v_and_or_b32 v2, v2, s15, v8
	v_and_or_b32 v3, v3, s15, v7
	;;#ASMSTART
	v_pk_mul_f16 v1, v33, v1;

	;;#ASMEND
	;;#ASMSTART
	v_pk_mul_f16 v2, v34, v2;

	;;#ASMEND
	;; [unrolled: 4-line block ×4, first 2 shown]
	;;#ASMSTART
	v_pk_add_f16 v1, v1, v2;

	;;#ASMEND
	;;#ASMSTART
	v_pk_add_f16 v1, v1, v3;

	;;#ASMEND
	;; [unrolled: 4-line block ×3, first 2 shown]
	v_lshrrev_b32_e32 v2, 16, v1
	v_and_b32_e32 v1, 0xffff, v1
	v_add_u32_e32 v29, 2, v29
	;;#ASMSTART
	v_cvt_f32_f16 v1, v1;
	;;#ASMEND
	v_cmp_le_i32_e32 vcc, s12, v29
	;;#ASMSTART
	v_cvt_f32_f16 v2, v2;
	;;#ASMEND
	v_add_f32_e32 v1, v1, v2
	s_or_b64 s[4:5], vcc, s[4:5]
	v_add_co_u32_e32 v5, vcc, 8, v5
	v_add_f32_e32 v13, v13, v1
	v_add_u32_e32 v23, 64, v23
	v_add_u32_e32 v24, 0x100, v24
	v_addc_co_u32_e32 v6, vcc, 0, v6, vcc
	s_andn2_b64 exec, exec, s[4:5]
	s_cbranch_execz .LBB103_44
.LBB103_30:                             ; =>This Inner Loop Header: Depth=1
	global_load_dword v7, v[5:6], off
	ds_read2_b64 v[1:4], v24 offset1:1
	ds_read2_b64 v[25:28], v24 offset0:2 offset1:3
	v_add_u32_e32 v32, -6, v23
	v_add_u32_e32 v31, -5, v23
	s_waitcnt lgkmcnt(1)
	;;#ASMSTART
	v_cvt_f16_f32 v33, v1;

	;;#ASMEND
	;;#ASMSTART
	v_cvt_f16_f32 v34, v2;

	;;#ASMEND
	;; [unrolled: 4-line block ×4, first 2 shown]
	s_waitcnt lgkmcnt(0)
	;;#ASMSTART
	v_cvt_f16_f32 v37, v25;

	;;#ASMEND
	;;#ASMSTART
	v_cvt_f16_f32 v38, v26;

	;;#ASMEND
	;; [unrolled: 4-line block ×4, first 2 shown]
	v_add_u32_e32 v25, -7, v23
	v_add_u32_e32 v28, -4, v23
	;; [unrolled: 1-line block ×5, first 2 shown]
	s_waitcnt vmcnt(0)
	v_mad_i64_i32 v[1:2], s[0:1], v7, s13, 0
	v_cmp_eq_u32_e64 s[0:1], s14, v29
	v_lshlrev_b64 v[1:2], 1, v[1:2]
	v_add_co_u32_e32 v7, vcc, v21, v1
	v_addc_co_u32_e32 v8, vcc, v22, v2, vcc
	global_load_dwordx4 v[1:4], v[7:8], off
	s_waitcnt vmcnt(0)
	v_lshrrev_b32_e32 v43, 16, v1
	v_lshrrev_b32_e32 v42, 16, v2
	;; [unrolled: 1-line block ×3, first 2 shown]
	s_and_saveexec_b64 s[6:7], s[0:1]
	s_cbranch_execz .LBB103_32
; %bb.31:                               ;   in Loop: Header=BB103_30 Depth=1
	v_cmp_gt_i32_e32 vcc, s33, v25
	v_cndmask_b32_e32 v1, 0, v1, vcc
	v_cmp_gt_i32_e32 vcc, s33, v32
	v_cndmask_b32_e32 v43, 0, v43, vcc
	;; [unrolled: 2-line block ×6, first 2 shown]
	v_cmp_gt_i32_e32 vcc, s33, v30
	v_cndmask_b32_sdwa v44, v20, v4, vcc dst_sel:DWORD dst_unused:UNUSED_PAD src0_sel:DWORD src1_sel:WORD_0
	v_and_b32_e32 v4, 0xffff0000, v4
	v_cmp_gt_i32_e32 vcc, s33, v23
	v_cndmask_b32_e32 v4, 0, v4, vcc
	v_or_b32_e32 v4, v44, v4
.LBB103_32:                             ;   in Loop: Header=BB103_30 Depth=1
	s_or_b64 exec, exec, s[6:7]
	v_and_b32_e32 v33, 0xffff, v33
	v_lshl_or_b32 v33, v34, 16, v33
	v_and_b32_e32 v34, 0xffff, v35
	v_and_b32_e32 v35, 0xffff, v37
	v_lshlrev_b32_e32 v37, 16, v43
	v_and_or_b32 v1, v1, s15, v37
	v_lshlrev_b32_e32 v37, 16, v42
	v_and_or_b32 v2, v2, s15, v37
	v_lshlrev_b32_e32 v37, 16, v41
	v_lshl_or_b32 v34, v36, 16, v34
	v_and_b32_e32 v36, 0xffff, v39
	v_and_or_b32 v3, v3, s15, v37
	;;#ASMSTART
	v_pk_mul_f16 v1, v33, v1;

	;;#ASMEND
	v_lshl_or_b32 v35, v38, 16, v35
	v_lshl_or_b32 v36, v40, 16, v36
	;;#ASMSTART
	v_pk_mul_f16 v2, v34, v2;

	;;#ASMEND
	;;#ASMSTART
	v_pk_mul_f16 v3, v35, v3;

	;;#ASMEND
	;; [unrolled: 4-line block ×3, first 2 shown]
	;;#ASMSTART
	v_pk_add_f16 v1, v1, v2;

	;;#ASMEND
	;;#ASMSTART
	v_pk_add_f16 v1, v1, v3;

	;;#ASMEND
	;; [unrolled: 4-line block ×3, first 2 shown]
	v_lshrrev_b32_e32 v2, 16, v1
	v_and_b32_e32 v1, 0xffff, v1
	;;#ASMSTART
	v_cvt_f32_f16 v37, v1;
	;;#ASMEND
	;;#ASMSTART
	v_cvt_f32_f16 v38, v2;
	;;#ASMEND
	global_load_dwordx4 v[1:4], v[7:8], off offset:1024
	s_waitcnt vmcnt(0)
	v_lshrrev_b32_e32 v41, 16, v1
	v_lshrrev_b32_e32 v40, 16, v2
	;; [unrolled: 1-line block ×3, first 2 shown]
	s_and_saveexec_b64 s[6:7], s[0:1]
	s_cbranch_execz .LBB103_34
; %bb.33:                               ;   in Loop: Header=BB103_30 Depth=1
	v_cmp_gt_i32_e32 vcc, s33, v25
	v_cndmask_b32_e32 v1, 0, v1, vcc
	v_cmp_gt_i32_e32 vcc, s33, v32
	v_cndmask_b32_e32 v41, 0, v41, vcc
	;; [unrolled: 2-line block ×6, first 2 shown]
	v_cmp_gt_i32_e32 vcc, s33, v30
	v_cndmask_b32_sdwa v42, v20, v4, vcc dst_sel:DWORD dst_unused:UNUSED_PAD src0_sel:DWORD src1_sel:WORD_0
	v_and_b32_e32 v4, 0xffff0000, v4
	v_cmp_gt_i32_e32 vcc, s33, v23
	v_cndmask_b32_e32 v4, 0, v4, vcc
	v_or_b32_e32 v4, v42, v4
.LBB103_34:                             ;   in Loop: Header=BB103_30 Depth=1
	s_or_b64 exec, exec, s[6:7]
	v_lshlrev_b32_e32 v41, 16, v41
	v_and_or_b32 v1, v1, s15, v41
	v_lshlrev_b32_e32 v40, 16, v40
	v_lshlrev_b32_e32 v39, 16, v39
	v_and_or_b32 v2, v2, s15, v40
	v_and_or_b32 v3, v3, s15, v39
	;;#ASMSTART
	v_pk_mul_f16 v1, v33, v1;

	;;#ASMEND
	;;#ASMSTART
	v_pk_mul_f16 v2, v34, v2;

	;;#ASMEND
	;; [unrolled: 4-line block ×4, first 2 shown]
	;;#ASMSTART
	v_pk_add_f16 v1, v1, v2;

	;;#ASMEND
	;;#ASMSTART
	v_pk_add_f16 v1, v1, v3;

	;;#ASMEND
	;; [unrolled: 4-line block ×3, first 2 shown]
	v_lshrrev_b32_e32 v2, 16, v1
	v_and_b32_e32 v1, 0xffff, v1
	;;#ASMSTART
	v_cvt_f32_f16 v39, v1;
	;;#ASMEND
	;;#ASMSTART
	v_cvt_f32_f16 v40, v2;
	;;#ASMEND
	global_load_dwordx4 v[1:4], v[7:8], off offset:2048
	s_waitcnt vmcnt(0)
	v_lshrrev_b32_e32 v43, 16, v1
	v_lshrrev_b32_e32 v42, 16, v2
	;; [unrolled: 1-line block ×3, first 2 shown]
	s_and_saveexec_b64 s[6:7], s[0:1]
	s_cbranch_execz .LBB103_36
; %bb.35:                               ;   in Loop: Header=BB103_30 Depth=1
	v_cmp_gt_i32_e32 vcc, s33, v25
	v_cndmask_b32_e32 v1, 0, v1, vcc
	v_cmp_gt_i32_e32 vcc, s33, v32
	v_cndmask_b32_e32 v43, 0, v43, vcc
	;; [unrolled: 2-line block ×6, first 2 shown]
	v_cmp_gt_i32_e32 vcc, s33, v30
	v_cndmask_b32_sdwa v44, v20, v4, vcc dst_sel:DWORD dst_unused:UNUSED_PAD src0_sel:DWORD src1_sel:WORD_0
	v_and_b32_e32 v4, 0xffff0000, v4
	v_cmp_gt_i32_e32 vcc, s33, v23
	v_cndmask_b32_e32 v4, 0, v4, vcc
	v_or_b32_e32 v4, v44, v4
.LBB103_36:                             ;   in Loop: Header=BB103_30 Depth=1
	s_or_b64 exec, exec, s[6:7]
	v_lshlrev_b32_e32 v43, 16, v43
	v_and_or_b32 v1, v1, s15, v43
	v_lshlrev_b32_e32 v42, 16, v42
	v_lshlrev_b32_e32 v41, 16, v41
	v_and_or_b32 v2, v2, s15, v42
	v_and_or_b32 v3, v3, s15, v41
	;;#ASMSTART
	v_pk_mul_f16 v1, v33, v1;

	;;#ASMEND
	;;#ASMSTART
	v_pk_mul_f16 v2, v34, v2;

	;;#ASMEND
	;; [unrolled: 4-line block ×4, first 2 shown]
	;;#ASMSTART
	v_pk_add_f16 v1, v1, v2;

	;;#ASMEND
	;;#ASMSTART
	v_pk_add_f16 v1, v1, v3;

	;;#ASMEND
	;; [unrolled: 4-line block ×3, first 2 shown]
	v_lshrrev_b32_e32 v2, 16, v1
	v_and_b32_e32 v1, 0xffff, v1
	;;#ASMSTART
	v_cvt_f32_f16 v41, v1;
	;;#ASMEND
	;;#ASMSTART
	v_cvt_f32_f16 v42, v2;
	;;#ASMEND
	global_load_dwordx4 v[1:4], v[7:8], off offset:3072
	s_waitcnt vmcnt(0)
	v_lshrrev_b32_e32 v45, 16, v1
	v_lshrrev_b32_e32 v44, 16, v2
	v_lshrrev_b32_e32 v43, 16, v3
	s_and_saveexec_b64 s[6:7], s[0:1]
	s_cbranch_execz .LBB103_38
; %bb.37:                               ;   in Loop: Header=BB103_30 Depth=1
	v_cmp_gt_i32_e32 vcc, s33, v25
	v_cndmask_b32_e32 v1, 0, v1, vcc
	v_cmp_gt_i32_e32 vcc, s33, v32
	v_cndmask_b32_e32 v45, 0, v45, vcc
	;; [unrolled: 2-line block ×6, first 2 shown]
	v_cmp_gt_i32_e32 vcc, s33, v30
	v_cndmask_b32_sdwa v46, v20, v4, vcc dst_sel:DWORD dst_unused:UNUSED_PAD src0_sel:DWORD src1_sel:WORD_0
	v_and_b32_e32 v4, 0xffff0000, v4
	v_cmp_gt_i32_e32 vcc, s33, v23
	v_cndmask_b32_e32 v4, 0, v4, vcc
	v_or_b32_e32 v4, v46, v4
.LBB103_38:                             ;   in Loop: Header=BB103_30 Depth=1
	s_or_b64 exec, exec, s[6:7]
	v_lshlrev_b32_e32 v45, 16, v45
	v_and_or_b32 v1, v1, s15, v45
	v_lshlrev_b32_e32 v44, 16, v44
	v_lshlrev_b32_e32 v43, 16, v43
	v_and_or_b32 v2, v2, s15, v44
	v_and_or_b32 v3, v3, s15, v43
	;;#ASMSTART
	v_pk_mul_f16 v1, v33, v1;

	;;#ASMEND
	;;#ASMSTART
	v_pk_mul_f16 v2, v34, v2;

	;;#ASMEND
	;; [unrolled: 4-line block ×4, first 2 shown]
	;;#ASMSTART
	v_pk_add_f16 v1, v1, v2;

	;;#ASMEND
	;;#ASMSTART
	v_pk_add_f16 v1, v1, v3;

	;;#ASMEND
	;; [unrolled: 4-line block ×3, first 2 shown]
	v_lshrrev_b32_e32 v2, 16, v1
	v_and_b32_e32 v1, 0xffff, v1
	;;#ASMSTART
	v_cvt_f32_f16 v43, v1;
	;;#ASMEND
	v_add_co_u32_e32 v1, vcc, 0x1000, v7
	;;#ASMSTART
	v_cvt_f32_f16 v44, v2;
	;;#ASMEND
	v_addc_co_u32_e32 v2, vcc, 0, v8, vcc
	global_load_dwordx4 v[1:4], v[1:2], off
	s_waitcnt vmcnt(0)
	v_lshrrev_b32_e32 v47, 16, v1
	v_lshrrev_b32_e32 v46, 16, v2
	;; [unrolled: 1-line block ×3, first 2 shown]
	s_and_saveexec_b64 s[6:7], s[0:1]
	s_cbranch_execz .LBB103_40
; %bb.39:                               ;   in Loop: Header=BB103_30 Depth=1
	v_cmp_gt_i32_e32 vcc, s33, v25
	v_cndmask_b32_e32 v1, 0, v1, vcc
	v_cmp_gt_i32_e32 vcc, s33, v32
	v_cndmask_b32_e32 v47, 0, v47, vcc
	;; [unrolled: 2-line block ×6, first 2 shown]
	v_cmp_gt_i32_e32 vcc, s33, v30
	v_cndmask_b32_sdwa v48, v20, v4, vcc dst_sel:DWORD dst_unused:UNUSED_PAD src0_sel:DWORD src1_sel:WORD_0
	v_and_b32_e32 v4, 0xffff0000, v4
	v_cmp_gt_i32_e32 vcc, s33, v23
	v_cndmask_b32_e32 v4, 0, v4, vcc
	v_or_b32_e32 v4, v48, v4
.LBB103_40:                             ;   in Loop: Header=BB103_30 Depth=1
	s_or_b64 exec, exec, s[6:7]
	v_lshlrev_b32_e32 v47, 16, v47
	v_and_or_b32 v1, v1, s15, v47
	v_lshlrev_b32_e32 v46, 16, v46
	v_lshlrev_b32_e32 v45, 16, v45
	v_and_or_b32 v2, v2, s15, v46
	v_and_or_b32 v3, v3, s15, v45
	;;#ASMSTART
	v_pk_mul_f16 v1, v33, v1;

	;;#ASMEND
	;;#ASMSTART
	v_pk_mul_f16 v2, v34, v2;

	;;#ASMEND
	;;#ASMSTART
	v_pk_mul_f16 v3, v35, v3;

	;;#ASMEND
	;;#ASMSTART
	v_pk_mul_f16 v4, v36, v4;

	;;#ASMEND
	;;#ASMSTART
	v_pk_add_f16 v1, v1, v2;

	;;#ASMEND
	;;#ASMSTART
	v_pk_add_f16 v1, v1, v3;

	;;#ASMEND
	;; [unrolled: 4-line block ×3, first 2 shown]
	v_lshrrev_b32_e32 v2, 16, v1
	v_and_b32_e32 v1, 0xffff, v1
	;;#ASMSTART
	v_cvt_f32_f16 v45, v1;
	;;#ASMEND
	v_add_co_u32_e32 v1, vcc, 0x1000, v7
	;;#ASMSTART
	v_cvt_f32_f16 v46, v2;
	;;#ASMEND
	v_addc_co_u32_e32 v2, vcc, 0, v8, vcc
	global_load_dwordx4 v[1:4], v[1:2], off offset:1024
	s_waitcnt vmcnt(0)
	v_lshrrev_b32_e32 v49, 16, v1
	v_lshrrev_b32_e32 v48, 16, v2
	;; [unrolled: 1-line block ×3, first 2 shown]
	s_and_saveexec_b64 s[6:7], s[0:1]
	s_cbranch_execz .LBB103_42
; %bb.41:                               ;   in Loop: Header=BB103_30 Depth=1
	v_cmp_gt_i32_e32 vcc, s33, v25
	v_cndmask_b32_e32 v1, 0, v1, vcc
	v_cmp_gt_i32_e32 vcc, s33, v32
	v_cndmask_b32_e32 v49, 0, v49, vcc
	;; [unrolled: 2-line block ×6, first 2 shown]
	v_cmp_gt_i32_e32 vcc, s33, v30
	v_cndmask_b32_sdwa v50, v20, v4, vcc dst_sel:DWORD dst_unused:UNUSED_PAD src0_sel:DWORD src1_sel:WORD_0
	v_and_b32_e32 v4, 0xffff0000, v4
	v_cmp_gt_i32_e32 vcc, s33, v23
	v_cndmask_b32_e32 v4, 0, v4, vcc
	v_or_b32_e32 v4, v50, v4
.LBB103_42:                             ;   in Loop: Header=BB103_30 Depth=1
	s_or_b64 exec, exec, s[6:7]
	v_lshlrev_b32_e32 v49, 16, v49
	v_and_or_b32 v1, v1, s15, v49
	v_lshlrev_b32_e32 v48, 16, v48
	v_lshlrev_b32_e32 v47, 16, v47
	v_and_or_b32 v2, v2, s15, v48
	v_and_or_b32 v3, v3, s15, v47
	;;#ASMSTART
	v_pk_mul_f16 v1, v33, v1;

	;;#ASMEND
	;;#ASMSTART
	v_pk_mul_f16 v2, v34, v2;

	;;#ASMEND
	;; [unrolled: 4-line block ×4, first 2 shown]
	;;#ASMSTART
	v_pk_add_f16 v1, v1, v2;

	;;#ASMEND
	;;#ASMSTART
	v_pk_add_f16 v1, v1, v3;

	;;#ASMEND
	;; [unrolled: 4-line block ×3, first 2 shown]
	v_lshrrev_b32_e32 v2, 16, v1
	v_and_b32_e32 v1, 0xffff, v1
	;;#ASMSTART
	v_cvt_f32_f16 v47, v1;
	;;#ASMEND
	v_add_co_u32_e32 v1, vcc, 0x1000, v7
	;;#ASMSTART
	v_cvt_f32_f16 v48, v2;
	;;#ASMEND
	v_addc_co_u32_e32 v2, vcc, 0, v8, vcc
	global_load_dwordx4 v[1:4], v[1:2], off offset:2048
	s_waitcnt vmcnt(0)
	v_lshrrev_b32_e32 v49, 16, v1
	v_lshrrev_b32_e32 v8, 16, v2
	;; [unrolled: 1-line block ×3, first 2 shown]
	s_and_saveexec_b64 s[6:7], s[0:1]
	s_cbranch_execz .LBB103_29
; %bb.43:                               ;   in Loop: Header=BB103_30 Depth=1
	v_cmp_gt_i32_e32 vcc, s33, v25
	v_cndmask_b32_e32 v1, 0, v1, vcc
	v_cmp_gt_i32_e32 vcc, s33, v32
	v_cndmask_b32_e32 v49, 0, v49, vcc
	;; [unrolled: 2-line block ×6, first 2 shown]
	v_cmp_gt_i32_e32 vcc, s33, v30
	v_cndmask_b32_sdwa v25, v20, v4, vcc dst_sel:DWORD dst_unused:UNUSED_PAD src0_sel:DWORD src1_sel:WORD_0
	v_and_b32_e32 v4, 0xffff0000, v4
	v_cmp_gt_i32_e32 vcc, s33, v23
	v_cndmask_b32_e32 v4, 0, v4, vcc
	v_or_b32_e32 v4, v25, v4
	s_branch .LBB103_29
.LBB103_44:
	s_or_b64 exec, exec, s[4:5]
.LBB103_45:
	s_or_b64 exec, exec, s[2:3]
	ds_bpermute_b32 v1, v10, v18
	ds_bpermute_b32 v2, v10, v19
	;; [unrolled: 1-line block ×4, first 2 shown]
	s_waitcnt lgkmcnt(0)
	v_add_f32_e32 v1, v18, v1
	v_add_f32_e32 v4, v19, v2
	ds_bpermute_b32 v2, v11, v1
	ds_bpermute_b32 v5, v11, v4
	v_add_f32_e32 v3, v17, v3
	ds_bpermute_b32 v7, v11, v3
	s_waitcnt lgkmcnt(0)
	s_barrier
	v_add_f32_e32 v2, v1, v2
	v_add_f32_e32 v1, v4, v5
	ds_bpermute_b32 v4, v10, v15
	v_add_f32_e32 v5, v16, v6
	ds_bpermute_b32 v6, v10, v14
	ds_bpermute_b32 v10, v10, v13
	;; [unrolled: 1-line block ×3, first 2 shown]
	s_waitcnt lgkmcnt(3)
	v_add_f32_e32 v4, v15, v4
	ds_bpermute_b32 v15, v11, v4
	s_waitcnt lgkmcnt(3)
	v_add_f32_e32 v14, v14, v6
	s_waitcnt lgkmcnt(2)
	v_add_f32_e32 v10, v13, v10
	ds_bpermute_b32 v16, v11, v14
	ds_bpermute_b32 v11, v11, v10
	s_waitcnt lgkmcnt(3)
	v_add_f32_e32 v6, v5, v8
	v_and_b32_e32 v8, 0x3c3, v0
	v_add_f32_e32 v7, v3, v7
	s_waitcnt lgkmcnt(2)
	v_add_f32_e32 v5, v4, v15
	s_waitcnt lgkmcnt(1)
	;; [unrolled: 2-line block ×3, first 2 shown]
	v_add_f32_e32 v3, v10, v11
	v_cmp_eq_u32_e32 vcc, 64, v8
	s_and_saveexec_b64 s[0:1], vcc
	s_cbranch_execz .LBB103_47
; %bb.46:
	v_add_u32_e32 v9, 0xf0, v9
	ds_write2_b32 v9, v2, v1 offset1:16
	ds_write2_b32 v9, v7, v6 offset0:32 offset1:48
	ds_write2_b32 v9, v5, v4 offset0:64 offset1:80
	ds_write_b32 v9, v3 offset:384
.LBB103_47:
	s_or_b64 exec, exec, s[0:1]
	v_cmp_gt_u32_e32 vcc, 64, v0
	v_lshrrev_b32_e32 v0, 2, v0
	s_waitcnt lgkmcnt(0)
	s_barrier
	s_and_saveexec_b64 s[0:1], vcc
	s_cbranch_execz .LBB103_57
; %bb.48:
	v_mov_b32_e32 v9, 0xf0
	v_cmp_eq_u32_e32 vcc, 0, v12
	v_lshl_add_u32 v9, v0, 2, v9
	s_and_saveexec_b64 s[2:3], vcc
	s_cbranch_execnz .LBB103_60
; %bb.49:
	s_or_b64 exec, exec, s[2:3]
	s_and_saveexec_b64 s[2:3], vcc
	s_cbranch_execnz .LBB103_61
.LBB103_50:
	s_or_b64 exec, exec, s[2:3]
	s_and_saveexec_b64 s[2:3], vcc
	s_cbranch_execnz .LBB103_62
.LBB103_51:
	s_or_b64 exec, exec, s[2:3]
	s_and_saveexec_b64 s[2:3], vcc
	s_cbranch_execnz .LBB103_63
.LBB103_52:
	s_or_b64 exec, exec, s[2:3]
	s_and_saveexec_b64 s[2:3], vcc
	s_cbranch_execnz .LBB103_64
.LBB103_53:
	s_or_b64 exec, exec, s[2:3]
	s_and_saveexec_b64 s[2:3], vcc
	s_cbranch_execnz .LBB103_65
.LBB103_54:
	s_or_b64 exec, exec, s[2:3]
	s_and_saveexec_b64 s[2:3], vcc
	s_cbranch_execz .LBB103_56
.LBB103_55:
	ds_read_b32 v9, v9 offset:384
	s_waitcnt lgkmcnt(0)
	v_add_f32_e32 v3, v3, v9
.LBB103_56:
	s_or_b64 exec, exec, s[2:3]
.LBB103_57:
	s_or_b64 exec, exec, s[0:1]
	v_cmp_eq_u32_e32 vcc, 0, v8
	s_barrier
	s_and_saveexec_b64 s[0:1], vcc
	s_cbranch_execz .LBB103_59
; %bb.58:
	s_mul_i32 s0, s10, s11
	s_mul_i32 s0, s0, s9
	s_mulk_i32 s0, 0x70
	s_ashr_i32 s1, s0, 31
	s_lshl_b64 s[0:1], s[0:1], 1
	s_add_u32 s2, s18, s0
	s_mul_i32 s0, s11, s16
	s_addc_u32 s3, s19, s1
	s_ashr_i32 s1, s0, 31
	s_lshl_b64 s[0:1], s[0:1], 1
	s_add_u32 s2, s2, s0
	s_mul_i32 s0, s8, 0x70
	s_addc_u32 s3, s3, s1
	s_ashr_i32 s1, s0, 31
	s_lshl_b64 s[0:1], s[0:1], 1
	s_add_u32 s0, s2, s0
	s_addc_u32 s1, s3, s1
	v_lshlrev_b32_e32 v0, 1, v0
	;;#ASMSTART
	v_cvt_f16_f32 v2, v2;

	;;#ASMEND
	global_store_short v0, v2, s[0:1]
	;;#ASMSTART
	v_cvt_f16_f32 v1, v1;

	;;#ASMEND
	global_store_short v0, v1, s[0:1] offset:32
	;;#ASMSTART
	v_cvt_f16_f32 v1, v7;

	;;#ASMEND
	global_store_short v0, v1, s[0:1] offset:64
	;; [unrolled: 5-line block ×6, first 2 shown]
.LBB103_59:
	s_endpgm
.LBB103_60:
	ds_read_b32 v10, v9
	s_waitcnt lgkmcnt(0)
	v_add_f32_e32 v2, v2, v10
	s_or_b64 exec, exec, s[2:3]
	s_and_saveexec_b64 s[2:3], vcc
	s_cbranch_execz .LBB103_50
.LBB103_61:
	ds_read_b32 v10, v9 offset:64
	s_waitcnt lgkmcnt(0)
	v_add_f32_e32 v1, v1, v10
	s_or_b64 exec, exec, s[2:3]
	s_and_saveexec_b64 s[2:3], vcc
	s_cbranch_execz .LBB103_51
.LBB103_62:
	ds_read_b32 v10, v9 offset:128
	s_waitcnt lgkmcnt(0)
	v_add_f32_e32 v7, v7, v10
	s_or_b64 exec, exec, s[2:3]
	s_and_saveexec_b64 s[2:3], vcc
	s_cbranch_execz .LBB103_52
.LBB103_63:
	ds_read_b32 v10, v9 offset:192
	s_waitcnt lgkmcnt(0)
	v_add_f32_e32 v6, v6, v10
	s_or_b64 exec, exec, s[2:3]
	s_and_saveexec_b64 s[2:3], vcc
	s_cbranch_execz .LBB103_53
.LBB103_64:
	ds_read_b32 v10, v9 offset:256
	s_waitcnt lgkmcnt(0)
	v_add_f32_e32 v5, v5, v10
	s_or_b64 exec, exec, s[2:3]
	s_and_saveexec_b64 s[2:3], vcc
	s_cbranch_execz .LBB103_54
.LBB103_65:
	ds_read_b32 v10, v9 offset:320
	s_waitcnt lgkmcnt(0)
	v_add_f32_e32 v4, v4, v10
	s_or_b64 exec, exec, s[2:3]
	s_and_saveexec_b64 s[2:3], vcc
	s_cbranch_execnz .LBB103_55
	s_branch .LBB103_56
	.section	.rodata,"a",@progbits
	.p2align	6, 0x0
	.amdhsa_kernel _ZN4vllm25paged_attention_v1_kernelIttLi112ELi32ELi128ELNS_18Fp8KVCacheDataTypeE0ELb0EEEvPT_PKS2_PKT0_S8_ifPKiSA_iPKfiiiSC_SC_iiiii
		.amdhsa_group_segment_fixed_size 240
		.amdhsa_private_segment_fixed_size 0
		.amdhsa_kernarg_size 384
		.amdhsa_user_sgpr_count 6
		.amdhsa_user_sgpr_private_segment_buffer 1
		.amdhsa_user_sgpr_dispatch_ptr 0
		.amdhsa_user_sgpr_queue_ptr 0
		.amdhsa_user_sgpr_kernarg_segment_ptr 1
		.amdhsa_user_sgpr_dispatch_id 0
		.amdhsa_user_sgpr_flat_scratch_init 0
		.amdhsa_user_sgpr_private_segment_size 0
		.amdhsa_uses_dynamic_stack 0
		.amdhsa_system_sgpr_private_segment_wavefront_offset 0
		.amdhsa_system_sgpr_workgroup_id_x 1
		.amdhsa_system_sgpr_workgroup_id_y 1
		.amdhsa_system_sgpr_workgroup_id_z 1
		.amdhsa_system_sgpr_workgroup_info 0
		.amdhsa_system_vgpr_workitem_id 0
		.amdhsa_next_free_vgpr 55
		.amdhsa_next_free_sgpr 35
		.amdhsa_reserve_vcc 1
		.amdhsa_reserve_flat_scratch 0
		.amdhsa_float_round_mode_32 0
		.amdhsa_float_round_mode_16_64 0
		.amdhsa_float_denorm_mode_32 3
		.amdhsa_float_denorm_mode_16_64 3
		.amdhsa_dx10_clamp 1
		.amdhsa_ieee_mode 1
		.amdhsa_fp16_overflow 0
		.amdhsa_exception_fp_ieee_invalid_op 0
		.amdhsa_exception_fp_denorm_src 0
		.amdhsa_exception_fp_ieee_div_zero 0
		.amdhsa_exception_fp_ieee_overflow 0
		.amdhsa_exception_fp_ieee_underflow 0
		.amdhsa_exception_fp_ieee_inexact 0
		.amdhsa_exception_int_div_zero 0
	.end_amdhsa_kernel
	.section	.text._ZN4vllm25paged_attention_v1_kernelIttLi112ELi32ELi128ELNS_18Fp8KVCacheDataTypeE0ELb0EEEvPT_PKS2_PKT0_S8_ifPKiSA_iPKfiiiSC_SC_iiiii,"axG",@progbits,_ZN4vllm25paged_attention_v1_kernelIttLi112ELi32ELi128ELNS_18Fp8KVCacheDataTypeE0ELb0EEEvPT_PKS2_PKT0_S8_ifPKiSA_iPKfiiiSC_SC_iiiii,comdat
.Lfunc_end103:
	.size	_ZN4vllm25paged_attention_v1_kernelIttLi112ELi32ELi128ELNS_18Fp8KVCacheDataTypeE0ELb0EEEvPT_PKS2_PKT0_S8_ifPKiSA_iPKfiiiSC_SC_iiiii, .Lfunc_end103-_ZN4vllm25paged_attention_v1_kernelIttLi112ELi32ELi128ELNS_18Fp8KVCacheDataTypeE0ELb0EEEvPT_PKS2_PKT0_S8_ifPKiSA_iPKfiiiSC_SC_iiiii
                                        ; -- End function
	.set _ZN4vllm25paged_attention_v1_kernelIttLi112ELi32ELi128ELNS_18Fp8KVCacheDataTypeE0ELb0EEEvPT_PKS2_PKT0_S8_ifPKiSA_iPKfiiiSC_SC_iiiii.num_vgpr, 55
	.set _ZN4vllm25paged_attention_v1_kernelIttLi112ELi32ELi128ELNS_18Fp8KVCacheDataTypeE0ELb0EEEvPT_PKS2_PKT0_S8_ifPKiSA_iPKfiiiSC_SC_iiiii.num_agpr, 0
	.set _ZN4vllm25paged_attention_v1_kernelIttLi112ELi32ELi128ELNS_18Fp8KVCacheDataTypeE0ELb0EEEvPT_PKS2_PKT0_S8_ifPKiSA_iPKfiiiSC_SC_iiiii.numbered_sgpr, 35
	.set _ZN4vllm25paged_attention_v1_kernelIttLi112ELi32ELi128ELNS_18Fp8KVCacheDataTypeE0ELb0EEEvPT_PKS2_PKT0_S8_ifPKiSA_iPKfiiiSC_SC_iiiii.num_named_barrier, 0
	.set _ZN4vllm25paged_attention_v1_kernelIttLi112ELi32ELi128ELNS_18Fp8KVCacheDataTypeE0ELb0EEEvPT_PKS2_PKT0_S8_ifPKiSA_iPKfiiiSC_SC_iiiii.private_seg_size, 0
	.set _ZN4vllm25paged_attention_v1_kernelIttLi112ELi32ELi128ELNS_18Fp8KVCacheDataTypeE0ELb0EEEvPT_PKS2_PKT0_S8_ifPKiSA_iPKfiiiSC_SC_iiiii.uses_vcc, 1
	.set _ZN4vllm25paged_attention_v1_kernelIttLi112ELi32ELi128ELNS_18Fp8KVCacheDataTypeE0ELb0EEEvPT_PKS2_PKT0_S8_ifPKiSA_iPKfiiiSC_SC_iiiii.uses_flat_scratch, 0
	.set _ZN4vllm25paged_attention_v1_kernelIttLi112ELi32ELi128ELNS_18Fp8KVCacheDataTypeE0ELb0EEEvPT_PKS2_PKT0_S8_ifPKiSA_iPKfiiiSC_SC_iiiii.has_dyn_sized_stack, 0
	.set _ZN4vllm25paged_attention_v1_kernelIttLi112ELi32ELi128ELNS_18Fp8KVCacheDataTypeE0ELb0EEEvPT_PKS2_PKT0_S8_ifPKiSA_iPKfiiiSC_SC_iiiii.has_recursion, 0
	.set _ZN4vllm25paged_attention_v1_kernelIttLi112ELi32ELi128ELNS_18Fp8KVCacheDataTypeE0ELb0EEEvPT_PKS2_PKT0_S8_ifPKiSA_iPKfiiiSC_SC_iiiii.has_indirect_call, 0
	.section	.AMDGPU.csdata,"",@progbits
; Kernel info:
; codeLenInByte = 7024
; TotalNumSgprs: 39
; NumVgprs: 55
; ScratchSize: 0
; MemoryBound: 0
; FloatMode: 240
; IeeeMode: 1
; LDSByteSize: 240 bytes/workgroup (compile time only)
; SGPRBlocks: 4
; VGPRBlocks: 13
; NumSGPRsForWavesPerEU: 39
; NumVGPRsForWavesPerEU: 55
; Occupancy: 4
; WaveLimiterHint : 1
; COMPUTE_PGM_RSRC2:SCRATCH_EN: 0
; COMPUTE_PGM_RSRC2:USER_SGPR: 6
; COMPUTE_PGM_RSRC2:TRAP_HANDLER: 0
; COMPUTE_PGM_RSRC2:TGID_X_EN: 1
; COMPUTE_PGM_RSRC2:TGID_Y_EN: 1
; COMPUTE_PGM_RSRC2:TGID_Z_EN: 1
; COMPUTE_PGM_RSRC2:TIDIG_COMP_CNT: 0
	.section	.text._ZN4vllm25paged_attention_v1_kernelIttLi120ELi32ELi128ELNS_18Fp8KVCacheDataTypeE0ELb0EEEvPT_PKS2_PKT0_S8_ifPKiSA_iPKfiiiSC_SC_iiiii,"axG",@progbits,_ZN4vllm25paged_attention_v1_kernelIttLi120ELi32ELi128ELNS_18Fp8KVCacheDataTypeE0ELb0EEEvPT_PKS2_PKT0_S8_ifPKiSA_iPKfiiiSC_SC_iiiii,comdat
	.protected	_ZN4vllm25paged_attention_v1_kernelIttLi120ELi32ELi128ELNS_18Fp8KVCacheDataTypeE0ELb0EEEvPT_PKS2_PKT0_S8_ifPKiSA_iPKfiiiSC_SC_iiiii ; -- Begin function _ZN4vllm25paged_attention_v1_kernelIttLi120ELi32ELi128ELNS_18Fp8KVCacheDataTypeE0ELb0EEEvPT_PKS2_PKT0_S8_ifPKiSA_iPKfiiiSC_SC_iiiii
	.globl	_ZN4vllm25paged_attention_v1_kernelIttLi120ELi32ELi128ELNS_18Fp8KVCacheDataTypeE0ELb0EEEvPT_PKS2_PKT0_S8_ifPKiSA_iPKfiiiSC_SC_iiiii
	.p2align	8
	.type	_ZN4vllm25paged_attention_v1_kernelIttLi120ELi32ELi128ELNS_18Fp8KVCacheDataTypeE0ELb0EEEvPT_PKS2_PKT0_S8_ifPKiSA_iPKfiiiSC_SC_iiiii,@function
_ZN4vllm25paged_attention_v1_kernelIttLi120ELi32ELi128ELNS_18Fp8KVCacheDataTypeE0ELb0EEEvPT_PKS2_PKT0_S8_ifPKiSA_iPKfiiiSC_SC_iiiii: ; @_ZN4vllm25paged_attention_v1_kernelIttLi120ELi32ELi128ELNS_18Fp8KVCacheDataTypeE0ELb0EEEvPT_PKS2_PKT0_S8_ifPKiSA_iPKfiiiSC_SC_iiiii
; %bb.0:
	s_load_dword s9, s[4:5], 0x80
	s_load_dwordx2 s[0:1], s[4:5], 0x30
	s_load_dwordx2 s[26:27], s[4:5], 0x20
	s_mov_b32 s10, s7
	s_ashr_i32 s11, s7, 31
	s_lshl_b64 s[2:3], s[10:11], 2
	s_waitcnt lgkmcnt(0)
	s_add_u32 s0, s0, s2
	s_addc_u32 s1, s1, s3
	s_abs_i32 s2, s26
	v_cvt_f32_u32_e32 v1, s2
	s_sub_i32 s11, 0, s2
	s_abs_i32 s7, s9
	s_xor_b32 s3, s9, s26
	v_rcp_iflag_f32_e32 v1, v1
	s_ashr_i32 s3, s3, 31
	s_mov_b32 s26, 0
	v_mul_f32_e32 v1, 0x4f7ffffe, v1
	v_cvt_u32_f32_e32 v1, v1
	v_readfirstlane_b32 s12, v1
	s_mul_i32 s11, s11, s12
	s_mul_hi_u32 s11, s12, s11
	s_add_i32 s12, s12, s11
	s_mul_hi_u32 s11, s7, s12
	s_mul_i32 s12, s11, s2
	s_sub_i32 s7, s7, s12
	s_add_i32 s12, s11, 1
	s_sub_i32 s13, s7, s2
	s_cmp_ge_u32 s7, s2
	s_cselect_b32 s11, s12, s11
	s_cselect_b32 s7, s13, s7
	s_add_i32 s12, s11, 1
	s_cmp_ge_u32 s7, s2
	s_cselect_b32 s2, s12, s11
	s_xor_b32 s2, s2, s3
	s_sub_i32 s12, s2, s3
	s_abs_i32 s11, s12
	v_cvt_f32_u32_e32 v1, s11
	s_load_dwordx2 s[2:3], s[4:5], 0x40
	s_sub_i32 s7, 0, s11
	s_abs_i32 s18, s6
	v_rcp_iflag_f32_e32 v1, v1
	v_mul_f32_e32 v1, 0x4f7ffffe, v1
	v_cvt_u32_f32_e32 v1, v1
	v_readfirstlane_b32 s13, v1
	s_mul_i32 s7, s7, s13
	s_mul_hi_u32 s7, s13, s7
	s_add_i32 s13, s13, s7
	s_waitcnt lgkmcnt(0)
	s_cmp_eq_u64 s[2:3], 0
	s_mul_hi_u32 s19, s18, s13
	s_cbranch_scc1 .LBB104_2
; %bb.1:
	s_ashr_i32 s7, s6, 31
	s_lshl_b64 s[14:15], s[6:7], 2
	s_add_u32 s2, s2, s14
	s_addc_u32 s3, s3, s15
	s_load_dword s26, s[2:3], 0x0
.LBB104_2:
	s_load_dword s33, s[0:1], 0x0
	s_ashr_i32 s3, s12, 31
	s_load_dwordx4 s[12:15], s[4:5], 0x48
	s_ashr_i32 s2, s6, 31
	v_and_b32_e32 v1, 1, v0
	s_movk_i32 s7, 0x78
	s_mul_i32 s16, s6, 0x78
	v_cmp_gt_u32_e32 vcc, 30, v0
	v_lshlrev_b32_e32 v32, 3, v0
	s_and_saveexec_b64 s[0:1], vcc
	s_cbranch_execz .LBB104_4
; %bb.3:
	s_load_dwordx2 s[20:21], s[4:5], 0x8
	s_waitcnt lgkmcnt(0)
	s_mul_i32 s22, s12, s10
	s_ashr_i32 s23, s22, 31
	s_lshl_b64 s[22:23], s[22:23], 1
	v_lshlrev_b32_e32 v4, 2, v0
	s_add_u32 s6, s20, s22
	s_addc_u32 s12, s21, s23
	s_ashr_i32 s17, s16, 31
	s_lshl_b64 s[20:21], s[16:17], 1
	s_add_u32 s20, s6, s20
	s_addc_u32 s21, s12, s21
	global_load_dwordx2 v[2:3], v32, s[20:21]
	v_and_b32_e32 v4, 0xff8, v4
	v_mad_u32_u24 v4, v1, s7, v4
	s_waitcnt vmcnt(0)
	ds_write_b64 v4, v[2:3]
.LBB104_4:
	s_or_b64 exec, exec, s[0:1]
	s_waitcnt lgkmcnt(0)
	s_add_i32 s1, s33, 31
	s_ashr_i32 s6, s1, 31
	s_lshr_b32 s6, s6, 27
	s_add_i32 s1, s1, s6
	s_ashr_i32 s17, s1, 5
	s_xor_b32 s1, s2, s3
	s_mul_i32 s2, s19, s11
	s_sub_i32 s2, s18, s2
	s_add_i32 s3, s19, 1
	s_sub_i32 s6, s2, s11
	s_load_dwordx2 s[20:21], s[4:5], 0x28
	s_load_dword s0, s[4:5], 0x38
	s_cmp_ge_u32 s2, s11
	s_cselect_b32 s3, s3, s19
	s_cselect_b32 s2, s6, s2
	s_add_i32 s6, s3, 1
	s_cmp_ge_u32 s2, s11
	s_cselect_b32 s2, s6, s3
	v_lshrrev_b32_e32 v31, 6, v0
	s_xor_b32 s2, s2, s1
	s_waitcnt lgkmcnt(0)
	s_mul_i32 s22, s0, s10
	s_sub_i32 s12, s2, s1
	s_ashr_i32 s23, s22, 31
	v_cmp_le_i32_e64 s[0:1], s17, v31
	v_mbcnt_lo_u32_b32 v3, -1, 0
	s_barrier
                                        ; implicit-def: $vgpr34
                                        ; implicit-def: $vgpr35
                                        ; implicit-def: $vgpr36
	s_and_saveexec_b64 s[2:3], s[0:1]
	s_xor_b64 s[2:3], exec, s[2:3]
; %bb.5:
	v_mbcnt_hi_u32_b32 v34, -1, v3
	v_and_b32_e32 v35, 64, v34
	v_add_u32_e32 v36, 64, v35
                                        ; implicit-def: $vgpr1
                                        ; implicit-def: $vgpr3
; %bb.6:
	s_or_saveexec_b64 s[6:7], s[2:3]
	s_load_dwordx2 s[18:19], s[4:5], 0x0
	s_load_dwordx2 s[24:25], s[4:5], 0x18
	s_load_dword s11, s[4:5], 0x88
	v_mov_b32_e32 v37, 0xff7fffff
	s_mul_i32 s14, s12, s14
	v_lshrrev_b32_e32 v33, 4, v0
	s_xor_b64 exec, exec, s[6:7]
	s_cbranch_execz .LBB104_12
; %bb.7:
	s_load_dwordx2 s[2:3], s[4:5], 0x10
	s_ashr_i32 s15, s14, 31
	s_lshl_b64 s[4:5], s[14:15], 1
	v_bfe_u32 v2, v0, 1, 5
	v_lshlrev_b32_e32 v4, 4, v2
	s_waitcnt lgkmcnt(0)
	s_add_u32 s2, s2, s4
	s_addc_u32 s3, s3, s5
	v_mov_b32_e32 v5, s3
	v_add_co_u32_e32 v4, vcc, s2, v4
	v_addc_co_u32_e32 v5, vcc, 0, v5, vcc
	v_and_b32_e32 v6, 8, v32
	v_add_co_u32_e32 v38, vcc, v4, v6
	v_addc_co_u32_e32 v39, vcc, 0, v5, vcc
	v_mul_u32_u24_e32 v40, 0x78, v1
	v_cmp_eq_u32_e32 vcc, 0, v1
	s_sub_i32 s15, 1, s33
	v_lshlrev_b32_e32 v1, 2, v2
	s_lshl_b64 s[4:5], s[22:23], 2
	v_lshl_or_b32 v1, v31, 7, v1
	s_add_u32 s4, s20, s4
	v_add_u32_e32 v42, 0x100, v1
	v_and_b32_e32 v1, 60, v33
	s_addc_u32 s5, s21, s5
	v_mbcnt_hi_u32_b32 v34, -1, v3
	v_lshl_or_b32 v41, v31, 5, v2
	v_mov_b32_e32 v2, s5
	v_add_co_u32_e64 v1, s[4:5], s4, v1
	v_and_b32_e32 v35, 64, v34
	s_mov_b32 s12, s13
	v_cmp_neq_f32_e64 s[2:3], s26, 0
	v_addc_co_u32_e64 v2, s[4:5], 0, v2, s[4:5]
	v_mov_b32_e32 v37, 0xff7fffff
	s_mov_b64 s[28:29], 0
	s_movk_i32 s34, 0x1000
	v_xor_b32_e32 v43, 1, v34
	v_add_u32_e32 v36, 64, v35
	v_mov_b32_e32 v44, v31
	s_branch .LBB104_9
.LBB104_8:                              ;   in Loop: Header=BB104_9 Depth=1
	s_or_b64 exec, exec, s[30:31]
	v_add_u32_e32 v44, 2, v44
	v_cmp_le_i32_e64 s[4:5], s17, v44
	s_or_b64 s[28:29], s[4:5], s[28:29]
	v_add_co_u32_e64 v1, s[4:5], 8, v1
	v_add_u32_e32 v41, 64, v41
	v_add_u32_e32 v42, 0x100, v42
	v_addc_co_u32_e64 v2, s[4:5], 0, v2, s[4:5]
	s_andn2_b64 exec, exec, s[28:29]
	s_cbranch_execz .LBB104_11
.LBB104_9:                              ; =>This Inner Loop Header: Depth=1
	global_load_dword v3, v[1:2], off
	s_waitcnt vmcnt(0) lgkmcnt(0)
	v_mad_i64_i32 v[3:4], s[4:5], v3, s12, 0
	v_lshlrev_b64 v[3:4], 1, v[3:4]
	v_add_co_u32_e64 v3, s[4:5], v38, v3
	v_addc_co_u32_e64 v4, s[4:5], v39, v4, s[4:5]
	global_load_dwordx2 v[5:6], v[3:4], off
	global_load_dwordx2 v[29:30], v[3:4], off offset:512
	global_load_dwordx2 v[27:28], v[3:4], off offset:1024
	global_load_dwordx2 v[25:26], v[3:4], off offset:1536
	v_add_co_u32_e64 v45, s[4:5], s34, v3
	ds_read_b64 v[7:8], v40
	v_addc_co_u32_e64 v46, s[4:5], 0, v4, s[4:5]
	global_load_dwordx2 v[23:24], v[3:4], off offset:2048
	global_load_dwordx2 v[21:22], v[3:4], off offset:2560
	;; [unrolled: 1-line block ×4, first 2 shown]
	global_load_dwordx2 v[15:16], v[45:46], off
	global_load_dwordx2 v[13:14], v[45:46], off offset:512
	v_cmp_lt_i32_e64 s[4:5], v43, v36
	s_waitcnt lgkmcnt(0)
	v_lshrrev_b32_e32 v48, 16, v7
	v_and_b32_e32 v47, 0xffff, v7
	v_lshrrev_b32_e32 v52, 16, v8
	v_and_b32_e32 v51, 0xffff, v8
	s_waitcnt vmcnt(9)
	v_lshrrev_b32_e32 v50, 16, v5
	v_and_b32_e32 v49, 0xffff, v5
	v_lshrrev_b32_e32 v54, 16, v6
	v_and_b32_e32 v53, 0xffff, v6
	global_load_dwordx2 v[11:12], v[45:46], off offset:1024
	global_load_dwordx2 v[9:10], v[45:46], off offset:1536
	;; [unrolled: 1-line block ×5, first 2 shown]
	;;#ASMSTART
	v_cvt_f32_f16 v47, v47;
	;;#ASMEND
	;;#ASMSTART
	v_cvt_f32_f16 v48, v48;
	;;#ASMEND
	;; [unrolled: 3-line block ×8, first 2 shown]
	ds_read_b64 v[45:46], v40 offset:8
	s_waitcnt lgkmcnt(0)
	v_and_b32_e32 v55, 0xffff, v45
	v_lshrrev_b32_e32 v45, 16, v45
	;;#ASMSTART
	v_cvt_f32_f16 v55, v55;
	;;#ASMEND
	;;#ASMSTART
	v_cvt_f32_f16 v56, v45;
	;;#ASMEND
	s_waitcnt vmcnt(13)
	v_and_b32_e32 v45, 0xffff, v29
	v_lshrrev_b32_e32 v29, 16, v29
	;;#ASMSTART
	v_cvt_f32_f16 v45, v45;
	;;#ASMEND
	;;#ASMSTART
	v_cvt_f32_f16 v29, v29;
	;;#ASMEND
	v_mul_f32_e32 v45, v55, v45
	v_mul_f32_e32 v29, v56, v29
	v_fmac_f32_e32 v45, v47, v49
	v_fmac_f32_e32 v29, v48, v50
	v_lshrrev_b32_e32 v47, 16, v46
	v_and_b32_e32 v46, 0xffff, v46
	v_and_b32_e32 v48, 0xffff, v30
	v_lshrrev_b32_e32 v30, 16, v30
	;;#ASMSTART
	v_cvt_f32_f16 v46, v46;
	;;#ASMEND
	;;#ASMSTART
	v_cvt_f32_f16 v47, v47;
	;;#ASMEND
	;;#ASMSTART
	v_cvt_f32_f16 v48, v48;
	;;#ASMEND
	;;#ASMSTART
	v_cvt_f32_f16 v30, v30;
	;;#ASMEND
	v_mul_f32_e32 v46, v46, v48
	v_mul_f32_e32 v30, v47, v30
	ds_read_b64 v[47:48], v40 offset:16
	s_waitcnt vmcnt(12)
	v_and_b32_e32 v50, 0xffff, v27
	v_lshrrev_b32_e32 v27, 16, v27
	v_fmac_f32_e32 v46, v51, v53
	v_fmac_f32_e32 v30, v52, v54
	s_waitcnt lgkmcnt(0)
	v_and_b32_e32 v49, 0xffff, v47
	v_lshrrev_b32_e32 v47, 16, v47
	;;#ASMSTART
	v_cvt_f32_f16 v49, v49;
	;;#ASMEND
	;;#ASMSTART
	v_cvt_f32_f16 v47, v47;
	;;#ASMEND
	;; [unrolled: 3-line block ×4, first 2 shown]
	v_fmac_f32_e32 v29, v47, v27
	v_and_b32_e32 v27, 0xffff, v48
	v_lshrrev_b32_e32 v47, 16, v48
	;;#ASMSTART
	v_cvt_f32_f16 v27, v27;
	;;#ASMEND
	v_and_b32_e32 v48, 0xffff, v28
	;;#ASMSTART
	v_cvt_f32_f16 v47, v47;
	;;#ASMEND
	;;#ASMSTART
	v_cvt_f32_f16 v48, v48;
	;;#ASMEND
	v_fmac_f32_e32 v46, v27, v48
	v_lshrrev_b32_e32 v27, 16, v28
	;;#ASMSTART
	v_cvt_f32_f16 v27, v27;
	;;#ASMEND
	v_fmac_f32_e32 v30, v47, v27
	ds_read_b64 v[27:28], v40 offset:24
	s_waitcnt vmcnt(11)
	v_and_b32_e32 v48, 0xffff, v25
	v_lshrrev_b32_e32 v25, 16, v25
	v_fmac_f32_e32 v45, v49, v50
	s_waitcnt lgkmcnt(0)
	v_and_b32_e32 v47, 0xffff, v27
	v_lshrrev_b32_e32 v27, 16, v27
	;;#ASMSTART
	v_cvt_f32_f16 v47, v47;
	;;#ASMEND
	;;#ASMSTART
	v_cvt_f32_f16 v27, v27;
	;;#ASMEND
	;; [unrolled: 3-line block ×4, first 2 shown]
	v_fmac_f32_e32 v29, v27, v25
	v_and_b32_e32 v25, 0xffff, v28
	v_lshrrev_b32_e32 v27, 16, v28
	;;#ASMSTART
	v_cvt_f32_f16 v25, v25;
	;;#ASMEND
	v_and_b32_e32 v28, 0xffff, v26
	;;#ASMSTART
	v_cvt_f32_f16 v27, v27;
	;;#ASMEND
	;;#ASMSTART
	v_cvt_f32_f16 v28, v28;
	;;#ASMEND
	v_fmac_f32_e32 v46, v25, v28
	v_lshrrev_b32_e32 v25, 16, v26
	;;#ASMSTART
	v_cvt_f32_f16 v25, v25;
	;;#ASMEND
	v_fmac_f32_e32 v30, v27, v25
	ds_read_b64 v[25:26], v40 offset:32
	s_waitcnt vmcnt(10)
	v_and_b32_e32 v28, 0xffff, v23
	v_lshrrev_b32_e32 v23, 16, v23
	v_fmac_f32_e32 v45, v47, v48
	s_waitcnt vmcnt(7)
	v_and_b32_e32 v47, 0xffff, v18
	s_waitcnt lgkmcnt(0)
	v_and_b32_e32 v27, 0xffff, v25
	v_lshrrev_b32_e32 v25, 16, v25
	;;#ASMSTART
	v_cvt_f32_f16 v27, v27;
	;;#ASMEND
	;;#ASMSTART
	v_cvt_f32_f16 v25, v25;
	;;#ASMEND
	;; [unrolled: 3-line block ×4, first 2 shown]
	v_fmac_f32_e32 v45, v27, v28
	v_fmac_f32_e32 v29, v25, v23
	v_and_b32_e32 v27, 0xffff, v24
	v_lshrrev_b32_e32 v28, 16, v24
	v_lshrrev_b32_e32 v24, 16, v26
	v_and_b32_e32 v23, 0xffff, v26
	;;#ASMSTART
	v_cvt_f32_f16 v23, v23;
	;;#ASMEND
	;;#ASMSTART
	v_cvt_f32_f16 v25, v24;
	;;#ASMEND
	;; [unrolled: 3-line block ×4, first 2 shown]
	v_fmac_f32_e32 v46, v23, v24
	ds_read_b64 v[23:24], v40 offset:40
	v_and_b32_e32 v27, 0xffff, v21
	v_fmac_f32_e32 v30, v25, v26
	v_lshrrev_b32_e32 v21, 16, v21
	v_lshrrev_b32_e32 v28, 16, v20
	s_waitcnt lgkmcnt(0)
	v_and_b32_e32 v25, 0xffff, v23
	v_lshrrev_b32_e32 v26, 16, v23
	;;#ASMSTART
	v_cvt_f32_f16 v23, v25;
	;;#ASMEND
	;;#ASMSTART
	v_cvt_f32_f16 v25, v26;
	;;#ASMEND
	;; [unrolled: 3-line block ×4, first 2 shown]
	v_and_b32_e32 v27, 0xffff, v19
	v_fmac_f32_e32 v29, v25, v21
	v_lshrrev_b32_e32 v25, 16, v19
	v_lshrrev_b32_e32 v21, 16, v24
	v_and_b32_e32 v19, 0xffff, v24
	v_fmac_f32_e32 v45, v23, v26
	v_and_b32_e32 v26, 0xffff, v22
	v_lshrrev_b32_e32 v22, 16, v22
	;;#ASMSTART
	v_cvt_f32_f16 v19, v19;
	;;#ASMEND
	;;#ASMSTART
	v_cvt_f32_f16 v23, v21;
	;;#ASMEND
	;; [unrolled: 3-line block ×4, first 2 shown]
	v_fmac_f32_e32 v46, v19, v21
	ds_read_b64 v[21:22], v40 offset:48
	v_and_b32_e32 v26, 0xffff, v20
	v_and_b32_e32 v19, 0xffff, v17
	v_fmac_f32_e32 v30, v23, v24
	v_lshrrev_b32_e32 v48, 16, v18
	s_waitcnt lgkmcnt(0)
	v_and_b32_e32 v20, 0xffff, v21
	v_lshrrev_b32_e32 v21, 16, v21
	;;#ASMSTART
	v_cvt_f32_f16 v20, v20;
	;;#ASMEND
	;;#ASMSTART
	v_cvt_f32_f16 v23, v21;
	;;#ASMEND
	;; [unrolled: 3-line block ×3, first 2 shown]
	v_fmac_f32_e32 v45, v20, v21
	v_lshrrev_b32_e32 v27, 16, v17
	v_lshrrev_b32_e32 v18, 16, v22
	v_and_b32_e32 v20, 0xffff, v22
	;;#ASMSTART
	v_cvt_f32_f16 v17, v25;
	;;#ASMEND
	;;#ASMSTART
	v_cvt_f32_f16 v20, v20;
	;;#ASMEND
	;; [unrolled: 3-line block ×5, first 2 shown]
	v_fmac_f32_e32 v29, v23, v17
	ds_read_b64 v[17:18], v40 offset:56
	s_waitcnt vmcnt(6)
	v_and_b32_e32 v21, 0xffff, v15
	v_fmac_f32_e32 v46, v20, v22
	v_lshrrev_b32_e32 v22, 16, v15
	v_and_b32_e32 v23, 0xffff, v16
	v_lshrrev_b32_e32 v24, 16, v16
	s_waitcnt lgkmcnt(0)
	v_and_b32_e32 v15, 0xffff, v17
	v_lshrrev_b32_e32 v16, 16, v17
	v_fmac_f32_e32 v30, v25, v26
	v_lshrrev_b32_e32 v20, 16, v18
	v_and_b32_e32 v17, 0xffff, v18
	;;#ASMSTART
	v_cvt_f32_f16 v15, v15;
	;;#ASMEND
	;;#ASMSTART
	v_cvt_f32_f16 v26, v16;
	;;#ASMEND
	;; [unrolled: 3-line block ×8, first 2 shown]
	v_fmac_f32_e32 v45, v15, v16
	ds_read_b64 v[15:16], v40 offset:64
	s_waitcnt vmcnt(5)
	v_and_b32_e32 v25, 0xffff, v13
	v_fmac_f32_e32 v29, v26, v27
	v_lshrrev_b32_e32 v26, 16, v13
	v_fmac_f32_e32 v46, v17, v19
	s_waitcnt lgkmcnt(0)
	v_and_b32_e32 v13, 0xffff, v15
	v_lshrrev_b32_e32 v15, 16, v15
	v_lshrrev_b32_e32 v27, 16, v16
	v_and_b32_e32 v16, 0xffff, v16
	v_fmac_f32_e32 v30, v18, v20
	;;#ASMSTART
	v_cvt_f32_f16 v13, v13;
	;;#ASMEND
	;;#ASMSTART
	v_cvt_f32_f16 v17, v15;
	;;#ASMEND
	;; [unrolled: 3-line block ×8, first 2 shown]
	ds_read_b64 v[15:16], v40 offset:72
	v_fmac_f32_e32 v45, v13, v18
	v_fmac_f32_e32 v29, v17, v19
	;; [unrolled: 1-line block ×4, first 2 shown]
	s_waitcnt lgkmcnt(0)
	v_and_b32_e32 v13, 0xffff, v15
	v_lshrrev_b32_e32 v17, 16, v15
	;;#ASMSTART
	v_cvt_f32_f16 v15, v13;
	;;#ASMEND
	v_lshrrev_b32_e32 v13, 16, v16
	v_and_b32_e32 v16, 0xffff, v16
	;;#ASMSTART
	v_cvt_f32_f16 v17, v17;
	;;#ASMEND
	;;#ASMSTART
	v_cvt_f32_f16 v18, v25;
	;;#ASMEND
	;;#ASMSTART
	v_cvt_f32_f16 v19, v26;
	;;#ASMEND
	;;#ASMSTART
	v_cvt_f32_f16 v16, v16;
	;;#ASMEND
	;;#ASMSTART
	v_cvt_f32_f16 v20, v13;
	;;#ASMEND
	v_and_b32_e32 v13, 0xffff, v14
	;;#ASMSTART
	v_cvt_f32_f16 v21, v13;
	;;#ASMEND
	v_lshrrev_b32_e32 v13, 16, v14
	;;#ASMSTART
	v_cvt_f32_f16 v22, v13;
	;;#ASMEND
	ds_read_b64 v[13:14], v40 offset:80
	v_fmac_f32_e32 v45, v15, v18
	v_fmac_f32_e32 v46, v16, v21
	s_waitcnt vmcnt(4)
	v_and_b32_e32 v16, 0xffff, v11
	v_lshrrev_b32_e32 v11, 16, v11
	s_waitcnt lgkmcnt(0)
	v_and_b32_e32 v15, 0xffff, v13
	v_lshrrev_b32_e32 v13, 16, v13
	v_fmac_f32_e32 v29, v17, v19
	;;#ASMSTART
	v_cvt_f32_f16 v15, v15;
	;;#ASMEND
	;;#ASMSTART
	v_cvt_f32_f16 v13, v13;
	;;#ASMEND
	;; [unrolled: 3-line block ×4, first 2 shown]
	v_lshrrev_b32_e32 v11, 16, v14
	v_and_b32_e32 v14, 0xffff, v14
	;;#ASMSTART
	v_cvt_f32_f16 v14, v14;
	;;#ASMEND
	;;#ASMSTART
	v_cvt_f32_f16 v18, v11;
	;;#ASMEND
	v_and_b32_e32 v11, 0xffff, v12
	;;#ASMSTART
	v_cvt_f32_f16 v19, v11;
	;;#ASMEND
	v_lshrrev_b32_e32 v11, 16, v12
	v_fmac_f32_e32 v30, v20, v22
	;;#ASMSTART
	v_cvt_f32_f16 v20, v11;
	;;#ASMEND
	ds_read_b64 v[11:12], v40 offset:88
	v_fmac_f32_e32 v29, v13, v17
	v_fmac_f32_e32 v46, v14, v19
	s_waitcnt vmcnt(3)
	v_and_b32_e32 v14, 0xffff, v9
	v_lshrrev_b32_e32 v9, 16, v9
	s_waitcnt lgkmcnt(0)
	v_and_b32_e32 v13, 0xffff, v11
	v_lshrrev_b32_e32 v11, 16, v11
	v_fmac_f32_e32 v45, v15, v16
	;;#ASMSTART
	v_cvt_f32_f16 v13, v13;
	;;#ASMEND
	;;#ASMSTART
	v_cvt_f32_f16 v11, v11;
	;;#ASMEND
	;; [unrolled: 3-line block ×4, first 2 shown]
	v_lshrrev_b32_e32 v9, 16, v12
	v_and_b32_e32 v12, 0xffff, v12
	;;#ASMSTART
	v_cvt_f32_f16 v12, v12;
	;;#ASMEND
	;;#ASMSTART
	v_cvt_f32_f16 v16, v9;
	;;#ASMEND
	v_and_b32_e32 v9, 0xffff, v10
	;;#ASMSTART
	v_cvt_f32_f16 v17, v9;
	;;#ASMEND
	v_lshrrev_b32_e32 v9, 16, v10
	v_fmac_f32_e32 v30, v18, v20
	;;#ASMSTART
	v_cvt_f32_f16 v18, v9;
	;;#ASMEND
	ds_read_b64 v[9:10], v40 offset:96
	v_fmac_f32_e32 v29, v11, v15
	v_fmac_f32_e32 v46, v12, v17
	s_waitcnt vmcnt(2)
	v_and_b32_e32 v12, 0xffff, v7
	v_lshrrev_b32_e32 v7, 16, v7
	s_waitcnt lgkmcnt(0)
	v_and_b32_e32 v11, 0xffff, v9
	v_lshrrev_b32_e32 v9, 16, v9
	v_fmac_f32_e32 v45, v13, v14
	v_fmac_f32_e32 v30, v16, v18
	;;#ASMSTART
	v_cvt_f32_f16 v11, v11;
	;;#ASMEND
	;;#ASMSTART
	v_cvt_f32_f16 v9, v9;
	;;#ASMEND
	;; [unrolled: 3-line block ×4, first 2 shown]
	v_lshrrev_b32_e32 v7, 16, v10
	v_and_b32_e32 v10, 0xffff, v10
	v_lshrrev_b32_e32 v16, 16, v8
	v_and_b32_e32 v8, 0xffff, v8
	;;#ASMSTART
	v_cvt_f32_f16 v10, v10;
	;;#ASMEND
	;;#ASMSTART
	v_cvt_f32_f16 v14, v7;
	;;#ASMEND
	;; [unrolled: 3-line block ×4, first 2 shown]
	ds_read_b64 v[7:8], v40 offset:104
	v_fmac_f32_e32 v29, v9, v13
	v_fmac_f32_e32 v46, v10, v15
	s_waitcnt vmcnt(1)
	v_and_b32_e32 v10, 0xffff, v5
	v_lshrrev_b32_e32 v5, 16, v5
	s_waitcnt lgkmcnt(0)
	v_lshrrev_b32_e32 v9, 16, v7
	v_and_b32_e32 v7, 0xffff, v7
	v_fmac_f32_e32 v45, v11, v12
	;;#ASMSTART
	v_cvt_f32_f16 v7, v7;
	;;#ASMEND
	;;#ASMSTART
	v_cvt_f32_f16 v9, v9;
	;;#ASMEND
	;; [unrolled: 3-line block ×4, first 2 shown]
	v_lshrrev_b32_e32 v5, 16, v8
	v_and_b32_e32 v8, 0xffff, v8
	;;#ASMSTART
	v_cvt_f32_f16 v8, v8;
	;;#ASMEND
	;;#ASMSTART
	v_cvt_f32_f16 v12, v5;
	;;#ASMEND
	v_lshrrev_b32_e32 v5, 16, v6
	v_and_b32_e32 v6, 0xffff, v6
	v_fmac_f32_e32 v30, v14, v16
	;;#ASMSTART
	v_cvt_f32_f16 v13, v6;
	;;#ASMEND
	;;#ASMSTART
	v_cvt_f32_f16 v14, v5;
	;;#ASMEND
	ds_read_b64 v[5:6], v40 offset:112
	v_fmac_f32_e32 v45, v7, v10
	v_fmac_f32_e32 v46, v8, v13
	s_waitcnt vmcnt(0)
	v_lshrrev_b32_e32 v8, 16, v3
	v_and_b32_e32 v3, 0xffff, v3
	s_waitcnt lgkmcnt(0)
	v_lshrrev_b32_e32 v7, 16, v5
	v_and_b32_e32 v5, 0xffff, v5
	;;#ASMSTART
	v_cvt_f32_f16 v5, v5;
	;;#ASMEND
	;;#ASMSTART
	v_cvt_f32_f16 v7, v7;
	;;#ASMEND
	;; [unrolled: 3-line block ×3, first 2 shown]
	v_fmac_f32_e32 v29, v9, v11
	v_fmac_f32_e32 v45, v5, v3
	v_and_b32_e32 v3, 0xffff, v6
	;;#ASMSTART
	v_cvt_f32_f16 v8, v8;
	;;#ASMEND
	v_fmac_f32_e32 v29, v7, v8
	v_lshrrev_b32_e32 v5, 16, v6
	;;#ASMSTART
	v_cvt_f32_f16 v3, v3;
	;;#ASMEND
	v_lshrrev_b32_e32 v6, 16, v4
	v_and_b32_e32 v4, 0xffff, v4
	v_fmac_f32_e32 v30, v12, v14
	;;#ASMSTART
	v_cvt_f32_f16 v5, v5;
	;;#ASMEND
	;;#ASMSTART
	v_cvt_f32_f16 v4, v4;
	;;#ASMEND
	v_fmac_f32_e32 v46, v3, v4
	v_add_f32_e32 v3, v45, v29
	;;#ASMSTART
	v_cvt_f32_f16 v6, v6;
	;;#ASMEND
	v_fmac_f32_e32 v30, v5, v6
	v_add_f32_e32 v3, v3, v46
	v_cndmask_b32_e64 v4, v34, v43, s[4:5]
	v_add_f32_e32 v3, v30, v3
	v_lshlrev_b32_e32 v4, 2, v4
	ds_bpermute_b32 v4, v4, v3
	s_and_saveexec_b64 s[30:31], vcc
	s_cbranch_execz .LBB104_8
; %bb.10:                               ;   in Loop: Header=BB104_9 Depth=1
	v_add_u32_e32 v5, s15, v41
	v_cvt_f32_i32_e32 v5, v5
	s_waitcnt lgkmcnt(0)
	v_add_f32_e32 v3, v3, v4
	v_cmp_gt_i32_e64 s[4:5], s33, v41
	v_max_f32_e32 v4, v37, v37
	v_mul_f32_e32 v5, s26, v5
	v_cndmask_b32_e64 v5, 0, v5, s[2:3]
	v_fmac_f32_e32 v5, s27, v3
	v_cndmask_b32_e64 v3, 0, v5, s[4:5]
	ds_write_b32 v42, v3
	v_max_f32_e32 v3, v4, v5
	v_cndmask_b32_e64 v37, v37, v3, s[4:5]
	s_branch .LBB104_8
.LBB104_11:
	s_or_b64 exec, exec, s[28:29]
.LBB104_12:
	s_or_b64 exec, exec, s[6:7]
	v_xor_b32_e32 v1, 32, v34
	v_cmp_lt_i32_e32 vcc, v1, v36
	v_cndmask_b32_e32 v1, v34, v1, vcc
	v_lshlrev_b32_e32 v2, 2, v1
	ds_bpermute_b32 v1, v2, v37
	s_waitcnt lgkmcnt(0)
	v_xor_b32_e32 v4, 16, v34
	v_max_f32_e32 v3, v37, v37
	v_cmp_lt_i32_e32 vcc, v4, v36
	v_xor_b32_e32 v5, 8, v34
	v_max_f32_e32 v1, v1, v1
	v_max_f32_e32 v1, v3, v1
	v_cndmask_b32_e32 v3, v34, v4, vcc
	v_lshlrev_b32_e32 v3, 2, v3
	ds_bpermute_b32 v4, v3, v1
	v_cmp_lt_i32_e32 vcc, v5, v36
	v_xor_b32_e32 v6, 4, v34
	v_xor_b32_e32 v8, 2, v34
	s_waitcnt lgkmcnt(0)
	v_max_f32_e32 v4, v4, v4
	v_max_f32_e32 v1, v1, v4
	v_cndmask_b32_e32 v4, v34, v5, vcc
	v_lshlrev_b32_e32 v4, 2, v4
	ds_bpermute_b32 v5, v4, v1
	v_cmp_lt_i32_e32 vcc, v6, v36
	s_waitcnt lgkmcnt(0)
	v_max_f32_e32 v5, v5, v5
	v_max_f32_e32 v1, v1, v5
	v_cndmask_b32_e32 v5, v34, v6, vcc
	v_lshlrev_b32_e32 v5, 2, v5
	ds_bpermute_b32 v6, v5, v1
	v_cmp_lt_i32_e32 vcc, v8, v36
	s_waitcnt lgkmcnt(0)
	v_max_f32_e32 v6, v6, v6
	v_max_f32_e32 v7, v1, v6
	v_cndmask_b32_e32 v1, v34, v8, vcc
	v_lshlrev_b32_e32 v9, 2, v1
	ds_bpermute_b32 v8, v9, v7
	v_and_b32_e32 v1, 63, v0
	v_cmp_eq_u32_e32 vcc, 0, v1
	v_lshlrev_b32_e32 v6, 2, v31
	s_and_saveexec_b64 s[2:3], vcc
	s_cbranch_execz .LBB104_14
; %bb.13:
	s_waitcnt lgkmcnt(0)
	v_max_f32_e32 v8, v8, v8
	v_max_f32_e32 v7, v7, v7
	;; [unrolled: 1-line block ×3, first 2 shown]
	ds_write_b32 v6, v7 offset:240
.LBB104_14:
	s_or_b64 exec, exec, s[2:3]
	v_cmp_gt_u32_e64 s[2:3], 2, v1
	s_waitcnt lgkmcnt(0)
	v_mov_b32_e32 v8, 0xff7fffff
	v_lshlrev_b32_e32 v7, 2, v1
	s_barrier
	s_and_saveexec_b64 s[4:5], s[2:3]
; %bb.15:
	ds_read_b32 v8, v7 offset:240
; %bb.16:
	s_or_b64 exec, exec, s[4:5]
	v_xor_b32_e32 v10, 1, v34
	v_cmp_lt_i32_e64 s[4:5], v10, v36
	v_cndmask_b32_e64 v10, v34, v10, s[4:5]
	v_lshlrev_b32_e32 v10, 2, v10
	s_waitcnt lgkmcnt(0)
	ds_bpermute_b32 v11, v10, v8
	v_max_f32_e32 v8, v8, v8
	s_lshl_b32 s4, s17, 5
	s_min_i32 s12, s4, s33
	v_cmp_gt_i32_e64 s[4:5], s12, v0
	s_waitcnt lgkmcnt(0)
	v_max_f32_e32 v11, v11, v11
	v_max_f32_e32 v8, v8, v11
	v_lshlrev_b32_e32 v11, 2, v35
	ds_bpermute_b32 v11, v11, v8
	v_mov_b32_e32 v8, 0
	s_and_saveexec_b64 s[26:27], s[4:5]
	s_cbranch_execz .LBB104_20
; %bb.17:
	v_mov_b32_e32 v8, 0x100
	v_lshl_add_u32 v12, v0, 2, v8
	v_mov_b32_e32 v8, 0
	s_mov_b64 s[28:29], 0
	v_mov_b32_e32 v13, v0
.LBB104_18:                             ; =>This Inner Loop Header: Depth=1
	ds_read_b32 v14, v12
	v_add_u32_e32 v13, 0x80, v13
	v_cmp_le_i32_e64 s[6:7], s12, v13
	s_or_b64 s[28:29], s[6:7], s[28:29]
	s_waitcnt lgkmcnt(0)
	v_sub_f32_e32 v14, v14, v11
	v_mul_f32_e32 v14, 0x3fb8aa3b, v14
	v_exp_f32_e32 v14, v14
	ds_write_b32 v12, v14
	v_add_f32_e32 v8, v8, v14
	v_add_u32_e32 v12, 0x200, v12
	s_andn2_b64 exec, exec, s[28:29]
	s_cbranch_execnz .LBB104_18
; %bb.19:
	s_or_b64 exec, exec, s[28:29]
.LBB104_20:
	s_or_b64 exec, exec, s[26:27]
	ds_bpermute_b32 v2, v2, v8
	s_waitcnt lgkmcnt(0)
	v_add_f32_e32 v2, v8, v2
	ds_bpermute_b32 v3, v3, v2
	s_waitcnt lgkmcnt(0)
	v_add_f32_e32 v2, v2, v3
	;; [unrolled: 3-line block ×6, first 2 shown]
	s_and_saveexec_b64 s[6:7], vcc
; %bb.21:
	ds_write_b32 v6, v2 offset:248
; %bb.22:
	s_or_b64 exec, exec, s[6:7]
	s_waitcnt lgkmcnt(0)
	s_barrier
	s_and_saveexec_b64 s[6:7], s[2:3]
; %bb.23:
	ds_read_b32 v2, v7 offset:248
; %bb.24:
	s_or_b64 exec, exec, s[6:7]
	s_waitcnt lgkmcnt(0)
	ds_bpermute_b32 v3, v10, v2
	v_lshlrev_b32_e32 v4, 2, v34
	s_waitcnt lgkmcnt(0)
	v_add_f32_e32 v2, v2, v3
	v_and_b32_e32 v3, 0xffffff00, v4
	ds_bpermute_b32 v2, v3, v2
	s_and_saveexec_b64 s[2:3], s[4:5]
	s_cbranch_execz .LBB104_27
; %bb.25:
	s_waitcnt lgkmcnt(0)
	v_add_f32_e32 v3, 0x358637bd, v2
	v_div_scale_f32 v2, s[4:5], v3, v3, 1.0
	v_div_scale_f32 v4, vcc, 1.0, v3, 1.0
	s_mov_b64 s[4:5], 0
	v_rcp_f32_e32 v5, v2
	v_fma_f32 v6, -v2, v5, 1.0
	v_fmac_f32_e32 v5, v6, v5
	v_mul_f32_e32 v6, v4, v5
	v_fma_f32 v7, -v2, v6, v4
	v_fmac_f32_e32 v6, v7, v5
	v_fma_f32 v2, -v2, v6, v4
	v_div_fmas_f32 v4, v2, v5, v6
	v_mov_b32_e32 v2, 0x100
	v_lshl_add_u32 v2, v0, 2, v2
	v_div_fixup_f32 v3, v4, v3, 1.0
	v_mov_b32_e32 v4, v0
.LBB104_26:                             ; =>This Inner Loop Header: Depth=1
	ds_read_b32 v5, v2
	v_add_u32_e32 v4, 0x80, v4
	v_cmp_le_i32_e32 vcc, s12, v4
	s_or_b64 s[4:5], vcc, s[4:5]
	s_waitcnt lgkmcnt(0)
	v_mul_f32_e32 v5, v3, v5
	ds_write_b32 v2, v5
	v_add_u32_e32 v2, 0x200, v2
	s_andn2_b64 exec, exec, s[4:5]
	s_cbranch_execnz .LBB104_26
.LBB104_27:
	s_or_b64 exec, exec, s[2:3]
	v_lshrrev_b32_e32 v11, 2, v1
	s_waitcnt lgkmcnt(0)
	s_barrier
	s_and_saveexec_b64 s[2:3], s[0:1]
	s_xor_b64 s[0:1], exec, s[2:3]
; %bb.28:
	v_lshrrev_b32_e32 v11, 2, v1
                                        ; implicit-def: $vgpr31
                                        ; implicit-def: $vgpr32
                                        ; implicit-def: $vgpr33
; %bb.29:
	s_or_saveexec_b64 s[4:5], s[0:1]
	v_mov_b32_e32 v19, 0
	v_and_b32_e32 v12, 3, v0
	v_mov_b32_e32 v20, 0
	v_mov_b32_e32 v18, 0
	;; [unrolled: 1-line block ×7, first 2 shown]
	s_xor_b64 exec, exec, s[4:5]
	s_cbranch_execz .LBB104_51
; %bb.30:
	s_ashr_i32 s15, s14, 31
	s_lshl_b64 s[0:1], s[14:15], 1
	v_and_b32_e32 v1, 24, v32
	s_add_u32 s24, s24, s0
	v_or_b32_e32 v3, 0x70, v11
	s_movk_i32 s0, 0x78
	v_lshlrev_b32_e32 v4, 5, v31
	s_addc_u32 s12, s25, s1
	s_add_i32 s25, s17, -1
	v_lshl_or_b32 v2, v11, 5, v1
	v_cmp_gt_u32_e64 s[0:1], s0, v3
	v_lshl_or_b32 v3, v3, 5, v1
	v_or3_b32 v22, v4, v1, 7
	v_lshlrev_b32_e32 v1, 5, v12
	s_lshl_b64 s[2:3], s[22:23], 2
	v_lshl_or_b32 v1, v31, 7, v1
	s_add_u32 s2, s20, s2
	v_add_u32_e32 v23, 0x100, v1
	v_and_b32_e32 v1, 60, v33
	s_addc_u32 s3, s21, s3
	v_mov_b32_e32 v4, s3
	v_add_co_u32_e32 v5, vcc, s2, v1
	s_mov_b32 s26, s13
	v_mov_b32_e32 v21, 0
	v_addc_co_u32_e32 v6, vcc, 0, v4, vcc
	s_mov_b64 s[6:7], 0
	v_mov_b32_e32 v24, s12
	v_lshlrev_b32_e32 v25, 1, v2
	s_mov_b32 s20, 0xffff
	v_lshlrev_b32_e32 v26, 1, v3
	v_mov_b32_e32 v14, 0
	v_mov_b32_e32 v13, 0
	;; [unrolled: 1-line block ×8, first 2 shown]
	s_branch .LBB104_33
.LBB104_31:                             ;   in Loop: Header=BB104_33 Depth=1
	s_or_b64 exec, exec, s[14:15]
	v_lshlrev_b32_e32 v29, 16, v47
	v_and_or_b32 v1, v1, s20, v29
	v_lshlrev_b32_e32 v29, 16, v36
	v_and_or_b32 v2, v2, s20, v29
	;; [unrolled: 2-line block ×3, first 2 shown]
	;;#ASMSTART
	v_pk_mul_f16 v1, v32, v1;

	;;#ASMEND
	;;#ASMSTART
	v_pk_mul_f16 v2, v33, v2;

	;;#ASMEND
	;; [unrolled: 4-line block ×4, first 2 shown]
	;;#ASMSTART
	v_pk_add_f16 v1, v1, v2;

	;;#ASMEND
	;;#ASMSTART
	v_pk_add_f16 v1, v1, v3;

	;;#ASMEND
	;; [unrolled: 4-line block ×3, first 2 shown]
	v_lshrrev_b32_e32 v2, 16, v1
	v_and_b32_e32 v1, 0xffff, v1
	;;#ASMSTART
	v_cvt_f32_f16 v1, v1;
	;;#ASMEND
	;;#ASMSTART
	v_cvt_f32_f16 v2, v2;
	;;#ASMEND
	v_add_f32_e32 v1, v1, v2
	v_add_f32_e32 v14, v14, v1
.LBB104_32:                             ;   in Loop: Header=BB104_33 Depth=1
	s_or_b64 exec, exec, s[12:13]
	v_add_f32_e32 v1, v7, v8
	v_add_f32_e32 v13, v13, v1
	;; [unrolled: 1-line block ×9, first 2 shown]
	v_add_u32_e32 v31, 2, v31
	v_add_f32_e32 v18, v18, v1
	v_add_f32_e32 v1, v37, v38
	v_cmp_le_i32_e32 vcc, s17, v31
	v_add_f32_e32 v20, v20, v1
	v_add_f32_e32 v1, v27, v28
	s_or_b64 s[6:7], vcc, s[6:7]
	v_add_co_u32_e32 v5, vcc, 8, v5
	v_add_f32_e32 v19, v19, v1
	v_add_u32_e32 v22, 64, v22
	v_add_u32_e32 v23, 0x100, v23
	v_addc_co_u32_e32 v6, vcc, 0, v6, vcc
	s_andn2_b64 exec, exec, s[6:7]
	s_cbranch_execz .LBB104_50
.LBB104_33:                             ; =>This Inner Loop Header: Depth=1
	global_load_dword v7, v[5:6], off
	ds_read2_b64 v[1:4], v23 offset1:1
	ds_read2_b64 v[36:39], v23 offset0:2 offset1:3
	v_add_u32_e32 v29, -7, v22
	s_waitcnt lgkmcnt(1)
	;;#ASMSTART
	v_cvt_f16_f32 v27, v1;

	;;#ASMEND
	;;#ASMSTART
	v_cvt_f16_f32 v28, v2;

	;;#ASMEND
	;; [unrolled: 4-line block ×4, first 2 shown]
	s_waitcnt lgkmcnt(0)
	;;#ASMSTART
	v_cvt_f16_f32 v34, v36;

	;;#ASMEND
	;;#ASMSTART
	v_cvt_f16_f32 v37, v37;

	;;#ASMEND
	;; [unrolled: 4-line block ×4, first 2 shown]
	s_waitcnt vmcnt(0)
	v_mad_i64_i32 v[1:2], s[2:3], v7, s26, 0
	v_cmp_eq_u32_e64 s[2:3], s25, v31
	v_lshlrev_b64 v[1:2], 1, v[1:2]
	v_add_co_u32_e32 v35, vcc, s24, v1
	v_addc_co_u32_e32 v36, vcc, v24, v2, vcc
	v_add_co_u32_e32 v7, vcc, v35, v25
	v_addc_co_u32_e32 v8, vcc, 0, v36, vcc
	global_load_dwordx4 v[1:4], v[7:8], off
	s_waitcnt vmcnt(0)
	v_lshrrev_b32_e32 v42, 16, v1
	v_lshrrev_b32_e32 v41, 16, v2
	;; [unrolled: 1-line block ×3, first 2 shown]
	s_and_saveexec_b64 s[12:13], s[2:3]
	s_cbranch_execz .LBB104_35
; %bb.34:                               ;   in Loop: Header=BB104_33 Depth=1
	v_cmp_gt_i32_e32 vcc, s33, v29
	v_add_u32_e32 v32, -6, v22
	v_cndmask_b32_e32 v1, 0, v1, vcc
	v_cmp_gt_i32_e32 vcc, s33, v32
	v_add_u32_e32 v32, -5, v22
	v_cndmask_b32_e32 v42, 0, v42, vcc
	;; [unrolled: 3-line block ×6, first 2 shown]
	v_cmp_gt_i32_e32 vcc, s33, v32
	v_cndmask_b32_sdwa v32, v21, v4, vcc dst_sel:DWORD dst_unused:UNUSED_PAD src0_sel:DWORD src1_sel:WORD_0
	v_and_b32_e32 v4, 0xffff0000, v4
	v_cmp_gt_i32_e32 vcc, s33, v22
	v_cndmask_b32_e32 v4, 0, v4, vcc
	v_or_b32_e32 v4, v32, v4
.LBB104_35:                             ;   in Loop: Header=BB104_33 Depth=1
	s_or_b64 exec, exec, s[12:13]
	v_and_b32_e32 v27, 0xffff, v27
	v_lshl_or_b32 v32, v28, 16, v27
	v_and_b32_e32 v27, 0xffff, v30
	v_lshl_or_b32 v33, v33, 16, v27
	;; [unrolled: 2-line block ×4, first 2 shown]
	v_lshlrev_b32_e32 v27, 16, v42
	v_and_or_b32 v1, v1, s20, v27
	v_lshlrev_b32_e32 v27, 16, v41
	v_and_or_b32 v2, v2, s20, v27
	;; [unrolled: 2-line block ×3, first 2 shown]
	;;#ASMSTART
	v_pk_mul_f16 v1, v32, v1;

	;;#ASMEND
	;;#ASMSTART
	v_pk_mul_f16 v2, v33, v2;

	;;#ASMEND
	;; [unrolled: 4-line block ×4, first 2 shown]
	;;#ASMSTART
	v_pk_add_f16 v1, v1, v2;

	;;#ASMEND
	;;#ASMSTART
	v_pk_add_f16 v1, v1, v3;

	;;#ASMEND
	;; [unrolled: 4-line block ×3, first 2 shown]
	v_lshrrev_b32_e32 v2, 16, v1
	v_and_b32_e32 v1, 0xffff, v1
	;;#ASMSTART
	v_cvt_f32_f16 v27, v1;
	;;#ASMEND
	;;#ASMSTART
	v_cvt_f32_f16 v28, v2;
	;;#ASMEND
	global_load_dwordx4 v[1:4], v[7:8], off offset:1024
	s_waitcnt vmcnt(0)
	v_lshrrev_b32_e32 v39, 16, v1
	v_lshrrev_b32_e32 v38, 16, v2
	;; [unrolled: 1-line block ×3, first 2 shown]
	s_and_saveexec_b64 s[12:13], s[2:3]
	s_cbranch_execz .LBB104_37
; %bb.36:                               ;   in Loop: Header=BB104_33 Depth=1
	v_cmp_gt_i32_e32 vcc, s33, v29
	v_add_u32_e32 v40, -6, v22
	v_cndmask_b32_e32 v1, 0, v1, vcc
	v_cmp_gt_i32_e32 vcc, s33, v40
	v_add_u32_e32 v40, -5, v22
	v_cndmask_b32_e32 v39, 0, v39, vcc
	;; [unrolled: 3-line block ×6, first 2 shown]
	v_cmp_gt_i32_e32 vcc, s33, v40
	v_cndmask_b32_sdwa v40, v21, v4, vcc dst_sel:DWORD dst_unused:UNUSED_PAD src0_sel:DWORD src1_sel:WORD_0
	v_and_b32_e32 v4, 0xffff0000, v4
	v_cmp_gt_i32_e32 vcc, s33, v22
	v_cndmask_b32_e32 v4, 0, v4, vcc
	v_or_b32_e32 v4, v40, v4
.LBB104_37:                             ;   in Loop: Header=BB104_33 Depth=1
	s_or_b64 exec, exec, s[12:13]
	v_lshlrev_b32_e32 v39, 16, v39
	v_and_or_b32 v1, v1, s20, v39
	v_lshlrev_b32_e32 v38, 16, v38
	v_lshlrev_b32_e32 v37, 16, v37
	v_and_or_b32 v2, v2, s20, v38
	v_and_or_b32 v3, v3, s20, v37
	;;#ASMSTART
	v_pk_mul_f16 v1, v32, v1;

	;;#ASMEND
	;;#ASMSTART
	v_pk_mul_f16 v2, v33, v2;

	;;#ASMEND
	;; [unrolled: 4-line block ×4, first 2 shown]
	;;#ASMSTART
	v_pk_add_f16 v1, v1, v2;

	;;#ASMEND
	;;#ASMSTART
	v_pk_add_f16 v1, v1, v3;

	;;#ASMEND
	;; [unrolled: 4-line block ×3, first 2 shown]
	v_lshrrev_b32_e32 v2, 16, v1
	v_and_b32_e32 v1, 0xffff, v1
	;;#ASMSTART
	v_cvt_f32_f16 v37, v1;
	;;#ASMEND
	;;#ASMSTART
	v_cvt_f32_f16 v38, v2;
	;;#ASMEND
	global_load_dwordx4 v[1:4], v[7:8], off offset:2048
	s_waitcnt vmcnt(0)
	v_lshrrev_b32_e32 v41, 16, v1
	v_lshrrev_b32_e32 v40, 16, v2
	;; [unrolled: 1-line block ×3, first 2 shown]
	s_and_saveexec_b64 s[12:13], s[2:3]
	s_cbranch_execz .LBB104_39
; %bb.38:                               ;   in Loop: Header=BB104_33 Depth=1
	v_cmp_gt_i32_e32 vcc, s33, v29
	v_add_u32_e32 v42, -6, v22
	v_cndmask_b32_e32 v1, 0, v1, vcc
	v_cmp_gt_i32_e32 vcc, s33, v42
	v_add_u32_e32 v42, -5, v22
	v_cndmask_b32_e32 v41, 0, v41, vcc
	;; [unrolled: 3-line block ×6, first 2 shown]
	v_cmp_gt_i32_e32 vcc, s33, v42
	v_cndmask_b32_sdwa v42, v21, v4, vcc dst_sel:DWORD dst_unused:UNUSED_PAD src0_sel:DWORD src1_sel:WORD_0
	v_and_b32_e32 v4, 0xffff0000, v4
	v_cmp_gt_i32_e32 vcc, s33, v22
	v_cndmask_b32_e32 v4, 0, v4, vcc
	v_or_b32_e32 v4, v42, v4
.LBB104_39:                             ;   in Loop: Header=BB104_33 Depth=1
	s_or_b64 exec, exec, s[12:13]
	v_lshlrev_b32_e32 v41, 16, v41
	v_and_or_b32 v1, v1, s20, v41
	v_lshlrev_b32_e32 v40, 16, v40
	v_lshlrev_b32_e32 v39, 16, v39
	v_and_or_b32 v2, v2, s20, v40
	v_and_or_b32 v3, v3, s20, v39
	;;#ASMSTART
	v_pk_mul_f16 v1, v32, v1;

	;;#ASMEND
	;;#ASMSTART
	v_pk_mul_f16 v2, v33, v2;

	;;#ASMEND
	;; [unrolled: 4-line block ×4, first 2 shown]
	;;#ASMSTART
	v_pk_add_f16 v1, v1, v2;

	;;#ASMEND
	;;#ASMSTART
	v_pk_add_f16 v1, v1, v3;

	;;#ASMEND
	;; [unrolled: 4-line block ×3, first 2 shown]
	v_lshrrev_b32_e32 v2, 16, v1
	v_and_b32_e32 v1, 0xffff, v1
	;;#ASMSTART
	v_cvt_f32_f16 v39, v1;
	;;#ASMEND
	;;#ASMSTART
	v_cvt_f32_f16 v40, v2;
	;;#ASMEND
	global_load_dwordx4 v[1:4], v[7:8], off offset:3072
	s_waitcnt vmcnt(0)
	v_lshrrev_b32_e32 v43, 16, v1
	v_lshrrev_b32_e32 v42, 16, v2
	;; [unrolled: 1-line block ×3, first 2 shown]
	s_and_saveexec_b64 s[12:13], s[2:3]
	s_cbranch_execz .LBB104_41
; %bb.40:                               ;   in Loop: Header=BB104_33 Depth=1
	v_cmp_gt_i32_e32 vcc, s33, v29
	v_add_u32_e32 v44, -6, v22
	v_cndmask_b32_e32 v1, 0, v1, vcc
	v_cmp_gt_i32_e32 vcc, s33, v44
	v_add_u32_e32 v44, -5, v22
	v_cndmask_b32_e32 v43, 0, v43, vcc
	;; [unrolled: 3-line block ×6, first 2 shown]
	v_cmp_gt_i32_e32 vcc, s33, v44
	v_cndmask_b32_sdwa v44, v21, v4, vcc dst_sel:DWORD dst_unused:UNUSED_PAD src0_sel:DWORD src1_sel:WORD_0
	v_and_b32_e32 v4, 0xffff0000, v4
	v_cmp_gt_i32_e32 vcc, s33, v22
	v_cndmask_b32_e32 v4, 0, v4, vcc
	v_or_b32_e32 v4, v44, v4
.LBB104_41:                             ;   in Loop: Header=BB104_33 Depth=1
	s_or_b64 exec, exec, s[12:13]
	v_lshlrev_b32_e32 v43, 16, v43
	v_and_or_b32 v1, v1, s20, v43
	v_lshlrev_b32_e32 v42, 16, v42
	v_lshlrev_b32_e32 v41, 16, v41
	v_and_or_b32 v2, v2, s20, v42
	v_and_or_b32 v3, v3, s20, v41
	;;#ASMSTART
	v_pk_mul_f16 v1, v32, v1;

	;;#ASMEND
	;;#ASMSTART
	v_pk_mul_f16 v2, v33, v2;

	;;#ASMEND
	;; [unrolled: 4-line block ×4, first 2 shown]
	;;#ASMSTART
	v_pk_add_f16 v1, v1, v2;

	;;#ASMEND
	;;#ASMSTART
	v_pk_add_f16 v1, v1, v3;

	;;#ASMEND
	;; [unrolled: 4-line block ×3, first 2 shown]
	v_lshrrev_b32_e32 v2, 16, v1
	v_and_b32_e32 v1, 0xffff, v1
	;;#ASMSTART
	v_cvt_f32_f16 v41, v1;
	;;#ASMEND
	v_add_co_u32_e32 v1, vcc, 0x1000, v7
	;;#ASMSTART
	v_cvt_f32_f16 v42, v2;
	;;#ASMEND
	v_addc_co_u32_e32 v2, vcc, 0, v8, vcc
	global_load_dwordx4 v[1:4], v[1:2], off
	s_waitcnt vmcnt(0)
	v_lshrrev_b32_e32 v45, 16, v1
	v_lshrrev_b32_e32 v44, 16, v2
	;; [unrolled: 1-line block ×3, first 2 shown]
	s_and_saveexec_b64 s[12:13], s[2:3]
	s_cbranch_execz .LBB104_43
; %bb.42:                               ;   in Loop: Header=BB104_33 Depth=1
	v_cmp_gt_i32_e32 vcc, s33, v29
	v_add_u32_e32 v46, -6, v22
	v_cndmask_b32_e32 v1, 0, v1, vcc
	v_cmp_gt_i32_e32 vcc, s33, v46
	v_add_u32_e32 v46, -5, v22
	v_cndmask_b32_e32 v45, 0, v45, vcc
	;; [unrolled: 3-line block ×6, first 2 shown]
	v_cmp_gt_i32_e32 vcc, s33, v46
	v_cndmask_b32_sdwa v46, v21, v4, vcc dst_sel:DWORD dst_unused:UNUSED_PAD src0_sel:DWORD src1_sel:WORD_0
	v_and_b32_e32 v4, 0xffff0000, v4
	v_cmp_gt_i32_e32 vcc, s33, v22
	v_cndmask_b32_e32 v4, 0, v4, vcc
	v_or_b32_e32 v4, v46, v4
.LBB104_43:                             ;   in Loop: Header=BB104_33 Depth=1
	s_or_b64 exec, exec, s[12:13]
	v_lshlrev_b32_e32 v45, 16, v45
	v_and_or_b32 v1, v1, s20, v45
	v_lshlrev_b32_e32 v44, 16, v44
	v_lshlrev_b32_e32 v43, 16, v43
	v_and_or_b32 v2, v2, s20, v44
	v_and_or_b32 v3, v3, s20, v43
	;;#ASMSTART
	v_pk_mul_f16 v1, v32, v1;

	;;#ASMEND
	;;#ASMSTART
	v_pk_mul_f16 v2, v33, v2;

	;;#ASMEND
	;; [unrolled: 4-line block ×4, first 2 shown]
	;;#ASMSTART
	v_pk_add_f16 v1, v1, v2;

	;;#ASMEND
	;;#ASMSTART
	v_pk_add_f16 v1, v1, v3;

	;;#ASMEND
	;; [unrolled: 4-line block ×3, first 2 shown]
	v_lshrrev_b32_e32 v2, 16, v1
	v_and_b32_e32 v1, 0xffff, v1
	;;#ASMSTART
	v_cvt_f32_f16 v43, v1;
	;;#ASMEND
	v_add_co_u32_e32 v1, vcc, 0x1000, v7
	;;#ASMSTART
	v_cvt_f32_f16 v44, v2;
	;;#ASMEND
	v_addc_co_u32_e32 v2, vcc, 0, v8, vcc
	global_load_dwordx4 v[1:4], v[1:2], off offset:1024
	s_waitcnt vmcnt(0)
	v_lshrrev_b32_e32 v47, 16, v1
	v_lshrrev_b32_e32 v46, 16, v2
	;; [unrolled: 1-line block ×3, first 2 shown]
	s_and_saveexec_b64 s[12:13], s[2:3]
	s_cbranch_execz .LBB104_45
; %bb.44:                               ;   in Loop: Header=BB104_33 Depth=1
	v_cmp_gt_i32_e32 vcc, s33, v29
	v_add_u32_e32 v48, -6, v22
	v_cndmask_b32_e32 v1, 0, v1, vcc
	v_cmp_gt_i32_e32 vcc, s33, v48
	v_add_u32_e32 v48, -5, v22
	v_cndmask_b32_e32 v47, 0, v47, vcc
	;; [unrolled: 3-line block ×6, first 2 shown]
	v_cmp_gt_i32_e32 vcc, s33, v48
	v_cndmask_b32_sdwa v48, v21, v4, vcc dst_sel:DWORD dst_unused:UNUSED_PAD src0_sel:DWORD src1_sel:WORD_0
	v_and_b32_e32 v4, 0xffff0000, v4
	v_cmp_gt_i32_e32 vcc, s33, v22
	v_cndmask_b32_e32 v4, 0, v4, vcc
	v_or_b32_e32 v4, v48, v4
.LBB104_45:                             ;   in Loop: Header=BB104_33 Depth=1
	s_or_b64 exec, exec, s[12:13]
	v_lshlrev_b32_e32 v47, 16, v47
	v_and_or_b32 v1, v1, s20, v47
	v_lshlrev_b32_e32 v46, 16, v46
	v_lshlrev_b32_e32 v45, 16, v45
	v_and_or_b32 v2, v2, s20, v46
	v_and_or_b32 v3, v3, s20, v45
	;;#ASMSTART
	v_pk_mul_f16 v1, v32, v1;

	;;#ASMEND
	;;#ASMSTART
	v_pk_mul_f16 v2, v33, v2;

	;;#ASMEND
	;; [unrolled: 4-line block ×4, first 2 shown]
	;;#ASMSTART
	v_pk_add_f16 v1, v1, v2;

	;;#ASMEND
	;;#ASMSTART
	v_pk_add_f16 v1, v1, v3;

	;;#ASMEND
	;; [unrolled: 4-line block ×3, first 2 shown]
	v_lshrrev_b32_e32 v2, 16, v1
	v_and_b32_e32 v1, 0xffff, v1
	;;#ASMSTART
	v_cvt_f32_f16 v45, v1;
	;;#ASMEND
	v_add_co_u32_e32 v1, vcc, 0x1000, v7
	;;#ASMSTART
	v_cvt_f32_f16 v46, v2;
	;;#ASMEND
	v_addc_co_u32_e32 v2, vcc, 0, v8, vcc
	global_load_dwordx4 v[1:4], v[1:2], off offset:2048
	s_waitcnt vmcnt(0)
	v_lshrrev_b32_e32 v47, 16, v1
	v_lshrrev_b32_e32 v8, 16, v2
	;; [unrolled: 1-line block ×3, first 2 shown]
	s_and_saveexec_b64 s[12:13], s[2:3]
	s_cbranch_execz .LBB104_47
; %bb.46:                               ;   in Loop: Header=BB104_33 Depth=1
	v_cmp_gt_i32_e32 vcc, s33, v29
	v_add_u32_e32 v48, -6, v22
	v_cndmask_b32_e32 v1, 0, v1, vcc
	v_cmp_gt_i32_e32 vcc, s33, v48
	v_add_u32_e32 v48, -5, v22
	v_cndmask_b32_e32 v47, 0, v47, vcc
	v_cmp_gt_i32_e32 vcc, s33, v48
	v_add_u32_e32 v48, -4, v22
	v_cndmask_b32_e32 v2, 0, v2, vcc
	v_cmp_gt_i32_e32 vcc, s33, v48
	v_add_u32_e32 v48, -3, v22
	v_cndmask_b32_e32 v8, 0, v8, vcc
	v_cmp_gt_i32_e32 vcc, s33, v48
	v_add_u32_e32 v48, -2, v22
	v_cndmask_b32_e32 v3, 0, v3, vcc
	v_cmp_gt_i32_e32 vcc, s33, v48
	v_add_u32_e32 v48, -1, v22
	v_cndmask_b32_e32 v7, 0, v7, vcc
	v_cmp_gt_i32_e32 vcc, s33, v48
	v_cndmask_b32_sdwa v48, v21, v4, vcc dst_sel:DWORD dst_unused:UNUSED_PAD src0_sel:DWORD src1_sel:WORD_0
	v_and_b32_e32 v4, 0xffff0000, v4
	v_cmp_gt_i32_e32 vcc, s33, v22
	v_cndmask_b32_e32 v4, 0, v4, vcc
	v_or_b32_e32 v4, v48, v4
.LBB104_47:                             ;   in Loop: Header=BB104_33 Depth=1
	s_or_b64 exec, exec, s[12:13]
	v_lshlrev_b32_e32 v47, 16, v47
	v_and_or_b32 v1, v1, s20, v47
	v_lshlrev_b32_e32 v8, 16, v8
	v_lshlrev_b32_e32 v7, 16, v7
	v_and_or_b32 v2, v2, s20, v8
	v_and_or_b32 v3, v3, s20, v7
	;;#ASMSTART
	v_pk_mul_f16 v1, v32, v1;

	;;#ASMEND
	;;#ASMSTART
	v_pk_mul_f16 v2, v33, v2;

	;;#ASMEND
	;; [unrolled: 4-line block ×4, first 2 shown]
	;;#ASMSTART
	v_pk_add_f16 v1, v1, v2;

	;;#ASMEND
	;;#ASMSTART
	v_pk_add_f16 v1, v1, v3;

	;;#ASMEND
	;; [unrolled: 4-line block ×3, first 2 shown]
	v_lshrrev_b32_e32 v2, 16, v1
	v_and_b32_e32 v1, 0xffff, v1
	;;#ASMSTART
	v_cvt_f32_f16 v7, v1;
	;;#ASMEND
	;;#ASMSTART
	v_cvt_f32_f16 v8, v2;
	;;#ASMEND
	s_and_saveexec_b64 s[12:13], s[0:1]
	s_cbranch_execz .LBB104_32
; %bb.48:                               ;   in Loop: Header=BB104_33 Depth=1
	v_add_co_u32_e32 v1, vcc, v35, v26
	v_addc_co_u32_e32 v2, vcc, 0, v36, vcc
	global_load_dwordx4 v[1:4], v[1:2], off
	s_waitcnt vmcnt(0)
	v_lshrrev_b32_e32 v47, 16, v1
	v_lshrrev_b32_e32 v36, 16, v2
	;; [unrolled: 1-line block ×3, first 2 shown]
	s_and_saveexec_b64 s[14:15], s[2:3]
	s_cbranch_execz .LBB104_31
; %bb.49:                               ;   in Loop: Header=BB104_33 Depth=1
	v_cmp_gt_i32_e32 vcc, s33, v29
	v_add_u32_e32 v29, -6, v22
	v_cndmask_b32_e32 v1, 0, v1, vcc
	v_cmp_gt_i32_e32 vcc, s33, v29
	v_add_u32_e32 v29, -5, v22
	v_cndmask_b32_e32 v47, 0, v47, vcc
	;; [unrolled: 3-line block ×6, first 2 shown]
	v_cmp_gt_i32_e32 vcc, s33, v29
	v_cndmask_b32_sdwa v29, v21, v4, vcc dst_sel:DWORD dst_unused:UNUSED_PAD src0_sel:DWORD src1_sel:WORD_0
	v_and_b32_e32 v4, 0xffff0000, v4
	v_cmp_gt_i32_e32 vcc, s33, v22
	v_cndmask_b32_e32 v4, 0, v4, vcc
	v_or_b32_e32 v4, v29, v4
	s_branch .LBB104_31
.LBB104_50:
	s_or_b64 exec, exec, s[6:7]
.LBB104_51:
	s_or_b64 exec, exec, s[4:5]
	ds_bpermute_b32 v1, v9, v19
	ds_bpermute_b32 v2, v9, v20
	;; [unrolled: 1-line block ×3, first 2 shown]
	v_cmp_eq_u32_e32 vcc, 0, v12
	s_waitcnt lgkmcnt(0)
	v_add_f32_e32 v1, v19, v1
	v_add_f32_e32 v2, v20, v2
	;; [unrolled: 1-line block ×3, first 2 shown]
	ds_bpermute_b32 v4, v10, v1
	ds_bpermute_b32 v5, v10, v2
	;; [unrolled: 1-line block ×4, first 2 shown]
	s_waitcnt lgkmcnt(0)
	s_barrier
	v_add_f32_e32 v8, v1, v4
	v_add_f32_e32 v7, v2, v5
	ds_bpermute_b32 v1, v9, v16
	v_add_f32_e32 v5, v3, v6
	ds_bpermute_b32 v4, v9, v15
	ds_bpermute_b32 v6, v9, v13
	ds_bpermute_b32 v9, v9, v14
	v_add_f32_e32 v2, v17, v18
	s_waitcnt lgkmcnt(3)
	v_add_f32_e32 v1, v16, v1
	s_waitcnt lgkmcnt(2)
	;; [unrolled: 2-line block ×4, first 2 shown]
	v_add_f32_e32 v9, v14, v9
	ds_bpermute_b32 v3, v10, v2
	ds_bpermute_b32 v16, v10, v1
	;; [unrolled: 1-line block ×5, first 2 shown]
	s_waitcnt lgkmcnt(4)
	v_add_f32_e32 v6, v2, v3
	s_waitcnt lgkmcnt(3)
	v_add_f32_e32 v4, v1, v16
	;; [unrolled: 2-line block ×5, first 2 shown]
	v_and_b32_e32 v9, 0x3c0, v0
	v_cmp_eq_u32_e64 s[0:1], 64, v9
	s_and_saveexec_b64 s[2:3], s[0:1]
	s_cbranch_execz .LBB104_56
; %bb.52:
	s_and_saveexec_b64 s[0:1], vcc
	s_cbranch_execz .LBB104_54
; %bb.53:
	v_mov_b32_e32 v9, 0x100
	v_lshl_add_u32 v9, v11, 2, v9
	ds_write2_b32 v9, v8, v7 offset1:16
	ds_write2_b32 v9, v5, v6 offset0:32 offset1:48
	ds_write2_b32 v9, v4, v3 offset0:64 offset1:80
	ds_write_b32 v9, v2 offset:384
.LBB104_54:
	s_or_b64 exec, exec, s[0:1]
	v_or_b32_e32 v9, 0x70, v11
	s_movk_i32 s0, 0x78
	v_cmp_gt_u32_e64 s[0:1], s0, v9
	s_and_b64 s[0:1], vcc, s[0:1]
	s_and_b64 exec, exec, s[0:1]
; %bb.55:
	v_mov_b32_e32 v9, 0x100
	v_lshl_add_u32 v9, v11, 2, v9
	ds_write_b32 v9, v1 offset:448
.LBB104_56:
	s_or_b64 exec, exec, s[2:3]
	v_cmp_gt_u32_e64 s[0:1], 64, v0
	v_lshrrev_b32_e32 v0, 2, v0
	s_waitcnt lgkmcnt(0)
	s_barrier
	s_and_saveexec_b64 s[4:5], s[0:1]
	s_cbranch_execz .LBB104_74
; %bb.57:
	s_and_saveexec_b64 s[2:3], vcc
	s_cbranch_execz .LBB104_59
; %bb.58:
	v_mov_b32_e32 v9, 0x100
	v_lshl_add_u32 v9, v0, 2, v9
	ds_read_b32 v9, v9
	s_waitcnt lgkmcnt(0)
	v_add_f32_e32 v8, v8, v9
.LBB104_59:
	s_or_b64 exec, exec, s[2:3]
	v_or_b32_e32 v9, 16, v0
	s_movk_i32 s6, 0x78
	v_cmp_gt_u32_e64 s[2:3], s6, v9
	s_and_b64 s[12:13], vcc, s[2:3]
	s_and_saveexec_b64 s[2:3], s[12:13]
	s_cbranch_execz .LBB104_61
; %bb.60:
	v_mov_b32_e32 v9, 0x100
	v_lshl_add_u32 v9, v0, 2, v9
	ds_read_b32 v9, v9 offset:64
	s_waitcnt lgkmcnt(0)
	v_add_f32_e32 v7, v7, v9
.LBB104_61:
	s_or_b64 exec, exec, s[2:3]
	v_or_b32_e32 v9, 32, v0
	v_cmp_gt_u32_e64 s[2:3], s6, v9
	s_and_b64 s[6:7], vcc, s[2:3]
	s_and_saveexec_b64 s[2:3], s[6:7]
	s_cbranch_execz .LBB104_63
; %bb.62:
	v_mov_b32_e32 v9, 0x100
	v_lshl_add_u32 v9, v0, 2, v9
	ds_read_b32 v9, v9 offset:128
	s_waitcnt lgkmcnt(0)
	v_add_f32_e32 v5, v5, v9
.LBB104_63:
	s_or_b64 exec, exec, s[2:3]
	v_or_b32_e32 v9, 48, v0
	s_movk_i32 s6, 0x78
	v_cmp_gt_u32_e64 s[2:3], s6, v9
	s_and_b64 s[12:13], vcc, s[2:3]
	s_and_saveexec_b64 s[2:3], s[12:13]
	s_cbranch_execz .LBB104_65
; %bb.64:
	v_mov_b32_e32 v9, 0x100
	v_lshl_add_u32 v9, v0, 2, v9
	ds_read_b32 v9, v9 offset:192
	s_waitcnt lgkmcnt(0)
	v_add_f32_e32 v6, v6, v9
.LBB104_65:
	s_or_b64 exec, exec, s[2:3]
	v_or_b32_e32 v9, 64, v0
	v_cmp_gt_u32_e64 s[2:3], s6, v9
	s_and_b64 s[6:7], vcc, s[2:3]
	s_and_saveexec_b64 s[2:3], s[6:7]
	s_cbranch_execz .LBB104_67
; %bb.66:
	v_mov_b32_e32 v9, 0x100
	v_lshl_add_u32 v9, v0, 2, v9
	ds_read_b32 v9, v9 offset:256
	s_waitcnt lgkmcnt(0)
	v_add_f32_e32 v4, v4, v9
.LBB104_67:
	;; [unrolled: 27-line block ×3, first 2 shown]
	s_or_b64 exec, exec, s[2:3]
	v_or_b32_e32 v9, 0x70, v0
	s_movk_i32 s2, 0x78
	v_cmp_gt_u32_e64 s[2:3], s2, v9
	s_and_b64 s[6:7], vcc, s[2:3]
	s_and_saveexec_b64 s[2:3], s[6:7]
	s_cbranch_execz .LBB104_73
; %bb.72:
	v_mov_b32_e32 v9, 0x100
	v_lshl_add_u32 v9, v0, 2, v9
	ds_read_b32 v9, v9 offset:448
	s_waitcnt lgkmcnt(0)
	v_add_f32_e32 v1, v1, v9
.LBB104_73:
	s_or_b64 exec, exec, s[2:3]
.LBB104_74:
	s_or_b64 exec, exec, s[4:5]
	s_barrier
	s_and_saveexec_b64 s[2:3], s[0:1]
	s_cbranch_execz .LBB104_91
; %bb.75:
	s_mul_i32 s0, s10, s11
	s_mul_i32 s0, s0, s9
	s_mulk_i32 s0, 0x78
	s_ashr_i32 s1, s0, 31
	s_lshl_b64 s[0:1], s[0:1], 1
	s_add_u32 s2, s18, s0
	s_mul_i32 s0, s11, s16
	s_addc_u32 s3, s19, s1
	s_ashr_i32 s1, s0, 31
	s_lshl_b64 s[0:1], s[0:1], 1
	s_add_u32 s2, s2, s0
	s_mul_i32 s0, s8, 0x78
	s_addc_u32 s3, s3, s1
	s_ashr_i32 s1, s0, 31
	s_lshl_b64 s[0:1], s[0:1], 1
	s_add_u32 s2, s2, s0
	s_movk_i32 s4, 0x78
	s_addc_u32 s3, s3, s1
	v_lshlrev_b32_e32 v9, 1, v0
	s_and_saveexec_b64 s[0:1], vcc
	s_cbranch_execz .LBB104_77
; %bb.76:
	;;#ASMSTART
	v_cvt_f16_f32 v8, v8;

	;;#ASMEND
	global_store_short v9, v8, s[2:3]
.LBB104_77:
	s_or_b64 exec, exec, s[0:1]
	v_or_b32_e32 v8, 16, v0
	v_cmp_gt_u32_e64 s[0:1], s4, v8
	s_and_b64 s[4:5], vcc, s[0:1]
	s_and_saveexec_b64 s[0:1], s[4:5]
	s_cbranch_execz .LBB104_79
; %bb.78:
	;;#ASMSTART
	v_cvt_f16_f32 v7, v7;

	;;#ASMEND
	global_store_short v9, v7, s[2:3] offset:32
.LBB104_79:
	s_or_b64 exec, exec, s[0:1]
	v_or_b32_e32 v7, 32, v0
	s_movk_i32 s4, 0x78
	v_cmp_gt_u32_e64 s[0:1], s4, v7
	s_and_b64 s[6:7], vcc, s[0:1]
	s_and_saveexec_b64 s[0:1], s[6:7]
	s_cbranch_execz .LBB104_81
; %bb.80:
	;;#ASMSTART
	v_cvt_f16_f32 v5, v5;

	;;#ASMEND
	global_store_short v9, v5, s[2:3] offset:64
.LBB104_81:
	s_or_b64 exec, exec, s[0:1]
	v_or_b32_e32 v5, 48, v0
	v_cmp_gt_u32_e64 s[0:1], s4, v5
	s_and_b64 s[4:5], vcc, s[0:1]
	s_and_saveexec_b64 s[0:1], s[4:5]
	s_cbranch_execz .LBB104_83
; %bb.82:
	;;#ASMSTART
	v_cvt_f16_f32 v5, v6;

	;;#ASMEND
	global_store_short v9, v5, s[2:3] offset:96
.LBB104_83:
	s_or_b64 exec, exec, s[0:1]
	v_or_b32_e32 v5, 64, v0
	s_movk_i32 s4, 0x78
	v_cmp_gt_u32_e64 s[0:1], s4, v5
	s_and_b64 s[6:7], vcc, s[0:1]
	s_and_saveexec_b64 s[0:1], s[6:7]
	s_cbranch_execz .LBB104_85
; %bb.84:
	;;#ASMSTART
	v_cvt_f16_f32 v4, v4;

	;;#ASMEND
	global_store_short v9, v4, s[2:3] offset:128
.LBB104_85:
	;; [unrolled: 27-line block ×3, first 2 shown]
	s_or_b64 exec, exec, s[0:1]
	v_or_b32_e32 v0, 0x70, v0
	v_cmp_gt_u32_e64 s[0:1], s4, v0
	s_and_b64 s[0:1], vcc, s[0:1]
	s_and_b64 exec, exec, s[0:1]
	s_cbranch_execz .LBB104_91
; %bb.90:
	;;#ASMSTART
	v_cvt_f16_f32 v0, v1;

	;;#ASMEND
	global_store_short v9, v0, s[2:3] offset:224
.LBB104_91:
	s_endpgm
	.section	.rodata,"a",@progbits
	.p2align	6, 0x0
	.amdhsa_kernel _ZN4vllm25paged_attention_v1_kernelIttLi120ELi32ELi128ELNS_18Fp8KVCacheDataTypeE0ELb0EEEvPT_PKS2_PKT0_S8_ifPKiSA_iPKfiiiSC_SC_iiiii
		.amdhsa_group_segment_fixed_size 256
		.amdhsa_private_segment_fixed_size 0
		.amdhsa_kernarg_size 384
		.amdhsa_user_sgpr_count 6
		.amdhsa_user_sgpr_private_segment_buffer 1
		.amdhsa_user_sgpr_dispatch_ptr 0
		.amdhsa_user_sgpr_queue_ptr 0
		.amdhsa_user_sgpr_kernarg_segment_ptr 1
		.amdhsa_user_sgpr_dispatch_id 0
		.amdhsa_user_sgpr_flat_scratch_init 0
		.amdhsa_user_sgpr_private_segment_size 0
		.amdhsa_uses_dynamic_stack 0
		.amdhsa_system_sgpr_private_segment_wavefront_offset 0
		.amdhsa_system_sgpr_workgroup_id_x 1
		.amdhsa_system_sgpr_workgroup_id_y 1
		.amdhsa_system_sgpr_workgroup_id_z 1
		.amdhsa_system_sgpr_workgroup_info 0
		.amdhsa_system_vgpr_workitem_id 0
		.amdhsa_next_free_vgpr 57
		.amdhsa_next_free_sgpr 35
		.amdhsa_reserve_vcc 1
		.amdhsa_reserve_flat_scratch 0
		.amdhsa_float_round_mode_32 0
		.amdhsa_float_round_mode_16_64 0
		.amdhsa_float_denorm_mode_32 3
		.amdhsa_float_denorm_mode_16_64 3
		.amdhsa_dx10_clamp 1
		.amdhsa_ieee_mode 1
		.amdhsa_fp16_overflow 0
		.amdhsa_exception_fp_ieee_invalid_op 0
		.amdhsa_exception_fp_denorm_src 0
		.amdhsa_exception_fp_ieee_div_zero 0
		.amdhsa_exception_fp_ieee_overflow 0
		.amdhsa_exception_fp_ieee_underflow 0
		.amdhsa_exception_fp_ieee_inexact 0
		.amdhsa_exception_int_div_zero 0
	.end_amdhsa_kernel
	.section	.text._ZN4vllm25paged_attention_v1_kernelIttLi120ELi32ELi128ELNS_18Fp8KVCacheDataTypeE0ELb0EEEvPT_PKS2_PKT0_S8_ifPKiSA_iPKfiiiSC_SC_iiiii,"axG",@progbits,_ZN4vllm25paged_attention_v1_kernelIttLi120ELi32ELi128ELNS_18Fp8KVCacheDataTypeE0ELb0EEEvPT_PKS2_PKT0_S8_ifPKiSA_iPKfiiiSC_SC_iiiii,comdat
.Lfunc_end104:
	.size	_ZN4vllm25paged_attention_v1_kernelIttLi120ELi32ELi128ELNS_18Fp8KVCacheDataTypeE0ELb0EEEvPT_PKS2_PKT0_S8_ifPKiSA_iPKfiiiSC_SC_iiiii, .Lfunc_end104-_ZN4vllm25paged_attention_v1_kernelIttLi120ELi32ELi128ELNS_18Fp8KVCacheDataTypeE0ELb0EEEvPT_PKS2_PKT0_S8_ifPKiSA_iPKfiiiSC_SC_iiiii
                                        ; -- End function
	.set _ZN4vllm25paged_attention_v1_kernelIttLi120ELi32ELi128ELNS_18Fp8KVCacheDataTypeE0ELb0EEEvPT_PKS2_PKT0_S8_ifPKiSA_iPKfiiiSC_SC_iiiii.num_vgpr, 57
	.set _ZN4vllm25paged_attention_v1_kernelIttLi120ELi32ELi128ELNS_18Fp8KVCacheDataTypeE0ELb0EEEvPT_PKS2_PKT0_S8_ifPKiSA_iPKfiiiSC_SC_iiiii.num_agpr, 0
	.set _ZN4vllm25paged_attention_v1_kernelIttLi120ELi32ELi128ELNS_18Fp8KVCacheDataTypeE0ELb0EEEvPT_PKS2_PKT0_S8_ifPKiSA_iPKfiiiSC_SC_iiiii.numbered_sgpr, 35
	.set _ZN4vllm25paged_attention_v1_kernelIttLi120ELi32ELi128ELNS_18Fp8KVCacheDataTypeE0ELb0EEEvPT_PKS2_PKT0_S8_ifPKiSA_iPKfiiiSC_SC_iiiii.num_named_barrier, 0
	.set _ZN4vllm25paged_attention_v1_kernelIttLi120ELi32ELi128ELNS_18Fp8KVCacheDataTypeE0ELb0EEEvPT_PKS2_PKT0_S8_ifPKiSA_iPKfiiiSC_SC_iiiii.private_seg_size, 0
	.set _ZN4vllm25paged_attention_v1_kernelIttLi120ELi32ELi128ELNS_18Fp8KVCacheDataTypeE0ELb0EEEvPT_PKS2_PKT0_S8_ifPKiSA_iPKfiiiSC_SC_iiiii.uses_vcc, 1
	.set _ZN4vllm25paged_attention_v1_kernelIttLi120ELi32ELi128ELNS_18Fp8KVCacheDataTypeE0ELb0EEEvPT_PKS2_PKT0_S8_ifPKiSA_iPKfiiiSC_SC_iiiii.uses_flat_scratch, 0
	.set _ZN4vllm25paged_attention_v1_kernelIttLi120ELi32ELi128ELNS_18Fp8KVCacheDataTypeE0ELb0EEEvPT_PKS2_PKT0_S8_ifPKiSA_iPKfiiiSC_SC_iiiii.has_dyn_sized_stack, 0
	.set _ZN4vllm25paged_attention_v1_kernelIttLi120ELi32ELi128ELNS_18Fp8KVCacheDataTypeE0ELb0EEEvPT_PKS2_PKT0_S8_ifPKiSA_iPKfiiiSC_SC_iiiii.has_recursion, 0
	.set _ZN4vllm25paged_attention_v1_kernelIttLi120ELi32ELi128ELNS_18Fp8KVCacheDataTypeE0ELb0EEEvPT_PKS2_PKT0_S8_ifPKiSA_iPKfiiiSC_SC_iiiii.has_indirect_call, 0
	.section	.AMDGPU.csdata,"",@progbits
; Kernel info:
; codeLenInByte = 8228
; TotalNumSgprs: 39
; NumVgprs: 57
; ScratchSize: 0
; MemoryBound: 0
; FloatMode: 240
; IeeeMode: 1
; LDSByteSize: 256 bytes/workgroup (compile time only)
; SGPRBlocks: 4
; VGPRBlocks: 14
; NumSGPRsForWavesPerEU: 39
; NumVGPRsForWavesPerEU: 57
; Occupancy: 4
; WaveLimiterHint : 1
; COMPUTE_PGM_RSRC2:SCRATCH_EN: 0
; COMPUTE_PGM_RSRC2:USER_SGPR: 6
; COMPUTE_PGM_RSRC2:TRAP_HANDLER: 0
; COMPUTE_PGM_RSRC2:TGID_X_EN: 1
; COMPUTE_PGM_RSRC2:TGID_Y_EN: 1
; COMPUTE_PGM_RSRC2:TGID_Z_EN: 1
; COMPUTE_PGM_RSRC2:TIDIG_COMP_CNT: 0
	.section	.text._ZN4vllm25paged_attention_v1_kernelIttLi128ELi32ELi128ELNS_18Fp8KVCacheDataTypeE0ELb0EEEvPT_PKS2_PKT0_S8_ifPKiSA_iPKfiiiSC_SC_iiiii,"axG",@progbits,_ZN4vllm25paged_attention_v1_kernelIttLi128ELi32ELi128ELNS_18Fp8KVCacheDataTypeE0ELb0EEEvPT_PKS2_PKT0_S8_ifPKiSA_iPKfiiiSC_SC_iiiii,comdat
	.protected	_ZN4vllm25paged_attention_v1_kernelIttLi128ELi32ELi128ELNS_18Fp8KVCacheDataTypeE0ELb0EEEvPT_PKS2_PKT0_S8_ifPKiSA_iPKfiiiSC_SC_iiiii ; -- Begin function _ZN4vllm25paged_attention_v1_kernelIttLi128ELi32ELi128ELNS_18Fp8KVCacheDataTypeE0ELb0EEEvPT_PKS2_PKT0_S8_ifPKiSA_iPKfiiiSC_SC_iiiii
	.globl	_ZN4vllm25paged_attention_v1_kernelIttLi128ELi32ELi128ELNS_18Fp8KVCacheDataTypeE0ELb0EEEvPT_PKS2_PKT0_S8_ifPKiSA_iPKfiiiSC_SC_iiiii
	.p2align	8
	.type	_ZN4vllm25paged_attention_v1_kernelIttLi128ELi32ELi128ELNS_18Fp8KVCacheDataTypeE0ELb0EEEvPT_PKS2_PKT0_S8_ifPKiSA_iPKfiiiSC_SC_iiiii,@function
_ZN4vllm25paged_attention_v1_kernelIttLi128ELi32ELi128ELNS_18Fp8KVCacheDataTypeE0ELb0EEEvPT_PKS2_PKT0_S8_ifPKiSA_iPKfiiiSC_SC_iiiii: ; @_ZN4vllm25paged_attention_v1_kernelIttLi128ELi32ELi128ELNS_18Fp8KVCacheDataTypeE0ELb0EEEvPT_PKS2_PKT0_S8_ifPKiSA_iPKfiiiSC_SC_iiiii
; %bb.0:
	s_load_dword s9, s[4:5], 0x80
	s_load_dwordx2 s[0:1], s[4:5], 0x30
	s_load_dwordx2 s[26:27], s[4:5], 0x20
	s_mov_b32 s10, s7
	s_ashr_i32 s11, s7, 31
	s_lshl_b64 s[2:3], s[10:11], 2
	s_waitcnt lgkmcnt(0)
	s_add_u32 s0, s0, s2
	s_addc_u32 s1, s1, s3
	s_abs_i32 s2, s26
	v_cvt_f32_u32_e32 v1, s2
	s_sub_i32 s11, 0, s2
	s_abs_i32 s7, s9
	s_xor_b32 s3, s9, s26
	v_rcp_iflag_f32_e32 v1, v1
	s_ashr_i32 s3, s3, 31
	s_mov_b32 s26, 0
	v_mul_f32_e32 v1, 0x4f7ffffe, v1
	v_cvt_u32_f32_e32 v1, v1
	v_readfirstlane_b32 s12, v1
	s_mul_i32 s11, s11, s12
	s_mul_hi_u32 s11, s12, s11
	s_add_i32 s12, s12, s11
	s_mul_hi_u32 s11, s7, s12
	s_mul_i32 s12, s11, s2
	s_sub_i32 s7, s7, s12
	s_add_i32 s12, s11, 1
	s_sub_i32 s13, s7, s2
	s_cmp_ge_u32 s7, s2
	s_cselect_b32 s11, s12, s11
	s_cselect_b32 s7, s13, s7
	s_add_i32 s12, s11, 1
	s_cmp_ge_u32 s7, s2
	s_cselect_b32 s2, s12, s11
	s_xor_b32 s2, s2, s3
	s_sub_i32 s12, s2, s3
	s_abs_i32 s11, s12
	v_cvt_f32_u32_e32 v1, s11
	s_load_dwordx2 s[2:3], s[4:5], 0x40
	s_sub_i32 s7, 0, s11
	s_abs_i32 s18, s6
	v_rcp_iflag_f32_e32 v1, v1
	v_mul_f32_e32 v1, 0x4f7ffffe, v1
	v_cvt_u32_f32_e32 v1, v1
	v_readfirstlane_b32 s13, v1
	s_mul_i32 s7, s7, s13
	s_mul_hi_u32 s7, s13, s7
	s_add_i32 s13, s13, s7
	s_waitcnt lgkmcnt(0)
	s_cmp_eq_u64 s[2:3], 0
	s_mul_hi_u32 s19, s18, s13
	s_cbranch_scc1 .LBB105_2
; %bb.1:
	s_ashr_i32 s7, s6, 31
	s_lshl_b64 s[14:15], s[6:7], 2
	s_add_u32 s2, s2, s14
	s_addc_u32 s3, s3, s15
	s_load_dword s26, s[2:3], 0x0
.LBB105_2:
	s_load_dword s33, s[0:1], 0x0
	s_ashr_i32 s3, s12, 31
	s_load_dwordx4 s[12:15], s[4:5], 0x48
	s_ashr_i32 s2, s6, 31
	v_and_b32_e32 v1, 1, v0
	s_lshl_b32 s16, s6, 7
	v_cmp_gt_u32_e32 vcc, 32, v0
	v_lshlrev_b32_e32 v34, 3, v0
	s_and_saveexec_b64 s[0:1], vcc
	s_cbranch_execz .LBB105_4
; %bb.3:
	s_load_dwordx2 s[6:7], s[4:5], 0x8
	s_waitcnt lgkmcnt(0)
	s_mul_i32 s20, s12, s10
	s_ashr_i32 s21, s20, 31
	s_lshl_b64 s[20:21], s[20:21], 1
	v_lshlrev_b32_e32 v4, 2, v0
	s_add_u32 s12, s6, s20
	s_addc_u32 s15, s7, s21
	s_ashr_i32 s17, s16, 31
	s_lshl_b64 s[6:7], s[16:17], 1
	s_add_u32 s6, s12, s6
	s_addc_u32 s7, s15, s7
	global_load_dwordx2 v[2:3], v34, s[6:7]
	v_and_b32_e32 v4, 0xff8, v4
	v_lshl_add_u32 v4, v1, 7, v4
	s_waitcnt vmcnt(0)
	ds_write_b64 v4, v[2:3]
.LBB105_4:
	s_or_b64 exec, exec, s[0:1]
	s_waitcnt lgkmcnt(0)
	s_add_i32 s1, s33, 31
	s_ashr_i32 s6, s1, 31
	s_lshr_b32 s6, s6, 27
	s_add_i32 s1, s1, s6
	s_ashr_i32 s12, s1, 5
	s_xor_b32 s1, s2, s3
	s_mul_i32 s2, s19, s11
	s_sub_i32 s2, s18, s2
	s_add_i32 s3, s19, 1
	s_sub_i32 s6, s2, s11
	s_load_dwordx2 s[20:21], s[4:5], 0x28
	s_load_dword s0, s[4:5], 0x38
	s_cmp_ge_u32 s2, s11
	s_cselect_b32 s3, s3, s19
	s_cselect_b32 s2, s6, s2
	s_add_i32 s6, s3, 1
	s_cmp_ge_u32 s2, s11
	s_cselect_b32 s2, s6, s3
	v_lshrrev_b32_e32 v33, 6, v0
	s_xor_b32 s2, s2, s1
	s_waitcnt lgkmcnt(0)
	s_mul_i32 s22, s0, s10
	s_sub_i32 s15, s2, s1
	s_ashr_i32 s23, s22, 31
	v_cmp_gt_i32_e64 s[0:1], s12, v33
	v_cmp_le_i32_e32 vcc, s12, v33
	v_mbcnt_lo_u32_b32 v3, -1, 0
	s_barrier
                                        ; implicit-def: $vgpr36
                                        ; implicit-def: $vgpr37
                                        ; implicit-def: $vgpr38
	s_and_saveexec_b64 s[2:3], vcc
	s_xor_b64 s[2:3], exec, s[2:3]
; %bb.5:
	v_mbcnt_hi_u32_b32 v36, -1, v3
	v_and_b32_e32 v37, 64, v36
	v_add_u32_e32 v38, 64, v37
                                        ; implicit-def: $vgpr1
                                        ; implicit-def: $vgpr3
; %bb.6:
	s_or_saveexec_b64 s[6:7], s[2:3]
	s_load_dwordx2 s[18:19], s[4:5], 0x0
	s_load_dwordx2 s[24:25], s[4:5], 0x18
	s_load_dword s11, s[4:5], 0x88
	v_mov_b32_e32 v39, 0xff7fffff
	s_mul_i32 s14, s15, s14
	v_lshrrev_b32_e32 v35, 4, v0
	s_xor_b64 exec, exec, s[6:7]
	s_cbranch_execz .LBB105_12
; %bb.7:
	s_load_dwordx2 s[2:3], s[4:5], 0x10
	s_ashr_i32 s15, s14, 31
	s_lshl_b64 s[4:5], s[14:15], 1
	v_bfe_u32 v2, v0, 1, 5
	v_lshlrev_b32_e32 v4, 4, v2
	s_waitcnt lgkmcnt(0)
	s_add_u32 s2, s2, s4
	s_addc_u32 s3, s3, s5
	v_mov_b32_e32 v5, s3
	v_add_co_u32_e32 v4, vcc, s2, v4
	v_addc_co_u32_e32 v5, vcc, 0, v5, vcc
	v_and_b32_e32 v6, 8, v34
	v_add_co_u32_e32 v40, vcc, v4, v6
	v_addc_co_u32_e32 v41, vcc, 0, v5, vcc
	v_lshlrev_b32_e32 v42, 7, v1
	v_cmp_eq_u32_e32 vcc, 0, v1
	s_sub_i32 s15, 1, s33
	v_lshlrev_b32_e32 v1, 2, v2
	s_lshl_b64 s[4:5], s[22:23], 2
	v_lshl_or_b32 v1, v33, 7, v1
	s_add_u32 s4, s20, s4
	v_add_u32_e32 v44, 0x110, v1
	v_and_b32_e32 v1, 60, v35
	s_addc_u32 s5, s21, s5
	v_mbcnt_hi_u32_b32 v36, -1, v3
	v_lshl_or_b32 v43, v33, 5, v2
	v_mov_b32_e32 v2, s5
	v_add_co_u32_e64 v1, s[4:5], s4, v1
	v_and_b32_e32 v37, 64, v36
	s_mov_b32 s17, s13
	v_cmp_neq_f32_e64 s[2:3], s26, 0
	v_addc_co_u32_e64 v2, s[4:5], 0, v2, s[4:5]
	v_mov_b32_e32 v39, 0xff7fffff
	s_mov_b64 s[28:29], 0
	s_movk_i32 s34, 0x1000
	v_xor_b32_e32 v45, 1, v36
	v_add_u32_e32 v38, 64, v37
	v_mov_b32_e32 v46, v33
	s_branch .LBB105_9
.LBB105_8:                              ;   in Loop: Header=BB105_9 Depth=1
	s_or_b64 exec, exec, s[30:31]
	v_add_u32_e32 v46, 2, v46
	v_cmp_le_i32_e64 s[4:5], s12, v46
	s_or_b64 s[28:29], s[4:5], s[28:29]
	v_add_co_u32_e64 v1, s[4:5], 8, v1
	v_add_u32_e32 v43, 64, v43
	v_add_u32_e32 v44, 0x100, v44
	v_addc_co_u32_e64 v2, s[4:5], 0, v2, s[4:5]
	s_andn2_b64 exec, exec, s[28:29]
	s_cbranch_execz .LBB105_11
.LBB105_9:                              ; =>This Inner Loop Header: Depth=1
	global_load_dword v3, v[1:2], off
	s_waitcnt vmcnt(0) lgkmcnt(0)
	v_mad_i64_i32 v[3:4], s[4:5], v3, s17, 0
	v_lshlrev_b64 v[3:4], 1, v[3:4]
	v_add_co_u32_e64 v3, s[4:5], v40, v3
	v_addc_co_u32_e64 v4, s[4:5], v41, v4, s[4:5]
	global_load_dwordx2 v[5:6], v[3:4], off
	global_load_dwordx2 v[31:32], v[3:4], off offset:512
	global_load_dwordx2 v[29:30], v[3:4], off offset:1024
	;; [unrolled: 1-line block ×3, first 2 shown]
	v_add_co_u32_e64 v47, s[4:5], s34, v3
	ds_read_b64 v[7:8], v42
	v_addc_co_u32_e64 v48, s[4:5], 0, v4, s[4:5]
	global_load_dwordx2 v[25:26], v[3:4], off offset:2048
	global_load_dwordx2 v[23:24], v[3:4], off offset:2560
	global_load_dwordx2 v[21:22], v[3:4], off offset:3072
	global_load_dwordx2 v[19:20], v[3:4], off offset:3584
	global_load_dwordx2 v[17:18], v[47:48], off
	global_load_dwordx2 v[15:16], v[47:48], off offset:512
	v_cmp_lt_i32_e64 s[4:5], v45, v38
	s_waitcnt lgkmcnt(0)
	v_lshrrev_b32_e32 v50, 16, v7
	v_and_b32_e32 v49, 0xffff, v7
	v_lshrrev_b32_e32 v54, 16, v8
	v_and_b32_e32 v53, 0xffff, v8
	s_waitcnt vmcnt(9)
	v_lshrrev_b32_e32 v52, 16, v5
	v_and_b32_e32 v51, 0xffff, v5
	v_lshrrev_b32_e32 v56, 16, v6
	v_and_b32_e32 v55, 0xffff, v6
	global_load_dwordx2 v[13:14], v[47:48], off offset:1024
	global_load_dwordx2 v[11:12], v[47:48], off offset:1536
	;; [unrolled: 1-line block ×6, first 2 shown]
	;;#ASMSTART
	v_cvt_f32_f16 v49, v49;
	;;#ASMEND
	;;#ASMSTART
	v_cvt_f32_f16 v50, v50;
	;;#ASMEND
	;; [unrolled: 3-line block ×8, first 2 shown]
	ds_read_b64 v[47:48], v42 offset:8
	s_waitcnt lgkmcnt(0)
	v_and_b32_e32 v57, 0xffff, v47
	v_lshrrev_b32_e32 v47, 16, v47
	;;#ASMSTART
	v_cvt_f32_f16 v57, v57;
	;;#ASMEND
	;;#ASMSTART
	v_cvt_f32_f16 v58, v47;
	;;#ASMEND
	s_waitcnt vmcnt(14)
	v_and_b32_e32 v47, 0xffff, v31
	v_lshrrev_b32_e32 v31, 16, v31
	;;#ASMSTART
	v_cvt_f32_f16 v47, v47;
	;;#ASMEND
	;;#ASMSTART
	v_cvt_f32_f16 v31, v31;
	;;#ASMEND
	v_mul_f32_e32 v47, v57, v47
	v_mul_f32_e32 v31, v58, v31
	v_fmac_f32_e32 v47, v49, v51
	v_fmac_f32_e32 v31, v50, v52
	v_lshrrev_b32_e32 v49, 16, v48
	v_and_b32_e32 v48, 0xffff, v48
	v_and_b32_e32 v50, 0xffff, v32
	v_lshrrev_b32_e32 v32, 16, v32
	;;#ASMSTART
	v_cvt_f32_f16 v48, v48;
	;;#ASMEND
	;;#ASMSTART
	v_cvt_f32_f16 v49, v49;
	;;#ASMEND
	;; [unrolled: 3-line block ×4, first 2 shown]
	v_mul_f32_e32 v48, v48, v50
	v_mul_f32_e32 v32, v49, v32
	ds_read_b64 v[49:50], v42 offset:16
	s_waitcnt vmcnt(13)
	v_and_b32_e32 v52, 0xffff, v29
	v_lshrrev_b32_e32 v29, 16, v29
	v_fmac_f32_e32 v48, v53, v55
	v_fmac_f32_e32 v32, v54, v56
	s_waitcnt lgkmcnt(0)
	v_and_b32_e32 v51, 0xffff, v49
	v_lshrrev_b32_e32 v49, 16, v49
	;;#ASMSTART
	v_cvt_f32_f16 v51, v51;
	;;#ASMEND
	;;#ASMSTART
	v_cvt_f32_f16 v49, v49;
	;;#ASMEND
	;;#ASMSTART
	v_cvt_f32_f16 v52, v52;
	;;#ASMEND
	;;#ASMSTART
	v_cvt_f32_f16 v29, v29;
	;;#ASMEND
	v_fmac_f32_e32 v31, v49, v29
	v_and_b32_e32 v29, 0xffff, v50
	v_lshrrev_b32_e32 v49, 16, v50
	;;#ASMSTART
	v_cvt_f32_f16 v29, v29;
	;;#ASMEND
	v_and_b32_e32 v50, 0xffff, v30
	;;#ASMSTART
	v_cvt_f32_f16 v49, v49;
	;;#ASMEND
	;;#ASMSTART
	v_cvt_f32_f16 v50, v50;
	;;#ASMEND
	v_fmac_f32_e32 v48, v29, v50
	v_lshrrev_b32_e32 v29, 16, v30
	;;#ASMSTART
	v_cvt_f32_f16 v29, v29;
	;;#ASMEND
	v_fmac_f32_e32 v32, v49, v29
	ds_read_b64 v[29:30], v42 offset:24
	s_waitcnt vmcnt(12)
	v_and_b32_e32 v50, 0xffff, v27
	v_lshrrev_b32_e32 v27, 16, v27
	v_fmac_f32_e32 v47, v51, v52
	s_waitcnt lgkmcnt(0)
	v_and_b32_e32 v49, 0xffff, v29
	v_lshrrev_b32_e32 v29, 16, v29
	;;#ASMSTART
	v_cvt_f32_f16 v49, v49;
	;;#ASMEND
	;;#ASMSTART
	v_cvt_f32_f16 v29, v29;
	;;#ASMEND
	;;#ASMSTART
	v_cvt_f32_f16 v50, v50;
	;;#ASMEND
	;;#ASMSTART
	v_cvt_f32_f16 v27, v27;
	;;#ASMEND
	v_fmac_f32_e32 v31, v29, v27
	v_and_b32_e32 v27, 0xffff, v30
	v_lshrrev_b32_e32 v29, 16, v30
	;;#ASMSTART
	v_cvt_f32_f16 v27, v27;
	;;#ASMEND
	v_and_b32_e32 v30, 0xffff, v28
	;;#ASMSTART
	v_cvt_f32_f16 v29, v29;
	;;#ASMEND
	;;#ASMSTART
	v_cvt_f32_f16 v30, v30;
	;;#ASMEND
	v_fmac_f32_e32 v48, v27, v30
	v_lshrrev_b32_e32 v27, 16, v28
	;;#ASMSTART
	v_cvt_f32_f16 v27, v27;
	;;#ASMEND
	v_fmac_f32_e32 v32, v29, v27
	ds_read_b64 v[27:28], v42 offset:32
	s_waitcnt vmcnt(11)
	v_and_b32_e32 v30, 0xffff, v25
	v_lshrrev_b32_e32 v25, 16, v25
	;; [unrolled: 39-line block ×3, first 2 shown]
	v_fmac_f32_e32 v47, v29, v30
	s_waitcnt vmcnt(8)
	v_and_b32_e32 v29, 0xffff, v20
	s_waitcnt lgkmcnt(0)
	v_and_b32_e32 v27, 0xffff, v25
	v_lshrrev_b32_e32 v25, 16, v25
	;;#ASMSTART
	v_cvt_f32_f16 v27, v27;
	;;#ASMEND
	;;#ASMSTART
	v_cvt_f32_f16 v25, v25;
	;;#ASMEND
	;; [unrolled: 3-line block ×4, first 2 shown]
	v_fmac_f32_e32 v47, v27, v28
	v_fmac_f32_e32 v31, v25, v23
	v_and_b32_e32 v27, 0xffff, v24
	v_lshrrev_b32_e32 v28, 16, v24
	v_lshrrev_b32_e32 v24, 16, v26
	v_and_b32_e32 v23, 0xffff, v26
	;;#ASMSTART
	v_cvt_f32_f16 v23, v23;
	;;#ASMEND
	;;#ASMSTART
	v_cvt_f32_f16 v25, v24;
	;;#ASMEND
	;; [unrolled: 3-line block ×4, first 2 shown]
	v_fmac_f32_e32 v48, v23, v24
	ds_read_b64 v[23:24], v42 offset:48
	v_and_b32_e32 v27, 0xffff, v21
	v_fmac_f32_e32 v32, v25, v26
	v_lshrrev_b32_e32 v21, 16, v21
	v_lshrrev_b32_e32 v28, 16, v19
	s_waitcnt lgkmcnt(0)
	v_and_b32_e32 v25, 0xffff, v23
	v_lshrrev_b32_e32 v26, 16, v23
	;;#ASMSTART
	v_cvt_f32_f16 v23, v25;
	;;#ASMEND
	;;#ASMSTART
	v_cvt_f32_f16 v25, v26;
	;;#ASMEND
	;; [unrolled: 3-line block ×4, first 2 shown]
	v_and_b32_e32 v27, 0xffff, v19
	v_fmac_f32_e32 v31, v25, v21
	v_lshrrev_b32_e32 v21, 16, v24
	v_and_b32_e32 v19, 0xffff, v24
	v_fmac_f32_e32 v47, v23, v26
	v_and_b32_e32 v26, 0xffff, v22
	v_lshrrev_b32_e32 v22, 16, v22
	;;#ASMSTART
	v_cvt_f32_f16 v19, v19;
	;;#ASMEND
	;;#ASMSTART
	v_cvt_f32_f16 v23, v21;
	;;#ASMEND
	;;#ASMSTART
	v_cvt_f32_f16 v21, v26;
	;;#ASMEND
	;;#ASMSTART
	v_cvt_f32_f16 v25, v22;
	;;#ASMEND
	v_fmac_f32_e32 v48, v19, v21
	ds_read_b64 v[21:22], v42 offset:56
	v_lshrrev_b32_e32 v30, 16, v20
	s_waitcnt vmcnt(7)
	v_and_b32_e32 v24, 0xffff, v17
	v_fmac_f32_e32 v32, v23, v25
	v_lshrrev_b32_e32 v25, 16, v17
	s_waitcnt lgkmcnt(0)
	v_and_b32_e32 v19, 0xffff, v21
	v_lshrrev_b32_e32 v20, 16, v21
	;;#ASMSTART
	v_cvt_f32_f16 v19, v19;
	;;#ASMEND
	;;#ASMSTART
	v_cvt_f32_f16 v20, v20;
	;;#ASMEND
	;; [unrolled: 3-line block ×3, first 2 shown]
	v_fmac_f32_e32 v47, v19, v21
	v_lshrrev_b32_e32 v21, 16, v22
	v_and_b32_e32 v17, 0xffff, v22
	;;#ASMSTART
	v_cvt_f32_f16 v19, v28;
	;;#ASMEND
	;;#ASMSTART
	v_cvt_f32_f16 v17, v17;
	;;#ASMEND
	;; [unrolled: 3-line block ×5, first 2 shown]
	v_fmac_f32_e32 v31, v20, v19
	ds_read_b64 v[19:20], v42 offset:64
	v_and_b32_e32 v26, 0xffff, v18
	v_lshrrev_b32_e32 v18, 16, v18
	v_fmac_f32_e32 v48, v17, v22
	v_fmac_f32_e32 v32, v21, v23
	s_waitcnt lgkmcnt(0)
	v_and_b32_e32 v17, 0xffff, v19
	v_lshrrev_b32_e32 v21, 16, v19
	v_and_b32_e32 v23, 0xffff, v20
	v_lshrrev_b32_e32 v28, 16, v20
	;;#ASMSTART
	v_cvt_f32_f16 v19, v17;
	;;#ASMEND
	;;#ASMSTART
	v_cvt_f32_f16 v20, v21;
	;;#ASMEND
	;; [unrolled: 3-line block ×8, first 2 shown]
	ds_read_b64 v[17:18], v42 offset:72
	s_waitcnt vmcnt(6)
	v_and_b32_e32 v27, 0xffff, v15
	v_fmac_f32_e32 v47, v19, v21
	v_fmac_f32_e32 v31, v20, v22
	v_lshrrev_b32_e32 v15, 16, v15
	s_waitcnt lgkmcnt(0)
	v_and_b32_e32 v19, 0xffff, v17
	v_lshrrev_b32_e32 v20, 16, v17
	;;#ASMSTART
	v_cvt_f32_f16 v17, v19;
	;;#ASMEND
	;;#ASMSTART
	v_cvt_f32_f16 v19, v20;
	;;#ASMEND
	;;#ASMSTART
	v_cvt_f32_f16 v20, v27;
	;;#ASMEND
	;;#ASMSTART
	v_cvt_f32_f16 v21, v15;
	;;#ASMEND
	v_lshrrev_b32_e32 v15, 16, v18
	v_and_b32_e32 v18, 0xffff, v18
	;;#ASMSTART
	v_cvt_f32_f16 v18, v18;
	;;#ASMEND
	;;#ASMSTART
	v_cvt_f32_f16 v22, v15;
	;;#ASMEND
	v_and_b32_e32 v15, 0xffff, v16
	v_fmac_f32_e32 v48, v23, v25
	;;#ASMSTART
	v_cvt_f32_f16 v23, v15;
	;;#ASMEND
	v_lshrrev_b32_e32 v15, 16, v16
	v_fmac_f32_e32 v32, v24, v26
	;;#ASMSTART
	v_cvt_f32_f16 v24, v15;
	;;#ASMEND
	ds_read_b64 v[15:16], v42 offset:80
	v_fmac_f32_e32 v47, v17, v20
	v_fmac_f32_e32 v48, v18, v23
	s_waitcnt vmcnt(5)
	v_and_b32_e32 v18, 0xffff, v13
	v_lshrrev_b32_e32 v13, 16, v13
	s_waitcnt lgkmcnt(0)
	v_and_b32_e32 v17, 0xffff, v15
	v_lshrrev_b32_e32 v15, 16, v15
	v_fmac_f32_e32 v31, v19, v21
	;;#ASMSTART
	v_cvt_f32_f16 v17, v17;
	;;#ASMEND
	;;#ASMSTART
	v_cvt_f32_f16 v15, v15;
	;;#ASMEND
	;;#ASMSTART
	v_cvt_f32_f16 v18, v18;
	;;#ASMEND
	;;#ASMSTART
	v_cvt_f32_f16 v19, v13;
	;;#ASMEND
	v_lshrrev_b32_e32 v13, 16, v16
	v_and_b32_e32 v16, 0xffff, v16
	;;#ASMSTART
	v_cvt_f32_f16 v16, v16;
	;;#ASMEND
	;;#ASMSTART
	v_cvt_f32_f16 v20, v13;
	;;#ASMEND
	v_and_b32_e32 v13, 0xffff, v14
	;;#ASMSTART
	v_cvt_f32_f16 v21, v13;
	;;#ASMEND
	v_lshrrev_b32_e32 v13, 16, v14
	v_fmac_f32_e32 v32, v22, v24
	;;#ASMSTART
	v_cvt_f32_f16 v22, v13;
	;;#ASMEND
	ds_read_b64 v[13:14], v42 offset:88
	v_fmac_f32_e32 v31, v15, v19
	v_fmac_f32_e32 v48, v16, v21
	s_waitcnt vmcnt(4)
	v_and_b32_e32 v16, 0xffff, v11
	v_lshrrev_b32_e32 v11, 16, v11
	s_waitcnt lgkmcnt(0)
	v_and_b32_e32 v15, 0xffff, v13
	v_lshrrev_b32_e32 v13, 16, v13
	v_fmac_f32_e32 v47, v17, v18
	;;#ASMSTART
	v_cvt_f32_f16 v15, v15;
	;;#ASMEND
	;;#ASMSTART
	v_cvt_f32_f16 v13, v13;
	;;#ASMEND
	;;#ASMSTART
	v_cvt_f32_f16 v16, v16;
	;;#ASMEND
	;;#ASMSTART
	v_cvt_f32_f16 v17, v11;
	;;#ASMEND
	v_lshrrev_b32_e32 v11, 16, v14
	v_and_b32_e32 v14, 0xffff, v14
	;;#ASMSTART
	v_cvt_f32_f16 v14, v14;
	;;#ASMEND
	;;#ASMSTART
	v_cvt_f32_f16 v18, v11;
	;;#ASMEND
	v_and_b32_e32 v11, 0xffff, v12
	;; [unrolled: 39-line block ×3, first 2 shown]
	;;#ASMSTART
	v_cvt_f32_f16 v17, v9;
	;;#ASMEND
	v_lshrrev_b32_e32 v9, 16, v10
	v_fmac_f32_e32 v32, v18, v20
	;;#ASMSTART
	v_cvt_f32_f16 v18, v9;
	;;#ASMEND
	ds_read_b64 v[9:10], v42 offset:104
	v_fmac_f32_e32 v31, v11, v15
	v_fmac_f32_e32 v48, v12, v17
	s_waitcnt vmcnt(2)
	v_and_b32_e32 v12, 0xffff, v7
	v_lshrrev_b32_e32 v7, 16, v7
	s_waitcnt lgkmcnt(0)
	v_and_b32_e32 v11, 0xffff, v9
	v_lshrrev_b32_e32 v9, 16, v9
	v_fmac_f32_e32 v47, v13, v14
	v_fmac_f32_e32 v32, v16, v18
	;;#ASMSTART
	v_cvt_f32_f16 v11, v11;
	;;#ASMEND
	;;#ASMSTART
	v_cvt_f32_f16 v9, v9;
	;;#ASMEND
	;; [unrolled: 3-line block ×4, first 2 shown]
	v_lshrrev_b32_e32 v7, 16, v10
	v_and_b32_e32 v10, 0xffff, v10
	v_lshrrev_b32_e32 v16, 16, v8
	v_and_b32_e32 v8, 0xffff, v8
	;;#ASMSTART
	v_cvt_f32_f16 v10, v10;
	;;#ASMEND
	;;#ASMSTART
	v_cvt_f32_f16 v14, v7;
	;;#ASMEND
	;; [unrolled: 3-line block ×4, first 2 shown]
	ds_read_b64 v[7:8], v42 offset:112
	v_fmac_f32_e32 v31, v9, v13
	v_fmac_f32_e32 v48, v10, v15
	s_waitcnt vmcnt(1)
	v_and_b32_e32 v10, 0xffff, v5
	v_lshrrev_b32_e32 v5, 16, v5
	s_waitcnt lgkmcnt(0)
	v_lshrrev_b32_e32 v9, 16, v7
	v_and_b32_e32 v7, 0xffff, v7
	v_fmac_f32_e32 v47, v11, v12
	;;#ASMSTART
	v_cvt_f32_f16 v7, v7;
	;;#ASMEND
	;;#ASMSTART
	v_cvt_f32_f16 v9, v9;
	;;#ASMEND
	;; [unrolled: 3-line block ×4, first 2 shown]
	v_lshrrev_b32_e32 v5, 16, v8
	v_and_b32_e32 v8, 0xffff, v8
	;;#ASMSTART
	v_cvt_f32_f16 v8, v8;
	;;#ASMEND
	;;#ASMSTART
	v_cvt_f32_f16 v12, v5;
	;;#ASMEND
	v_lshrrev_b32_e32 v5, 16, v6
	v_and_b32_e32 v6, 0xffff, v6
	v_fmac_f32_e32 v32, v14, v16
	;;#ASMSTART
	v_cvt_f32_f16 v13, v6;
	;;#ASMEND
	;;#ASMSTART
	v_cvt_f32_f16 v14, v5;
	;;#ASMEND
	ds_read_b64 v[5:6], v42 offset:120
	v_fmac_f32_e32 v47, v7, v10
	v_fmac_f32_e32 v48, v8, v13
	s_waitcnt vmcnt(0)
	v_lshrrev_b32_e32 v8, 16, v3
	v_and_b32_e32 v3, 0xffff, v3
	s_waitcnt lgkmcnt(0)
	v_lshrrev_b32_e32 v7, 16, v5
	v_and_b32_e32 v5, 0xffff, v5
	;;#ASMSTART
	v_cvt_f32_f16 v5, v5;
	;;#ASMEND
	;;#ASMSTART
	v_cvt_f32_f16 v7, v7;
	;;#ASMEND
	;; [unrolled: 3-line block ×3, first 2 shown]
	v_fmac_f32_e32 v31, v9, v11
	v_fmac_f32_e32 v47, v5, v3
	v_and_b32_e32 v3, 0xffff, v6
	;;#ASMSTART
	v_cvt_f32_f16 v8, v8;
	;;#ASMEND
	v_fmac_f32_e32 v31, v7, v8
	v_lshrrev_b32_e32 v5, 16, v6
	;;#ASMSTART
	v_cvt_f32_f16 v3, v3;
	;;#ASMEND
	v_lshrrev_b32_e32 v6, 16, v4
	v_and_b32_e32 v4, 0xffff, v4
	v_fmac_f32_e32 v32, v12, v14
	;;#ASMSTART
	v_cvt_f32_f16 v5, v5;
	;;#ASMEND
	;;#ASMSTART
	v_cvt_f32_f16 v4, v4;
	;;#ASMEND
	v_fmac_f32_e32 v48, v3, v4
	v_add_f32_e32 v3, v47, v31
	;;#ASMSTART
	v_cvt_f32_f16 v6, v6;
	;;#ASMEND
	v_fmac_f32_e32 v32, v5, v6
	v_add_f32_e32 v3, v3, v48
	v_cndmask_b32_e64 v4, v36, v45, s[4:5]
	v_add_f32_e32 v3, v32, v3
	v_lshlrev_b32_e32 v4, 2, v4
	ds_bpermute_b32 v4, v4, v3
	s_and_saveexec_b64 s[30:31], vcc
	s_cbranch_execz .LBB105_8
; %bb.10:                               ;   in Loop: Header=BB105_9 Depth=1
	v_add_u32_e32 v5, s15, v43
	v_cvt_f32_i32_e32 v5, v5
	s_waitcnt lgkmcnt(0)
	v_add_f32_e32 v3, v3, v4
	v_cmp_gt_i32_e64 s[4:5], s33, v43
	v_max_f32_e32 v4, v39, v39
	v_mul_f32_e32 v5, s26, v5
	v_cndmask_b32_e64 v5, 0, v5, s[2:3]
	v_fmac_f32_e32 v5, s27, v3
	v_cndmask_b32_e64 v3, 0, v5, s[4:5]
	ds_write_b32 v44, v3
	v_max_f32_e32 v3, v4, v5
	v_cndmask_b32_e64 v39, v39, v3, s[4:5]
	s_branch .LBB105_8
.LBB105_11:
	s_or_b64 exec, exec, s[28:29]
.LBB105_12:
	s_or_b64 exec, exec, s[6:7]
	v_xor_b32_e32 v1, 32, v36
	v_cmp_lt_i32_e32 vcc, v1, v38
	v_cndmask_b32_e32 v1, v36, v1, vcc
	v_lshlrev_b32_e32 v1, 2, v1
	ds_bpermute_b32 v2, v1, v39
	s_waitcnt lgkmcnt(0)
	v_xor_b32_e32 v4, 16, v36
	v_max_f32_e32 v3, v39, v39
	v_cmp_lt_i32_e32 vcc, v4, v38
	v_xor_b32_e32 v5, 8, v36
	v_max_f32_e32 v2, v2, v2
	v_max_f32_e32 v3, v3, v2
	v_cndmask_b32_e32 v2, v36, v4, vcc
	v_lshlrev_b32_e32 v2, 2, v2
	ds_bpermute_b32 v4, v2, v3
	v_cmp_lt_i32_e32 vcc, v5, v38
	v_xor_b32_e32 v6, 4, v36
	v_xor_b32_e32 v7, 2, v36
	v_and_b32_e32 v9, 63, v0
	s_waitcnt lgkmcnt(0)
	v_max_f32_e32 v4, v4, v4
	v_max_f32_e32 v4, v3, v4
	v_cndmask_b32_e32 v3, v36, v5, vcc
	v_lshlrev_b32_e32 v3, 2, v3
	ds_bpermute_b32 v5, v3, v4
	v_cmp_lt_i32_e32 vcc, v6, v38
	s_waitcnt lgkmcnt(0)
	v_max_f32_e32 v5, v5, v5
	v_max_f32_e32 v5, v4, v5
	v_cndmask_b32_e32 v4, v36, v6, vcc
	v_lshlrev_b32_e32 v4, 2, v4
	ds_bpermute_b32 v6, v4, v5
	v_cmp_lt_i32_e32 vcc, v7, v38
	s_waitcnt lgkmcnt(0)
	v_max_f32_e32 v6, v6, v6
	v_max_f32_e32 v6, v5, v6
	v_cndmask_b32_e32 v5, v36, v7, vcc
	v_lshlrev_b32_e32 v10, 2, v5
	ds_bpermute_b32 v7, v10, v6
	v_cmp_eq_u32_e32 vcc, 0, v9
	v_lshlrev_b32_e32 v5, 2, v33
	s_and_saveexec_b64 s[2:3], vcc
	s_cbranch_execz .LBB105_14
; %bb.13:
	s_waitcnt lgkmcnt(0)
	v_max_f32_e32 v7, v7, v7
	v_max_f32_e32 v6, v6, v6
	;; [unrolled: 1-line block ×3, first 2 shown]
	ds_write_b32 v5, v6 offset:256
.LBB105_14:
	s_or_b64 exec, exec, s[2:3]
	v_cmp_gt_u32_e64 s[2:3], 2, v9
	s_waitcnt lgkmcnt(0)
	v_mov_b32_e32 v7, 0xff7fffff
	v_lshlrev_b32_e32 v6, 2, v9
	s_barrier
	s_and_saveexec_b64 s[4:5], s[2:3]
; %bb.15:
	ds_read_b32 v7, v6 offset:256
; %bb.16:
	s_or_b64 exec, exec, s[4:5]
	v_xor_b32_e32 v8, 1, v36
	v_cmp_lt_i32_e64 s[4:5], v8, v38
	v_cndmask_b32_e64 v8, v36, v8, s[4:5]
	v_lshlrev_b32_e32 v11, 2, v8
	s_waitcnt lgkmcnt(0)
	ds_bpermute_b32 v8, v11, v7
	v_max_f32_e32 v7, v7, v7
	s_lshl_b32 s4, s12, 5
	s_min_i32 s15, s4, s33
	v_cmp_gt_i32_e64 s[4:5], s15, v0
	s_waitcnt lgkmcnt(0)
	v_max_f32_e32 v8, v8, v8
	v_max_f32_e32 v7, v7, v8
	v_lshlrev_b32_e32 v8, 2, v37
	ds_bpermute_b32 v8, v8, v7
	v_mov_b32_e32 v7, 0
	s_and_saveexec_b64 s[26:27], s[4:5]
	s_cbranch_execz .LBB105_20
; %bb.17:
	v_mov_b32_e32 v7, 0x110
	v_lshl_add_u32 v12, v0, 2, v7
	v_mov_b32_e32 v7, 0
	s_mov_b64 s[28:29], 0
	v_mov_b32_e32 v13, v0
.LBB105_18:                             ; =>This Inner Loop Header: Depth=1
	ds_read_b32 v14, v12
	v_add_u32_e32 v13, 0x80, v13
	v_cmp_le_i32_e64 s[6:7], s15, v13
	s_or_b64 s[28:29], s[6:7], s[28:29]
	s_waitcnt lgkmcnt(0)
	v_sub_f32_e32 v14, v14, v8
	v_mul_f32_e32 v14, 0x3fb8aa3b, v14
	v_exp_f32_e32 v14, v14
	ds_write_b32 v12, v14
	v_add_f32_e32 v7, v7, v14
	v_add_u32_e32 v12, 0x200, v12
	s_andn2_b64 exec, exec, s[28:29]
	s_cbranch_execnz .LBB105_18
; %bb.19:
	s_or_b64 exec, exec, s[28:29]
.LBB105_20:
	s_or_b64 exec, exec, s[26:27]
	ds_bpermute_b32 v1, v1, v7
	s_waitcnt lgkmcnt(0)
	v_add_f32_e32 v1, v7, v1
	ds_bpermute_b32 v2, v2, v1
	s_waitcnt lgkmcnt(0)
	v_add_f32_e32 v1, v1, v2
	;; [unrolled: 3-line block ×6, first 2 shown]
	s_and_saveexec_b64 s[6:7], vcc
; %bb.21:
	ds_write_b32 v5, v1 offset:264
; %bb.22:
	s_or_b64 exec, exec, s[6:7]
	s_waitcnt lgkmcnt(0)
	s_barrier
	s_and_saveexec_b64 s[6:7], s[2:3]
; %bb.23:
	ds_read_b32 v1, v6 offset:264
; %bb.24:
	s_or_b64 exec, exec, s[6:7]
	s_waitcnt lgkmcnt(0)
	ds_bpermute_b32 v2, v11, v1
	v_lshlrev_b32_e32 v3, 2, v36
	s_waitcnt lgkmcnt(0)
	v_add_f32_e32 v1, v1, v2
	v_and_b32_e32 v2, 0xffffff00, v3
	ds_bpermute_b32 v1, v2, v1
	s_and_saveexec_b64 s[2:3], s[4:5]
	s_cbranch_execz .LBB105_27
; %bb.25:
	s_waitcnt lgkmcnt(0)
	v_add_f32_e32 v2, 0x358637bd, v1
	v_div_scale_f32 v1, s[4:5], v2, v2, 1.0
	v_div_scale_f32 v3, vcc, 1.0, v2, 1.0
	s_mov_b64 s[4:5], 0
	v_rcp_f32_e32 v4, v1
	v_fma_f32 v5, -v1, v4, 1.0
	v_fmac_f32_e32 v4, v5, v4
	v_mul_f32_e32 v5, v3, v4
	v_fma_f32 v6, -v1, v5, v3
	v_fmac_f32_e32 v5, v6, v4
	v_fma_f32 v1, -v1, v5, v3
	v_div_fmas_f32 v3, v1, v4, v5
	v_mov_b32_e32 v1, 0x110
	v_lshl_add_u32 v1, v0, 2, v1
	v_div_fixup_f32 v2, v3, v2, 1.0
	v_mov_b32_e32 v3, v0
.LBB105_26:                             ; =>This Inner Loop Header: Depth=1
	ds_read_b32 v4, v1
	v_add_u32_e32 v3, 0x80, v3
	v_cmp_le_i32_e32 vcc, s15, v3
	s_or_b64 s[4:5], vcc, s[4:5]
	s_waitcnt lgkmcnt(0)
	v_mul_f32_e32 v4, v2, v4
	ds_write_b32 v1, v4
	v_add_u32_e32 v1, 0x200, v1
	s_andn2_b64 exec, exec, s[4:5]
	s_cbranch_execnz .LBB105_26
.LBB105_27:
	s_or_b64 exec, exec, s[2:3]
	v_mov_b32_e32 v19, 0
	v_and_b32_e32 v12, 3, v0
	v_mov_b32_e32 v20, 0
	v_mov_b32_e32 v18, 0
	;; [unrolled: 1-line block ×7, first 2 shown]
	s_waitcnt lgkmcnt(0)
	s_barrier
	s_and_saveexec_b64 s[2:3], s[0:1]
	s_cbranch_execz .LBB105_47
; %bb.28:
	s_ashr_i32 s15, s14, 31
	s_lshl_b64 s[0:1], s[14:15], 1
	v_lshlrev_b32_e32 v2, 4, v0
	s_add_u32 s0, s24, s0
	v_and_b32_e32 v2, 0x3f0, v2
	v_and_b32_e32 v1, 24, v34
	s_addc_u32 s1, s25, s1
	v_add_co_u32_e32 v22, vcc, s0, v2
	v_lshlrev_b32_e32 v2, 5, v33
	s_add_i32 s14, s12, -1
	v_mov_b32_e32 v3, s1
	v_or3_b32 v24, v2, v1, 7
	v_lshlrev_b32_e32 v1, 5, v12
	s_lshl_b64 s[0:1], s[22:23], 2
	v_lshl_or_b32 v1, v33, 7, v1
	s_add_u32 s0, s20, s0
	v_addc_co_u32_e32 v23, vcc, 0, v3, vcc
	v_add_u32_e32 v25, 0x110, v1
	v_and_b32_e32 v1, 60, v35
	s_addc_u32 s1, s21, s1
	v_mov_b32_e32 v2, s1
	v_add_co_u32_e32 v5, vcc, s0, v1
	v_mov_b32_e32 v21, 0
	v_addc_co_u32_e32 v6, vcc, 0, v2, vcc
	s_mov_b64 s[4:5], 0
	s_mov_b32 s15, 0xffff
	v_mov_b32_e32 v13, 0
	v_mov_b32_e32 v14, 0
	;; [unrolled: 1-line block ×8, first 2 shown]
	s_branch .LBB105_30
.LBB105_29:                             ;   in Loop: Header=BB105_30 Depth=1
	s_or_b64 exec, exec, s[6:7]
	v_add_f32_e32 v26, v50, v52
	v_add_f32_e32 v14, v14, v26
	;; [unrolled: 1-line block ×14, first 2 shown]
	v_lshlrev_b32_e32 v26, 16, v51
	v_and_or_b32 v1, v1, s15, v26
	v_lshlrev_b32_e32 v8, 16, v8
	v_lshlrev_b32_e32 v7, 16, v7
	v_and_or_b32 v2, v2, s15, v8
	v_and_or_b32 v3, v3, s15, v7
	;;#ASMSTART
	v_pk_mul_f16 v1, v34, v1;

	;;#ASMEND
	;;#ASMSTART
	v_pk_mul_f16 v2, v35, v2;

	;;#ASMEND
	;; [unrolled: 4-line block ×4, first 2 shown]
	;;#ASMSTART
	v_pk_add_f16 v1, v1, v2;

	;;#ASMEND
	;;#ASMSTART
	v_pk_add_f16 v1, v1, v3;

	;;#ASMEND
	;; [unrolled: 4-line block ×3, first 2 shown]
	v_lshrrev_b32_e32 v2, 16, v1
	v_and_b32_e32 v1, 0xffff, v1
	v_add_u32_e32 v33, 2, v33
	;;#ASMSTART
	v_cvt_f32_f16 v1, v1;
	;;#ASMEND
	v_cmp_le_i32_e32 vcc, s12, v33
	;;#ASMSTART
	v_cvt_f32_f16 v2, v2;
	;;#ASMEND
	v_add_f32_e32 v1, v1, v2
	s_or_b64 s[4:5], vcc, s[4:5]
	v_add_co_u32_e32 v5, vcc, 8, v5
	v_add_f32_e32 v13, v13, v1
	v_add_u32_e32 v24, 64, v24
	v_add_u32_e32 v25, 0x100, v25
	v_addc_co_u32_e32 v6, vcc, 0, v6, vcc
	s_andn2_b64 exec, exec, s[4:5]
	s_cbranch_execz .LBB105_46
.LBB105_30:                             ; =>This Inner Loop Header: Depth=1
	global_load_dword v7, v[5:6], off
	ds_read2_b64 v[1:4], v25 offset1:1
	ds_read2_b64 v[26:29], v25 offset0:2 offset1:3
	v_add_u32_e32 v32, -6, v24
	v_add_u32_e32 v31, -5, v24
	s_waitcnt lgkmcnt(1)
	;;#ASMSTART
	v_cvt_f16_f32 v34, v1;

	;;#ASMEND
	;;#ASMSTART
	v_cvt_f16_f32 v35, v2;

	;;#ASMEND
	;; [unrolled: 4-line block ×4, first 2 shown]
	s_waitcnt lgkmcnt(0)
	;;#ASMSTART
	v_cvt_f16_f32 v38, v26;

	;;#ASMEND
	;;#ASMSTART
	v_cvt_f16_f32 v39, v27;

	;;#ASMEND
	;; [unrolled: 4-line block ×4, first 2 shown]
	v_add_u32_e32 v26, -7, v24
	v_add_u32_e32 v29, -4, v24
	;; [unrolled: 1-line block ×5, first 2 shown]
	s_waitcnt vmcnt(0)
	v_mad_i64_i32 v[1:2], s[0:1], v7, s13, 0
	v_cmp_eq_u32_e64 s[0:1], s14, v33
	v_lshlrev_b64 v[1:2], 1, v[1:2]
	v_add_co_u32_e32 v7, vcc, v22, v1
	v_addc_co_u32_e32 v8, vcc, v23, v2, vcc
	global_load_dwordx4 v[1:4], v[7:8], off
	s_waitcnt vmcnt(0)
	v_lshrrev_b32_e32 v44, 16, v1
	v_lshrrev_b32_e32 v43, 16, v2
	;; [unrolled: 1-line block ×3, first 2 shown]
	s_and_saveexec_b64 s[6:7], s[0:1]
	s_cbranch_execz .LBB105_32
; %bb.31:                               ;   in Loop: Header=BB105_30 Depth=1
	v_cmp_gt_i32_e32 vcc, s33, v26
	v_cndmask_b32_e32 v1, 0, v1, vcc
	v_cmp_gt_i32_e32 vcc, s33, v32
	v_cndmask_b32_e32 v44, 0, v44, vcc
	;; [unrolled: 2-line block ×6, first 2 shown]
	v_cmp_gt_i32_e32 vcc, s33, v30
	v_cndmask_b32_sdwa v45, v21, v4, vcc dst_sel:DWORD dst_unused:UNUSED_PAD src0_sel:DWORD src1_sel:WORD_0
	v_and_b32_e32 v4, 0xffff0000, v4
	v_cmp_gt_i32_e32 vcc, s33, v24
	v_cndmask_b32_e32 v4, 0, v4, vcc
	v_or_b32_e32 v4, v45, v4
.LBB105_32:                             ;   in Loop: Header=BB105_30 Depth=1
	s_or_b64 exec, exec, s[6:7]
	v_and_b32_e32 v34, 0xffff, v34
	v_lshl_or_b32 v34, v35, 16, v34
	v_and_b32_e32 v35, 0xffff, v36
	v_and_b32_e32 v36, 0xffff, v38
	v_lshlrev_b32_e32 v38, 16, v44
	v_and_or_b32 v1, v1, s15, v38
	v_lshlrev_b32_e32 v38, 16, v43
	v_and_or_b32 v2, v2, s15, v38
	v_lshlrev_b32_e32 v38, 16, v42
	v_lshl_or_b32 v35, v37, 16, v35
	v_and_b32_e32 v37, 0xffff, v40
	v_and_or_b32 v3, v3, s15, v38
	;;#ASMSTART
	v_pk_mul_f16 v1, v34, v1;

	;;#ASMEND
	v_lshl_or_b32 v36, v39, 16, v36
	v_lshl_or_b32 v37, v41, 16, v37
	;;#ASMSTART
	v_pk_mul_f16 v2, v35, v2;

	;;#ASMEND
	;;#ASMSTART
	v_pk_mul_f16 v3, v36, v3;

	;;#ASMEND
	;; [unrolled: 4-line block ×3, first 2 shown]
	;;#ASMSTART
	v_pk_add_f16 v1, v1, v2;

	;;#ASMEND
	;;#ASMSTART
	v_pk_add_f16 v1, v1, v3;

	;;#ASMEND
	;; [unrolled: 4-line block ×3, first 2 shown]
	v_lshrrev_b32_e32 v2, 16, v1
	v_and_b32_e32 v1, 0xffff, v1
	;;#ASMSTART
	v_cvt_f32_f16 v38, v1;
	;;#ASMEND
	;;#ASMSTART
	v_cvt_f32_f16 v39, v2;
	;;#ASMEND
	global_load_dwordx4 v[1:4], v[7:8], off offset:1024
	s_waitcnt vmcnt(0)
	v_lshrrev_b32_e32 v42, 16, v1
	v_lshrrev_b32_e32 v41, 16, v2
	;; [unrolled: 1-line block ×3, first 2 shown]
	s_and_saveexec_b64 s[6:7], s[0:1]
	s_cbranch_execz .LBB105_34
; %bb.33:                               ;   in Loop: Header=BB105_30 Depth=1
	v_cmp_gt_i32_e32 vcc, s33, v26
	v_cndmask_b32_e32 v1, 0, v1, vcc
	v_cmp_gt_i32_e32 vcc, s33, v32
	v_cndmask_b32_e32 v42, 0, v42, vcc
	;; [unrolled: 2-line block ×6, first 2 shown]
	v_cmp_gt_i32_e32 vcc, s33, v30
	v_cndmask_b32_sdwa v43, v21, v4, vcc dst_sel:DWORD dst_unused:UNUSED_PAD src0_sel:DWORD src1_sel:WORD_0
	v_and_b32_e32 v4, 0xffff0000, v4
	v_cmp_gt_i32_e32 vcc, s33, v24
	v_cndmask_b32_e32 v4, 0, v4, vcc
	v_or_b32_e32 v4, v43, v4
.LBB105_34:                             ;   in Loop: Header=BB105_30 Depth=1
	s_or_b64 exec, exec, s[6:7]
	v_lshlrev_b32_e32 v42, 16, v42
	v_and_or_b32 v1, v1, s15, v42
	v_lshlrev_b32_e32 v41, 16, v41
	v_lshlrev_b32_e32 v40, 16, v40
	v_and_or_b32 v2, v2, s15, v41
	v_and_or_b32 v3, v3, s15, v40
	;;#ASMSTART
	v_pk_mul_f16 v1, v34, v1;

	;;#ASMEND
	;;#ASMSTART
	v_pk_mul_f16 v2, v35, v2;

	;;#ASMEND
	;; [unrolled: 4-line block ×4, first 2 shown]
	;;#ASMSTART
	v_pk_add_f16 v1, v1, v2;

	;;#ASMEND
	;;#ASMSTART
	v_pk_add_f16 v1, v1, v3;

	;;#ASMEND
	;; [unrolled: 4-line block ×3, first 2 shown]
	v_lshrrev_b32_e32 v2, 16, v1
	v_and_b32_e32 v1, 0xffff, v1
	;;#ASMSTART
	v_cvt_f32_f16 v40, v1;
	;;#ASMEND
	;;#ASMSTART
	v_cvt_f32_f16 v41, v2;
	;;#ASMEND
	global_load_dwordx4 v[1:4], v[7:8], off offset:2048
	s_waitcnt vmcnt(0)
	v_lshrrev_b32_e32 v44, 16, v1
	v_lshrrev_b32_e32 v43, 16, v2
	;; [unrolled: 1-line block ×3, first 2 shown]
	s_and_saveexec_b64 s[6:7], s[0:1]
	s_cbranch_execz .LBB105_36
; %bb.35:                               ;   in Loop: Header=BB105_30 Depth=1
	v_cmp_gt_i32_e32 vcc, s33, v26
	v_cndmask_b32_e32 v1, 0, v1, vcc
	v_cmp_gt_i32_e32 vcc, s33, v32
	v_cndmask_b32_e32 v44, 0, v44, vcc
	;; [unrolled: 2-line block ×6, first 2 shown]
	v_cmp_gt_i32_e32 vcc, s33, v30
	v_cndmask_b32_sdwa v45, v21, v4, vcc dst_sel:DWORD dst_unused:UNUSED_PAD src0_sel:DWORD src1_sel:WORD_0
	v_and_b32_e32 v4, 0xffff0000, v4
	v_cmp_gt_i32_e32 vcc, s33, v24
	v_cndmask_b32_e32 v4, 0, v4, vcc
	v_or_b32_e32 v4, v45, v4
.LBB105_36:                             ;   in Loop: Header=BB105_30 Depth=1
	s_or_b64 exec, exec, s[6:7]
	v_lshlrev_b32_e32 v44, 16, v44
	v_and_or_b32 v1, v1, s15, v44
	v_lshlrev_b32_e32 v43, 16, v43
	v_lshlrev_b32_e32 v42, 16, v42
	v_and_or_b32 v2, v2, s15, v43
	v_and_or_b32 v3, v3, s15, v42
	;;#ASMSTART
	v_pk_mul_f16 v1, v34, v1;

	;;#ASMEND
	;;#ASMSTART
	v_pk_mul_f16 v2, v35, v2;

	;;#ASMEND
	;; [unrolled: 4-line block ×4, first 2 shown]
	;;#ASMSTART
	v_pk_add_f16 v1, v1, v2;

	;;#ASMEND
	;;#ASMSTART
	v_pk_add_f16 v1, v1, v3;

	;;#ASMEND
	;; [unrolled: 4-line block ×3, first 2 shown]
	v_lshrrev_b32_e32 v2, 16, v1
	v_and_b32_e32 v1, 0xffff, v1
	;;#ASMSTART
	v_cvt_f32_f16 v42, v1;
	;;#ASMEND
	;;#ASMSTART
	v_cvt_f32_f16 v43, v2;
	;;#ASMEND
	global_load_dwordx4 v[1:4], v[7:8], off offset:3072
	s_waitcnt vmcnt(0)
	v_lshrrev_b32_e32 v46, 16, v1
	v_lshrrev_b32_e32 v45, 16, v2
	;; [unrolled: 1-line block ×3, first 2 shown]
	s_and_saveexec_b64 s[6:7], s[0:1]
	s_cbranch_execz .LBB105_38
; %bb.37:                               ;   in Loop: Header=BB105_30 Depth=1
	v_cmp_gt_i32_e32 vcc, s33, v26
	v_cndmask_b32_e32 v1, 0, v1, vcc
	v_cmp_gt_i32_e32 vcc, s33, v32
	v_cndmask_b32_e32 v46, 0, v46, vcc
	;; [unrolled: 2-line block ×6, first 2 shown]
	v_cmp_gt_i32_e32 vcc, s33, v30
	v_cndmask_b32_sdwa v47, v21, v4, vcc dst_sel:DWORD dst_unused:UNUSED_PAD src0_sel:DWORD src1_sel:WORD_0
	v_and_b32_e32 v4, 0xffff0000, v4
	v_cmp_gt_i32_e32 vcc, s33, v24
	v_cndmask_b32_e32 v4, 0, v4, vcc
	v_or_b32_e32 v4, v47, v4
.LBB105_38:                             ;   in Loop: Header=BB105_30 Depth=1
	s_or_b64 exec, exec, s[6:7]
	v_lshlrev_b32_e32 v46, 16, v46
	v_and_or_b32 v1, v1, s15, v46
	v_lshlrev_b32_e32 v45, 16, v45
	v_lshlrev_b32_e32 v44, 16, v44
	v_and_or_b32 v2, v2, s15, v45
	v_and_or_b32 v3, v3, s15, v44
	;;#ASMSTART
	v_pk_mul_f16 v1, v34, v1;

	;;#ASMEND
	;;#ASMSTART
	v_pk_mul_f16 v2, v35, v2;

	;;#ASMEND
	;; [unrolled: 4-line block ×4, first 2 shown]
	;;#ASMSTART
	v_pk_add_f16 v1, v1, v2;

	;;#ASMEND
	;;#ASMSTART
	v_pk_add_f16 v1, v1, v3;

	;;#ASMEND
	;; [unrolled: 4-line block ×3, first 2 shown]
	v_lshrrev_b32_e32 v2, 16, v1
	v_and_b32_e32 v1, 0xffff, v1
	;;#ASMSTART
	v_cvt_f32_f16 v44, v1;
	;;#ASMEND
	v_add_co_u32_e32 v1, vcc, 0x1000, v7
	;;#ASMSTART
	v_cvt_f32_f16 v45, v2;
	;;#ASMEND
	v_addc_co_u32_e32 v2, vcc, 0, v8, vcc
	global_load_dwordx4 v[1:4], v[1:2], off
	s_waitcnt vmcnt(0)
	v_lshrrev_b32_e32 v48, 16, v1
	v_lshrrev_b32_e32 v47, 16, v2
	;; [unrolled: 1-line block ×3, first 2 shown]
	s_and_saveexec_b64 s[6:7], s[0:1]
	s_cbranch_execz .LBB105_40
; %bb.39:                               ;   in Loop: Header=BB105_30 Depth=1
	v_cmp_gt_i32_e32 vcc, s33, v26
	v_cndmask_b32_e32 v1, 0, v1, vcc
	v_cmp_gt_i32_e32 vcc, s33, v32
	v_cndmask_b32_e32 v48, 0, v48, vcc
	;; [unrolled: 2-line block ×6, first 2 shown]
	v_cmp_gt_i32_e32 vcc, s33, v30
	v_cndmask_b32_sdwa v49, v21, v4, vcc dst_sel:DWORD dst_unused:UNUSED_PAD src0_sel:DWORD src1_sel:WORD_0
	v_and_b32_e32 v4, 0xffff0000, v4
	v_cmp_gt_i32_e32 vcc, s33, v24
	v_cndmask_b32_e32 v4, 0, v4, vcc
	v_or_b32_e32 v4, v49, v4
.LBB105_40:                             ;   in Loop: Header=BB105_30 Depth=1
	s_or_b64 exec, exec, s[6:7]
	v_lshlrev_b32_e32 v48, 16, v48
	v_and_or_b32 v1, v1, s15, v48
	v_lshlrev_b32_e32 v47, 16, v47
	v_lshlrev_b32_e32 v46, 16, v46
	v_and_or_b32 v2, v2, s15, v47
	v_and_or_b32 v3, v3, s15, v46
	;;#ASMSTART
	v_pk_mul_f16 v1, v34, v1;

	;;#ASMEND
	;;#ASMSTART
	v_pk_mul_f16 v2, v35, v2;

	;;#ASMEND
	;; [unrolled: 4-line block ×4, first 2 shown]
	;;#ASMSTART
	v_pk_add_f16 v1, v1, v2;

	;;#ASMEND
	;;#ASMSTART
	v_pk_add_f16 v1, v1, v3;

	;;#ASMEND
	;; [unrolled: 4-line block ×3, first 2 shown]
	v_lshrrev_b32_e32 v2, 16, v1
	v_and_b32_e32 v1, 0xffff, v1
	;;#ASMSTART
	v_cvt_f32_f16 v46, v1;
	;;#ASMEND
	v_add_co_u32_e32 v1, vcc, 0x1000, v7
	;;#ASMSTART
	v_cvt_f32_f16 v47, v2;
	;;#ASMEND
	v_addc_co_u32_e32 v2, vcc, 0, v8, vcc
	global_load_dwordx4 v[1:4], v[1:2], off offset:1024
	s_waitcnt vmcnt(0)
	v_lshrrev_b32_e32 v50, 16, v1
	v_lshrrev_b32_e32 v49, 16, v2
	;; [unrolled: 1-line block ×3, first 2 shown]
	s_and_saveexec_b64 s[6:7], s[0:1]
	s_cbranch_execz .LBB105_42
; %bb.41:                               ;   in Loop: Header=BB105_30 Depth=1
	v_cmp_gt_i32_e32 vcc, s33, v26
	v_cndmask_b32_e32 v1, 0, v1, vcc
	v_cmp_gt_i32_e32 vcc, s33, v32
	v_cndmask_b32_e32 v50, 0, v50, vcc
	;; [unrolled: 2-line block ×6, first 2 shown]
	v_cmp_gt_i32_e32 vcc, s33, v30
	v_cndmask_b32_sdwa v51, v21, v4, vcc dst_sel:DWORD dst_unused:UNUSED_PAD src0_sel:DWORD src1_sel:WORD_0
	v_and_b32_e32 v4, 0xffff0000, v4
	v_cmp_gt_i32_e32 vcc, s33, v24
	v_cndmask_b32_e32 v4, 0, v4, vcc
	v_or_b32_e32 v4, v51, v4
.LBB105_42:                             ;   in Loop: Header=BB105_30 Depth=1
	s_or_b64 exec, exec, s[6:7]
	v_lshlrev_b32_e32 v50, 16, v50
	v_and_or_b32 v1, v1, s15, v50
	v_lshlrev_b32_e32 v49, 16, v49
	v_lshlrev_b32_e32 v48, 16, v48
	v_and_or_b32 v2, v2, s15, v49
	v_and_or_b32 v3, v3, s15, v48
	;;#ASMSTART
	v_pk_mul_f16 v1, v34, v1;

	;;#ASMEND
	;;#ASMSTART
	v_pk_mul_f16 v2, v35, v2;

	;;#ASMEND
	;; [unrolled: 4-line block ×4, first 2 shown]
	;;#ASMSTART
	v_pk_add_f16 v1, v1, v2;

	;;#ASMEND
	;;#ASMSTART
	v_pk_add_f16 v1, v1, v3;

	;;#ASMEND
	;; [unrolled: 4-line block ×3, first 2 shown]
	v_lshrrev_b32_e32 v2, 16, v1
	v_and_b32_e32 v1, 0xffff, v1
	;;#ASMSTART
	v_cvt_f32_f16 v48, v1;
	;;#ASMEND
	v_add_co_u32_e32 v1, vcc, 0x1000, v7
	;;#ASMSTART
	v_cvt_f32_f16 v49, v2;
	;;#ASMEND
	v_addc_co_u32_e32 v2, vcc, 0, v8, vcc
	global_load_dwordx4 v[1:4], v[1:2], off offset:2048
	s_waitcnt vmcnt(0)
	v_lshrrev_b32_e32 v52, 16, v1
	v_lshrrev_b32_e32 v51, 16, v2
	;; [unrolled: 1-line block ×3, first 2 shown]
	s_and_saveexec_b64 s[6:7], s[0:1]
	s_cbranch_execz .LBB105_44
; %bb.43:                               ;   in Loop: Header=BB105_30 Depth=1
	v_cmp_gt_i32_e32 vcc, s33, v26
	v_cndmask_b32_e32 v1, 0, v1, vcc
	v_cmp_gt_i32_e32 vcc, s33, v32
	v_cndmask_b32_e32 v52, 0, v52, vcc
	;; [unrolled: 2-line block ×6, first 2 shown]
	v_cmp_gt_i32_e32 vcc, s33, v30
	v_cndmask_b32_sdwa v53, v21, v4, vcc dst_sel:DWORD dst_unused:UNUSED_PAD src0_sel:DWORD src1_sel:WORD_0
	v_and_b32_e32 v4, 0xffff0000, v4
	v_cmp_gt_i32_e32 vcc, s33, v24
	v_cndmask_b32_e32 v4, 0, v4, vcc
	v_or_b32_e32 v4, v53, v4
.LBB105_44:                             ;   in Loop: Header=BB105_30 Depth=1
	s_or_b64 exec, exec, s[6:7]
	v_lshlrev_b32_e32 v52, 16, v52
	v_and_or_b32 v1, v1, s15, v52
	v_lshlrev_b32_e32 v51, 16, v51
	v_lshlrev_b32_e32 v50, 16, v50
	v_and_or_b32 v2, v2, s15, v51
	v_and_or_b32 v3, v3, s15, v50
	;;#ASMSTART
	v_pk_mul_f16 v1, v34, v1;

	;;#ASMEND
	;;#ASMSTART
	v_pk_mul_f16 v2, v35, v2;

	;;#ASMEND
	;; [unrolled: 4-line block ×4, first 2 shown]
	;;#ASMSTART
	v_pk_add_f16 v1, v1, v2;

	;;#ASMEND
	;;#ASMSTART
	v_pk_add_f16 v1, v1, v3;

	;;#ASMEND
	;; [unrolled: 4-line block ×3, first 2 shown]
	v_lshrrev_b32_e32 v2, 16, v1
	v_and_b32_e32 v1, 0xffff, v1
	;;#ASMSTART
	v_cvt_f32_f16 v50, v1;
	;;#ASMEND
	v_add_co_u32_e32 v1, vcc, 0x1000, v7
	;;#ASMSTART
	v_cvt_f32_f16 v52, v2;
	;;#ASMEND
	v_addc_co_u32_e32 v2, vcc, 0, v8, vcc
	global_load_dwordx4 v[1:4], v[1:2], off offset:3072
	s_waitcnt vmcnt(0)
	v_lshrrev_b32_e32 v51, 16, v1
	v_lshrrev_b32_e32 v8, 16, v2
	v_lshrrev_b32_e32 v7, 16, v3
	s_and_saveexec_b64 s[6:7], s[0:1]
	s_cbranch_execz .LBB105_29
; %bb.45:                               ;   in Loop: Header=BB105_30 Depth=1
	v_cmp_gt_i32_e32 vcc, s33, v26
	v_cndmask_b32_e32 v1, 0, v1, vcc
	v_cmp_gt_i32_e32 vcc, s33, v32
	v_cndmask_b32_e32 v51, 0, v51, vcc
	;; [unrolled: 2-line block ×6, first 2 shown]
	v_cmp_gt_i32_e32 vcc, s33, v30
	v_cndmask_b32_sdwa v26, v21, v4, vcc dst_sel:DWORD dst_unused:UNUSED_PAD src0_sel:DWORD src1_sel:WORD_0
	v_and_b32_e32 v4, 0xffff0000, v4
	v_cmp_gt_i32_e32 vcc, s33, v24
	v_cndmask_b32_e32 v4, 0, v4, vcc
	v_or_b32_e32 v4, v26, v4
	s_branch .LBB105_29
.LBB105_46:
	s_or_b64 exec, exec, s[4:5]
.LBB105_47:
	s_or_b64 exec, exec, s[2:3]
	ds_bpermute_b32 v1, v10, v19
	ds_bpermute_b32 v2, v10, v20
	;; [unrolled: 1-line block ×5, first 2 shown]
	s_waitcnt lgkmcnt(4)
	v_add_f32_e32 v1, v19, v1
	s_waitcnt lgkmcnt(3)
	v_add_f32_e32 v4, v20, v2
	ds_bpermute_b32 v2, v11, v1
	ds_bpermute_b32 v5, v11, v4
	s_waitcnt lgkmcnt(4)
	v_add_f32_e32 v3, v18, v3
	ds_bpermute_b32 v6, v11, v3
	s_waitcnt lgkmcnt(3)
	v_add_f32_e32 v14, v14, v8
	s_waitcnt lgkmcnt(2)
	v_add_f32_e32 v2, v1, v2
	;; [unrolled: 2-line block ×3, first 2 shown]
	ds_bpermute_b32 v4, v10, v16
	v_add_f32_e32 v5, v17, v7
	ds_bpermute_b32 v7, v10, v15
	ds_bpermute_b32 v10, v10, v13
	s_waitcnt lgkmcnt(3)
	v_add_f32_e32 v3, v3, v6
	s_waitcnt lgkmcnt(2)
	v_add_f32_e32 v4, v16, v4
	ds_bpermute_b32 v6, v11, v5
	s_waitcnt lgkmcnt(2)
	v_add_f32_e32 v15, v15, v7
	s_waitcnt lgkmcnt(1)
	v_add_f32_e32 v10, v13, v10
	ds_bpermute_b32 v16, v11, v4
	ds_bpermute_b32 v17, v11, v15
	;; [unrolled: 1-line block ×4, first 2 shown]
	s_waitcnt lgkmcnt(4)
	v_add_f32_e32 v8, v5, v6
	s_waitcnt lgkmcnt(3)
	v_add_f32_e32 v7, v4, v16
	;; [unrolled: 2-line block ×5, first 2 shown]
	v_and_b32_e32 v10, 0x3c3, v0
	v_cmp_eq_u32_e32 vcc, 64, v10
	s_barrier
	s_and_saveexec_b64 s[0:1], vcc
	s_cbranch_execz .LBB105_49
; %bb.48:
	v_add_u32_e32 v9, 0x110, v9
	ds_write2_b32 v9, v2, v1 offset1:16
	ds_write2_b32 v9, v3, v8 offset0:32 offset1:48
	ds_write2_b32 v9, v7, v6 offset0:64 offset1:80
	;; [unrolled: 1-line block ×3, first 2 shown]
.LBB105_49:
	s_or_b64 exec, exec, s[0:1]
	v_cmp_gt_u32_e32 vcc, 64, v0
	v_lshrrev_b32_e32 v0, 2, v0
	s_waitcnt lgkmcnt(0)
	s_barrier
	s_and_saveexec_b64 s[0:1], vcc
	s_cbranch_execz .LBB105_60
; %bb.50:
	v_mov_b32_e32 v9, 0x110
	v_cmp_eq_u32_e32 vcc, 0, v12
	v_lshl_add_u32 v9, v0, 2, v9
	s_and_saveexec_b64 s[2:3], vcc
	s_cbranch_execnz .LBB105_63
; %bb.51:
	s_or_b64 exec, exec, s[2:3]
	s_and_saveexec_b64 s[2:3], vcc
	s_cbranch_execnz .LBB105_64
.LBB105_52:
	s_or_b64 exec, exec, s[2:3]
	s_and_saveexec_b64 s[2:3], vcc
	s_cbranch_execnz .LBB105_65
.LBB105_53:
	s_or_b64 exec, exec, s[2:3]
	s_and_saveexec_b64 s[2:3], vcc
	s_cbranch_execnz .LBB105_66
.LBB105_54:
	s_or_b64 exec, exec, s[2:3]
	s_and_saveexec_b64 s[2:3], vcc
	s_cbranch_execnz .LBB105_67
.LBB105_55:
	s_or_b64 exec, exec, s[2:3]
	s_and_saveexec_b64 s[2:3], vcc
	s_cbranch_execnz .LBB105_68
.LBB105_56:
	s_or_b64 exec, exec, s[2:3]
	s_and_saveexec_b64 s[2:3], vcc
	s_cbranch_execnz .LBB105_69
.LBB105_57:
	s_or_b64 exec, exec, s[2:3]
	s_and_saveexec_b64 s[2:3], vcc
	s_cbranch_execz .LBB105_59
.LBB105_58:
	ds_read_b32 v9, v9 offset:448
	s_waitcnt lgkmcnt(0)
	v_add_f32_e32 v4, v4, v9
.LBB105_59:
	s_or_b64 exec, exec, s[2:3]
.LBB105_60:
	s_or_b64 exec, exec, s[0:1]
	v_cmp_eq_u32_e32 vcc, 0, v10
	s_barrier
	s_and_saveexec_b64 s[0:1], vcc
	s_cbranch_execz .LBB105_62
; %bb.61:
	s_mul_i32 s0, s10, s11
	s_mul_i32 s0, s0, s9
	s_lshl_b32 s0, s0, 7
	s_ashr_i32 s1, s0, 31
	s_lshl_b64 s[0:1], s[0:1], 1
	s_add_u32 s2, s18, s0
	s_mul_i32 s0, s11, s16
	s_addc_u32 s3, s19, s1
	s_ashr_i32 s1, s0, 31
	s_lshl_b64 s[0:1], s[0:1], 1
	s_add_u32 s2, s2, s0
	s_addc_u32 s3, s3, s1
	s_lshl_b32 s0, s8, 7
	s_ashr_i32 s1, s0, 31
	s_lshl_b64 s[0:1], s[0:1], 1
	s_add_u32 s0, s2, s0
	s_addc_u32 s1, s3, s1
	v_lshlrev_b32_e32 v0, 1, v0
	;;#ASMSTART
	v_cvt_f16_f32 v2, v2;

	;;#ASMEND
	global_store_short v0, v2, s[0:1]
	;;#ASMSTART
	v_cvt_f16_f32 v1, v1;

	;;#ASMEND
	global_store_short v0, v1, s[0:1] offset:32
	;;#ASMSTART
	v_cvt_f16_f32 v1, v3;

	;;#ASMEND
	global_store_short v0, v1, s[0:1] offset:64
	;; [unrolled: 5-line block ×7, first 2 shown]
.LBB105_62:
	s_endpgm
.LBB105_63:
	ds_read_b32 v11, v9
	s_waitcnt lgkmcnt(0)
	v_add_f32_e32 v2, v2, v11
	s_or_b64 exec, exec, s[2:3]
	s_and_saveexec_b64 s[2:3], vcc
	s_cbranch_execz .LBB105_52
.LBB105_64:
	ds_read_b32 v11, v9 offset:64
	s_waitcnt lgkmcnt(0)
	v_add_f32_e32 v1, v1, v11
	s_or_b64 exec, exec, s[2:3]
	s_and_saveexec_b64 s[2:3], vcc
	s_cbranch_execz .LBB105_53
.LBB105_65:
	ds_read_b32 v11, v9 offset:128
	s_waitcnt lgkmcnt(0)
	v_add_f32_e32 v3, v3, v11
	s_or_b64 exec, exec, s[2:3]
	s_and_saveexec_b64 s[2:3], vcc
	s_cbranch_execz .LBB105_54
.LBB105_66:
	ds_read_b32 v11, v9 offset:192
	s_waitcnt lgkmcnt(0)
	v_add_f32_e32 v8, v8, v11
	s_or_b64 exec, exec, s[2:3]
	s_and_saveexec_b64 s[2:3], vcc
	s_cbranch_execz .LBB105_55
.LBB105_67:
	ds_read_b32 v11, v9 offset:256
	s_waitcnt lgkmcnt(0)
	v_add_f32_e32 v7, v7, v11
	s_or_b64 exec, exec, s[2:3]
	s_and_saveexec_b64 s[2:3], vcc
	s_cbranch_execz .LBB105_56
.LBB105_68:
	ds_read_b32 v11, v9 offset:320
	s_waitcnt lgkmcnt(0)
	v_add_f32_e32 v6, v6, v11
	s_or_b64 exec, exec, s[2:3]
	s_and_saveexec_b64 s[2:3], vcc
	s_cbranch_execz .LBB105_57
.LBB105_69:
	ds_read_b32 v11, v9 offset:384
	s_waitcnt lgkmcnt(0)
	v_add_f32_e32 v5, v5, v11
	s_or_b64 exec, exec, s[2:3]
	s_and_saveexec_b64 s[2:3], vcc
	s_cbranch_execnz .LBB105_58
	s_branch .LBB105_59
	.section	.rodata,"a",@progbits
	.p2align	6, 0x0
	.amdhsa_kernel _ZN4vllm25paged_attention_v1_kernelIttLi128ELi32ELi128ELNS_18Fp8KVCacheDataTypeE0ELb0EEEvPT_PKS2_PKT0_S8_ifPKiSA_iPKfiiiSC_SC_iiiii
		.amdhsa_group_segment_fixed_size 272
		.amdhsa_private_segment_fixed_size 0
		.amdhsa_kernarg_size 384
		.amdhsa_user_sgpr_count 6
		.amdhsa_user_sgpr_private_segment_buffer 1
		.amdhsa_user_sgpr_dispatch_ptr 0
		.amdhsa_user_sgpr_queue_ptr 0
		.amdhsa_user_sgpr_kernarg_segment_ptr 1
		.amdhsa_user_sgpr_dispatch_id 0
		.amdhsa_user_sgpr_flat_scratch_init 0
		.amdhsa_user_sgpr_private_segment_size 0
		.amdhsa_uses_dynamic_stack 0
		.amdhsa_system_sgpr_private_segment_wavefront_offset 0
		.amdhsa_system_sgpr_workgroup_id_x 1
		.amdhsa_system_sgpr_workgroup_id_y 1
		.amdhsa_system_sgpr_workgroup_id_z 1
		.amdhsa_system_sgpr_workgroup_info 0
		.amdhsa_system_vgpr_workitem_id 0
		.amdhsa_next_free_vgpr 59
		.amdhsa_next_free_sgpr 35
		.amdhsa_reserve_vcc 1
		.amdhsa_reserve_flat_scratch 0
		.amdhsa_float_round_mode_32 0
		.amdhsa_float_round_mode_16_64 0
		.amdhsa_float_denorm_mode_32 3
		.amdhsa_float_denorm_mode_16_64 3
		.amdhsa_dx10_clamp 1
		.amdhsa_ieee_mode 1
		.amdhsa_fp16_overflow 0
		.amdhsa_exception_fp_ieee_invalid_op 0
		.amdhsa_exception_fp_denorm_src 0
		.amdhsa_exception_fp_ieee_div_zero 0
		.amdhsa_exception_fp_ieee_overflow 0
		.amdhsa_exception_fp_ieee_underflow 0
		.amdhsa_exception_fp_ieee_inexact 0
		.amdhsa_exception_int_div_zero 0
	.end_amdhsa_kernel
	.section	.text._ZN4vllm25paged_attention_v1_kernelIttLi128ELi32ELi128ELNS_18Fp8KVCacheDataTypeE0ELb0EEEvPT_PKS2_PKT0_S8_ifPKiSA_iPKfiiiSC_SC_iiiii,"axG",@progbits,_ZN4vllm25paged_attention_v1_kernelIttLi128ELi32ELi128ELNS_18Fp8KVCacheDataTypeE0ELb0EEEvPT_PKS2_PKT0_S8_ifPKiSA_iPKfiiiSC_SC_iiiii,comdat
.Lfunc_end105:
	.size	_ZN4vllm25paged_attention_v1_kernelIttLi128ELi32ELi128ELNS_18Fp8KVCacheDataTypeE0ELb0EEEvPT_PKS2_PKT0_S8_ifPKiSA_iPKfiiiSC_SC_iiiii, .Lfunc_end105-_ZN4vllm25paged_attention_v1_kernelIttLi128ELi32ELi128ELNS_18Fp8KVCacheDataTypeE0ELb0EEEvPT_PKS2_PKT0_S8_ifPKiSA_iPKfiiiSC_SC_iiiii
                                        ; -- End function
	.set _ZN4vllm25paged_attention_v1_kernelIttLi128ELi32ELi128ELNS_18Fp8KVCacheDataTypeE0ELb0EEEvPT_PKS2_PKT0_S8_ifPKiSA_iPKfiiiSC_SC_iiiii.num_vgpr, 59
	.set _ZN4vllm25paged_attention_v1_kernelIttLi128ELi32ELi128ELNS_18Fp8KVCacheDataTypeE0ELb0EEEvPT_PKS2_PKT0_S8_ifPKiSA_iPKfiiiSC_SC_iiiii.num_agpr, 0
	.set _ZN4vllm25paged_attention_v1_kernelIttLi128ELi32ELi128ELNS_18Fp8KVCacheDataTypeE0ELb0EEEvPT_PKS2_PKT0_S8_ifPKiSA_iPKfiiiSC_SC_iiiii.numbered_sgpr, 35
	.set _ZN4vllm25paged_attention_v1_kernelIttLi128ELi32ELi128ELNS_18Fp8KVCacheDataTypeE0ELb0EEEvPT_PKS2_PKT0_S8_ifPKiSA_iPKfiiiSC_SC_iiiii.num_named_barrier, 0
	.set _ZN4vllm25paged_attention_v1_kernelIttLi128ELi32ELi128ELNS_18Fp8KVCacheDataTypeE0ELb0EEEvPT_PKS2_PKT0_S8_ifPKiSA_iPKfiiiSC_SC_iiiii.private_seg_size, 0
	.set _ZN4vllm25paged_attention_v1_kernelIttLi128ELi32ELi128ELNS_18Fp8KVCacheDataTypeE0ELb0EEEvPT_PKS2_PKT0_S8_ifPKiSA_iPKfiiiSC_SC_iiiii.uses_vcc, 1
	.set _ZN4vllm25paged_attention_v1_kernelIttLi128ELi32ELi128ELNS_18Fp8KVCacheDataTypeE0ELb0EEEvPT_PKS2_PKT0_S8_ifPKiSA_iPKfiiiSC_SC_iiiii.uses_flat_scratch, 0
	.set _ZN4vllm25paged_attention_v1_kernelIttLi128ELi32ELi128ELNS_18Fp8KVCacheDataTypeE0ELb0EEEvPT_PKS2_PKT0_S8_ifPKiSA_iPKfiiiSC_SC_iiiii.has_dyn_sized_stack, 0
	.set _ZN4vllm25paged_attention_v1_kernelIttLi128ELi32ELi128ELNS_18Fp8KVCacheDataTypeE0ELb0EEEvPT_PKS2_PKT0_S8_ifPKiSA_iPKfiiiSC_SC_iiiii.has_recursion, 0
	.set _ZN4vllm25paged_attention_v1_kernelIttLi128ELi32ELi128ELNS_18Fp8KVCacheDataTypeE0ELb0EEEvPT_PKS2_PKT0_S8_ifPKiSA_iPKfiiiSC_SC_iiiii.has_indirect_call, 0
	.section	.AMDGPU.csdata,"",@progbits
; Kernel info:
; codeLenInByte = 7684
; TotalNumSgprs: 39
; NumVgprs: 59
; ScratchSize: 0
; MemoryBound: 0
; FloatMode: 240
; IeeeMode: 1
; LDSByteSize: 272 bytes/workgroup (compile time only)
; SGPRBlocks: 4
; VGPRBlocks: 14
; NumSGPRsForWavesPerEU: 39
; NumVGPRsForWavesPerEU: 59
; Occupancy: 4
; WaveLimiterHint : 1
; COMPUTE_PGM_RSRC2:SCRATCH_EN: 0
; COMPUTE_PGM_RSRC2:USER_SGPR: 6
; COMPUTE_PGM_RSRC2:TRAP_HANDLER: 0
; COMPUTE_PGM_RSRC2:TGID_X_EN: 1
; COMPUTE_PGM_RSRC2:TGID_Y_EN: 1
; COMPUTE_PGM_RSRC2:TGID_Z_EN: 1
; COMPUTE_PGM_RSRC2:TIDIG_COMP_CNT: 0
	.section	.text._ZN4vllm25paged_attention_v1_kernelIttLi192ELi32ELi128ELNS_18Fp8KVCacheDataTypeE0ELb0EEEvPT_PKS2_PKT0_S8_ifPKiSA_iPKfiiiSC_SC_iiiii,"axG",@progbits,_ZN4vllm25paged_attention_v1_kernelIttLi192ELi32ELi128ELNS_18Fp8KVCacheDataTypeE0ELb0EEEvPT_PKS2_PKT0_S8_ifPKiSA_iPKfiiiSC_SC_iiiii,comdat
	.protected	_ZN4vllm25paged_attention_v1_kernelIttLi192ELi32ELi128ELNS_18Fp8KVCacheDataTypeE0ELb0EEEvPT_PKS2_PKT0_S8_ifPKiSA_iPKfiiiSC_SC_iiiii ; -- Begin function _ZN4vllm25paged_attention_v1_kernelIttLi192ELi32ELi128ELNS_18Fp8KVCacheDataTypeE0ELb0EEEvPT_PKS2_PKT0_S8_ifPKiSA_iPKfiiiSC_SC_iiiii
	.globl	_ZN4vllm25paged_attention_v1_kernelIttLi192ELi32ELi128ELNS_18Fp8KVCacheDataTypeE0ELb0EEEvPT_PKS2_PKT0_S8_ifPKiSA_iPKfiiiSC_SC_iiiii
	.p2align	8
	.type	_ZN4vllm25paged_attention_v1_kernelIttLi192ELi32ELi128ELNS_18Fp8KVCacheDataTypeE0ELb0EEEvPT_PKS2_PKT0_S8_ifPKiSA_iPKfiiiSC_SC_iiiii,@function
_ZN4vllm25paged_attention_v1_kernelIttLi192ELi32ELi128ELNS_18Fp8KVCacheDataTypeE0ELb0EEEvPT_PKS2_PKT0_S8_ifPKiSA_iPKfiiiSC_SC_iiiii: ; @_ZN4vllm25paged_attention_v1_kernelIttLi192ELi32ELi128ELNS_18Fp8KVCacheDataTypeE0ELb0EEEvPT_PKS2_PKT0_S8_ifPKiSA_iPKfiiiSC_SC_iiiii
; %bb.0:
	s_mov_b64 s[38:39], s[2:3]
	s_mov_b64 s[36:37], s[0:1]
	s_add_u32 s36, s36, s9
	s_load_dword s9, s[4:5], 0x80
	s_load_dwordx2 s[0:1], s[4:5], 0x30
	s_load_dwordx2 s[26:27], s[4:5], 0x20
	s_addc_u32 s37, s37, 0
	s_mov_b32 s10, s7
	s_ashr_i32 s11, s7, 31
	s_lshl_b64 s[2:3], s[10:11], 2
	s_waitcnt lgkmcnt(0)
	s_add_u32 s0, s0, s2
	s_addc_u32 s1, s1, s3
	s_abs_i32 s2, s26
	v_mov_b32_e32 v49, v0
	v_cvt_f32_u32_e32 v0, s2
	s_sub_i32 s11, 0, s2
	s_abs_i32 s7, s9
	s_xor_b32 s3, s9, s26
	v_rcp_iflag_f32_e32 v0, v0
	s_ashr_i32 s3, s3, 31
	s_mov_b32 s26, 0
	v_mul_f32_e32 v0, 0x4f7ffffe, v0
	v_cvt_u32_f32_e32 v0, v0
	v_readfirstlane_b32 s12, v0
	s_mul_i32 s11, s11, s12
	s_mul_hi_u32 s11, s12, s11
	s_add_i32 s12, s12, s11
	s_mul_hi_u32 s11, s7, s12
	s_mul_i32 s12, s11, s2
	s_sub_i32 s7, s7, s12
	s_add_i32 s12, s11, 1
	s_sub_i32 s13, s7, s2
	s_cmp_ge_u32 s7, s2
	s_cselect_b32 s11, s12, s11
	s_cselect_b32 s7, s13, s7
	s_add_i32 s12, s11, 1
	s_cmp_ge_u32 s7, s2
	s_cselect_b32 s2, s12, s11
	s_xor_b32 s2, s2, s3
	s_sub_i32 s12, s2, s3
	s_abs_i32 s11, s12
	v_cvt_f32_u32_e32 v0, s11
	s_load_dwordx2 s[2:3], s[4:5], 0x40
	s_sub_i32 s7, 0, s11
	s_abs_i32 s18, s6
	v_rcp_iflag_f32_e32 v0, v0
	v_mul_f32_e32 v0, 0x4f7ffffe, v0
	v_cvt_u32_f32_e32 v0, v0
	v_readfirstlane_b32 s13, v0
	s_mul_i32 s7, s7, s13
	s_mul_hi_u32 s7, s13, s7
	s_add_i32 s13, s13, s7
	s_waitcnt lgkmcnt(0)
	s_cmp_eq_u64 s[2:3], 0
	s_mul_hi_u32 s19, s18, s13
	s_cbranch_scc1 .LBB106_2
; %bb.1:
	s_ashr_i32 s7, s6, 31
	s_lshl_b64 s[14:15], s[6:7], 2
	s_add_u32 s2, s2, s14
	s_addc_u32 s3, s3, s15
	s_load_dword s26, s[2:3], 0x0
.LBB106_2:
	s_load_dword s33, s[0:1], 0x0
	s_ashr_i32 s3, s12, 31
	s_load_dwordx4 s[12:15], s[4:5], 0x48
	s_ashr_i32 s2, s6, 31
	v_and_b32_e32 v1, 1, v49
	s_movk_i32 s7, 0xc0
	s_mul_i32 s16, s6, 0xc0
	v_cmp_gt_u32_e32 vcc, 48, v49
	v_lshlrev_b32_e32 v9, 3, v49
	s_and_saveexec_b64 s[0:1], vcc
	s_cbranch_execz .LBB106_4
; %bb.3:
	s_load_dwordx2 s[20:21], s[4:5], 0x8
	s_waitcnt lgkmcnt(0)
	s_mul_i32 s22, s12, s10
	s_ashr_i32 s23, s22, 31
	s_lshl_b64 s[22:23], s[22:23], 1
	v_lshlrev_b32_e32 v0, 2, v49
	s_add_u32 s6, s20, s22
	s_addc_u32 s12, s21, s23
	s_ashr_i32 s17, s16, 31
	s_lshl_b64 s[20:21], s[16:17], 1
	s_add_u32 s20, s6, s20
	s_addc_u32 s21, s12, s21
	global_load_dwordx2 v[2:3], v9, s[20:21]
	v_and_b32_e32 v0, 0xff8, v0
	v_mad_u32_u24 v0, v1, s7, v0
	s_waitcnt vmcnt(0)
	ds_write_b64 v0, v[2:3]
.LBB106_4:
	s_or_b64 exec, exec, s[0:1]
	s_waitcnt lgkmcnt(0)
	s_add_i32 s1, s33, 31
	s_ashr_i32 s6, s1, 31
	s_lshr_b32 s6, s6, 27
	s_add_i32 s1, s1, s6
	s_ashr_i32 s12, s1, 5
	s_xor_b32 s1, s2, s3
	s_mul_i32 s2, s19, s11
	s_sub_i32 s2, s18, s2
	s_add_i32 s3, s19, 1
	s_sub_i32 s6, s2, s11
	s_load_dwordx2 s[20:21], s[4:5], 0x28
	s_load_dword s0, s[4:5], 0x38
	s_cmp_ge_u32 s2, s11
	s_cselect_b32 s3, s3, s19
	s_cselect_b32 s2, s6, s2
	s_add_i32 s6, s3, 1
	s_cmp_ge_u32 s2, s11
	s_cselect_b32 s2, s6, s3
	v_lshrrev_b32_e32 v62, 6, v49
	s_xor_b32 s2, s2, s1
	s_waitcnt lgkmcnt(0)
	s_mul_i32 s22, s0, s10
	s_sub_i32 s15, s2, s1
	s_ashr_i32 s23, s22, 31
	v_cmp_gt_i32_e64 s[0:1], s12, v62
	v_cmp_le_i32_e32 vcc, s12, v62
	v_mbcnt_lo_u32_b32 v3, -1, 0
                                        ; implicit-def: $vgpr0
	s_barrier
                                        ; kill: killed $vgpr0
                                        ; implicit-def: $vgpr12
                                        ; implicit-def: $vgpr0
                                        ; kill: killed $vgpr0
	s_and_saveexec_b64 s[2:3], vcc
	s_xor_b64 s[2:3], exec, s[2:3]
	s_cbranch_execz .LBB106_6
; %bb.5:
	v_mbcnt_hi_u32_b32 v0, -1, v3
	v_and_b32_e32 v12, 64, v0
	buffer_store_dword v0, off, s[36:39], 0 offset:4 ; 4-byte Folded Spill
	v_add_u32_e32 v0, 64, v12
	buffer_store_dword v0, off, s[36:39], 0 offset:8 ; 4-byte Folded Spill
                                        ; implicit-def: $vgpr1
                                        ; implicit-def: $vgpr3
.LBB106_6:
	s_or_saveexec_b64 s[6:7], s[2:3]
	s_load_dwordx2 s[18:19], s[4:5], 0x0
	s_load_dwordx2 s[24:25], s[4:5], 0x18
	s_load_dword s11, s[4:5], 0x88
	v_mov_b32_e32 v2, 0xff7fffff
	s_mul_i32 s14, s15, s14
	v_lshrrev_b32_e32 v30, 4, v49
	s_xor_b64 exec, exec, s[6:7]
	s_cbranch_execz .LBB106_12
; %bb.7:
	s_load_dwordx2 s[2:3], s[4:5], 0x10
	s_ashr_i32 s15, s14, 31
	s_lshl_b64 s[4:5], s[14:15], 1
	v_bfe_u32 v2, v49, 1, 5
	v_lshlrev_b32_e32 v0, 4, v2
	s_waitcnt lgkmcnt(0)
	s_add_u32 s2, s2, s4
	s_addc_u32 s3, s3, s5
	v_mov_b32_e32 v4, s3
	v_add_co_u32_e32 v0, vcc, s2, v0
	v_addc_co_u32_e32 v4, vcc, 0, v4, vcc
	v_and_b32_e32 v5, 8, v9
	v_add_co_u32_e32 v0, vcc, v0, v5
	buffer_store_dword v0, off, s[36:39], 0 offset:16 ; 4-byte Folded Spill
	v_addc_co_u32_e32 v0, vcc, 0, v4, vcc
	buffer_store_dword v0, off, s[36:39], 0 offset:20 ; 4-byte Folded Spill
	v_mul_u32_u24_e32 v58, 0xc0, v1
	v_cmp_eq_u32_e32 vcc, 0, v1
	s_sub_i32 s15, 1, s33
	v_lshlrev_b32_e32 v1, 2, v2
	s_lshl_b64 s[4:5], s[22:23], 2
	v_mov_b32_e32 v0, 0xff7fffff
	v_lshl_or_b32 v1, v62, 7, v1
	s_add_u32 s4, s20, s4
	buffer_store_dword v0, off, s[36:39], 0 offset:12 ; 4-byte Folded Spill
	v_mbcnt_hi_u32_b32 v0, -1, v3
	v_add_u32_e32 v6, 0x190, v1
	v_and_b32_e32 v1, 60, v30
	s_addc_u32 s5, s21, s5
	v_xor_b32_e32 v3, 1, v0
	buffer_store_dword v49, off, s[36:39], 0 offset:28 ; 4-byte Folded Spill
	buffer_store_dword v9, off, s[36:39], 0 offset:36 ; 4-byte Folded Spill
	v_lshl_or_b32 v59, v62, 5, v2
	buffer_store_dword v30, off, s[36:39], 0 offset:40 ; 4-byte Folded Spill
	v_mov_b32_e32 v2, s5
	v_add_co_u32_e64 v1, s[4:5], s4, v1
	buffer_store_dword v3, off, s[36:39], 0 offset:24 ; 4-byte Folded Spill
	buffer_store_dword v0, off, s[36:39], 0 offset:4 ; 4-byte Folded Spill
	v_and_b32_e32 v0, 64, v0
	s_mov_b32 s17, s13
	v_cmp_neq_f32_e64 s[2:3], s26, 0
	v_addc_co_u32_e64 v2, s[4:5], 0, v2, s[4:5]
	s_mov_b64 s[28:29], 0
	s_movk_i32 s34, 0x1000
	s_movk_i32 s35, 0x2000
	buffer_store_dword v0, off, s[36:39], 0 offset:44 ; 4-byte Folded Spill
	v_add_u32_e32 v0, 64, v0
	buffer_store_dword v0, off, s[36:39], 0 offset:8 ; 4-byte Folded Spill
	buffer_store_dword v62, off, s[36:39], 0 offset:32 ; 4-byte Folded Spill
	s_branch .LBB106_9
.LBB106_8:                              ;   in Loop: Header=BB106_9 Depth=1
	s_or_b64 exec, exec, s[30:31]
	v_add_u32_e32 v62, 2, v62
	v_cmp_le_i32_e64 s[4:5], s12, v62
	s_or_b64 s[28:29], s[4:5], s[28:29]
	v_add_co_u32_e64 v1, s[4:5], 8, v1
	v_add_u32_e32 v59, 64, v59
	v_add_u32_e32 v6, 0x100, v6
	v_addc_co_u32_e64 v2, s[4:5], 0, v2, s[4:5]
	s_andn2_b64 exec, exec, s[28:29]
	s_cbranch_execz .LBB106_11
.LBB106_9:                              ; =>This Inner Loop Header: Depth=1
	global_load_dword v3, v[1:2], off
	buffer_load_dword v0, off, s[36:39], 0 offset:16 ; 4-byte Folded Reload
	s_waitcnt vmcnt(1) lgkmcnt(0)
	v_mad_i64_i32 v[3:4], s[4:5], v3, s17, 0
	buffer_store_dword v6, off, s[36:39], 0 ; 4-byte Folded Spill
	v_lshlrev_b64 v[3:4], 1, v[3:4]
	s_waitcnt vmcnt(1)
	v_add_co_u32_e64 v3, s[4:5], v0, v3
	buffer_load_dword v0, off, s[36:39], 0 offset:20 ; 4-byte Folded Reload
	s_waitcnt vmcnt(0)
	v_addc_co_u32_e64 v4, s[4:5], v0, v4, s[4:5]
	global_load_dwordx2 v[5:6], v[3:4], off
	global_load_dwordx2 v[47:48], v[3:4], off offset:512
	global_load_dwordx2 v[45:46], v[3:4], off offset:1024
	;; [unrolled: 1-line block ×3, first 2 shown]
	ds_read_b64 v[7:8], v58
	s_waitcnt lgkmcnt(0)
	v_lshrrev_b32_e32 v0, 16, v7
	v_and_b32_e32 v49, 0xffff, v7
	v_add_co_u32_e64 v7, s[4:5], s34, v3
	v_lshrrev_b32_e32 v52, 16, v8
	v_and_b32_e32 v54, 0xffff, v8
	v_addc_co_u32_e64 v8, s[4:5], 0, v4, s[4:5]
	v_add_co_u32_e64 v50, s[4:5], s35, v3
	v_addc_co_u32_e64 v51, s[4:5], 0, v4, s[4:5]
	global_load_dwordx2 v[41:42], v[3:4], off offset:2048
	global_load_dwordx2 v[39:40], v[3:4], off offset:2560
	;; [unrolled: 1-line block ×11, first 2 shown]
	global_load_dwordx2 v[33:34], v[50:51], off offset:-4096
	global_load_dwordx2 v[17:18], v[50:51], off
	global_load_dwordx2 v[15:16], v[50:51], off offset:512
	global_load_dwordx2 v[13:14], v[50:51], off offset:1024
	;; [unrolled: 1-line block ×3, first 2 shown]
	s_waitcnt vmcnt(19)
	v_lshrrev_b32_e32 v55, 16, v5
	v_and_b32_e32 v57, 0xffff, v5
	v_lshrrev_b32_e32 v63, 16, v6
	v_and_b32_e32 v60, 0xffff, v6
	global_load_dwordx2 v[9:10], v[50:51], off offset:2048
	global_load_dwordx2 v[7:8], v[50:51], off offset:2560
	;; [unrolled: 1-line block ×4, first 2 shown]
	;;#ASMSTART
	v_cvt_f32_f16 v53, v49;
	;;#ASMEND
	;;#ASMSTART
	v_cvt_f32_f16 v56, v0;
	;;#ASMEND
	;; [unrolled: 3-line block ×8, first 2 shown]
	ds_read_b64 v[50:51], v58 offset:8
	s_waitcnt lgkmcnt(0)
	v_and_b32_e32 v49, 0xffff, v50
	;;#ASMSTART
	v_cvt_f32_f16 v63, v49;
	;;#ASMEND
	v_lshrrev_b32_e32 v49, 16, v50
	;;#ASMSTART
	v_cvt_f32_f16 v50, v49;
	;;#ASMEND
	s_waitcnt vmcnt(22)
	v_and_b32_e32 v49, 0xffff, v47
	v_lshrrev_b32_e32 v47, 16, v47
	;;#ASMSTART
	v_cvt_f32_f16 v49, v49;
	;;#ASMEND
	;;#ASMSTART
	v_cvt_f32_f16 v47, v47;
	;;#ASMEND
	v_mul_f32_e32 v63, v63, v49
	v_mul_f32_e32 v47, v50, v47
	v_fmac_f32_e32 v63, v53, v57
	v_fmac_f32_e32 v47, v56, v0
	v_and_b32_e32 v50, 0xffff, v48
	v_lshrrev_b32_e32 v53, 16, v48
	v_lshrrev_b32_e32 v48, 16, v51
	v_and_b32_e32 v0, 0xffff, v51
	;;#ASMSTART
	v_cvt_f32_f16 v0, v0;
	;;#ASMEND
	;;#ASMSTART
	v_cvt_f32_f16 v49, v48;
	;;#ASMEND
	;; [unrolled: 3-line block ×3, first 2 shown]
	v_mul_f32_e32 v48, v0, v48
	;;#ASMSTART
	v_cvt_f32_f16 v0, v53;
	;;#ASMEND
	ds_read_b64 v[56:57], v58 offset:16
	v_mul_f32_e32 v51, v49, v0
	s_waitcnt vmcnt(21)
	v_and_b32_e32 v50, 0xffff, v45
	v_fmac_f32_e32 v51, v54, v52
	s_waitcnt vmcnt(20)
	v_and_b32_e32 v52, 0xffff, v44
	s_waitcnt lgkmcnt(0)
	v_and_b32_e32 v0, 0xffff, v56
	v_lshrrev_b32_e32 v49, 16, v56
	;;#ASMSTART
	v_cvt_f32_f16 v0, v0;
	;;#ASMEND
	;;#ASMSTART
	v_cvt_f32_f16 v49, v49;
	;;#ASMEND
	;;#ASMSTART
	v_cvt_f32_f16 v50, v50;
	;;#ASMEND
	v_fmac_f32_e32 v63, v0, v50
	v_lshrrev_b32_e32 v0, 16, v45
	;;#ASMSTART
	v_cvt_f32_f16 v0, v0;
	;;#ASMEND
	v_and_b32_e32 v45, 0xffff, v46
	v_fmac_f32_e32 v47, v49, v0
	v_and_b32_e32 v49, 0xffff, v43
	v_lshrrev_b32_e32 v50, 16, v43
	v_lshrrev_b32_e32 v43, 16, v57
	v_and_b32_e32 v0, 0xffff, v57
	v_lshrrev_b32_e32 v46, 16, v46
	v_lshrrev_b32_e32 v54, 16, v44
	;;#ASMSTART
	v_cvt_f32_f16 v0, v0;
	;;#ASMEND
	;;#ASMSTART
	v_cvt_f32_f16 v43, v43;
	;;#ASMEND
	;; [unrolled: 3-line block ×4, first 2 shown]
	ds_read_b64 v[56:57], v58 offset:24
	v_fmac_f32_e32 v48, v61, v55
	v_fmac_f32_e32 v48, v0, v44
	;; [unrolled: 1-line block ×3, first 2 shown]
	s_waitcnt vmcnt(18)
	v_and_b32_e32 v45, 0xffff, v40
	s_waitcnt lgkmcnt(0)
	v_and_b32_e32 v0, 0xffff, v56
	v_lshrrev_b32_e32 v43, 16, v56
	;;#ASMSTART
	v_cvt_f32_f16 v0, v0;
	;;#ASMEND
	;;#ASMSTART
	v_cvt_f32_f16 v43, v43;
	;;#ASMEND
	;;#ASMSTART
	v_cvt_f32_f16 v44, v49;
	;;#ASMEND
	v_fmac_f32_e32 v63, v0, v44
	;;#ASMSTART
	v_cvt_f32_f16 v0, v50;
	;;#ASMEND
	v_fmac_f32_e32 v47, v43, v0
	v_and_b32_e32 v43, 0xffff, v39
	v_lshrrev_b32_e32 v44, 16, v39
	v_lshrrev_b32_e32 v39, 16, v57
	v_and_b32_e32 v0, 0xffff, v57
	;;#ASMSTART
	v_cvt_f32_f16 v0, v0;
	;;#ASMEND
	;;#ASMSTART
	v_cvt_f32_f16 v49, v39;
	;;#ASMEND
	;; [unrolled: 3-line block ×3, first 2 shown]
	v_lshrrev_b32_e32 v46, 16, v40
	;;#ASMSTART
	v_cvt_f32_f16 v50, v54;
	;;#ASMEND
	v_fmac_f32_e32 v48, v0, v39
	ds_read_b64 v[39:40], v58 offset:32
	v_and_b32_e32 v55, 0xffff, v41
	v_lshrrev_b32_e32 v53, 16, v41
	v_fmac_f32_e32 v51, v49, v50
	v_and_b32_e32 v41, 0xffff, v42
	s_waitcnt lgkmcnt(0)
	v_and_b32_e32 v0, 0xffff, v39
	v_lshrrev_b32_e32 v39, 16, v39
	;;#ASMSTART
	v_cvt_f32_f16 v0, v0;
	;;#ASMEND
	;;#ASMSTART
	v_cvt_f32_f16 v49, v39;
	;;#ASMEND
	;; [unrolled: 3-line block ×3, first 2 shown]
	v_fmac_f32_e32 v63, v0, v39
	;;#ASMSTART
	v_cvt_f32_f16 v0, v53;
	;;#ASMEND
	v_fmac_f32_e32 v47, v49, v0
	s_waitcnt vmcnt(16)
	v_and_b32_e32 v53, 0xffff, v35
	v_lshrrev_b32_e32 v49, 16, v35
	v_lshrrev_b32_e32 v35, 16, v40
	v_and_b32_e32 v0, 0xffff, v40
	;;#ASMSTART
	v_cvt_f32_f16 v0, v0;
	;;#ASMEND
	;;#ASMSTART
	v_cvt_f32_f16 v40, v35;
	;;#ASMEND
	;; [unrolled: 3-line block ×3, first 2 shown]
	v_lshrrev_b32_e32 v42, 16, v42
	v_and_b32_e32 v52, 0xffff, v36
	v_lshrrev_b32_e32 v54, 16, v36
	;;#ASMSTART
	v_cvt_f32_f16 v41, v42;
	;;#ASMEND
	v_fmac_f32_e32 v48, v0, v35
	ds_read_b64 v[35:36], v58 offset:40
	v_fmac_f32_e32 v51, v40, v41
	v_and_b32_e32 v39, 0xffff, v37
	v_lshrrev_b32_e32 v37, 16, v37
	v_and_b32_e32 v50, 0xffff, v38
	s_waitcnt lgkmcnt(0)
	v_and_b32_e32 v0, 0xffff, v35
	v_lshrrev_b32_e32 v35, 16, v35
	v_lshrrev_b32_e32 v55, 16, v36
	v_and_b32_e32 v36, 0xffff, v36
	;;#ASMSTART
	v_cvt_f32_f16 v0, v0;
	;;#ASMEND
	;;#ASMSTART
	v_cvt_f32_f16 v40, v35;
	;;#ASMEND
	;; [unrolled: 3-line block ×8, first 2 shown]
	v_fmac_f32_e32 v63, v0, v35
	ds_read_b64 v[35:36], v58 offset:48
	v_lshrrev_b32_e32 v38, 16, v38
	s_waitcnt vmcnt(8)
	v_and_b32_e32 v46, 0xffff, v33
	v_lshrrev_b32_e32 v55, 16, v33
	v_fmac_f32_e32 v47, v40, v41
	s_waitcnt lgkmcnt(0)
	v_and_b32_e32 v0, 0xffff, v35
	v_lshrrev_b32_e32 v33, 16, v35
	v_lshrrev_b32_e32 v35, 16, v36
	v_and_b32_e32 v36, 0xffff, v36
	v_fmac_f32_e32 v48, v42, v44
	;;#ASMSTART
	v_cvt_f32_f16 v0, v0;
	;;#ASMEND
	;;#ASMSTART
	v_cvt_f32_f16 v33, v33;
	;;#ASMEND
	;;#ASMSTART
	v_cvt_f32_f16 v39, v39;
	;;#ASMEND
	;;#ASMSTART
	v_cvt_f32_f16 v37, v37;
	;;#ASMEND
	;;#ASMSTART
	v_cvt_f32_f16 v40, v36;
	;;#ASMEND
	;;#ASMSTART
	v_cvt_f32_f16 v41, v35;
	;;#ASMEND
	;;#ASMSTART
	v_cvt_f32_f16 v42, v50;
	;;#ASMEND
	;;#ASMSTART
	v_cvt_f32_f16 v38, v38;
	;;#ASMEND
	ds_read_b64 v[35:36], v58 offset:56
	v_fmac_f32_e32 v51, v43, v45
	v_fmac_f32_e32 v63, v0, v39
	;; [unrolled: 1-line block ×4, first 2 shown]
	s_waitcnt lgkmcnt(0)
	v_and_b32_e32 v0, 0xffff, v35
	v_lshrrev_b32_e32 v33, 16, v35
	v_lshrrev_b32_e32 v35, 16, v36
	v_and_b32_e32 v36, 0xffff, v36
	v_fmac_f32_e32 v51, v41, v38
	;;#ASMSTART
	v_cvt_f32_f16 v0, v0;
	;;#ASMEND
	;;#ASMSTART
	v_cvt_f32_f16 v33, v33;
	;;#ASMEND
	;; [unrolled: 3-line block ×8, first 2 shown]
	ds_read_b64 v[35:36], v58 offset:64
	v_fmac_f32_e32 v63, v0, v37
	v_fmac_f32_e32 v47, v33, v38
	;; [unrolled: 1-line block ×4, first 2 shown]
	s_waitcnt lgkmcnt(0)
	v_and_b32_e32 v0, 0xffff, v35
	v_lshrrev_b32_e32 v33, 16, v35
	;;#ASMSTART
	v_cvt_f32_f16 v0, v0;
	;;#ASMEND
	;;#ASMSTART
	v_cvt_f32_f16 v35, v33;
	;;#ASMEND
	v_lshrrev_b32_e32 v33, 16, v36
	v_and_b32_e32 v36, 0xffff, v36
	;;#ASMSTART
	v_cvt_f32_f16 v37, v46;
	;;#ASMEND
	;;#ASMSTART
	v_cvt_f32_f16 v38, v55;
	;;#ASMEND
	;; [unrolled: 3-line block ×4, first 2 shown]
	v_and_b32_e32 v33, 0xffff, v34
	;;#ASMSTART
	v_cvt_f32_f16 v40, v33;
	;;#ASMEND
	v_lshrrev_b32_e32 v33, 16, v34
	;;#ASMSTART
	v_cvt_f32_f16 v41, v33;
	;;#ASMEND
	ds_read_b64 v[33:34], v58 offset:72
	v_fmac_f32_e32 v63, v0, v37
	v_fmac_f32_e32 v47, v35, v38
	v_and_b32_e32 v35, 0xffff, v31
	v_lshrrev_b32_e32 v31, 16, v31
	s_waitcnt lgkmcnt(0)
	v_and_b32_e32 v0, 0xffff, v33
	v_lshrrev_b32_e32 v33, 16, v33
	v_fmac_f32_e32 v48, v36, v40
	;;#ASMSTART
	v_cvt_f32_f16 v0, v0;
	;;#ASMEND
	;;#ASMSTART
	v_cvt_f32_f16 v33, v33;
	;;#ASMEND
	;;#ASMSTART
	v_cvt_f32_f16 v35, v35;
	;;#ASMEND
	;;#ASMSTART
	v_cvt_f32_f16 v36, v31;
	;;#ASMEND
	v_lshrrev_b32_e32 v31, 16, v34
	v_and_b32_e32 v34, 0xffff, v34
	;;#ASMSTART
	v_cvt_f32_f16 v34, v34;
	;;#ASMEND
	;;#ASMSTART
	v_cvt_f32_f16 v37, v31;
	;;#ASMEND
	v_and_b32_e32 v31, 0xffff, v32
	;;#ASMSTART
	v_cvt_f32_f16 v38, v31;
	;;#ASMEND
	v_lshrrev_b32_e32 v31, 16, v32
	v_fmac_f32_e32 v51, v39, v41
	;;#ASMSTART
	v_cvt_f32_f16 v39, v31;
	;;#ASMEND
	ds_read_b64 v[31:32], v58 offset:80
	v_fmac_f32_e32 v63, v0, v35
	v_fmac_f32_e32 v47, v33, v36
	v_and_b32_e32 v33, 0xffff, v29
	v_lshrrev_b32_e32 v29, 16, v29
	s_waitcnt lgkmcnt(0)
	v_and_b32_e32 v0, 0xffff, v31
	v_lshrrev_b32_e32 v31, 16, v31
	v_fmac_f32_e32 v48, v34, v38
	;;#ASMSTART
	v_cvt_f32_f16 v0, v0;
	;;#ASMEND
	;;#ASMSTART
	v_cvt_f32_f16 v31, v31;
	;;#ASMEND
	;;#ASMSTART
	v_cvt_f32_f16 v33, v33;
	;;#ASMEND
	;;#ASMSTART
	v_cvt_f32_f16 v34, v29;
	;;#ASMEND
	v_lshrrev_b32_e32 v29, 16, v32
	v_and_b32_e32 v32, 0xffff, v32
	;;#ASMSTART
	v_cvt_f32_f16 v32, v32;
	;;#ASMEND
	;;#ASMSTART
	v_cvt_f32_f16 v35, v29;
	;;#ASMEND
	v_and_b32_e32 v29, 0xffff, v30
	;;#ASMSTART
	v_cvt_f32_f16 v36, v29;
	;;#ASMEND
	v_lshrrev_b32_e32 v29, 16, v30
	v_fmac_f32_e32 v51, v37, v39
	;; [unrolled: 38-line block ×7, first 2 shown]
	;;#ASMSTART
	v_cvt_f32_f16 v27, v19;
	;;#ASMEND
	ds_read_b64 v[19:20], v58 offset:128
	v_fmac_f32_e32 v63, v0, v23
	v_fmac_f32_e32 v47, v21, v24
	s_waitcnt vmcnt(7)
	v_and_b32_e32 v21, 0xffff, v17
	v_lshrrev_b32_e32 v17, 16, v17
	s_waitcnt lgkmcnt(0)
	v_and_b32_e32 v0, 0xffff, v19
	v_lshrrev_b32_e32 v19, 16, v19
	v_fmac_f32_e32 v48, v22, v26
	;;#ASMSTART
	v_cvt_f32_f16 v0, v0;
	;;#ASMEND
	;;#ASMSTART
	v_cvt_f32_f16 v19, v19;
	;;#ASMEND
	;;#ASMSTART
	v_cvt_f32_f16 v21, v21;
	;;#ASMEND
	;;#ASMSTART
	v_cvt_f32_f16 v22, v17;
	;;#ASMEND
	v_lshrrev_b32_e32 v17, 16, v20
	v_and_b32_e32 v20, 0xffff, v20
	;;#ASMSTART
	v_cvt_f32_f16 v20, v20;
	;;#ASMEND
	;;#ASMSTART
	v_cvt_f32_f16 v23, v17;
	;;#ASMEND
	v_and_b32_e32 v17, 0xffff, v18
	;;#ASMSTART
	v_cvt_f32_f16 v24, v17;
	;;#ASMEND
	v_lshrrev_b32_e32 v17, 16, v18
	v_fmac_f32_e32 v51, v25, v27
	;;#ASMSTART
	v_cvt_f32_f16 v25, v17;
	;;#ASMEND
	ds_read_b64 v[17:18], v58 offset:136
	v_fmac_f32_e32 v63, v0, v21
	v_fmac_f32_e32 v47, v19, v22
	s_waitcnt vmcnt(6)
	v_and_b32_e32 v19, 0xffff, v15
	v_lshrrev_b32_e32 v15, 16, v15
	s_waitcnt lgkmcnt(0)
	v_and_b32_e32 v0, 0xffff, v17
	v_lshrrev_b32_e32 v17, 16, v17
	v_fmac_f32_e32 v48, v20, v24
	;;#ASMSTART
	v_cvt_f32_f16 v0, v0;
	;;#ASMEND
	;;#ASMSTART
	v_cvt_f32_f16 v17, v17;
	;;#ASMEND
	;;#ASMSTART
	v_cvt_f32_f16 v19, v19;
	;;#ASMEND
	;;#ASMSTART
	v_cvt_f32_f16 v20, v15;
	;;#ASMEND
	v_lshrrev_b32_e32 v15, 16, v18
	v_and_b32_e32 v18, 0xffff, v18
	;;#ASMSTART
	v_cvt_f32_f16 v18, v18;
	;;#ASMEND
	;;#ASMSTART
	v_cvt_f32_f16 v21, v15;
	;;#ASMEND
	v_and_b32_e32 v15, 0xffff, v16
	;;#ASMSTART
	v_cvt_f32_f16 v22, v15;
	;;#ASMEND
	v_lshrrev_b32_e32 v15, 16, v16
	v_fmac_f32_e32 v51, v23, v25
	;; [unrolled: 39-line block ×5, first 2 shown]
	;;#ASMSTART
	v_cvt_f32_f16 v17, v9;
	;;#ASMEND
	ds_read_b64 v[9:10], v58 offset:168
	v_fmac_f32_e32 v63, v0, v13
	v_fmac_f32_e32 v47, v11, v14
	s_waitcnt vmcnt(2)
	v_and_b32_e32 v11, 0xffff, v7
	v_lshrrev_b32_e32 v7, 16, v7
	s_waitcnt lgkmcnt(0)
	v_and_b32_e32 v0, 0xffff, v9
	v_lshrrev_b32_e32 v9, 16, v9
	v_fmac_f32_e32 v48, v12, v16
	v_fmac_f32_e32 v51, v15, v17
	;;#ASMSTART
	v_cvt_f32_f16 v0, v0;
	;;#ASMEND
	;;#ASMSTART
	v_cvt_f32_f16 v9, v9;
	;;#ASMEND
	;; [unrolled: 3-line block ×4, first 2 shown]
	v_lshrrev_b32_e32 v7, 16, v10
	v_and_b32_e32 v10, 0xffff, v10
	v_lshrrev_b32_e32 v15, 16, v8
	v_and_b32_e32 v8, 0xffff, v8
	;;#ASMSTART
	v_cvt_f32_f16 v10, v10;
	;;#ASMEND
	;;#ASMSTART
	v_cvt_f32_f16 v13, v7;
	;;#ASMEND
	;;#ASMSTART
	v_cvt_f32_f16 v14, v8;
	;;#ASMEND
	;;#ASMSTART
	v_cvt_f32_f16 v15, v15;
	;;#ASMEND
	ds_read_b64 v[7:8], v58 offset:176
	v_fmac_f32_e32 v63, v0, v11
	v_fmac_f32_e32 v47, v9, v12
	;; [unrolled: 1-line block ×4, first 2 shown]
	s_waitcnt lgkmcnt(0)
	v_lshrrev_b32_e32 v9, 16, v7
	v_and_b32_e32 v0, 0xffff, v7
	;;#ASMSTART
	v_cvt_f32_f16 v0, v0;
	;;#ASMEND
	;;#ASMSTART
	v_cvt_f32_f16 v7, v9;
	;;#ASMEND
	s_waitcnt vmcnt(1)
	v_and_b32_e32 v9, 0xffff, v5
	v_lshrrev_b32_e32 v5, 16, v5
	;;#ASMSTART
	v_cvt_f32_f16 v9, v9;
	;;#ASMEND
	;;#ASMSTART
	v_cvt_f32_f16 v10, v5;
	;;#ASMEND
	v_lshrrev_b32_e32 v5, 16, v8
	v_and_b32_e32 v8, 0xffff, v8
	;;#ASMSTART
	v_cvt_f32_f16 v8, v8;
	;;#ASMEND
	;;#ASMSTART
	v_cvt_f32_f16 v11, v5;
	;;#ASMEND
	v_lshrrev_b32_e32 v5, 16, v6
	v_and_b32_e32 v6, 0xffff, v6
	;;#ASMSTART
	v_cvt_f32_f16 v12, v6;
	;;#ASMEND
	;;#ASMSTART
	v_cvt_f32_f16 v13, v5;
	;;#ASMEND
	ds_read_b64 v[5:6], v58 offset:184
	v_fmac_f32_e32 v63, v0, v9
	v_fmac_f32_e32 v47, v7, v10
	;; [unrolled: 1-line block ×4, first 2 shown]
	s_waitcnt lgkmcnt(0)
	v_lshrrev_b32_e32 v7, 16, v5
	v_and_b32_e32 v0, 0xffff, v5
	;;#ASMSTART
	v_cvt_f32_f16 v0, v0;
	;;#ASMEND
	;;#ASMSTART
	v_cvt_f32_f16 v5, v7;
	;;#ASMEND
	s_waitcnt vmcnt(0)
	v_lshrrev_b32_e32 v7, 16, v3
	v_and_b32_e32 v3, 0xffff, v3
	;;#ASMSTART
	v_cvt_f32_f16 v3, v3;
	;;#ASMEND
	v_fmac_f32_e32 v63, v0, v3
	v_and_b32_e32 v0, 0xffff, v6
	;;#ASMSTART
	v_cvt_f32_f16 v7, v7;
	;;#ASMEND
	v_fmac_f32_e32 v47, v5, v7
	v_lshrrev_b32_e32 v3, 16, v6
	buffer_load_dword v6, off, s[36:39], 0  ; 4-byte Folded Reload
	;;#ASMSTART
	v_cvt_f32_f16 v0, v0;
	;;#ASMEND
	v_lshrrev_b32_e32 v5, 16, v4
	v_and_b32_e32 v4, 0xffff, v4
	;;#ASMSTART
	v_cvt_f32_f16 v3, v3;
	;;#ASMEND
	;;#ASMSTART
	v_cvt_f32_f16 v4, v4;
	;;#ASMEND
	v_fmac_f32_e32 v48, v0, v4
	v_add_f32_e32 v0, v63, v47
	;;#ASMSTART
	v_cvt_f32_f16 v5, v5;
	;;#ASMEND
	v_fmac_f32_e32 v51, v3, v5
	v_add_f32_e32 v0, v0, v48
	v_add_f32_e32 v3, v51, v0
	buffer_load_dword v0, off, s[36:39], 0 offset:8 ; 4-byte Folded Reload
	buffer_load_dword v4, off, s[36:39], 0 offset:24 ; 4-byte Folded Reload
	s_waitcnt vmcnt(0)
	v_cmp_lt_i32_e64 s[4:5], v4, v0
	buffer_load_dword v0, off, s[36:39], 0 offset:4 ; 4-byte Folded Reload
	s_waitcnt vmcnt(0)
	v_cndmask_b32_e64 v0, v0, v4, s[4:5]
	v_lshlrev_b32_e32 v0, 2, v0
	ds_bpermute_b32 v4, v0, v3
	s_and_saveexec_b64 s[30:31], vcc
	s_cbranch_execz .LBB106_8
; %bb.10:                               ;   in Loop: Header=BB106_9 Depth=1
	buffer_load_dword v5, off, s[36:39], 0 offset:12 ; 4-byte Folded Reload
	v_add_u32_e32 v0, s15, v59
	v_cvt_f32_i32_e32 v0, v0
	s_waitcnt lgkmcnt(0)
	v_add_f32_e32 v3, v3, v4
	v_cmp_gt_i32_e64 s[4:5], s33, v59
	v_mul_f32_e32 v0, s26, v0
	v_cndmask_b32_e64 v0, 0, v0, s[2:3]
	v_fmac_f32_e32 v0, s27, v3
	v_cndmask_b32_e64 v3, 0, v0, s[4:5]
	ds_write_b32 v6, v3
	s_waitcnt vmcnt(0)
	v_max_f32_e32 v4, v5, v5
	v_max_f32_e32 v0, v4, v0
	v_cndmask_b32_e64 v5, v5, v0, s[4:5]
	buffer_store_dword v5, off, s[36:39], 0 offset:12 ; 4-byte Folded Spill
	s_branch .LBB106_8
.LBB106_11:
	s_or_b64 exec, exec, s[28:29]
	buffer_load_dword v49, off, s[36:39], 0 offset:28 ; 4-byte Folded Reload
	buffer_load_dword v62, off, s[36:39], 0 offset:32 ; 4-byte Folded Reload
	;; [unrolled: 1-line block ×6, first 2 shown]
.LBB106_12:
	s_or_b64 exec, exec, s[6:7]
	buffer_load_dword v8, off, s[36:39], 0 offset:4 ; 4-byte Folded Reload
	buffer_load_dword v10, off, s[36:39], 0 offset:8 ; 4-byte Folded Reload
	s_waitcnt vmcnt(7)
	v_and_b32_e32 v25, 63, v49
	s_waitcnt vmcnt(1)
	v_xor_b32_e32 v0, 32, v8
	s_waitcnt vmcnt(0)
	v_cmp_lt_i32_e32 vcc, v0, v10
	v_cndmask_b32_e32 v0, v8, v0, vcc
	v_lshlrev_b32_e32 v1, 2, v0
	ds_bpermute_b32 v0, v1, v2
	v_xor_b32_e32 v3, 16, v8
	v_max_f32_e32 v2, v2, v2
	v_cmp_lt_i32_e32 vcc, v3, v10
	s_waitcnt lgkmcnt(0)
	v_xor_b32_e32 v4, 8, v8
	v_max_f32_e32 v0, v0, v0
	v_max_f32_e32 v0, v2, v0
	v_cndmask_b32_e32 v2, v8, v3, vcc
	v_lshlrev_b32_e32 v2, 2, v2
	ds_bpermute_b32 v3, v2, v0
	v_cmp_lt_i32_e32 vcc, v4, v10
	v_xor_b32_e32 v5, 4, v8
	v_xor_b32_e32 v7, 2, v8
	s_waitcnt lgkmcnt(0)
	v_max_f32_e32 v3, v3, v3
	v_max_f32_e32 v0, v0, v3
	v_cndmask_b32_e32 v3, v8, v4, vcc
	v_lshlrev_b32_e32 v3, 2, v3
	ds_bpermute_b32 v4, v3, v0
	v_cmp_lt_i32_e32 vcc, v5, v10
	s_waitcnt lgkmcnt(0)
	v_max_f32_e32 v4, v4, v4
	v_max_f32_e32 v0, v0, v4
	v_cndmask_b32_e32 v4, v8, v5, vcc
	v_lshlrev_b32_e32 v4, 2, v4
	ds_bpermute_b32 v5, v4, v0
	v_cmp_lt_i32_e32 vcc, v7, v10
	s_waitcnt lgkmcnt(0)
	v_max_f32_e32 v5, v5, v5
	v_max_f32_e32 v6, v0, v5
	v_cndmask_b32_e32 v0, v8, v7, vcc
	v_lshlrev_b32_e32 v10, 2, v0
	ds_bpermute_b32 v7, v10, v6
	v_cmp_eq_u32_e32 vcc, 0, v25
	v_lshlrev_b32_e32 v5, 2, v62
	s_and_saveexec_b64 s[2:3], vcc
	s_cbranch_execz .LBB106_14
; %bb.13:
	s_waitcnt lgkmcnt(0)
	v_max_f32_e32 v0, v7, v7
	v_max_f32_e32 v6, v6, v6
	v_max_f32_e32 v0, v6, v0
	ds_write_b32 v5, v0 offset:384
.LBB106_14:
	s_or_b64 exec, exec, s[2:3]
	v_cmp_gt_u32_e64 s[2:3], 2, v25
	s_waitcnt lgkmcnt(0)
	v_mov_b32_e32 v7, 0xff7fffff
	v_lshlrev_b32_e32 v6, 2, v25
	s_barrier
	s_and_saveexec_b64 s[4:5], s[2:3]
; %bb.15:
	ds_read_b32 v7, v6 offset:384
; %bb.16:
	s_or_b64 exec, exec, s[4:5]
	buffer_load_dword v8, off, s[36:39], 0 offset:4 ; 4-byte Folded Reload
	buffer_load_dword v11, off, s[36:39], 0 offset:8 ; 4-byte Folded Reload
	s_waitcnt vmcnt(1)
	v_xor_b32_e32 v0, 1, v8
	s_waitcnt vmcnt(0)
	v_cmp_lt_i32_e64 s[4:5], v0, v11
	v_cndmask_b32_e64 v0, v8, v0, s[4:5]
	v_lshlrev_b32_e32 v11, 2, v0
	s_waitcnt lgkmcnt(0)
	ds_bpermute_b32 v0, v11, v7
	v_max_f32_e32 v7, v7, v7
	s_lshl_b32 s4, s12, 5
	s_min_i32 s15, s4, s33
	v_cmp_gt_i32_e64 s[4:5], s15, v49
	s_waitcnt lgkmcnt(0)
	v_max_f32_e32 v0, v0, v0
	v_max_f32_e32 v0, v7, v0
	v_lshlrev_b32_e32 v7, 2, v12
	ds_bpermute_b32 v8, v7, v0
	v_mov_b32_e32 v7, 0
	s_and_saveexec_b64 s[26:27], s[4:5]
	s_cbranch_execz .LBB106_20
; %bb.17:
	v_mov_b32_e32 v0, 0x190
	v_lshl_add_u32 v12, v49, 2, v0
	v_mov_b32_e32 v7, 0
	s_mov_b64 s[28:29], 0
	v_mov_b32_e32 v13, v49
.LBB106_18:                             ; =>This Inner Loop Header: Depth=1
	ds_read_b32 v0, v12
	v_add_u32_e32 v13, 0x80, v13
	v_cmp_le_i32_e64 s[6:7], s15, v13
	s_or_b64 s[28:29], s[6:7], s[28:29]
	s_waitcnt lgkmcnt(0)
	v_sub_f32_e32 v0, v0, v8
	v_mul_f32_e32 v0, 0x3fb8aa3b, v0
	v_exp_f32_e32 v0, v0
	ds_write_b32 v12, v0
	v_add_f32_e32 v7, v7, v0
	v_add_u32_e32 v12, 0x200, v12
	s_andn2_b64 exec, exec, s[28:29]
	s_cbranch_execnz .LBB106_18
; %bb.19:
	s_or_b64 exec, exec, s[28:29]
.LBB106_20:
	s_or_b64 exec, exec, s[26:27]
	ds_bpermute_b32 v0, v1, v7
	s_waitcnt lgkmcnt(0)
	v_add_f32_e32 v0, v7, v0
	ds_bpermute_b32 v1, v2, v0
	s_waitcnt lgkmcnt(0)
	v_add_f32_e32 v0, v0, v1
	;; [unrolled: 3-line block ×6, first 2 shown]
	s_and_saveexec_b64 s[6:7], vcc
; %bb.21:
	ds_write_b32 v5, v1 offset:392
; %bb.22:
	s_or_b64 exec, exec, s[6:7]
	s_waitcnt lgkmcnt(0)
	s_barrier
	s_and_saveexec_b64 s[6:7], s[2:3]
; %bb.23:
	ds_read_b32 v1, v6 offset:392
; %bb.24:
	s_or_b64 exec, exec, s[6:7]
	buffer_load_dword v2, off, s[36:39], 0 offset:4 ; 4-byte Folded Reload
	s_waitcnt lgkmcnt(0)
	ds_bpermute_b32 v0, v11, v1
	s_waitcnt lgkmcnt(0)
	v_add_f32_e32 v0, v1, v0
	s_waitcnt vmcnt(0)
	v_lshlrev_b32_e32 v2, 2, v2
	v_and_b32_e32 v1, 0xffffff00, v2
	ds_bpermute_b32 v1, v1, v0
	s_and_saveexec_b64 s[2:3], s[4:5]
	s_cbranch_execz .LBB106_27
; %bb.25:
	s_waitcnt lgkmcnt(0)
	v_add_f32_e32 v0, 0x358637bd, v1
	v_div_scale_f32 v1, s[4:5], v0, v0, 1.0
	v_div_scale_f32 v2, vcc, 1.0, v0, 1.0
	s_mov_b64 s[4:5], 0
	v_rcp_f32_e32 v3, v1
	v_fma_f32 v4, -v1, v3, 1.0
	v_fmac_f32_e32 v3, v4, v3
	v_mul_f32_e32 v4, v2, v3
	v_fma_f32 v5, -v1, v4, v2
	v_fmac_f32_e32 v4, v5, v3
	v_fma_f32 v1, -v1, v4, v2
	v_div_fmas_f32 v2, v1, v3, v4
	v_mov_b32_e32 v1, 0x190
	v_lshl_add_u32 v1, v49, 2, v1
	v_mov_b32_e32 v3, v49
	v_div_fixup_f32 v2, v2, v0, 1.0
.LBB106_26:                             ; =>This Inner Loop Header: Depth=1
	ds_read_b32 v0, v1
	v_add_u32_e32 v3, 0x80, v3
	v_cmp_le_i32_e32 vcc, s15, v3
	s_or_b64 s[4:5], vcc, s[4:5]
	s_waitcnt lgkmcnt(0)
	v_mul_f32_e32 v0, v2, v0
	ds_write_b32 v1, v0
	v_add_u32_e32 v1, 0x200, v1
	s_andn2_b64 exec, exec, s[4:5]
	s_cbranch_execnz .LBB106_26
.LBB106_27:
	s_or_b64 exec, exec, s[2:3]
	v_mov_b32_e32 v23, 0
	v_and_b32_e32 v29, 3, v49
	v_mov_b32_e32 v24, 0
	v_mov_b32_e32 v22, 0
	;; [unrolled: 1-line block ×11, first 2 shown]
	s_waitcnt lgkmcnt(0)
	s_barrier
	s_and_saveexec_b64 s[2:3], s[0:1]
	s_cbranch_execz .LBB106_55
; %bb.28:
	s_ashr_i32 s15, s14, 31
	s_lshl_b64 s[0:1], s[14:15], 1
	v_lshlrev_b32_e32 v1, 4, v49
	s_add_u32 s0, s24, s0
	v_and_b32_e32 v1, 0x3f0, v1
	v_and_b32_e32 v0, 24, v9
	s_addc_u32 s1, s25, s1
	v_add_co_u32_e32 v26, vcc, s0, v1
	v_lshlrev_b32_e32 v1, 5, v62
	s_add_i32 s14, s12, -1
	v_mov_b32_e32 v2, s1
	v_or3_b32 v28, v1, v0, 7
	v_lshlrev_b32_e32 v0, 5, v29
	s_lshl_b64 s[0:1], s[22:23], 2
	v_lshl_or_b32 v0, v62, 7, v0
	s_add_u32 s0, s20, s0
	v_addc_co_u32_e32 v27, vcc, 0, v2, vcc
	v_add_u32_e32 v29, 0x190, v0
	v_and_b32_e32 v0, 60, v30
	s_addc_u32 s1, s21, s1
	v_mov_b32_e32 v1, s1
	v_add_co_u32_e32 v5, vcc, s0, v0
	v_mov_b32_e32 v25, 0
	v_addc_co_u32_e32 v6, vcc, 0, v1, vcc
	s_mov_b64 s[4:5], 0
	s_mov_b32 s15, 0xffff
	v_mov_b32_e32 v13, 0
	v_mov_b32_e32 v14, 0
	;; [unrolled: 1-line block ×12, first 2 shown]
	s_branch .LBB106_30
.LBB106_29:                             ;   in Loop: Header=BB106_30 Depth=1
	s_or_b64 exec, exec, s[6:7]
	v_add_f32_e32 v0, v63, v12
	v_add_f32_e32 v14, v14, v0
	;; [unrolled: 1-line block ×22, first 2 shown]
	v_lshlrev_b32_e32 v0, 16, v62
	v_and_or_b32 v0, v1, s15, v0
	v_lshlrev_b32_e32 v1, 16, v8
	v_and_or_b32 v1, v2, s15, v1
	v_lshlrev_b32_e32 v2, 16, v7
	v_and_or_b32 v2, v3, s15, v2
	;;#ASMSTART
	v_pk_mul_f16 v0, v31, v0;

	;;#ASMEND
	;;#ASMSTART
	v_pk_mul_f16 v1, v32, v1;

	;;#ASMEND
	;; [unrolled: 4-line block ×4, first 2 shown]
	;;#ASMSTART
	v_pk_add_f16 v0, v0, v1;

	;;#ASMEND
	;;#ASMSTART
	v_pk_add_f16 v0, v0, v2;

	;;#ASMEND
	;;#ASMSTART
	v_pk_add_f16 v0, v0, v3;

	;;#ASMEND
	v_mov_b32_e32 v62, v9
	v_lshrrev_b32_e32 v1, 16, v0
	v_and_b32_e32 v0, 0xffff, v0
	v_add_u32_e32 v62, 2, v62
	;;#ASMSTART
	v_cvt_f32_f16 v0, v0;
	;;#ASMEND
	v_cmp_le_i32_e32 vcc, s12, v62
	;;#ASMSTART
	v_cvt_f32_f16 v1, v1;
	;;#ASMEND
	v_add_f32_e32 v0, v0, v1
	s_or_b64 s[4:5], vcc, s[4:5]
	v_add_co_u32_e32 v5, vcc, 8, v5
	v_add_f32_e32 v13, v13, v0
	v_add_u32_e32 v28, 64, v28
	v_add_u32_e32 v29, 0x100, v29
	v_addc_co_u32_e32 v6, vcc, 0, v6, vcc
	s_andn2_b64 exec, exec, s[4:5]
	s_cbranch_execz .LBB106_54
.LBB106_30:                             ; =>This Inner Loop Header: Depth=1
	global_load_dword v0, v[5:6], off
	ds_read2_b64 v[1:4], v29 offset1:1
	ds_read2_b64 v[35:38], v29 offset0:2 offset1:3
	v_add_u32_e32 v30, -7, v28
	v_mov_b32_e32 v9, v62
	s_waitcnt lgkmcnt(1)
	;;#ASMSTART
	v_cvt_f16_f32 v31, v1;

	;;#ASMEND
	;;#ASMSTART
	v_cvt_f16_f32 v32, v2;

	;;#ASMEND
	;; [unrolled: 4-line block ×4, first 2 shown]
	s_waitcnt lgkmcnt(0)
	;;#ASMSTART
	v_cvt_f16_f32 v41, v35;

	;;#ASMEND
	;;#ASMSTART
	v_cvt_f16_f32 v42, v36;

	;;#ASMEND
	;; [unrolled: 4-line block ×4, first 2 shown]
	v_add_u32_e32 v40, -6, v28
	v_add_u32_e32 v39, -5, v28
	;; [unrolled: 1-line block ×6, first 2 shown]
	s_waitcnt vmcnt(0)
	v_mad_i64_i32 v[0:1], s[0:1], v0, s13, 0
	v_cmp_eq_u32_e64 s[0:1], s14, v62
	v_lshlrev_b64 v[0:1], 1, v[0:1]
	v_add_co_u32_e32 v7, vcc, v26, v0
	v_addc_co_u32_e32 v8, vcc, v27, v1, vcc
	global_load_dwordx4 v[1:4], v[7:8], off
	s_waitcnt vmcnt(0)
	v_lshrrev_b32_e32 v46, 16, v1
	v_lshrrev_b32_e32 v45, 16, v2
	;; [unrolled: 1-line block ×3, first 2 shown]
	s_and_saveexec_b64 s[6:7], s[0:1]
	s_cbranch_execz .LBB106_32
; %bb.31:                               ;   in Loop: Header=BB106_30 Depth=1
	v_cmp_gt_i32_e32 vcc, s33, v30
	v_cndmask_b32_e32 v1, 0, v1, vcc
	v_cmp_gt_i32_e32 vcc, s33, v40
	v_cndmask_b32_e32 v46, 0, v46, vcc
	;; [unrolled: 2-line block ×6, first 2 shown]
	v_cmp_gt_i32_e32 vcc, s33, v38
	v_cndmask_b32_sdwa v0, v25, v4, vcc dst_sel:DWORD dst_unused:UNUSED_PAD src0_sel:DWORD src1_sel:WORD_0
	v_and_b32_e32 v4, 0xffff0000, v4
	v_cmp_gt_i32_e32 vcc, s33, v28
	v_cndmask_b32_e32 v4, 0, v4, vcc
	v_or_b32_e32 v4, v0, v4
.LBB106_32:                             ;   in Loop: Header=BB106_30 Depth=1
	s_or_b64 exec, exec, s[6:7]
	v_and_b32_e32 v0, 0xffff, v31
	v_lshl_or_b32 v31, v32, 16, v0
	v_and_b32_e32 v0, 0xffff, v33
	v_lshl_or_b32 v32, v34, 16, v0
	;; [unrolled: 2-line block ×4, first 2 shown]
	v_lshlrev_b32_e32 v0, 16, v46
	v_and_or_b32 v0, v1, s15, v0
	v_lshlrev_b32_e32 v1, 16, v45
	v_and_or_b32 v1, v2, s15, v1
	;; [unrolled: 2-line block ×3, first 2 shown]
	;;#ASMSTART
	v_pk_mul_f16 v0, v31, v0;

	;;#ASMEND
	;;#ASMSTART
	v_pk_mul_f16 v1, v32, v1;

	;;#ASMEND
	;; [unrolled: 4-line block ×4, first 2 shown]
	;;#ASMSTART
	v_pk_add_f16 v0, v0, v1;

	;;#ASMEND
	;;#ASMSTART
	v_pk_add_f16 v0, v0, v2;

	;;#ASMEND
	;; [unrolled: 4-line block ×3, first 2 shown]
	v_lshrrev_b32_e32 v1, 16, v0
	v_and_b32_e32 v0, 0xffff, v0
	;;#ASMSTART
	v_cvt_f32_f16 v41, v0;
	;;#ASMEND
	;;#ASMSTART
	v_cvt_f32_f16 v42, v1;
	;;#ASMEND
	global_load_dwordx4 v[1:4], v[7:8], off offset:1024
	s_waitcnt vmcnt(0)
	v_lshrrev_b32_e32 v44, 16, v1
	v_lshrrev_b32_e32 v43, 16, v2
	;; [unrolled: 1-line block ×3, first 2 shown]
	s_and_saveexec_b64 s[6:7], s[0:1]
	s_cbranch_execz .LBB106_34
; %bb.33:                               ;   in Loop: Header=BB106_30 Depth=1
	v_cmp_gt_i32_e32 vcc, s33, v30
	v_cndmask_b32_e32 v1, 0, v1, vcc
	v_cmp_gt_i32_e32 vcc, s33, v40
	v_cndmask_b32_e32 v44, 0, v44, vcc
	;; [unrolled: 2-line block ×6, first 2 shown]
	v_cmp_gt_i32_e32 vcc, s33, v38
	v_cndmask_b32_sdwa v0, v25, v4, vcc dst_sel:DWORD dst_unused:UNUSED_PAD src0_sel:DWORD src1_sel:WORD_0
	v_and_b32_e32 v4, 0xffff0000, v4
	v_cmp_gt_i32_e32 vcc, s33, v28
	v_cndmask_b32_e32 v4, 0, v4, vcc
	v_or_b32_e32 v4, v0, v4
.LBB106_34:                             ;   in Loop: Header=BB106_30 Depth=1
	s_or_b64 exec, exec, s[6:7]
	v_lshlrev_b32_e32 v0, 16, v44
	v_and_or_b32 v0, v1, s15, v0
	v_lshlrev_b32_e32 v1, 16, v43
	v_and_or_b32 v1, v2, s15, v1
	;; [unrolled: 2-line block ×3, first 2 shown]
	;;#ASMSTART
	v_pk_mul_f16 v0, v31, v0;

	;;#ASMEND
	;;#ASMSTART
	v_pk_mul_f16 v1, v32, v1;

	;;#ASMEND
	;; [unrolled: 4-line block ×4, first 2 shown]
	;;#ASMSTART
	v_pk_add_f16 v0, v0, v1;

	;;#ASMEND
	;;#ASMSTART
	v_pk_add_f16 v0, v0, v2;

	;;#ASMEND
	;;#ASMSTART
	v_pk_add_f16 v0, v0, v3;

	;;#ASMEND
	v_lshrrev_b32_e32 v1, 16, v0
	v_and_b32_e32 v0, 0xffff, v0
	;;#ASMSTART
	v_cvt_f32_f16 v43, v0;
	;;#ASMEND
	;;#ASMSTART
	v_cvt_f32_f16 v44, v1;
	;;#ASMEND
	global_load_dwordx4 v[1:4], v[7:8], off offset:2048
	s_waitcnt vmcnt(0)
	v_lshrrev_b32_e32 v46, 16, v1
	v_lshrrev_b32_e32 v45, 16, v2
	;; [unrolled: 1-line block ×3, first 2 shown]
	s_and_saveexec_b64 s[6:7], s[0:1]
	s_cbranch_execz .LBB106_36
; %bb.35:                               ;   in Loop: Header=BB106_30 Depth=1
	v_cmp_gt_i32_e32 vcc, s33, v30
	v_cndmask_b32_e32 v1, 0, v1, vcc
	v_cmp_gt_i32_e32 vcc, s33, v40
	v_cndmask_b32_e32 v46, 0, v46, vcc
	;; [unrolled: 2-line block ×6, first 2 shown]
	v_cmp_gt_i32_e32 vcc, s33, v38
	v_cndmask_b32_sdwa v0, v25, v4, vcc dst_sel:DWORD dst_unused:UNUSED_PAD src0_sel:DWORD src1_sel:WORD_0
	v_and_b32_e32 v4, 0xffff0000, v4
	v_cmp_gt_i32_e32 vcc, s33, v28
	v_cndmask_b32_e32 v4, 0, v4, vcc
	v_or_b32_e32 v4, v0, v4
.LBB106_36:                             ;   in Loop: Header=BB106_30 Depth=1
	s_or_b64 exec, exec, s[6:7]
	v_lshlrev_b32_e32 v0, 16, v46
	v_and_or_b32 v0, v1, s15, v0
	v_lshlrev_b32_e32 v1, 16, v45
	v_and_or_b32 v1, v2, s15, v1
	;; [unrolled: 2-line block ×3, first 2 shown]
	;;#ASMSTART
	v_pk_mul_f16 v0, v31, v0;

	;;#ASMEND
	;;#ASMSTART
	v_pk_mul_f16 v1, v32, v1;

	;;#ASMEND
	;;#ASMSTART
	v_pk_mul_f16 v2, v33, v2;

	;;#ASMEND
	;;#ASMSTART
	v_pk_mul_f16 v3, v34, v4;

	;;#ASMEND
	;;#ASMSTART
	v_pk_add_f16 v0, v0, v1;

	;;#ASMEND
	;;#ASMSTART
	v_pk_add_f16 v0, v0, v2;

	;;#ASMEND
	;; [unrolled: 4-line block ×3, first 2 shown]
	v_lshrrev_b32_e32 v1, 16, v0
	v_and_b32_e32 v0, 0xffff, v0
	;;#ASMSTART
	v_cvt_f32_f16 v45, v0;
	;;#ASMEND
	;;#ASMSTART
	v_cvt_f32_f16 v46, v1;
	;;#ASMEND
	global_load_dwordx4 v[1:4], v[7:8], off offset:3072
	s_waitcnt vmcnt(0)
	v_lshrrev_b32_e32 v48, 16, v1
	v_lshrrev_b32_e32 v47, 16, v2
	;; [unrolled: 1-line block ×3, first 2 shown]
	s_and_saveexec_b64 s[6:7], s[0:1]
	s_cbranch_execz .LBB106_38
; %bb.37:                               ;   in Loop: Header=BB106_30 Depth=1
	v_cmp_gt_i32_e32 vcc, s33, v30
	v_cndmask_b32_e32 v1, 0, v1, vcc
	v_cmp_gt_i32_e32 vcc, s33, v40
	v_cndmask_b32_e32 v48, 0, v48, vcc
	;; [unrolled: 2-line block ×6, first 2 shown]
	v_cmp_gt_i32_e32 vcc, s33, v38
	v_cndmask_b32_sdwa v0, v25, v4, vcc dst_sel:DWORD dst_unused:UNUSED_PAD src0_sel:DWORD src1_sel:WORD_0
	v_and_b32_e32 v4, 0xffff0000, v4
	v_cmp_gt_i32_e32 vcc, s33, v28
	v_cndmask_b32_e32 v4, 0, v4, vcc
	v_or_b32_e32 v4, v0, v4
.LBB106_38:                             ;   in Loop: Header=BB106_30 Depth=1
	s_or_b64 exec, exec, s[6:7]
	v_lshlrev_b32_e32 v0, 16, v48
	v_and_or_b32 v0, v1, s15, v0
	v_lshlrev_b32_e32 v1, 16, v47
	v_and_or_b32 v1, v2, s15, v1
	v_lshlrev_b32_e32 v2, 16, v12
	v_and_or_b32 v2, v3, s15, v2
	;;#ASMSTART
	v_pk_mul_f16 v0, v31, v0;

	;;#ASMEND
	;;#ASMSTART
	v_pk_mul_f16 v1, v32, v1;

	;;#ASMEND
	;; [unrolled: 4-line block ×4, first 2 shown]
	;;#ASMSTART
	v_pk_add_f16 v0, v0, v1;

	;;#ASMEND
	;;#ASMSTART
	v_pk_add_f16 v0, v0, v2;

	;;#ASMEND
	;; [unrolled: 4-line block ×3, first 2 shown]
	v_lshrrev_b32_e32 v1, 16, v0
	v_and_b32_e32 v0, 0xffff, v0
	;;#ASMSTART
	v_cvt_f32_f16 v47, v0;
	;;#ASMEND
	v_add_co_u32_e32 v0, vcc, 0x1000, v7
	;;#ASMSTART
	v_cvt_f32_f16 v48, v1;
	;;#ASMEND
	v_addc_co_u32_e32 v1, vcc, 0, v8, vcc
	global_load_dwordx4 v[1:4], v[0:1], off
	s_waitcnt vmcnt(0)
	v_lshrrev_b32_e32 v51, 16, v1
	v_lshrrev_b32_e32 v50, 16, v2
	;; [unrolled: 1-line block ×3, first 2 shown]
	s_and_saveexec_b64 s[6:7], s[0:1]
	s_cbranch_execz .LBB106_40
; %bb.39:                               ;   in Loop: Header=BB106_30 Depth=1
	v_cmp_gt_i32_e32 vcc, s33, v30
	v_cndmask_b32_e32 v1, 0, v1, vcc
	v_cmp_gt_i32_e32 vcc, s33, v40
	v_cndmask_b32_e32 v51, 0, v51, vcc
	;; [unrolled: 2-line block ×6, first 2 shown]
	v_cmp_gt_i32_e32 vcc, s33, v38
	v_cndmask_b32_sdwa v0, v25, v4, vcc dst_sel:DWORD dst_unused:UNUSED_PAD src0_sel:DWORD src1_sel:WORD_0
	v_and_b32_e32 v4, 0xffff0000, v4
	v_cmp_gt_i32_e32 vcc, s33, v28
	v_cndmask_b32_e32 v4, 0, v4, vcc
	v_or_b32_e32 v4, v0, v4
.LBB106_40:                             ;   in Loop: Header=BB106_30 Depth=1
	s_or_b64 exec, exec, s[6:7]
	v_lshlrev_b32_e32 v0, 16, v51
	v_and_or_b32 v0, v1, s15, v0
	v_lshlrev_b32_e32 v1, 16, v50
	v_and_or_b32 v1, v2, s15, v1
	;; [unrolled: 2-line block ×3, first 2 shown]
	;;#ASMSTART
	v_pk_mul_f16 v0, v31, v0;

	;;#ASMEND
	;;#ASMSTART
	v_pk_mul_f16 v1, v32, v1;

	;;#ASMEND
	;; [unrolled: 4-line block ×4, first 2 shown]
	;;#ASMSTART
	v_pk_add_f16 v0, v0, v1;

	;;#ASMEND
	;;#ASMSTART
	v_pk_add_f16 v0, v0, v2;

	;;#ASMEND
	;; [unrolled: 4-line block ×3, first 2 shown]
	v_lshrrev_b32_e32 v1, 16, v0
	v_and_b32_e32 v0, 0xffff, v0
	;;#ASMSTART
	v_cvt_f32_f16 v50, v0;
	;;#ASMEND
	v_add_co_u32_e32 v0, vcc, 0x1000, v7
	;;#ASMSTART
	v_cvt_f32_f16 v51, v1;
	;;#ASMEND
	v_addc_co_u32_e32 v1, vcc, 0, v8, vcc
	global_load_dwordx4 v[1:4], v[0:1], off offset:1024
	s_waitcnt vmcnt(0)
	v_lshrrev_b32_e32 v53, 16, v1
	v_lshrrev_b32_e32 v52, 16, v2
	;; [unrolled: 1-line block ×3, first 2 shown]
	s_and_saveexec_b64 s[6:7], s[0:1]
	s_cbranch_execz .LBB106_42
; %bb.41:                               ;   in Loop: Header=BB106_30 Depth=1
	v_cmp_gt_i32_e32 vcc, s33, v30
	v_cndmask_b32_e32 v1, 0, v1, vcc
	v_cmp_gt_i32_e32 vcc, s33, v40
	v_cndmask_b32_e32 v53, 0, v53, vcc
	;; [unrolled: 2-line block ×6, first 2 shown]
	v_cmp_gt_i32_e32 vcc, s33, v38
	v_cndmask_b32_sdwa v0, v25, v4, vcc dst_sel:DWORD dst_unused:UNUSED_PAD src0_sel:DWORD src1_sel:WORD_0
	v_and_b32_e32 v4, 0xffff0000, v4
	v_cmp_gt_i32_e32 vcc, s33, v28
	v_cndmask_b32_e32 v4, 0, v4, vcc
	v_or_b32_e32 v4, v0, v4
.LBB106_42:                             ;   in Loop: Header=BB106_30 Depth=1
	s_or_b64 exec, exec, s[6:7]
	v_lshlrev_b32_e32 v0, 16, v53
	v_and_or_b32 v0, v1, s15, v0
	v_lshlrev_b32_e32 v1, 16, v52
	v_and_or_b32 v1, v2, s15, v1
	;; [unrolled: 2-line block ×3, first 2 shown]
	;;#ASMSTART
	v_pk_mul_f16 v0, v31, v0;

	;;#ASMEND
	;;#ASMSTART
	v_pk_mul_f16 v1, v32, v1;

	;;#ASMEND
	;; [unrolled: 4-line block ×4, first 2 shown]
	;;#ASMSTART
	v_pk_add_f16 v0, v0, v1;

	;;#ASMEND
	;;#ASMSTART
	v_pk_add_f16 v0, v0, v2;

	;;#ASMEND
	;; [unrolled: 4-line block ×3, first 2 shown]
	v_lshrrev_b32_e32 v1, 16, v0
	v_and_b32_e32 v0, 0xffff, v0
	;;#ASMSTART
	v_cvt_f32_f16 v52, v0;
	;;#ASMEND
	v_add_co_u32_e32 v0, vcc, 0x1000, v7
	;;#ASMSTART
	v_cvt_f32_f16 v53, v1;
	;;#ASMEND
	v_addc_co_u32_e32 v1, vcc, 0, v8, vcc
	global_load_dwordx4 v[1:4], v[0:1], off offset:2048
	s_waitcnt vmcnt(0)
	v_lshrrev_b32_e32 v55, 16, v1
	v_lshrrev_b32_e32 v54, 16, v2
	v_lshrrev_b32_e32 v12, 16, v3
	s_and_saveexec_b64 s[6:7], s[0:1]
	s_cbranch_execz .LBB106_44
; %bb.43:                               ;   in Loop: Header=BB106_30 Depth=1
	v_cmp_gt_i32_e32 vcc, s33, v30
	v_cndmask_b32_e32 v1, 0, v1, vcc
	v_cmp_gt_i32_e32 vcc, s33, v40
	v_cndmask_b32_e32 v55, 0, v55, vcc
	;; [unrolled: 2-line block ×6, first 2 shown]
	v_cmp_gt_i32_e32 vcc, s33, v38
	v_cndmask_b32_sdwa v0, v25, v4, vcc dst_sel:DWORD dst_unused:UNUSED_PAD src0_sel:DWORD src1_sel:WORD_0
	v_and_b32_e32 v4, 0xffff0000, v4
	v_cmp_gt_i32_e32 vcc, s33, v28
	v_cndmask_b32_e32 v4, 0, v4, vcc
	v_or_b32_e32 v4, v0, v4
.LBB106_44:                             ;   in Loop: Header=BB106_30 Depth=1
	s_or_b64 exec, exec, s[6:7]
	v_lshlrev_b32_e32 v0, 16, v55
	v_and_or_b32 v0, v1, s15, v0
	v_lshlrev_b32_e32 v1, 16, v54
	v_and_or_b32 v1, v2, s15, v1
	;; [unrolled: 2-line block ×3, first 2 shown]
	;;#ASMSTART
	v_pk_mul_f16 v0, v31, v0;

	;;#ASMEND
	;;#ASMSTART
	v_pk_mul_f16 v1, v32, v1;

	;;#ASMEND
	;; [unrolled: 4-line block ×4, first 2 shown]
	;;#ASMSTART
	v_pk_add_f16 v0, v0, v1;

	;;#ASMEND
	;;#ASMSTART
	v_pk_add_f16 v0, v0, v2;

	;;#ASMEND
	;; [unrolled: 4-line block ×3, first 2 shown]
	v_lshrrev_b32_e32 v1, 16, v0
	v_and_b32_e32 v0, 0xffff, v0
	;;#ASMSTART
	v_cvt_f32_f16 v54, v0;
	;;#ASMEND
	v_add_co_u32_e32 v0, vcc, 0x1000, v7
	;;#ASMSTART
	v_cvt_f32_f16 v55, v1;
	;;#ASMEND
	v_addc_co_u32_e32 v1, vcc, 0, v8, vcc
	global_load_dwordx4 v[1:4], v[0:1], off offset:3072
	s_waitcnt vmcnt(0)
	v_lshrrev_b32_e32 v57, 16, v1
	v_lshrrev_b32_e32 v56, 16, v2
	;; [unrolled: 1-line block ×3, first 2 shown]
	s_and_saveexec_b64 s[6:7], s[0:1]
	s_cbranch_execz .LBB106_46
; %bb.45:                               ;   in Loop: Header=BB106_30 Depth=1
	v_cmp_gt_i32_e32 vcc, s33, v30
	v_cndmask_b32_e32 v1, 0, v1, vcc
	v_cmp_gt_i32_e32 vcc, s33, v40
	v_cndmask_b32_e32 v57, 0, v57, vcc
	;; [unrolled: 2-line block ×6, first 2 shown]
	v_cmp_gt_i32_e32 vcc, s33, v38
	v_cndmask_b32_sdwa v0, v25, v4, vcc dst_sel:DWORD dst_unused:UNUSED_PAD src0_sel:DWORD src1_sel:WORD_0
	v_and_b32_e32 v4, 0xffff0000, v4
	v_cmp_gt_i32_e32 vcc, s33, v28
	v_cndmask_b32_e32 v4, 0, v4, vcc
	v_or_b32_e32 v4, v0, v4
.LBB106_46:                             ;   in Loop: Header=BB106_30 Depth=1
	s_or_b64 exec, exec, s[6:7]
	v_lshlrev_b32_e32 v0, 16, v57
	v_and_or_b32 v0, v1, s15, v0
	v_lshlrev_b32_e32 v1, 16, v56
	v_and_or_b32 v1, v2, s15, v1
	;; [unrolled: 2-line block ×3, first 2 shown]
	;;#ASMSTART
	v_pk_mul_f16 v0, v31, v0;

	;;#ASMEND
	;;#ASMSTART
	v_pk_mul_f16 v1, v32, v1;

	;;#ASMEND
	;; [unrolled: 4-line block ×4, first 2 shown]
	;;#ASMSTART
	v_pk_add_f16 v0, v0, v1;

	;;#ASMEND
	;;#ASMSTART
	v_pk_add_f16 v0, v0, v2;

	;;#ASMEND
	;; [unrolled: 4-line block ×3, first 2 shown]
	v_lshrrev_b32_e32 v1, 16, v0
	v_and_b32_e32 v0, 0xffff, v0
	;;#ASMSTART
	v_cvt_f32_f16 v56, v0;
	;;#ASMEND
	v_add_co_u32_e32 v0, vcc, 0x2000, v7
	;;#ASMSTART
	v_cvt_f32_f16 v57, v1;
	;;#ASMEND
	v_addc_co_u32_e32 v1, vcc, 0, v8, vcc
	global_load_dwordx4 v[1:4], v[0:1], off
	s_waitcnt vmcnt(0)
	v_lshrrev_b32_e32 v59, 16, v1
	v_lshrrev_b32_e32 v58, 16, v2
	;; [unrolled: 1-line block ×3, first 2 shown]
	s_and_saveexec_b64 s[6:7], s[0:1]
	s_cbranch_execz .LBB106_48
; %bb.47:                               ;   in Loop: Header=BB106_30 Depth=1
	v_cmp_gt_i32_e32 vcc, s33, v30
	v_cndmask_b32_e32 v1, 0, v1, vcc
	v_cmp_gt_i32_e32 vcc, s33, v40
	v_cndmask_b32_e32 v59, 0, v59, vcc
	;; [unrolled: 2-line block ×6, first 2 shown]
	v_cmp_gt_i32_e32 vcc, s33, v38
	v_cndmask_b32_sdwa v0, v25, v4, vcc dst_sel:DWORD dst_unused:UNUSED_PAD src0_sel:DWORD src1_sel:WORD_0
	v_and_b32_e32 v4, 0xffff0000, v4
	v_cmp_gt_i32_e32 vcc, s33, v28
	v_cndmask_b32_e32 v4, 0, v4, vcc
	v_or_b32_e32 v4, v0, v4
.LBB106_48:                             ;   in Loop: Header=BB106_30 Depth=1
	s_or_b64 exec, exec, s[6:7]
	v_lshlrev_b32_e32 v0, 16, v59
	v_and_or_b32 v0, v1, s15, v0
	v_lshlrev_b32_e32 v1, 16, v58
	v_and_or_b32 v1, v2, s15, v1
	;; [unrolled: 2-line block ×3, first 2 shown]
	;;#ASMSTART
	v_pk_mul_f16 v0, v31, v0;

	;;#ASMEND
	;;#ASMSTART
	v_pk_mul_f16 v1, v32, v1;

	;;#ASMEND
	;; [unrolled: 4-line block ×4, first 2 shown]
	;;#ASMSTART
	v_pk_add_f16 v0, v0, v1;

	;;#ASMEND
	;;#ASMSTART
	v_pk_add_f16 v0, v0, v2;

	;;#ASMEND
	;; [unrolled: 4-line block ×3, first 2 shown]
	v_lshrrev_b32_e32 v1, 16, v0
	v_and_b32_e32 v0, 0xffff, v0
	;;#ASMSTART
	v_cvt_f32_f16 v58, v0;
	;;#ASMEND
	v_add_co_u32_e32 v0, vcc, 0x2000, v7
	;;#ASMSTART
	v_cvt_f32_f16 v59, v1;
	;;#ASMEND
	v_addc_co_u32_e32 v1, vcc, 0, v8, vcc
	global_load_dwordx4 v[1:4], v[0:1], off offset:1024
	s_waitcnt vmcnt(0)
	v_lshrrev_b32_e32 v61, 16, v1
	v_lshrrev_b32_e32 v60, 16, v2
	;; [unrolled: 1-line block ×3, first 2 shown]
	s_and_saveexec_b64 s[6:7], s[0:1]
	s_cbranch_execz .LBB106_50
; %bb.49:                               ;   in Loop: Header=BB106_30 Depth=1
	v_cmp_gt_i32_e32 vcc, s33, v30
	v_cndmask_b32_e32 v1, 0, v1, vcc
	v_cmp_gt_i32_e32 vcc, s33, v40
	v_cndmask_b32_e32 v61, 0, v61, vcc
	;; [unrolled: 2-line block ×6, first 2 shown]
	v_cmp_gt_i32_e32 vcc, s33, v38
	v_cndmask_b32_sdwa v0, v25, v4, vcc dst_sel:DWORD dst_unused:UNUSED_PAD src0_sel:DWORD src1_sel:WORD_0
	v_and_b32_e32 v4, 0xffff0000, v4
	v_cmp_gt_i32_e32 vcc, s33, v28
	v_cndmask_b32_e32 v4, 0, v4, vcc
	v_or_b32_e32 v4, v0, v4
.LBB106_50:                             ;   in Loop: Header=BB106_30 Depth=1
	s_or_b64 exec, exec, s[6:7]
	v_lshlrev_b32_e32 v0, 16, v61
	v_and_or_b32 v0, v1, s15, v0
	v_lshlrev_b32_e32 v1, 16, v60
	v_and_or_b32 v1, v2, s15, v1
	;; [unrolled: 2-line block ×3, first 2 shown]
	;;#ASMSTART
	v_pk_mul_f16 v0, v31, v0;

	;;#ASMEND
	;;#ASMSTART
	v_pk_mul_f16 v1, v32, v1;

	;;#ASMEND
	;; [unrolled: 4-line block ×4, first 2 shown]
	;;#ASMSTART
	v_pk_add_f16 v0, v0, v1;

	;;#ASMEND
	;;#ASMSTART
	v_pk_add_f16 v0, v0, v2;

	;;#ASMEND
	;; [unrolled: 4-line block ×3, first 2 shown]
	v_lshrrev_b32_e32 v1, 16, v0
	v_and_b32_e32 v0, 0xffff, v0
	;;#ASMSTART
	v_cvt_f32_f16 v60, v0;
	;;#ASMEND
	v_add_co_u32_e32 v0, vcc, 0x2000, v7
	;;#ASMSTART
	v_cvt_f32_f16 v61, v1;
	;;#ASMEND
	v_addc_co_u32_e32 v1, vcc, 0, v8, vcc
	global_load_dwordx4 v[1:4], v[0:1], off offset:2048
	s_waitcnt vmcnt(0)
	v_lshrrev_b32_e32 v63, 16, v1
	v_lshrrev_b32_e32 v62, 16, v2
	v_lshrrev_b32_e32 v12, 16, v3
	s_and_saveexec_b64 s[6:7], s[0:1]
	s_cbranch_execz .LBB106_52
; %bb.51:                               ;   in Loop: Header=BB106_30 Depth=1
	v_cmp_gt_i32_e32 vcc, s33, v30
	v_cndmask_b32_e32 v1, 0, v1, vcc
	v_cmp_gt_i32_e32 vcc, s33, v40
	v_cndmask_b32_e32 v63, 0, v63, vcc
	;; [unrolled: 2-line block ×6, first 2 shown]
	v_cmp_gt_i32_e32 vcc, s33, v38
	v_cndmask_b32_sdwa v0, v25, v4, vcc dst_sel:DWORD dst_unused:UNUSED_PAD src0_sel:DWORD src1_sel:WORD_0
	v_and_b32_e32 v4, 0xffff0000, v4
	v_cmp_gt_i32_e32 vcc, s33, v28
	v_cndmask_b32_e32 v4, 0, v4, vcc
	v_or_b32_e32 v4, v0, v4
.LBB106_52:                             ;   in Loop: Header=BB106_30 Depth=1
	s_or_b64 exec, exec, s[6:7]
	v_lshlrev_b32_e32 v0, 16, v63
	v_and_or_b32 v0, v1, s15, v0
	v_lshlrev_b32_e32 v1, 16, v62
	v_and_or_b32 v1, v2, s15, v1
	;; [unrolled: 2-line block ×3, first 2 shown]
	;;#ASMSTART
	v_pk_mul_f16 v0, v31, v0;

	;;#ASMEND
	;;#ASMSTART
	v_pk_mul_f16 v1, v32, v1;

	;;#ASMEND
	;; [unrolled: 4-line block ×4, first 2 shown]
	;;#ASMSTART
	v_pk_add_f16 v0, v0, v1;

	;;#ASMEND
	;;#ASMSTART
	v_pk_add_f16 v0, v0, v2;

	;;#ASMEND
	;; [unrolled: 4-line block ×3, first 2 shown]
	v_lshrrev_b32_e32 v1, 16, v0
	v_and_b32_e32 v0, 0xffff, v0
	;;#ASMSTART
	v_cvt_f32_f16 v63, v0;
	;;#ASMEND
	v_add_co_u32_e32 v0, vcc, 0x2000, v7
	;;#ASMSTART
	v_cvt_f32_f16 v12, v1;
	;;#ASMEND
	v_addc_co_u32_e32 v1, vcc, 0, v8, vcc
	global_load_dwordx4 v[1:4], v[0:1], off offset:3072
	s_waitcnt vmcnt(0)
	v_lshrrev_b32_e32 v62, 16, v1
	v_lshrrev_b32_e32 v8, 16, v2
	;; [unrolled: 1-line block ×3, first 2 shown]
	s_and_saveexec_b64 s[6:7], s[0:1]
	s_cbranch_execz .LBB106_29
; %bb.53:                               ;   in Loop: Header=BB106_30 Depth=1
	v_cmp_gt_i32_e32 vcc, s33, v30
	v_cndmask_b32_e32 v1, 0, v1, vcc
	v_cmp_gt_i32_e32 vcc, s33, v40
	v_cndmask_b32_e32 v62, 0, v62, vcc
	;; [unrolled: 2-line block ×6, first 2 shown]
	v_cmp_gt_i32_e32 vcc, s33, v38
	v_cndmask_b32_sdwa v0, v25, v4, vcc dst_sel:DWORD dst_unused:UNUSED_PAD src0_sel:DWORD src1_sel:WORD_0
	v_and_b32_e32 v4, 0xffff0000, v4
	v_cmp_gt_i32_e32 vcc, s33, v28
	v_cndmask_b32_e32 v4, 0, v4, vcc
	v_or_b32_e32 v4, v0, v4
	s_branch .LBB106_29
.LBB106_54:
	s_or_b64 exec, exec, s[4:5]
	v_and_b32_e32 v25, 63, v49
	v_and_b32_e32 v29, 3, v49
.LBB106_55:
	s_or_b64 exec, exec, s[2:3]
	ds_bpermute_b32 v0, v10, v23
	ds_bpermute_b32 v1, v10, v24
	;; [unrolled: 1-line block ×4, first 2 shown]
	s_waitcnt lgkmcnt(0)
	v_add_f32_e32 v0, v23, v0
	v_add_f32_e32 v1, v24, v1
	ds_bpermute_b32 v4, v11, v0
	v_add_f32_e32 v2, v22, v2
	ds_bpermute_b32 v5, v11, v1
	ds_bpermute_b32 v7, v11, v2
	v_add_f32_e32 v6, v21, v3
	s_waitcnt lgkmcnt(2)
	v_add_f32_e32 v3, v0, v4
	ds_bpermute_b32 v0, v11, v6
	s_waitcnt lgkmcnt(2)
	v_add_f32_e32 v1, v1, v5
	ds_bpermute_b32 v5, v10, v20
	s_waitcnt lgkmcnt(2)
	v_add_f32_e32 v2, v2, v7
	ds_bpermute_b32 v7, v10, v19
	s_waitcnt lgkmcnt(2)
	v_add_f32_e32 v4, v6, v0
	ds_bpermute_b32 v0, v10, v18
	s_waitcnt lgkmcnt(2)
	v_add_f32_e32 v5, v20, v5
	ds_bpermute_b32 v6, v11, v5
	s_waitcnt lgkmcnt(2)
	v_add_f32_e32 v7, v19, v7
	ds_bpermute_b32 v8, v11, v7
	s_waitcnt lgkmcnt(2)
	v_add_f32_e32 v0, v18, v0
	ds_bpermute_b32 v12, v11, v0
	ds_bpermute_b32 v18, v10, v17
	s_waitcnt lgkmcnt(3)
	v_add_f32_e32 v6, v5, v6
	s_waitcnt lgkmcnt(2)
	v_add_f32_e32 v5, v7, v8
	ds_bpermute_b32 v8, v10, v16
	s_waitcnt lgkmcnt(2)
	v_add_f32_e32 v7, v0, v12
	s_waitcnt lgkmcnt(1)
	v_add_f32_e32 v0, v17, v18
	ds_bpermute_b32 v17, v10, v15
	ds_bpermute_b32 v12, v11, v0
	s_waitcnt lgkmcnt(2)
	v_add_f32_e32 v8, v16, v8
	ds_bpermute_b32 v16, v10, v14
	ds_bpermute_b32 v10, v10, v13
	;; [unrolled: 4-line block ×3, first 2 shown]
	s_waitcnt lgkmcnt(3)
	v_add_f32_e32 v16, v14, v16
	s_waitcnt lgkmcnt(2)
	v_add_f32_e32 v20, v13, v10
	ds_bpermute_b32 v19, v11, v16
	ds_bpermute_b32 v21, v11, v20
	s_waitcnt lgkmcnt(3)
	v_add_f32_e32 v11, v15, v17
	v_and_b32_e32 v15, 0x3c3, v49
	v_add_f32_e32 v14, v0, v12
	s_waitcnt lgkmcnt(2)
	v_add_f32_e32 v13, v8, v18
	s_waitcnt lgkmcnt(1)
	;; [unrolled: 2-line block ×3, first 2 shown]
	v_add_f32_e32 v8, v20, v21
	v_cmp_eq_u32_e32 vcc, 64, v15
	s_barrier
	s_and_saveexec_b64 s[0:1], vcc
	s_cbranch_execz .LBB106_57
; %bb.56:
	v_add_u32_e32 v0, 0x190, v25
	ds_write2_b32 v0, v3, v1 offset1:16
	ds_write2_b32 v0, v2, v4 offset0:32 offset1:48
	ds_write2_b32 v0, v6, v5 offset0:64 offset1:80
	;; [unrolled: 1-line block ×5, first 2 shown]
.LBB106_57:
	s_or_b64 exec, exec, s[0:1]
	v_cmp_gt_u32_e32 vcc, 64, v49
	v_lshrrev_b32_e32 v0, 2, v49
	s_waitcnt lgkmcnt(0)
	s_barrier
	s_and_saveexec_b64 s[0:1], vcc
	s_cbranch_execz .LBB106_72
; %bb.58:
	v_mov_b32_e32 v9, 0x190
	v_cmp_eq_u32_e32 vcc, 0, v29
	v_lshl_add_u32 v9, v0, 2, v9
	s_and_saveexec_b64 s[2:3], vcc
	s_cbranch_execnz .LBB106_75
; %bb.59:
	s_or_b64 exec, exec, s[2:3]
	s_and_saveexec_b64 s[2:3], vcc
	s_cbranch_execnz .LBB106_76
.LBB106_60:
	s_or_b64 exec, exec, s[2:3]
	s_and_saveexec_b64 s[2:3], vcc
	s_cbranch_execnz .LBB106_77
.LBB106_61:
	s_or_b64 exec, exec, s[2:3]
	s_and_saveexec_b64 s[2:3], vcc
	s_cbranch_execnz .LBB106_78
.LBB106_62:
	s_or_b64 exec, exec, s[2:3]
	s_and_saveexec_b64 s[2:3], vcc
	s_cbranch_execnz .LBB106_79
.LBB106_63:
	s_or_b64 exec, exec, s[2:3]
	s_and_saveexec_b64 s[2:3], vcc
	s_cbranch_execnz .LBB106_80
.LBB106_64:
	s_or_b64 exec, exec, s[2:3]
	s_and_saveexec_b64 s[2:3], vcc
	s_cbranch_execnz .LBB106_81
.LBB106_65:
	s_or_b64 exec, exec, s[2:3]
	s_and_saveexec_b64 s[2:3], vcc
	s_cbranch_execnz .LBB106_82
.LBB106_66:
	s_or_b64 exec, exec, s[2:3]
	s_and_saveexec_b64 s[2:3], vcc
	s_cbranch_execnz .LBB106_83
.LBB106_67:
	s_or_b64 exec, exec, s[2:3]
	s_and_saveexec_b64 s[2:3], vcc
	s_cbranch_execnz .LBB106_84
.LBB106_68:
	s_or_b64 exec, exec, s[2:3]
	s_and_saveexec_b64 s[2:3], vcc
	s_cbranch_execnz .LBB106_85
.LBB106_69:
	s_or_b64 exec, exec, s[2:3]
	s_and_saveexec_b64 s[2:3], vcc
	s_cbranch_execz .LBB106_71
.LBB106_70:
	ds_read_b32 v9, v9 offset:704
	s_waitcnt lgkmcnt(0)
	v_add_f32_e32 v8, v8, v9
.LBB106_71:
	s_or_b64 exec, exec, s[2:3]
.LBB106_72:
	s_or_b64 exec, exec, s[0:1]
	v_cmp_eq_u32_e32 vcc, 0, v15
	s_barrier
	s_and_saveexec_b64 s[0:1], vcc
	s_cbranch_execz .LBB106_74
; %bb.73:
	s_mul_i32 s0, s10, s11
	s_mul_i32 s0, s0, s9
	s_mulk_i32 s0, 0xc0
	s_ashr_i32 s1, s0, 31
	s_lshl_b64 s[0:1], s[0:1], 1
	s_add_u32 s2, s18, s0
	s_mul_i32 s0, s11, s16
	s_addc_u32 s3, s19, s1
	s_ashr_i32 s1, s0, 31
	s_lshl_b64 s[0:1], s[0:1], 1
	s_add_u32 s2, s2, s0
	s_mul_i32 s0, s8, 0xc0
	s_addc_u32 s3, s3, s1
	s_ashr_i32 s1, s0, 31
	s_lshl_b64 s[0:1], s[0:1], 1
	s_add_u32 s0, s2, s0
	s_addc_u32 s1, s3, s1
	v_lshlrev_b32_e32 v0, 1, v0
	;;#ASMSTART
	v_cvt_f16_f32 v3, v3;

	;;#ASMEND
	global_store_short v0, v3, s[0:1]
	;;#ASMSTART
	v_cvt_f16_f32 v1, v1;

	;;#ASMEND
	global_store_short v0, v1, s[0:1] offset:32
	;;#ASMSTART
	v_cvt_f16_f32 v1, v2;

	;;#ASMEND
	global_store_short v0, v1, s[0:1] offset:64
	;; [unrolled: 5-line block ×11, first 2 shown]
.LBB106_74:
	s_endpgm
.LBB106_75:
	ds_read_b32 v12, v9
	s_waitcnt lgkmcnt(0)
	v_add_f32_e32 v3, v3, v12
	s_or_b64 exec, exec, s[2:3]
	s_and_saveexec_b64 s[2:3], vcc
	s_cbranch_execz .LBB106_60
.LBB106_76:
	ds_read_b32 v12, v9 offset:64
	s_waitcnt lgkmcnt(0)
	v_add_f32_e32 v1, v1, v12
	s_or_b64 exec, exec, s[2:3]
	s_and_saveexec_b64 s[2:3], vcc
	s_cbranch_execz .LBB106_61
.LBB106_77:
	ds_read_b32 v12, v9 offset:128
	s_waitcnt lgkmcnt(0)
	v_add_f32_e32 v2, v2, v12
	s_or_b64 exec, exec, s[2:3]
	s_and_saveexec_b64 s[2:3], vcc
	s_cbranch_execz .LBB106_62
.LBB106_78:
	ds_read_b32 v12, v9 offset:192
	s_waitcnt lgkmcnt(0)
	v_add_f32_e32 v4, v4, v12
	s_or_b64 exec, exec, s[2:3]
	s_and_saveexec_b64 s[2:3], vcc
	s_cbranch_execz .LBB106_63
.LBB106_79:
	ds_read_b32 v12, v9 offset:256
	s_waitcnt lgkmcnt(0)
	v_add_f32_e32 v6, v6, v12
	s_or_b64 exec, exec, s[2:3]
	s_and_saveexec_b64 s[2:3], vcc
	s_cbranch_execz .LBB106_64
.LBB106_80:
	ds_read_b32 v12, v9 offset:320
	s_waitcnt lgkmcnt(0)
	v_add_f32_e32 v5, v5, v12
	s_or_b64 exec, exec, s[2:3]
	s_and_saveexec_b64 s[2:3], vcc
	s_cbranch_execz .LBB106_65
.LBB106_81:
	ds_read_b32 v12, v9 offset:384
	s_waitcnt lgkmcnt(0)
	v_add_f32_e32 v7, v7, v12
	s_or_b64 exec, exec, s[2:3]
	s_and_saveexec_b64 s[2:3], vcc
	s_cbranch_execz .LBB106_66
.LBB106_82:
	ds_read_b32 v12, v9 offset:448
	s_waitcnt lgkmcnt(0)
	v_add_f32_e32 v14, v14, v12
	s_or_b64 exec, exec, s[2:3]
	s_and_saveexec_b64 s[2:3], vcc
	s_cbranch_execz .LBB106_67
.LBB106_83:
	ds_read_b32 v12, v9 offset:512
	s_waitcnt lgkmcnt(0)
	v_add_f32_e32 v13, v13, v12
	s_or_b64 exec, exec, s[2:3]
	s_and_saveexec_b64 s[2:3], vcc
	s_cbranch_execz .LBB106_68
.LBB106_84:
	ds_read_b32 v12, v9 offset:576
	s_waitcnt lgkmcnt(0)
	v_add_f32_e32 v11, v11, v12
	s_or_b64 exec, exec, s[2:3]
	s_and_saveexec_b64 s[2:3], vcc
	s_cbranch_execz .LBB106_69
.LBB106_85:
	ds_read_b32 v12, v9 offset:640
	s_waitcnt lgkmcnt(0)
	v_add_f32_e32 v10, v10, v12
	s_or_b64 exec, exec, s[2:3]
	s_and_saveexec_b64 s[2:3], vcc
	s_cbranch_execnz .LBB106_70
	s_branch .LBB106_71
	.section	.rodata,"a",@progbits
	.p2align	6, 0x0
	.amdhsa_kernel _ZN4vllm25paged_attention_v1_kernelIttLi192ELi32ELi128ELNS_18Fp8KVCacheDataTypeE0ELb0EEEvPT_PKS2_PKT0_S8_ifPKiSA_iPKfiiiSC_SC_iiiii
		.amdhsa_group_segment_fixed_size 400
		.amdhsa_private_segment_fixed_size 52
		.amdhsa_kernarg_size 384
		.amdhsa_user_sgpr_count 6
		.amdhsa_user_sgpr_private_segment_buffer 1
		.amdhsa_user_sgpr_dispatch_ptr 0
		.amdhsa_user_sgpr_queue_ptr 0
		.amdhsa_user_sgpr_kernarg_segment_ptr 1
		.amdhsa_user_sgpr_dispatch_id 0
		.amdhsa_user_sgpr_flat_scratch_init 0
		.amdhsa_user_sgpr_private_segment_size 0
		.amdhsa_uses_dynamic_stack 0
		.amdhsa_system_sgpr_private_segment_wavefront_offset 1
		.amdhsa_system_sgpr_workgroup_id_x 1
		.amdhsa_system_sgpr_workgroup_id_y 1
		.amdhsa_system_sgpr_workgroup_id_z 1
		.amdhsa_system_sgpr_workgroup_info 0
		.amdhsa_system_vgpr_workitem_id 0
		.amdhsa_next_free_vgpr 64
		.amdhsa_next_free_sgpr 40
		.amdhsa_reserve_vcc 1
		.amdhsa_reserve_flat_scratch 0
		.amdhsa_float_round_mode_32 0
		.amdhsa_float_round_mode_16_64 0
		.amdhsa_float_denorm_mode_32 3
		.amdhsa_float_denorm_mode_16_64 3
		.amdhsa_dx10_clamp 1
		.amdhsa_ieee_mode 1
		.amdhsa_fp16_overflow 0
		.amdhsa_exception_fp_ieee_invalid_op 0
		.amdhsa_exception_fp_denorm_src 0
		.amdhsa_exception_fp_ieee_div_zero 0
		.amdhsa_exception_fp_ieee_overflow 0
		.amdhsa_exception_fp_ieee_underflow 0
		.amdhsa_exception_fp_ieee_inexact 0
		.amdhsa_exception_int_div_zero 0
	.end_amdhsa_kernel
	.section	.text._ZN4vllm25paged_attention_v1_kernelIttLi192ELi32ELi128ELNS_18Fp8KVCacheDataTypeE0ELb0EEEvPT_PKS2_PKT0_S8_ifPKiSA_iPKfiiiSC_SC_iiiii,"axG",@progbits,_ZN4vllm25paged_attention_v1_kernelIttLi192ELi32ELi128ELNS_18Fp8KVCacheDataTypeE0ELb0EEEvPT_PKS2_PKT0_S8_ifPKiSA_iPKfiiiSC_SC_iiiii,comdat
.Lfunc_end106:
	.size	_ZN4vllm25paged_attention_v1_kernelIttLi192ELi32ELi128ELNS_18Fp8KVCacheDataTypeE0ELb0EEEvPT_PKS2_PKT0_S8_ifPKiSA_iPKfiiiSC_SC_iiiii, .Lfunc_end106-_ZN4vllm25paged_attention_v1_kernelIttLi192ELi32ELi128ELNS_18Fp8KVCacheDataTypeE0ELb0EEEvPT_PKS2_PKT0_S8_ifPKiSA_iPKfiiiSC_SC_iiiii
                                        ; -- End function
	.set _ZN4vllm25paged_attention_v1_kernelIttLi192ELi32ELi128ELNS_18Fp8KVCacheDataTypeE0ELb0EEEvPT_PKS2_PKT0_S8_ifPKiSA_iPKfiiiSC_SC_iiiii.num_vgpr, 64
	.set _ZN4vllm25paged_attention_v1_kernelIttLi192ELi32ELi128ELNS_18Fp8KVCacheDataTypeE0ELb0EEEvPT_PKS2_PKT0_S8_ifPKiSA_iPKfiiiSC_SC_iiiii.num_agpr, 0
	.set _ZN4vllm25paged_attention_v1_kernelIttLi192ELi32ELi128ELNS_18Fp8KVCacheDataTypeE0ELb0EEEvPT_PKS2_PKT0_S8_ifPKiSA_iPKfiiiSC_SC_iiiii.numbered_sgpr, 40
	.set _ZN4vllm25paged_attention_v1_kernelIttLi192ELi32ELi128ELNS_18Fp8KVCacheDataTypeE0ELb0EEEvPT_PKS2_PKT0_S8_ifPKiSA_iPKfiiiSC_SC_iiiii.num_named_barrier, 0
	.set _ZN4vllm25paged_attention_v1_kernelIttLi192ELi32ELi128ELNS_18Fp8KVCacheDataTypeE0ELb0EEEvPT_PKS2_PKT0_S8_ifPKiSA_iPKfiiiSC_SC_iiiii.private_seg_size, 52
	.set _ZN4vllm25paged_attention_v1_kernelIttLi192ELi32ELi128ELNS_18Fp8KVCacheDataTypeE0ELb0EEEvPT_PKS2_PKT0_S8_ifPKiSA_iPKfiiiSC_SC_iiiii.uses_vcc, 1
	.set _ZN4vllm25paged_attention_v1_kernelIttLi192ELi32ELi128ELNS_18Fp8KVCacheDataTypeE0ELb0EEEvPT_PKS2_PKT0_S8_ifPKiSA_iPKfiiiSC_SC_iiiii.uses_flat_scratch, 0
	.set _ZN4vllm25paged_attention_v1_kernelIttLi192ELi32ELi128ELNS_18Fp8KVCacheDataTypeE0ELb0EEEvPT_PKS2_PKT0_S8_ifPKiSA_iPKfiiiSC_SC_iiiii.has_dyn_sized_stack, 0
	.set _ZN4vllm25paged_attention_v1_kernelIttLi192ELi32ELi128ELNS_18Fp8KVCacheDataTypeE0ELb0EEEvPT_PKS2_PKT0_S8_ifPKiSA_iPKfiiiSC_SC_iiiii.has_recursion, 0
	.set _ZN4vllm25paged_attention_v1_kernelIttLi192ELi32ELi128ELNS_18Fp8KVCacheDataTypeE0ELb0EEEvPT_PKS2_PKT0_S8_ifPKiSA_iPKfiiiSC_SC_iiiii.has_indirect_call, 0
	.section	.AMDGPU.csdata,"",@progbits
; Kernel info:
; codeLenInByte = 10660
; TotalNumSgprs: 44
; NumVgprs: 64
; ScratchSize: 52
; MemoryBound: 0
; FloatMode: 240
; IeeeMode: 1
; LDSByteSize: 400 bytes/workgroup (compile time only)
; SGPRBlocks: 5
; VGPRBlocks: 15
; NumSGPRsForWavesPerEU: 44
; NumVGPRsForWavesPerEU: 64
; Occupancy: 4
; WaveLimiterHint : 1
; COMPUTE_PGM_RSRC2:SCRATCH_EN: 1
; COMPUTE_PGM_RSRC2:USER_SGPR: 6
; COMPUTE_PGM_RSRC2:TRAP_HANDLER: 0
; COMPUTE_PGM_RSRC2:TGID_X_EN: 1
; COMPUTE_PGM_RSRC2:TGID_Y_EN: 1
; COMPUTE_PGM_RSRC2:TGID_Z_EN: 1
; COMPUTE_PGM_RSRC2:TIDIG_COMP_CNT: 0
	.section	.text._ZN4vllm25paged_attention_v1_kernelIttLi256ELi32ELi128ELNS_18Fp8KVCacheDataTypeE0ELb0EEEvPT_PKS2_PKT0_S8_ifPKiSA_iPKfiiiSC_SC_iiiii,"axG",@progbits,_ZN4vllm25paged_attention_v1_kernelIttLi256ELi32ELi128ELNS_18Fp8KVCacheDataTypeE0ELb0EEEvPT_PKS2_PKT0_S8_ifPKiSA_iPKfiiiSC_SC_iiiii,comdat
	.protected	_ZN4vllm25paged_attention_v1_kernelIttLi256ELi32ELi128ELNS_18Fp8KVCacheDataTypeE0ELb0EEEvPT_PKS2_PKT0_S8_ifPKiSA_iPKfiiiSC_SC_iiiii ; -- Begin function _ZN4vllm25paged_attention_v1_kernelIttLi256ELi32ELi128ELNS_18Fp8KVCacheDataTypeE0ELb0EEEvPT_PKS2_PKT0_S8_ifPKiSA_iPKfiiiSC_SC_iiiii
	.globl	_ZN4vllm25paged_attention_v1_kernelIttLi256ELi32ELi128ELNS_18Fp8KVCacheDataTypeE0ELb0EEEvPT_PKS2_PKT0_S8_ifPKiSA_iPKfiiiSC_SC_iiiii
	.p2align	8
	.type	_ZN4vllm25paged_attention_v1_kernelIttLi256ELi32ELi128ELNS_18Fp8KVCacheDataTypeE0ELb0EEEvPT_PKS2_PKT0_S8_ifPKiSA_iPKfiiiSC_SC_iiiii,@function
_ZN4vllm25paged_attention_v1_kernelIttLi256ELi32ELi128ELNS_18Fp8KVCacheDataTypeE0ELb0EEEvPT_PKS2_PKT0_S8_ifPKiSA_iPKfiiiSC_SC_iiiii: ; @_ZN4vllm25paged_attention_v1_kernelIttLi256ELi32ELi128ELNS_18Fp8KVCacheDataTypeE0ELb0EEEvPT_PKS2_PKT0_S8_ifPKiSA_iPKfiiiSC_SC_iiiii
; %bb.0:
	s_mov_b64 s[42:43], s[2:3]
	s_mov_b64 s[40:41], s[0:1]
	s_add_u32 s40, s40, s9
	s_load_dword s9, s[4:5], 0x80
	s_load_dwordx2 s[0:1], s[4:5], 0x30
	s_load_dwordx2 s[10:11], s[4:5], 0x20
	s_addc_u32 s41, s41, 0
	s_mov_b32 s16, s7
	s_ashr_i32 s17, s7, 31
	s_lshl_b64 s[2:3], s[16:17], 2
	s_waitcnt lgkmcnt(0)
	s_add_u32 s0, s0, s2
	s_addc_u32 s1, s1, s3
	s_abs_i32 s2, s10
	v_mov_b32_e32 v28, v0
	v_cvt_f32_u32_e32 v0, s2
	s_xor_b32 s3, s9, s10
	s_sub_i32 s10, 0, s2
	s_abs_i32 s7, s9
	v_rcp_iflag_f32_e32 v0, v0
	s_ashr_i32 s3, s3, 31
	v_mul_f32_e32 v0, 0x4f7ffffe, v0
	v_cvt_u32_f32_e32 v0, v0
	v_readfirstlane_b32 s12, v0
	s_mul_i32 s10, s10, s12
	s_mul_hi_u32 s10, s12, s10
	s_add_i32 s12, s12, s10
	s_mul_hi_u32 s10, s7, s12
	s_mul_i32 s12, s10, s2
	s_sub_i32 s7, s7, s12
	s_add_i32 s12, s10, 1
	s_sub_i32 s13, s7, s2
	s_cmp_ge_u32 s7, s2
	s_cselect_b32 s10, s12, s10
	s_cselect_b32 s7, s13, s7
	s_add_i32 s12, s10, 1
	s_cmp_ge_u32 s7, s2
	s_cselect_b32 s2, s12, s10
	s_xor_b32 s2, s2, s3
	s_sub_i32 s12, s2, s3
	s_abs_i32 s20, s12
	v_cvt_f32_u32_e32 v0, s20
	s_load_dwordx2 s[2:3], s[4:5], 0x40
	s_sub_i32 s7, 0, s20
	s_abs_i32 s21, s6
	v_rcp_iflag_f32_e32 v0, v0
	s_mov_b32 s10, 0
	v_mul_f32_e32 v0, 0x4f7ffffe, v0
	v_cvt_u32_f32_e32 v0, v0
	v_readfirstlane_b32 s13, v0
	s_mul_i32 s7, s7, s13
	s_mul_hi_u32 s7, s13, s7
	s_add_i32 s13, s13, s7
	s_waitcnt lgkmcnt(0)
	s_cmp_eq_u64 s[2:3], 0
	s_mul_hi_u32 s24, s21, s13
	s_cbranch_scc1 .LBB107_2
; %bb.1:
	s_ashr_i32 s7, s6, 31
	s_lshl_b64 s[14:15], s[6:7], 2
	s_add_u32 s2, s2, s14
	s_addc_u32 s3, s3, s15
	s_load_dword s10, s[2:3], 0x0
.LBB107_2:
	s_load_dword s17, s[0:1], 0x0
	s_ashr_i32 s25, s12, 31
	s_load_dwordx4 s[12:15], s[4:5], 0x48
	s_ashr_i32 s7, s6, 31
	v_and_b32_e32 v1, 1, v28
	s_lshl_b32 s18, s6, 8
	v_cmp_gt_u32_e64 s[0:1], 64, v28
	v_lshlrev_b32_e32 v11, 3, v28
	s_and_saveexec_b64 s[2:3], s[0:1]
	s_cbranch_execz .LBB107_4
; %bb.3:
	s_load_dwordx2 s[22:23], s[4:5], 0x8
	s_waitcnt lgkmcnt(0)
	s_mul_i32 s26, s12, s16
	s_ashr_i32 s27, s26, 31
	s_lshl_b64 s[26:27], s[26:27], 1
	v_lshlrev_b32_e32 v0, 2, v28
	s_add_u32 s6, s22, s26
	s_addc_u32 s12, s23, s27
	s_ashr_i32 s19, s18, 31
	s_lshl_b64 s[22:23], s[18:19], 1
	s_add_u32 s22, s6, s22
	s_addc_u32 s23, s12, s23
	global_load_dwordx2 v[2:3], v11, s[22:23]
	v_and_b32_e32 v0, 0xff8, v0
	v_lshl_add_u32 v0, v1, 8, v0
	s_waitcnt vmcnt(0)
	ds_write_b64 v0, v[2:3]
.LBB107_4:
	s_or_b64 exec, exec, s[2:3]
	s_waitcnt lgkmcnt(0)
	s_add_i32 s3, s17, 31
	s_ashr_i32 s6, s3, 31
	s_lshr_b32 s6, s6, 27
	s_add_i32 s3, s3, s6
	s_mul_i32 s6, s24, s20
	s_sub_i32 s6, s21, s6
	s_ashr_i32 s19, s3, 5
	s_xor_b32 s3, s7, s25
	s_add_i32 s7, s24, 1
	s_sub_i32 s12, s6, s20
	s_load_dwordx2 s[22:23], s[4:5], 0x28
	s_load_dword s2, s[4:5], 0x38
	s_cmp_ge_u32 s6, s20
	s_cselect_b32 s7, s7, s24
	s_cselect_b32 s6, s12, s6
	s_add_i32 s12, s7, 1
	s_cmp_ge_u32 s6, s20
	s_cselect_b32 s6, s12, s7
	v_lshrrev_b32_e32 v35, 6, v28
	s_xor_b32 s6, s6, s3
	s_waitcnt lgkmcnt(0)
	s_mul_i32 s24, s2, s16
	s_sub_i32 s15, s6, s3
	s_ashr_i32 s25, s24, 31
	v_cmp_gt_i32_e64 s[2:3], s19, v35
	v_cmp_le_i32_e32 vcc, s19, v35
	v_mbcnt_lo_u32_b32 v2, -1, 0
                                        ; implicit-def: $vgpr0
	s_barrier
                                        ; kill: killed $vgpr0
                                        ; implicit-def: $vgpr9
                                        ; implicit-def: $vgpr0
                                        ; kill: killed $vgpr0
	s_and_saveexec_b64 s[6:7], vcc
	s_xor_b64 s[6:7], exec, s[6:7]
	s_cbranch_execz .LBB107_6
; %bb.5:
	v_mbcnt_hi_u32_b32 v0, -1, v2
	v_and_b32_e32 v9, 64, v0
	buffer_store_dword v0, off, s[40:43], 0 offset:80 ; 4-byte Folded Spill
	v_add_u32_e32 v0, 64, v9
	buffer_store_dword v0, off, s[40:43], 0 offset:84 ; 4-byte Folded Spill
                                        ; implicit-def: $vgpr1
                                        ; implicit-def: $vgpr2
.LBB107_6:
	s_or_saveexec_b64 s[28:29], s[6:7]
	s_load_dwordx2 s[20:21], s[4:5], 0x0
	s_load_dwordx2 s[26:27], s[4:5], 0x18
	s_load_dword s12, s[4:5], 0x88
	v_mov_b32_e32 v3, 0xff7fffff
	s_mul_i32 s14, s15, s14
	v_lshrrev_b32_e32 v31, 4, v28
	buffer_store_dword v28, off, s[40:43], 0 offset:104 ; 4-byte Folded Spill
	s_xor_b64 exec, exec, s[28:29]
	s_cbranch_execz .LBB107_12
; %bb.7:
	s_load_dwordx2 s[4:5], s[4:5], 0x10
	s_ashr_i32 s15, s14, 31
	s_lshl_b64 s[6:7], s[14:15], 1
	v_bfe_u32 v3, v28, 1, 5
	v_lshlrev_b32_e32 v0, 4, v3
	s_waitcnt lgkmcnt(0)
	s_add_u32 s4, s4, s6
	s_addc_u32 s5, s5, s7
	v_mov_b32_e32 v4, s5
	v_add_co_u32_e32 v0, vcc, s4, v0
	v_addc_co_u32_e32 v4, vcc, 0, v4, vcc
	v_and_b32_e32 v5, 8, v11
	v_add_co_u32_e32 v0, vcc, v0, v5
	buffer_store_dword v0, off, s[40:43], 0 offset:92 ; 4-byte Folded Spill
	v_addc_co_u32_e32 v0, vcc, 0, v4, vcc
	buffer_store_dword v0, off, s[40:43], 0 offset:96 ; 4-byte Folded Spill
	v_lshlrev_b32_e32 v0, 8, v1
	v_cmp_eq_u32_e32 vcc, 0, v1
	s_sub_i32 s15, 1, s17
	v_lshlrev_b32_e32 v1, 2, v3
	s_lshl_b64 s[6:7], s[24:25], 2
	v_lshl_or_b32 v1, v35, 7, v1
	s_add_u32 s6, s22, s6
	v_add_u32_e32 v6, 0x210, v1
	v_and_b32_e32 v1, 60, v31
	s_addc_u32 s7, s23, s7
	v_mov_b32_e32 v4, s7
	v_add_co_u32_e64 v21, s[6:7], s6, v1
	v_mov_b32_e32 v1, 0xff7fffff
	buffer_store_dword v1, off, s[40:43], 0 offset:88 ; 4-byte Folded Spill
	v_mbcnt_hi_u32_b32 v1, -1, v2
	v_xor_b32_e32 v2, 1, v1
	buffer_store_dword v11, off, s[40:43], 0 offset:108 ; 4-byte Folded Spill
	buffer_store_dword v31, off, s[40:43], 0 offset:112 ; 4-byte Folded Spill
	;; [unrolled: 1-line block ×4, first 2 shown]
	v_and_b32_e32 v1, 64, v1
	s_mov_b32 s33, s13
	v_cmp_neq_f32_e64 s[4:5], s10, 0
	v_lshl_or_b32 v5, v35, 5, v3
	v_addc_co_u32_e64 v22, s[6:7], 0, v4, s[6:7]
	s_mov_b64 s[30:31], 0
	s_movk_i32 s36, 0x1000
	s_movk_i32 s37, 0x2000
	;; [unrolled: 1-line block ×3, first 2 shown]
	buffer_store_dword v1, off, s[40:43], 0 offset:116 ; 4-byte Folded Spill
	v_add_u32_e32 v1, 64, v1
	buffer_store_dword v1, off, s[40:43], 0 offset:84 ; 4-byte Folded Spill
	buffer_store_dword v35, off, s[40:43], 0 ; 4-byte Folded Spill
	s_branch .LBB107_9
.LBB107_8:                              ;   in Loop: Header=BB107_9 Depth=1
	s_or_b64 exec, exec, s[34:35]
	buffer_load_dword v1, off, s[40:43], 0 offset:12 ; 4-byte Folded Reload
	v_add_u32_e32 v5, 64, v5
	v_add_u32_e32 v6, 0x100, v6
	s_waitcnt vmcnt(0)
	v_add_u32_e32 v1, 2, v1
	v_cmp_le_i32_e64 s[6:7], s19, v1
	s_or_b64 s[30:31], s[6:7], s[30:31]
	v_add_co_u32_e64 v21, s[6:7], 8, v21
	v_addc_co_u32_e64 v22, s[6:7], 0, v22, s[6:7]
	v_mov_b32_e32 v35, v1
	s_andn2_b64 exec, exec, s[30:31]
	s_cbranch_execz .LBB107_11
.LBB107_9:                              ; =>This Inner Loop Header: Depth=1
	buffer_store_dword v35, off, s[40:43], 0 offset:12 ; 4-byte Folded Spill
	buffer_store_dword v6, off, s[40:43], 0 offset:8 ; 4-byte Folded Spill
	;; [unrolled: 1-line block ×3, first 2 shown]
	global_load_dword v1, v[21:22], off
	buffer_load_dword v3, off, s[40:43], 0 offset:92 ; 4-byte Folded Reload
	s_waitcnt vmcnt(1) lgkmcnt(0)
	v_mad_i64_i32 v[1:2], s[6:7], v1, s33, 0
	v_lshlrev_b64 v[1:2], 1, v[1:2]
	s_waitcnt vmcnt(0)
	v_add_co_u32_e64 v8, s[6:7], v3, v1
	buffer_load_dword v1, off, s[40:43], 0 offset:96 ; 4-byte Folded Reload
	s_waitcnt vmcnt(0)
	v_addc_co_u32_e64 v9, s[6:7], v1, v2, s[6:7]
	global_load_dwordx2 v[10:11], v[8:9], off
	global_load_dwordx2 v[61:62], v[8:9], off offset:512
	ds_read_b64 v[1:2], v0
	v_add_co_u32_e64 v12, s[6:7], s36, v8
	v_addc_co_u32_e64 v13, s[6:7], 0, v9, s[6:7]
	v_add_co_u32_e64 v14, s[6:7], s37, v8
	v_addc_co_u32_e64 v15, s[6:7], 0, v9, s[6:7]
	s_waitcnt lgkmcnt(0)
	v_lshrrev_b32_e32 v3, 16, v1
	v_and_b32_e32 v4, 0xffff, v1
	v_lshrrev_b32_e32 v17, 16, v2
	v_and_b32_e32 v16, 0xffff, v2
	global_load_dwordx2 v[1:2], v[8:9], off offset:1024
	global_load_dwordx2 v[59:60], v[8:9], off offset:1536
	v_add_co_u32_e64 v5, s[6:7], s38, v8
	global_load_dwordx2 v[57:58], v[8:9], off offset:2048
	global_load_dwordx2 v[55:56], v[8:9], off offset:2560
	;; [unrolled: 1-line block ×4, first 2 shown]
	global_load_dwordx2 v[49:50], v[14:15], off offset:-4096
	global_load_dwordx2 v[33:34], v[14:15], off
	global_load_dwordx2 v[31:32], v[14:15], off offset:512
	global_load_dwordx2 v[29:30], v[14:15], off offset:1024
	;; [unrolled: 1-line block ×6, first 2 shown]
	v_addc_co_u32_e64 v6, s[6:7], 0, v9, s[6:7]
	s_waitcnt vmcnt(0)
	buffer_store_dword v7, off, s[40:43], 0 offset:72 ; 4-byte Folded Spill
	s_nop 0
	buffer_store_dword v8, off, s[40:43], 0 offset:76 ; 4-byte Folded Spill
	global_load_dwordx2 v[7:8], v[14:15], off offset:3584
	v_lshrrev_b32_e32 v15, 16, v10
	v_lshrrev_b32_e32 v18, 16, v11
	v_and_b32_e32 v19, 0xffff, v11
	s_waitcnt vmcnt(0)
	buffer_store_dword v7, off, s[40:43], 0 offset:64 ; 4-byte Folded Spill
	s_nop 0
	buffer_store_dword v8, off, s[40:43], 0 offset:68 ; 4-byte Folded Spill
	v_and_b32_e32 v8, 0xffff, v10
	global_load_dwordx2 v[47:48], v[12:13], off offset:512
	global_load_dwordx2 v[45:46], v[12:13], off offset:1024
	;; [unrolled: 1-line block ×7, first 2 shown]
	global_load_dwordx2 v[9:10], v[5:6], off
	s_nop 0
	global_load_dwordx2 v[11:12], v[5:6], off offset:512
	global_load_dwordx2 v[13:14], v[5:6], off offset:1024
	s_waitcnt vmcnt(0)
	buffer_store_dword v13, off, s[40:43], 0 offset:56 ; 4-byte Folded Spill
	s_nop 0
	buffer_store_dword v14, off, s[40:43], 0 offset:60 ; 4-byte Folded Spill
	global_load_dwordx2 v[13:14], v[5:6], off offset:1536
	s_waitcnt vmcnt(0)
	buffer_store_dword v13, off, s[40:43], 0 offset:48 ; 4-byte Folded Spill
	s_nop 0
	buffer_store_dword v14, off, s[40:43], 0 offset:52 ; 4-byte Folded Spill
	;; [unrolled: 5-line block ×6, first 2 shown]
	;;#ASMSTART
	v_cvt_f32_f16 v7, v4;
	;;#ASMEND
	;;#ASMSTART
	v_cvt_f32_f16 v63, v3;
	;;#ASMEND
	;;#ASMSTART
	v_cvt_f32_f16 v8, v8;
	;;#ASMEND
	;;#ASMSTART
	v_cvt_f32_f16 v15, v15;
	;;#ASMEND
	;;#ASMSTART
	v_cvt_f32_f16 v16, v16;
	;;#ASMEND
	;;#ASMSTART
	v_cvt_f32_f16 v3, v17;
	;;#ASMEND
	;;#ASMSTART
	v_cvt_f32_f16 v4, v19;
	;;#ASMEND
	;;#ASMSTART
	v_cvt_f32_f16 v17, v18;
	;;#ASMEND
	ds_read_b64 v[5:6], v0 offset:8
	s_waitcnt lgkmcnt(0)
	v_and_b32_e32 v18, 0xffff, v5
	v_lshrrev_b32_e32 v5, 16, v5
	;;#ASMSTART
	v_cvt_f32_f16 v20, v18;
	;;#ASMEND
	;;#ASMSTART
	v_cvt_f32_f16 v18, v5;
	;;#ASMEND
	v_and_b32_e32 v5, 0xffff, v61
	;;#ASMSTART
	v_cvt_f32_f16 v5, v5;
	;;#ASMEND
	v_mul_f32_e32 v5, v20, v5
	v_fmac_f32_e32 v5, v7, v8
	v_lshrrev_b32_e32 v7, 16, v61
	;;#ASMSTART
	v_cvt_f32_f16 v7, v7;
	;;#ASMEND
	v_mul_f32_e32 v8, v18, v7
	v_fmac_f32_e32 v8, v63, v15
	v_lshrrev_b32_e32 v7, 16, v6
	v_and_b32_e32 v6, 0xffff, v6
	v_and_b32_e32 v15, 0xffff, v62
	;;#ASMSTART
	v_cvt_f32_f16 v6, v6;
	;;#ASMEND
	;;#ASMSTART
	v_cvt_f32_f16 v7, v7;
	;;#ASMEND
	;; [unrolled: 3-line block ×3, first 2 shown]
	v_mul_f32_e32 v61, v6, v15
	v_fmac_f32_e32 v61, v16, v4
	v_lshrrev_b32_e32 v4, 16, v62
	;;#ASMSTART
	v_cvt_f32_f16 v4, v4;
	;;#ASMEND
	v_mul_f32_e32 v62, v7, v4
	ds_read_b64 v[6:7], v0 offset:16
	v_fmac_f32_e32 v62, v3, v17
	s_waitcnt lgkmcnt(0)
	v_and_b32_e32 v3, 0xffff, v6
	v_lshrrev_b32_e32 v4, 16, v6
	v_and_b32_e32 v6, 0xffff, v1
	v_lshrrev_b32_e32 v1, 16, v1
	;;#ASMSTART
	v_cvt_f32_f16 v3, v3;
	;;#ASMEND
	;;#ASMSTART
	v_cvt_f32_f16 v4, v4;
	;;#ASMEND
	;; [unrolled: 3-line block ×4, first 2 shown]
	v_fmac_f32_e32 v8, v4, v1
	v_and_b32_e32 v1, 0xffff, v7
	v_fmac_f32_e32 v5, v3, v6
	v_lshrrev_b32_e32 v3, 16, v7
	;;#ASMSTART
	v_cvt_f32_f16 v1, v1;
	;;#ASMEND
	v_and_b32_e32 v4, 0xffff, v2
	;;#ASMSTART
	v_cvt_f32_f16 v3, v3;
	;;#ASMEND
	;;#ASMSTART
	v_cvt_f32_f16 v4, v4;
	;;#ASMEND
	v_fmac_f32_e32 v61, v1, v4
	v_lshrrev_b32_e32 v1, 16, v2
	;;#ASMSTART
	v_cvt_f32_f16 v1, v1;
	;;#ASMEND
	v_fmac_f32_e32 v62, v3, v1
	ds_read_b64 v[1:2], v0 offset:24
	v_and_b32_e32 v4, 0xffff, v59
	s_waitcnt lgkmcnt(0)
	v_and_b32_e32 v3, 0xffff, v1
	;;#ASMSTART
	v_cvt_f32_f16 v3, v3;
	;;#ASMEND
	v_lshrrev_b32_e32 v1, 16, v1
	;;#ASMSTART
	v_cvt_f32_f16 v1, v1;
	;;#ASMEND
	;;#ASMSTART
	v_cvt_f32_f16 v4, v4;
	;;#ASMEND
	v_fmac_f32_e32 v5, v3, v4
	v_lshrrev_b32_e32 v3, 16, v59
	;;#ASMSTART
	v_cvt_f32_f16 v3, v3;
	;;#ASMEND
	v_fmac_f32_e32 v8, v1, v3
	v_lshrrev_b32_e32 v3, 16, v2
	v_and_b32_e32 v1, 0xffff, v2
	;;#ASMSTART
	v_cvt_f32_f16 v1, v1;
	;;#ASMEND
	;;#ASMSTART
	v_cvt_f32_f16 v2, v3;
	;;#ASMEND
	v_and_b32_e32 v3, 0xffff, v60
	;;#ASMSTART
	v_cvt_f32_f16 v3, v3;
	;;#ASMEND
	v_fmac_f32_e32 v61, v1, v3
	v_lshrrev_b32_e32 v1, 16, v60
	;;#ASMSTART
	v_cvt_f32_f16 v1, v1;
	;;#ASMEND
	v_fmac_f32_e32 v62, v2, v1
	ds_read_b64 v[1:2], v0 offset:32
	v_and_b32_e32 v4, 0xffff, v57
	s_waitcnt lgkmcnt(0)
	v_and_b32_e32 v3, 0xffff, v1
	;;#ASMSTART
	v_cvt_f32_f16 v3, v3;
	;;#ASMEND
	v_lshrrev_b32_e32 v1, 16, v1
	;;#ASMSTART
	v_cvt_f32_f16 v1, v1;
	;;#ASMEND
	;;#ASMSTART
	v_cvt_f32_f16 v4, v4;
	;;#ASMEND
	v_fmac_f32_e32 v5, v3, v4
	v_lshrrev_b32_e32 v3, 16, v57
	;;#ASMSTART
	v_cvt_f32_f16 v3, v3;
	;;#ASMEND
	v_fmac_f32_e32 v8, v1, v3
	v_lshrrev_b32_e32 v3, 16, v2
	v_and_b32_e32 v1, 0xffff, v2
	;;#ASMSTART
	v_cvt_f32_f16 v1, v1;
	;;#ASMEND
	;;#ASMSTART
	v_cvt_f32_f16 v2, v3;
	;;#ASMEND
	v_and_b32_e32 v3, 0xffff, v58
	;; [unrolled: 38-line block ×6, first 2 shown]
	;;#ASMSTART
	v_cvt_f32_f16 v3, v3;
	;;#ASMEND
	v_fmac_f32_e32 v61, v1, v3
	v_lshrrev_b32_e32 v1, 16, v50
	;;#ASMSTART
	v_cvt_f32_f16 v1, v1;
	;;#ASMEND
	v_fmac_f32_e32 v62, v2, v1
	ds_read_b64 v[1:2], v0 offset:72
	v_and_b32_e32 v4, 0xffff, v47
	s_waitcnt lgkmcnt(0)
	v_and_b32_e32 v3, 0xffff, v1
	;;#ASMSTART
	v_cvt_f32_f16 v3, v3;
	;;#ASMEND
	v_lshrrev_b32_e32 v1, 16, v1
	;;#ASMSTART
	v_cvt_f32_f16 v1, v1;
	;;#ASMEND
	;;#ASMSTART
	v_cvt_f32_f16 v4, v4;
	;;#ASMEND
	v_fmac_f32_e32 v5, v3, v4
	v_lshrrev_b32_e32 v3, 16, v47
	;;#ASMSTART
	v_cvt_f32_f16 v3, v3;
	;;#ASMEND
	v_fmac_f32_e32 v8, v1, v3
	v_and_b32_e32 v1, 0xffff, v2
	v_lshrrev_b32_e32 v3, 16, v2
	;;#ASMSTART
	v_cvt_f32_f16 v1, v1;
	;;#ASMEND
	v_and_b32_e32 v2, 0xffff, v48
	;;#ASMSTART
	v_cvt_f32_f16 v3, v3;
	;;#ASMEND
	;;#ASMSTART
	v_cvt_f32_f16 v2, v2;
	;;#ASMEND
	v_fmac_f32_e32 v61, v1, v2
	v_lshrrev_b32_e32 v1, 16, v48
	;;#ASMSTART
	v_cvt_f32_f16 v4, v1;
	;;#ASMEND
	ds_read_b64 v[1:2], v0 offset:80
	v_fmac_f32_e32 v62, v3, v4
	v_and_b32_e32 v4, 0xffff, v45
	s_waitcnt lgkmcnt(0)
	v_and_b32_e32 v3, 0xffff, v1
	;;#ASMSTART
	v_cvt_f32_f16 v3, v3;
	;;#ASMEND
	v_lshrrev_b32_e32 v1, 16, v1
	;;#ASMSTART
	v_cvt_f32_f16 v1, v1;
	;;#ASMEND
	;;#ASMSTART
	v_cvt_f32_f16 v4, v4;
	;;#ASMEND
	v_fmac_f32_e32 v5, v3, v4
	v_lshrrev_b32_e32 v3, 16, v45
	;;#ASMSTART
	v_cvt_f32_f16 v3, v3;
	;;#ASMEND
	v_fmac_f32_e32 v8, v1, v3
	v_lshrrev_b32_e32 v1, 16, v2
	v_and_b32_e32 v2, 0xffff, v2
	;;#ASMSTART
	v_cvt_f32_f16 v3, v2;
	;;#ASMEND
	;;#ASMSTART
	v_cvt_f32_f16 v4, v1;
	;;#ASMEND
	v_and_b32_e32 v1, 0xffff, v46
	;;#ASMSTART
	v_cvt_f32_f16 v6, v1;
	;;#ASMEND
	v_lshrrev_b32_e32 v1, 16, v46
	;;#ASMSTART
	v_cvt_f32_f16 v7, v1;
	;;#ASMEND
	ds_read_b64 v[1:2], v0 offset:88
	v_fmac_f32_e32 v61, v3, v6
	v_fmac_f32_e32 v62, v4, v7
	s_waitcnt lgkmcnt(0)
	v_and_b32_e32 v3, 0xffff, v1
	v_lshrrev_b32_e32 v1, 16, v1
	;;#ASMSTART
	v_cvt_f32_f16 v3, v3;
	;;#ASMEND
	;;#ASMSTART
	v_cvt_f32_f16 v4, v1;
	;;#ASMEND
	v_and_b32_e32 v1, 0xffff, v43
	;;#ASMSTART
	v_cvt_f32_f16 v1, v1;
	;;#ASMEND
	v_fmac_f32_e32 v5, v3, v1
	v_lshrrev_b32_e32 v1, 16, v43
	;;#ASMSTART
	v_cvt_f32_f16 v3, v1;
	;;#ASMEND
	v_lshrrev_b32_e32 v1, 16, v2
	v_and_b32_e32 v2, 0xffff, v2
	;;#ASMSTART
	v_cvt_f32_f16 v6, v2;
	;;#ASMEND
	;;#ASMSTART
	v_cvt_f32_f16 v7, v1;
	;;#ASMEND
	v_and_b32_e32 v1, 0xffff, v44
	;;#ASMSTART
	v_cvt_f32_f16 v15, v1;
	;;#ASMEND
	v_lshrrev_b32_e32 v1, 16, v44
	;;#ASMSTART
	v_cvt_f32_f16 v16, v1;
	;;#ASMEND
	ds_read_b64 v[1:2], v0 offset:96
	v_fmac_f32_e32 v8, v4, v3
	v_fmac_f32_e32 v61, v6, v15
	v_fmac_f32_e32 v62, v7, v16
	s_waitcnt lgkmcnt(0)
	v_and_b32_e32 v3, 0xffff, v1
	v_lshrrev_b32_e32 v1, 16, v1
	;;#ASMSTART
	v_cvt_f32_f16 v3, v3;
	;;#ASMEND
	;;#ASMSTART
	v_cvt_f32_f16 v4, v1;
	;;#ASMEND
	v_and_b32_e32 v1, 0xffff, v41
	;;#ASMSTART
	v_cvt_f32_f16 v6, v1;
	;;#ASMEND
	v_lshrrev_b32_e32 v1, 16, v41
	;;#ASMSTART
	v_cvt_f32_f16 v7, v1;
	;;#ASMEND
	v_lshrrev_b32_e32 v1, 16, v2
	v_and_b32_e32 v2, 0xffff, v2
	;;#ASMSTART
	v_cvt_f32_f16 v15, v2;
	;;#ASMEND
	;;#ASMSTART
	v_cvt_f32_f16 v16, v1;
	;;#ASMEND
	v_and_b32_e32 v1, 0xffff, v42
	;;#ASMSTART
	v_cvt_f32_f16 v17, v1;
	;;#ASMEND
	v_lshrrev_b32_e32 v1, 16, v42
	;;#ASMSTART
	v_cvt_f32_f16 v18, v1;
	;;#ASMEND
	ds_read_b64 v[1:2], v0 offset:104
	v_fmac_f32_e32 v5, v3, v6
	v_fmac_f32_e32 v8, v4, v7
	v_fmac_f32_e32 v61, v15, v17
	v_fmac_f32_e32 v62, v16, v18
	s_waitcnt lgkmcnt(0)
	v_and_b32_e32 v3, 0xffff, v1
	v_lshrrev_b32_e32 v1, 16, v1
	;;#ASMSTART
	v_cvt_f32_f16 v3, v3;
	;;#ASMEND
	;;#ASMSTART
	v_cvt_f32_f16 v4, v1;
	;;#ASMEND
	v_and_b32_e32 v1, 0xffff, v39
	;;#ASMSTART
	v_cvt_f32_f16 v6, v1;
	;;#ASMEND
	v_lshrrev_b32_e32 v1, 16, v39
	;;#ASMSTART
	v_cvt_f32_f16 v7, v1;
	;;#ASMEND
	v_lshrrev_b32_e32 v1, 16, v2
	v_and_b32_e32 v2, 0xffff, v2
	;;#ASMSTART
	v_cvt_f32_f16 v15, v2;
	;;#ASMEND
	;;#ASMSTART
	v_cvt_f32_f16 v16, v1;
	;;#ASMEND
	v_and_b32_e32 v1, 0xffff, v40
	;;#ASMSTART
	v_cvt_f32_f16 v17, v1;
	;;#ASMEND
	v_lshrrev_b32_e32 v1, 16, v40
	;;#ASMSTART
	v_cvt_f32_f16 v18, v1;
	;;#ASMEND
	ds_read_b64 v[1:2], v0 offset:112
	v_fmac_f32_e32 v5, v3, v6
	;; [unrolled: 38-line block ×10, first 2 shown]
	v_fmac_f32_e32 v8, v4, v7
	v_fmac_f32_e32 v61, v15, v17
	;; [unrolled: 1-line block ×3, first 2 shown]
	s_waitcnt lgkmcnt(0)
	v_and_b32_e32 v3, 0xffff, v1
	;;#ASMSTART
	v_cvt_f32_f16 v3, v3;
	;;#ASMEND
	v_lshrrev_b32_e32 v1, 16, v1
	;;#ASMSTART
	v_cvt_f32_f16 v4, v1;
	;;#ASMEND
	buffer_load_dword v13, off, s[40:43], 0 offset:72 ; 4-byte Folded Reload
	buffer_load_dword v14, off, s[40:43], 0 offset:76 ; 4-byte Folded Reload
	s_waitcnt vmcnt(1)
	v_and_b32_e32 v1, 0xffff, v13
	;;#ASMSTART
	v_cvt_f32_f16 v6, v1;
	;;#ASMEND
	v_lshrrev_b32_e32 v1, 16, v13
	;;#ASMSTART
	v_cvt_f32_f16 v7, v1;
	;;#ASMEND
	v_lshrrev_b32_e32 v1, 16, v2
	v_and_b32_e32 v2, 0xffff, v2
	;;#ASMSTART
	v_cvt_f32_f16 v15, v2;
	;;#ASMEND
	;;#ASMSTART
	v_cvt_f32_f16 v16, v1;
	;;#ASMEND
	s_waitcnt vmcnt(0)
	v_and_b32_e32 v1, 0xffff, v14
	;;#ASMSTART
	v_cvt_f32_f16 v17, v1;
	;;#ASMEND
	v_lshrrev_b32_e32 v1, 16, v14
	;;#ASMSTART
	v_cvt_f32_f16 v18, v1;
	;;#ASMEND
	ds_read_b64 v[1:2], v0 offset:184
	v_fmac_f32_e32 v5, v3, v6
	v_fmac_f32_e32 v8, v4, v7
	;; [unrolled: 1-line block ×4, first 2 shown]
	s_waitcnt lgkmcnt(0)
	v_and_b32_e32 v3, 0xffff, v1
	;;#ASMSTART
	v_cvt_f32_f16 v3, v3;
	;;#ASMEND
	v_lshrrev_b32_e32 v1, 16, v1
	;;#ASMSTART
	v_cvt_f32_f16 v4, v1;
	;;#ASMEND
	buffer_load_dword v13, off, s[40:43], 0 offset:64 ; 4-byte Folded Reload
	buffer_load_dword v14, off, s[40:43], 0 offset:68 ; 4-byte Folded Reload
	s_waitcnt vmcnt(1)
	v_and_b32_e32 v1, 0xffff, v13
	;;#ASMSTART
	v_cvt_f32_f16 v6, v1;
	;;#ASMEND
	v_lshrrev_b32_e32 v1, 16, v13
	;;#ASMSTART
	v_cvt_f32_f16 v7, v1;
	;;#ASMEND
	v_lshrrev_b32_e32 v1, 16, v2
	v_and_b32_e32 v2, 0xffff, v2
	;;#ASMSTART
	v_cvt_f32_f16 v15, v2;
	;;#ASMEND
	;;#ASMSTART
	v_cvt_f32_f16 v16, v1;
	;;#ASMEND
	s_waitcnt vmcnt(0)
	v_and_b32_e32 v1, 0xffff, v14
	;;#ASMSTART
	v_cvt_f32_f16 v17, v1;
	;;#ASMEND
	v_lshrrev_b32_e32 v1, 16, v14
	;;#ASMSTART
	v_cvt_f32_f16 v18, v1;
	;;#ASMEND
	ds_read_b64 v[1:2], v0 offset:192
	v_fmac_f32_e32 v5, v3, v6
	v_fmac_f32_e32 v8, v4, v7
	;; [unrolled: 1-line block ×4, first 2 shown]
	s_waitcnt lgkmcnt(0)
	v_and_b32_e32 v3, 0xffff, v1
	v_lshrrev_b32_e32 v1, 16, v1
	;;#ASMSTART
	v_cvt_f32_f16 v3, v3;
	;;#ASMEND
	;;#ASMSTART
	v_cvt_f32_f16 v4, v1;
	;;#ASMEND
	v_and_b32_e32 v1, 0xffff, v9
	;;#ASMSTART
	v_cvt_f32_f16 v6, v1;
	;;#ASMEND
	v_lshrrev_b32_e32 v1, 16, v9
	;;#ASMSTART
	v_cvt_f32_f16 v7, v1;
	;;#ASMEND
	v_lshrrev_b32_e32 v1, 16, v2
	v_and_b32_e32 v2, 0xffff, v2
	;;#ASMSTART
	v_cvt_f32_f16 v9, v2;
	;;#ASMEND
	;;#ASMSTART
	v_cvt_f32_f16 v15, v1;
	;;#ASMEND
	v_and_b32_e32 v1, 0xffff, v10
	;;#ASMSTART
	v_cvt_f32_f16 v16, v1;
	;;#ASMEND
	v_lshrrev_b32_e32 v1, 16, v10
	;;#ASMSTART
	v_cvt_f32_f16 v10, v1;
	;;#ASMEND
	ds_read_b64 v[1:2], v0 offset:200
	v_fmac_f32_e32 v5, v3, v6
	v_fmac_f32_e32 v8, v4, v7
	;; [unrolled: 1-line block ×4, first 2 shown]
	s_waitcnt lgkmcnt(0)
	v_and_b32_e32 v3, 0xffff, v1
	v_lshrrev_b32_e32 v1, 16, v1
	;;#ASMSTART
	v_cvt_f32_f16 v3, v3;
	;;#ASMEND
	;;#ASMSTART
	v_cvt_f32_f16 v4, v1;
	;;#ASMEND
	v_and_b32_e32 v1, 0xffff, v11
	;;#ASMSTART
	v_cvt_f32_f16 v6, v1;
	;;#ASMEND
	v_lshrrev_b32_e32 v1, 16, v11
	;;#ASMSTART
	v_cvt_f32_f16 v7, v1;
	;;#ASMEND
	v_lshrrev_b32_e32 v1, 16, v2
	v_and_b32_e32 v2, 0xffff, v2
	;;#ASMSTART
	v_cvt_f32_f16 v9, v2;
	;;#ASMEND
	;;#ASMSTART
	v_cvt_f32_f16 v10, v1;
	;;#ASMEND
	v_and_b32_e32 v1, 0xffff, v12
	;;#ASMSTART
	v_cvt_f32_f16 v11, v1;
	;;#ASMEND
	v_lshrrev_b32_e32 v1, 16, v12
	;;#ASMSTART
	v_cvt_f32_f16 v12, v1;
	;;#ASMEND
	ds_read_b64 v[1:2], v0 offset:208
	v_fmac_f32_e32 v5, v3, v6
	v_fmac_f32_e32 v8, v4, v7
	v_fmac_f32_e32 v61, v9, v11
	v_fmac_f32_e32 v62, v10, v12
	s_waitcnt lgkmcnt(0)
	v_and_b32_e32 v3, 0xffff, v1
	;;#ASMSTART
	v_cvt_f32_f16 v3, v3;
	;;#ASMEND
	v_lshrrev_b32_e32 v1, 16, v1
	;;#ASMSTART
	v_cvt_f32_f16 v4, v1;
	;;#ASMEND
	buffer_load_dword v9, off, s[40:43], 0 offset:56 ; 4-byte Folded Reload
	buffer_load_dword v10, off, s[40:43], 0 offset:60 ; 4-byte Folded Reload
	s_waitcnt vmcnt(1)
	v_and_b32_e32 v1, 0xffff, v9
	;;#ASMSTART
	v_cvt_f32_f16 v6, v1;
	;;#ASMEND
	v_lshrrev_b32_e32 v1, 16, v9
	s_waitcnt vmcnt(0)
	v_mov_b32_e32 v12, v10
	;;#ASMSTART
	v_cvt_f32_f16 v7, v1;
	;;#ASMEND
	v_lshrrev_b32_e32 v1, 16, v2
	v_and_b32_e32 v2, 0xffff, v2
	;;#ASMSTART
	v_cvt_f32_f16 v9, v2;
	;;#ASMEND
	;;#ASMSTART
	v_cvt_f32_f16 v10, v1;
	;;#ASMEND
	v_and_b32_e32 v1, 0xffff, v12
	;;#ASMSTART
	v_cvt_f32_f16 v11, v1;
	;;#ASMEND
	v_lshrrev_b32_e32 v1, 16, v12
	;;#ASMSTART
	v_cvt_f32_f16 v12, v1;
	;;#ASMEND
	ds_read_b64 v[1:2], v0 offset:216
	v_fmac_f32_e32 v5, v3, v6
	v_fmac_f32_e32 v8, v4, v7
	v_fmac_f32_e32 v61, v9, v11
	v_fmac_f32_e32 v62, v10, v12
	s_waitcnt lgkmcnt(0)
	v_and_b32_e32 v3, 0xffff, v1
	;;#ASMSTART
	v_cvt_f32_f16 v3, v3;
	;;#ASMEND
	v_lshrrev_b32_e32 v1, 16, v1
	;;#ASMSTART
	v_cvt_f32_f16 v4, v1;
	;;#ASMEND
	buffer_load_dword v9, off, s[40:43], 0 offset:48 ; 4-byte Folded Reload
	buffer_load_dword v10, off, s[40:43], 0 offset:52 ; 4-byte Folded Reload
	s_waitcnt vmcnt(1)
	v_and_b32_e32 v1, 0xffff, v9
	;;#ASMSTART
	v_cvt_f32_f16 v6, v1;
	;;#ASMEND
	v_lshrrev_b32_e32 v1, 16, v9
	s_waitcnt vmcnt(0)
	v_mov_b32_e32 v12, v10
	;; [unrolled: 43-line block ×3, first 2 shown]
	;;#ASMSTART
	v_cvt_f32_f16 v7, v1;
	;;#ASMEND
	v_lshrrev_b32_e32 v1, 16, v2
	v_and_b32_e32 v2, 0xffff, v2
	;;#ASMSTART
	v_cvt_f32_f16 v9, v2;
	;;#ASMEND
	;;#ASMSTART
	v_cvt_f32_f16 v10, v1;
	;;#ASMEND
	v_and_b32_e32 v1, 0xffff, v12
	;;#ASMSTART
	v_cvt_f32_f16 v11, v1;
	;;#ASMEND
	v_lshrrev_b32_e32 v1, 16, v12
	;;#ASMSTART
	v_cvt_f32_f16 v12, v1;
	;;#ASMEND
	ds_read_b64 v[1:2], v0 offset:232
	v_fmac_f32_e32 v5, v3, v6
	v_fmac_f32_e32 v8, v4, v7
	;; [unrolled: 1-line block ×4, first 2 shown]
	s_waitcnt lgkmcnt(0)
	v_and_b32_e32 v3, 0xffff, v1
	;;#ASMSTART
	v_cvt_f32_f16 v3, v3;
	;;#ASMEND
	v_lshrrev_b32_e32 v1, 16, v1
	;;#ASMSTART
	v_cvt_f32_f16 v4, v1;
	;;#ASMEND
	buffer_load_dword v9, off, s[40:43], 0 offset:32 ; 4-byte Folded Reload
	buffer_load_dword v10, off, s[40:43], 0 offset:36 ; 4-byte Folded Reload
	s_waitcnt vmcnt(1)
	v_and_b32_e32 v1, 0xffff, v9
	;;#ASMSTART
	v_cvt_f32_f16 v6, v1;
	;;#ASMEND
	v_lshrrev_b32_e32 v1, 16, v9
	;;#ASMSTART
	v_cvt_f32_f16 v7, v1;
	;;#ASMEND
	v_lshrrev_b32_e32 v1, 16, v2
	v_and_b32_e32 v2, 0xffff, v2
	s_waitcnt vmcnt(0)
	v_lshrrev_b32_e32 v12, 16, v10
	v_and_b32_e32 v11, 0xffff, v10
	;;#ASMSTART
	v_cvt_f32_f16 v9, v2;
	;;#ASMEND
	;;#ASMSTART
	v_cvt_f32_f16 v10, v1;
	;;#ASMEND
	;; [unrolled: 3-line block ×4, first 2 shown]
	ds_read_b64 v[1:2], v0 offset:240
	v_fmac_f32_e32 v8, v4, v7
	v_fmac_f32_e32 v5, v3, v6
	;; [unrolled: 1-line block ×4, first 2 shown]
	s_waitcnt lgkmcnt(0)
	v_lshrrev_b32_e32 v4, 16, v1
	v_and_b32_e32 v1, 0xffff, v1
	;;#ASMSTART
	v_cvt_f32_f16 v3, v1;
	;;#ASMEND
	;;#ASMSTART
	v_cvt_f32_f16 v4, v4;
	;;#ASMEND
	buffer_load_dword v9, off, s[40:43], 0 offset:24 ; 4-byte Folded Reload
	buffer_load_dword v10, off, s[40:43], 0 offset:28 ; 4-byte Folded Reload
	s_waitcnt vmcnt(1)
	v_and_b32_e32 v1, 0xffff, v9
	;;#ASMSTART
	v_cvt_f32_f16 v6, v1;
	;;#ASMEND
	v_lshrrev_b32_e32 v1, 16, v9
	s_waitcnt vmcnt(0)
	v_mov_b32_e32 v11, v10
	;;#ASMSTART
	v_cvt_f32_f16 v7, v1;
	;;#ASMEND
	v_lshrrev_b32_e32 v1, 16, v2
	v_and_b32_e32 v2, 0xffff, v2
	;;#ASMSTART
	v_cvt_f32_f16 v9, v2;
	;;#ASMEND
	;;#ASMSTART
	v_cvt_f32_f16 v10, v1;
	;;#ASMEND
	v_lshrrev_b32_e32 v1, 16, v11
	v_and_b32_e32 v2, 0xffff, v11
	;;#ASMSTART
	v_cvt_f32_f16 v11, v2;
	;;#ASMEND
	;;#ASMSTART
	v_cvt_f32_f16 v12, v1;
	;;#ASMEND
	ds_read_b64 v[1:2], v0 offset:248
	v_fmac_f32_e32 v5, v3, v6
	v_fmac_f32_e32 v61, v9, v11
	;; [unrolled: 1-line block ×4, first 2 shown]
	s_waitcnt lgkmcnt(0)
	v_lshrrev_b32_e32 v3, 16, v1
	v_and_b32_e32 v1, 0xffff, v1
	;;#ASMSTART
	v_cvt_f32_f16 v1, v1;
	;;#ASMEND
	;;#ASMSTART
	v_cvt_f32_f16 v3, v3;
	;;#ASMEND
	buffer_load_dword v9, off, s[40:43], 0 offset:16 ; 4-byte Folded Reload
	buffer_load_dword v10, off, s[40:43], 0 offset:20 ; 4-byte Folded Reload
	s_waitcnt vmcnt(1)
	v_lshrrev_b32_e32 v6, 16, v9
	v_and_b32_e32 v4, 0xffff, v9
	;;#ASMSTART
	v_cvt_f32_f16 v4, v4;
	;;#ASMEND
	;;#ASMSTART
	v_cvt_f32_f16 v6, v6;
	;;#ASMEND
	v_fmac_f32_e32 v5, v1, v4
	v_fmac_f32_e32 v8, v3, v6
	v_lshrrev_b32_e32 v3, 16, v2
	v_and_b32_e32 v1, 0xffff, v2
	buffer_load_dword v6, off, s[40:43], 0 offset:8 ; 4-byte Folded Reload
	;;#ASMSTART
	v_cvt_f32_f16 v1, v1;
	;;#ASMEND
	;;#ASMSTART
	v_cvt_f32_f16 v2, v3;
	;;#ASMEND
	s_waitcnt vmcnt(1)
	v_and_b32_e32 v3, 0xffff, v10
	v_lshrrev_b32_e32 v4, 16, v10
	;;#ASMSTART
	v_cvt_f32_f16 v3, v3;
	;;#ASMEND
	;;#ASMSTART
	v_cvt_f32_f16 v4, v4;
	;;#ASMEND
	v_fmac_f32_e32 v61, v1, v3
	v_fmac_f32_e32 v62, v2, v4
	v_add_f32_e32 v1, v5, v8
	buffer_load_dword v5, off, s[40:43], 0 offset:4 ; 4-byte Folded Reload
	buffer_load_dword v2, off, s[40:43], 0 offset:84 ; 4-byte Folded Reload
	;; [unrolled: 1-line block ×3, first 2 shown]
	v_add_f32_e32 v1, v1, v61
	v_add_f32_e32 v1, v62, v1
	s_waitcnt vmcnt(0)
	v_cmp_lt_i32_e64 s[6:7], v3, v2
	buffer_load_dword v2, off, s[40:43], 0 offset:80 ; 4-byte Folded Reload
	s_waitcnt vmcnt(0)
	v_cndmask_b32_e64 v2, v2, v3, s[6:7]
	v_lshlrev_b32_e32 v2, 2, v2
	ds_bpermute_b32 v2, v2, v1
	s_and_saveexec_b64 s[34:35], vcc
	s_cbranch_execz .LBB107_8
; %bb.10:                               ;   in Loop: Header=BB107_9 Depth=1
	buffer_load_dword v4, off, s[40:43], 0 offset:88 ; 4-byte Folded Reload
	v_add_u32_e32 v3, s15, v5
	v_cvt_f32_i32_e32 v3, v3
	s_waitcnt lgkmcnt(0)
	v_add_f32_e32 v1, v1, v2
	v_cmp_gt_i32_e64 s[6:7], s17, v5
	v_mul_f32_e32 v3, s10, v3
	v_cndmask_b32_e64 v3, 0, v3, s[4:5]
	v_fmac_f32_e32 v3, s11, v1
	v_cndmask_b32_e64 v1, 0, v3, s[6:7]
	ds_write_b32 v6, v1
	s_waitcnt vmcnt(0)
	v_max_f32_e32 v2, v4, v4
	v_max_f32_e32 v1, v2, v3
	v_cndmask_b32_e64 v4, v4, v1, s[6:7]
	buffer_store_dword v4, off, s[40:43], 0 offset:88 ; 4-byte Folded Spill
	s_branch .LBB107_8
.LBB107_11:
	s_or_b64 exec, exec, s[30:31]
	buffer_load_dword v28, off, s[40:43], 0 offset:104 ; 4-byte Folded Reload
	buffer_load_dword v35, off, s[40:43], 0 ; 4-byte Folded Reload
	buffer_load_dword v11, off, s[40:43], 0 offset:108 ; 4-byte Folded Reload
	buffer_load_dword v31, off, s[40:43], 0 offset:112 ; 4-byte Folded Reload
	;; [unrolled: 1-line block ×4, first 2 shown]
.LBB107_12:
	s_or_b64 exec, exec, s[28:29]
	buffer_load_dword v7, off, s[40:43], 0 offset:80 ; 4-byte Folded Reload
	buffer_load_dword v8, off, s[40:43], 0 offset:84 ; 4-byte Folded Reload
	s_waitcnt vmcnt(2) lgkmcnt(0)
	v_max_f32_e32 v2, v3, v3
	v_and_b32_e32 v29, 63, v28
	s_waitcnt vmcnt(1)
	v_xor_b32_e32 v0, 32, v7
	s_waitcnt vmcnt(0)
	v_cmp_lt_i32_e32 vcc, v0, v8
	v_cndmask_b32_e32 v0, v7, v0, vcc
	v_lshlrev_b32_e32 v0, 2, v0
	ds_bpermute_b32 v1, v0, v3
	v_xor_b32_e32 v3, 16, v7
	v_cmp_lt_i32_e32 vcc, v3, v8
	v_xor_b32_e32 v4, 8, v7
	v_xor_b32_e32 v5, 4, v7
	s_waitcnt lgkmcnt(0)
	v_max_f32_e32 v1, v1, v1
	v_max_f32_e32 v2, v2, v1
	v_cndmask_b32_e32 v1, v7, v3, vcc
	v_lshlrev_b32_e32 v1, 2, v1
	ds_bpermute_b32 v3, v1, v2
	v_cmp_lt_i32_e32 vcc, v4, v8
	v_xor_b32_e32 v6, 2, v7
	s_waitcnt lgkmcnt(0)
	v_max_f32_e32 v3, v3, v3
	v_max_f32_e32 v3, v2, v3
	v_cndmask_b32_e32 v2, v7, v4, vcc
	v_lshlrev_b32_e32 v2, 2, v2
	ds_bpermute_b32 v4, v2, v3
	v_cmp_lt_i32_e32 vcc, v5, v8
	s_waitcnt lgkmcnt(0)
	v_max_f32_e32 v4, v4, v4
	v_max_f32_e32 v4, v3, v4
	v_cndmask_b32_e32 v3, v7, v5, vcc
	v_lshlrev_b32_e32 v3, 2, v3
	ds_bpermute_b32 v5, v3, v4
	v_cmp_lt_i32_e32 vcc, v6, v8
	s_waitcnt lgkmcnt(0)
	v_max_f32_e32 v5, v5, v5
	v_max_f32_e32 v5, v4, v5
	v_cndmask_b32_e32 v4, v7, v6, vcc
	v_lshlrev_b32_e32 v30, 2, v4
	ds_bpermute_b32 v6, v30, v5
	v_cmp_eq_u32_e32 vcc, 0, v29
	v_lshlrev_b32_e32 v4, 2, v35
	s_and_saveexec_b64 s[4:5], vcc
	s_cbranch_execz .LBB107_14
; %bb.13:
	s_waitcnt lgkmcnt(0)
	v_max_f32_e32 v6, v6, v6
	v_max_f32_e32 v5, v5, v5
	;; [unrolled: 1-line block ×3, first 2 shown]
	ds_write_b32 v4, v5 offset:512
.LBB107_14:
	s_or_b64 exec, exec, s[4:5]
	v_cmp_gt_u32_e64 s[4:5], 2, v29
	s_waitcnt lgkmcnt(0)
	v_mov_b32_e32 v6, 0xff7fffff
	v_lshlrev_b32_e32 v5, 2, v29
	s_barrier
	s_and_saveexec_b64 s[6:7], s[4:5]
; %bb.15:
	ds_read_b32 v6, v5 offset:512
; %bb.16:
	s_or_b64 exec, exec, s[6:7]
	buffer_load_dword v8, off, s[40:43], 0 offset:80 ; 4-byte Folded Reload
	buffer_load_dword v10, off, s[40:43], 0 offset:84 ; 4-byte Folded Reload
	s_waitcnt vmcnt(1)
	v_xor_b32_e32 v7, 1, v8
	s_waitcnt vmcnt(0)
	v_cmp_lt_i32_e64 s[6:7], v7, v10
	v_cndmask_b32_e64 v7, v8, v7, s[6:7]
	v_lshlrev_b32_e32 v12, 2, v7
	s_waitcnt lgkmcnt(0)
	ds_bpermute_b32 v7, v12, v6
	v_max_f32_e32 v6, v6, v6
	s_lshl_b32 s6, s19, 5
	s_min_i32 s15, s6, s17
	v_cmp_gt_i32_e64 s[6:7], s15, v28
	s_waitcnt lgkmcnt(0)
	v_max_f32_e32 v7, v7, v7
	v_max_f32_e32 v6, v6, v7
	v_lshlrev_b32_e32 v7, 2, v9
	ds_bpermute_b32 v7, v7, v6
	v_mov_b32_e32 v6, 0
	s_and_saveexec_b64 s[28:29], s[6:7]
	s_cbranch_execz .LBB107_20
; %bb.17:
	v_mov_b32_e32 v6, 0x210
	v_lshl_add_u32 v8, v28, 2, v6
	v_mov_b32_e32 v6, 0
	s_mov_b64 s[30:31], 0
	v_mov_b32_e32 v9, v28
.LBB107_18:                             ; =>This Inner Loop Header: Depth=1
	ds_read_b32 v10, v8
	v_add_u32_e32 v9, 0x80, v9
	v_cmp_le_i32_e64 s[10:11], s15, v9
	s_or_b64 s[30:31], s[10:11], s[30:31]
	s_waitcnt lgkmcnt(0)
	v_sub_f32_e32 v10, v10, v7
	v_mul_f32_e32 v10, 0x3fb8aa3b, v10
	v_exp_f32_e32 v10, v10
	ds_write_b32 v8, v10
	v_add_f32_e32 v6, v6, v10
	v_add_u32_e32 v8, 0x200, v8
	s_andn2_b64 exec, exec, s[30:31]
	s_cbranch_execnz .LBB107_18
; %bb.19:
	s_or_b64 exec, exec, s[30:31]
.LBB107_20:
	s_or_b64 exec, exec, s[28:29]
	ds_bpermute_b32 v0, v0, v6
	s_waitcnt lgkmcnt(0)
	v_add_f32_e32 v0, v6, v0
	ds_bpermute_b32 v1, v1, v0
	s_waitcnt lgkmcnt(0)
	v_add_f32_e32 v0, v0, v1
	;; [unrolled: 3-line block ×6, first 2 shown]
	s_and_saveexec_b64 s[10:11], vcc
; %bb.21:
	ds_write_b32 v4, v0 offset:520
; %bb.22:
	s_or_b64 exec, exec, s[10:11]
	s_waitcnt lgkmcnt(0)
	s_barrier
	s_and_saveexec_b64 s[10:11], s[4:5]
; %bb.23:
	ds_read_b32 v0, v5 offset:520
; %bb.24:
	s_or_b64 exec, exec, s[10:11]
	buffer_load_dword v2, off, s[40:43], 0 offset:80 ; 4-byte Folded Reload
	s_waitcnt lgkmcnt(0)
	ds_bpermute_b32 v1, v12, v0
	s_waitcnt lgkmcnt(0)
	v_add_f32_e32 v0, v0, v1
	s_waitcnt vmcnt(0)
	v_lshlrev_b32_e32 v2, 2, v2
	v_and_b32_e32 v1, 0xffffff00, v2
	ds_bpermute_b32 v0, v1, v0
	s_and_saveexec_b64 s[4:5], s[6:7]
	s_cbranch_execz .LBB107_27
; %bb.25:
	s_waitcnt lgkmcnt(0)
	v_add_f32_e32 v1, 0x358637bd, v0
	v_div_scale_f32 v0, s[6:7], v1, v1, 1.0
	v_div_scale_f32 v2, vcc, 1.0, v1, 1.0
	s_mov_b64 s[6:7], 0
	v_rcp_f32_e32 v3, v0
	v_fma_f32 v4, -v0, v3, 1.0
	v_fmac_f32_e32 v3, v4, v3
	v_mul_f32_e32 v4, v2, v3
	v_fma_f32 v5, -v0, v4, v2
	v_fmac_f32_e32 v4, v5, v3
	v_fma_f32 v0, -v0, v4, v2
	v_div_fmas_f32 v2, v0, v3, v4
	v_mov_b32_e32 v0, 0x210
	v_lshl_add_u32 v0, v28, 2, v0
	v_div_fixup_f32 v1, v2, v1, 1.0
	v_mov_b32_e32 v2, v28
.LBB107_26:                             ; =>This Inner Loop Header: Depth=1
	ds_read_b32 v3, v0
	v_add_u32_e32 v2, 0x80, v2
	v_cmp_le_i32_e32 vcc, s15, v2
	s_or_b64 s[6:7], vcc, s[6:7]
	s_waitcnt lgkmcnt(0)
	v_mul_f32_e32 v3, v1, v3
	ds_write_b32 v0, v3
	v_add_u32_e32 v0, 0x200, v0
	s_andn2_b64 exec, exec, s[6:7]
	s_cbranch_execnz .LBB107_26
.LBB107_27:
	s_or_b64 exec, exec, s[4:5]
	buffer_store_dword v12, off, s[40:43], 0 offset:64 ; 4-byte Folded Spill
	v_mov_b32_e32 v26, 0
	s_waitcnt lgkmcnt(0)
	v_and_b32_e32 v0, 3, v28
	v_mov_b32_e32 v27, 0
	v_mov_b32_e32 v25, 0
	;; [unrolled: 1-line block ×15, first 2 shown]
	s_waitcnt vmcnt(0)
	s_barrier
	buffer_store_dword v0, off, s[40:43], 0 offset:72 ; 4-byte Folded Spill
	s_and_saveexec_b64 s[4:5], s[2:3]
	s_cbranch_execz .LBB107_63
; %bb.28:
	buffer_store_dword v30, off, s[40:43], 0 offset:84 ; 4-byte Folded Spill
	buffer_store_dword v29, off, s[40:43], 0 offset:80 ; 4-byte Folded Spill
	v_and_b32_e32 v0, 24, v11
	v_lshlrev_b32_e32 v3, 5, v35
	v_or3_b32 v29, v3, v0, 7
	buffer_load_dword v0, off, s[40:43], 0 offset:72 ; 4-byte Folded Reload
	s_ashr_i32 s15, s14, 31
	s_lshl_b64 s[2:3], s[14:15], 1
	s_add_u32 s14, s26, s2
	s_addc_u32 s10, s27, s3
	s_add_i32 s15, s19, -1
	s_lshl_b64 s[2:3], s[24:25], 2
	s_add_u32 s2, s22, s2
	v_and_b32_e32 v1, 0x1f8, v11
	s_addc_u32 s3, s23, s3
	v_or_b32_e32 v2, 0x1e00, v11
	v_mov_b32_e32 v3, s3
	v_mov_b32_e32 v28, 0
	s_mov_b64 s[6:7], 0
	s_mov_b32 s22, 0xffff
	v_mov_b32_e32 v12, 0
	v_mov_b32_e32 v13, 0
	;; [unrolled: 1-line block ×16, first 2 shown]
	s_waitcnt vmcnt(0)
	v_lshlrev_b32_e32 v0, 5, v0
	v_lshl_or_b32 v0, v35, 7, v0
	v_add_u32_e32 v30, 0x210, v0
	v_and_b32_e32 v0, 60, v31
	v_add_co_u32_e32 v5, vcc, s2, v0
	v_mov_b32_e32 v0, s10
	buffer_store_dword v0, off, s[40:43], 0 offset:40 ; 4-byte Folded Spill
	v_lshlrev_b32_e32 v0, 1, v1
	v_addc_co_u32_e32 v6, vcc, 0, v3, vcc
	buffer_store_dword v0, off, s[40:43], 0 offset:48 ; 4-byte Folded Spill
	v_lshlrev_b32_e32 v0, 1, v2
	buffer_store_dword v0, off, s[40:43], 0 offset:56 ; 4-byte Folded Spill
	s_branch .LBB107_30
.LBB107_29:                             ;   in Loop: Header=BB107_30 Depth=1
	s_or_b64 exec, exec, s[10:11]
	v_add_f32_e32 v0, v63, v0
	v_add_f32_e32 v19, v19, v0
	;; [unrolled: 1-line block ×14, first 2 shown]
	buffer_load_dword v0, off, s[40:43], 0 offset:24 ; 4-byte Folded Reload
	buffer_load_dword v9, off, s[40:43], 0 offset:32 ; 4-byte Folded Reload
	v_add_f32_e32 v38, v51, v52
	v_add_f32_e32 v13, v13, v38
	;; [unrolled: 1-line block ×10, first 2 shown]
	v_add_u32_e32 v29, 64, v29
	v_add_u32_e32 v30, 0x100, v30
	s_waitcnt vmcnt(0)
	v_add_f32_e32 v0, v0, v9
	v_add_f32_e32 v25, v25, v0
	buffer_load_dword v0, off, s[40:43], 0 offset:12 ; 4-byte Folded Reload
	buffer_load_dword v9, off, s[40:43], 0 offset:16 ; 4-byte Folded Reload
	s_waitcnt vmcnt(0)
	v_add_f32_e32 v0, v0, v9
	v_add_f32_e32 v27, v27, v0
	buffer_load_dword v0, off, s[40:43], 0 offset:4 ; 4-byte Folded Reload
	buffer_load_dword v9, off, s[40:43], 0 offset:8 ; 4-byte Folded Reload
	s_waitcnt vmcnt(0)
	v_add_f32_e32 v0, v0, v9
	v_add_f32_e32 v26, v26, v0
	v_lshlrev_b32_e32 v0, 16, v45
	v_and_or_b32 v0, v1, s22, v0
	v_lshlrev_b32_e32 v1, 16, v8
	v_and_or_b32 v1, v2, s22, v1
	;; [unrolled: 2-line block ×3, first 2 shown]
	;;#ASMSTART
	v_pk_mul_f16 v0, v34, v0;

	;;#ASMEND
	;;#ASMSTART
	v_pk_mul_f16 v1, v35, v1;

	;;#ASMEND
	;; [unrolled: 4-line block ×4, first 2 shown]
	;;#ASMSTART
	v_pk_add_f16 v0, v0, v1;

	;;#ASMEND
	;;#ASMSTART
	v_pk_add_f16 v0, v0, v2;

	;;#ASMEND
	;; [unrolled: 4-line block ×3, first 2 shown]
	v_lshrrev_b32_e32 v1, 16, v0
	v_and_b32_e32 v0, 0xffff, v0
	;;#ASMSTART
	v_cvt_f32_f16 v0, v0;
	;;#ASMEND
	;;#ASMSTART
	v_cvt_f32_f16 v1, v1;
	;;#ASMEND
	buffer_load_dword v35, off, s[40:43], 0 ; 4-byte Folded Reload
	v_add_f32_e32 v0, v0, v1
	v_add_f32_e32 v12, v12, v0
	s_waitcnt vmcnt(0)
	v_add_u32_e32 v35, 2, v35
	v_cmp_le_i32_e32 vcc, s19, v35
	s_or_b64 s[6:7], vcc, s[6:7]
	v_add_co_u32_e32 v5, vcc, 8, v5
	v_addc_co_u32_e32 v6, vcc, 0, v6, vcc
	s_andn2_b64 exec, exec, s[6:7]
	s_cbranch_execz .LBB107_62
.LBB107_30:                             ; =>This Inner Loop Header: Depth=1
	global_load_dword v4, v[5:6], off
	ds_read2_b64 v[0:3], v30 offset1:1
	ds_read2_b64 v[31:34], v30 offset0:2 offset1:3
	v_add_u32_e32 v38, -7, v29
	v_add_u32_e32 v44, -6, v29
	s_waitcnt lgkmcnt(1)
	;;#ASMSTART
	v_cvt_f16_f32 v0, v0;

	;;#ASMEND
	;;#ASMSTART
	v_cvt_f16_f32 v9, v1;

	;;#ASMEND
	;; [unrolled: 4-line block ×4, first 2 shown]
	s_waitcnt lgkmcnt(0)
	;;#ASMSTART
	v_cvt_f16_f32 v31, v31;

	;;#ASMEND
	;;#ASMSTART
	v_cvt_f16_f32 v32, v32;

	;;#ASMEND
	;; [unrolled: 4-line block ×4, first 2 shown]
	v_add_u32_e32 v43, -5, v29
	v_add_u32_e32 v41, -4, v29
	;; [unrolled: 1-line block ×5, first 2 shown]
	buffer_store_dword v35, off, s[40:43], 0 ; 4-byte Folded Spill
	s_waitcnt vmcnt(1)
	v_mad_i64_i32 v[1:2], s[2:3], v4, s13, 0
	v_cmp_eq_u32_e64 s[2:3], s15, v35
	v_lshlrev_b64 v[1:2], 1, v[1:2]
	v_add_co_u32_e32 v45, vcc, s14, v1
	buffer_load_dword v1, off, s[40:43], 0 offset:40 ; 4-byte Folded Reload
	s_waitcnt vmcnt(0)
	v_addc_co_u32_e32 v46, vcc, v1, v2, vcc
	buffer_load_dword v1, off, s[40:43], 0 offset:48 ; 4-byte Folded Reload
	s_waitcnt vmcnt(0)
	v_add_co_u32_e32 v7, vcc, v45, v1
	v_addc_co_u32_e32 v8, vcc, 0, v46, vcc
	global_load_dwordx4 v[1:4], v[7:8], off
	s_waitcnt vmcnt(0)
	v_lshrrev_b32_e32 v49, 16, v1
	v_lshrrev_b32_e32 v48, 16, v2
	;; [unrolled: 1-line block ×3, first 2 shown]
	s_and_saveexec_b64 s[10:11], s[2:3]
	s_cbranch_execz .LBB107_32
; %bb.31:                               ;   in Loop: Header=BB107_30 Depth=1
	v_cmp_gt_i32_e32 vcc, s17, v38
	v_cndmask_b32_e32 v1, 0, v1, vcc
	v_cmp_gt_i32_e32 vcc, s17, v44
	v_cndmask_b32_e32 v49, 0, v49, vcc
	;; [unrolled: 2-line block ×6, first 2 shown]
	v_cmp_gt_i32_e32 vcc, s17, v42
	v_cndmask_b32_sdwa v34, v28, v4, vcc dst_sel:DWORD dst_unused:UNUSED_PAD src0_sel:DWORD src1_sel:WORD_0
	v_and_b32_e32 v4, 0xffff0000, v4
	v_cmp_gt_i32_e32 vcc, s17, v29
	v_cndmask_b32_e32 v4, 0, v4, vcc
	v_or_b32_e32 v4, v34, v4
.LBB107_32:                             ;   in Loop: Header=BB107_30 Depth=1
	s_or_b64 exec, exec, s[10:11]
	v_and_b32_e32 v0, 0xffff, v0
	v_lshl_or_b32 v34, v9, 16, v0
	v_and_b32_e32 v0, 0xffff, v10
	v_lshl_or_b32 v35, v11, 16, v0
	;; [unrolled: 2-line block ×4, first 2 shown]
	v_lshlrev_b32_e32 v0, 16, v49
	v_and_or_b32 v0, v1, s22, v0
	v_lshlrev_b32_e32 v1, 16, v48
	v_and_or_b32 v1, v2, s22, v1
	;; [unrolled: 2-line block ×3, first 2 shown]
	;;#ASMSTART
	v_pk_mul_f16 v0, v34, v0;

	;;#ASMEND
	;;#ASMSTART
	v_pk_mul_f16 v1, v35, v1;

	;;#ASMEND
	;; [unrolled: 4-line block ×4, first 2 shown]
	;;#ASMSTART
	v_pk_add_f16 v0, v0, v1;

	;;#ASMEND
	;;#ASMSTART
	v_pk_add_f16 v0, v0, v2;

	;;#ASMEND
	;;#ASMSTART
	v_pk_add_f16 v0, v0, v3;

	;;#ASMEND
	v_lshrrev_b32_e32 v1, 16, v0
	v_and_b32_e32 v0, 0xffff, v0
	;;#ASMSTART
	v_cvt_f32_f16 v0, v0;
	;;#ASMEND
	buffer_store_dword v0, off, s[40:43], 0 offset:4 ; 4-byte Folded Spill
	;;#ASMSTART
	v_cvt_f32_f16 v0, v1;
	;;#ASMEND
	global_load_dwordx4 v[1:4], v[7:8], off offset:1024
	s_waitcnt vmcnt(0)
	v_lshrrev_b32_e32 v10, 16, v1
	buffer_store_dword v0, off, s[40:43], 0 offset:8 ; 4-byte Folded Spill
	v_lshrrev_b32_e32 v9, 16, v2
	v_lshrrev_b32_e32 v0, 16, v3
	s_and_saveexec_b64 s[10:11], s[2:3]
	s_cbranch_execz .LBB107_34
; %bb.33:                               ;   in Loop: Header=BB107_30 Depth=1
	v_cmp_gt_i32_e32 vcc, s17, v38
	v_cndmask_b32_e32 v1, 0, v1, vcc
	v_cmp_gt_i32_e32 vcc, s17, v44
	v_cndmask_b32_e32 v10, 0, v10, vcc
	;; [unrolled: 2-line block ×6, first 2 shown]
	v_cmp_gt_i32_e32 vcc, s17, v42
	v_cndmask_b32_sdwa v11, v28, v4, vcc dst_sel:DWORD dst_unused:UNUSED_PAD src0_sel:DWORD src1_sel:WORD_0
	v_and_b32_e32 v4, 0xffff0000, v4
	v_cmp_gt_i32_e32 vcc, s17, v29
	v_cndmask_b32_e32 v4, 0, v4, vcc
	v_or_b32_e32 v4, v11, v4
.LBB107_34:                             ;   in Loop: Header=BB107_30 Depth=1
	s_or_b64 exec, exec, s[10:11]
	v_lshlrev_b32_e32 v10, 16, v10
	v_lshlrev_b32_e32 v9, 16, v9
	;; [unrolled: 1-line block ×3, first 2 shown]
	v_and_or_b32 v1, v1, s22, v10
	v_and_or_b32 v2, v2, s22, v9
	;; [unrolled: 1-line block ×3, first 2 shown]
	;;#ASMSTART
	v_pk_mul_f16 v1, v34, v1;

	;;#ASMEND
	;;#ASMSTART
	v_pk_mul_f16 v2, v35, v2;

	;;#ASMEND
	;; [unrolled: 4-line block ×4, first 2 shown]
	;;#ASMSTART
	v_pk_add_f16 v1, v1, v2;

	;;#ASMEND
	;;#ASMSTART
	v_pk_add_f16 v0, v1, v0;

	;;#ASMEND
	;; [unrolled: 4-line block ×3, first 2 shown]
	v_lshrrev_b32_e32 v1, 16, v0
	v_and_b32_e32 v0, 0xffff, v0
	;;#ASMSTART
	v_cvt_f32_f16 v0, v0;
	;;#ASMEND
	buffer_store_dword v0, off, s[40:43], 0 offset:12 ; 4-byte Folded Spill
	;;#ASMSTART
	v_cvt_f32_f16 v0, v1;
	;;#ASMEND
	global_load_dwordx4 v[1:4], v[7:8], off offset:2048
	s_waitcnt vmcnt(0)
	v_lshrrev_b32_e32 v10, 16, v1
	buffer_store_dword v0, off, s[40:43], 0 offset:16 ; 4-byte Folded Spill
	v_lshrrev_b32_e32 v9, 16, v2
	v_lshrrev_b32_e32 v0, 16, v3
	s_and_saveexec_b64 s[10:11], s[2:3]
	s_cbranch_execz .LBB107_36
; %bb.35:                               ;   in Loop: Header=BB107_30 Depth=1
	v_cmp_gt_i32_e32 vcc, s17, v38
	v_cndmask_b32_e32 v1, 0, v1, vcc
	v_cmp_gt_i32_e32 vcc, s17, v44
	v_cndmask_b32_e32 v10, 0, v10, vcc
	;; [unrolled: 2-line block ×6, first 2 shown]
	v_cmp_gt_i32_e32 vcc, s17, v42
	v_cndmask_b32_sdwa v11, v28, v4, vcc dst_sel:DWORD dst_unused:UNUSED_PAD src0_sel:DWORD src1_sel:WORD_0
	v_and_b32_e32 v4, 0xffff0000, v4
	v_cmp_gt_i32_e32 vcc, s17, v29
	v_cndmask_b32_e32 v4, 0, v4, vcc
	v_or_b32_e32 v4, v11, v4
.LBB107_36:                             ;   in Loop: Header=BB107_30 Depth=1
	s_or_b64 exec, exec, s[10:11]
	v_lshlrev_b32_e32 v10, 16, v10
	v_lshlrev_b32_e32 v9, 16, v9
	;; [unrolled: 1-line block ×3, first 2 shown]
	v_and_or_b32 v1, v1, s22, v10
	v_and_or_b32 v2, v2, s22, v9
	;; [unrolled: 1-line block ×3, first 2 shown]
	;;#ASMSTART
	v_pk_mul_f16 v1, v34, v1;

	;;#ASMEND
	;;#ASMSTART
	v_pk_mul_f16 v2, v35, v2;

	;;#ASMEND
	;; [unrolled: 4-line block ×4, first 2 shown]
	;;#ASMSTART
	v_pk_add_f16 v1, v1, v2;

	;;#ASMEND
	;;#ASMSTART
	v_pk_add_f16 v0, v1, v0;

	;;#ASMEND
	;; [unrolled: 4-line block ×3, first 2 shown]
	v_lshrrev_b32_e32 v1, 16, v0
	v_and_b32_e32 v0, 0xffff, v0
	;;#ASMSTART
	v_cvt_f32_f16 v0, v0;
	;;#ASMEND
	buffer_store_dword v0, off, s[40:43], 0 offset:24 ; 4-byte Folded Spill
	;;#ASMSTART
	v_cvt_f32_f16 v0, v1;
	;;#ASMEND
	global_load_dwordx4 v[1:4], v[7:8], off offset:3072
	s_waitcnt vmcnt(0)
	v_lshrrev_b32_e32 v10, 16, v1
	buffer_store_dword v0, off, s[40:43], 0 offset:32 ; 4-byte Folded Spill
	v_lshrrev_b32_e32 v9, 16, v2
	v_lshrrev_b32_e32 v0, 16, v3
	s_and_saveexec_b64 s[10:11], s[2:3]
	s_cbranch_execz .LBB107_38
; %bb.37:                               ;   in Loop: Header=BB107_30 Depth=1
	v_cmp_gt_i32_e32 vcc, s17, v38
	v_cndmask_b32_e32 v1, 0, v1, vcc
	v_cmp_gt_i32_e32 vcc, s17, v44
	v_cndmask_b32_e32 v10, 0, v10, vcc
	;; [unrolled: 2-line block ×6, first 2 shown]
	v_cmp_gt_i32_e32 vcc, s17, v42
	v_cndmask_b32_sdwa v11, v28, v4, vcc dst_sel:DWORD dst_unused:UNUSED_PAD src0_sel:DWORD src1_sel:WORD_0
	v_and_b32_e32 v4, 0xffff0000, v4
	v_cmp_gt_i32_e32 vcc, s17, v29
	v_cndmask_b32_e32 v4, 0, v4, vcc
	v_or_b32_e32 v4, v11, v4
.LBB107_38:                             ;   in Loop: Header=BB107_30 Depth=1
	s_or_b64 exec, exec, s[10:11]
	v_lshlrev_b32_e32 v10, 16, v10
	v_lshlrev_b32_e32 v9, 16, v9
	;; [unrolled: 1-line block ×3, first 2 shown]
	v_and_or_b32 v1, v1, s22, v10
	v_and_or_b32 v2, v2, s22, v9
	;; [unrolled: 1-line block ×3, first 2 shown]
	;;#ASMSTART
	v_pk_mul_f16 v1, v34, v1;

	;;#ASMEND
	;;#ASMSTART
	v_pk_mul_f16 v2, v35, v2;

	;;#ASMEND
	;; [unrolled: 4-line block ×4, first 2 shown]
	;;#ASMSTART
	v_pk_add_f16 v1, v1, v2;

	;;#ASMEND
	;;#ASMSTART
	v_pk_add_f16 v0, v1, v0;

	;;#ASMEND
	;; [unrolled: 4-line block ×3, first 2 shown]
	v_lshrrev_b32_e32 v1, 16, v0
	v_and_b32_e32 v0, 0xffff, v0
	;;#ASMSTART
	v_cvt_f32_f16 v53, v0;
	;;#ASMEND
	v_add_co_u32_e32 v0, vcc, 0x1000, v7
	;;#ASMSTART
	v_cvt_f32_f16 v54, v1;
	;;#ASMEND
	v_addc_co_u32_e32 v1, vcc, 0, v8, vcc
	global_load_dwordx4 v[1:4], v[0:1], off
	s_waitcnt vmcnt(0)
	v_lshrrev_b32_e32 v10, 16, v1
	v_lshrrev_b32_e32 v9, 16, v2
	;; [unrolled: 1-line block ×3, first 2 shown]
	s_and_saveexec_b64 s[10:11], s[2:3]
	s_cbranch_execz .LBB107_40
; %bb.39:                               ;   in Loop: Header=BB107_30 Depth=1
	v_cmp_gt_i32_e32 vcc, s17, v38
	v_cndmask_b32_e32 v1, 0, v1, vcc
	v_cmp_gt_i32_e32 vcc, s17, v44
	v_cndmask_b32_e32 v10, 0, v10, vcc
	;; [unrolled: 2-line block ×6, first 2 shown]
	v_cmp_gt_i32_e32 vcc, s17, v42
	v_cndmask_b32_sdwa v11, v28, v4, vcc dst_sel:DWORD dst_unused:UNUSED_PAD src0_sel:DWORD src1_sel:WORD_0
	v_and_b32_e32 v4, 0xffff0000, v4
	v_cmp_gt_i32_e32 vcc, s17, v29
	v_cndmask_b32_e32 v4, 0, v4, vcc
	v_or_b32_e32 v4, v11, v4
.LBB107_40:                             ;   in Loop: Header=BB107_30 Depth=1
	s_or_b64 exec, exec, s[10:11]
	v_lshlrev_b32_e32 v10, 16, v10
	v_lshlrev_b32_e32 v9, 16, v9
	;; [unrolled: 1-line block ×3, first 2 shown]
	v_and_or_b32 v1, v1, s22, v10
	v_and_or_b32 v2, v2, s22, v9
	;; [unrolled: 1-line block ×3, first 2 shown]
	;;#ASMSTART
	v_pk_mul_f16 v1, v34, v1;

	;;#ASMEND
	;;#ASMSTART
	v_pk_mul_f16 v2, v35, v2;

	;;#ASMEND
	;; [unrolled: 4-line block ×4, first 2 shown]
	;;#ASMSTART
	v_pk_add_f16 v1, v1, v2;

	;;#ASMEND
	;;#ASMSTART
	v_pk_add_f16 v0, v1, v0;

	;;#ASMEND
	;; [unrolled: 4-line block ×3, first 2 shown]
	v_lshrrev_b32_e32 v1, 16, v0
	v_and_b32_e32 v0, 0xffff, v0
	;;#ASMSTART
	v_cvt_f32_f16 v55, v0;
	;;#ASMEND
	v_add_co_u32_e32 v0, vcc, 0x1000, v7
	;;#ASMSTART
	v_cvt_f32_f16 v56, v1;
	;;#ASMEND
	v_addc_co_u32_e32 v1, vcc, 0, v8, vcc
	global_load_dwordx4 v[1:4], v[0:1], off offset:1024
	s_waitcnt vmcnt(0)
	v_lshrrev_b32_e32 v10, 16, v1
	v_lshrrev_b32_e32 v9, 16, v2
	;; [unrolled: 1-line block ×3, first 2 shown]
	s_and_saveexec_b64 s[10:11], s[2:3]
	s_cbranch_execz .LBB107_42
; %bb.41:                               ;   in Loop: Header=BB107_30 Depth=1
	v_cmp_gt_i32_e32 vcc, s17, v38
	v_cndmask_b32_e32 v1, 0, v1, vcc
	v_cmp_gt_i32_e32 vcc, s17, v44
	v_cndmask_b32_e32 v10, 0, v10, vcc
	;; [unrolled: 2-line block ×6, first 2 shown]
	v_cmp_gt_i32_e32 vcc, s17, v42
	v_cndmask_b32_sdwa v11, v28, v4, vcc dst_sel:DWORD dst_unused:UNUSED_PAD src0_sel:DWORD src1_sel:WORD_0
	v_and_b32_e32 v4, 0xffff0000, v4
	v_cmp_gt_i32_e32 vcc, s17, v29
	v_cndmask_b32_e32 v4, 0, v4, vcc
	v_or_b32_e32 v4, v11, v4
.LBB107_42:                             ;   in Loop: Header=BB107_30 Depth=1
	s_or_b64 exec, exec, s[10:11]
	v_lshlrev_b32_e32 v10, 16, v10
	v_lshlrev_b32_e32 v9, 16, v9
	;; [unrolled: 1-line block ×3, first 2 shown]
	v_and_or_b32 v1, v1, s22, v10
	v_and_or_b32 v2, v2, s22, v9
	;; [unrolled: 1-line block ×3, first 2 shown]
	;;#ASMSTART
	v_pk_mul_f16 v1, v34, v1;

	;;#ASMEND
	;;#ASMSTART
	v_pk_mul_f16 v2, v35, v2;

	;;#ASMEND
	;; [unrolled: 4-line block ×4, first 2 shown]
	;;#ASMSTART
	v_pk_add_f16 v1, v1, v2;

	;;#ASMEND
	;;#ASMSTART
	v_pk_add_f16 v0, v1, v0;

	;;#ASMEND
	;; [unrolled: 4-line block ×3, first 2 shown]
	v_lshrrev_b32_e32 v1, 16, v0
	v_and_b32_e32 v0, 0xffff, v0
	;;#ASMSTART
	v_cvt_f32_f16 v57, v0;
	;;#ASMEND
	v_add_co_u32_e32 v0, vcc, 0x1000, v7
	;;#ASMSTART
	v_cvt_f32_f16 v58, v1;
	;;#ASMEND
	v_addc_co_u32_e32 v1, vcc, 0, v8, vcc
	global_load_dwordx4 v[1:4], v[0:1], off offset:2048
	s_waitcnt vmcnt(0)
	v_lshrrev_b32_e32 v10, 16, v1
	v_lshrrev_b32_e32 v9, 16, v2
	;; [unrolled: 1-line block ×3, first 2 shown]
	s_and_saveexec_b64 s[10:11], s[2:3]
	s_cbranch_execz .LBB107_44
; %bb.43:                               ;   in Loop: Header=BB107_30 Depth=1
	v_cmp_gt_i32_e32 vcc, s17, v38
	v_cndmask_b32_e32 v1, 0, v1, vcc
	v_cmp_gt_i32_e32 vcc, s17, v44
	v_cndmask_b32_e32 v10, 0, v10, vcc
	;; [unrolled: 2-line block ×6, first 2 shown]
	v_cmp_gt_i32_e32 vcc, s17, v42
	v_cndmask_b32_sdwa v11, v28, v4, vcc dst_sel:DWORD dst_unused:UNUSED_PAD src0_sel:DWORD src1_sel:WORD_0
	v_and_b32_e32 v4, 0xffff0000, v4
	v_cmp_gt_i32_e32 vcc, s17, v29
	v_cndmask_b32_e32 v4, 0, v4, vcc
	v_or_b32_e32 v4, v11, v4
.LBB107_44:                             ;   in Loop: Header=BB107_30 Depth=1
	s_or_b64 exec, exec, s[10:11]
	v_lshlrev_b32_e32 v10, 16, v10
	v_lshlrev_b32_e32 v9, 16, v9
	;; [unrolled: 1-line block ×3, first 2 shown]
	v_and_or_b32 v1, v1, s22, v10
	v_and_or_b32 v2, v2, s22, v9
	;; [unrolled: 1-line block ×3, first 2 shown]
	;;#ASMSTART
	v_pk_mul_f16 v1, v34, v1;

	;;#ASMEND
	;;#ASMSTART
	v_pk_mul_f16 v2, v35, v2;

	;;#ASMEND
	;; [unrolled: 4-line block ×4, first 2 shown]
	;;#ASMSTART
	v_pk_add_f16 v1, v1, v2;

	;;#ASMEND
	;;#ASMSTART
	v_pk_add_f16 v0, v1, v0;

	;;#ASMEND
	;; [unrolled: 4-line block ×3, first 2 shown]
	v_lshrrev_b32_e32 v1, 16, v0
	v_and_b32_e32 v0, 0xffff, v0
	;;#ASMSTART
	v_cvt_f32_f16 v59, v0;
	;;#ASMEND
	v_add_co_u32_e32 v0, vcc, 0x1000, v7
	;;#ASMSTART
	v_cvt_f32_f16 v60, v1;
	;;#ASMEND
	v_addc_co_u32_e32 v1, vcc, 0, v8, vcc
	global_load_dwordx4 v[1:4], v[0:1], off offset:3072
	s_waitcnt vmcnt(0)
	v_lshrrev_b32_e32 v10, 16, v1
	v_lshrrev_b32_e32 v9, 16, v2
	;; [unrolled: 1-line block ×3, first 2 shown]
	s_and_saveexec_b64 s[10:11], s[2:3]
	s_cbranch_execz .LBB107_46
; %bb.45:                               ;   in Loop: Header=BB107_30 Depth=1
	v_cmp_gt_i32_e32 vcc, s17, v38
	v_cndmask_b32_e32 v1, 0, v1, vcc
	v_cmp_gt_i32_e32 vcc, s17, v44
	v_cndmask_b32_e32 v10, 0, v10, vcc
	;; [unrolled: 2-line block ×6, first 2 shown]
	v_cmp_gt_i32_e32 vcc, s17, v42
	v_cndmask_b32_sdwa v11, v28, v4, vcc dst_sel:DWORD dst_unused:UNUSED_PAD src0_sel:DWORD src1_sel:WORD_0
	v_and_b32_e32 v4, 0xffff0000, v4
	v_cmp_gt_i32_e32 vcc, s17, v29
	v_cndmask_b32_e32 v4, 0, v4, vcc
	v_or_b32_e32 v4, v11, v4
.LBB107_46:                             ;   in Loop: Header=BB107_30 Depth=1
	s_or_b64 exec, exec, s[10:11]
	v_lshlrev_b32_e32 v10, 16, v10
	v_lshlrev_b32_e32 v9, 16, v9
	;; [unrolled: 1-line block ×3, first 2 shown]
	v_and_or_b32 v1, v1, s22, v10
	v_and_or_b32 v2, v2, s22, v9
	;; [unrolled: 1-line block ×3, first 2 shown]
	;;#ASMSTART
	v_pk_mul_f16 v1, v34, v1;

	;;#ASMEND
	;;#ASMSTART
	v_pk_mul_f16 v2, v35, v2;

	;;#ASMEND
	;;#ASMSTART
	v_pk_mul_f16 v0, v36, v0;

	;;#ASMEND
	;;#ASMSTART
	v_pk_mul_f16 v3, v37, v4;

	;;#ASMEND
	;;#ASMSTART
	v_pk_add_f16 v1, v1, v2;

	;;#ASMEND
	;;#ASMSTART
	v_pk_add_f16 v0, v1, v0;

	;;#ASMEND
	;; [unrolled: 4-line block ×3, first 2 shown]
	v_lshrrev_b32_e32 v1, 16, v0
	v_and_b32_e32 v0, 0xffff, v0
	;;#ASMSTART
	v_cvt_f32_f16 v61, v0;
	;;#ASMEND
	v_add_co_u32_e32 v0, vcc, 0x2000, v7
	;;#ASMSTART
	v_cvt_f32_f16 v62, v1;
	;;#ASMEND
	v_addc_co_u32_e32 v1, vcc, 0, v8, vcc
	global_load_dwordx4 v[1:4], v[0:1], off
	s_waitcnt vmcnt(0)
	v_lshrrev_b32_e32 v10, 16, v1
	v_lshrrev_b32_e32 v9, 16, v2
	;; [unrolled: 1-line block ×3, first 2 shown]
	s_and_saveexec_b64 s[10:11], s[2:3]
	s_cbranch_execz .LBB107_48
; %bb.47:                               ;   in Loop: Header=BB107_30 Depth=1
	v_cmp_gt_i32_e32 vcc, s17, v38
	v_cndmask_b32_e32 v1, 0, v1, vcc
	v_cmp_gt_i32_e32 vcc, s17, v44
	v_cndmask_b32_e32 v10, 0, v10, vcc
	;; [unrolled: 2-line block ×6, first 2 shown]
	v_cmp_gt_i32_e32 vcc, s17, v42
	v_cndmask_b32_sdwa v11, v28, v4, vcc dst_sel:DWORD dst_unused:UNUSED_PAD src0_sel:DWORD src1_sel:WORD_0
	v_and_b32_e32 v4, 0xffff0000, v4
	v_cmp_gt_i32_e32 vcc, s17, v29
	v_cndmask_b32_e32 v4, 0, v4, vcc
	v_or_b32_e32 v4, v11, v4
.LBB107_48:                             ;   in Loop: Header=BB107_30 Depth=1
	s_or_b64 exec, exec, s[10:11]
	v_lshlrev_b32_e32 v10, 16, v10
	v_lshlrev_b32_e32 v9, 16, v9
	;; [unrolled: 1-line block ×3, first 2 shown]
	v_and_or_b32 v1, v1, s22, v10
	v_and_or_b32 v2, v2, s22, v9
	;; [unrolled: 1-line block ×3, first 2 shown]
	;;#ASMSTART
	v_pk_mul_f16 v1, v34, v1;

	;;#ASMEND
	;;#ASMSTART
	v_pk_mul_f16 v2, v35, v2;

	;;#ASMEND
	;; [unrolled: 4-line block ×4, first 2 shown]
	;;#ASMSTART
	v_pk_add_f16 v1, v1, v2;

	;;#ASMEND
	;;#ASMSTART
	v_pk_add_f16 v0, v1, v0;

	;;#ASMEND
	;; [unrolled: 4-line block ×3, first 2 shown]
	v_lshrrev_b32_e32 v1, 16, v0
	v_and_b32_e32 v0, 0xffff, v0
	;;#ASMSTART
	v_cvt_f32_f16 v63, v0;
	;;#ASMEND
	;;#ASMSTART
	v_cvt_f32_f16 v0, v1;
	;;#ASMEND
	v_add_co_u32_e32 v1, vcc, 0x2000, v7
	v_addc_co_u32_e32 v2, vcc, 0, v8, vcc
	global_load_dwordx4 v[1:4], v[1:2], off offset:1024
	s_waitcnt vmcnt(0)
	v_lshrrev_b32_e32 v11, 16, v1
	v_lshrrev_b32_e32 v10, 16, v2
	;; [unrolled: 1-line block ×3, first 2 shown]
	s_and_saveexec_b64 s[10:11], s[2:3]
	s_cbranch_execz .LBB107_50
; %bb.49:                               ;   in Loop: Header=BB107_30 Depth=1
	v_cmp_gt_i32_e32 vcc, s17, v38
	v_cndmask_b32_e32 v1, 0, v1, vcc
	v_cmp_gt_i32_e32 vcc, s17, v44
	v_cndmask_b32_e32 v11, 0, v11, vcc
	;; [unrolled: 2-line block ×6, first 2 shown]
	v_cmp_gt_i32_e32 vcc, s17, v42
	v_cndmask_b32_sdwa v31, v28, v4, vcc dst_sel:DWORD dst_unused:UNUSED_PAD src0_sel:DWORD src1_sel:WORD_0
	v_and_b32_e32 v4, 0xffff0000, v4
	v_cmp_gt_i32_e32 vcc, s17, v29
	v_cndmask_b32_e32 v4, 0, v4, vcc
	v_or_b32_e32 v4, v31, v4
.LBB107_50:                             ;   in Loop: Header=BB107_30 Depth=1
	s_or_b64 exec, exec, s[10:11]
	v_lshlrev_b32_e32 v11, 16, v11
	v_and_or_b32 v1, v1, s22, v11
	v_lshlrev_b32_e32 v10, 16, v10
	v_lshlrev_b32_e32 v9, 16, v9
	v_and_or_b32 v2, v2, s22, v10
	v_and_or_b32 v3, v3, s22, v9
	;;#ASMSTART
	v_pk_mul_f16 v1, v34, v1;

	;;#ASMEND
	;;#ASMSTART
	v_pk_mul_f16 v2, v35, v2;

	;;#ASMEND
	;; [unrolled: 4-line block ×4, first 2 shown]
	;;#ASMSTART
	v_pk_add_f16 v1, v1, v2;

	;;#ASMEND
	;;#ASMSTART
	v_pk_add_f16 v1, v1, v3;

	;;#ASMEND
	;; [unrolled: 4-line block ×3, first 2 shown]
	v_lshrrev_b32_e32 v2, 16, v1
	v_and_b32_e32 v1, 0xffff, v1
	;;#ASMSTART
	v_cvt_f32_f16 v9, v1;
	;;#ASMEND
	v_add_co_u32_e32 v1, vcc, 0x2000, v7
	;;#ASMSTART
	v_cvt_f32_f16 v10, v2;
	;;#ASMEND
	v_addc_co_u32_e32 v2, vcc, 0, v8, vcc
	global_load_dwordx4 v[1:4], v[1:2], off offset:2048
	s_waitcnt vmcnt(0)
	v_lshrrev_b32_e32 v32, 16, v1
	v_lshrrev_b32_e32 v31, 16, v2
	v_lshrrev_b32_e32 v11, 16, v3
	s_and_saveexec_b64 s[10:11], s[2:3]
	s_cbranch_execz .LBB107_52
; %bb.51:                               ;   in Loop: Header=BB107_30 Depth=1
	v_cmp_gt_i32_e32 vcc, s17, v38
	v_cndmask_b32_e32 v1, 0, v1, vcc
	v_cmp_gt_i32_e32 vcc, s17, v44
	v_cndmask_b32_e32 v32, 0, v32, vcc
	;; [unrolled: 2-line block ×6, first 2 shown]
	v_cmp_gt_i32_e32 vcc, s17, v42
	v_cndmask_b32_sdwa v33, v28, v4, vcc dst_sel:DWORD dst_unused:UNUSED_PAD src0_sel:DWORD src1_sel:WORD_0
	v_and_b32_e32 v4, 0xffff0000, v4
	v_cmp_gt_i32_e32 vcc, s17, v29
	v_cndmask_b32_e32 v4, 0, v4, vcc
	v_or_b32_e32 v4, v33, v4
.LBB107_52:                             ;   in Loop: Header=BB107_30 Depth=1
	s_or_b64 exec, exec, s[10:11]
	v_lshlrev_b32_e32 v32, 16, v32
	v_and_or_b32 v1, v1, s22, v32
	v_lshlrev_b32_e32 v31, 16, v31
	v_lshlrev_b32_e32 v11, 16, v11
	v_and_or_b32 v2, v2, s22, v31
	v_and_or_b32 v3, v3, s22, v11
	;;#ASMSTART
	v_pk_mul_f16 v1, v34, v1;

	;;#ASMEND
	;;#ASMSTART
	v_pk_mul_f16 v2, v35, v2;

	;;#ASMEND
	;; [unrolled: 4-line block ×4, first 2 shown]
	;;#ASMSTART
	v_pk_add_f16 v1, v1, v2;

	;;#ASMEND
	;;#ASMSTART
	v_pk_add_f16 v1, v1, v3;

	;;#ASMEND
	;; [unrolled: 4-line block ×3, first 2 shown]
	v_lshrrev_b32_e32 v2, 16, v1
	v_and_b32_e32 v1, 0xffff, v1
	;;#ASMSTART
	v_cvt_f32_f16 v11, v1;
	;;#ASMEND
	v_add_co_u32_e32 v1, vcc, 0x2000, v7
	;;#ASMSTART
	v_cvt_f32_f16 v31, v2;
	;;#ASMEND
	v_addc_co_u32_e32 v2, vcc, 0, v8, vcc
	global_load_dwordx4 v[1:4], v[1:2], off offset:3072
	s_waitcnt vmcnt(0)
	v_lshrrev_b32_e32 v47, 16, v1
	v_lshrrev_b32_e32 v33, 16, v2
	v_lshrrev_b32_e32 v32, 16, v3
	s_and_saveexec_b64 s[10:11], s[2:3]
	s_cbranch_execz .LBB107_54
; %bb.53:                               ;   in Loop: Header=BB107_30 Depth=1
	v_cmp_gt_i32_e32 vcc, s17, v38
	v_cndmask_b32_e32 v1, 0, v1, vcc
	v_cmp_gt_i32_e32 vcc, s17, v44
	v_cndmask_b32_e32 v47, 0, v47, vcc
	v_cmp_gt_i32_e32 vcc, s17, v43
	v_cndmask_b32_e32 v2, 0, v2, vcc
	v_cmp_gt_i32_e32 vcc, s17, v41
	v_cndmask_b32_e32 v33, 0, v33, vcc
	v_cmp_gt_i32_e32 vcc, s17, v40
	v_cndmask_b32_e32 v3, 0, v3, vcc
	v_cmp_gt_i32_e32 vcc, s17, v39
	v_cndmask_b32_e32 v32, 0, v32, vcc
	v_cmp_gt_i32_e32 vcc, s17, v42
	v_cndmask_b32_sdwa v48, v28, v4, vcc dst_sel:DWORD dst_unused:UNUSED_PAD src0_sel:DWORD src1_sel:WORD_0
	v_and_b32_e32 v4, 0xffff0000, v4
	v_cmp_gt_i32_e32 vcc, s17, v29
	v_cndmask_b32_e32 v4, 0, v4, vcc
	v_or_b32_e32 v4, v48, v4
.LBB107_54:                             ;   in Loop: Header=BB107_30 Depth=1
	s_or_b64 exec, exec, s[10:11]
	v_lshlrev_b32_e32 v47, 16, v47
	v_and_or_b32 v1, v1, s22, v47
	v_lshlrev_b32_e32 v33, 16, v33
	v_lshlrev_b32_e32 v32, 16, v32
	v_and_or_b32 v2, v2, s22, v33
	v_and_or_b32 v3, v3, s22, v32
	;;#ASMSTART
	v_pk_mul_f16 v1, v34, v1;

	;;#ASMEND
	;;#ASMSTART
	v_pk_mul_f16 v2, v35, v2;

	;;#ASMEND
	;; [unrolled: 4-line block ×4, first 2 shown]
	;;#ASMSTART
	v_pk_add_f16 v1, v1, v2;

	;;#ASMEND
	;;#ASMSTART
	v_pk_add_f16 v1, v1, v3;

	;;#ASMEND
	;;#ASMSTART
	v_pk_add_f16 v1, v1, v4;

	;;#ASMEND
	v_lshrrev_b32_e32 v2, 16, v1
	v_and_b32_e32 v1, 0xffff, v1
	;;#ASMSTART
	v_cvt_f32_f16 v32, v1;
	;;#ASMEND
	v_add_co_u32_e32 v1, vcc, 0x3000, v7
	;;#ASMSTART
	v_cvt_f32_f16 v33, v2;
	;;#ASMEND
	v_addc_co_u32_e32 v2, vcc, 0, v8, vcc
	global_load_dwordx4 v[1:4], v[1:2], off
	s_waitcnt vmcnt(0)
	v_lshrrev_b32_e32 v49, 16, v1
	v_lshrrev_b32_e32 v48, 16, v2
	;; [unrolled: 1-line block ×3, first 2 shown]
	s_and_saveexec_b64 s[10:11], s[2:3]
	s_cbranch_execz .LBB107_56
; %bb.55:                               ;   in Loop: Header=BB107_30 Depth=1
	v_cmp_gt_i32_e32 vcc, s17, v38
	v_cndmask_b32_e32 v1, 0, v1, vcc
	v_cmp_gt_i32_e32 vcc, s17, v44
	v_cndmask_b32_e32 v49, 0, v49, vcc
	;; [unrolled: 2-line block ×6, first 2 shown]
	v_cmp_gt_i32_e32 vcc, s17, v42
	v_cndmask_b32_sdwa v50, v28, v4, vcc dst_sel:DWORD dst_unused:UNUSED_PAD src0_sel:DWORD src1_sel:WORD_0
	v_and_b32_e32 v4, 0xffff0000, v4
	v_cmp_gt_i32_e32 vcc, s17, v29
	v_cndmask_b32_e32 v4, 0, v4, vcc
	v_or_b32_e32 v4, v50, v4
.LBB107_56:                             ;   in Loop: Header=BB107_30 Depth=1
	s_or_b64 exec, exec, s[10:11]
	v_lshlrev_b32_e32 v49, 16, v49
	v_and_or_b32 v1, v1, s22, v49
	v_lshlrev_b32_e32 v48, 16, v48
	v_lshlrev_b32_e32 v47, 16, v47
	v_and_or_b32 v2, v2, s22, v48
	v_and_or_b32 v3, v3, s22, v47
	;;#ASMSTART
	v_pk_mul_f16 v1, v34, v1;

	;;#ASMEND
	;;#ASMSTART
	v_pk_mul_f16 v2, v35, v2;

	;;#ASMEND
	;; [unrolled: 4-line block ×4, first 2 shown]
	;;#ASMSTART
	v_pk_add_f16 v1, v1, v2;

	;;#ASMEND
	;;#ASMSTART
	v_pk_add_f16 v1, v1, v3;

	;;#ASMEND
	;; [unrolled: 4-line block ×3, first 2 shown]
	v_lshrrev_b32_e32 v2, 16, v1
	v_and_b32_e32 v1, 0xffff, v1
	;;#ASMSTART
	v_cvt_f32_f16 v47, v1;
	;;#ASMEND
	v_add_co_u32_e32 v1, vcc, 0x3000, v7
	;;#ASMSTART
	v_cvt_f32_f16 v48, v2;
	;;#ASMEND
	v_addc_co_u32_e32 v2, vcc, 0, v8, vcc
	global_load_dwordx4 v[1:4], v[1:2], off offset:1024
	s_waitcnt vmcnt(0)
	v_lshrrev_b32_e32 v51, 16, v1
	v_lshrrev_b32_e32 v50, 16, v2
	;; [unrolled: 1-line block ×3, first 2 shown]
	s_and_saveexec_b64 s[10:11], s[2:3]
	s_cbranch_execz .LBB107_58
; %bb.57:                               ;   in Loop: Header=BB107_30 Depth=1
	v_cmp_gt_i32_e32 vcc, s17, v38
	v_cndmask_b32_e32 v1, 0, v1, vcc
	v_cmp_gt_i32_e32 vcc, s17, v44
	v_cndmask_b32_e32 v51, 0, v51, vcc
	;; [unrolled: 2-line block ×6, first 2 shown]
	v_cmp_gt_i32_e32 vcc, s17, v42
	v_cndmask_b32_sdwa v52, v28, v4, vcc dst_sel:DWORD dst_unused:UNUSED_PAD src0_sel:DWORD src1_sel:WORD_0
	v_and_b32_e32 v4, 0xffff0000, v4
	v_cmp_gt_i32_e32 vcc, s17, v29
	v_cndmask_b32_e32 v4, 0, v4, vcc
	v_or_b32_e32 v4, v52, v4
.LBB107_58:                             ;   in Loop: Header=BB107_30 Depth=1
	s_or_b64 exec, exec, s[10:11]
	v_lshlrev_b32_e32 v51, 16, v51
	v_and_or_b32 v1, v1, s22, v51
	v_lshlrev_b32_e32 v50, 16, v50
	v_lshlrev_b32_e32 v49, 16, v49
	v_and_or_b32 v2, v2, s22, v50
	v_and_or_b32 v3, v3, s22, v49
	;;#ASMSTART
	v_pk_mul_f16 v1, v34, v1;

	;;#ASMEND
	;;#ASMSTART
	v_pk_mul_f16 v2, v35, v2;

	;;#ASMEND
	;;#ASMSTART
	v_pk_mul_f16 v3, v36, v3;

	;;#ASMEND
	;;#ASMSTART
	v_pk_mul_f16 v4, v37, v4;

	;;#ASMEND
	;;#ASMSTART
	v_pk_add_f16 v1, v1, v2;

	;;#ASMEND
	;;#ASMSTART
	v_pk_add_f16 v1, v1, v3;

	;;#ASMEND
	;; [unrolled: 4-line block ×3, first 2 shown]
	v_lshrrev_b32_e32 v2, 16, v1
	v_and_b32_e32 v1, 0xffff, v1
	;;#ASMSTART
	v_cvt_f32_f16 v49, v1;
	;;#ASMEND
	v_add_co_u32_e32 v1, vcc, 0x3000, v7
	;;#ASMSTART
	v_cvt_f32_f16 v50, v2;
	;;#ASMEND
	v_addc_co_u32_e32 v2, vcc, 0, v8, vcc
	global_load_dwordx4 v[1:4], v[1:2], off offset:2048
	s_waitcnt vmcnt(0)
	v_lshrrev_b32_e32 v51, 16, v1
	v_lshrrev_b32_e32 v8, 16, v2
	;; [unrolled: 1-line block ×3, first 2 shown]
	s_and_saveexec_b64 s[10:11], s[2:3]
	s_cbranch_execz .LBB107_60
; %bb.59:                               ;   in Loop: Header=BB107_30 Depth=1
	v_cmp_gt_i32_e32 vcc, s17, v38
	v_cndmask_b32_e32 v1, 0, v1, vcc
	v_cmp_gt_i32_e32 vcc, s17, v44
	v_cndmask_b32_e32 v51, 0, v51, vcc
	;; [unrolled: 2-line block ×6, first 2 shown]
	v_cmp_gt_i32_e32 vcc, s17, v42
	v_cndmask_b32_sdwa v52, v28, v4, vcc dst_sel:DWORD dst_unused:UNUSED_PAD src0_sel:DWORD src1_sel:WORD_0
	v_and_b32_e32 v4, 0xffff0000, v4
	v_cmp_gt_i32_e32 vcc, s17, v29
	v_cndmask_b32_e32 v4, 0, v4, vcc
	v_or_b32_e32 v4, v52, v4
.LBB107_60:                             ;   in Loop: Header=BB107_30 Depth=1
	s_or_b64 exec, exec, s[10:11]
	v_lshlrev_b32_e32 v51, 16, v51
	v_and_or_b32 v1, v1, s22, v51
	v_lshlrev_b32_e32 v8, 16, v8
	v_lshlrev_b32_e32 v7, 16, v7
	v_and_or_b32 v2, v2, s22, v8
	v_and_or_b32 v3, v3, s22, v7
	;;#ASMSTART
	v_pk_mul_f16 v1, v34, v1;

	;;#ASMEND
	;;#ASMSTART
	v_pk_mul_f16 v2, v35, v2;

	;;#ASMEND
	;; [unrolled: 4-line block ×4, first 2 shown]
	;;#ASMSTART
	v_pk_add_f16 v1, v1, v2;

	;;#ASMEND
	;;#ASMSTART
	v_pk_add_f16 v1, v1, v3;

	;;#ASMEND
	;; [unrolled: 4-line block ×3, first 2 shown]
	v_lshrrev_b32_e32 v2, 16, v1
	v_and_b32_e32 v1, 0xffff, v1
	;;#ASMSTART
	v_cvt_f32_f16 v51, v1;
	;;#ASMEND
	;;#ASMSTART
	v_cvt_f32_f16 v52, v2;
	;;#ASMEND
	buffer_load_dword v1, off, s[40:43], 0 offset:56 ; 4-byte Folded Reload
	s_waitcnt vmcnt(0)
	v_add_co_u32_e32 v1, vcc, v45, v1
	v_addc_co_u32_e32 v2, vcc, 0, v46, vcc
	global_load_dwordx4 v[1:4], v[1:2], off
	s_waitcnt vmcnt(0)
	v_lshrrev_b32_e32 v45, 16, v1
	v_lshrrev_b32_e32 v8, 16, v2
	;; [unrolled: 1-line block ×3, first 2 shown]
	s_and_saveexec_b64 s[10:11], s[2:3]
	s_cbranch_execz .LBB107_29
; %bb.61:                               ;   in Loop: Header=BB107_30 Depth=1
	v_cmp_gt_i32_e32 vcc, s17, v38
	v_cndmask_b32_e32 v1, 0, v1, vcc
	v_cmp_gt_i32_e32 vcc, s17, v44
	v_cndmask_b32_e32 v45, 0, v45, vcc
	;; [unrolled: 2-line block ×6, first 2 shown]
	v_cmp_gt_i32_e32 vcc, s17, v42
	v_cndmask_b32_sdwa v38, v28, v4, vcc dst_sel:DWORD dst_unused:UNUSED_PAD src0_sel:DWORD src1_sel:WORD_0
	v_and_b32_e32 v4, 0xffff0000, v4
	v_cmp_gt_i32_e32 vcc, s17, v29
	v_cndmask_b32_e32 v4, 0, v4, vcc
	v_or_b32_e32 v4, v38, v4
	s_branch .LBB107_29
.LBB107_62:
	s_or_b64 exec, exec, s[6:7]
	buffer_load_dword v28, off, s[40:43], 0 offset:104 ; 4-byte Folded Reload
	buffer_load_dword v29, off, s[40:43], 0 offset:80 ; 4-byte Folded Reload
	;; [unrolled: 1-line block ×3, first 2 shown]
.LBB107_63:
	s_or_b64 exec, exec, s[4:5]
	s_waitcnt vmcnt(0)
	ds_bpermute_b32 v0, v30, v26
	ds_bpermute_b32 v1, v30, v27
	;; [unrolled: 1-line block ×5, first 2 shown]
	s_waitcnt lgkmcnt(4)
	v_add_f32_e32 v0, v26, v0
	buffer_load_dword v26, off, s[40:43], 0 offset:64 ; 4-byte Folded Reload
	s_waitcnt lgkmcnt(3)
	v_add_f32_e32 v3, v27, v1
	s_waitcnt lgkmcnt(2)
	v_add_f32_e32 v2, v25, v2
	;; [unrolled: 2-line block ×3, first 2 shown]
	ds_bpermute_b32 v8, v30, v22
	s_waitcnt vmcnt(0) lgkmcnt(0)
	s_barrier
	ds_bpermute_b32 v1, v26, v0
	ds_bpermute_b32 v4, v26, v3
	;; [unrolled: 1-line block ×3, first 2 shown]
	s_waitcnt lgkmcnt(2)
	v_add_f32_e32 v1, v0, v1
	s_waitcnt lgkmcnt(1)
	v_add_f32_e32 v0, v3, v4
	v_add_f32_e32 v4, v24, v5
	ds_bpermute_b32 v3, v26, v2
	ds_bpermute_b32 v5, v26, v4
	s_waitcnt lgkmcnt(1)
	v_add_f32_e32 v2, v2, v3
	s_waitcnt lgkmcnt(0)
	v_add_f32_e32 v3, v4, v5
	ds_bpermute_b32 v5, v30, v21
	v_add_f32_e32 v4, v6, v7
	v_add_f32_e32 v7, v22, v8
	ds_bpermute_b32 v6, v30, v20
	ds_bpermute_b32 v8, v26, v7
	s_waitcnt lgkmcnt(2)
	v_add_f32_e32 v9, v21, v5
	ds_bpermute_b32 v10, v26, v9
	s_waitcnt lgkmcnt(2)
	v_add_f32_e32 v11, v20, v6
	s_waitcnt lgkmcnt(1)
	v_add_f32_e32 v5, v7, v8
	ds_bpermute_b32 v8, v30, v19
	ds_bpermute_b32 v20, v26, v11
	s_waitcnt lgkmcnt(2)
	v_add_f32_e32 v6, v9, v10
	ds_bpermute_b32 v9, v30, v18
	ds_bpermute_b32 v10, v30, v17
	s_waitcnt lgkmcnt(3)
	v_add_f32_e32 v8, v19, v8
	s_waitcnt lgkmcnt(2)
	v_add_f32_e32 v7, v11, v20
	ds_bpermute_b32 v11, v26, v8
	s_waitcnt lgkmcnt(2)
	v_add_f32_e32 v18, v18, v9
	ds_bpermute_b32 v19, v26, v18
	ds_bpermute_b32 v20, v30, v16
	s_waitcnt lgkmcnt(3)
	v_add_f32_e32 v10, v17, v10
	s_waitcnt lgkmcnt(2)
	v_add_f32_e32 v9, v8, v11
	ds_bpermute_b32 v11, v30, v15
	ds_bpermute_b32 v17, v26, v10
	s_waitcnt lgkmcnt(3)
	v_add_f32_e32 v8, v18, v19
	s_waitcnt lgkmcnt(2)
	v_add_f32_e32 v16, v16, v20
	ds_bpermute_b32 v18, v30, v14
	s_waitcnt lgkmcnt(2)
	v_add_f32_e32 v11, v15, v11
	ds_bpermute_b32 v15, v30, v13
	ds_bpermute_b32 v20, v30, v12
	s_waitcnt lgkmcnt(3)
	v_add_f32_e32 v10, v10, v17
	ds_bpermute_b32 v17, v26, v16
	s_waitcnt lgkmcnt(3)
	v_add_f32_e32 v18, v14, v18
	s_waitcnt lgkmcnt(2)
	v_add_f32_e32 v22, v13, v15
	;; [unrolled: 2-line block ×3, first 2 shown]
	ds_bpermute_b32 v19, v26, v11
	ds_bpermute_b32 v21, v26, v18
	;; [unrolled: 1-line block ×4, first 2 shown]
	s_waitcnt lgkmcnt(4)
	v_add_f32_e32 v15, v16, v17
	v_and_b32_e32 v17, 0x3c3, v28
	s_waitcnt lgkmcnt(3)
	v_add_f32_e32 v14, v11, v19
	s_waitcnt lgkmcnt(2)
	v_add_f32_e32 v13, v18, v21
	;; [unrolled: 2-line block ×4, first 2 shown]
	v_cmp_eq_u32_e32 vcc, 64, v17
	s_and_saveexec_b64 s[2:3], vcc
	s_cbranch_execz .LBB107_65
; %bb.64:
	v_add_u32_e32 v16, 0x210, v29
	ds_write2_b32 v16, v1, v0 offset1:16
	ds_write2_b32 v16, v2, v3 offset0:32 offset1:48
	ds_write2_b32 v16, v4, v5 offset0:64 offset1:80
	;; [unrolled: 1-line block ×7, first 2 shown]
.LBB107_65:
	s_or_b64 exec, exec, s[2:3]
	v_lshrrev_b32_e32 v16, 2, v28
	s_waitcnt lgkmcnt(0)
	s_barrier
	s_and_saveexec_b64 s[2:3], s[0:1]
	s_cbranch_execz .LBB107_84
; %bb.66:
	buffer_load_dword v18, off, s[40:43], 0 offset:72 ; 4-byte Folded Reload
	s_waitcnt vmcnt(0)
	v_cmp_eq_u32_e32 vcc, 0, v18
	v_mov_b32_e32 v18, 0x210
	v_lshl_add_u32 v18, v16, 2, v18
	s_and_saveexec_b64 s[0:1], vcc
	s_cbranch_execnz .LBB107_87
; %bb.67:
	s_or_b64 exec, exec, s[0:1]
	s_and_saveexec_b64 s[0:1], vcc
	s_cbranch_execnz .LBB107_88
.LBB107_68:
	s_or_b64 exec, exec, s[0:1]
	s_and_saveexec_b64 s[0:1], vcc
	s_cbranch_execnz .LBB107_89
.LBB107_69:
	s_or_b64 exec, exec, s[0:1]
	s_and_saveexec_b64 s[0:1], vcc
	s_cbranch_execnz .LBB107_90
.LBB107_70:
	s_or_b64 exec, exec, s[0:1]
	s_and_saveexec_b64 s[0:1], vcc
	s_cbranch_execnz .LBB107_91
.LBB107_71:
	s_or_b64 exec, exec, s[0:1]
	s_and_saveexec_b64 s[0:1], vcc
	s_cbranch_execnz .LBB107_92
.LBB107_72:
	s_or_b64 exec, exec, s[0:1]
	s_and_saveexec_b64 s[0:1], vcc
	s_cbranch_execnz .LBB107_93
.LBB107_73:
	s_or_b64 exec, exec, s[0:1]
	s_and_saveexec_b64 s[0:1], vcc
	s_cbranch_execnz .LBB107_94
.LBB107_74:
	s_or_b64 exec, exec, s[0:1]
	s_and_saveexec_b64 s[0:1], vcc
	s_cbranch_execnz .LBB107_95
.LBB107_75:
	s_or_b64 exec, exec, s[0:1]
	s_and_saveexec_b64 s[0:1], vcc
	s_cbranch_execnz .LBB107_96
.LBB107_76:
	s_or_b64 exec, exec, s[0:1]
	s_and_saveexec_b64 s[0:1], vcc
	s_cbranch_execnz .LBB107_97
.LBB107_77:
	s_or_b64 exec, exec, s[0:1]
	s_and_saveexec_b64 s[0:1], vcc
	s_cbranch_execnz .LBB107_98
.LBB107_78:
	s_or_b64 exec, exec, s[0:1]
	s_and_saveexec_b64 s[0:1], vcc
	s_cbranch_execnz .LBB107_99
.LBB107_79:
	s_or_b64 exec, exec, s[0:1]
	s_and_saveexec_b64 s[0:1], vcc
	s_cbranch_execnz .LBB107_100
.LBB107_80:
	s_or_b64 exec, exec, s[0:1]
	s_and_saveexec_b64 s[0:1], vcc
	s_cbranch_execnz .LBB107_101
.LBB107_81:
	s_or_b64 exec, exec, s[0:1]
	s_and_saveexec_b64 s[0:1], vcc
	s_cbranch_execz .LBB107_83
.LBB107_82:
	ds_read_b32 v18, v18 offset:960
	s_waitcnt lgkmcnt(0)
	v_add_f32_e32 v11, v11, v18
.LBB107_83:
	s_or_b64 exec, exec, s[0:1]
.LBB107_84:
	s_or_b64 exec, exec, s[2:3]
	v_cmp_eq_u32_e32 vcc, 0, v17
	s_barrier
	s_and_saveexec_b64 s[0:1], vcc
	s_cbranch_execz .LBB107_86
; %bb.85:
	s_mul_i32 s0, s16, s12
	s_mul_i32 s0, s0, s9
	s_lshl_b32 s0, s0, 8
	s_ashr_i32 s1, s0, 31
	s_lshl_b64 s[0:1], s[0:1], 1
	s_add_u32 s2, s20, s0
	s_mul_i32 s0, s12, s18
	s_addc_u32 s3, s21, s1
	s_ashr_i32 s1, s0, 31
	s_lshl_b64 s[0:1], s[0:1], 1
	s_add_u32 s2, s2, s0
	s_addc_u32 s3, s3, s1
	s_lshl_b32 s0, s8, 8
	s_ashr_i32 s1, s0, 31
	s_lshl_b64 s[0:1], s[0:1], 1
	s_add_u32 s0, s2, s0
	s_addc_u32 s1, s3, s1
	v_lshlrev_b32_e32 v16, 1, v16
	;;#ASMSTART
	v_cvt_f16_f32 v1, v1;

	;;#ASMEND
	global_store_short v16, v1, s[0:1]
	;;#ASMSTART
	v_cvt_f16_f32 v0, v0;

	;;#ASMEND
	global_store_short v16, v0, s[0:1] offset:32
	;;#ASMSTART
	v_cvt_f16_f32 v0, v2;

	;;#ASMEND
	global_store_short v16, v0, s[0:1] offset:64
	;;#ASMSTART
	v_cvt_f16_f32 v0, v3;

	;;#ASMEND
	global_store_short v16, v0, s[0:1] offset:96
	;;#ASMSTART
	v_cvt_f16_f32 v0, v4;

	;;#ASMEND
	global_store_short v16, v0, s[0:1] offset:128
	;;#ASMSTART
	v_cvt_f16_f32 v0, v5;

	;;#ASMEND
	global_store_short v16, v0, s[0:1] offset:160
	;;#ASMSTART
	v_cvt_f16_f32 v0, v6;

	;;#ASMEND
	global_store_short v16, v0, s[0:1] offset:192
	;;#ASMSTART
	v_cvt_f16_f32 v0, v7;

	;;#ASMEND
	global_store_short v16, v0, s[0:1] offset:224
	;;#ASMSTART
	v_cvt_f16_f32 v0, v9;

	;;#ASMEND
	global_store_short v16, v0, s[0:1] offset:256
	;;#ASMSTART
	v_cvt_f16_f32 v0, v8;

	;;#ASMEND
	global_store_short v16, v0, s[0:1] offset:288
	;;#ASMSTART
	v_cvt_f16_f32 v0, v10;

	;;#ASMEND
	global_store_short v16, v0, s[0:1] offset:320
	;;#ASMSTART
	v_cvt_f16_f32 v0, v15;

	;;#ASMEND
	global_store_short v16, v0, s[0:1] offset:352
	;;#ASMSTART
	v_cvt_f16_f32 v0, v14;

	;;#ASMEND
	global_store_short v16, v0, s[0:1] offset:384
	;;#ASMSTART
	v_cvt_f16_f32 v0, v13;

	;;#ASMEND
	global_store_short v16, v0, s[0:1] offset:416
	;;#ASMSTART
	v_cvt_f16_f32 v0, v12;

	;;#ASMEND
	global_store_short v16, v0, s[0:1] offset:448
	;;#ASMSTART
	v_cvt_f16_f32 v0, v11;

	;;#ASMEND
	global_store_short v16, v0, s[0:1] offset:480
.LBB107_86:
	s_endpgm
.LBB107_87:
	ds_read_b32 v19, v18
	s_waitcnt lgkmcnt(0)
	v_add_f32_e32 v1, v1, v19
	s_or_b64 exec, exec, s[0:1]
	s_and_saveexec_b64 s[0:1], vcc
	s_cbranch_execz .LBB107_68
.LBB107_88:
	ds_read_b32 v19, v18 offset:64
	s_waitcnt lgkmcnt(0)
	v_add_f32_e32 v0, v0, v19
	s_or_b64 exec, exec, s[0:1]
	s_and_saveexec_b64 s[0:1], vcc
	s_cbranch_execz .LBB107_69
.LBB107_89:
	ds_read_b32 v19, v18 offset:128
	s_waitcnt lgkmcnt(0)
	v_add_f32_e32 v2, v2, v19
	s_or_b64 exec, exec, s[0:1]
	s_and_saveexec_b64 s[0:1], vcc
	s_cbranch_execz .LBB107_70
.LBB107_90:
	ds_read_b32 v19, v18 offset:192
	s_waitcnt lgkmcnt(0)
	v_add_f32_e32 v3, v3, v19
	s_or_b64 exec, exec, s[0:1]
	s_and_saveexec_b64 s[0:1], vcc
	s_cbranch_execz .LBB107_71
.LBB107_91:
	ds_read_b32 v19, v18 offset:256
	s_waitcnt lgkmcnt(0)
	v_add_f32_e32 v4, v4, v19
	s_or_b64 exec, exec, s[0:1]
	s_and_saveexec_b64 s[0:1], vcc
	s_cbranch_execz .LBB107_72
.LBB107_92:
	ds_read_b32 v19, v18 offset:320
	s_waitcnt lgkmcnt(0)
	v_add_f32_e32 v5, v5, v19
	s_or_b64 exec, exec, s[0:1]
	s_and_saveexec_b64 s[0:1], vcc
	s_cbranch_execz .LBB107_73
.LBB107_93:
	ds_read_b32 v19, v18 offset:384
	s_waitcnt lgkmcnt(0)
	v_add_f32_e32 v6, v6, v19
	s_or_b64 exec, exec, s[0:1]
	s_and_saveexec_b64 s[0:1], vcc
	s_cbranch_execz .LBB107_74
.LBB107_94:
	ds_read_b32 v19, v18 offset:448
	s_waitcnt lgkmcnt(0)
	v_add_f32_e32 v7, v7, v19
	s_or_b64 exec, exec, s[0:1]
	s_and_saveexec_b64 s[0:1], vcc
	s_cbranch_execz .LBB107_75
.LBB107_95:
	ds_read_b32 v19, v18 offset:512
	s_waitcnt lgkmcnt(0)
	v_add_f32_e32 v9, v9, v19
	s_or_b64 exec, exec, s[0:1]
	s_and_saveexec_b64 s[0:1], vcc
	s_cbranch_execz .LBB107_76
.LBB107_96:
	ds_read_b32 v19, v18 offset:576
	s_waitcnt lgkmcnt(0)
	v_add_f32_e32 v8, v8, v19
	s_or_b64 exec, exec, s[0:1]
	s_and_saveexec_b64 s[0:1], vcc
	s_cbranch_execz .LBB107_77
.LBB107_97:
	ds_read_b32 v19, v18 offset:640
	s_waitcnt lgkmcnt(0)
	v_add_f32_e32 v10, v10, v19
	s_or_b64 exec, exec, s[0:1]
	s_and_saveexec_b64 s[0:1], vcc
	s_cbranch_execz .LBB107_78
.LBB107_98:
	ds_read_b32 v19, v18 offset:704
	s_waitcnt lgkmcnt(0)
	v_add_f32_e32 v15, v15, v19
	s_or_b64 exec, exec, s[0:1]
	s_and_saveexec_b64 s[0:1], vcc
	s_cbranch_execz .LBB107_79
.LBB107_99:
	ds_read_b32 v19, v18 offset:768
	s_waitcnt lgkmcnt(0)
	v_add_f32_e32 v14, v14, v19
	s_or_b64 exec, exec, s[0:1]
	s_and_saveexec_b64 s[0:1], vcc
	s_cbranch_execz .LBB107_80
.LBB107_100:
	ds_read_b32 v19, v18 offset:832
	s_waitcnt lgkmcnt(0)
	v_add_f32_e32 v13, v13, v19
	s_or_b64 exec, exec, s[0:1]
	s_and_saveexec_b64 s[0:1], vcc
	s_cbranch_execz .LBB107_81
.LBB107_101:
	ds_read_b32 v19, v18 offset:896
	s_waitcnt lgkmcnt(0)
	v_add_f32_e32 v12, v12, v19
	s_or_b64 exec, exec, s[0:1]
	s_and_saveexec_b64 s[0:1], vcc
	s_cbranch_execnz .LBB107_82
	s_branch .LBB107_83
	.section	.rodata,"a",@progbits
	.p2align	6, 0x0
	.amdhsa_kernel _ZN4vllm25paged_attention_v1_kernelIttLi256ELi32ELi128ELNS_18Fp8KVCacheDataTypeE0ELb0EEEvPT_PKS2_PKT0_S8_ifPKiSA_iPKfiiiSC_SC_iiiii
		.amdhsa_group_segment_fixed_size 528
		.amdhsa_private_segment_fixed_size 124
		.amdhsa_kernarg_size 384
		.amdhsa_user_sgpr_count 6
		.amdhsa_user_sgpr_private_segment_buffer 1
		.amdhsa_user_sgpr_dispatch_ptr 0
		.amdhsa_user_sgpr_queue_ptr 0
		.amdhsa_user_sgpr_kernarg_segment_ptr 1
		.amdhsa_user_sgpr_dispatch_id 0
		.amdhsa_user_sgpr_flat_scratch_init 0
		.amdhsa_user_sgpr_private_segment_size 0
		.amdhsa_uses_dynamic_stack 0
		.amdhsa_system_sgpr_private_segment_wavefront_offset 1
		.amdhsa_system_sgpr_workgroup_id_x 1
		.amdhsa_system_sgpr_workgroup_id_y 1
		.amdhsa_system_sgpr_workgroup_id_z 1
		.amdhsa_system_sgpr_workgroup_info 0
		.amdhsa_system_vgpr_workitem_id 0
		.amdhsa_next_free_vgpr 64
		.amdhsa_next_free_sgpr 44
		.amdhsa_reserve_vcc 1
		.amdhsa_reserve_flat_scratch 0
		.amdhsa_float_round_mode_32 0
		.amdhsa_float_round_mode_16_64 0
		.amdhsa_float_denorm_mode_32 3
		.amdhsa_float_denorm_mode_16_64 3
		.amdhsa_dx10_clamp 1
		.amdhsa_ieee_mode 1
		.amdhsa_fp16_overflow 0
		.amdhsa_exception_fp_ieee_invalid_op 0
		.amdhsa_exception_fp_denorm_src 0
		.amdhsa_exception_fp_ieee_div_zero 0
		.amdhsa_exception_fp_ieee_overflow 0
		.amdhsa_exception_fp_ieee_underflow 0
		.amdhsa_exception_fp_ieee_inexact 0
		.amdhsa_exception_int_div_zero 0
	.end_amdhsa_kernel
	.section	.text._ZN4vllm25paged_attention_v1_kernelIttLi256ELi32ELi128ELNS_18Fp8KVCacheDataTypeE0ELb0EEEvPT_PKS2_PKT0_S8_ifPKiSA_iPKfiiiSC_SC_iiiii,"axG",@progbits,_ZN4vllm25paged_attention_v1_kernelIttLi256ELi32ELi128ELNS_18Fp8KVCacheDataTypeE0ELb0EEEvPT_PKS2_PKT0_S8_ifPKiSA_iPKfiiiSC_SC_iiiii,comdat
.Lfunc_end107:
	.size	_ZN4vllm25paged_attention_v1_kernelIttLi256ELi32ELi128ELNS_18Fp8KVCacheDataTypeE0ELb0EEEvPT_PKS2_PKT0_S8_ifPKiSA_iPKfiiiSC_SC_iiiii, .Lfunc_end107-_ZN4vllm25paged_attention_v1_kernelIttLi256ELi32ELi128ELNS_18Fp8KVCacheDataTypeE0ELb0EEEvPT_PKS2_PKT0_S8_ifPKiSA_iPKfiiiSC_SC_iiiii
                                        ; -- End function
	.set _ZN4vllm25paged_attention_v1_kernelIttLi256ELi32ELi128ELNS_18Fp8KVCacheDataTypeE0ELb0EEEvPT_PKS2_PKT0_S8_ifPKiSA_iPKfiiiSC_SC_iiiii.num_vgpr, 64
	.set _ZN4vllm25paged_attention_v1_kernelIttLi256ELi32ELi128ELNS_18Fp8KVCacheDataTypeE0ELb0EEEvPT_PKS2_PKT0_S8_ifPKiSA_iPKfiiiSC_SC_iiiii.num_agpr, 0
	.set _ZN4vllm25paged_attention_v1_kernelIttLi256ELi32ELi128ELNS_18Fp8KVCacheDataTypeE0ELb0EEEvPT_PKS2_PKT0_S8_ifPKiSA_iPKfiiiSC_SC_iiiii.numbered_sgpr, 44
	.set _ZN4vllm25paged_attention_v1_kernelIttLi256ELi32ELi128ELNS_18Fp8KVCacheDataTypeE0ELb0EEEvPT_PKS2_PKT0_S8_ifPKiSA_iPKfiiiSC_SC_iiiii.num_named_barrier, 0
	.set _ZN4vllm25paged_attention_v1_kernelIttLi256ELi32ELi128ELNS_18Fp8KVCacheDataTypeE0ELb0EEEvPT_PKS2_PKT0_S8_ifPKiSA_iPKfiiiSC_SC_iiiii.private_seg_size, 124
	.set _ZN4vllm25paged_attention_v1_kernelIttLi256ELi32ELi128ELNS_18Fp8KVCacheDataTypeE0ELb0EEEvPT_PKS2_PKT0_S8_ifPKiSA_iPKfiiiSC_SC_iiiii.uses_vcc, 1
	.set _ZN4vllm25paged_attention_v1_kernelIttLi256ELi32ELi128ELNS_18Fp8KVCacheDataTypeE0ELb0EEEvPT_PKS2_PKT0_S8_ifPKiSA_iPKfiiiSC_SC_iiiii.uses_flat_scratch, 0
	.set _ZN4vllm25paged_attention_v1_kernelIttLi256ELi32ELi128ELNS_18Fp8KVCacheDataTypeE0ELb0EEEvPT_PKS2_PKT0_S8_ifPKiSA_iPKfiiiSC_SC_iiiii.has_dyn_sized_stack, 0
	.set _ZN4vllm25paged_attention_v1_kernelIttLi256ELi32ELi128ELNS_18Fp8KVCacheDataTypeE0ELb0EEEvPT_PKS2_PKT0_S8_ifPKiSA_iPKfiiiSC_SC_iiiii.has_recursion, 0
	.set _ZN4vllm25paged_attention_v1_kernelIttLi256ELi32ELi128ELNS_18Fp8KVCacheDataTypeE0ELb0EEEvPT_PKS2_PKT0_S8_ifPKiSA_iPKfiiiSC_SC_iiiii.has_indirect_call, 0
	.section	.AMDGPU.csdata,"",@progbits
; Kernel info:
; codeLenInByte = 13940
; TotalNumSgprs: 48
; NumVgprs: 64
; ScratchSize: 124
; MemoryBound: 0
; FloatMode: 240
; IeeeMode: 1
; LDSByteSize: 528 bytes/workgroup (compile time only)
; SGPRBlocks: 5
; VGPRBlocks: 15
; NumSGPRsForWavesPerEU: 48
; NumVGPRsForWavesPerEU: 64
; Occupancy: 4
; WaveLimiterHint : 1
; COMPUTE_PGM_RSRC2:SCRATCH_EN: 1
; COMPUTE_PGM_RSRC2:USER_SGPR: 6
; COMPUTE_PGM_RSRC2:TRAP_HANDLER: 0
; COMPUTE_PGM_RSRC2:TGID_X_EN: 1
; COMPUTE_PGM_RSRC2:TGID_Y_EN: 1
; COMPUTE_PGM_RSRC2:TGID_Z_EN: 1
; COMPUTE_PGM_RSRC2:TIDIG_COMP_CNT: 0
	.section	.text._ZN4vllm25paged_attention_v1_kernelI14__hip_bfloat16S1_Li32ELi8ELi128ELNS_18Fp8KVCacheDataTypeE0ELb1EEEvPT_PKS3_PKT0_S9_ifPKiSB_iPKfiiiSD_SD_iiiii,"axG",@progbits,_ZN4vllm25paged_attention_v1_kernelI14__hip_bfloat16S1_Li32ELi8ELi128ELNS_18Fp8KVCacheDataTypeE0ELb1EEEvPT_PKS3_PKT0_S9_ifPKiSB_iPKfiiiSD_SD_iiiii,comdat
	.protected	_ZN4vllm25paged_attention_v1_kernelI14__hip_bfloat16S1_Li32ELi8ELi128ELNS_18Fp8KVCacheDataTypeE0ELb1EEEvPT_PKS3_PKT0_S9_ifPKiSB_iPKfiiiSD_SD_iiiii ; -- Begin function _ZN4vllm25paged_attention_v1_kernelI14__hip_bfloat16S1_Li32ELi8ELi128ELNS_18Fp8KVCacheDataTypeE0ELb1EEEvPT_PKS3_PKT0_S9_ifPKiSB_iPKfiiiSD_SD_iiiii
	.globl	_ZN4vllm25paged_attention_v1_kernelI14__hip_bfloat16S1_Li32ELi8ELi128ELNS_18Fp8KVCacheDataTypeE0ELb1EEEvPT_PKS3_PKT0_S9_ifPKiSB_iPKfiiiSD_SD_iiiii
	.p2align	8
	.type	_ZN4vllm25paged_attention_v1_kernelI14__hip_bfloat16S1_Li32ELi8ELi128ELNS_18Fp8KVCacheDataTypeE0ELb1EEEvPT_PKS3_PKT0_S9_ifPKiSB_iPKfiiiSD_SD_iiiii,@function
_ZN4vllm25paged_attention_v1_kernelI14__hip_bfloat16S1_Li32ELi8ELi128ELNS_18Fp8KVCacheDataTypeE0ELb1EEEvPT_PKS3_PKT0_S9_ifPKiSB_iPKfiiiSD_SD_iiiii: ; @_ZN4vllm25paged_attention_v1_kernelI14__hip_bfloat16S1_Li32ELi8ELi128ELNS_18Fp8KVCacheDataTypeE0ELb1EEEvPT_PKS3_PKT0_S9_ifPKiSB_iPKfiiiSD_SD_iiiii
; %bb.0:
	s_load_dword s9, s[4:5], 0x80
	s_load_dwordx2 s[0:1], s[4:5], 0x30
	s_load_dwordx2 s[30:31], s[4:5], 0x20
	s_mov_b32 s10, s7
	s_ashr_i32 s11, s7, 31
	s_lshl_b64 s[2:3], s[10:11], 2
	s_waitcnt lgkmcnt(0)
	s_add_u32 s0, s0, s2
	s_addc_u32 s1, s1, s3
	s_abs_i32 s2, s30
	v_cvt_f32_u32_e32 v1, s2
	s_sub_i32 s11, 0, s2
	s_abs_i32 s7, s9
	s_xor_b32 s3, s9, s30
	v_rcp_iflag_f32_e32 v1, v1
	s_ashr_i32 s3, s3, 31
	s_mov_b32 s43, 0
	v_mul_f32_e32 v1, 0x4f7ffffe, v1
	v_cvt_u32_f32_e32 v1, v1
	v_readfirstlane_b32 s12, v1
	s_mul_i32 s11, s11, s12
	s_mul_hi_u32 s11, s12, s11
	s_add_i32 s12, s12, s11
	s_mul_hi_u32 s11, s7, s12
	s_mul_i32 s12, s11, s2
	s_sub_i32 s7, s7, s12
	s_add_i32 s12, s11, 1
	s_sub_i32 s13, s7, s2
	s_cmp_ge_u32 s7, s2
	s_cselect_b32 s11, s12, s11
	s_cselect_b32 s7, s13, s7
	s_add_i32 s12, s11, 1
	s_cmp_ge_u32 s7, s2
	s_cselect_b32 s2, s12, s11
	s_xor_b32 s2, s2, s3
	s_sub_i32 s16, s2, s3
	s_abs_i32 s22, s16
	v_cvt_f32_u32_e32 v1, s22
	s_load_dwordx2 s[2:3], s[4:5], 0x40
	s_sub_i32 s7, 0, s22
	s_abs_i32 s23, s6
	v_rcp_iflag_f32_e32 v1, v1
	v_mul_f32_e32 v1, 0x4f7ffffe, v1
	v_cvt_u32_f32_e32 v1, v1
	v_readfirstlane_b32 s11, v1
	s_mul_i32 s7, s7, s11
	s_mul_hi_u32 s7, s11, s7
	s_add_i32 s11, s11, s7
	s_waitcnt lgkmcnt(0)
	s_cmp_eq_u64 s[2:3], 0
	s_mul_hi_u32 s24, s23, s11
	s_cbranch_scc1 .LBB108_2
; %bb.1:
	s_ashr_i32 s7, s6, 31
	s_lshl_b64 s[12:13], s[6:7], 2
	s_add_u32 s2, s2, s12
	s_addc_u32 s3, s3, s13
	s_load_dword s43, s[2:3], 0x0
.LBB108_2:
	s_load_dword s11, s[0:1], 0x0
	s_load_dwordx4 s[12:15], s[4:5], 0x48
	s_ashr_i32 s2, s6, 31
	s_ashr_i32 s7, s16, 31
	v_and_b32_e32 v1, 7, v0
	s_lshl_b32 s20, s6, 5
	v_cmp_gt_u32_e32 vcc, 32, v0
	s_and_saveexec_b64 s[0:1], vcc
	s_cbranch_execz .LBB108_4
; %bb.3:
	s_load_dwordx2 s[16:17], s[4:5], 0x8
	s_waitcnt lgkmcnt(0)
	s_mul_i32 s18, s12, s10
	s_ashr_i32 s19, s18, 31
	s_lshl_b64 s[18:19], s[18:19], 1
	v_lshlrev_b32_e32 v2, 1, v0
	s_add_u32 s3, s16, s18
	s_addc_u32 s12, s17, s19
	s_ashr_i32 s21, s20, 31
	s_lshl_b64 s[16:17], s[20:21], 1
	s_add_u32 s16, s3, s16
	s_addc_u32 s17, s12, s17
	global_load_ushort v2, v2, s[16:17]
	v_lshrrev_b32_e32 v3, 2, v0
	v_and_b32_e32 v3, 0xfe, v3
	v_lshl_add_u32 v3, v1, 3, v3
	s_waitcnt vmcnt(0)
	ds_write_b16 v3, v2
.LBB108_4:
	s_or_b64 exec, exec, s[0:1]
	s_mul_i32 s1, s24, s22
	s_sub_i32 s1, s23, s1
	s_xor_b32 s0, s2, s7
	s_add_i32 s2, s24, 1
	s_sub_i32 s7, s1, s22
	s_load_dwordx4 s[16:19], s[4:5], 0x68
	s_load_dword s3, s[4:5], 0x78
	s_cmp_ge_u32 s1, s22
	s_cselect_b32 s2, s2, s24
	s_cselect_b32 s1, s7, s1
	s_add_i32 s7, s2, 1
	s_cmp_ge_u32 s1, s22
	s_cselect_b32 s1, s7, s2
	s_waitcnt lgkmcnt(0)
	s_abs_i32 s21, s19
	v_cvt_f32_u32_e32 v2, s21
	s_xor_b32 s1, s1, s0
	s_sub_i32 s2, s1, s0
	s_sub_i32 s0, 0, s21
	v_rcp_iflag_f32_e32 v2, v2
	s_add_i32 s15, s11, -1
	s_abs_i32 s7, s15
	v_mul_f32_e32 v2, 0x4f7ffffe, v2
	v_cvt_u32_f32_e32 v2, v2
	s_barrier
	v_readfirstlane_b32 s33, v2
	s_mul_i32 s0, s0, s33
	s_mul_hi_u32 s0, s33, s0
	s_add_i32 s33, s33, s0
	s_cmp_lt_i32 s3, 0
	s_mul_hi_u32 s12, s7, s33
	s_cbranch_scc0 .LBB108_6
; %bb.5:
	s_mul_i32 s0, s16, s30
	s_add_i32 s0, s2, s0
	s_mul_i32 s0, s0, s3
	s_sub_i32 s40, 1, s0
	s_mov_b64 s[0:1], 0
	s_branch .LBB108_7
.LBB108_6:
	s_mov_b64 s[0:1], -1
                                        ; implicit-def: $sgpr40
.LBB108_7:
	s_load_dwordx2 s[24:25], s[4:5], 0x28
	s_ashr_i32 s15, s15, 31
	s_andn2_b64 vcc, exec, s[0:1]
	s_ashr_i32 s41, s19, 31
	s_cbranch_vccnz .LBB108_9
; %bb.8:
	s_mul_i32 s0, s9, s16
	s_add_i32 s0, s0, s6
	s_mul_i32 s0, s0, s3
	s_add_i32 s40, s0, 1
.LBB108_9:
	s_load_dword s0, s[4:5], 0x38
	s_load_dwordx2 s[22:23], s[4:5], 0x0
	s_load_dwordx2 s[28:29], s[4:5], 0x18
	s_load_dword s19, s[4:5], 0x88
	s_xor_b32 s1, s15, s41
	s_waitcnt lgkmcnt(0)
	s_mul_i32 s26, s0, s10
	s_mul_i32 s0, s12, s21
	s_sub_i32 s0, s7, s0
	s_ashr_i32 s27, s26, 31
	s_add_i32 s3, s12, 1
	s_sub_i32 s6, s0, s21
	s_cmp_ge_u32 s0, s21
	s_cselect_b32 s3, s3, s12
	s_cselect_b32 s0, s6, s0
	s_add_i32 s6, s3, 1
	s_cmp_ge_u32 s0, s21
	s_cselect_b32 s0, s6, s3
	s_xor_b32 s0, s0, s1
	s_sub_i32 s12, s0, s1
	s_add_i32 s0, s11, 7
	s_ashr_i32 s1, s0, 31
	s_lshr_b32 s1, s1, 29
	s_add_i32 s0, s0, s1
	s_ashr_i32 s42, s0, 3
	v_lshrrev_b32_e32 v15, 6, v0
	v_cmp_gt_i32_e64 s[0:1], s42, v15
	v_mov_b32_e32 v8, 0xff7fffff
	s_mul_i32 s14, s2, s14
	v_lshrrev_b32_e32 v3, 4, v0
	v_lshlrev_b32_e32 v16, 3, v15
	v_mbcnt_lo_u32_b32 v4, -1, 0
	s_and_saveexec_b64 s[34:35], s[0:1]
	s_cbranch_execz .LBB108_21
; %bb.10:
	s_load_dwordx2 s[2:3], s[4:5], 0x10
	s_ashr_i32 s15, s14, 31
	s_sub_i32 s16, s12, s17
	s_lshl_b64 s[4:5], s[14:15], 1
	v_bfe_u32 v5, v0, 3, 3
	s_waitcnt lgkmcnt(0)
	s_add_u32 s2, s2, s4
	s_addc_u32 s3, s3, s5
	s_abs_i32 s15, s18
	v_cvt_f32_u32_e32 v2, s15
	v_mov_b32_e32 v8, s3
	s_sub_i32 s3, 0, s15
	v_lshlrev_b32_e32 v7, 4, v5
	v_rcp_iflag_f32_e32 v2, v2
	v_lshlrev_b32_e32 v6, 1, v1
	s_lshl_b64 s[4:5], s[26:27], 2
	s_add_u32 s4, s24, s4
	v_mul_f32_e32 v2, 0x4f7ffffe, v2
	v_cvt_u32_f32_e32 v2, v2
	v_cmp_eq_u32_e32 vcc, 0, v1
	s_addc_u32 s5, s25, s5
	v_mbcnt_hi_u32_b32 v17, -1, v4
	v_mul_lo_u32 v9, s3, v2
	v_add_co_u32_e64 v7, s[2:3], s2, v7
	v_addc_co_u32_e64 v8, s[2:3], 0, v8, s[2:3]
	v_mul_hi_u32 v10, v2, v9
	v_add_co_u32_e64 v6, s[2:3], v7, v6
	v_addc_co_u32_e64 v7, s[2:3], 0, v8, s[2:3]
	v_subrev_u32_e32 v8, s11, v5
	v_add_u32_e32 v12, 1, v8
	v_lshlrev_b32_e32 v8, 2, v5
	v_lshlrev_b32_e32 v9, 3, v1
	v_and_b32_e32 v1, 60, v3
	v_lshl_or_b32 v8, v15, 5, v8
	v_add_u32_e32 v10, v2, v10
	v_mov_b32_e32 v2, s5
	v_add_co_u32_e64 v1, s[4:5], s4, v1
	v_add_u32_e32 v13, 0x50, v8
	v_and_b32_e32 v8, 64, v17
	s_mov_b32 s30, s13
	v_cmp_neq_f32_e64 s[2:3], s43, 0
	v_addc_co_u32_e64 v2, s[4:5], 0, v2, s[4:5]
	v_lshlrev_b32_e32 v11, 3, v15
	v_mov_b32_e32 v14, 0xff7fffff
	s_mov_b64 s[36:37], 0
	v_add_u32_e32 v18, 64, v8
	v_xor_b32_e32 v19, 4, v17
	v_xor_b32_e32 v20, 2, v17
	v_mov_b32_e32 v8, 0xff7fffff
	v_mov_b32_e32 v21, v15
	s_branch .LBB108_13
.LBB108_11:                             ;   in Loop: Header=BB108_13 Depth=1
	s_or_b64 exec, exec, s[38:39]
.LBB108_12:                             ;   in Loop: Header=BB108_13 Depth=1
	s_or_b64 exec, exec, s[6:7]
	v_add_co_u32_e64 v1, s[4:5], 8, v1
	v_add_u32_e32 v21, 2, v21
	v_addc_co_u32_e64 v2, s[4:5], 0, v2, s[4:5]
	v_cmp_le_i32_e64 s[4:5], s42, v21
	v_add_u32_e32 v11, 16, v11
	s_or_b64 s[36:37], s[4:5], s[36:37]
	v_add_u32_e32 v13, 64, v13
	s_andn2_b64 exec, exec, s[36:37]
	s_cbranch_execz .LBB108_20
.LBB108_13:                             ; =>This Inner Loop Header: Depth=1
	v_mul_hi_u32 v22, v11, s33
	s_waitcnt lgkmcnt(0)
	v_mul_lo_u32 v23, v22, s21
	v_add_u32_e32 v24, 1, v22
	v_sub_u32_e32 v23, v11, v23
	v_cmp_le_u32_e64 s[4:5], s21, v23
	v_cndmask_b32_e64 v22, v22, v24, s[4:5]
	v_subrev_u32_e32 v24, s21, v23
	v_cndmask_b32_e64 v23, v23, v24, s[4:5]
	v_add_u32_e32 v24, 1, v22
	v_cmp_le_u32_e64 s[4:5], s21, v23
	v_cndmask_b32_e64 v22, v22, v24, s[4:5]
	v_xor_b32_e32 v22, s41, v22
	v_subrev_u32_e32 v22, s41, v22
	v_add_u32_e32 v23, s40, v22
	v_sub_u32_e32 v24, 0, v23
	v_max_i32_e32 v24, v23, v24
	v_mul_hi_u32 v25, v24, v10
	v_ashrrev_i32_e32 v23, 31, v23
	v_cmp_ge_i32_e64 s[6:7], s16, v22
	v_mul_lo_u32 v25, v25, s15
	v_sub_u32_e32 v24, v24, v25
	v_subrev_u32_e32 v25, s15, v24
	v_cmp_le_u32_e64 s[4:5], s15, v24
	v_cndmask_b32_e64 v24, v24, v25, s[4:5]
	v_subrev_u32_e32 v25, s15, v24
	v_cmp_le_u32_e64 s[4:5], s15, v24
	v_cndmask_b32_e64 v24, v24, v25, s[4:5]
	v_xor_b32_e32 v24, v24, v23
	v_sub_u32_e32 v23, v24, v23
	v_cmp_ne_u32_e64 s[4:5], 0, v23
	s_and_b64 s[4:5], s[4:5], s[6:7]
	s_and_saveexec_b64 s[6:7], s[4:5]
	s_xor_b64 s[4:5], exec, s[6:7]
	s_cbranch_execz .LBB108_17
; %bb.14:                               ;   in Loop: Header=BB108_13 Depth=1
	s_and_saveexec_b64 s[6:7], vcc
; %bb.15:                               ;   in Loop: Header=BB108_13 Depth=1
	ds_write_b32 v13, v14
; %bb.16:                               ;   in Loop: Header=BB108_13 Depth=1
	s_or_b64 exec, exec, s[6:7]
.LBB108_17:                             ;   in Loop: Header=BB108_13 Depth=1
	s_andn2_saveexec_b64 s[6:7], s[4:5]
	s_cbranch_execz .LBB108_12
; %bb.18:                               ;   in Loop: Header=BB108_13 Depth=1
	global_load_dword v22, v[1:2], off
	s_waitcnt vmcnt(0)
	v_mad_i64_i32 v[22:23], s[4:5], v22, s30, 0
	v_lshlrev_b64 v[22:23], 1, v[22:23]
	v_add_co_u32_e64 v22, s[4:5], v6, v22
	v_addc_co_u32_e64 v23, s[4:5], v7, v23, s[4:5]
	global_load_ushort v24, v[22:23], off offset:128
	global_load_ushort v25, v[22:23], off offset:256
	;; [unrolled: 1-line block ×3, first 2 shown]
	global_load_ushort v27, v[22:23], off
	ds_read_b64 v[22:23], v9
	v_cmp_lt_i32_e64 s[4:5], v19, v18
	v_cndmask_b32_e64 v28, v17, v19, s[4:5]
	v_lshlrev_b32_e32 v28, 2, v28
	v_cmp_lt_i32_e64 s[4:5], v20, v18
	s_waitcnt lgkmcnt(0)
	v_lshlrev_b32_e32 v29, 16, v22
	v_and_b32_e32 v22, 0xffff0000, v22
	v_lshlrev_b32_e32 v30, 16, v23
	v_and_b32_e32 v23, 0xffff0000, v23
	s_waitcnt vmcnt(3)
	v_lshlrev_b32_e32 v24, 16, v24
	v_mul_f32_e32 v22, v22, v24
	s_waitcnt vmcnt(2)
	v_lshlrev_b32_e32 v25, 16, v25
	s_waitcnt vmcnt(0)
	v_lshlrev_b32_e32 v27, 16, v27
	v_fmac_f32_e32 v22, v29, v27
	v_fmac_f32_e32 v22, v30, v25
	v_lshlrev_b32_e32 v24, 16, v26
	v_fmac_f32_e32 v22, v23, v24
	ds_bpermute_b32 v23, v28, v22
	v_cndmask_b32_e64 v24, v17, v20, s[4:5]
	v_lshlrev_b32_e32 v24, 2, v24
	s_waitcnt lgkmcnt(0)
	v_add_f32_e32 v22, v22, v23
	ds_bpermute_b32 v23, v24, v22
	v_xor_b32_e32 v24, 1, v17
	v_cmp_lt_i32_e64 s[4:5], v24, v18
	v_cndmask_b32_e64 v24, v17, v24, s[4:5]
	v_lshlrev_b32_e32 v24, 2, v24
	s_waitcnt lgkmcnt(0)
	v_add_f32_e32 v22, v22, v23
	ds_bpermute_b32 v23, v24, v22
	s_and_saveexec_b64 s[38:39], vcc
	s_cbranch_execz .LBB108_11
; %bb.19:                               ;   in Loop: Header=BB108_13 Depth=1
	v_add_u32_e32 v24, v12, v11
	v_cvt_f32_i32_e32 v24, v24
	s_waitcnt lgkmcnt(0)
	v_add_f32_e32 v22, v22, v23
	v_add_u32_e32 v25, v5, v11
	v_cmp_gt_i32_e64 s[4:5], s11, v25
	v_mul_f32_e32 v23, s43, v24
	v_cndmask_b32_e64 v23, 0, v23, s[2:3]
	v_fmac_f32_e32 v23, s31, v22
	v_cndmask_b32_e64 v22, 0, v23, s[4:5]
	ds_write_b32 v13, v22
	v_max_f32_e32 v22, v8, v8
	v_max_f32_e32 v22, v22, v23
	v_cndmask_b32_e64 v8, v8, v22, s[4:5]
	s_branch .LBB108_11
.LBB108_20:
	s_or_b64 exec, exec, s[36:37]
.LBB108_21:
	s_or_b64 exec, exec, s[34:35]
	v_mbcnt_hi_u32_b32 v1, -1, v4
	v_and_b32_e32 v10, 64, v1
	v_add_u32_e32 v2, 64, v10
	v_xor_b32_e32 v4, 32, v1
	v_cmp_lt_i32_e32 vcc, v4, v2
	v_cndmask_b32_e32 v4, v1, v4, vcc
	v_lshlrev_b32_e32 v5, 2, v4
	ds_bpermute_b32 v4, v5, v8
	v_xor_b32_e32 v7, 16, v1
	v_max_f32_e32 v6, v8, v8
	v_cmp_lt_i32_e32 vcc, v7, v2
	v_xor_b32_e32 v8, 8, v1
	s_waitcnt lgkmcnt(0)
	v_max_f32_e32 v4, v4, v4
	v_max_f32_e32 v4, v6, v4
	v_cndmask_b32_e32 v6, v1, v7, vcc
	v_lshlrev_b32_e32 v7, 2, v6
	ds_bpermute_b32 v6, v7, v4
	v_cmp_lt_i32_e32 vcc, v8, v2
	v_and_b32_e32 v17, 63, v0
	s_waitcnt lgkmcnt(0)
	v_max_f32_e32 v6, v6, v6
	v_max_f32_e32 v6, v4, v6
	v_cndmask_b32_e32 v4, v1, v8, vcc
	v_lshlrev_b32_e32 v9, 2, v4
	ds_bpermute_b32 v8, v9, v6
	v_cmp_eq_u32_e32 vcc, 0, v17
	v_lshlrev_b32_e32 v4, 2, v15
	s_and_saveexec_b64 s[2:3], vcc
	s_cbranch_execz .LBB108_23
; %bb.22:
	s_waitcnt lgkmcnt(0)
	v_max_f32_e32 v8, v8, v8
	v_max_f32_e32 v6, v6, v6
	;; [unrolled: 1-line block ×3, first 2 shown]
	ds_write_b32 v4, v6 offset:64
.LBB108_23:
	s_or_b64 exec, exec, s[2:3]
	v_cmp_gt_u32_e64 s[2:3], 2, v17
	v_mov_b32_e32 v11, 0xff7fffff
	v_lshlrev_b32_e32 v6, 2, v17
	s_waitcnt lgkmcnt(0)
	s_barrier
	s_and_saveexec_b64 s[4:5], s[2:3]
; %bb.24:
	ds_read_b32 v11, v6 offset:64
; %bb.25:
	s_or_b64 exec, exec, s[4:5]
	v_xor_b32_e32 v8, 1, v1
	v_cmp_lt_i32_e64 s[4:5], v8, v2
	v_cndmask_b32_e64 v8, v1, v8, s[4:5]
	v_lshlrev_b32_e32 v8, 2, v8
	s_waitcnt lgkmcnt(0)
	ds_bpermute_b32 v12, v8, v11
	v_max_f32_e32 v11, v11, v11
	v_lshlrev_b32_e32 v10, 2, v10
	s_lshl_b32 s4, s42, 3
	s_min_i32 s15, s4, s11
	s_waitcnt lgkmcnt(0)
	v_max_f32_e32 v12, v12, v12
	v_max_f32_e32 v11, v11, v12
	ds_bpermute_b32 v11, v10, v11
	v_cmp_gt_i32_e64 s[4:5], s15, v0
	v_mov_b32_e32 v10, 0
	s_and_saveexec_b64 s[30:31], s[4:5]
	s_cbranch_execz .LBB108_29
; %bb.26:
	v_mov_b32_e32 v10, 0x50
	v_lshl_add_u32 v12, v0, 2, v10
	v_mov_b32_e32 v10, 0
	s_mov_b64 s[34:35], 0
	v_mov_b32_e32 v13, v0
.LBB108_27:                             ; =>This Inner Loop Header: Depth=1
	ds_read_b32 v14, v12
	v_add_u32_e32 v13, 0x80, v13
	v_cmp_le_i32_e64 s[6:7], s15, v13
	s_or_b64 s[34:35], s[6:7], s[34:35]
	s_waitcnt lgkmcnt(0)
	v_sub_f32_e32 v14, v14, v11
	v_mul_f32_e32 v14, 0x3fb8aa3b, v14
	v_exp_f32_e32 v14, v14
	ds_write_b32 v12, v14
	v_add_f32_e32 v10, v10, v14
	v_add_u32_e32 v12, 0x200, v12
	s_andn2_b64 exec, exec, s[34:35]
	s_cbranch_execnz .LBB108_27
; %bb.28:
	s_or_b64 exec, exec, s[34:35]
.LBB108_29:
	s_or_b64 exec, exec, s[30:31]
	ds_bpermute_b32 v5, v5, v10
	s_waitcnt lgkmcnt(0)
	v_add_f32_e32 v5, v10, v5
	ds_bpermute_b32 v7, v7, v5
	s_waitcnt lgkmcnt(0)
	v_add_f32_e32 v5, v5, v7
	ds_bpermute_b32 v7, v9, v5
	v_xor_b32_e32 v9, 4, v1
	v_cmp_lt_i32_e64 s[6:7], v9, v2
	v_cndmask_b32_e64 v9, v1, v9, s[6:7]
	v_lshlrev_b32_e32 v9, 2, v9
	s_waitcnt lgkmcnt(0)
	v_add_f32_e32 v5, v5, v7
	ds_bpermute_b32 v7, v9, v5
	v_xor_b32_e32 v9, 2, v1
	v_cmp_lt_i32_e64 s[6:7], v9, v2
	v_cndmask_b32_e64 v2, v1, v9, s[6:7]
	v_lshlrev_b32_e32 v2, 2, v2
	s_waitcnt lgkmcnt(0)
	v_add_f32_e32 v5, v5, v7
	ds_bpermute_b32 v2, v2, v5
	s_waitcnt lgkmcnt(0)
	v_add_f32_e32 v2, v5, v2
	ds_bpermute_b32 v5, v8, v2
	s_waitcnt lgkmcnt(0)
	v_add_f32_e32 v2, v2, v5
	s_and_saveexec_b64 s[6:7], vcc
; %bb.30:
	ds_write_b32 v4, v2 offset:72
; %bb.31:
	s_or_b64 exec, exec, s[6:7]
	s_waitcnt lgkmcnt(0)
	s_barrier
	s_and_saveexec_b64 s[6:7], s[2:3]
; %bb.32:
	ds_read_b32 v2, v6 offset:72
; %bb.33:
	s_or_b64 exec, exec, s[6:7]
	s_waitcnt lgkmcnt(0)
	ds_bpermute_b32 v4, v8, v2
	v_lshlrev_b32_e32 v1, 2, v1
	v_and_b32_e32 v1, 0x100, v1
	s_waitcnt lgkmcnt(0)
	v_add_f32_e32 v2, v2, v4
	ds_bpermute_b32 v1, v1, v2
	s_and_saveexec_b64 s[2:3], s[4:5]
	s_cbranch_execz .LBB108_36
; %bb.34:
	s_waitcnt lgkmcnt(0)
	v_add_f32_e32 v2, 0x358637bd, v1
	v_div_scale_f32 v1, s[4:5], v2, v2, 1.0
	v_div_scale_f32 v4, vcc, 1.0, v2, 1.0
	s_mov_b64 s[4:5], 0
	v_rcp_f32_e32 v5, v1
	v_fma_f32 v6, -v1, v5, 1.0
	v_fmac_f32_e32 v5, v6, v5
	v_mul_f32_e32 v6, v4, v5
	v_fma_f32 v7, -v1, v6, v4
	v_fmac_f32_e32 v6, v7, v5
	v_fma_f32 v1, -v1, v6, v4
	v_div_fmas_f32 v4, v1, v5, v6
	v_mov_b32_e32 v1, 0x50
	v_lshl_add_u32 v1, v0, 2, v1
	v_div_fixup_f32 v2, v4, v2, 1.0
	v_mov_b32_e32 v4, v0
.LBB108_35:                             ; =>This Inner Loop Header: Depth=1
	ds_read_b32 v5, v1
	v_add_u32_e32 v4, 0x80, v4
	v_cmp_le_i32_e32 vcc, s15, v4
	s_or_b64 s[4:5], vcc, s[4:5]
	s_waitcnt lgkmcnt(0)
	v_mul_f32_e32 v5, v2, v5
	ds_write_b32 v1, v5
	v_add_u32_e32 v1, 0x200, v1
	s_andn2_b64 exec, exec, s[4:5]
	s_cbranch_execnz .LBB108_35
.LBB108_36:
	s_or_b64 exec, exec, s[2:3]
	v_mov_b32_e32 v18, 0
	s_waitcnt lgkmcnt(0)
	s_barrier
	s_and_saveexec_b64 s[4:5], s[0:1]
	s_cbranch_execz .LBB108_46
; %bb.37:
	s_ashr_i32 s15, s14, 31
	s_sub_i32 s30, s12, s17
	s_lshl_b64 s[0:1], s[14:15], 1
	s_add_u32 s2, s28, s0
	s_addc_u32 s3, s29, s1
	s_abs_i32 s18, s18
	v_cvt_f32_u32_e32 v1, s18
	s_sub_i32 s6, 0, s18
	v_lshlrev_b32_e32 v2, 4, v17
	s_add_i32 s31, s42, -1
	v_rcp_iflag_f32_e32 v1, v1
	v_mov_b32_e32 v5, s3
	v_add_co_u32_e32 v20, vcc, s2, v2
	v_mul_f32_e32 v1, 0x4f7ffffe, v1
	v_cvt_u32_f32_e32 v1, v1
	s_lshl_b64 s[2:3], s[26:27], 2
	s_add_u32 s2, s24, s2
	v_and_b32_e32 v3, 60, v3
	v_mul_lo_u32 v4, s6, v1
	v_addc_co_u32_e32 v21, vcc, 0, v5, vcc
	s_addc_u32 s3, s25, s3
	v_mul_hi_u32 v4, v1, v4
	v_add_co_u32_e32 v13, vcc, s2, v3
	s_mov_b32 s28, s13
	v_add_u32_e32 v22, v1, v4
	v_mov_b32_e32 v1, s3
	v_addc_co_u32_e32 v14, vcc, 0, v1, vcc
	v_mov_b32_e32 v1, 0x50
	v_cmp_gt_u32_e64 s[0:1], 32, v17
	v_mov_b32_e32 v19, 0
	s_mov_b32 s29, s11
	v_lshl_add_u32 v23, v15, 5, v1
	s_mov_b64 s[6:7], 0
	s_mov_b32 s24, 0x5040100
	s_movk_i32 s25, 0x7fff
	v_mov_b32_e32 v18, 0
	s_branch .LBB108_41
.LBB108_38:                             ;   in Loop: Header=BB108_41 Depth=1
	s_or_b64 exec, exec, s[16:17]
	s_waitcnt lgkmcnt(1)
	v_bfe_u32 v24, v9, 16, 1
	v_add3_u32 v24, v24, v9, s25
	v_or_b32_e32 v25, 0x400000, v9
	v_cmp_u_f32_e32 vcc, v9, v9
	v_cndmask_b32_e32 v9, v24, v25, vcc
	v_bfe_u32 v24, v10, 16, 1
	v_add3_u32 v24, v24, v10, s25
	v_or_b32_e32 v25, 0x400000, v10
	v_cmp_u_f32_e32 vcc, v10, v10
	v_cndmask_b32_e32 v10, v24, v25, vcc
	;; [unrolled: 5-line block ×4, first 2 shown]
	s_waitcnt lgkmcnt(0)
	v_bfe_u32 v24, v5, 16, 1
	v_add3_u32 v24, v24, v5, s25
	v_or_b32_e32 v25, 0x400000, v5
	v_cmp_u_f32_e32 vcc, v5, v5
	v_cndmask_b32_e32 v5, v24, v25, vcc
	v_bfe_u32 v24, v6, 16, 1
	v_add3_u32 v24, v24, v6, s25
	v_or_b32_e32 v25, 0x400000, v6
	v_cmp_u_f32_e32 vcc, v6, v6
	v_cndmask_b32_e32 v6, v24, v25, vcc
	;; [unrolled: 5-line block ×4, first 2 shown]
	v_and_b32_e32 v9, 0xffff0000, v9
	s_waitcnt vmcnt(0)
	v_lshlrev_b32_e32 v24, 16, v1
	v_mul_f32_e32 v9, v9, v24
	v_and_b32_e32 v10, 0xffff0000, v10
	v_and_b32_e32 v1, 0xffff0000, v1
	v_bfe_u32 v24, v9, 16, 1
	v_mul_f32_e32 v1, v10, v1
	v_add3_u32 v24, v24, v9, s25
	v_or_b32_e32 v25, 0x400000, v9
	v_cmp_u_f32_e32 vcc, v9, v9
	v_bfe_u32 v10, v1, 16, 1
	v_cndmask_b32_e32 v9, v24, v25, vcc
	v_add3_u32 v10, v10, v1, s25
	v_or_b32_e32 v24, 0x400000, v1
	v_cmp_u_f32_e32 vcc, v1, v1
	v_cndmask_b32_e32 v1, v10, v24, vcc
	v_and_b32_e32 v10, 0xffff0000, v11
	v_lshlrev_b32_e32 v11, 16, v2
	v_mul_f32_e32 v10, v10, v11
	v_bfe_u32 v11, v10, 16, 1
	v_add3_u32 v11, v11, v10, s25
	v_or_b32_e32 v24, 0x400000, v10
	v_cmp_u_f32_e32 vcc, v10, v10
	v_cndmask_b32_e32 v10, v11, v24, vcc
	v_and_b32_e32 v11, 0xffff0000, v12
	v_and_b32_e32 v2, 0xffff0000, v2
	v_mul_f32_e32 v2, v11, v2
	v_bfe_u32 v11, v2, 16, 1
	v_add3_u32 v11, v11, v2, s25
	v_or_b32_e32 v12, 0x400000, v2
	v_cmp_u_f32_e32 vcc, v2, v2
	v_cndmask_b32_e32 v2, v11, v12, vcc
	v_and_b32_e32 v5, 0xffff0000, v5
	v_lshlrev_b32_e32 v11, 16, v3
	v_mul_f32_e32 v5, v5, v11
	v_and_b32_e32 v6, 0xffff0000, v6
	v_and_b32_e32 v3, 0xffff0000, v3
	v_bfe_u32 v11, v5, 16, 1
	v_mul_f32_e32 v3, v6, v3
	v_add3_u32 v11, v11, v5, s25
	v_or_b32_e32 v12, 0x400000, v5
	v_cmp_u_f32_e32 vcc, v5, v5
	v_bfe_u32 v6, v3, 16, 1
	v_cndmask_b32_e32 v5, v11, v12, vcc
	v_add3_u32 v6, v6, v3, s25
	v_or_b32_e32 v11, 0x400000, v3
	v_cmp_u_f32_e32 vcc, v3, v3
	v_cndmask_b32_e32 v3, v6, v11, vcc
	v_and_b32_e32 v6, 0xffff0000, v7
	v_lshlrev_b32_e32 v7, 16, v4
	v_mul_f32_e32 v6, v6, v7
	v_bfe_u32 v7, v6, 16, 1
	v_add3_u32 v7, v7, v6, s25
	v_or_b32_e32 v11, 0x400000, v6
	v_cmp_u_f32_e32 vcc, v6, v6
	v_cndmask_b32_e32 v6, v7, v11, vcc
	v_and_b32_e32 v7, 0xffff0000, v8
	v_and_b32_e32 v4, 0xffff0000, v4
	v_mul_f32_e32 v4, v7, v4
	v_bfe_u32 v7, v4, 16, 1
	v_add3_u32 v7, v7, v4, s25
	v_or_b32_e32 v8, 0x400000, v4
	v_cmp_u_f32_e32 vcc, v4, v4
	v_cndmask_b32_e32 v4, v7, v8, vcc
	v_and_b32_e32 v1, 0xffff0000, v1
	v_and_b32_e32 v7, 0xffff0000, v9
	v_add_f32_e32 v1, v7, v1
	v_and_b32_e32 v2, 0xffff0000, v2
	v_and_b32_e32 v7, 0xffff0000, v10
	v_add_f32_e32 v2, v7, v2
	v_add_f32_e32 v1, v2, v1
	v_and_b32_e32 v2, 0xffff0000, v3
	v_and_b32_e32 v3, 0xffff0000, v5
	v_add_f32_e32 v2, v3, v2
	v_add_f32_e32 v1, v2, v1
	v_and_b32_e32 v2, 0xffff0000, v4
	v_and_b32_e32 v3, 0xffff0000, v6
	v_add_f32_e32 v2, v3, v2
	v_add_f32_e32 v1, v2, v1
	v_add_f32_e32 v18, v18, v1
.LBB108_39:                             ;   in Loop: Header=BB108_41 Depth=1
	s_or_b64 exec, exec, s[14:15]
.LBB108_40:                             ;   in Loop: Header=BB108_41 Depth=1
	s_or_b64 exec, exec, s[12:13]
	v_add_co_u32_e32 v13, vcc, 8, v13
	v_add_u32_e32 v15, 2, v15
	v_addc_co_u32_e32 v14, vcc, 0, v14, vcc
	v_cmp_le_i32_e32 vcc, s42, v15
	v_add_u32_e32 v16, 16, v16
	s_or_b64 s[6:7], vcc, s[6:7]
	v_add_u32_e32 v23, 64, v23
	s_andn2_b64 exec, exec, s[6:7]
	s_cbranch_execz .LBB108_45
.LBB108_41:                             ; =>This Inner Loop Header: Depth=1
	v_mul_hi_u32 v1, v16, s33
	v_mul_lo_u32 v2, v1, s21
	v_add_u32_e32 v3, 1, v1
	v_sub_u32_e32 v2, v16, v2
	v_cmp_le_u32_e32 vcc, s21, v2
	v_cndmask_b32_e32 v1, v1, v3, vcc
	v_subrev_u32_e32 v3, s21, v2
	v_cndmask_b32_e32 v2, v2, v3, vcc
	v_add_u32_e32 v3, 1, v1
	v_cmp_le_u32_e32 vcc, s21, v2
	v_cndmask_b32_e32 v1, v1, v3, vcc
	v_xor_b32_e32 v1, s41, v1
	v_subrev_u32_e32 v1, s41, v1
	v_add_u32_e32 v2, s40, v1
	v_sub_u32_e32 v3, 0, v2
	v_max_i32_e32 v3, v2, v3
	v_mul_hi_u32 v4, v3, v22
	v_ashrrev_i32_e32 v2, 31, v2
	v_cmp_lt_i32_e64 s[2:3], s30, v1
	v_mul_lo_u32 v4, v4, s18
	v_sub_u32_e32 v3, v3, v4
	v_subrev_u32_e32 v4, s18, v3
	v_cmp_le_u32_e32 vcc, s18, v3
	v_cndmask_b32_e32 v3, v3, v4, vcc
	v_subrev_u32_e32 v4, s18, v3
	v_cmp_le_u32_e32 vcc, s18, v3
	v_cndmask_b32_e32 v3, v3, v4, vcc
	v_xor_b32_e32 v3, v3, v2
	v_sub_u32_e32 v2, v3, v2
	v_cmp_eq_u32_e32 vcc, 0, v2
	s_or_b64 s[2:3], vcc, s[2:3]
	s_and_saveexec_b64 s[12:13], s[2:3]
	s_cbranch_execz .LBB108_40
; %bb.42:                               ;   in Loop: Header=BB108_41 Depth=1
	s_and_saveexec_b64 s[14:15], s[0:1]
	s_cbranch_execz .LBB108_39
; %bb.43:                               ;   in Loop: Header=BB108_41 Depth=1
	global_load_dword v1, v[13:14], off
	s_waitcnt vmcnt(0)
	v_mad_i64_i32 v[1:2], s[2:3], v1, s28, 0
	v_lshlrev_b64 v[1:2], 1, v[1:2]
	v_add_co_u32_e32 v1, vcc, v20, v1
	v_addc_co_u32_e32 v2, vcc, v21, v2, vcc
	global_load_dwordx4 v[1:4], v[1:2], off
	ds_read2_b64 v[9:12], v23 offset1:1
	ds_read2_b64 v[5:8], v23 offset0:2 offset1:3
	v_cmp_eq_u32_e32 vcc, s31, v15
	s_and_saveexec_b64 s[16:17], vcc
	s_cbranch_execz .LBB108_38
; %bb.44:                               ;   in Loop: Header=BB108_41 Depth=1
	v_add_u32_e32 v24, 1, v16
	v_cmp_gt_i32_e32 vcc, s29, v24
	s_waitcnt vmcnt(0)
	v_cndmask_b32_sdwa v24, v19, v1, vcc dst_sel:DWORD dst_unused:UNUSED_PAD src0_sel:DWORD src1_sel:WORD_1
	v_cmp_gt_i32_e32 vcc, s11, v16
	v_cndmask_b32_e32 v1, 0, v1, vcc
	v_perm_b32 v1, v24, v1, s24
	v_or_b32_e32 v24, 3, v16
	v_or_b32_e32 v25, 2, v16
	v_cmp_gt_i32_e32 vcc, s29, v24
	v_cmp_gt_i32_e64 s[2:3], s11, v25
	v_cndmask_b32_e64 v24, 0, v2, s[2:3]
	v_cndmask_b32_sdwa v2, v19, v2, vcc dst_sel:DWORD dst_unused:UNUSED_PAD src0_sel:DWORD src1_sel:WORD_1
	v_perm_b32 v2, v2, v24, s24
	v_or_b32_e32 v24, 5, v16
	v_or_b32_e32 v25, 4, v16
	v_cmp_gt_i32_e32 vcc, s29, v24
	v_cmp_gt_i32_e64 s[2:3], s11, v25
	v_cndmask_b32_e64 v24, 0, v3, s[2:3]
	v_cndmask_b32_sdwa v3, v19, v3, vcc dst_sel:DWORD dst_unused:UNUSED_PAD src0_sel:DWORD src1_sel:WORD_1
	;; [unrolled: 7-line block ×3, first 2 shown]
	v_perm_b32 v4, v4, v24, s24
	s_branch .LBB108_38
.LBB108_45:
	s_or_b64 exec, exec, s[6:7]
.LBB108_46:
	s_or_b64 exec, exec, s[4:5]
	v_and_b32_e32 v1, 0x3c0, v0
	v_cmp_eq_u32_e64 s[0:1], 64, v1
	v_cmp_gt_u32_e64 s[2:3], 32, v17
	v_mov_b32_e32 v1, 0x50
	v_cmp_lt_u32_e32 vcc, 31, v17
	v_lshl_add_u32 v1, v17, 2, v1
	s_and_b64 s[2:3], s[0:1], s[2:3]
	s_barrier
	s_and_saveexec_b64 s[0:1], s[2:3]
; %bb.47:
	ds_write_b32 v1, v18
; %bb.48:
	s_or_b64 exec, exec, s[0:1]
	v_cmp_gt_u32_e64 s[0:1], 64, v0
	s_xor_b64 s[2:3], vcc, -1
	s_and_b64 s[2:3], s[0:1], s[2:3]
	s_waitcnt lgkmcnt(0)
	s_barrier
	s_and_saveexec_b64 s[0:1], s[2:3]
	s_cbranch_execz .LBB108_50
; %bb.49:
	ds_read_b32 v1, v1
	s_waitcnt lgkmcnt(0)
	v_add_f32_e32 v18, v18, v1
.LBB108_50:
	s_or_b64 exec, exec, s[0:1]
	v_cmp_gt_u32_e32 vcc, 64, v0
	v_cmp_gt_u32_e64 s[0:1], 32, v17
	s_and_b64 s[0:1], vcc, s[0:1]
	s_barrier
	s_and_saveexec_b64 s[2:3], s[0:1]
	s_cbranch_execz .LBB108_52
; %bb.51:
	s_mul_i32 s0, s10, s19
	s_mul_i32 s0, s0, s9
	s_lshl_b32 s0, s0, 5
	s_ashr_i32 s1, s0, 31
	s_lshl_b64 s[0:1], s[0:1], 1
	s_add_u32 s2, s22, s0
	s_mul_i32 s0, s19, s20
	s_addc_u32 s3, s23, s1
	s_ashr_i32 s1, s0, 31
	s_lshl_b64 s[0:1], s[0:1], 1
	s_add_u32 s2, s2, s0
	s_addc_u32 s3, s3, s1
	s_lshl_b32 s0, s8, 5
	s_ashr_i32 s1, s0, 31
	s_lshl_b64 s[0:1], s[0:1], 1
	s_add_u32 s0, s2, s0
	v_bfe_u32 v1, v18, 16, 1
	s_movk_i32 s2, 0x7fff
	v_add3_u32 v1, v1, v18, s2
	v_or_b32_e32 v2, 0x400000, v18
	v_cmp_u_f32_e32 vcc, v18, v18
	s_addc_u32 s1, s3, s1
	v_lshlrev_b32_e32 v0, 1, v17
	v_cndmask_b32_e32 v1, v1, v2, vcc
	global_store_short_d16_hi v0, v1, s[0:1]
.LBB108_52:
	s_endpgm
	.section	.rodata,"a",@progbits
	.p2align	6, 0x0
	.amdhsa_kernel _ZN4vllm25paged_attention_v1_kernelI14__hip_bfloat16S1_Li32ELi8ELi128ELNS_18Fp8KVCacheDataTypeE0ELb1EEEvPT_PKS3_PKT0_S9_ifPKiSB_iPKfiiiSD_SD_iiiii
		.amdhsa_group_segment_fixed_size 80
		.amdhsa_private_segment_fixed_size 0
		.amdhsa_kernarg_size 384
		.amdhsa_user_sgpr_count 6
		.amdhsa_user_sgpr_private_segment_buffer 1
		.amdhsa_user_sgpr_dispatch_ptr 0
		.amdhsa_user_sgpr_queue_ptr 0
		.amdhsa_user_sgpr_kernarg_segment_ptr 1
		.amdhsa_user_sgpr_dispatch_id 0
		.amdhsa_user_sgpr_flat_scratch_init 0
		.amdhsa_user_sgpr_private_segment_size 0
		.amdhsa_uses_dynamic_stack 0
		.amdhsa_system_sgpr_private_segment_wavefront_offset 0
		.amdhsa_system_sgpr_workgroup_id_x 1
		.amdhsa_system_sgpr_workgroup_id_y 1
		.amdhsa_system_sgpr_workgroup_id_z 1
		.amdhsa_system_sgpr_workgroup_info 0
		.amdhsa_system_vgpr_workitem_id 0
		.amdhsa_next_free_vgpr 31
		.amdhsa_next_free_sgpr 44
		.amdhsa_reserve_vcc 1
		.amdhsa_reserve_flat_scratch 0
		.amdhsa_float_round_mode_32 0
		.amdhsa_float_round_mode_16_64 0
		.amdhsa_float_denorm_mode_32 3
		.amdhsa_float_denorm_mode_16_64 3
		.amdhsa_dx10_clamp 1
		.amdhsa_ieee_mode 1
		.amdhsa_fp16_overflow 0
		.amdhsa_exception_fp_ieee_invalid_op 0
		.amdhsa_exception_fp_denorm_src 0
		.amdhsa_exception_fp_ieee_div_zero 0
		.amdhsa_exception_fp_ieee_overflow 0
		.amdhsa_exception_fp_ieee_underflow 0
		.amdhsa_exception_fp_ieee_inexact 0
		.amdhsa_exception_int_div_zero 0
	.end_amdhsa_kernel
	.section	.text._ZN4vllm25paged_attention_v1_kernelI14__hip_bfloat16S1_Li32ELi8ELi128ELNS_18Fp8KVCacheDataTypeE0ELb1EEEvPT_PKS3_PKT0_S9_ifPKiSB_iPKfiiiSD_SD_iiiii,"axG",@progbits,_ZN4vllm25paged_attention_v1_kernelI14__hip_bfloat16S1_Li32ELi8ELi128ELNS_18Fp8KVCacheDataTypeE0ELb1EEEvPT_PKS3_PKT0_S9_ifPKiSB_iPKfiiiSD_SD_iiiii,comdat
.Lfunc_end108:
	.size	_ZN4vllm25paged_attention_v1_kernelI14__hip_bfloat16S1_Li32ELi8ELi128ELNS_18Fp8KVCacheDataTypeE0ELb1EEEvPT_PKS3_PKT0_S9_ifPKiSB_iPKfiiiSD_SD_iiiii, .Lfunc_end108-_ZN4vllm25paged_attention_v1_kernelI14__hip_bfloat16S1_Li32ELi8ELi128ELNS_18Fp8KVCacheDataTypeE0ELb1EEEvPT_PKS3_PKT0_S9_ifPKiSB_iPKfiiiSD_SD_iiiii
                                        ; -- End function
	.set _ZN4vllm25paged_attention_v1_kernelI14__hip_bfloat16S1_Li32ELi8ELi128ELNS_18Fp8KVCacheDataTypeE0ELb1EEEvPT_PKS3_PKT0_S9_ifPKiSB_iPKfiiiSD_SD_iiiii.num_vgpr, 31
	.set _ZN4vllm25paged_attention_v1_kernelI14__hip_bfloat16S1_Li32ELi8ELi128ELNS_18Fp8KVCacheDataTypeE0ELb1EEEvPT_PKS3_PKT0_S9_ifPKiSB_iPKfiiiSD_SD_iiiii.num_agpr, 0
	.set _ZN4vllm25paged_attention_v1_kernelI14__hip_bfloat16S1_Li32ELi8ELi128ELNS_18Fp8KVCacheDataTypeE0ELb1EEEvPT_PKS3_PKT0_S9_ifPKiSB_iPKfiiiSD_SD_iiiii.numbered_sgpr, 44
	.set _ZN4vllm25paged_attention_v1_kernelI14__hip_bfloat16S1_Li32ELi8ELi128ELNS_18Fp8KVCacheDataTypeE0ELb1EEEvPT_PKS3_PKT0_S9_ifPKiSB_iPKfiiiSD_SD_iiiii.num_named_barrier, 0
	.set _ZN4vllm25paged_attention_v1_kernelI14__hip_bfloat16S1_Li32ELi8ELi128ELNS_18Fp8KVCacheDataTypeE0ELb1EEEvPT_PKS3_PKT0_S9_ifPKiSB_iPKfiiiSD_SD_iiiii.private_seg_size, 0
	.set _ZN4vllm25paged_attention_v1_kernelI14__hip_bfloat16S1_Li32ELi8ELi128ELNS_18Fp8KVCacheDataTypeE0ELb1EEEvPT_PKS3_PKT0_S9_ifPKiSB_iPKfiiiSD_SD_iiiii.uses_vcc, 1
	.set _ZN4vllm25paged_attention_v1_kernelI14__hip_bfloat16S1_Li32ELi8ELi128ELNS_18Fp8KVCacheDataTypeE0ELb1EEEvPT_PKS3_PKT0_S9_ifPKiSB_iPKfiiiSD_SD_iiiii.uses_flat_scratch, 0
	.set _ZN4vllm25paged_attention_v1_kernelI14__hip_bfloat16S1_Li32ELi8ELi128ELNS_18Fp8KVCacheDataTypeE0ELb1EEEvPT_PKS3_PKT0_S9_ifPKiSB_iPKfiiiSD_SD_iiiii.has_dyn_sized_stack, 0
	.set _ZN4vllm25paged_attention_v1_kernelI14__hip_bfloat16S1_Li32ELi8ELi128ELNS_18Fp8KVCacheDataTypeE0ELb1EEEvPT_PKS3_PKT0_S9_ifPKiSB_iPKfiiiSD_SD_iiiii.has_recursion, 0
	.set _ZN4vllm25paged_attention_v1_kernelI14__hip_bfloat16S1_Li32ELi8ELi128ELNS_18Fp8KVCacheDataTypeE0ELb1EEEvPT_PKS3_PKT0_S9_ifPKiSB_iPKfiiiSD_SD_iiiii.has_indirect_call, 0
	.section	.AMDGPU.csdata,"",@progbits
; Kernel info:
; codeLenInByte = 4176
; TotalNumSgprs: 48
; NumVgprs: 31
; ScratchSize: 0
; MemoryBound: 0
; FloatMode: 240
; IeeeMode: 1
; LDSByteSize: 80 bytes/workgroup (compile time only)
; SGPRBlocks: 5
; VGPRBlocks: 7
; NumSGPRsForWavesPerEU: 48
; NumVGPRsForWavesPerEU: 31
; Occupancy: 8
; WaveLimiterHint : 1
; COMPUTE_PGM_RSRC2:SCRATCH_EN: 0
; COMPUTE_PGM_RSRC2:USER_SGPR: 6
; COMPUTE_PGM_RSRC2:TRAP_HANDLER: 0
; COMPUTE_PGM_RSRC2:TGID_X_EN: 1
; COMPUTE_PGM_RSRC2:TGID_Y_EN: 1
; COMPUTE_PGM_RSRC2:TGID_Z_EN: 1
; COMPUTE_PGM_RSRC2:TIDIG_COMP_CNT: 0
	.section	.text._ZN4vllm25paged_attention_v1_kernelI14__hip_bfloat16S1_Li64ELi8ELi128ELNS_18Fp8KVCacheDataTypeE0ELb1EEEvPT_PKS3_PKT0_S9_ifPKiSB_iPKfiiiSD_SD_iiiii,"axG",@progbits,_ZN4vllm25paged_attention_v1_kernelI14__hip_bfloat16S1_Li64ELi8ELi128ELNS_18Fp8KVCacheDataTypeE0ELb1EEEvPT_PKS3_PKT0_S9_ifPKiSB_iPKfiiiSD_SD_iiiii,comdat
	.protected	_ZN4vllm25paged_attention_v1_kernelI14__hip_bfloat16S1_Li64ELi8ELi128ELNS_18Fp8KVCacheDataTypeE0ELb1EEEvPT_PKS3_PKT0_S9_ifPKiSB_iPKfiiiSD_SD_iiiii ; -- Begin function _ZN4vllm25paged_attention_v1_kernelI14__hip_bfloat16S1_Li64ELi8ELi128ELNS_18Fp8KVCacheDataTypeE0ELb1EEEvPT_PKS3_PKT0_S9_ifPKiSB_iPKfiiiSD_SD_iiiii
	.globl	_ZN4vllm25paged_attention_v1_kernelI14__hip_bfloat16S1_Li64ELi8ELi128ELNS_18Fp8KVCacheDataTypeE0ELb1EEEvPT_PKS3_PKT0_S9_ifPKiSB_iPKfiiiSD_SD_iiiii
	.p2align	8
	.type	_ZN4vllm25paged_attention_v1_kernelI14__hip_bfloat16S1_Li64ELi8ELi128ELNS_18Fp8KVCacheDataTypeE0ELb1EEEvPT_PKS3_PKT0_S9_ifPKiSB_iPKfiiiSD_SD_iiiii,@function
_ZN4vllm25paged_attention_v1_kernelI14__hip_bfloat16S1_Li64ELi8ELi128ELNS_18Fp8KVCacheDataTypeE0ELb1EEEvPT_PKS3_PKT0_S9_ifPKiSB_iPKfiiiSD_SD_iiiii: ; @_ZN4vllm25paged_attention_v1_kernelI14__hip_bfloat16S1_Li64ELi8ELi128ELNS_18Fp8KVCacheDataTypeE0ELb1EEEvPT_PKS3_PKT0_S9_ifPKiSB_iPKfiiiSD_SD_iiiii
; %bb.0:
	s_load_dword s9, s[4:5], 0x80
	s_load_dwordx2 s[0:1], s[4:5], 0x30
	s_load_dwordx2 s[34:35], s[4:5], 0x20
	s_mov_b32 s20, s7
	s_ashr_i32 s21, s7, 31
	s_lshl_b64 s[2:3], s[20:21], 2
	s_waitcnt lgkmcnt(0)
	s_add_u32 s0, s0, s2
	s_addc_u32 s1, s1, s3
	s_abs_i32 s2, s34
	v_cvt_f32_u32_e32 v1, s2
	s_sub_i32 s10, 0, s2
	s_abs_i32 s7, s9
	s_xor_b32 s3, s9, s34
	v_rcp_iflag_f32_e32 v1, v1
	s_ashr_i32 s3, s3, 31
	s_mov_b32 s44, 0
	v_mul_f32_e32 v1, 0x4f7ffffe, v1
	v_cvt_u32_f32_e32 v1, v1
	v_readfirstlane_b32 s11, v1
	s_mul_i32 s10, s10, s11
	s_mul_hi_u32 s10, s11, s10
	s_add_i32 s11, s11, s10
	s_mul_hi_u32 s10, s7, s11
	s_mul_i32 s11, s10, s2
	s_sub_i32 s7, s7, s11
	s_add_i32 s11, s10, 1
	s_sub_i32 s12, s7, s2
	s_cmp_ge_u32 s7, s2
	s_cselect_b32 s10, s11, s10
	s_cselect_b32 s7, s12, s7
	s_add_i32 s11, s10, 1
	s_cmp_ge_u32 s7, s2
	s_cselect_b32 s2, s11, s10
	s_xor_b32 s2, s2, s3
	s_sub_i32 s16, s2, s3
	s_abs_i32 s10, s16
	v_cvt_f32_u32_e32 v1, s10
	s_load_dwordx2 s[2:3], s[4:5], 0x40
	s_sub_i32 s7, 0, s10
	s_abs_i32 s11, s6
	v_rcp_iflag_f32_e32 v1, v1
	v_mul_f32_e32 v1, 0x4f7ffffe, v1
	v_cvt_u32_f32_e32 v1, v1
	v_readfirstlane_b32 s12, v1
	s_mul_i32 s7, s7, s12
	s_mul_hi_u32 s7, s12, s7
	s_add_i32 s12, s12, s7
	s_waitcnt lgkmcnt(0)
	s_cmp_eq_u64 s[2:3], 0
	s_mul_hi_u32 s24, s11, s12
	s_cbranch_scc1 .LBB109_2
; %bb.1:
	s_ashr_i32 s7, s6, 31
	s_lshl_b64 s[12:13], s[6:7], 2
	s_add_u32 s2, s2, s12
	s_addc_u32 s3, s3, s13
	s_load_dword s44, s[2:3], 0x0
.LBB109_2:
	s_load_dword s21, s[0:1], 0x0
	s_load_dwordx4 s[12:15], s[4:5], 0x48
	s_ashr_i32 s7, s6, 31
	s_waitcnt lgkmcnt(0)
	s_ashr_i32 s15, s16, 31
	v_and_b32_e32 v1, 7, v0
	s_lshl_b32 s22, s6, 6
	v_cmp_gt_u32_e64 s[0:1], 64, v0
	s_and_saveexec_b64 s[2:3], s[0:1]
	s_cbranch_execz .LBB109_4
; %bb.3:
	s_load_dwordx2 s[16:17], s[4:5], 0x8
	s_mul_i32 s18, s12, s20
	s_ashr_i32 s19, s18, 31
	s_lshl_b64 s[18:19], s[18:19], 1
	v_lshlrev_b32_e32 v2, 1, v0
	s_waitcnt lgkmcnt(0)
	s_add_u32 s12, s16, s18
	s_addc_u32 s18, s17, s19
	s_ashr_i32 s23, s22, 31
	s_lshl_b64 s[16:17], s[22:23], 1
	s_add_u32 s16, s12, s16
	s_addc_u32 s17, s18, s17
	global_load_ushort v2, v2, s[16:17]
	v_lshrrev_b32_e32 v3, 2, v0
	v_and_b32_e32 v3, 0xfe, v3
	v_lshl_add_u32 v3, v1, 4, v3
	s_waitcnt vmcnt(0)
	ds_write_b16 v3, v2
.LBB109_4:
	s_or_b64 exec, exec, s[2:3]
	s_mul_i32 s3, s24, s10
	s_sub_i32 s3, s11, s3
	s_xor_b32 s2, s7, s15
	s_add_i32 s7, s24, 1
	s_sub_i32 s11, s3, s10
	s_load_dwordx4 s[16:19], s[4:5], 0x68
	s_load_dword s12, s[4:5], 0x78
	s_cmp_ge_u32 s3, s10
	s_cselect_b32 s7, s7, s24
	s_cselect_b32 s3, s11, s3
	s_add_i32 s11, s7, 1
	s_cmp_ge_u32 s3, s10
	s_cselect_b32 s3, s11, s7
	s_waitcnt lgkmcnt(0)
	s_abs_i32 s23, s19
	v_cvt_f32_u32_e32 v2, s23
	s_xor_b32 s3, s3, s2
	s_sub_i32 s7, s3, s2
	s_sub_i32 s2, 0, s23
	v_rcp_iflag_f32_e32 v2, v2
	s_add_i32 s15, s21, -1
	s_abs_i32 s10, s15
	v_mul_f32_e32 v2, 0x4f7ffffe, v2
	v_cvt_u32_f32_e32 v2, v2
	s_barrier
	v_readfirstlane_b32 s33, v2
	s_mul_i32 s2, s2, s33
	s_mul_hi_u32 s2, s33, s2
	s_add_i32 s33, s33, s2
	s_cmp_lt_i32 s12, 0
	s_mul_hi_u32 s11, s10, s33
	s_cbranch_scc0 .LBB109_6
; %bb.5:
	s_mul_i32 s2, s16, s34
	s_add_i32 s2, s7, s2
	s_mul_i32 s2, s2, s12
	s_sub_i32 s42, 1, s2
	s_mov_b64 s[2:3], 0
	s_branch .LBB109_7
.LBB109_6:
	s_mov_b64 s[2:3], -1
                                        ; implicit-def: $sgpr42
.LBB109_7:
	s_load_dwordx2 s[26:27], s[4:5], 0x28
	s_ashr_i32 s15, s15, 31
	s_andn2_b64 vcc, exec, s[2:3]
	s_ashr_i32 s19, s19, 31
	s_cbranch_vccnz .LBB109_9
; %bb.8:
	s_mul_i32 s2, s9, s16
	s_add_i32 s2, s2, s6
	s_mul_i32 s2, s2, s12
	s_add_i32 s42, s2, 1
.LBB109_9:
	s_load_dword s2, s[4:5], 0x38
	s_load_dwordx2 s[24:25], s[4:5], 0x0
	s_load_dwordx2 s[30:31], s[4:5], 0x18
	s_load_dword s16, s[4:5], 0x88
	s_xor_b32 s3, s15, s19
	s_waitcnt lgkmcnt(0)
	s_mul_i32 s28, s2, s20
	s_mul_i32 s2, s11, s23
	s_sub_i32 s2, s10, s2
	s_ashr_i32 s29, s28, 31
	s_add_i32 s6, s11, 1
	s_sub_i32 s10, s2, s23
	s_cmp_ge_u32 s2, s23
	s_cselect_b32 s6, s6, s11
	s_cselect_b32 s2, s10, s2
	s_add_i32 s10, s6, 1
	s_cmp_ge_u32 s2, s23
	s_cselect_b32 s2, s10, s6
	s_xor_b32 s2, s2, s3
	s_sub_i32 s12, s2, s3
	s_add_i32 s2, s21, 7
	s_ashr_i32 s3, s2, 31
	s_lshr_b32 s3, s3, 29
	s_add_i32 s2, s2, s3
	s_ashr_i32 s43, s2, 3
	v_lshrrev_b32_e32 v15, 6, v0
	v_cmp_gt_i32_e64 s[2:3], s43, v15
	v_mov_b32_e32 v8, 0xff7fffff
	s_mul_i32 s14, s7, s14
	v_lshrrev_b32_e32 v3, 4, v0
	v_lshlrev_b32_e32 v16, 3, v15
	v_mbcnt_lo_u32_b32 v4, -1, 0
	s_and_saveexec_b64 s[36:37], s[2:3]
	s_cbranch_execz .LBB109_21
; %bb.10:
	s_load_dwordx2 s[4:5], s[4:5], 0x10
	s_ashr_i32 s15, s14, 31
	s_sub_i32 s34, s12, s17
	s_lshl_b64 s[6:7], s[14:15], 1
	v_bfe_u32 v5, v0, 3, 3
	s_waitcnt lgkmcnt(0)
	s_add_u32 s4, s4, s6
	s_addc_u32 s5, s5, s7
	s_abs_i32 s15, s18
	v_cvt_f32_u32_e32 v2, s15
	v_mov_b32_e32 v8, s5
	s_sub_i32 s5, 0, s15
	v_lshlrev_b32_e32 v7, 4, v5
	v_rcp_iflag_f32_e32 v2, v2
	v_lshlrev_b32_e32 v6, 1, v1
	s_lshl_b64 s[6:7], s[28:29], 2
	s_add_u32 s6, s26, s6
	v_mul_f32_e32 v2, 0x4f7ffffe, v2
	v_cvt_u32_f32_e32 v2, v2
	v_cmp_eq_u32_e32 vcc, 0, v1
	s_addc_u32 s7, s27, s7
	v_mbcnt_hi_u32_b32 v17, -1, v4
	v_mul_lo_u32 v9, s5, v2
	v_add_co_u32_e64 v7, s[4:5], s4, v7
	v_addc_co_u32_e64 v8, s[4:5], 0, v8, s[4:5]
	v_mul_hi_u32 v10, v2, v9
	v_add_co_u32_e64 v6, s[4:5], v7, v6
	v_addc_co_u32_e64 v7, s[4:5], 0, v8, s[4:5]
	v_subrev_u32_e32 v8, s21, v5
	v_add_u32_e32 v12, 1, v8
	v_lshlrev_b32_e32 v8, 2, v5
	v_lshlrev_b32_e32 v9, 4, v1
	v_and_b32_e32 v1, 60, v3
	v_lshl_or_b32 v8, v15, 5, v8
	v_add_u32_e32 v10, v2, v10
	v_mov_b32_e32 v2, s7
	v_add_co_u32_e64 v1, s[6:7], s6, v1
	v_add_u32_e32 v13, 0x90, v8
	v_and_b32_e32 v8, 64, v17
	s_mov_b32 s45, s13
	v_cmp_neq_f32_e64 s[4:5], s44, 0
	v_addc_co_u32_e64 v2, s[6:7], 0, v2, s[6:7]
	v_lshlrev_b32_e32 v11, 3, v15
	v_mov_b32_e32 v14, 0xff7fffff
	s_mov_b64 s[38:39], 0
	v_add_u32_e32 v18, 64, v8
	v_xor_b32_e32 v19, 4, v17
	v_xor_b32_e32 v20, 2, v17
	v_mov_b32_e32 v8, 0xff7fffff
	v_mov_b32_e32 v21, v15
	s_branch .LBB109_13
.LBB109_11:                             ;   in Loop: Header=BB109_13 Depth=1
	s_or_b64 exec, exec, s[40:41]
.LBB109_12:                             ;   in Loop: Header=BB109_13 Depth=1
	s_or_b64 exec, exec, s[10:11]
	v_add_co_u32_e64 v1, s[6:7], 8, v1
	v_add_u32_e32 v21, 2, v21
	v_addc_co_u32_e64 v2, s[6:7], 0, v2, s[6:7]
	v_cmp_le_i32_e64 s[6:7], s43, v21
	v_add_u32_e32 v11, 16, v11
	s_or_b64 s[38:39], s[6:7], s[38:39]
	v_add_u32_e32 v13, 64, v13
	s_andn2_b64 exec, exec, s[38:39]
	s_cbranch_execz .LBB109_20
.LBB109_13:                             ; =>This Inner Loop Header: Depth=1
	v_mul_hi_u32 v22, v11, s33
	s_waitcnt lgkmcnt(0)
	v_mul_lo_u32 v23, v22, s23
	v_add_u32_e32 v24, 1, v22
	v_sub_u32_e32 v23, v11, v23
	v_cmp_le_u32_e64 s[6:7], s23, v23
	v_cndmask_b32_e64 v22, v22, v24, s[6:7]
	v_subrev_u32_e32 v24, s23, v23
	v_cndmask_b32_e64 v23, v23, v24, s[6:7]
	v_add_u32_e32 v24, 1, v22
	v_cmp_le_u32_e64 s[6:7], s23, v23
	v_cndmask_b32_e64 v22, v22, v24, s[6:7]
	v_xor_b32_e32 v22, s19, v22
	v_subrev_u32_e32 v22, s19, v22
	v_add_u32_e32 v23, s42, v22
	v_sub_u32_e32 v24, 0, v23
	v_max_i32_e32 v24, v23, v24
	v_mul_hi_u32 v25, v24, v10
	v_ashrrev_i32_e32 v23, 31, v23
	v_cmp_ge_i32_e64 s[10:11], s34, v22
	v_mul_lo_u32 v25, v25, s15
	v_sub_u32_e32 v24, v24, v25
	v_subrev_u32_e32 v25, s15, v24
	v_cmp_le_u32_e64 s[6:7], s15, v24
	v_cndmask_b32_e64 v24, v24, v25, s[6:7]
	v_subrev_u32_e32 v25, s15, v24
	v_cmp_le_u32_e64 s[6:7], s15, v24
	v_cndmask_b32_e64 v24, v24, v25, s[6:7]
	v_xor_b32_e32 v24, v24, v23
	v_sub_u32_e32 v23, v24, v23
	v_cmp_ne_u32_e64 s[6:7], 0, v23
	s_and_b64 s[6:7], s[6:7], s[10:11]
	s_and_saveexec_b64 s[10:11], s[6:7]
	s_xor_b64 s[6:7], exec, s[10:11]
	s_cbranch_execz .LBB109_17
; %bb.14:                               ;   in Loop: Header=BB109_13 Depth=1
	s_and_saveexec_b64 s[10:11], vcc
; %bb.15:                               ;   in Loop: Header=BB109_13 Depth=1
	ds_write_b32 v13, v14
; %bb.16:                               ;   in Loop: Header=BB109_13 Depth=1
	s_or_b64 exec, exec, s[10:11]
.LBB109_17:                             ;   in Loop: Header=BB109_13 Depth=1
	s_andn2_saveexec_b64 s[10:11], s[6:7]
	s_cbranch_execz .LBB109_12
; %bb.18:                               ;   in Loop: Header=BB109_13 Depth=1
	global_load_dword v22, v[1:2], off
	s_waitcnt vmcnt(0)
	v_mad_i64_i32 v[22:23], s[6:7], v22, s45, 0
	v_lshlrev_b64 v[22:23], 1, v[22:23]
	v_add_co_u32_e64 v22, s[6:7], v6, v22
	v_addc_co_u32_e64 v23, s[6:7], v7, v23, s[6:7]
	global_load_ushort v26, v[22:23], off offset:128
	global_load_ushort v27, v[22:23], off offset:256
	;; [unrolled: 1-line block ×7, first 2 shown]
	global_load_ushort v33, v[22:23], off
	ds_read_b128 v[22:25], v9
	v_cmp_lt_i32_e64 s[6:7], v19, v18
	v_cndmask_b32_e64 v34, v17, v19, s[6:7]
	v_lshlrev_b32_e32 v34, 2, v34
	v_cmp_lt_i32_e64 s[6:7], v20, v18
	s_waitcnt lgkmcnt(0)
	v_lshlrev_b32_e32 v35, 16, v22
	v_and_b32_e32 v22, 0xffff0000, v22
	v_lshlrev_b32_e32 v36, 16, v23
	v_and_b32_e32 v23, 0xffff0000, v23
	;; [unrolled: 2-line block ×4, first 2 shown]
	s_waitcnt vmcnt(7)
	v_lshlrev_b32_e32 v26, 16, v26
	v_mul_f32_e32 v22, v22, v26
	s_waitcnt vmcnt(6)
	v_lshlrev_b32_e32 v27, 16, v27
	s_waitcnt vmcnt(5)
	v_lshlrev_b32_e32 v28, 16, v28
	;; [unrolled: 2-line block ×6, first 2 shown]
	v_fmac_f32_e32 v22, v35, v33
	v_fmac_f32_e32 v22, v36, v27
	;; [unrolled: 1-line block ×6, first 2 shown]
	v_lshlrev_b32_e32 v23, 16, v32
	v_fmac_f32_e32 v22, v25, v23
	ds_bpermute_b32 v23, v34, v22
	v_cndmask_b32_e64 v24, v17, v20, s[6:7]
	v_lshlrev_b32_e32 v24, 2, v24
	s_waitcnt lgkmcnt(0)
	v_add_f32_e32 v22, v22, v23
	ds_bpermute_b32 v23, v24, v22
	v_xor_b32_e32 v24, 1, v17
	v_cmp_lt_i32_e64 s[6:7], v24, v18
	v_cndmask_b32_e64 v24, v17, v24, s[6:7]
	v_lshlrev_b32_e32 v24, 2, v24
	s_waitcnt lgkmcnt(0)
	v_add_f32_e32 v22, v22, v23
	ds_bpermute_b32 v23, v24, v22
	s_and_saveexec_b64 s[40:41], vcc
	s_cbranch_execz .LBB109_11
; %bb.19:                               ;   in Loop: Header=BB109_13 Depth=1
	v_add_u32_e32 v24, v12, v11
	v_cvt_f32_i32_e32 v24, v24
	s_waitcnt lgkmcnt(0)
	v_add_f32_e32 v22, v22, v23
	v_add_u32_e32 v25, v5, v11
	v_cmp_gt_i32_e64 s[6:7], s21, v25
	v_mul_f32_e32 v23, s44, v24
	v_cndmask_b32_e64 v23, 0, v23, s[4:5]
	v_fmac_f32_e32 v23, s35, v22
	v_cndmask_b32_e64 v22, 0, v23, s[6:7]
	ds_write_b32 v13, v22
	v_max_f32_e32 v22, v8, v8
	v_max_f32_e32 v22, v22, v23
	v_cndmask_b32_e64 v8, v8, v22, s[6:7]
	s_branch .LBB109_11
.LBB109_20:
	s_or_b64 exec, exec, s[38:39]
.LBB109_21:
	s_or_b64 exec, exec, s[36:37]
	v_mbcnt_hi_u32_b32 v1, -1, v4
	v_and_b32_e32 v10, 64, v1
	v_add_u32_e32 v2, 64, v10
	v_xor_b32_e32 v4, 32, v1
	v_cmp_lt_i32_e32 vcc, v4, v2
	v_cndmask_b32_e32 v4, v1, v4, vcc
	v_lshlrev_b32_e32 v5, 2, v4
	ds_bpermute_b32 v4, v5, v8
	v_xor_b32_e32 v7, 16, v1
	v_max_f32_e32 v6, v8, v8
	v_cmp_lt_i32_e32 vcc, v7, v2
	v_xor_b32_e32 v8, 8, v1
	s_waitcnt lgkmcnt(0)
	v_max_f32_e32 v4, v4, v4
	v_max_f32_e32 v4, v6, v4
	v_cndmask_b32_e32 v6, v1, v7, vcc
	v_lshlrev_b32_e32 v7, 2, v6
	ds_bpermute_b32 v6, v7, v4
	v_cmp_lt_i32_e32 vcc, v8, v2
	v_and_b32_e32 v17, 63, v0
	s_waitcnt lgkmcnt(0)
	v_max_f32_e32 v6, v6, v6
	v_max_f32_e32 v6, v4, v6
	v_cndmask_b32_e32 v4, v1, v8, vcc
	v_lshlrev_b32_e32 v9, 2, v4
	ds_bpermute_b32 v8, v9, v6
	v_cmp_eq_u32_e32 vcc, 0, v17
	v_lshlrev_b32_e32 v4, 2, v15
	s_and_saveexec_b64 s[4:5], vcc
	s_cbranch_execz .LBB109_23
; %bb.22:
	s_waitcnt lgkmcnt(0)
	v_max_f32_e32 v8, v8, v8
	v_max_f32_e32 v6, v6, v6
	;; [unrolled: 1-line block ×3, first 2 shown]
	ds_write_b32 v4, v6 offset:128
.LBB109_23:
	s_or_b64 exec, exec, s[4:5]
	v_cmp_gt_u32_e64 s[4:5], 2, v17
	v_mov_b32_e32 v11, 0xff7fffff
	v_lshlrev_b32_e32 v6, 2, v17
	s_waitcnt lgkmcnt(0)
	s_barrier
	s_and_saveexec_b64 s[6:7], s[4:5]
; %bb.24:
	ds_read_b32 v11, v6 offset:128
; %bb.25:
	s_or_b64 exec, exec, s[6:7]
	v_xor_b32_e32 v8, 1, v1
	v_cmp_lt_i32_e64 s[6:7], v8, v2
	v_cndmask_b32_e64 v8, v1, v8, s[6:7]
	v_lshlrev_b32_e32 v8, 2, v8
	s_waitcnt lgkmcnt(0)
	ds_bpermute_b32 v12, v8, v11
	v_max_f32_e32 v11, v11, v11
	v_lshlrev_b32_e32 v10, 2, v10
	s_lshl_b32 s6, s43, 3
	s_min_i32 s15, s6, s21
	s_waitcnt lgkmcnt(0)
	v_max_f32_e32 v12, v12, v12
	v_max_f32_e32 v11, v11, v12
	ds_bpermute_b32 v11, v10, v11
	v_cmp_gt_i32_e64 s[6:7], s15, v0
	v_mov_b32_e32 v10, 0
	s_and_saveexec_b64 s[34:35], s[6:7]
	s_cbranch_execz .LBB109_29
; %bb.26:
	v_mov_b32_e32 v10, 0x90
	v_lshl_add_u32 v12, v0, 2, v10
	v_mov_b32_e32 v10, 0
	s_mov_b64 s[36:37], 0
	v_mov_b32_e32 v13, v0
.LBB109_27:                             ; =>This Inner Loop Header: Depth=1
	ds_read_b32 v14, v12
	v_add_u32_e32 v13, 0x80, v13
	v_cmp_le_i32_e64 s[10:11], s15, v13
	s_or_b64 s[36:37], s[10:11], s[36:37]
	s_waitcnt lgkmcnt(0)
	v_sub_f32_e32 v14, v14, v11
	v_mul_f32_e32 v14, 0x3fb8aa3b, v14
	v_exp_f32_e32 v14, v14
	ds_write_b32 v12, v14
	v_add_f32_e32 v10, v10, v14
	v_add_u32_e32 v12, 0x200, v12
	s_andn2_b64 exec, exec, s[36:37]
	s_cbranch_execnz .LBB109_27
; %bb.28:
	s_or_b64 exec, exec, s[36:37]
.LBB109_29:
	s_or_b64 exec, exec, s[34:35]
	ds_bpermute_b32 v5, v5, v10
	s_waitcnt lgkmcnt(0)
	v_add_f32_e32 v5, v10, v5
	ds_bpermute_b32 v7, v7, v5
	s_waitcnt lgkmcnt(0)
	v_add_f32_e32 v5, v5, v7
	ds_bpermute_b32 v7, v9, v5
	v_xor_b32_e32 v9, 4, v1
	v_cmp_lt_i32_e64 s[10:11], v9, v2
	v_cndmask_b32_e64 v9, v1, v9, s[10:11]
	v_lshlrev_b32_e32 v9, 2, v9
	s_waitcnt lgkmcnt(0)
	v_add_f32_e32 v5, v5, v7
	ds_bpermute_b32 v7, v9, v5
	v_xor_b32_e32 v9, 2, v1
	v_cmp_lt_i32_e64 s[10:11], v9, v2
	v_cndmask_b32_e64 v2, v1, v9, s[10:11]
	v_lshlrev_b32_e32 v2, 2, v2
	s_waitcnt lgkmcnt(0)
	v_add_f32_e32 v5, v5, v7
	ds_bpermute_b32 v2, v2, v5
	s_waitcnt lgkmcnt(0)
	v_add_f32_e32 v2, v5, v2
	ds_bpermute_b32 v5, v8, v2
	s_waitcnt lgkmcnt(0)
	v_add_f32_e32 v2, v2, v5
	s_and_saveexec_b64 s[10:11], vcc
; %bb.30:
	ds_write_b32 v4, v2 offset:136
; %bb.31:
	s_or_b64 exec, exec, s[10:11]
	s_waitcnt lgkmcnt(0)
	s_barrier
	s_and_saveexec_b64 s[10:11], s[4:5]
; %bb.32:
	ds_read_b32 v2, v6 offset:136
; %bb.33:
	s_or_b64 exec, exec, s[10:11]
	s_waitcnt lgkmcnt(0)
	ds_bpermute_b32 v4, v8, v2
	v_lshlrev_b32_e32 v1, 2, v1
	v_and_b32_e32 v1, 0x100, v1
	s_waitcnt lgkmcnt(0)
	v_add_f32_e32 v2, v2, v4
	ds_bpermute_b32 v1, v1, v2
	s_and_saveexec_b64 s[4:5], s[6:7]
	s_cbranch_execz .LBB109_36
; %bb.34:
	s_waitcnt lgkmcnt(0)
	v_add_f32_e32 v2, 0x358637bd, v1
	v_div_scale_f32 v1, s[6:7], v2, v2, 1.0
	v_div_scale_f32 v4, vcc, 1.0, v2, 1.0
	s_mov_b64 s[6:7], 0
	v_rcp_f32_e32 v5, v1
	v_fma_f32 v6, -v1, v5, 1.0
	v_fmac_f32_e32 v5, v6, v5
	v_mul_f32_e32 v6, v4, v5
	v_fma_f32 v7, -v1, v6, v4
	v_fmac_f32_e32 v6, v7, v5
	v_fma_f32 v1, -v1, v6, v4
	v_div_fmas_f32 v4, v1, v5, v6
	v_mov_b32_e32 v1, 0x90
	v_lshl_add_u32 v1, v0, 2, v1
	v_div_fixup_f32 v2, v4, v2, 1.0
	v_mov_b32_e32 v4, v0
.LBB109_35:                             ; =>This Inner Loop Header: Depth=1
	ds_read_b32 v5, v1
	v_add_u32_e32 v4, 0x80, v4
	v_cmp_le_i32_e32 vcc, s15, v4
	s_or_b64 s[6:7], vcc, s[6:7]
	s_waitcnt lgkmcnt(0)
	v_mul_f32_e32 v5, v2, v5
	ds_write_b32 v1, v5
	v_add_u32_e32 v1, 0x200, v1
	s_andn2_b64 exec, exec, s[6:7]
	s_cbranch_execnz .LBB109_35
.LBB109_36:
	s_or_b64 exec, exec, s[4:5]
	v_mov_b32_e32 v18, 0
	s_waitcnt lgkmcnt(0)
	s_barrier
	s_and_saveexec_b64 s[4:5], s[2:3]
	s_cbranch_execz .LBB109_44
; %bb.37:
	s_ashr_i32 s15, s14, 31
	s_sub_i32 s17, s12, s17
	s_lshl_b64 s[2:3], s[14:15], 1
	s_add_u32 s6, s30, s2
	s_addc_u32 s7, s31, s3
	s_abs_i32 s14, s18
	v_cvt_f32_u32_e32 v1, s14
	s_sub_i32 s2, 0, s14
	v_lshlrev_b32_e32 v2, 4, v17
	s_add_i32 s30, s43, -1
	v_rcp_iflag_f32_e32 v1, v1
	v_mov_b32_e32 v5, s7
	v_add_co_u32_e32 v20, vcc, s6, v2
	v_mul_f32_e32 v1, 0x4f7ffffe, v1
	v_cvt_u32_f32_e32 v1, v1
	v_and_b32_e32 v3, 60, v3
	v_addc_co_u32_e32 v21, vcc, 0, v5, vcc
	v_mul_lo_u32 v4, s2, v1
	s_lshl_b64 s[2:3], s[28:29], 2
	s_add_u32 s2, s26, s2
	s_addc_u32 s3, s27, s3
	v_mul_hi_u32 v4, v1, v4
	v_add_co_u32_e32 v13, vcc, s2, v3
	s_mov_b32 s15, s13
	v_add_u32_e32 v22, v1, v4
	v_mov_b32_e32 v1, s3
	v_addc_co_u32_e32 v14, vcc, 0, v1, vcc
	v_mov_b32_e32 v1, 0x90
	v_mov_b32_e32 v19, 0
	s_mov_b32 s18, s21
	v_lshl_add_u32 v23, v15, 5, v1
	s_mov_b64 s[6:7], 0
	s_mov_b32 s26, 0x5040100
	s_movk_i32 s27, 0x7fff
	v_mov_b32_e32 v18, 0
	s_branch .LBB109_40
.LBB109_38:                             ;   in Loop: Header=BB109_40 Depth=1
	s_or_b64 exec, exec, s[12:13]
	s_waitcnt lgkmcnt(1)
	v_bfe_u32 v24, v9, 16, 1
	v_add3_u32 v24, v24, v9, s27
	v_or_b32_e32 v25, 0x400000, v9
	v_cmp_u_f32_e32 vcc, v9, v9
	v_cndmask_b32_e32 v9, v24, v25, vcc
	v_bfe_u32 v24, v10, 16, 1
	v_add3_u32 v24, v24, v10, s27
	v_or_b32_e32 v25, 0x400000, v10
	v_cmp_u_f32_e32 vcc, v10, v10
	v_cndmask_b32_e32 v10, v24, v25, vcc
	;; [unrolled: 5-line block ×4, first 2 shown]
	s_waitcnt lgkmcnt(0)
	v_bfe_u32 v24, v5, 16, 1
	v_add3_u32 v24, v24, v5, s27
	v_or_b32_e32 v25, 0x400000, v5
	v_cmp_u_f32_e32 vcc, v5, v5
	v_cndmask_b32_e32 v5, v24, v25, vcc
	v_bfe_u32 v24, v6, 16, 1
	v_add3_u32 v24, v24, v6, s27
	v_or_b32_e32 v25, 0x400000, v6
	v_cmp_u_f32_e32 vcc, v6, v6
	v_cndmask_b32_e32 v6, v24, v25, vcc
	;; [unrolled: 5-line block ×4, first 2 shown]
	v_and_b32_e32 v9, 0xffff0000, v9
	s_waitcnt vmcnt(0)
	v_lshlrev_b32_e32 v24, 16, v1
	v_mul_f32_e32 v9, v9, v24
	v_and_b32_e32 v10, 0xffff0000, v10
	v_and_b32_e32 v1, 0xffff0000, v1
	v_bfe_u32 v24, v9, 16, 1
	v_mul_f32_e32 v1, v10, v1
	v_add3_u32 v24, v24, v9, s27
	v_or_b32_e32 v25, 0x400000, v9
	v_cmp_u_f32_e32 vcc, v9, v9
	v_bfe_u32 v10, v1, 16, 1
	v_cndmask_b32_e32 v9, v24, v25, vcc
	v_add3_u32 v10, v10, v1, s27
	v_or_b32_e32 v24, 0x400000, v1
	v_cmp_u_f32_e32 vcc, v1, v1
	v_cndmask_b32_e32 v1, v10, v24, vcc
	v_and_b32_e32 v10, 0xffff0000, v11
	v_lshlrev_b32_e32 v11, 16, v2
	v_mul_f32_e32 v10, v10, v11
	v_bfe_u32 v11, v10, 16, 1
	v_add3_u32 v11, v11, v10, s27
	v_or_b32_e32 v24, 0x400000, v10
	v_cmp_u_f32_e32 vcc, v10, v10
	v_cndmask_b32_e32 v10, v11, v24, vcc
	v_and_b32_e32 v11, 0xffff0000, v12
	v_and_b32_e32 v2, 0xffff0000, v2
	v_mul_f32_e32 v2, v11, v2
	v_bfe_u32 v11, v2, 16, 1
	v_add3_u32 v11, v11, v2, s27
	v_or_b32_e32 v12, 0x400000, v2
	v_cmp_u_f32_e32 vcc, v2, v2
	v_cndmask_b32_e32 v2, v11, v12, vcc
	v_and_b32_e32 v5, 0xffff0000, v5
	v_lshlrev_b32_e32 v11, 16, v3
	v_mul_f32_e32 v5, v5, v11
	v_and_b32_e32 v6, 0xffff0000, v6
	v_and_b32_e32 v3, 0xffff0000, v3
	v_bfe_u32 v11, v5, 16, 1
	v_mul_f32_e32 v3, v6, v3
	v_add3_u32 v11, v11, v5, s27
	v_or_b32_e32 v12, 0x400000, v5
	v_cmp_u_f32_e32 vcc, v5, v5
	v_bfe_u32 v6, v3, 16, 1
	v_cndmask_b32_e32 v5, v11, v12, vcc
	v_add3_u32 v6, v6, v3, s27
	v_or_b32_e32 v11, 0x400000, v3
	v_cmp_u_f32_e32 vcc, v3, v3
	v_cndmask_b32_e32 v3, v6, v11, vcc
	v_and_b32_e32 v6, 0xffff0000, v7
	v_lshlrev_b32_e32 v7, 16, v4
	v_mul_f32_e32 v6, v6, v7
	v_bfe_u32 v7, v6, 16, 1
	v_add3_u32 v7, v7, v6, s27
	v_or_b32_e32 v11, 0x400000, v6
	v_cmp_u_f32_e32 vcc, v6, v6
	v_cndmask_b32_e32 v6, v7, v11, vcc
	v_and_b32_e32 v7, 0xffff0000, v8
	v_and_b32_e32 v4, 0xffff0000, v4
	v_mul_f32_e32 v4, v7, v4
	v_bfe_u32 v7, v4, 16, 1
	v_add3_u32 v7, v7, v4, s27
	v_or_b32_e32 v8, 0x400000, v4
	v_cmp_u_f32_e32 vcc, v4, v4
	v_cndmask_b32_e32 v4, v7, v8, vcc
	v_and_b32_e32 v1, 0xffff0000, v1
	v_and_b32_e32 v7, 0xffff0000, v9
	v_add_f32_e32 v1, v7, v1
	v_and_b32_e32 v2, 0xffff0000, v2
	v_and_b32_e32 v7, 0xffff0000, v10
	v_add_f32_e32 v2, v7, v2
	v_add_f32_e32 v1, v2, v1
	v_and_b32_e32 v2, 0xffff0000, v3
	v_and_b32_e32 v3, 0xffff0000, v5
	v_add_f32_e32 v2, v3, v2
	v_add_f32_e32 v1, v2, v1
	v_and_b32_e32 v2, 0xffff0000, v4
	v_and_b32_e32 v3, 0xffff0000, v6
	v_add_f32_e32 v2, v3, v2
	v_add_f32_e32 v1, v2, v1
	v_add_f32_e32 v18, v18, v1
.LBB109_39:                             ;   in Loop: Header=BB109_40 Depth=1
	s_or_b64 exec, exec, s[10:11]
	v_add_co_u32_e32 v13, vcc, 8, v13
	v_add_u32_e32 v15, 2, v15
	v_addc_co_u32_e32 v14, vcc, 0, v14, vcc
	v_cmp_le_i32_e32 vcc, s43, v15
	v_add_u32_e32 v16, 16, v16
	s_or_b64 s[6:7], vcc, s[6:7]
	v_add_u32_e32 v23, 64, v23
	s_andn2_b64 exec, exec, s[6:7]
	s_cbranch_execz .LBB109_43
.LBB109_40:                             ; =>This Inner Loop Header: Depth=1
	v_mul_hi_u32 v1, v16, s33
	v_mul_lo_u32 v2, v1, s23
	v_add_u32_e32 v3, 1, v1
	v_sub_u32_e32 v2, v16, v2
	v_cmp_le_u32_e32 vcc, s23, v2
	v_cndmask_b32_e32 v1, v1, v3, vcc
	v_subrev_u32_e32 v3, s23, v2
	v_cndmask_b32_e32 v2, v2, v3, vcc
	v_add_u32_e32 v3, 1, v1
	v_cmp_le_u32_e32 vcc, s23, v2
	v_cndmask_b32_e32 v1, v1, v3, vcc
	v_xor_b32_e32 v1, s19, v1
	v_subrev_u32_e32 v1, s19, v1
	v_add_u32_e32 v2, s42, v1
	v_sub_u32_e32 v3, 0, v2
	v_max_i32_e32 v3, v2, v3
	v_mul_hi_u32 v4, v3, v22
	v_ashrrev_i32_e32 v2, 31, v2
	v_cmp_lt_i32_e64 s[2:3], s17, v1
	v_mul_lo_u32 v4, v4, s14
	v_sub_u32_e32 v3, v3, v4
	v_subrev_u32_e32 v4, s14, v3
	v_cmp_le_u32_e32 vcc, s14, v3
	v_cndmask_b32_e32 v3, v3, v4, vcc
	v_subrev_u32_e32 v4, s14, v3
	v_cmp_le_u32_e32 vcc, s14, v3
	v_cndmask_b32_e32 v3, v3, v4, vcc
	v_xor_b32_e32 v3, v3, v2
	v_sub_u32_e32 v2, v3, v2
	v_cmp_eq_u32_e32 vcc, 0, v2
	s_or_b64 s[2:3], vcc, s[2:3]
	s_and_saveexec_b64 s[10:11], s[2:3]
	s_cbranch_execz .LBB109_39
; %bb.41:                               ;   in Loop: Header=BB109_40 Depth=1
	global_load_dword v1, v[13:14], off
	s_waitcnt vmcnt(0)
	v_mad_i64_i32 v[1:2], s[2:3], v1, s15, 0
	v_lshlrev_b64 v[1:2], 1, v[1:2]
	v_add_co_u32_e32 v1, vcc, v20, v1
	v_addc_co_u32_e32 v2, vcc, v21, v2, vcc
	global_load_dwordx4 v[1:4], v[1:2], off
	ds_read2_b64 v[9:12], v23 offset1:1
	ds_read2_b64 v[5:8], v23 offset0:2 offset1:3
	v_cmp_eq_u32_e32 vcc, s30, v15
	s_and_saveexec_b64 s[12:13], vcc
	s_cbranch_execz .LBB109_38
; %bb.42:                               ;   in Loop: Header=BB109_40 Depth=1
	v_add_u32_e32 v24, 1, v16
	v_cmp_gt_i32_e32 vcc, s18, v24
	s_waitcnt vmcnt(0)
	v_cndmask_b32_sdwa v24, v19, v1, vcc dst_sel:DWORD dst_unused:UNUSED_PAD src0_sel:DWORD src1_sel:WORD_1
	v_cmp_gt_i32_e32 vcc, s21, v16
	v_cndmask_b32_e32 v1, 0, v1, vcc
	v_perm_b32 v1, v24, v1, s26
	v_or_b32_e32 v24, 3, v16
	v_or_b32_e32 v25, 2, v16
	v_cmp_gt_i32_e32 vcc, s18, v24
	v_cmp_gt_i32_e64 s[2:3], s21, v25
	v_cndmask_b32_e64 v24, 0, v2, s[2:3]
	v_cndmask_b32_sdwa v2, v19, v2, vcc dst_sel:DWORD dst_unused:UNUSED_PAD src0_sel:DWORD src1_sel:WORD_1
	v_perm_b32 v2, v2, v24, s26
	v_or_b32_e32 v24, 5, v16
	v_or_b32_e32 v25, 4, v16
	v_cmp_gt_i32_e32 vcc, s18, v24
	v_cmp_gt_i32_e64 s[2:3], s21, v25
	v_cndmask_b32_e64 v24, 0, v3, s[2:3]
	v_cndmask_b32_sdwa v3, v19, v3, vcc dst_sel:DWORD dst_unused:UNUSED_PAD src0_sel:DWORD src1_sel:WORD_1
	;; [unrolled: 7-line block ×3, first 2 shown]
	v_perm_b32 v4, v4, v24, s26
	s_branch .LBB109_38
.LBB109_43:
	s_or_b64 exec, exec, s[6:7]
.LBB109_44:
	s_or_b64 exec, exec, s[4:5]
	v_and_b32_e32 v0, 0x3c0, v0
	v_cmp_eq_u32_e32 vcc, 64, v0
	v_mov_b32_e32 v0, 0x90
	v_lshl_add_u32 v0, v17, 2, v0
	s_barrier
	s_and_saveexec_b64 s[2:3], vcc
; %bb.45:
	ds_write_b32 v0, v18
; %bb.46:
	s_or_b64 exec, exec, s[2:3]
	s_waitcnt lgkmcnt(0)
	s_barrier
	s_and_saveexec_b64 s[2:3], s[0:1]
	s_cbranch_execz .LBB109_48
; %bb.47:
	ds_read_b32 v0, v0
	s_waitcnt lgkmcnt(0)
	v_add_f32_e32 v18, v18, v0
.LBB109_48:
	s_or_b64 exec, exec, s[2:3]
	s_barrier
	s_and_saveexec_b64 s[2:3], s[0:1]
	s_cbranch_execz .LBB109_50
; %bb.49:
	s_mul_i32 s0, s20, s16
	s_mul_i32 s0, s0, s9
	s_lshl_b32 s0, s0, 6
	s_ashr_i32 s1, s0, 31
	s_lshl_b64 s[0:1], s[0:1], 1
	s_add_u32 s2, s24, s0
	s_mul_i32 s0, s16, s22
	s_addc_u32 s3, s25, s1
	s_ashr_i32 s1, s0, 31
	s_lshl_b64 s[0:1], s[0:1], 1
	s_add_u32 s2, s2, s0
	s_addc_u32 s3, s3, s1
	s_lshl_b32 s0, s8, 6
	s_ashr_i32 s1, s0, 31
	s_lshl_b64 s[0:1], s[0:1], 1
	s_add_u32 s0, s2, s0
	v_bfe_u32 v1, v18, 16, 1
	s_movk_i32 s2, 0x7fff
	v_add3_u32 v1, v1, v18, s2
	v_or_b32_e32 v2, 0x400000, v18
	v_cmp_u_f32_e32 vcc, v18, v18
	s_addc_u32 s1, s3, s1
	v_lshlrev_b32_e32 v0, 1, v17
	v_cndmask_b32_e32 v1, v1, v2, vcc
	global_store_short_d16_hi v0, v1, s[0:1]
.LBB109_50:
	s_endpgm
	.section	.rodata,"a",@progbits
	.p2align	6, 0x0
	.amdhsa_kernel _ZN4vllm25paged_attention_v1_kernelI14__hip_bfloat16S1_Li64ELi8ELi128ELNS_18Fp8KVCacheDataTypeE0ELb1EEEvPT_PKS3_PKT0_S9_ifPKiSB_iPKfiiiSD_SD_iiiii
		.amdhsa_group_segment_fixed_size 144
		.amdhsa_private_segment_fixed_size 0
		.amdhsa_kernarg_size 384
		.amdhsa_user_sgpr_count 6
		.amdhsa_user_sgpr_private_segment_buffer 1
		.amdhsa_user_sgpr_dispatch_ptr 0
		.amdhsa_user_sgpr_queue_ptr 0
		.amdhsa_user_sgpr_kernarg_segment_ptr 1
		.amdhsa_user_sgpr_dispatch_id 0
		.amdhsa_user_sgpr_flat_scratch_init 0
		.amdhsa_user_sgpr_private_segment_size 0
		.amdhsa_uses_dynamic_stack 0
		.amdhsa_system_sgpr_private_segment_wavefront_offset 0
		.amdhsa_system_sgpr_workgroup_id_x 1
		.amdhsa_system_sgpr_workgroup_id_y 1
		.amdhsa_system_sgpr_workgroup_id_z 1
		.amdhsa_system_sgpr_workgroup_info 0
		.amdhsa_system_vgpr_workitem_id 0
		.amdhsa_next_free_vgpr 39
		.amdhsa_next_free_sgpr 46
		.amdhsa_reserve_vcc 1
		.amdhsa_reserve_flat_scratch 0
		.amdhsa_float_round_mode_32 0
		.amdhsa_float_round_mode_16_64 0
		.amdhsa_float_denorm_mode_32 3
		.amdhsa_float_denorm_mode_16_64 3
		.amdhsa_dx10_clamp 1
		.amdhsa_ieee_mode 1
		.amdhsa_fp16_overflow 0
		.amdhsa_exception_fp_ieee_invalid_op 0
		.amdhsa_exception_fp_denorm_src 0
		.amdhsa_exception_fp_ieee_div_zero 0
		.amdhsa_exception_fp_ieee_overflow 0
		.amdhsa_exception_fp_ieee_underflow 0
		.amdhsa_exception_fp_ieee_inexact 0
		.amdhsa_exception_int_div_zero 0
	.end_amdhsa_kernel
	.section	.text._ZN4vllm25paged_attention_v1_kernelI14__hip_bfloat16S1_Li64ELi8ELi128ELNS_18Fp8KVCacheDataTypeE0ELb1EEEvPT_PKS3_PKT0_S9_ifPKiSB_iPKfiiiSD_SD_iiiii,"axG",@progbits,_ZN4vllm25paged_attention_v1_kernelI14__hip_bfloat16S1_Li64ELi8ELi128ELNS_18Fp8KVCacheDataTypeE0ELb1EEEvPT_PKS3_PKT0_S9_ifPKiSB_iPKfiiiSD_SD_iiiii,comdat
.Lfunc_end109:
	.size	_ZN4vllm25paged_attention_v1_kernelI14__hip_bfloat16S1_Li64ELi8ELi128ELNS_18Fp8KVCacheDataTypeE0ELb1EEEvPT_PKS3_PKT0_S9_ifPKiSB_iPKfiiiSD_SD_iiiii, .Lfunc_end109-_ZN4vllm25paged_attention_v1_kernelI14__hip_bfloat16S1_Li64ELi8ELi128ELNS_18Fp8KVCacheDataTypeE0ELb1EEEvPT_PKS3_PKT0_S9_ifPKiSB_iPKfiiiSD_SD_iiiii
                                        ; -- End function
	.set _ZN4vllm25paged_attention_v1_kernelI14__hip_bfloat16S1_Li64ELi8ELi128ELNS_18Fp8KVCacheDataTypeE0ELb1EEEvPT_PKS3_PKT0_S9_ifPKiSB_iPKfiiiSD_SD_iiiii.num_vgpr, 39
	.set _ZN4vllm25paged_attention_v1_kernelI14__hip_bfloat16S1_Li64ELi8ELi128ELNS_18Fp8KVCacheDataTypeE0ELb1EEEvPT_PKS3_PKT0_S9_ifPKiSB_iPKfiiiSD_SD_iiiii.num_agpr, 0
	.set _ZN4vllm25paged_attention_v1_kernelI14__hip_bfloat16S1_Li64ELi8ELi128ELNS_18Fp8KVCacheDataTypeE0ELb1EEEvPT_PKS3_PKT0_S9_ifPKiSB_iPKfiiiSD_SD_iiiii.numbered_sgpr, 46
	.set _ZN4vllm25paged_attention_v1_kernelI14__hip_bfloat16S1_Li64ELi8ELi128ELNS_18Fp8KVCacheDataTypeE0ELb1EEEvPT_PKS3_PKT0_S9_ifPKiSB_iPKfiiiSD_SD_iiiii.num_named_barrier, 0
	.set _ZN4vllm25paged_attention_v1_kernelI14__hip_bfloat16S1_Li64ELi8ELi128ELNS_18Fp8KVCacheDataTypeE0ELb1EEEvPT_PKS3_PKT0_S9_ifPKiSB_iPKfiiiSD_SD_iiiii.private_seg_size, 0
	.set _ZN4vllm25paged_attention_v1_kernelI14__hip_bfloat16S1_Li64ELi8ELi128ELNS_18Fp8KVCacheDataTypeE0ELb1EEEvPT_PKS3_PKT0_S9_ifPKiSB_iPKfiiiSD_SD_iiiii.uses_vcc, 1
	.set _ZN4vllm25paged_attention_v1_kernelI14__hip_bfloat16S1_Li64ELi8ELi128ELNS_18Fp8KVCacheDataTypeE0ELb1EEEvPT_PKS3_PKT0_S9_ifPKiSB_iPKfiiiSD_SD_iiiii.uses_flat_scratch, 0
	.set _ZN4vllm25paged_attention_v1_kernelI14__hip_bfloat16S1_Li64ELi8ELi128ELNS_18Fp8KVCacheDataTypeE0ELb1EEEvPT_PKS3_PKT0_S9_ifPKiSB_iPKfiiiSD_SD_iiiii.has_dyn_sized_stack, 0
	.set _ZN4vllm25paged_attention_v1_kernelI14__hip_bfloat16S1_Li64ELi8ELi128ELNS_18Fp8KVCacheDataTypeE0ELb1EEEvPT_PKS3_PKT0_S9_ifPKiSB_iPKfiiiSD_SD_iiiii.has_recursion, 0
	.set _ZN4vllm25paged_attention_v1_kernelI14__hip_bfloat16S1_Li64ELi8ELi128ELNS_18Fp8KVCacheDataTypeE0ELb1EEEvPT_PKS3_PKT0_S9_ifPKiSB_iPKfiiiSD_SD_iiiii.has_indirect_call, 0
	.section	.AMDGPU.csdata,"",@progbits
; Kernel info:
; codeLenInByte = 4216
; TotalNumSgprs: 50
; NumVgprs: 39
; ScratchSize: 0
; MemoryBound: 0
; FloatMode: 240
; IeeeMode: 1
; LDSByteSize: 144 bytes/workgroup (compile time only)
; SGPRBlocks: 6
; VGPRBlocks: 9
; NumSGPRsForWavesPerEU: 50
; NumVGPRsForWavesPerEU: 39
; Occupancy: 6
; WaveLimiterHint : 1
; COMPUTE_PGM_RSRC2:SCRATCH_EN: 0
; COMPUTE_PGM_RSRC2:USER_SGPR: 6
; COMPUTE_PGM_RSRC2:TRAP_HANDLER: 0
; COMPUTE_PGM_RSRC2:TGID_X_EN: 1
; COMPUTE_PGM_RSRC2:TGID_Y_EN: 1
; COMPUTE_PGM_RSRC2:TGID_Z_EN: 1
; COMPUTE_PGM_RSRC2:TIDIG_COMP_CNT: 0
	.section	.text._ZN4vllm25paged_attention_v1_kernelI14__hip_bfloat16S1_Li80ELi8ELi128ELNS_18Fp8KVCacheDataTypeE0ELb1EEEvPT_PKS3_PKT0_S9_ifPKiSB_iPKfiiiSD_SD_iiiii,"axG",@progbits,_ZN4vllm25paged_attention_v1_kernelI14__hip_bfloat16S1_Li80ELi8ELi128ELNS_18Fp8KVCacheDataTypeE0ELb1EEEvPT_PKS3_PKT0_S9_ifPKiSB_iPKfiiiSD_SD_iiiii,comdat
	.protected	_ZN4vllm25paged_attention_v1_kernelI14__hip_bfloat16S1_Li80ELi8ELi128ELNS_18Fp8KVCacheDataTypeE0ELb1EEEvPT_PKS3_PKT0_S9_ifPKiSB_iPKfiiiSD_SD_iiiii ; -- Begin function _ZN4vllm25paged_attention_v1_kernelI14__hip_bfloat16S1_Li80ELi8ELi128ELNS_18Fp8KVCacheDataTypeE0ELb1EEEvPT_PKS3_PKT0_S9_ifPKiSB_iPKfiiiSD_SD_iiiii
	.globl	_ZN4vllm25paged_attention_v1_kernelI14__hip_bfloat16S1_Li80ELi8ELi128ELNS_18Fp8KVCacheDataTypeE0ELb1EEEvPT_PKS3_PKT0_S9_ifPKiSB_iPKfiiiSD_SD_iiiii
	.p2align	8
	.type	_ZN4vllm25paged_attention_v1_kernelI14__hip_bfloat16S1_Li80ELi8ELi128ELNS_18Fp8KVCacheDataTypeE0ELb1EEEvPT_PKS3_PKT0_S9_ifPKiSB_iPKfiiiSD_SD_iiiii,@function
_ZN4vllm25paged_attention_v1_kernelI14__hip_bfloat16S1_Li80ELi8ELi128ELNS_18Fp8KVCacheDataTypeE0ELb1EEEvPT_PKS3_PKT0_S9_ifPKiSB_iPKfiiiSD_SD_iiiii: ; @_ZN4vllm25paged_attention_v1_kernelI14__hip_bfloat16S1_Li80ELi8ELi128ELNS_18Fp8KVCacheDataTypeE0ELb1EEEvPT_PKS3_PKT0_S9_ifPKiSB_iPKfiiiSD_SD_iiiii
; %bb.0:
	s_load_dword s9, s[4:5], 0x80
	s_load_dwordx2 s[0:1], s[4:5], 0x30
	s_load_dwordx2 s[34:35], s[4:5], 0x20
	s_mov_b32 s20, s7
	s_ashr_i32 s21, s7, 31
	s_lshl_b64 s[2:3], s[20:21], 2
	s_waitcnt lgkmcnt(0)
	s_add_u32 s0, s0, s2
	s_addc_u32 s1, s1, s3
	s_abs_i32 s2, s34
	v_cvt_f32_u32_e32 v1, s2
	s_sub_i32 s10, 0, s2
	s_abs_i32 s7, s9
	s_xor_b32 s3, s9, s34
	v_rcp_iflag_f32_e32 v1, v1
	s_ashr_i32 s3, s3, 31
	s_mov_b32 s45, 0
	v_mul_f32_e32 v1, 0x4f7ffffe, v1
	v_cvt_u32_f32_e32 v1, v1
	v_readfirstlane_b32 s11, v1
	s_mul_i32 s10, s10, s11
	s_mul_hi_u32 s10, s11, s10
	s_add_i32 s11, s11, s10
	s_mul_hi_u32 s10, s7, s11
	s_mul_i32 s11, s10, s2
	s_sub_i32 s7, s7, s11
	s_add_i32 s11, s10, 1
	s_sub_i32 s12, s7, s2
	s_cmp_ge_u32 s7, s2
	s_cselect_b32 s10, s11, s10
	s_cselect_b32 s7, s12, s7
	s_add_i32 s11, s10, 1
	s_cmp_ge_u32 s7, s2
	s_cselect_b32 s2, s11, s10
	s_xor_b32 s2, s2, s3
	s_sub_i32 s12, s2, s3
	s_abs_i32 s10, s12
	v_cvt_f32_u32_e32 v1, s10
	s_load_dwordx2 s[2:3], s[4:5], 0x40
	s_sub_i32 s7, 0, s10
	s_abs_i32 s11, s6
	v_rcp_iflag_f32_e32 v1, v1
	v_mul_f32_e32 v1, 0x4f7ffffe, v1
	v_cvt_u32_f32_e32 v1, v1
	v_readfirstlane_b32 s13, v1
	s_mul_i32 s7, s7, s13
	s_mul_hi_u32 s7, s13, s7
	s_add_i32 s13, s13, s7
	s_waitcnt lgkmcnt(0)
	s_cmp_eq_u64 s[2:3], 0
	s_mul_hi_u32 s24, s11, s13
	s_cbranch_scc1 .LBB110_2
; %bb.1:
	s_ashr_i32 s7, s6, 31
	s_lshl_b64 s[14:15], s[6:7], 2
	s_add_u32 s2, s2, s14
	s_addc_u32 s3, s3, s15
	s_load_dword s45, s[2:3], 0x0
.LBB110_2:
	s_load_dword s21, s[0:1], 0x0
	s_ashr_i32 s25, s12, 31
	s_load_dwordx4 s[12:15], s[4:5], 0x48
	s_movk_i32 s0, 0x50
	s_ashr_i32 s7, s6, 31
	v_and_b32_e32 v1, 7, v0
	s_mul_i32 s22, s6, 0x50
	v_cmp_gt_u32_e64 s[0:1], s0, v0
	v_lshlrev_b32_e32 v19, 1, v0
	s_and_saveexec_b64 s[2:3], s[0:1]
	s_cbranch_execz .LBB110_4
; %bb.3:
	s_load_dwordx2 s[16:17], s[4:5], 0x8
	s_waitcnt lgkmcnt(0)
	s_mul_i32 s18, s12, s20
	s_ashr_i32 s19, s18, 31
	s_lshl_b64 s[18:19], s[18:19], 1
	v_lshrrev_b32_e32 v3, 2, v0
	s_add_u32 s12, s16, s18
	s_addc_u32 s15, s17, s19
	s_ashr_i32 s23, s22, 31
	s_lshl_b64 s[16:17], s[22:23], 1
	s_add_u32 s16, s12, s16
	s_addc_u32 s17, s15, s17
	global_load_ushort v2, v19, s[16:17]
	v_and_b32_e32 v3, 0xfe, v3
	v_mad_u32_u24 v3, v1, 20, v3
	s_waitcnt vmcnt(0)
	ds_write_b16 v3, v2
.LBB110_4:
	s_or_b64 exec, exec, s[2:3]
	s_mul_i32 s3, s24, s10
	s_sub_i32 s3, s11, s3
	s_xor_b32 s2, s7, s25
	s_add_i32 s7, s24, 1
	s_sub_i32 s11, s3, s10
	s_load_dwordx4 s[16:19], s[4:5], 0x68
	s_waitcnt lgkmcnt(0)
	s_load_dword s12, s[4:5], 0x78
	s_cmp_ge_u32 s3, s10
	s_cselect_b32 s7, s7, s24
	s_cselect_b32 s3, s11, s3
	s_add_i32 s11, s7, 1
	s_cmp_ge_u32 s3, s10
	s_cselect_b32 s3, s11, s7
	s_abs_i32 s23, s19
	v_cvt_f32_u32_e32 v2, s23
	s_xor_b32 s3, s3, s2
	s_sub_i32 s7, s3, s2
	s_sub_i32 s2, 0, s23
	v_rcp_iflag_f32_e32 v2, v2
	s_add_i32 s15, s21, -1
	s_abs_i32 s10, s15
	s_waitcnt lgkmcnt(0)
	v_mul_f32_e32 v2, 0x4f7ffffe, v2
	v_cvt_u32_f32_e32 v2, v2
	s_barrier
	v_readfirstlane_b32 s33, v2
	s_mul_i32 s2, s2, s33
	s_mul_hi_u32 s2, s33, s2
	s_add_i32 s33, s33, s2
	s_cmp_lt_i32 s12, 0
	s_mul_hi_u32 s11, s10, s33
	s_cbranch_scc0 .LBB110_6
; %bb.5:
	s_mul_i32 s2, s16, s34
	s_add_i32 s2, s7, s2
	s_mul_i32 s2, s2, s12
	s_sub_i32 s42, 1, s2
	s_mov_b64 s[2:3], 0
	s_branch .LBB110_7
.LBB110_6:
	s_mov_b64 s[2:3], -1
                                        ; implicit-def: $sgpr42
.LBB110_7:
	s_load_dwordx2 s[26:27], s[4:5], 0x28
	s_ashr_i32 s15, s15, 31
	s_andn2_b64 vcc, exec, s[2:3]
	s_ashr_i32 s43, s19, 31
	s_cbranch_vccnz .LBB110_9
; %bb.8:
	s_mul_i32 s2, s9, s16
	s_add_i32 s2, s2, s6
	s_mul_i32 s2, s2, s12
	s_add_i32 s42, s2, 1
.LBB110_9:
	s_load_dword s2, s[4:5], 0x38
	s_load_dwordx2 s[24:25], s[4:5], 0x0
	s_load_dwordx2 s[30:31], s[4:5], 0x18
	s_load_dword s19, s[4:5], 0x88
	s_xor_b32 s3, s15, s43
	s_waitcnt lgkmcnt(0)
	s_mul_i32 s28, s2, s20
	s_mul_i32 s2, s11, s23
	s_sub_i32 s2, s10, s2
	s_ashr_i32 s29, s28, 31
	s_add_i32 s6, s11, 1
	s_sub_i32 s10, s2, s23
	s_cmp_ge_u32 s2, s23
	s_cselect_b32 s6, s6, s11
	s_cselect_b32 s2, s10, s2
	s_add_i32 s10, s6, 1
	s_cmp_ge_u32 s2, s23
	s_cselect_b32 s2, s10, s6
	s_xor_b32 s2, s2, s3
	s_sub_i32 s12, s2, s3
	s_add_i32 s2, s21, 7
	s_ashr_i32 s3, s2, 31
	s_lshr_b32 s3, s3, 29
	s_add_i32 s2, s2, s3
	s_ashr_i32 s44, s2, 3
	v_lshrrev_b32_e32 v20, 6, v0
	v_cmp_gt_i32_e64 s[2:3], s44, v20
	v_mov_b32_e32 v8, 0xff7fffff
	s_mul_i32 s14, s7, s14
	v_lshrrev_b32_e32 v3, 4, v0
	v_lshlrev_b32_e32 v21, 3, v20
	v_mbcnt_lo_u32_b32 v4, -1, 0
	s_and_saveexec_b64 s[36:37], s[2:3]
	s_cbranch_execz .LBB110_21
; %bb.10:
	s_load_dwordx2 s[4:5], s[4:5], 0x10
	s_ashr_i32 s15, s14, 31
	s_sub_i32 s16, s12, s17
	s_lshl_b64 s[6:7], s[14:15], 1
	v_bfe_u32 v5, v0, 3, 3
	s_waitcnt lgkmcnt(0)
	s_add_u32 s4, s4, s6
	s_addc_u32 s5, s5, s7
	s_abs_i32 s15, s18
	v_cvt_f32_u32_e32 v2, s15
	v_mov_b32_e32 v8, s5
	s_sub_i32 s5, 0, s15
	v_lshlrev_b32_e32 v7, 4, v5
	v_rcp_iflag_f32_e32 v2, v2
	v_lshlrev_b32_e32 v6, 1, v1
	s_lshl_b64 s[6:7], s[28:29], 2
	s_add_u32 s6, s26, s6
	v_mul_f32_e32 v2, 0x4f7ffffe, v2
	v_cvt_u32_f32_e32 v2, v2
	v_cmp_eq_u32_e32 vcc, 0, v1
	s_addc_u32 s7, s27, s7
	v_mbcnt_hi_u32_b32 v15, -1, v4
	v_mul_lo_u32 v9, s5, v2
	v_add_co_u32_e64 v7, s[4:5], s4, v7
	v_addc_co_u32_e64 v8, s[4:5], 0, v8, s[4:5]
	v_mul_hi_u32 v10, v2, v9
	v_add_co_u32_e64 v6, s[4:5], v7, v6
	v_addc_co_u32_e64 v7, s[4:5], 0, v8, s[4:5]
	v_subrev_u32_e32 v8, s21, v5
	v_add_u32_e32 v12, 1, v8
	v_lshlrev_b32_e32 v8, 2, v5
	v_mul_u32_u24_e32 v9, 20, v1
	v_and_b32_e32 v1, 60, v3
	v_lshl_or_b32 v8, v20, 5, v8
	v_add_u32_e32 v10, v2, v10
	v_mov_b32_e32 v2, s7
	v_add_co_u32_e64 v1, s[6:7], s6, v1
	v_add_u32_e32 v13, 0xb0, v8
	v_and_b32_e32 v8, 64, v15
	s_mov_b32 s34, s13
	v_cmp_neq_f32_e64 s[4:5], s45, 0
	v_addc_co_u32_e64 v2, s[6:7], 0, v2, s[6:7]
	v_lshlrev_b32_e32 v11, 3, v20
	v_mov_b32_e32 v14, 0xff7fffff
	s_mov_b64 s[38:39], 0
	v_add_u32_e32 v16, 64, v8
	v_xor_b32_e32 v17, 4, v15
	v_xor_b32_e32 v18, 2, v15
	v_mov_b32_e32 v8, 0xff7fffff
	v_mov_b32_e32 v22, v20
	s_branch .LBB110_13
.LBB110_11:                             ;   in Loop: Header=BB110_13 Depth=1
	s_or_b64 exec, exec, s[40:41]
.LBB110_12:                             ;   in Loop: Header=BB110_13 Depth=1
	s_or_b64 exec, exec, s[10:11]
	v_add_co_u32_e64 v1, s[6:7], 8, v1
	v_add_u32_e32 v22, 2, v22
	v_addc_co_u32_e64 v2, s[6:7], 0, v2, s[6:7]
	v_cmp_le_i32_e64 s[6:7], s44, v22
	v_add_u32_e32 v11, 16, v11
	s_or_b64 s[38:39], s[6:7], s[38:39]
	v_add_u32_e32 v13, 64, v13
	s_andn2_b64 exec, exec, s[38:39]
	s_cbranch_execz .LBB110_20
.LBB110_13:                             ; =>This Inner Loop Header: Depth=1
	v_mul_hi_u32 v23, v11, s33
	s_waitcnt lgkmcnt(0)
	v_mul_lo_u32 v24, v23, s23
	v_add_u32_e32 v25, 1, v23
	v_sub_u32_e32 v24, v11, v24
	v_cmp_le_u32_e64 s[6:7], s23, v24
	v_cndmask_b32_e64 v23, v23, v25, s[6:7]
	v_subrev_u32_e32 v25, s23, v24
	v_cndmask_b32_e64 v24, v24, v25, s[6:7]
	v_add_u32_e32 v25, 1, v23
	v_cmp_le_u32_e64 s[6:7], s23, v24
	v_cndmask_b32_e64 v23, v23, v25, s[6:7]
	v_xor_b32_e32 v23, s43, v23
	v_subrev_u32_e32 v23, s43, v23
	v_add_u32_e32 v24, s42, v23
	v_sub_u32_e32 v25, 0, v24
	v_max_i32_e32 v25, v24, v25
	v_mul_hi_u32 v26, v25, v10
	v_ashrrev_i32_e32 v24, 31, v24
	v_cmp_ge_i32_e64 s[10:11], s16, v23
	v_mul_lo_u32 v26, v26, s15
	v_sub_u32_e32 v25, v25, v26
	v_subrev_u32_e32 v26, s15, v25
	v_cmp_le_u32_e64 s[6:7], s15, v25
	v_cndmask_b32_e64 v25, v25, v26, s[6:7]
	v_subrev_u32_e32 v26, s15, v25
	v_cmp_le_u32_e64 s[6:7], s15, v25
	v_cndmask_b32_e64 v25, v25, v26, s[6:7]
	v_xor_b32_e32 v25, v25, v24
	v_sub_u32_e32 v24, v25, v24
	v_cmp_ne_u32_e64 s[6:7], 0, v24
	s_and_b64 s[6:7], s[6:7], s[10:11]
	s_and_saveexec_b64 s[10:11], s[6:7]
	s_xor_b64 s[6:7], exec, s[10:11]
	s_cbranch_execz .LBB110_17
; %bb.14:                               ;   in Loop: Header=BB110_13 Depth=1
	s_and_saveexec_b64 s[10:11], vcc
; %bb.15:                               ;   in Loop: Header=BB110_13 Depth=1
	ds_write_b32 v13, v14
; %bb.16:                               ;   in Loop: Header=BB110_13 Depth=1
	s_or_b64 exec, exec, s[10:11]
.LBB110_17:                             ;   in Loop: Header=BB110_13 Depth=1
	s_andn2_saveexec_b64 s[10:11], s[6:7]
	s_cbranch_execz .LBB110_12
; %bb.18:                               ;   in Loop: Header=BB110_13 Depth=1
	global_load_dword v23, v[1:2], off
	s_waitcnt vmcnt(0)
	v_mad_i64_i32 v[23:24], s[6:7], v23, s34, 0
	v_lshlrev_b64 v[23:24], 1, v[23:24]
	v_add_co_u32_e64 v23, s[6:7], v6, v23
	v_addc_co_u32_e64 v24, s[6:7], v7, v24, s[6:7]
	global_load_ushort v27, v[23:24], off offset:128
	global_load_ushort v28, v[23:24], off offset:256
	;; [unrolled: 1-line block ×7, first 2 shown]
	global_load_ushort v34, v[23:24], off
	global_load_ushort v35, v[23:24], off offset:1024
	global_load_ushort v36, v[23:24], off offset:1152
	ds_read2_b32 v[23:24], v9 offset1:1
	ds_read2_b32 v[25:26], v9 offset0:2 offset1:3
	ds_read_b32 v37, v9 offset:16
	v_cmp_lt_i32_e64 s[6:7], v17, v16
	v_cndmask_b32_e64 v38, v15, v17, s[6:7]
	s_waitcnt lgkmcnt(2)
	v_and_b32_e32 v39, 0xffff0000, v23
	v_lshlrev_b32_e32 v23, 16, v23
	v_lshlrev_b32_e32 v40, 16, v24
	v_and_b32_e32 v24, 0xffff0000, v24
	s_waitcnt lgkmcnt(1)
	v_lshlrev_b32_e32 v41, 16, v25
	v_and_b32_e32 v25, 0xffff0000, v25
	v_lshlrev_b32_e32 v42, 16, v26
	v_and_b32_e32 v26, 0xffff0000, v26
	s_waitcnt lgkmcnt(0)
	v_lshlrev_b32_e32 v43, 16, v37
	v_and_b32_e32 v37, 0xffff0000, v37
	v_lshlrev_b32_e32 v38, 2, v38
	v_cmp_lt_i32_e64 s[6:7], v18, v16
	s_waitcnt vmcnt(9)
	v_lshlrev_b32_e32 v27, 16, v27
	v_mul_f32_e32 v27, v39, v27
	s_waitcnt vmcnt(8)
	v_lshlrev_b32_e32 v28, 16, v28
	s_waitcnt vmcnt(7)
	v_lshlrev_b32_e32 v29, 16, v29
	;; [unrolled: 2-line block ×6, first 2 shown]
	v_fmac_f32_e32 v27, v23, v34
	v_fmac_f32_e32 v27, v40, v28
	;; [unrolled: 1-line block ×5, first 2 shown]
	v_lshlrev_b32_e32 v33, 16, v33
	v_fmac_f32_e32 v27, v42, v32
	s_waitcnt vmcnt(1)
	v_lshlrev_b32_e32 v35, 16, v35
	v_fmac_f32_e32 v27, v26, v33
	v_fmac_f32_e32 v27, v43, v35
	s_waitcnt vmcnt(0)
	v_lshlrev_b32_e32 v23, 16, v36
	v_fmac_f32_e32 v27, v37, v23
	ds_bpermute_b32 v23, v38, v27
	v_cndmask_b32_e64 v24, v15, v18, s[6:7]
	v_lshlrev_b32_e32 v24, 2, v24
	v_xor_b32_e32 v25, 1, v15
	v_cmp_lt_i32_e64 s[6:7], v25, v16
	s_waitcnt lgkmcnt(0)
	v_add_f32_e32 v23, v27, v23
	ds_bpermute_b32 v24, v24, v23
	v_cndmask_b32_e64 v25, v15, v25, s[6:7]
	v_lshlrev_b32_e32 v25, 2, v25
	s_waitcnt lgkmcnt(0)
	v_add_f32_e32 v23, v23, v24
	ds_bpermute_b32 v24, v25, v23
	s_and_saveexec_b64 s[40:41], vcc
	s_cbranch_execz .LBB110_11
; %bb.19:                               ;   in Loop: Header=BB110_13 Depth=1
	v_add_u32_e32 v25, v12, v11
	v_cvt_f32_i32_e32 v25, v25
	s_waitcnt lgkmcnt(0)
	v_add_f32_e32 v23, v23, v24
	v_add_u32_e32 v26, v5, v11
	v_cmp_gt_i32_e64 s[6:7], s21, v26
	v_mul_f32_e32 v24, s45, v25
	v_cndmask_b32_e64 v24, 0, v24, s[4:5]
	v_fmac_f32_e32 v24, s35, v23
	v_cndmask_b32_e64 v23, 0, v24, s[6:7]
	ds_write_b32 v13, v23
	v_max_f32_e32 v23, v8, v8
	v_max_f32_e32 v23, v23, v24
	v_cndmask_b32_e64 v8, v8, v23, s[6:7]
	s_branch .LBB110_11
.LBB110_20:
	s_or_b64 exec, exec, s[38:39]
.LBB110_21:
	s_or_b64 exec, exec, s[36:37]
	v_mbcnt_hi_u32_b32 v1, -1, v4
	v_and_b32_e32 v10, 64, v1
	v_add_u32_e32 v2, 64, v10
	v_xor_b32_e32 v4, 32, v1
	v_cmp_lt_i32_e32 vcc, v4, v2
	v_cndmask_b32_e32 v4, v1, v4, vcc
	v_lshlrev_b32_e32 v5, 2, v4
	ds_bpermute_b32 v4, v5, v8
	v_xor_b32_e32 v7, 16, v1
	v_max_f32_e32 v6, v8, v8
	v_cmp_lt_i32_e32 vcc, v7, v2
	v_xor_b32_e32 v8, 8, v1
	s_waitcnt lgkmcnt(0)
	v_max_f32_e32 v4, v4, v4
	v_max_f32_e32 v4, v6, v4
	v_cndmask_b32_e32 v6, v1, v7, vcc
	v_lshlrev_b32_e32 v7, 2, v6
	ds_bpermute_b32 v6, v7, v4
	v_cmp_lt_i32_e32 vcc, v8, v2
	v_and_b32_e32 v22, 63, v0
	s_waitcnt lgkmcnt(0)
	v_max_f32_e32 v6, v6, v6
	v_max_f32_e32 v6, v4, v6
	v_cndmask_b32_e32 v4, v1, v8, vcc
	v_lshlrev_b32_e32 v9, 2, v4
	ds_bpermute_b32 v8, v9, v6
	v_cmp_eq_u32_e32 vcc, 0, v22
	v_lshlrev_b32_e32 v4, 2, v20
	s_and_saveexec_b64 s[4:5], vcc
	s_cbranch_execz .LBB110_23
; %bb.22:
	s_waitcnt lgkmcnt(0)
	v_max_f32_e32 v8, v8, v8
	v_max_f32_e32 v6, v6, v6
	;; [unrolled: 1-line block ×3, first 2 shown]
	ds_write_b32 v4, v6 offset:160
.LBB110_23:
	s_or_b64 exec, exec, s[4:5]
	v_cmp_gt_u32_e64 s[4:5], 2, v22
	v_mov_b32_e32 v11, 0xff7fffff
	v_lshlrev_b32_e32 v6, 2, v22
	s_waitcnt lgkmcnt(0)
	s_barrier
	s_and_saveexec_b64 s[6:7], s[4:5]
; %bb.24:
	ds_read_b32 v11, v6 offset:160
; %bb.25:
	s_or_b64 exec, exec, s[6:7]
	v_xor_b32_e32 v8, 1, v1
	v_cmp_lt_i32_e64 s[6:7], v8, v2
	v_cndmask_b32_e64 v8, v1, v8, s[6:7]
	v_lshlrev_b32_e32 v8, 2, v8
	s_waitcnt lgkmcnt(0)
	ds_bpermute_b32 v12, v8, v11
	v_max_f32_e32 v11, v11, v11
	v_lshlrev_b32_e32 v10, 2, v10
	s_lshl_b32 s6, s44, 3
	s_min_i32 s15, s6, s21
	s_waitcnt lgkmcnt(0)
	v_max_f32_e32 v12, v12, v12
	v_max_f32_e32 v11, v11, v12
	ds_bpermute_b32 v11, v10, v11
	v_cmp_gt_i32_e64 s[6:7], s15, v0
	v_mov_b32_e32 v10, 0
	s_and_saveexec_b64 s[34:35], s[6:7]
	s_cbranch_execz .LBB110_29
; %bb.26:
	v_mov_b32_e32 v10, 0xb0
	v_lshl_add_u32 v12, v0, 2, v10
	v_mov_b32_e32 v10, 0
	s_mov_b64 s[36:37], 0
	v_mov_b32_e32 v13, v0
.LBB110_27:                             ; =>This Inner Loop Header: Depth=1
	ds_read_b32 v14, v12
	v_add_u32_e32 v13, 0x80, v13
	v_cmp_le_i32_e64 s[10:11], s15, v13
	s_or_b64 s[36:37], s[10:11], s[36:37]
	s_waitcnt lgkmcnt(0)
	v_sub_f32_e32 v14, v14, v11
	v_mul_f32_e32 v14, 0x3fb8aa3b, v14
	v_exp_f32_e32 v14, v14
	ds_write_b32 v12, v14
	v_add_f32_e32 v10, v10, v14
	v_add_u32_e32 v12, 0x200, v12
	s_andn2_b64 exec, exec, s[36:37]
	s_cbranch_execnz .LBB110_27
; %bb.28:
	s_or_b64 exec, exec, s[36:37]
.LBB110_29:
	s_or_b64 exec, exec, s[34:35]
	ds_bpermute_b32 v5, v5, v10
	s_waitcnt lgkmcnt(0)
	v_add_f32_e32 v5, v10, v5
	ds_bpermute_b32 v7, v7, v5
	s_waitcnt lgkmcnt(0)
	v_add_f32_e32 v5, v5, v7
	ds_bpermute_b32 v7, v9, v5
	v_xor_b32_e32 v9, 4, v1
	v_cmp_lt_i32_e64 s[10:11], v9, v2
	v_cndmask_b32_e64 v9, v1, v9, s[10:11]
	v_lshlrev_b32_e32 v9, 2, v9
	s_waitcnt lgkmcnt(0)
	v_add_f32_e32 v5, v5, v7
	ds_bpermute_b32 v7, v9, v5
	v_xor_b32_e32 v9, 2, v1
	v_cmp_lt_i32_e64 s[10:11], v9, v2
	v_cndmask_b32_e64 v2, v1, v9, s[10:11]
	v_lshlrev_b32_e32 v2, 2, v2
	s_waitcnt lgkmcnt(0)
	v_add_f32_e32 v5, v5, v7
	ds_bpermute_b32 v2, v2, v5
	s_waitcnt lgkmcnt(0)
	v_add_f32_e32 v2, v5, v2
	ds_bpermute_b32 v5, v8, v2
	s_waitcnt lgkmcnt(0)
	v_add_f32_e32 v2, v2, v5
	s_and_saveexec_b64 s[10:11], vcc
; %bb.30:
	ds_write_b32 v4, v2 offset:168
; %bb.31:
	s_or_b64 exec, exec, s[10:11]
	s_waitcnt lgkmcnt(0)
	s_barrier
	s_and_saveexec_b64 s[10:11], s[4:5]
; %bb.32:
	ds_read_b32 v2, v6 offset:168
; %bb.33:
	s_or_b64 exec, exec, s[10:11]
	s_waitcnt lgkmcnt(0)
	ds_bpermute_b32 v4, v8, v2
	v_lshlrev_b32_e32 v1, 2, v1
	v_and_b32_e32 v1, 0x100, v1
	s_waitcnt lgkmcnt(0)
	v_add_f32_e32 v2, v2, v4
	ds_bpermute_b32 v1, v1, v2
	s_and_saveexec_b64 s[4:5], s[6:7]
	s_cbranch_execz .LBB110_36
; %bb.34:
	s_waitcnt lgkmcnt(0)
	v_add_f32_e32 v2, 0x358637bd, v1
	v_div_scale_f32 v1, s[6:7], v2, v2, 1.0
	v_div_scale_f32 v4, vcc, 1.0, v2, 1.0
	s_mov_b64 s[6:7], 0
	v_rcp_f32_e32 v5, v1
	v_fma_f32 v6, -v1, v5, 1.0
	v_fmac_f32_e32 v5, v6, v5
	v_mul_f32_e32 v6, v4, v5
	v_fma_f32 v7, -v1, v6, v4
	v_fmac_f32_e32 v6, v7, v5
	v_fma_f32 v1, -v1, v6, v4
	v_div_fmas_f32 v4, v1, v5, v6
	v_mov_b32_e32 v1, 0xb0
	v_lshl_add_u32 v1, v0, 2, v1
	v_div_fixup_f32 v2, v4, v2, 1.0
	v_mov_b32_e32 v4, v0
.LBB110_35:                             ; =>This Inner Loop Header: Depth=1
	ds_read_b32 v5, v1
	v_add_u32_e32 v4, 0x80, v4
	v_cmp_le_i32_e32 vcc, s15, v4
	s_or_b64 s[6:7], vcc, s[6:7]
	s_waitcnt lgkmcnt(0)
	v_mul_f32_e32 v5, v2, v5
	ds_write_b32 v1, v5
	v_add_u32_e32 v1, 0x200, v1
	s_andn2_b64 exec, exec, s[6:7]
	s_cbranch_execnz .LBB110_35
.LBB110_36:
	s_or_b64 exec, exec, s[4:5]
	v_mov_b32_e32 v15, 0
	v_mov_b32_e32 v16, v15
	;; [unrolled: 1-line block ×4, first 2 shown]
	s_waitcnt lgkmcnt(0)
	s_barrier
	s_and_saveexec_b64 s[10:11], s[2:3]
	s_cbranch_execz .LBB110_48
; %bb.37:
	s_ashr_i32 s15, s14, 31
	s_sub_i32 s34, s12, s17
	s_lshl_b64 s[2:3], s[14:15], 1
	s_add_u32 s30, s30, s2
	s_addc_u32 s31, s31, s3
	s_abs_i32 s18, s18
	v_cvt_f32_u32_e32 v1, s18
	s_sub_i32 s3, 0, s18
	s_add_i32 s37, s44, -1
	s_lshl_b64 s[4:5], s[28:29], 2
	v_rcp_iflag_f32_e32 v1, v1
	s_add_u32 s4, s26, s4
	v_and_b32_e32 v3, 60, v3
	s_addc_u32 s5, s27, s5
	v_mul_f32_e32 v1, 0x4f7ffffe, v1
	v_cvt_u32_f32_e32 v1, v1
	v_or_b32_e32 v4, 64, v22
	s_movk_i32 s2, 0x50
	v_add_co_u32_e32 v17, vcc, s4, v3
	v_mul_lo_u32 v5, s3, v1
	v_lshlrev_b32_e32 v2, 3, v22
	v_cmp_gt_u32_e64 s[2:3], s2, v4
	v_lshlrev_b32_e32 v4, 3, v4
	v_mul_hi_u32 v5, v1, v5
	v_mov_b32_e32 v16, v15
	v_mov_b32_e32 v13, v15
	s_mov_b32 s35, s13
	v_add_u32_e32 v23, v1, v5
	v_mov_b32_e32 v1, s5
	v_addc_co_u32_e32 v18, vcc, 0, v1, vcc
	v_mov_b32_e32 v1, 0xb0
	s_mov_b32 s36, s21
	v_lshl_add_u32 v24, v20, 5, v1
	s_mov_b64 s[12:13], 0
	v_lshlrev_b32_e32 v25, 1, v2
	s_mov_b32 s26, 0x5040100
	s_movk_i32 s27, 0x7fff
	s_mov_b32 s28, 0x7060302
	v_lshlrev_b32_e32 v26, 1, v4
	v_mov_b32_e32 v14, v16
	s_branch .LBB110_41
.LBB110_38:                             ;   in Loop: Header=BB110_41 Depth=1
	s_or_b64 exec, exec, s[16:17]
	v_perm_b32 v9, v10, v9, s28
	v_perm_b32 v5, v6, v5, s28
	;; [unrolled: 1-line block ×3, first 2 shown]
	s_waitcnt vmcnt(0)
	v_lshlrev_b32_e32 v7, 16, v1
	v_lshlrev_b32_e32 v8, 16, v9
	v_mul_f32_e32 v7, v8, v7
	v_bfe_u32 v8, v7, 16, 1
	v_perm_b32 v10, v12, v11, s28
	v_add3_u32 v8, v8, v7, s27
	v_or_b32_e32 v11, 0x400000, v7
	v_cmp_u_f32_e32 vcc, v7, v7
	v_cndmask_b32_e32 v7, v8, v11, vcc
	v_and_b32_e32 v1, 0xffff0000, v1
	v_and_b32_e32 v8, 0xffff0000, v9
	v_mul_f32_e32 v1, v8, v1
	v_bfe_u32 v8, v1, 16, 1
	v_add3_u32 v8, v8, v1, s27
	v_or_b32_e32 v9, 0x400000, v1
	v_cmp_u_f32_e32 vcc, v1, v1
	v_cndmask_b32_e32 v1, v8, v9, vcc
	v_lshlrev_b32_e32 v8, 16, v2
	v_lshlrev_b32_e32 v9, 16, v10
	v_mul_f32_e32 v8, v9, v8
	v_bfe_u32 v9, v8, 16, 1
	v_add3_u32 v9, v9, v8, s27
	v_or_b32_e32 v11, 0x400000, v8
	v_cmp_u_f32_e32 vcc, v8, v8
	v_cndmask_b32_e32 v8, v9, v11, vcc
	v_and_b32_e32 v2, 0xffff0000, v2
	v_and_b32_e32 v9, 0xffff0000, v10
	v_mul_f32_e32 v2, v9, v2
	v_bfe_u32 v9, v2, 16, 1
	v_add3_u32 v9, v9, v2, s27
	v_or_b32_e32 v10, 0x400000, v2
	v_cmp_u_f32_e32 vcc, v2, v2
	v_cndmask_b32_e32 v2, v9, v10, vcc
	v_lshlrev_b32_e32 v9, 16, v3
	v_lshlrev_b32_e32 v10, 16, v5
	v_mul_f32_e32 v9, v10, v9
	v_and_b32_e32 v3, 0xffff0000, v3
	v_and_b32_e32 v5, 0xffff0000, v5
	v_bfe_u32 v10, v9, 16, 1
	v_mul_f32_e32 v3, v5, v3
	v_add3_u32 v10, v10, v9, s27
	v_or_b32_e32 v11, 0x400000, v9
	v_cmp_u_f32_e32 vcc, v9, v9
	v_bfe_u32 v5, v3, 16, 1
	v_cndmask_b32_e32 v9, v10, v11, vcc
	v_add3_u32 v5, v5, v3, s27
	v_or_b32_e32 v10, 0x400000, v3
	v_cmp_u_f32_e32 vcc, v3, v3
	v_cndmask_b32_e32 v3, v5, v10, vcc
	v_lshlrev_b32_e32 v5, 16, v4
	v_lshlrev_b32_e32 v10, 16, v6
	v_mul_f32_e32 v5, v10, v5
	v_and_b32_e32 v4, 0xffff0000, v4
	v_and_b32_e32 v6, 0xffff0000, v6
	v_bfe_u32 v10, v5, 16, 1
	v_mul_f32_e32 v4, v6, v4
	v_add3_u32 v10, v10, v5, s27
	v_or_b32_e32 v11, 0x400000, v5
	v_cmp_u_f32_e32 vcc, v5, v5
	v_bfe_u32 v6, v4, 16, 1
	v_cndmask_b32_e32 v5, v10, v11, vcc
	v_add3_u32 v6, v6, v4, s27
	v_or_b32_e32 v10, 0x400000, v4
	v_cmp_u_f32_e32 vcc, v4, v4
	v_cndmask_b32_e32 v4, v6, v10, vcc
	v_and_b32_e32 v1, 0xffff0000, v1
	v_and_b32_e32 v6, 0xffff0000, v7
	v_add_f32_e32 v1, v6, v1
	v_and_b32_e32 v2, 0xffff0000, v2
	v_and_b32_e32 v6, 0xffff0000, v8
	v_add_f32_e32 v2, v6, v2
	v_add_f32_e32 v1, v2, v1
	v_and_b32_e32 v2, 0xffff0000, v3
	v_and_b32_e32 v3, 0xffff0000, v9
	v_add_f32_e32 v2, v3, v2
	;; [unrolled: 4-line block ×3, first 2 shown]
	v_add_f32_e32 v1, v2, v1
	v_add_f32_e32 v14, v14, v1
.LBB110_39:                             ;   in Loop: Header=BB110_41 Depth=1
	s_or_b64 exec, exec, s[6:7]
.LBB110_40:                             ;   in Loop: Header=BB110_41 Depth=1
	s_or_b64 exec, exec, s[14:15]
	v_add_co_u32_e32 v17, vcc, 8, v17
	v_add_u32_e32 v20, 2, v20
	v_addc_co_u32_e32 v18, vcc, 0, v18, vcc
	v_cmp_le_i32_e32 vcc, s44, v20
	v_add_u32_e32 v21, 16, v21
	s_or_b64 s[12:13], vcc, s[12:13]
	v_add_u32_e32 v24, 64, v24
	s_andn2_b64 exec, exec, s[12:13]
	s_cbranch_execz .LBB110_47
.LBB110_41:                             ; =>This Inner Loop Header: Depth=1
	v_mul_hi_u32 v1, v21, s33
	v_mul_lo_u32 v2, v1, s23
	v_add_u32_e32 v3, 1, v1
	v_sub_u32_e32 v2, v21, v2
	v_cmp_le_u32_e32 vcc, s23, v2
	v_cndmask_b32_e32 v1, v1, v3, vcc
	v_subrev_u32_e32 v3, s23, v2
	v_cndmask_b32_e32 v2, v2, v3, vcc
	v_add_u32_e32 v3, 1, v1
	v_cmp_le_u32_e32 vcc, s23, v2
	v_cndmask_b32_e32 v1, v1, v3, vcc
	v_xor_b32_e32 v1, s43, v1
	v_subrev_u32_e32 v1, s43, v1
	v_add_u32_e32 v2, s42, v1
	v_sub_u32_e32 v3, 0, v2
	v_max_i32_e32 v3, v2, v3
	v_mul_hi_u32 v4, v3, v23
	v_ashrrev_i32_e32 v2, 31, v2
	v_cmp_lt_i32_e64 s[4:5], s34, v1
	v_mul_lo_u32 v4, v4, s18
	v_sub_u32_e32 v3, v3, v4
	v_subrev_u32_e32 v4, s18, v3
	v_cmp_le_u32_e32 vcc, s18, v3
	v_cndmask_b32_e32 v3, v3, v4, vcc
	v_subrev_u32_e32 v4, s18, v3
	v_cmp_le_u32_e32 vcc, s18, v3
	v_cndmask_b32_e32 v3, v3, v4, vcc
	v_xor_b32_e32 v3, v3, v2
	v_sub_u32_e32 v2, v3, v2
	v_cmp_eq_u32_e32 vcc, 0, v2
	s_or_b64 s[4:5], vcc, s[4:5]
	s_and_saveexec_b64 s[14:15], s[4:5]
	s_cbranch_execz .LBB110_40
; %bb.42:                               ;   in Loop: Header=BB110_41 Depth=1
	global_load_dword v1, v[17:18], off
	v_mov_b32_e32 v3, s31
	s_waitcnt vmcnt(0)
	v_mad_i64_i32 v[1:2], s[4:5], v1, s35, 0
	v_cmp_eq_u32_e64 s[4:5], s37, v20
	v_lshlrev_b64 v[1:2], 1, v[1:2]
	v_add_co_u32_e32 v16, vcc, s30, v1
	v_addc_co_u32_e32 v27, vcc, v3, v2, vcc
	v_add_co_u32_e32 v1, vcc, v16, v25
	v_addc_co_u32_e32 v2, vcc, 0, v27, vcc
	global_load_dwordx4 v[1:4], v[1:2], off
	ds_read2_b64 v[9:12], v24 offset1:1
	ds_read2_b64 v[5:8], v24 offset0:2 offset1:3
	s_and_saveexec_b64 s[16:17], s[4:5]
	s_cbranch_execz .LBB110_44
; %bb.43:                               ;   in Loop: Header=BB110_41 Depth=1
	v_add_u32_e32 v28, 1, v21
	v_cmp_gt_i32_e32 vcc, s36, v28
	s_waitcnt vmcnt(0)
	v_cndmask_b32_sdwa v28, v15, v1, vcc dst_sel:DWORD dst_unused:UNUSED_PAD src0_sel:DWORD src1_sel:WORD_1
	v_cmp_gt_i32_e32 vcc, s21, v21
	v_cndmask_b32_e32 v1, 0, v1, vcc
	v_perm_b32 v1, v28, v1, s26
	v_or_b32_e32 v28, 3, v21
	v_or_b32_e32 v29, 2, v21
	v_cmp_gt_i32_e32 vcc, s36, v28
	v_cmp_gt_i32_e64 s[6:7], s21, v29
	v_cndmask_b32_e64 v28, 0, v2, s[6:7]
	v_cndmask_b32_sdwa v2, v15, v2, vcc dst_sel:DWORD dst_unused:UNUSED_PAD src0_sel:DWORD src1_sel:WORD_1
	v_perm_b32 v2, v2, v28, s26
	v_or_b32_e32 v28, 5, v21
	v_or_b32_e32 v29, 4, v21
	v_cmp_gt_i32_e32 vcc, s36, v28
	v_cmp_gt_i32_e64 s[6:7], s21, v29
	v_cndmask_b32_e64 v28, 0, v3, s[6:7]
	v_cndmask_b32_sdwa v3, v15, v3, vcc dst_sel:DWORD dst_unused:UNUSED_PAD src0_sel:DWORD src1_sel:WORD_1
	;; [unrolled: 7-line block ×3, first 2 shown]
	v_perm_b32 v4, v4, v28, s26
.LBB110_44:                             ;   in Loop: Header=BB110_41 Depth=1
	s_or_b64 exec, exec, s[16:17]
	s_waitcnt lgkmcnt(1)
	v_bfe_u32 v28, v9, 16, 1
	v_add3_u32 v28, v28, v9, s27
	v_or_b32_e32 v29, 0x400000, v9
	v_cmp_u_f32_e32 vcc, v9, v9
	v_cndmask_b32_e32 v9, v28, v29, vcc
	v_bfe_u32 v28, v10, 16, 1
	v_add3_u32 v28, v28, v10, s27
	v_or_b32_e32 v29, 0x400000, v10
	v_cmp_u_f32_e32 vcc, v10, v10
	v_cndmask_b32_e32 v10, v28, v29, vcc
	;; [unrolled: 5-line block ×4, first 2 shown]
	s_waitcnt lgkmcnt(0)
	v_bfe_u32 v28, v5, 16, 1
	v_add3_u32 v28, v28, v5, s27
	v_or_b32_e32 v29, 0x400000, v5
	v_cmp_u_f32_e32 vcc, v5, v5
	v_cndmask_b32_e32 v5, v28, v29, vcc
	v_bfe_u32 v28, v6, 16, 1
	v_add3_u32 v28, v28, v6, s27
	v_or_b32_e32 v29, 0x400000, v6
	v_cmp_u_f32_e32 vcc, v6, v6
	v_cndmask_b32_e32 v6, v28, v29, vcc
	;; [unrolled: 5-line block ×4, first 2 shown]
	v_and_b32_e32 v28, 0xffff0000, v9
	s_waitcnt vmcnt(0)
	v_lshlrev_b32_e32 v29, 16, v1
	v_mul_f32_e32 v28, v28, v29
	v_bfe_u32 v29, v28, 16, 1
	v_add3_u32 v29, v29, v28, s27
	v_or_b32_e32 v30, 0x400000, v28
	v_cmp_u_f32_e32 vcc, v28, v28
	v_cndmask_b32_e32 v28, v29, v30, vcc
	v_and_b32_e32 v29, 0xffff0000, v10
	v_and_b32_e32 v1, 0xffff0000, v1
	v_mul_f32_e32 v1, v29, v1
	v_bfe_u32 v29, v1, 16, 1
	v_add3_u32 v29, v29, v1, s27
	v_or_b32_e32 v30, 0x400000, v1
	v_cmp_u_f32_e32 vcc, v1, v1
	v_cndmask_b32_e32 v1, v29, v30, vcc
	v_and_b32_e32 v29, 0xffff0000, v11
	v_lshlrev_b32_e32 v30, 16, v2
	v_mul_f32_e32 v29, v29, v30
	v_bfe_u32 v30, v29, 16, 1
	v_add3_u32 v30, v30, v29, s27
	v_or_b32_e32 v31, 0x400000, v29
	v_cmp_u_f32_e32 vcc, v29, v29
	v_cndmask_b32_e32 v29, v30, v31, vcc
	v_and_b32_e32 v30, 0xffff0000, v12
	v_and_b32_e32 v2, 0xffff0000, v2
	v_mul_f32_e32 v2, v30, v2
	v_bfe_u32 v30, v2, 16, 1
	v_add3_u32 v30, v30, v2, s27
	v_or_b32_e32 v31, 0x400000, v2
	v_cmp_u_f32_e32 vcc, v2, v2
	v_cndmask_b32_e32 v2, v30, v31, vcc
	v_and_b32_e32 v30, 0xffff0000, v5
	;; [unrolled: 16-line block ×3, first 2 shown]
	v_lshlrev_b32_e32 v32, 16, v4
	v_mul_f32_e32 v31, v31, v32
	v_bfe_u32 v32, v31, 16, 1
	v_add3_u32 v32, v32, v31, s27
	v_or_b32_e32 v33, 0x400000, v31
	v_cmp_u_f32_e32 vcc, v31, v31
	v_cndmask_b32_e32 v31, v32, v33, vcc
	v_and_b32_e32 v32, 0xffff0000, v8
	v_and_b32_e32 v4, 0xffff0000, v4
	;; [unrolled: 1-line block ×4, first 2 shown]
	v_mul_f32_e32 v4, v32, v4
	v_add_f32_e32 v1, v28, v1
	v_and_b32_e32 v2, 0xffff0000, v2
	v_and_b32_e32 v28, 0xffff0000, v29
	v_bfe_u32 v32, v4, 16, 1
	v_add_f32_e32 v2, v28, v2
	v_add3_u32 v32, v32, v4, s27
	v_or_b32_e32 v33, 0x400000, v4
	v_cmp_u_f32_e32 vcc, v4, v4
	v_add_f32_e32 v1, v2, v1
	v_and_b32_e32 v2, 0xffff0000, v3
	v_and_b32_e32 v3, 0xffff0000, v30
	v_cndmask_b32_e32 v4, v32, v33, vcc
	v_add_f32_e32 v2, v3, v2
	v_add_f32_e32 v1, v2, v1
	v_and_b32_e32 v2, 0xffff0000, v4
	v_and_b32_e32 v3, 0xffff0000, v31
	v_add_f32_e32 v2, v3, v2
	v_add_f32_e32 v1, v2, v1
	v_add_f32_e32 v13, v13, v1
	s_and_saveexec_b64 s[6:7], s[2:3]
	s_cbranch_execz .LBB110_39
; %bb.45:                               ;   in Loop: Header=BB110_41 Depth=1
	v_add_co_u32_e32 v1, vcc, v16, v26
	v_addc_co_u32_e32 v2, vcc, 0, v27, vcc
	global_load_dwordx4 v[1:4], v[1:2], off
	s_and_saveexec_b64 s[16:17], s[4:5]
	s_cbranch_execz .LBB110_38
; %bb.46:                               ;   in Loop: Header=BB110_41 Depth=1
	v_add_u32_e32 v16, 1, v21
	v_cmp_gt_i32_e32 vcc, s36, v16
	s_waitcnt vmcnt(0)
	v_cndmask_b32_sdwa v16, v15, v1, vcc dst_sel:DWORD dst_unused:UNUSED_PAD src0_sel:DWORD src1_sel:WORD_1
	v_cmp_gt_i32_e32 vcc, s21, v21
	v_cndmask_b32_e32 v1, 0, v1, vcc
	v_perm_b32 v1, v16, v1, s26
	v_or_b32_e32 v16, 3, v21
	v_or_b32_e32 v27, 2, v21
	v_cmp_gt_i32_e32 vcc, s36, v16
	v_cmp_gt_i32_e64 s[4:5], s21, v27
	v_cndmask_b32_e64 v16, 0, v2, s[4:5]
	v_cndmask_b32_sdwa v2, v15, v2, vcc dst_sel:DWORD dst_unused:UNUSED_PAD src0_sel:DWORD src1_sel:WORD_1
	v_perm_b32 v2, v2, v16, s26
	v_or_b32_e32 v16, 5, v21
	v_or_b32_e32 v27, 4, v21
	v_cmp_gt_i32_e32 vcc, s36, v16
	v_cmp_gt_i32_e64 s[4:5], s21, v27
	v_cndmask_b32_e64 v16, 0, v3, s[4:5]
	v_cndmask_b32_sdwa v3, v15, v3, vcc dst_sel:DWORD dst_unused:UNUSED_PAD src0_sel:DWORD src1_sel:WORD_1
	;; [unrolled: 7-line block ×3, first 2 shown]
	v_perm_b32 v4, v4, v16, s26
	s_branch .LBB110_38
.LBB110_47:
	s_or_b64 exec, exec, s[12:13]
.LBB110_48:
	s_or_b64 exec, exec, s[10:11]
	v_and_b32_e32 v1, 0x3c0, v0
	v_cmp_eq_u32_e32 vcc, 64, v1
	s_barrier
	s_and_saveexec_b64 s[2:3], vcc
	s_cbranch_execz .LBB110_51
; %bb.49:
	v_mov_b32_e32 v1, 0xb0
	v_lshl_add_u32 v2, v22, 2, v1
	ds_write_b32 v2, v13
	s_and_b64 exec, exec, s[0:1]
; %bb.50:
	v_lshl_add_u32 v1, v0, 2, v1
	ds_write_b32 v1, v14
.LBB110_51:
	s_or_b64 exec, exec, s[2:3]
	v_cmp_gt_u32_e32 vcc, 64, v0
	v_or_b32_e32 v1, 64, v0
	s_waitcnt lgkmcnt(0)
	s_barrier
	s_and_saveexec_b64 s[2:3], vcc
	s_cbranch_execz .LBB110_55
; %bb.52:
	v_mov_b32_e32 v2, 0xb0
	v_lshl_add_u32 v0, v0, 2, v2
	ds_read_b32 v2, v0
	s_movk_i32 s0, 0x50
	v_cmp_gt_u32_e64 s[0:1], s0, v1
	s_waitcnt lgkmcnt(0)
	v_add_f32_e32 v13, v13, v2
	s_and_saveexec_b64 s[4:5], s[0:1]
	s_cbranch_execz .LBB110_54
; %bb.53:
	ds_read_b32 v0, v0 offset:256
	s_waitcnt lgkmcnt(0)
	v_add_f32_e32 v14, v14, v0
.LBB110_54:
	s_or_b64 exec, exec, s[4:5]
.LBB110_55:
	s_or_b64 exec, exec, s[2:3]
	s_barrier
	s_and_saveexec_b64 s[0:1], vcc
	s_cbranch_execz .LBB110_58
; %bb.56:
	s_mul_i32 s0, s20, s19
	s_mul_i32 s0, s0, s9
	s_mulk_i32 s0, 0x50
	s_ashr_i32 s1, s0, 31
	s_lshl_b64 s[0:1], s[0:1], 1
	s_add_u32 s2, s24, s0
	s_mul_i32 s0, s19, s22
	s_addc_u32 s4, s25, s1
	s_ashr_i32 s1, s0, 31
	s_lshl_b64 s[0:1], s[0:1], 1
	s_add_u32 s2, s2, s0
	s_mul_i32 s0, s8, 0x50
	s_addc_u32 s4, s4, s1
	s_ashr_i32 s1, s0, 31
	s_lshl_b64 s[0:1], s[0:1], 1
	s_add_u32 s0, s2, s0
	v_bfe_u32 v0, v13, 16, 1
	s_movk_i32 s2, 0x7fff
	s_movk_i32 s3, 0x50
	v_add3_u32 v0, v0, v13, s2
	v_or_b32_e32 v2, 0x400000, v13
	v_cmp_u_f32_e32 vcc, v13, v13
	s_addc_u32 s1, s4, s1
	v_cndmask_b32_e32 v0, v0, v2, vcc
	v_cmp_gt_u32_e32 vcc, s3, v1
	global_store_short_d16_hi v19, v0, s[0:1]
	s_and_b64 exec, exec, vcc
	s_cbranch_execz .LBB110_58
; %bb.57:
	v_mov_b32_e32 v1, s1
	v_add_co_u32_e32 v0, vcc, s0, v19
	v_addc_co_u32_e32 v1, vcc, 0, v1, vcc
	v_bfe_u32 v2, v14, 16, 1
	v_add3_u32 v2, v2, v14, s2
	v_or_b32_e32 v3, 0x400000, v14
	v_cmp_u_f32_e32 vcc, v14, v14
	v_cndmask_b32_e32 v2, v2, v3, vcc
	global_store_short_d16_hi v[0:1], v2, off offset:128
.LBB110_58:
	s_endpgm
	.section	.rodata,"a",@progbits
	.p2align	6, 0x0
	.amdhsa_kernel _ZN4vllm25paged_attention_v1_kernelI14__hip_bfloat16S1_Li80ELi8ELi128ELNS_18Fp8KVCacheDataTypeE0ELb1EEEvPT_PKS3_PKT0_S9_ifPKiSB_iPKfiiiSD_SD_iiiii
		.amdhsa_group_segment_fixed_size 176
		.amdhsa_private_segment_fixed_size 0
		.amdhsa_kernarg_size 384
		.amdhsa_user_sgpr_count 6
		.amdhsa_user_sgpr_private_segment_buffer 1
		.amdhsa_user_sgpr_dispatch_ptr 0
		.amdhsa_user_sgpr_queue_ptr 0
		.amdhsa_user_sgpr_kernarg_segment_ptr 1
		.amdhsa_user_sgpr_dispatch_id 0
		.amdhsa_user_sgpr_flat_scratch_init 0
		.amdhsa_user_sgpr_private_segment_size 0
		.amdhsa_uses_dynamic_stack 0
		.amdhsa_system_sgpr_private_segment_wavefront_offset 0
		.amdhsa_system_sgpr_workgroup_id_x 1
		.amdhsa_system_sgpr_workgroup_id_y 1
		.amdhsa_system_sgpr_workgroup_id_z 1
		.amdhsa_system_sgpr_workgroup_info 0
		.amdhsa_system_vgpr_workitem_id 0
		.amdhsa_next_free_vgpr 44
		.amdhsa_next_free_sgpr 46
		.amdhsa_reserve_vcc 1
		.amdhsa_reserve_flat_scratch 0
		.amdhsa_float_round_mode_32 0
		.amdhsa_float_round_mode_16_64 0
		.amdhsa_float_denorm_mode_32 3
		.amdhsa_float_denorm_mode_16_64 3
		.amdhsa_dx10_clamp 1
		.amdhsa_ieee_mode 1
		.amdhsa_fp16_overflow 0
		.amdhsa_exception_fp_ieee_invalid_op 0
		.amdhsa_exception_fp_denorm_src 0
		.amdhsa_exception_fp_ieee_div_zero 0
		.amdhsa_exception_fp_ieee_overflow 0
		.amdhsa_exception_fp_ieee_underflow 0
		.amdhsa_exception_fp_ieee_inexact 0
		.amdhsa_exception_int_div_zero 0
	.end_amdhsa_kernel
	.section	.text._ZN4vllm25paged_attention_v1_kernelI14__hip_bfloat16S1_Li80ELi8ELi128ELNS_18Fp8KVCacheDataTypeE0ELb1EEEvPT_PKS3_PKT0_S9_ifPKiSB_iPKfiiiSD_SD_iiiii,"axG",@progbits,_ZN4vllm25paged_attention_v1_kernelI14__hip_bfloat16S1_Li80ELi8ELi128ELNS_18Fp8KVCacheDataTypeE0ELb1EEEvPT_PKS3_PKT0_S9_ifPKiSB_iPKfiiiSD_SD_iiiii,comdat
.Lfunc_end110:
	.size	_ZN4vllm25paged_attention_v1_kernelI14__hip_bfloat16S1_Li80ELi8ELi128ELNS_18Fp8KVCacheDataTypeE0ELb1EEEvPT_PKS3_PKT0_S9_ifPKiSB_iPKfiiiSD_SD_iiiii, .Lfunc_end110-_ZN4vllm25paged_attention_v1_kernelI14__hip_bfloat16S1_Li80ELi8ELi128ELNS_18Fp8KVCacheDataTypeE0ELb1EEEvPT_PKS3_PKT0_S9_ifPKiSB_iPKfiiiSD_SD_iiiii
                                        ; -- End function
	.set _ZN4vllm25paged_attention_v1_kernelI14__hip_bfloat16S1_Li80ELi8ELi128ELNS_18Fp8KVCacheDataTypeE0ELb1EEEvPT_PKS3_PKT0_S9_ifPKiSB_iPKfiiiSD_SD_iiiii.num_vgpr, 44
	.set _ZN4vllm25paged_attention_v1_kernelI14__hip_bfloat16S1_Li80ELi8ELi128ELNS_18Fp8KVCacheDataTypeE0ELb1EEEvPT_PKS3_PKT0_S9_ifPKiSB_iPKfiiiSD_SD_iiiii.num_agpr, 0
	.set _ZN4vllm25paged_attention_v1_kernelI14__hip_bfloat16S1_Li80ELi8ELi128ELNS_18Fp8KVCacheDataTypeE0ELb1EEEvPT_PKS3_PKT0_S9_ifPKiSB_iPKfiiiSD_SD_iiiii.numbered_sgpr, 46
	.set _ZN4vllm25paged_attention_v1_kernelI14__hip_bfloat16S1_Li80ELi8ELi128ELNS_18Fp8KVCacheDataTypeE0ELb1EEEvPT_PKS3_PKT0_S9_ifPKiSB_iPKfiiiSD_SD_iiiii.num_named_barrier, 0
	.set _ZN4vllm25paged_attention_v1_kernelI14__hip_bfloat16S1_Li80ELi8ELi128ELNS_18Fp8KVCacheDataTypeE0ELb1EEEvPT_PKS3_PKT0_S9_ifPKiSB_iPKfiiiSD_SD_iiiii.private_seg_size, 0
	.set _ZN4vllm25paged_attention_v1_kernelI14__hip_bfloat16S1_Li80ELi8ELi128ELNS_18Fp8KVCacheDataTypeE0ELb1EEEvPT_PKS3_PKT0_S9_ifPKiSB_iPKfiiiSD_SD_iiiii.uses_vcc, 1
	.set _ZN4vllm25paged_attention_v1_kernelI14__hip_bfloat16S1_Li80ELi8ELi128ELNS_18Fp8KVCacheDataTypeE0ELb1EEEvPT_PKS3_PKT0_S9_ifPKiSB_iPKfiiiSD_SD_iiiii.uses_flat_scratch, 0
	.set _ZN4vllm25paged_attention_v1_kernelI14__hip_bfloat16S1_Li80ELi8ELi128ELNS_18Fp8KVCacheDataTypeE0ELb1EEEvPT_PKS3_PKT0_S9_ifPKiSB_iPKfiiiSD_SD_iiiii.has_dyn_sized_stack, 0
	.set _ZN4vllm25paged_attention_v1_kernelI14__hip_bfloat16S1_Li80ELi8ELi128ELNS_18Fp8KVCacheDataTypeE0ELb1EEEvPT_PKS3_PKT0_S9_ifPKiSB_iPKfiiiSD_SD_iiiii.has_recursion, 0
	.set _ZN4vllm25paged_attention_v1_kernelI14__hip_bfloat16S1_Li80ELi8ELi128ELNS_18Fp8KVCacheDataTypeE0ELb1EEEvPT_PKS3_PKT0_S9_ifPKiSB_iPKfiiiSD_SD_iiiii.has_indirect_call, 0
	.section	.AMDGPU.csdata,"",@progbits
; Kernel info:
; codeLenInByte = 5236
; TotalNumSgprs: 50
; NumVgprs: 44
; ScratchSize: 0
; MemoryBound: 0
; FloatMode: 240
; IeeeMode: 1
; LDSByteSize: 176 bytes/workgroup (compile time only)
; SGPRBlocks: 6
; VGPRBlocks: 10
; NumSGPRsForWavesPerEU: 50
; NumVGPRsForWavesPerEU: 44
; Occupancy: 5
; WaveLimiterHint : 1
; COMPUTE_PGM_RSRC2:SCRATCH_EN: 0
; COMPUTE_PGM_RSRC2:USER_SGPR: 6
; COMPUTE_PGM_RSRC2:TRAP_HANDLER: 0
; COMPUTE_PGM_RSRC2:TGID_X_EN: 1
; COMPUTE_PGM_RSRC2:TGID_Y_EN: 1
; COMPUTE_PGM_RSRC2:TGID_Z_EN: 1
; COMPUTE_PGM_RSRC2:TIDIG_COMP_CNT: 0
	.section	.text._ZN4vllm25paged_attention_v1_kernelI14__hip_bfloat16S1_Li96ELi8ELi128ELNS_18Fp8KVCacheDataTypeE0ELb1EEEvPT_PKS3_PKT0_S9_ifPKiSB_iPKfiiiSD_SD_iiiii,"axG",@progbits,_ZN4vllm25paged_attention_v1_kernelI14__hip_bfloat16S1_Li96ELi8ELi128ELNS_18Fp8KVCacheDataTypeE0ELb1EEEvPT_PKS3_PKT0_S9_ifPKiSB_iPKfiiiSD_SD_iiiii,comdat
	.protected	_ZN4vllm25paged_attention_v1_kernelI14__hip_bfloat16S1_Li96ELi8ELi128ELNS_18Fp8KVCacheDataTypeE0ELb1EEEvPT_PKS3_PKT0_S9_ifPKiSB_iPKfiiiSD_SD_iiiii ; -- Begin function _ZN4vllm25paged_attention_v1_kernelI14__hip_bfloat16S1_Li96ELi8ELi128ELNS_18Fp8KVCacheDataTypeE0ELb1EEEvPT_PKS3_PKT0_S9_ifPKiSB_iPKfiiiSD_SD_iiiii
	.globl	_ZN4vllm25paged_attention_v1_kernelI14__hip_bfloat16S1_Li96ELi8ELi128ELNS_18Fp8KVCacheDataTypeE0ELb1EEEvPT_PKS3_PKT0_S9_ifPKiSB_iPKfiiiSD_SD_iiiii
	.p2align	8
	.type	_ZN4vllm25paged_attention_v1_kernelI14__hip_bfloat16S1_Li96ELi8ELi128ELNS_18Fp8KVCacheDataTypeE0ELb1EEEvPT_PKS3_PKT0_S9_ifPKiSB_iPKfiiiSD_SD_iiiii,@function
_ZN4vllm25paged_attention_v1_kernelI14__hip_bfloat16S1_Li96ELi8ELi128ELNS_18Fp8KVCacheDataTypeE0ELb1EEEvPT_PKS3_PKT0_S9_ifPKiSB_iPKfiiiSD_SD_iiiii: ; @_ZN4vllm25paged_attention_v1_kernelI14__hip_bfloat16S1_Li96ELi8ELi128ELNS_18Fp8KVCacheDataTypeE0ELb1EEEvPT_PKS3_PKT0_S9_ifPKiSB_iPKfiiiSD_SD_iiiii
; %bb.0:
	s_load_dword s9, s[4:5], 0x80
	s_load_dwordx2 s[0:1], s[4:5], 0x30
	s_load_dwordx2 s[34:35], s[4:5], 0x20
	s_mov_b32 s20, s7
	s_ashr_i32 s21, s7, 31
	s_lshl_b64 s[2:3], s[20:21], 2
	s_waitcnt lgkmcnt(0)
	s_add_u32 s0, s0, s2
	s_addc_u32 s1, s1, s3
	s_abs_i32 s2, s34
	v_cvt_f32_u32_e32 v1, s2
	s_sub_i32 s10, 0, s2
	s_abs_i32 s7, s9
	s_xor_b32 s3, s9, s34
	v_rcp_iflag_f32_e32 v1, v1
	s_ashr_i32 s3, s3, 31
	s_mov_b32 s45, 0
	v_mul_f32_e32 v1, 0x4f7ffffe, v1
	v_cvt_u32_f32_e32 v1, v1
	v_readfirstlane_b32 s11, v1
	s_mul_i32 s10, s10, s11
	s_mul_hi_u32 s10, s11, s10
	s_add_i32 s11, s11, s10
	s_mul_hi_u32 s10, s7, s11
	s_mul_i32 s11, s10, s2
	s_sub_i32 s7, s7, s11
	s_add_i32 s11, s10, 1
	s_sub_i32 s12, s7, s2
	s_cmp_ge_u32 s7, s2
	s_cselect_b32 s10, s11, s10
	s_cselect_b32 s7, s12, s7
	s_add_i32 s11, s10, 1
	s_cmp_ge_u32 s7, s2
	s_cselect_b32 s2, s11, s10
	s_xor_b32 s2, s2, s3
	s_sub_i32 s12, s2, s3
	s_abs_i32 s10, s12
	v_cvt_f32_u32_e32 v1, s10
	s_load_dwordx2 s[2:3], s[4:5], 0x40
	s_sub_i32 s7, 0, s10
	s_abs_i32 s11, s6
	v_rcp_iflag_f32_e32 v1, v1
	v_mul_f32_e32 v1, 0x4f7ffffe, v1
	v_cvt_u32_f32_e32 v1, v1
	v_readfirstlane_b32 s13, v1
	s_mul_i32 s7, s7, s13
	s_mul_hi_u32 s7, s13, s7
	s_add_i32 s13, s13, s7
	s_waitcnt lgkmcnt(0)
	s_cmp_eq_u64 s[2:3], 0
	s_mul_hi_u32 s24, s11, s13
	s_cbranch_scc1 .LBB111_2
; %bb.1:
	s_ashr_i32 s7, s6, 31
	s_lshl_b64 s[14:15], s[6:7], 2
	s_add_u32 s2, s2, s14
	s_addc_u32 s3, s3, s15
	s_load_dword s45, s[2:3], 0x0
.LBB111_2:
	s_load_dword s21, s[0:1], 0x0
	s_ashr_i32 s25, s12, 31
	s_load_dwordx4 s[12:15], s[4:5], 0x48
	s_movk_i32 s0, 0x60
	s_ashr_i32 s7, s6, 31
	v_and_b32_e32 v1, 7, v0
	s_mul_i32 s22, s6, 0x60
	v_cmp_gt_u32_e64 s[0:1], s0, v0
	v_lshlrev_b32_e32 v19, 1, v0
	s_and_saveexec_b64 s[2:3], s[0:1]
	s_cbranch_execz .LBB111_4
; %bb.3:
	s_load_dwordx2 s[16:17], s[4:5], 0x8
	s_waitcnt lgkmcnt(0)
	s_mul_i32 s18, s12, s20
	s_ashr_i32 s19, s18, 31
	s_lshl_b64 s[18:19], s[18:19], 1
	v_lshrrev_b32_e32 v3, 2, v0
	s_add_u32 s12, s16, s18
	s_addc_u32 s15, s17, s19
	s_ashr_i32 s23, s22, 31
	s_lshl_b64 s[16:17], s[22:23], 1
	s_add_u32 s16, s12, s16
	s_addc_u32 s17, s15, s17
	global_load_ushort v2, v19, s[16:17]
	v_and_b32_e32 v3, 0xfe, v3
	v_mad_u32_u24 v3, v1, 24, v3
	s_waitcnt vmcnt(0)
	ds_write_b16 v3, v2
.LBB111_4:
	s_or_b64 exec, exec, s[2:3]
	s_mul_i32 s3, s24, s10
	s_sub_i32 s3, s11, s3
	s_xor_b32 s2, s7, s25
	s_add_i32 s7, s24, 1
	s_sub_i32 s11, s3, s10
	s_load_dwordx4 s[16:19], s[4:5], 0x68
	s_waitcnt lgkmcnt(0)
	s_load_dword s12, s[4:5], 0x78
	s_cmp_ge_u32 s3, s10
	s_cselect_b32 s7, s7, s24
	s_cselect_b32 s3, s11, s3
	s_add_i32 s11, s7, 1
	s_cmp_ge_u32 s3, s10
	s_cselect_b32 s3, s11, s7
	s_abs_i32 s23, s19
	v_cvt_f32_u32_e32 v2, s23
	s_xor_b32 s3, s3, s2
	s_sub_i32 s7, s3, s2
	s_sub_i32 s2, 0, s23
	v_rcp_iflag_f32_e32 v2, v2
	s_add_i32 s15, s21, -1
	s_abs_i32 s10, s15
	s_waitcnt lgkmcnt(0)
	v_mul_f32_e32 v2, 0x4f7ffffe, v2
	v_cvt_u32_f32_e32 v2, v2
	s_barrier
	v_readfirstlane_b32 s33, v2
	s_mul_i32 s2, s2, s33
	s_mul_hi_u32 s2, s33, s2
	s_add_i32 s33, s33, s2
	s_cmp_lt_i32 s12, 0
	s_mul_hi_u32 s11, s10, s33
	s_cbranch_scc0 .LBB111_6
; %bb.5:
	s_mul_i32 s2, s16, s34
	s_add_i32 s2, s7, s2
	s_mul_i32 s2, s2, s12
	s_sub_i32 s42, 1, s2
	s_mov_b64 s[2:3], 0
	s_branch .LBB111_7
.LBB111_6:
	s_mov_b64 s[2:3], -1
                                        ; implicit-def: $sgpr42
.LBB111_7:
	s_load_dwordx2 s[26:27], s[4:5], 0x28
	s_ashr_i32 s15, s15, 31
	s_andn2_b64 vcc, exec, s[2:3]
	s_ashr_i32 s43, s19, 31
	s_cbranch_vccnz .LBB111_9
; %bb.8:
	s_mul_i32 s2, s9, s16
	s_add_i32 s2, s2, s6
	s_mul_i32 s2, s2, s12
	s_add_i32 s42, s2, 1
.LBB111_9:
	s_load_dword s2, s[4:5], 0x38
	s_load_dwordx2 s[24:25], s[4:5], 0x0
	s_load_dwordx2 s[30:31], s[4:5], 0x18
	s_load_dword s19, s[4:5], 0x88
	s_xor_b32 s3, s15, s43
	s_waitcnt lgkmcnt(0)
	s_mul_i32 s28, s2, s20
	s_mul_i32 s2, s11, s23
	s_sub_i32 s2, s10, s2
	s_ashr_i32 s29, s28, 31
	s_add_i32 s6, s11, 1
	s_sub_i32 s10, s2, s23
	s_cmp_ge_u32 s2, s23
	s_cselect_b32 s6, s6, s11
	s_cselect_b32 s2, s10, s2
	s_add_i32 s10, s6, 1
	s_cmp_ge_u32 s2, s23
	s_cselect_b32 s2, s10, s6
	s_xor_b32 s2, s2, s3
	s_sub_i32 s12, s2, s3
	s_add_i32 s2, s21, 7
	s_ashr_i32 s3, s2, 31
	s_lshr_b32 s3, s3, 29
	s_add_i32 s2, s2, s3
	s_ashr_i32 s44, s2, 3
	v_lshrrev_b32_e32 v20, 6, v0
	v_cmp_gt_i32_e64 s[2:3], s44, v20
	v_mov_b32_e32 v8, 0xff7fffff
	s_mul_i32 s14, s7, s14
	v_lshrrev_b32_e32 v3, 4, v0
	v_lshlrev_b32_e32 v21, 3, v20
	v_mbcnt_lo_u32_b32 v4, -1, 0
	s_and_saveexec_b64 s[36:37], s[2:3]
	s_cbranch_execz .LBB111_21
; %bb.10:
	s_load_dwordx2 s[4:5], s[4:5], 0x10
	s_ashr_i32 s15, s14, 31
	s_sub_i32 s16, s12, s17
	s_lshl_b64 s[6:7], s[14:15], 1
	v_bfe_u32 v5, v0, 3, 3
	s_waitcnt lgkmcnt(0)
	s_add_u32 s4, s4, s6
	s_addc_u32 s5, s5, s7
	s_abs_i32 s15, s18
	v_cvt_f32_u32_e32 v2, s15
	v_mov_b32_e32 v8, s5
	s_sub_i32 s5, 0, s15
	v_lshlrev_b32_e32 v7, 4, v5
	v_rcp_iflag_f32_e32 v2, v2
	v_lshlrev_b32_e32 v6, 1, v1
	s_lshl_b64 s[6:7], s[28:29], 2
	s_add_u32 s6, s26, s6
	v_mul_f32_e32 v2, 0x4f7ffffe, v2
	v_cvt_u32_f32_e32 v2, v2
	v_cmp_eq_u32_e32 vcc, 0, v1
	s_addc_u32 s7, s27, s7
	v_mbcnt_hi_u32_b32 v14, -1, v4
	v_mul_lo_u32 v9, s5, v2
	v_add_co_u32_e64 v7, s[4:5], s4, v7
	v_addc_co_u32_e64 v8, s[4:5], 0, v8, s[4:5]
	v_mul_hi_u32 v10, v2, v9
	v_add_co_u32_e64 v6, s[4:5], v7, v6
	v_addc_co_u32_e64 v7, s[4:5], 0, v8, s[4:5]
	v_subrev_u32_e32 v8, s21, v5
	v_add_u32_e32 v12, 1, v8
	v_lshlrev_b32_e32 v8, 2, v5
	v_mul_u32_u24_e32 v9, 24, v1
	v_and_b32_e32 v1, 60, v3
	v_lshl_or_b32 v8, v20, 5, v8
	v_add_u32_e32 v10, v2, v10
	v_mov_b32_e32 v2, s7
	v_add_co_u32_e64 v1, s[6:7], s6, v1
	v_add_u32_e32 v13, 0xd0, v8
	v_and_b32_e32 v8, 64, v14
	s_mov_b32 s34, s13
	v_cmp_neq_f32_e64 s[4:5], s45, 0
	v_addc_co_u32_e64 v2, s[6:7], 0, v2, s[6:7]
	v_lshlrev_b32_e32 v11, 3, v20
	s_mov_b64 s[38:39], 0
	v_add_u32_e32 v15, 64, v8
	v_xor_b32_e32 v16, 4, v14
	v_xor_b32_e32 v17, 2, v14
	v_mov_b32_e32 v8, 0xff7fffff
	v_mov_b32_e32 v18, v20
	s_branch .LBB111_13
.LBB111_11:                             ;   in Loop: Header=BB111_13 Depth=1
	s_or_b64 exec, exec, s[40:41]
.LBB111_12:                             ;   in Loop: Header=BB111_13 Depth=1
	s_or_b64 exec, exec, s[10:11]
	v_add_co_u32_e64 v1, s[6:7], 8, v1
	v_add_u32_e32 v18, 2, v18
	v_addc_co_u32_e64 v2, s[6:7], 0, v2, s[6:7]
	v_cmp_le_i32_e64 s[6:7], s44, v18
	v_add_u32_e32 v11, 16, v11
	s_or_b64 s[38:39], s[6:7], s[38:39]
	v_add_u32_e32 v13, 64, v13
	s_andn2_b64 exec, exec, s[38:39]
	s_cbranch_execz .LBB111_20
.LBB111_13:                             ; =>This Inner Loop Header: Depth=1
	v_mul_hi_u32 v22, v11, s33
	s_waitcnt lgkmcnt(0)
	v_mul_lo_u32 v23, v22, s23
	v_add_u32_e32 v24, 1, v22
	v_sub_u32_e32 v23, v11, v23
	v_cmp_le_u32_e64 s[6:7], s23, v23
	v_cndmask_b32_e64 v22, v22, v24, s[6:7]
	v_subrev_u32_e32 v24, s23, v23
	v_cndmask_b32_e64 v23, v23, v24, s[6:7]
	v_add_u32_e32 v24, 1, v22
	v_cmp_le_u32_e64 s[6:7], s23, v23
	v_cndmask_b32_e64 v22, v22, v24, s[6:7]
	v_xor_b32_e32 v22, s43, v22
	v_subrev_u32_e32 v22, s43, v22
	v_add_u32_e32 v23, s42, v22
	v_sub_u32_e32 v24, 0, v23
	v_max_i32_e32 v24, v23, v24
	v_mul_hi_u32 v25, v24, v10
	v_ashrrev_i32_e32 v23, 31, v23
	v_cmp_ge_i32_e64 s[10:11], s16, v22
	v_mul_lo_u32 v25, v25, s15
	v_sub_u32_e32 v24, v24, v25
	v_subrev_u32_e32 v25, s15, v24
	v_cmp_le_u32_e64 s[6:7], s15, v24
	v_cndmask_b32_e64 v24, v24, v25, s[6:7]
	v_subrev_u32_e32 v25, s15, v24
	v_cmp_le_u32_e64 s[6:7], s15, v24
	v_cndmask_b32_e64 v24, v24, v25, s[6:7]
	v_xor_b32_e32 v24, v24, v23
	v_sub_u32_e32 v23, v24, v23
	v_cmp_ne_u32_e64 s[6:7], 0, v23
	s_and_b64 s[6:7], s[6:7], s[10:11]
	s_and_saveexec_b64 s[10:11], s[6:7]
	s_xor_b64 s[6:7], exec, s[10:11]
	s_cbranch_execz .LBB111_17
; %bb.14:                               ;   in Loop: Header=BB111_13 Depth=1
	s_and_saveexec_b64 s[10:11], vcc
; %bb.15:                               ;   in Loop: Header=BB111_13 Depth=1
	v_mov_b32_e32 v22, 0xff7fffff
	ds_write_b32 v13, v22
; %bb.16:                               ;   in Loop: Header=BB111_13 Depth=1
	s_or_b64 exec, exec, s[10:11]
.LBB111_17:                             ;   in Loop: Header=BB111_13 Depth=1
	s_andn2_saveexec_b64 s[10:11], s[6:7]
	s_cbranch_execz .LBB111_12
; %bb.18:                               ;   in Loop: Header=BB111_13 Depth=1
	global_load_dword v22, v[1:2], off
	ds_read2_b64 v[23:26], v9 offset1:1
	ds_read_b64 v[27:28], v9 offset:16
	s_waitcnt lgkmcnt(1)
	v_lshlrev_b32_e32 v29, 16, v23
	v_and_b32_e32 v30, 0xffff0000, v23
	v_lshlrev_b32_e32 v31, 16, v24
	v_and_b32_e32 v24, 0xffff0000, v24
	v_lshlrev_b32_e32 v32, 16, v25
	v_and_b32_e32 v25, 0xffff0000, v25
	v_lshlrev_b32_e32 v33, 16, v26
	v_and_b32_e32 v26, 0xffff0000, v26
	s_waitcnt vmcnt(0)
	v_mad_i64_i32 v[22:23], s[6:7], v22, s34, 0
	v_lshlrev_b64 v[22:23], 1, v[22:23]
	v_add_co_u32_e64 v22, s[6:7], v6, v22
	v_addc_co_u32_e64 v23, s[6:7], v7, v23, s[6:7]
	global_load_ushort v34, v[22:23], off offset:128
	global_load_ushort v35, v[22:23], off offset:256
	;; [unrolled: 1-line block ×7, first 2 shown]
	global_load_ushort v41, v[22:23], off
	v_cmp_lt_i32_e64 s[6:7], v16, v15
	s_waitcnt vmcnt(7)
	v_lshlrev_b32_e32 v34, 16, v34
	v_mul_f32_e32 v30, v30, v34
	s_waitcnt vmcnt(0)
	v_lshlrev_b32_e32 v34, 16, v41
	v_fmac_f32_e32 v30, v29, v34
	v_lshlrev_b32_e32 v29, 16, v35
	v_fmac_f32_e32 v30, v31, v29
	;; [unrolled: 2-line block ×3, first 2 shown]
	global_load_ushort v24, v[22:23], off offset:1024
	global_load_ushort v29, v[22:23], off offset:1152
	;; [unrolled: 1-line block ×3, first 2 shown]
	s_nop 0
	global_load_ushort v22, v[22:23], off offset:1408
	v_lshlrev_b32_e32 v23, 16, v37
	v_fmac_f32_e32 v30, v32, v23
	v_lshlrev_b32_e32 v34, 16, v38
	v_fmac_f32_e32 v30, v25, v34
	v_lshlrev_b32_e32 v34, 16, v39
	v_lshlrev_b32_e32 v35, 16, v40
	v_fmac_f32_e32 v30, v33, v34
	s_waitcnt lgkmcnt(0)
	v_lshlrev_b32_e32 v32, 16, v27
	v_fmac_f32_e32 v30, v26, v35
	v_and_b32_e32 v25, 0xffff0000, v27
	v_lshlrev_b32_e32 v27, 16, v28
	v_cndmask_b32_e64 v23, v14, v16, s[6:7]
	v_and_b32_e32 v28, 0xffff0000, v28
	v_lshlrev_b32_e32 v23, 2, v23
	v_cmp_lt_i32_e64 s[6:7], v17, v15
	s_waitcnt vmcnt(3)
	v_lshlrev_b32_e32 v24, 16, v24
	s_waitcnt vmcnt(2)
	v_lshlrev_b32_e32 v29, 16, v29
	v_fmac_f32_e32 v30, v32, v24
	s_waitcnt vmcnt(1)
	v_lshlrev_b32_e32 v31, 16, v31
	v_fmac_f32_e32 v30, v25, v29
	v_fmac_f32_e32 v30, v27, v31
	s_waitcnt vmcnt(0)
	v_lshlrev_b32_e32 v22, 16, v22
	v_fmac_f32_e32 v30, v28, v22
	ds_bpermute_b32 v22, v23, v30
	v_cndmask_b32_e64 v23, v14, v17, s[6:7]
	v_lshlrev_b32_e32 v23, 2, v23
	v_xor_b32_e32 v24, 1, v14
	v_cmp_lt_i32_e64 s[6:7], v24, v15
	s_waitcnt lgkmcnt(0)
	v_add_f32_e32 v22, v30, v22
	ds_bpermute_b32 v23, v23, v22
	v_cndmask_b32_e64 v24, v14, v24, s[6:7]
	v_lshlrev_b32_e32 v24, 2, v24
	s_waitcnt lgkmcnt(0)
	v_add_f32_e32 v22, v22, v23
	ds_bpermute_b32 v23, v24, v22
	s_and_saveexec_b64 s[40:41], vcc
	s_cbranch_execz .LBB111_11
; %bb.19:                               ;   in Loop: Header=BB111_13 Depth=1
	v_add_u32_e32 v24, v12, v11
	v_cvt_f32_i32_e32 v24, v24
	s_waitcnt lgkmcnt(0)
	v_add_f32_e32 v22, v22, v23
	v_add_u32_e32 v25, v5, v11
	v_cmp_gt_i32_e64 s[6:7], s21, v25
	v_mul_f32_e32 v23, s45, v24
	v_cndmask_b32_e64 v23, 0, v23, s[4:5]
	v_fmac_f32_e32 v23, s35, v22
	v_cndmask_b32_e64 v22, 0, v23, s[6:7]
	ds_write_b32 v13, v22
	v_max_f32_e32 v22, v8, v8
	v_max_f32_e32 v22, v22, v23
	v_cndmask_b32_e64 v8, v8, v22, s[6:7]
	s_branch .LBB111_11
.LBB111_20:
	s_or_b64 exec, exec, s[38:39]
.LBB111_21:
	s_or_b64 exec, exec, s[36:37]
	v_mbcnt_hi_u32_b32 v1, -1, v4
	v_and_b32_e32 v10, 64, v1
	v_add_u32_e32 v2, 64, v10
	v_xor_b32_e32 v4, 32, v1
	v_cmp_lt_i32_e32 vcc, v4, v2
	v_cndmask_b32_e32 v4, v1, v4, vcc
	v_lshlrev_b32_e32 v5, 2, v4
	ds_bpermute_b32 v4, v5, v8
	v_xor_b32_e32 v7, 16, v1
	v_max_f32_e32 v6, v8, v8
	v_cmp_lt_i32_e32 vcc, v7, v2
	v_xor_b32_e32 v8, 8, v1
	s_waitcnt lgkmcnt(0)
	v_max_f32_e32 v4, v4, v4
	v_max_f32_e32 v4, v6, v4
	v_cndmask_b32_e32 v6, v1, v7, vcc
	v_lshlrev_b32_e32 v7, 2, v6
	ds_bpermute_b32 v6, v7, v4
	v_cmp_lt_i32_e32 vcc, v8, v2
	v_and_b32_e32 v22, 63, v0
	s_waitcnt lgkmcnt(0)
	v_max_f32_e32 v6, v6, v6
	v_max_f32_e32 v6, v4, v6
	v_cndmask_b32_e32 v4, v1, v8, vcc
	v_lshlrev_b32_e32 v9, 2, v4
	ds_bpermute_b32 v8, v9, v6
	v_cmp_eq_u32_e32 vcc, 0, v22
	v_lshlrev_b32_e32 v4, 2, v20
	s_and_saveexec_b64 s[4:5], vcc
	s_cbranch_execz .LBB111_23
; %bb.22:
	s_waitcnt lgkmcnt(0)
	v_max_f32_e32 v8, v8, v8
	v_max_f32_e32 v6, v6, v6
	;; [unrolled: 1-line block ×3, first 2 shown]
	ds_write_b32 v4, v6 offset:192
.LBB111_23:
	s_or_b64 exec, exec, s[4:5]
	v_cmp_gt_u32_e64 s[4:5], 2, v22
	v_mov_b32_e32 v11, 0xff7fffff
	v_lshlrev_b32_e32 v6, 2, v22
	s_waitcnt lgkmcnt(0)
	s_barrier
	s_and_saveexec_b64 s[6:7], s[4:5]
; %bb.24:
	ds_read_b32 v11, v6 offset:192
; %bb.25:
	s_or_b64 exec, exec, s[6:7]
	v_xor_b32_e32 v8, 1, v1
	v_cmp_lt_i32_e64 s[6:7], v8, v2
	v_cndmask_b32_e64 v8, v1, v8, s[6:7]
	v_lshlrev_b32_e32 v8, 2, v8
	s_waitcnt lgkmcnt(0)
	ds_bpermute_b32 v12, v8, v11
	v_max_f32_e32 v11, v11, v11
	v_lshlrev_b32_e32 v10, 2, v10
	s_lshl_b32 s6, s44, 3
	s_min_i32 s15, s6, s21
	s_waitcnt lgkmcnt(0)
	v_max_f32_e32 v12, v12, v12
	v_max_f32_e32 v11, v11, v12
	ds_bpermute_b32 v11, v10, v11
	v_cmp_gt_i32_e64 s[6:7], s15, v0
	v_mov_b32_e32 v10, 0
	s_and_saveexec_b64 s[34:35], s[6:7]
	s_cbranch_execz .LBB111_29
; %bb.26:
	v_mov_b32_e32 v10, 0xd0
	v_lshl_add_u32 v12, v0, 2, v10
	v_mov_b32_e32 v10, 0
	s_mov_b64 s[36:37], 0
	v_mov_b32_e32 v13, v0
.LBB111_27:                             ; =>This Inner Loop Header: Depth=1
	ds_read_b32 v14, v12
	v_add_u32_e32 v13, 0x80, v13
	v_cmp_le_i32_e64 s[10:11], s15, v13
	s_or_b64 s[36:37], s[10:11], s[36:37]
	s_waitcnt lgkmcnt(0)
	v_sub_f32_e32 v14, v14, v11
	v_mul_f32_e32 v14, 0x3fb8aa3b, v14
	v_exp_f32_e32 v14, v14
	ds_write_b32 v12, v14
	v_add_f32_e32 v10, v10, v14
	v_add_u32_e32 v12, 0x200, v12
	s_andn2_b64 exec, exec, s[36:37]
	s_cbranch_execnz .LBB111_27
; %bb.28:
	s_or_b64 exec, exec, s[36:37]
.LBB111_29:
	s_or_b64 exec, exec, s[34:35]
	ds_bpermute_b32 v5, v5, v10
	s_waitcnt lgkmcnt(0)
	v_add_f32_e32 v5, v10, v5
	ds_bpermute_b32 v7, v7, v5
	s_waitcnt lgkmcnt(0)
	v_add_f32_e32 v5, v5, v7
	ds_bpermute_b32 v7, v9, v5
	v_xor_b32_e32 v9, 4, v1
	v_cmp_lt_i32_e64 s[10:11], v9, v2
	v_cndmask_b32_e64 v9, v1, v9, s[10:11]
	v_lshlrev_b32_e32 v9, 2, v9
	s_waitcnt lgkmcnt(0)
	v_add_f32_e32 v5, v5, v7
	ds_bpermute_b32 v7, v9, v5
	v_xor_b32_e32 v9, 2, v1
	v_cmp_lt_i32_e64 s[10:11], v9, v2
	v_cndmask_b32_e64 v2, v1, v9, s[10:11]
	v_lshlrev_b32_e32 v2, 2, v2
	s_waitcnt lgkmcnt(0)
	v_add_f32_e32 v5, v5, v7
	ds_bpermute_b32 v2, v2, v5
	s_waitcnt lgkmcnt(0)
	v_add_f32_e32 v2, v5, v2
	ds_bpermute_b32 v5, v8, v2
	s_waitcnt lgkmcnt(0)
	v_add_f32_e32 v2, v2, v5
	s_and_saveexec_b64 s[10:11], vcc
; %bb.30:
	ds_write_b32 v4, v2 offset:200
; %bb.31:
	s_or_b64 exec, exec, s[10:11]
	s_waitcnt lgkmcnt(0)
	s_barrier
	s_and_saveexec_b64 s[10:11], s[4:5]
; %bb.32:
	ds_read_b32 v2, v6 offset:200
; %bb.33:
	s_or_b64 exec, exec, s[10:11]
	s_waitcnt lgkmcnt(0)
	ds_bpermute_b32 v4, v8, v2
	v_lshlrev_b32_e32 v1, 2, v1
	v_and_b32_e32 v1, 0x100, v1
	s_waitcnt lgkmcnt(0)
	v_add_f32_e32 v2, v2, v4
	ds_bpermute_b32 v1, v1, v2
	s_and_saveexec_b64 s[4:5], s[6:7]
	s_cbranch_execz .LBB111_36
; %bb.34:
	s_waitcnt lgkmcnt(0)
	v_add_f32_e32 v2, 0x358637bd, v1
	v_div_scale_f32 v1, s[6:7], v2, v2, 1.0
	v_div_scale_f32 v4, vcc, 1.0, v2, 1.0
	s_mov_b64 s[6:7], 0
	v_rcp_f32_e32 v5, v1
	v_fma_f32 v6, -v1, v5, 1.0
	v_fmac_f32_e32 v5, v6, v5
	v_mul_f32_e32 v6, v4, v5
	v_fma_f32 v7, -v1, v6, v4
	v_fmac_f32_e32 v6, v7, v5
	v_fma_f32 v1, -v1, v6, v4
	v_div_fmas_f32 v4, v1, v5, v6
	v_mov_b32_e32 v1, 0xd0
	v_lshl_add_u32 v1, v0, 2, v1
	v_div_fixup_f32 v2, v4, v2, 1.0
	v_mov_b32_e32 v4, v0
.LBB111_35:                             ; =>This Inner Loop Header: Depth=1
	ds_read_b32 v5, v1
	v_add_u32_e32 v4, 0x80, v4
	v_cmp_le_i32_e32 vcc, s15, v4
	s_or_b64 s[6:7], vcc, s[6:7]
	s_waitcnt lgkmcnt(0)
	v_mul_f32_e32 v5, v2, v5
	ds_write_b32 v1, v5
	v_add_u32_e32 v1, 0x200, v1
	s_andn2_b64 exec, exec, s[6:7]
	s_cbranch_execnz .LBB111_35
.LBB111_36:
	s_or_b64 exec, exec, s[4:5]
	v_mov_b32_e32 v15, 0
	v_mov_b32_e32 v16, v15
	;; [unrolled: 1-line block ×4, first 2 shown]
	s_waitcnt lgkmcnt(0)
	s_barrier
	s_and_saveexec_b64 s[10:11], s[2:3]
	s_cbranch_execz .LBB111_48
; %bb.37:
	s_ashr_i32 s15, s14, 31
	s_sub_i32 s34, s12, s17
	s_lshl_b64 s[2:3], s[14:15], 1
	s_add_u32 s30, s30, s2
	s_addc_u32 s31, s31, s3
	s_abs_i32 s18, s18
	v_cvt_f32_u32_e32 v1, s18
	s_sub_i32 s3, 0, s18
	s_add_i32 s37, s44, -1
	s_lshl_b64 s[4:5], s[28:29], 2
	v_rcp_iflag_f32_e32 v1, v1
	s_add_u32 s4, s26, s4
	v_and_b32_e32 v3, 60, v3
	s_addc_u32 s5, s27, s5
	v_mul_f32_e32 v1, 0x4f7ffffe, v1
	v_cvt_u32_f32_e32 v1, v1
	v_or_b32_e32 v4, 64, v22
	s_movk_i32 s2, 0x60
	v_add_co_u32_e32 v17, vcc, s4, v3
	v_mul_lo_u32 v5, s3, v1
	v_lshlrev_b32_e32 v2, 3, v22
	v_cmp_gt_u32_e64 s[2:3], s2, v4
	v_lshlrev_b32_e32 v4, 3, v4
	v_mul_hi_u32 v5, v1, v5
	v_mov_b32_e32 v16, v15
	v_mov_b32_e32 v13, v15
	s_mov_b32 s35, s13
	v_add_u32_e32 v23, v1, v5
	v_mov_b32_e32 v1, s5
	v_addc_co_u32_e32 v18, vcc, 0, v1, vcc
	v_mov_b32_e32 v1, 0xd0
	s_mov_b32 s36, s21
	v_lshl_add_u32 v24, v20, 5, v1
	s_mov_b64 s[12:13], 0
	v_lshlrev_b32_e32 v25, 1, v2
	s_mov_b32 s26, 0x5040100
	s_movk_i32 s27, 0x7fff
	s_mov_b32 s28, 0x7060302
	v_lshlrev_b32_e32 v26, 1, v4
	v_mov_b32_e32 v14, v16
	s_branch .LBB111_41
.LBB111_38:                             ;   in Loop: Header=BB111_41 Depth=1
	s_or_b64 exec, exec, s[16:17]
	v_perm_b32 v9, v10, v9, s28
	v_perm_b32 v5, v6, v5, s28
	;; [unrolled: 1-line block ×3, first 2 shown]
	s_waitcnt vmcnt(0)
	v_lshlrev_b32_e32 v7, 16, v1
	v_lshlrev_b32_e32 v8, 16, v9
	v_mul_f32_e32 v7, v8, v7
	v_bfe_u32 v8, v7, 16, 1
	v_perm_b32 v10, v12, v11, s28
	v_add3_u32 v8, v8, v7, s27
	v_or_b32_e32 v11, 0x400000, v7
	v_cmp_u_f32_e32 vcc, v7, v7
	v_cndmask_b32_e32 v7, v8, v11, vcc
	v_and_b32_e32 v1, 0xffff0000, v1
	v_and_b32_e32 v8, 0xffff0000, v9
	v_mul_f32_e32 v1, v8, v1
	v_bfe_u32 v8, v1, 16, 1
	v_add3_u32 v8, v8, v1, s27
	v_or_b32_e32 v9, 0x400000, v1
	v_cmp_u_f32_e32 vcc, v1, v1
	v_cndmask_b32_e32 v1, v8, v9, vcc
	v_lshlrev_b32_e32 v8, 16, v2
	v_lshlrev_b32_e32 v9, 16, v10
	v_mul_f32_e32 v8, v9, v8
	v_bfe_u32 v9, v8, 16, 1
	v_add3_u32 v9, v9, v8, s27
	v_or_b32_e32 v11, 0x400000, v8
	v_cmp_u_f32_e32 vcc, v8, v8
	v_cndmask_b32_e32 v8, v9, v11, vcc
	v_and_b32_e32 v2, 0xffff0000, v2
	v_and_b32_e32 v9, 0xffff0000, v10
	v_mul_f32_e32 v2, v9, v2
	v_bfe_u32 v9, v2, 16, 1
	v_add3_u32 v9, v9, v2, s27
	v_or_b32_e32 v10, 0x400000, v2
	v_cmp_u_f32_e32 vcc, v2, v2
	v_cndmask_b32_e32 v2, v9, v10, vcc
	v_lshlrev_b32_e32 v9, 16, v3
	v_lshlrev_b32_e32 v10, 16, v5
	v_mul_f32_e32 v9, v10, v9
	v_and_b32_e32 v3, 0xffff0000, v3
	v_and_b32_e32 v5, 0xffff0000, v5
	v_bfe_u32 v10, v9, 16, 1
	v_mul_f32_e32 v3, v5, v3
	v_add3_u32 v10, v10, v9, s27
	v_or_b32_e32 v11, 0x400000, v9
	v_cmp_u_f32_e32 vcc, v9, v9
	v_bfe_u32 v5, v3, 16, 1
	v_cndmask_b32_e32 v9, v10, v11, vcc
	v_add3_u32 v5, v5, v3, s27
	v_or_b32_e32 v10, 0x400000, v3
	v_cmp_u_f32_e32 vcc, v3, v3
	v_cndmask_b32_e32 v3, v5, v10, vcc
	v_lshlrev_b32_e32 v5, 16, v4
	v_lshlrev_b32_e32 v10, 16, v6
	v_mul_f32_e32 v5, v10, v5
	v_and_b32_e32 v4, 0xffff0000, v4
	v_and_b32_e32 v6, 0xffff0000, v6
	v_bfe_u32 v10, v5, 16, 1
	v_mul_f32_e32 v4, v6, v4
	v_add3_u32 v10, v10, v5, s27
	v_or_b32_e32 v11, 0x400000, v5
	v_cmp_u_f32_e32 vcc, v5, v5
	v_bfe_u32 v6, v4, 16, 1
	v_cndmask_b32_e32 v5, v10, v11, vcc
	v_add3_u32 v6, v6, v4, s27
	v_or_b32_e32 v10, 0x400000, v4
	v_cmp_u_f32_e32 vcc, v4, v4
	v_cndmask_b32_e32 v4, v6, v10, vcc
	v_and_b32_e32 v1, 0xffff0000, v1
	v_and_b32_e32 v6, 0xffff0000, v7
	v_add_f32_e32 v1, v6, v1
	v_and_b32_e32 v2, 0xffff0000, v2
	v_and_b32_e32 v6, 0xffff0000, v8
	v_add_f32_e32 v2, v6, v2
	v_add_f32_e32 v1, v2, v1
	v_and_b32_e32 v2, 0xffff0000, v3
	v_and_b32_e32 v3, 0xffff0000, v9
	v_add_f32_e32 v2, v3, v2
	;; [unrolled: 4-line block ×3, first 2 shown]
	v_add_f32_e32 v1, v2, v1
	v_add_f32_e32 v14, v14, v1
.LBB111_39:                             ;   in Loop: Header=BB111_41 Depth=1
	s_or_b64 exec, exec, s[6:7]
.LBB111_40:                             ;   in Loop: Header=BB111_41 Depth=1
	s_or_b64 exec, exec, s[14:15]
	v_add_co_u32_e32 v17, vcc, 8, v17
	v_add_u32_e32 v20, 2, v20
	v_addc_co_u32_e32 v18, vcc, 0, v18, vcc
	v_cmp_le_i32_e32 vcc, s44, v20
	v_add_u32_e32 v21, 16, v21
	s_or_b64 s[12:13], vcc, s[12:13]
	v_add_u32_e32 v24, 64, v24
	s_andn2_b64 exec, exec, s[12:13]
	s_cbranch_execz .LBB111_47
.LBB111_41:                             ; =>This Inner Loop Header: Depth=1
	v_mul_hi_u32 v1, v21, s33
	v_mul_lo_u32 v2, v1, s23
	v_add_u32_e32 v3, 1, v1
	v_sub_u32_e32 v2, v21, v2
	v_cmp_le_u32_e32 vcc, s23, v2
	v_cndmask_b32_e32 v1, v1, v3, vcc
	v_subrev_u32_e32 v3, s23, v2
	v_cndmask_b32_e32 v2, v2, v3, vcc
	v_add_u32_e32 v3, 1, v1
	v_cmp_le_u32_e32 vcc, s23, v2
	v_cndmask_b32_e32 v1, v1, v3, vcc
	v_xor_b32_e32 v1, s43, v1
	v_subrev_u32_e32 v1, s43, v1
	v_add_u32_e32 v2, s42, v1
	v_sub_u32_e32 v3, 0, v2
	v_max_i32_e32 v3, v2, v3
	v_mul_hi_u32 v4, v3, v23
	v_ashrrev_i32_e32 v2, 31, v2
	v_cmp_lt_i32_e64 s[4:5], s34, v1
	v_mul_lo_u32 v4, v4, s18
	v_sub_u32_e32 v3, v3, v4
	v_subrev_u32_e32 v4, s18, v3
	v_cmp_le_u32_e32 vcc, s18, v3
	v_cndmask_b32_e32 v3, v3, v4, vcc
	v_subrev_u32_e32 v4, s18, v3
	v_cmp_le_u32_e32 vcc, s18, v3
	v_cndmask_b32_e32 v3, v3, v4, vcc
	v_xor_b32_e32 v3, v3, v2
	v_sub_u32_e32 v2, v3, v2
	v_cmp_eq_u32_e32 vcc, 0, v2
	s_or_b64 s[4:5], vcc, s[4:5]
	s_and_saveexec_b64 s[14:15], s[4:5]
	s_cbranch_execz .LBB111_40
; %bb.42:                               ;   in Loop: Header=BB111_41 Depth=1
	global_load_dword v1, v[17:18], off
	v_mov_b32_e32 v3, s31
	s_waitcnt vmcnt(0)
	v_mad_i64_i32 v[1:2], s[4:5], v1, s35, 0
	v_cmp_eq_u32_e64 s[4:5], s37, v20
	v_lshlrev_b64 v[1:2], 1, v[1:2]
	v_add_co_u32_e32 v16, vcc, s30, v1
	v_addc_co_u32_e32 v27, vcc, v3, v2, vcc
	v_add_co_u32_e32 v1, vcc, v16, v25
	v_addc_co_u32_e32 v2, vcc, 0, v27, vcc
	global_load_dwordx4 v[1:4], v[1:2], off
	ds_read2_b64 v[9:12], v24 offset1:1
	ds_read2_b64 v[5:8], v24 offset0:2 offset1:3
	s_and_saveexec_b64 s[16:17], s[4:5]
	s_cbranch_execz .LBB111_44
; %bb.43:                               ;   in Loop: Header=BB111_41 Depth=1
	v_add_u32_e32 v28, 1, v21
	v_cmp_gt_i32_e32 vcc, s36, v28
	s_waitcnt vmcnt(0)
	v_cndmask_b32_sdwa v28, v15, v1, vcc dst_sel:DWORD dst_unused:UNUSED_PAD src0_sel:DWORD src1_sel:WORD_1
	v_cmp_gt_i32_e32 vcc, s21, v21
	v_cndmask_b32_e32 v1, 0, v1, vcc
	v_perm_b32 v1, v28, v1, s26
	v_or_b32_e32 v28, 3, v21
	v_or_b32_e32 v29, 2, v21
	v_cmp_gt_i32_e32 vcc, s36, v28
	v_cmp_gt_i32_e64 s[6:7], s21, v29
	v_cndmask_b32_e64 v28, 0, v2, s[6:7]
	v_cndmask_b32_sdwa v2, v15, v2, vcc dst_sel:DWORD dst_unused:UNUSED_PAD src0_sel:DWORD src1_sel:WORD_1
	v_perm_b32 v2, v2, v28, s26
	v_or_b32_e32 v28, 5, v21
	v_or_b32_e32 v29, 4, v21
	v_cmp_gt_i32_e32 vcc, s36, v28
	v_cmp_gt_i32_e64 s[6:7], s21, v29
	v_cndmask_b32_e64 v28, 0, v3, s[6:7]
	v_cndmask_b32_sdwa v3, v15, v3, vcc dst_sel:DWORD dst_unused:UNUSED_PAD src0_sel:DWORD src1_sel:WORD_1
	;; [unrolled: 7-line block ×3, first 2 shown]
	v_perm_b32 v4, v4, v28, s26
.LBB111_44:                             ;   in Loop: Header=BB111_41 Depth=1
	s_or_b64 exec, exec, s[16:17]
	s_waitcnt lgkmcnt(1)
	v_bfe_u32 v28, v9, 16, 1
	v_add3_u32 v28, v28, v9, s27
	v_or_b32_e32 v29, 0x400000, v9
	v_cmp_u_f32_e32 vcc, v9, v9
	v_cndmask_b32_e32 v9, v28, v29, vcc
	v_bfe_u32 v28, v10, 16, 1
	v_add3_u32 v28, v28, v10, s27
	v_or_b32_e32 v29, 0x400000, v10
	v_cmp_u_f32_e32 vcc, v10, v10
	v_cndmask_b32_e32 v10, v28, v29, vcc
	;; [unrolled: 5-line block ×4, first 2 shown]
	s_waitcnt lgkmcnt(0)
	v_bfe_u32 v28, v5, 16, 1
	v_add3_u32 v28, v28, v5, s27
	v_or_b32_e32 v29, 0x400000, v5
	v_cmp_u_f32_e32 vcc, v5, v5
	v_cndmask_b32_e32 v5, v28, v29, vcc
	v_bfe_u32 v28, v6, 16, 1
	v_add3_u32 v28, v28, v6, s27
	v_or_b32_e32 v29, 0x400000, v6
	v_cmp_u_f32_e32 vcc, v6, v6
	v_cndmask_b32_e32 v6, v28, v29, vcc
	;; [unrolled: 5-line block ×4, first 2 shown]
	v_and_b32_e32 v28, 0xffff0000, v9
	s_waitcnt vmcnt(0)
	v_lshlrev_b32_e32 v29, 16, v1
	v_mul_f32_e32 v28, v28, v29
	v_bfe_u32 v29, v28, 16, 1
	v_add3_u32 v29, v29, v28, s27
	v_or_b32_e32 v30, 0x400000, v28
	v_cmp_u_f32_e32 vcc, v28, v28
	v_cndmask_b32_e32 v28, v29, v30, vcc
	v_and_b32_e32 v29, 0xffff0000, v10
	v_and_b32_e32 v1, 0xffff0000, v1
	v_mul_f32_e32 v1, v29, v1
	v_bfe_u32 v29, v1, 16, 1
	v_add3_u32 v29, v29, v1, s27
	v_or_b32_e32 v30, 0x400000, v1
	v_cmp_u_f32_e32 vcc, v1, v1
	v_cndmask_b32_e32 v1, v29, v30, vcc
	v_and_b32_e32 v29, 0xffff0000, v11
	v_lshlrev_b32_e32 v30, 16, v2
	v_mul_f32_e32 v29, v29, v30
	v_bfe_u32 v30, v29, 16, 1
	v_add3_u32 v30, v30, v29, s27
	v_or_b32_e32 v31, 0x400000, v29
	v_cmp_u_f32_e32 vcc, v29, v29
	v_cndmask_b32_e32 v29, v30, v31, vcc
	v_and_b32_e32 v30, 0xffff0000, v12
	v_and_b32_e32 v2, 0xffff0000, v2
	v_mul_f32_e32 v2, v30, v2
	v_bfe_u32 v30, v2, 16, 1
	v_add3_u32 v30, v30, v2, s27
	v_or_b32_e32 v31, 0x400000, v2
	v_cmp_u_f32_e32 vcc, v2, v2
	v_cndmask_b32_e32 v2, v30, v31, vcc
	v_and_b32_e32 v30, 0xffff0000, v5
	;; [unrolled: 16-line block ×3, first 2 shown]
	v_lshlrev_b32_e32 v32, 16, v4
	v_mul_f32_e32 v31, v31, v32
	v_bfe_u32 v32, v31, 16, 1
	v_add3_u32 v32, v32, v31, s27
	v_or_b32_e32 v33, 0x400000, v31
	v_cmp_u_f32_e32 vcc, v31, v31
	v_cndmask_b32_e32 v31, v32, v33, vcc
	v_and_b32_e32 v32, 0xffff0000, v8
	v_and_b32_e32 v4, 0xffff0000, v4
	;; [unrolled: 1-line block ×4, first 2 shown]
	v_mul_f32_e32 v4, v32, v4
	v_add_f32_e32 v1, v28, v1
	v_and_b32_e32 v2, 0xffff0000, v2
	v_and_b32_e32 v28, 0xffff0000, v29
	v_bfe_u32 v32, v4, 16, 1
	v_add_f32_e32 v2, v28, v2
	v_add3_u32 v32, v32, v4, s27
	v_or_b32_e32 v33, 0x400000, v4
	v_cmp_u_f32_e32 vcc, v4, v4
	v_add_f32_e32 v1, v2, v1
	v_and_b32_e32 v2, 0xffff0000, v3
	v_and_b32_e32 v3, 0xffff0000, v30
	v_cndmask_b32_e32 v4, v32, v33, vcc
	v_add_f32_e32 v2, v3, v2
	v_add_f32_e32 v1, v2, v1
	v_and_b32_e32 v2, 0xffff0000, v4
	v_and_b32_e32 v3, 0xffff0000, v31
	v_add_f32_e32 v2, v3, v2
	v_add_f32_e32 v1, v2, v1
	;; [unrolled: 1-line block ×3, first 2 shown]
	s_and_saveexec_b64 s[6:7], s[2:3]
	s_cbranch_execz .LBB111_39
; %bb.45:                               ;   in Loop: Header=BB111_41 Depth=1
	v_add_co_u32_e32 v1, vcc, v16, v26
	v_addc_co_u32_e32 v2, vcc, 0, v27, vcc
	global_load_dwordx4 v[1:4], v[1:2], off
	s_and_saveexec_b64 s[16:17], s[4:5]
	s_cbranch_execz .LBB111_38
; %bb.46:                               ;   in Loop: Header=BB111_41 Depth=1
	v_add_u32_e32 v16, 1, v21
	v_cmp_gt_i32_e32 vcc, s36, v16
	s_waitcnt vmcnt(0)
	v_cndmask_b32_sdwa v16, v15, v1, vcc dst_sel:DWORD dst_unused:UNUSED_PAD src0_sel:DWORD src1_sel:WORD_1
	v_cmp_gt_i32_e32 vcc, s21, v21
	v_cndmask_b32_e32 v1, 0, v1, vcc
	v_perm_b32 v1, v16, v1, s26
	v_or_b32_e32 v16, 3, v21
	v_or_b32_e32 v27, 2, v21
	v_cmp_gt_i32_e32 vcc, s36, v16
	v_cmp_gt_i32_e64 s[4:5], s21, v27
	v_cndmask_b32_e64 v16, 0, v2, s[4:5]
	v_cndmask_b32_sdwa v2, v15, v2, vcc dst_sel:DWORD dst_unused:UNUSED_PAD src0_sel:DWORD src1_sel:WORD_1
	v_perm_b32 v2, v2, v16, s26
	v_or_b32_e32 v16, 5, v21
	v_or_b32_e32 v27, 4, v21
	v_cmp_gt_i32_e32 vcc, s36, v16
	v_cmp_gt_i32_e64 s[4:5], s21, v27
	v_cndmask_b32_e64 v16, 0, v3, s[4:5]
	v_cndmask_b32_sdwa v3, v15, v3, vcc dst_sel:DWORD dst_unused:UNUSED_PAD src0_sel:DWORD src1_sel:WORD_1
	;; [unrolled: 7-line block ×3, first 2 shown]
	v_perm_b32 v4, v4, v16, s26
	s_branch .LBB111_38
.LBB111_47:
	s_or_b64 exec, exec, s[12:13]
.LBB111_48:
	s_or_b64 exec, exec, s[10:11]
	v_and_b32_e32 v1, 0x3c0, v0
	v_cmp_eq_u32_e32 vcc, 64, v1
	s_barrier
	s_and_saveexec_b64 s[2:3], vcc
	s_cbranch_execz .LBB111_51
; %bb.49:
	v_mov_b32_e32 v1, 0xd0
	v_lshl_add_u32 v2, v22, 2, v1
	ds_write_b32 v2, v13
	s_and_b64 exec, exec, s[0:1]
; %bb.50:
	v_lshl_add_u32 v1, v0, 2, v1
	ds_write_b32 v1, v14
.LBB111_51:
	s_or_b64 exec, exec, s[2:3]
	v_cmp_gt_u32_e32 vcc, 64, v0
	v_or_b32_e32 v1, 64, v0
	s_waitcnt lgkmcnt(0)
	s_barrier
	s_and_saveexec_b64 s[2:3], vcc
	s_cbranch_execz .LBB111_55
; %bb.52:
	v_mov_b32_e32 v2, 0xd0
	v_lshl_add_u32 v0, v0, 2, v2
	ds_read_b32 v2, v0
	s_movk_i32 s0, 0x60
	v_cmp_gt_u32_e64 s[0:1], s0, v1
	s_waitcnt lgkmcnt(0)
	v_add_f32_e32 v13, v13, v2
	s_and_saveexec_b64 s[4:5], s[0:1]
	s_cbranch_execz .LBB111_54
; %bb.53:
	ds_read_b32 v0, v0 offset:256
	s_waitcnt lgkmcnt(0)
	v_add_f32_e32 v14, v14, v0
.LBB111_54:
	s_or_b64 exec, exec, s[4:5]
.LBB111_55:
	s_or_b64 exec, exec, s[2:3]
	s_barrier
	s_and_saveexec_b64 s[0:1], vcc
	s_cbranch_execz .LBB111_58
; %bb.56:
	s_mul_i32 s0, s20, s19
	s_mul_i32 s0, s0, s9
	s_mulk_i32 s0, 0x60
	s_ashr_i32 s1, s0, 31
	s_lshl_b64 s[0:1], s[0:1], 1
	s_add_u32 s2, s24, s0
	s_mul_i32 s0, s19, s22
	s_addc_u32 s4, s25, s1
	s_ashr_i32 s1, s0, 31
	s_lshl_b64 s[0:1], s[0:1], 1
	s_add_u32 s2, s2, s0
	s_mul_i32 s0, s8, 0x60
	s_addc_u32 s4, s4, s1
	s_ashr_i32 s1, s0, 31
	s_lshl_b64 s[0:1], s[0:1], 1
	s_add_u32 s0, s2, s0
	v_bfe_u32 v0, v13, 16, 1
	s_movk_i32 s2, 0x7fff
	s_movk_i32 s3, 0x60
	v_add3_u32 v0, v0, v13, s2
	v_or_b32_e32 v2, 0x400000, v13
	v_cmp_u_f32_e32 vcc, v13, v13
	s_addc_u32 s1, s4, s1
	v_cndmask_b32_e32 v0, v0, v2, vcc
	v_cmp_gt_u32_e32 vcc, s3, v1
	global_store_short_d16_hi v19, v0, s[0:1]
	s_and_b64 exec, exec, vcc
	s_cbranch_execz .LBB111_58
; %bb.57:
	v_mov_b32_e32 v1, s1
	v_add_co_u32_e32 v0, vcc, s0, v19
	v_addc_co_u32_e32 v1, vcc, 0, v1, vcc
	v_bfe_u32 v2, v14, 16, 1
	v_add3_u32 v2, v2, v14, s2
	v_or_b32_e32 v3, 0x400000, v14
	v_cmp_u_f32_e32 vcc, v14, v14
	v_cndmask_b32_e32 v2, v2, v3, vcc
	global_store_short_d16_hi v[0:1], v2, off offset:128
.LBB111_58:
	s_endpgm
	.section	.rodata,"a",@progbits
	.p2align	6, 0x0
	.amdhsa_kernel _ZN4vllm25paged_attention_v1_kernelI14__hip_bfloat16S1_Li96ELi8ELi128ELNS_18Fp8KVCacheDataTypeE0ELb1EEEvPT_PKS3_PKT0_S9_ifPKiSB_iPKfiiiSD_SD_iiiii
		.amdhsa_group_segment_fixed_size 208
		.amdhsa_private_segment_fixed_size 0
		.amdhsa_kernarg_size 384
		.amdhsa_user_sgpr_count 6
		.amdhsa_user_sgpr_private_segment_buffer 1
		.amdhsa_user_sgpr_dispatch_ptr 0
		.amdhsa_user_sgpr_queue_ptr 0
		.amdhsa_user_sgpr_kernarg_segment_ptr 1
		.amdhsa_user_sgpr_dispatch_id 0
		.amdhsa_user_sgpr_flat_scratch_init 0
		.amdhsa_user_sgpr_private_segment_size 0
		.amdhsa_uses_dynamic_stack 0
		.amdhsa_system_sgpr_private_segment_wavefront_offset 0
		.amdhsa_system_sgpr_workgroup_id_x 1
		.amdhsa_system_sgpr_workgroup_id_y 1
		.amdhsa_system_sgpr_workgroup_id_z 1
		.amdhsa_system_sgpr_workgroup_info 0
		.amdhsa_system_vgpr_workitem_id 0
		.amdhsa_next_free_vgpr 42
		.amdhsa_next_free_sgpr 46
		.amdhsa_reserve_vcc 1
		.amdhsa_reserve_flat_scratch 0
		.amdhsa_float_round_mode_32 0
		.amdhsa_float_round_mode_16_64 0
		.amdhsa_float_denorm_mode_32 3
		.amdhsa_float_denorm_mode_16_64 3
		.amdhsa_dx10_clamp 1
		.amdhsa_ieee_mode 1
		.amdhsa_fp16_overflow 0
		.amdhsa_exception_fp_ieee_invalid_op 0
		.amdhsa_exception_fp_denorm_src 0
		.amdhsa_exception_fp_ieee_div_zero 0
		.amdhsa_exception_fp_ieee_overflow 0
		.amdhsa_exception_fp_ieee_underflow 0
		.amdhsa_exception_fp_ieee_inexact 0
		.amdhsa_exception_int_div_zero 0
	.end_amdhsa_kernel
	.section	.text._ZN4vllm25paged_attention_v1_kernelI14__hip_bfloat16S1_Li96ELi8ELi128ELNS_18Fp8KVCacheDataTypeE0ELb1EEEvPT_PKS3_PKT0_S9_ifPKiSB_iPKfiiiSD_SD_iiiii,"axG",@progbits,_ZN4vllm25paged_attention_v1_kernelI14__hip_bfloat16S1_Li96ELi8ELi128ELNS_18Fp8KVCacheDataTypeE0ELb1EEEvPT_PKS3_PKT0_S9_ifPKiSB_iPKfiiiSD_SD_iiiii,comdat
.Lfunc_end111:
	.size	_ZN4vllm25paged_attention_v1_kernelI14__hip_bfloat16S1_Li96ELi8ELi128ELNS_18Fp8KVCacheDataTypeE0ELb1EEEvPT_PKS3_PKT0_S9_ifPKiSB_iPKfiiiSD_SD_iiiii, .Lfunc_end111-_ZN4vllm25paged_attention_v1_kernelI14__hip_bfloat16S1_Li96ELi8ELi128ELNS_18Fp8KVCacheDataTypeE0ELb1EEEvPT_PKS3_PKT0_S9_ifPKiSB_iPKfiiiSD_SD_iiiii
                                        ; -- End function
	.set _ZN4vllm25paged_attention_v1_kernelI14__hip_bfloat16S1_Li96ELi8ELi128ELNS_18Fp8KVCacheDataTypeE0ELb1EEEvPT_PKS3_PKT0_S9_ifPKiSB_iPKfiiiSD_SD_iiiii.num_vgpr, 42
	.set _ZN4vllm25paged_attention_v1_kernelI14__hip_bfloat16S1_Li96ELi8ELi128ELNS_18Fp8KVCacheDataTypeE0ELb1EEEvPT_PKS3_PKT0_S9_ifPKiSB_iPKfiiiSD_SD_iiiii.num_agpr, 0
	.set _ZN4vllm25paged_attention_v1_kernelI14__hip_bfloat16S1_Li96ELi8ELi128ELNS_18Fp8KVCacheDataTypeE0ELb1EEEvPT_PKS3_PKT0_S9_ifPKiSB_iPKfiiiSD_SD_iiiii.numbered_sgpr, 46
	.set _ZN4vllm25paged_attention_v1_kernelI14__hip_bfloat16S1_Li96ELi8ELi128ELNS_18Fp8KVCacheDataTypeE0ELb1EEEvPT_PKS3_PKT0_S9_ifPKiSB_iPKfiiiSD_SD_iiiii.num_named_barrier, 0
	.set _ZN4vllm25paged_attention_v1_kernelI14__hip_bfloat16S1_Li96ELi8ELi128ELNS_18Fp8KVCacheDataTypeE0ELb1EEEvPT_PKS3_PKT0_S9_ifPKiSB_iPKfiiiSD_SD_iiiii.private_seg_size, 0
	.set _ZN4vllm25paged_attention_v1_kernelI14__hip_bfloat16S1_Li96ELi8ELi128ELNS_18Fp8KVCacheDataTypeE0ELb1EEEvPT_PKS3_PKT0_S9_ifPKiSB_iPKfiiiSD_SD_iiiii.uses_vcc, 1
	.set _ZN4vllm25paged_attention_v1_kernelI14__hip_bfloat16S1_Li96ELi8ELi128ELNS_18Fp8KVCacheDataTypeE0ELb1EEEvPT_PKS3_PKT0_S9_ifPKiSB_iPKfiiiSD_SD_iiiii.uses_flat_scratch, 0
	.set _ZN4vllm25paged_attention_v1_kernelI14__hip_bfloat16S1_Li96ELi8ELi128ELNS_18Fp8KVCacheDataTypeE0ELb1EEEvPT_PKS3_PKT0_S9_ifPKiSB_iPKfiiiSD_SD_iiiii.has_dyn_sized_stack, 0
	.set _ZN4vllm25paged_attention_v1_kernelI14__hip_bfloat16S1_Li96ELi8ELi128ELNS_18Fp8KVCacheDataTypeE0ELb1EEEvPT_PKS3_PKT0_S9_ifPKiSB_iPKfiiiSD_SD_iiiii.has_recursion, 0
	.set _ZN4vllm25paged_attention_v1_kernelI14__hip_bfloat16S1_Li96ELi8ELi128ELNS_18Fp8KVCacheDataTypeE0ELb1EEEvPT_PKS3_PKT0_S9_ifPKiSB_iPKfiiiSD_SD_iiiii.has_indirect_call, 0
	.section	.AMDGPU.csdata,"",@progbits
; Kernel info:
; codeLenInByte = 5260
; TotalNumSgprs: 50
; NumVgprs: 42
; ScratchSize: 0
; MemoryBound: 0
; FloatMode: 240
; IeeeMode: 1
; LDSByteSize: 208 bytes/workgroup (compile time only)
; SGPRBlocks: 6
; VGPRBlocks: 10
; NumSGPRsForWavesPerEU: 50
; NumVGPRsForWavesPerEU: 42
; Occupancy: 5
; WaveLimiterHint : 1
; COMPUTE_PGM_RSRC2:SCRATCH_EN: 0
; COMPUTE_PGM_RSRC2:USER_SGPR: 6
; COMPUTE_PGM_RSRC2:TRAP_HANDLER: 0
; COMPUTE_PGM_RSRC2:TGID_X_EN: 1
; COMPUTE_PGM_RSRC2:TGID_Y_EN: 1
; COMPUTE_PGM_RSRC2:TGID_Z_EN: 1
; COMPUTE_PGM_RSRC2:TIDIG_COMP_CNT: 0
	.section	.text._ZN4vllm25paged_attention_v1_kernelI14__hip_bfloat16S1_Li112ELi8ELi128ELNS_18Fp8KVCacheDataTypeE0ELb1EEEvPT_PKS3_PKT0_S9_ifPKiSB_iPKfiiiSD_SD_iiiii,"axG",@progbits,_ZN4vllm25paged_attention_v1_kernelI14__hip_bfloat16S1_Li112ELi8ELi128ELNS_18Fp8KVCacheDataTypeE0ELb1EEEvPT_PKS3_PKT0_S9_ifPKiSB_iPKfiiiSD_SD_iiiii,comdat
	.protected	_ZN4vllm25paged_attention_v1_kernelI14__hip_bfloat16S1_Li112ELi8ELi128ELNS_18Fp8KVCacheDataTypeE0ELb1EEEvPT_PKS3_PKT0_S9_ifPKiSB_iPKfiiiSD_SD_iiiii ; -- Begin function _ZN4vllm25paged_attention_v1_kernelI14__hip_bfloat16S1_Li112ELi8ELi128ELNS_18Fp8KVCacheDataTypeE0ELb1EEEvPT_PKS3_PKT0_S9_ifPKiSB_iPKfiiiSD_SD_iiiii
	.globl	_ZN4vllm25paged_attention_v1_kernelI14__hip_bfloat16S1_Li112ELi8ELi128ELNS_18Fp8KVCacheDataTypeE0ELb1EEEvPT_PKS3_PKT0_S9_ifPKiSB_iPKfiiiSD_SD_iiiii
	.p2align	8
	.type	_ZN4vllm25paged_attention_v1_kernelI14__hip_bfloat16S1_Li112ELi8ELi128ELNS_18Fp8KVCacheDataTypeE0ELb1EEEvPT_PKS3_PKT0_S9_ifPKiSB_iPKfiiiSD_SD_iiiii,@function
_ZN4vllm25paged_attention_v1_kernelI14__hip_bfloat16S1_Li112ELi8ELi128ELNS_18Fp8KVCacheDataTypeE0ELb1EEEvPT_PKS3_PKT0_S9_ifPKiSB_iPKfiiiSD_SD_iiiii: ; @_ZN4vllm25paged_attention_v1_kernelI14__hip_bfloat16S1_Li112ELi8ELi128ELNS_18Fp8KVCacheDataTypeE0ELb1EEEvPT_PKS3_PKT0_S9_ifPKiSB_iPKfiiiSD_SD_iiiii
; %bb.0:
	s_load_dword s9, s[4:5], 0x80
	s_load_dwordx2 s[0:1], s[4:5], 0x30
	s_load_dwordx2 s[34:35], s[4:5], 0x20
	s_mov_b32 s20, s7
	s_ashr_i32 s21, s7, 31
	s_lshl_b64 s[2:3], s[20:21], 2
	s_waitcnt lgkmcnt(0)
	s_add_u32 s0, s0, s2
	s_addc_u32 s1, s1, s3
	s_abs_i32 s2, s34
	v_cvt_f32_u32_e32 v1, s2
	s_sub_i32 s10, 0, s2
	s_abs_i32 s7, s9
	s_xor_b32 s3, s9, s34
	v_rcp_iflag_f32_e32 v1, v1
	s_ashr_i32 s3, s3, 31
	s_mov_b32 s45, 0
	v_mul_f32_e32 v1, 0x4f7ffffe, v1
	v_cvt_u32_f32_e32 v1, v1
	v_readfirstlane_b32 s11, v1
	s_mul_i32 s10, s10, s11
	s_mul_hi_u32 s10, s11, s10
	s_add_i32 s11, s11, s10
	s_mul_hi_u32 s10, s7, s11
	s_mul_i32 s11, s10, s2
	s_sub_i32 s7, s7, s11
	s_add_i32 s11, s10, 1
	s_sub_i32 s12, s7, s2
	s_cmp_ge_u32 s7, s2
	s_cselect_b32 s10, s11, s10
	s_cselect_b32 s7, s12, s7
	s_add_i32 s11, s10, 1
	s_cmp_ge_u32 s7, s2
	s_cselect_b32 s2, s11, s10
	s_xor_b32 s2, s2, s3
	s_sub_i32 s12, s2, s3
	s_abs_i32 s10, s12
	v_cvt_f32_u32_e32 v1, s10
	s_load_dwordx2 s[2:3], s[4:5], 0x40
	s_sub_i32 s7, 0, s10
	s_abs_i32 s11, s6
	v_rcp_iflag_f32_e32 v1, v1
	v_mul_f32_e32 v1, 0x4f7ffffe, v1
	v_cvt_u32_f32_e32 v1, v1
	v_readfirstlane_b32 s13, v1
	s_mul_i32 s7, s7, s13
	s_mul_hi_u32 s7, s13, s7
	s_add_i32 s13, s13, s7
	s_waitcnt lgkmcnt(0)
	s_cmp_eq_u64 s[2:3], 0
	s_mul_hi_u32 s24, s11, s13
	s_cbranch_scc1 .LBB112_2
; %bb.1:
	s_ashr_i32 s7, s6, 31
	s_lshl_b64 s[14:15], s[6:7], 2
	s_add_u32 s2, s2, s14
	s_addc_u32 s3, s3, s15
	s_load_dword s45, s[2:3], 0x0
.LBB112_2:
	s_load_dword s21, s[0:1], 0x0
	s_ashr_i32 s25, s12, 31
	s_load_dwordx4 s[12:15], s[4:5], 0x48
	s_movk_i32 s0, 0x70
	s_ashr_i32 s7, s6, 31
	v_and_b32_e32 v1, 7, v0
	s_mul_i32 s22, s6, 0x70
	v_cmp_gt_u32_e64 s[0:1], s0, v0
	v_lshlrev_b32_e32 v19, 1, v0
	s_and_saveexec_b64 s[2:3], s[0:1]
	s_cbranch_execz .LBB112_4
; %bb.3:
	s_load_dwordx2 s[16:17], s[4:5], 0x8
	s_waitcnt lgkmcnt(0)
	s_mul_i32 s18, s12, s20
	s_ashr_i32 s19, s18, 31
	s_lshl_b64 s[18:19], s[18:19], 1
	v_lshrrev_b32_e32 v3, 2, v0
	s_add_u32 s12, s16, s18
	s_addc_u32 s15, s17, s19
	s_ashr_i32 s23, s22, 31
	s_lshl_b64 s[16:17], s[22:23], 1
	s_add_u32 s16, s12, s16
	s_addc_u32 s17, s15, s17
	global_load_ushort v2, v19, s[16:17]
	v_and_b32_e32 v3, 0xfe, v3
	v_mad_u32_u24 v3, v1, 28, v3
	s_waitcnt vmcnt(0)
	ds_write_b16 v3, v2
.LBB112_4:
	s_or_b64 exec, exec, s[2:3]
	s_mul_i32 s3, s24, s10
	s_sub_i32 s3, s11, s3
	s_xor_b32 s2, s7, s25
	s_add_i32 s7, s24, 1
	s_sub_i32 s11, s3, s10
	s_load_dwordx4 s[16:19], s[4:5], 0x68
	s_waitcnt lgkmcnt(0)
	s_load_dword s12, s[4:5], 0x78
	s_cmp_ge_u32 s3, s10
	s_cselect_b32 s7, s7, s24
	s_cselect_b32 s3, s11, s3
	s_add_i32 s11, s7, 1
	s_cmp_ge_u32 s3, s10
	s_cselect_b32 s3, s11, s7
	s_abs_i32 s23, s19
	v_cvt_f32_u32_e32 v2, s23
	s_xor_b32 s3, s3, s2
	s_sub_i32 s7, s3, s2
	s_sub_i32 s2, 0, s23
	v_rcp_iflag_f32_e32 v2, v2
	s_add_i32 s15, s21, -1
	s_abs_i32 s10, s15
	s_waitcnt lgkmcnt(0)
	v_mul_f32_e32 v2, 0x4f7ffffe, v2
	v_cvt_u32_f32_e32 v2, v2
	s_barrier
	v_readfirstlane_b32 s33, v2
	s_mul_i32 s2, s2, s33
	s_mul_hi_u32 s2, s33, s2
	s_add_i32 s33, s33, s2
	s_cmp_lt_i32 s12, 0
	s_mul_hi_u32 s11, s10, s33
	s_cbranch_scc0 .LBB112_6
; %bb.5:
	s_mul_i32 s2, s16, s34
	s_add_i32 s2, s7, s2
	s_mul_i32 s2, s2, s12
	s_sub_i32 s42, 1, s2
	s_mov_b64 s[2:3], 0
	s_branch .LBB112_7
.LBB112_6:
	s_mov_b64 s[2:3], -1
                                        ; implicit-def: $sgpr42
.LBB112_7:
	s_load_dwordx2 s[26:27], s[4:5], 0x28
	s_ashr_i32 s15, s15, 31
	s_andn2_b64 vcc, exec, s[2:3]
	s_ashr_i32 s43, s19, 31
	s_cbranch_vccnz .LBB112_9
; %bb.8:
	s_mul_i32 s2, s9, s16
	s_add_i32 s2, s2, s6
	s_mul_i32 s2, s2, s12
	s_add_i32 s42, s2, 1
.LBB112_9:
	s_load_dword s2, s[4:5], 0x38
	s_load_dwordx2 s[24:25], s[4:5], 0x0
	s_load_dwordx2 s[30:31], s[4:5], 0x18
	s_load_dword s19, s[4:5], 0x88
	s_xor_b32 s3, s15, s43
	s_waitcnt lgkmcnt(0)
	s_mul_i32 s28, s2, s20
	s_mul_i32 s2, s11, s23
	s_sub_i32 s2, s10, s2
	s_ashr_i32 s29, s28, 31
	s_add_i32 s6, s11, 1
	s_sub_i32 s10, s2, s23
	s_cmp_ge_u32 s2, s23
	s_cselect_b32 s6, s6, s11
	s_cselect_b32 s2, s10, s2
	s_add_i32 s10, s6, 1
	s_cmp_ge_u32 s2, s23
	s_cselect_b32 s2, s10, s6
	s_xor_b32 s2, s2, s3
	s_sub_i32 s12, s2, s3
	s_add_i32 s2, s21, 7
	s_ashr_i32 s3, s2, 31
	s_lshr_b32 s3, s3, 29
	s_add_i32 s2, s2, s3
	s_ashr_i32 s44, s2, 3
	v_lshrrev_b32_e32 v20, 6, v0
	v_cmp_gt_i32_e64 s[2:3], s44, v20
	v_mov_b32_e32 v8, 0xff7fffff
	s_mul_i32 s14, s7, s14
	v_lshrrev_b32_e32 v3, 4, v0
	v_lshlrev_b32_e32 v21, 3, v20
	v_mbcnt_lo_u32_b32 v4, -1, 0
	s_and_saveexec_b64 s[36:37], s[2:3]
	s_cbranch_execz .LBB112_21
; %bb.10:
	s_load_dwordx2 s[4:5], s[4:5], 0x10
	s_ashr_i32 s15, s14, 31
	s_sub_i32 s16, s12, s17
	s_lshl_b64 s[6:7], s[14:15], 1
	v_bfe_u32 v5, v0, 3, 3
	s_waitcnt lgkmcnt(0)
	s_add_u32 s4, s4, s6
	s_addc_u32 s5, s5, s7
	s_abs_i32 s15, s18
	v_cvt_f32_u32_e32 v2, s15
	v_mov_b32_e32 v8, s5
	s_sub_i32 s5, 0, s15
	v_lshlrev_b32_e32 v7, 4, v5
	v_rcp_iflag_f32_e32 v2, v2
	v_lshlrev_b32_e32 v6, 1, v1
	s_lshl_b64 s[6:7], s[28:29], 2
	s_add_u32 s6, s26, s6
	v_mul_f32_e32 v2, 0x4f7ffffe, v2
	v_cvt_u32_f32_e32 v2, v2
	v_cmp_eq_u32_e32 vcc, 0, v1
	s_addc_u32 s7, s27, s7
	v_mbcnt_hi_u32_b32 v15, -1, v4
	v_mul_lo_u32 v9, s5, v2
	v_add_co_u32_e64 v7, s[4:5], s4, v7
	v_addc_co_u32_e64 v8, s[4:5], 0, v8, s[4:5]
	v_mul_hi_u32 v10, v2, v9
	v_add_co_u32_e64 v6, s[4:5], v7, v6
	v_addc_co_u32_e64 v7, s[4:5], 0, v8, s[4:5]
	v_subrev_u32_e32 v8, s21, v5
	v_add_u32_e32 v12, 1, v8
	v_lshlrev_b32_e32 v8, 2, v5
	v_mul_u32_u24_e32 v9, 28, v1
	v_and_b32_e32 v1, 60, v3
	v_lshl_or_b32 v8, v20, 5, v8
	v_add_u32_e32 v10, v2, v10
	v_mov_b32_e32 v2, s7
	v_add_co_u32_e64 v1, s[6:7], s6, v1
	v_add_u32_e32 v13, 0xf0, v8
	v_and_b32_e32 v8, 64, v15
	s_mov_b32 s34, s13
	v_cmp_neq_f32_e64 s[4:5], s45, 0
	v_addc_co_u32_e64 v2, s[6:7], 0, v2, s[6:7]
	v_lshlrev_b32_e32 v11, 3, v20
	v_mov_b32_e32 v14, 0xff7fffff
	s_mov_b64 s[38:39], 0
	v_add_u32_e32 v16, 64, v8
	v_xor_b32_e32 v17, 4, v15
	v_xor_b32_e32 v18, 2, v15
	v_mov_b32_e32 v8, 0xff7fffff
	v_mov_b32_e32 v22, v20
	s_branch .LBB112_13
.LBB112_11:                             ;   in Loop: Header=BB112_13 Depth=1
	s_or_b64 exec, exec, s[40:41]
.LBB112_12:                             ;   in Loop: Header=BB112_13 Depth=1
	s_or_b64 exec, exec, s[10:11]
	v_add_co_u32_e64 v1, s[6:7], 8, v1
	v_add_u32_e32 v22, 2, v22
	v_addc_co_u32_e64 v2, s[6:7], 0, v2, s[6:7]
	v_cmp_le_i32_e64 s[6:7], s44, v22
	v_add_u32_e32 v11, 16, v11
	s_or_b64 s[38:39], s[6:7], s[38:39]
	v_add_u32_e32 v13, 64, v13
	s_andn2_b64 exec, exec, s[38:39]
	s_cbranch_execz .LBB112_20
.LBB112_13:                             ; =>This Inner Loop Header: Depth=1
	v_mul_hi_u32 v23, v11, s33
	s_waitcnt lgkmcnt(0)
	v_mul_lo_u32 v24, v23, s23
	v_add_u32_e32 v25, 1, v23
	v_sub_u32_e32 v24, v11, v24
	v_cmp_le_u32_e64 s[6:7], s23, v24
	v_cndmask_b32_e64 v23, v23, v25, s[6:7]
	v_subrev_u32_e32 v25, s23, v24
	v_cndmask_b32_e64 v24, v24, v25, s[6:7]
	v_add_u32_e32 v25, 1, v23
	v_cmp_le_u32_e64 s[6:7], s23, v24
	v_cndmask_b32_e64 v23, v23, v25, s[6:7]
	v_xor_b32_e32 v23, s43, v23
	v_subrev_u32_e32 v23, s43, v23
	v_add_u32_e32 v24, s42, v23
	v_sub_u32_e32 v25, 0, v24
	v_max_i32_e32 v25, v24, v25
	v_mul_hi_u32 v26, v25, v10
	v_ashrrev_i32_e32 v24, 31, v24
	v_cmp_ge_i32_e64 s[10:11], s16, v23
	v_mul_lo_u32 v26, v26, s15
	v_sub_u32_e32 v25, v25, v26
	v_subrev_u32_e32 v26, s15, v25
	v_cmp_le_u32_e64 s[6:7], s15, v25
	v_cndmask_b32_e64 v25, v25, v26, s[6:7]
	v_subrev_u32_e32 v26, s15, v25
	v_cmp_le_u32_e64 s[6:7], s15, v25
	v_cndmask_b32_e64 v25, v25, v26, s[6:7]
	v_xor_b32_e32 v25, v25, v24
	v_sub_u32_e32 v24, v25, v24
	v_cmp_ne_u32_e64 s[6:7], 0, v24
	s_and_b64 s[6:7], s[6:7], s[10:11]
	s_and_saveexec_b64 s[10:11], s[6:7]
	s_xor_b64 s[6:7], exec, s[10:11]
	s_cbranch_execz .LBB112_17
; %bb.14:                               ;   in Loop: Header=BB112_13 Depth=1
	s_and_saveexec_b64 s[10:11], vcc
; %bb.15:                               ;   in Loop: Header=BB112_13 Depth=1
	ds_write_b32 v13, v14
; %bb.16:                               ;   in Loop: Header=BB112_13 Depth=1
	s_or_b64 exec, exec, s[10:11]
.LBB112_17:                             ;   in Loop: Header=BB112_13 Depth=1
	s_andn2_saveexec_b64 s[10:11], s[6:7]
	s_cbranch_execz .LBB112_12
; %bb.18:                               ;   in Loop: Header=BB112_13 Depth=1
	global_load_dword v23, v[1:2], off
	s_waitcnt vmcnt(0)
	v_mad_i64_i32 v[23:24], s[6:7], v23, s34, 0
	v_lshlrev_b64 v[23:24], 1, v[23:24]
	v_add_co_u32_e64 v23, s[6:7], v6, v23
	v_addc_co_u32_e64 v24, s[6:7], v7, v24, s[6:7]
	global_load_ushort v29, v[23:24], off offset:128
	global_load_ushort v30, v[23:24], off offset:256
	;; [unrolled: 1-line block ×7, first 2 shown]
	global_load_ushort v36, v[23:24], off
	global_load_ushort v37, v[23:24], off offset:1024
	global_load_ushort v38, v[23:24], off offset:1152
	;; [unrolled: 1-line block ×6, first 2 shown]
	ds_read2_b32 v[23:24], v9 offset1:1
	ds_read2_b32 v[25:26], v9 offset0:2 offset1:3
	ds_read2_b32 v[27:28], v9 offset0:4 offset1:5
	ds_read_b32 v43, v9 offset:24
	v_cmp_lt_i32_e64 s[6:7], v17, v16
	s_waitcnt lgkmcnt(3)
	v_and_b32_e32 v45, 0xffff0000, v23
	v_lshlrev_b32_e32 v23, 16, v23
	v_lshlrev_b32_e32 v46, 16, v24
	v_and_b32_e32 v24, 0xffff0000, v24
	s_waitcnt lgkmcnt(2)
	v_lshlrev_b32_e32 v47, 16, v25
	v_and_b32_e32 v25, 0xffff0000, v25
	v_lshlrev_b32_e32 v48, 16, v26
	v_and_b32_e32 v26, 0xffff0000, v26
	s_waitcnt lgkmcnt(1)
	v_lshlrev_b32_e32 v49, 16, v27
	v_and_b32_e32 v27, 0xffff0000, v27
	v_lshlrev_b32_e32 v50, 16, v28
	v_and_b32_e32 v28, 0xffff0000, v28
	s_waitcnt lgkmcnt(0)
	v_lshlrev_b32_e32 v51, 16, v43
	v_cndmask_b32_e64 v44, v15, v17, s[6:7]
	v_and_b32_e32 v43, 0xffff0000, v43
	v_lshlrev_b32_e32 v44, 2, v44
	v_cmp_lt_i32_e64 s[6:7], v18, v16
	s_waitcnt vmcnt(13)
	v_lshlrev_b32_e32 v29, 16, v29
	v_mul_f32_e32 v29, v45, v29
	s_waitcnt vmcnt(12)
	v_lshlrev_b32_e32 v30, 16, v30
	s_waitcnt vmcnt(11)
	v_lshlrev_b32_e32 v31, 16, v31
	;; [unrolled: 2-line block ×6, first 2 shown]
	v_fmac_f32_e32 v29, v23, v36
	v_fmac_f32_e32 v29, v46, v30
	;; [unrolled: 1-line block ×5, first 2 shown]
	v_lshlrev_b32_e32 v35, 16, v35
	v_fmac_f32_e32 v29, v48, v34
	s_waitcnt vmcnt(5)
	v_lshlrev_b32_e32 v37, 16, v37
	v_fmac_f32_e32 v29, v26, v35
	s_waitcnt vmcnt(4)
	;; [unrolled: 3-line block ×5, first 2 shown]
	v_lshlrev_b32_e32 v41, 16, v41
	v_fmac_f32_e32 v29, v28, v40
	v_fmac_f32_e32 v29, v51, v41
	s_waitcnt vmcnt(0)
	v_lshlrev_b32_e32 v23, 16, v42
	v_fmac_f32_e32 v29, v43, v23
	ds_bpermute_b32 v23, v44, v29
	v_cndmask_b32_e64 v24, v15, v18, s[6:7]
	v_lshlrev_b32_e32 v24, 2, v24
	v_xor_b32_e32 v25, 1, v15
	v_cmp_lt_i32_e64 s[6:7], v25, v16
	s_waitcnt lgkmcnt(0)
	v_add_f32_e32 v23, v29, v23
	ds_bpermute_b32 v24, v24, v23
	v_cndmask_b32_e64 v25, v15, v25, s[6:7]
	v_lshlrev_b32_e32 v25, 2, v25
	s_waitcnt lgkmcnt(0)
	v_add_f32_e32 v23, v23, v24
	ds_bpermute_b32 v24, v25, v23
	s_and_saveexec_b64 s[40:41], vcc
	s_cbranch_execz .LBB112_11
; %bb.19:                               ;   in Loop: Header=BB112_13 Depth=1
	v_add_u32_e32 v25, v12, v11
	v_cvt_f32_i32_e32 v25, v25
	s_waitcnt lgkmcnt(0)
	v_add_f32_e32 v23, v23, v24
	v_add_u32_e32 v26, v5, v11
	v_cmp_gt_i32_e64 s[6:7], s21, v26
	v_mul_f32_e32 v24, s45, v25
	v_cndmask_b32_e64 v24, 0, v24, s[4:5]
	v_fmac_f32_e32 v24, s35, v23
	v_cndmask_b32_e64 v23, 0, v24, s[6:7]
	ds_write_b32 v13, v23
	v_max_f32_e32 v23, v8, v8
	v_max_f32_e32 v23, v23, v24
	v_cndmask_b32_e64 v8, v8, v23, s[6:7]
	s_branch .LBB112_11
.LBB112_20:
	s_or_b64 exec, exec, s[38:39]
.LBB112_21:
	s_or_b64 exec, exec, s[36:37]
	v_mbcnt_hi_u32_b32 v1, -1, v4
	v_and_b32_e32 v10, 64, v1
	v_add_u32_e32 v2, 64, v10
	v_xor_b32_e32 v4, 32, v1
	v_cmp_lt_i32_e32 vcc, v4, v2
	v_cndmask_b32_e32 v4, v1, v4, vcc
	v_lshlrev_b32_e32 v5, 2, v4
	ds_bpermute_b32 v4, v5, v8
	v_xor_b32_e32 v7, 16, v1
	v_max_f32_e32 v6, v8, v8
	v_cmp_lt_i32_e32 vcc, v7, v2
	v_xor_b32_e32 v8, 8, v1
	s_waitcnt lgkmcnt(0)
	v_max_f32_e32 v4, v4, v4
	v_max_f32_e32 v4, v6, v4
	v_cndmask_b32_e32 v6, v1, v7, vcc
	v_lshlrev_b32_e32 v7, 2, v6
	ds_bpermute_b32 v6, v7, v4
	v_cmp_lt_i32_e32 vcc, v8, v2
	v_and_b32_e32 v22, 63, v0
	s_waitcnt lgkmcnt(0)
	v_max_f32_e32 v6, v6, v6
	v_max_f32_e32 v6, v4, v6
	v_cndmask_b32_e32 v4, v1, v8, vcc
	v_lshlrev_b32_e32 v9, 2, v4
	ds_bpermute_b32 v8, v9, v6
	v_cmp_eq_u32_e32 vcc, 0, v22
	v_lshlrev_b32_e32 v4, 2, v20
	s_and_saveexec_b64 s[4:5], vcc
	s_cbranch_execz .LBB112_23
; %bb.22:
	s_waitcnt lgkmcnt(0)
	v_max_f32_e32 v8, v8, v8
	v_max_f32_e32 v6, v6, v6
	;; [unrolled: 1-line block ×3, first 2 shown]
	ds_write_b32 v4, v6 offset:224
.LBB112_23:
	s_or_b64 exec, exec, s[4:5]
	v_cmp_gt_u32_e64 s[4:5], 2, v22
	v_mov_b32_e32 v11, 0xff7fffff
	v_lshlrev_b32_e32 v6, 2, v22
	s_waitcnt lgkmcnt(0)
	s_barrier
	s_and_saveexec_b64 s[6:7], s[4:5]
; %bb.24:
	ds_read_b32 v11, v6 offset:224
; %bb.25:
	s_or_b64 exec, exec, s[6:7]
	v_xor_b32_e32 v8, 1, v1
	v_cmp_lt_i32_e64 s[6:7], v8, v2
	v_cndmask_b32_e64 v8, v1, v8, s[6:7]
	v_lshlrev_b32_e32 v8, 2, v8
	s_waitcnt lgkmcnt(0)
	ds_bpermute_b32 v12, v8, v11
	v_max_f32_e32 v11, v11, v11
	v_lshlrev_b32_e32 v10, 2, v10
	s_lshl_b32 s6, s44, 3
	s_min_i32 s15, s6, s21
	s_waitcnt lgkmcnt(0)
	v_max_f32_e32 v12, v12, v12
	v_max_f32_e32 v11, v11, v12
	ds_bpermute_b32 v11, v10, v11
	v_cmp_gt_i32_e64 s[6:7], s15, v0
	v_mov_b32_e32 v10, 0
	s_and_saveexec_b64 s[34:35], s[6:7]
	s_cbranch_execz .LBB112_29
; %bb.26:
	v_mov_b32_e32 v10, 0xf0
	v_lshl_add_u32 v12, v0, 2, v10
	v_mov_b32_e32 v10, 0
	s_mov_b64 s[36:37], 0
	v_mov_b32_e32 v13, v0
.LBB112_27:                             ; =>This Inner Loop Header: Depth=1
	ds_read_b32 v14, v12
	v_add_u32_e32 v13, 0x80, v13
	v_cmp_le_i32_e64 s[10:11], s15, v13
	s_or_b64 s[36:37], s[10:11], s[36:37]
	s_waitcnt lgkmcnt(0)
	v_sub_f32_e32 v14, v14, v11
	v_mul_f32_e32 v14, 0x3fb8aa3b, v14
	v_exp_f32_e32 v14, v14
	ds_write_b32 v12, v14
	v_add_f32_e32 v10, v10, v14
	v_add_u32_e32 v12, 0x200, v12
	s_andn2_b64 exec, exec, s[36:37]
	s_cbranch_execnz .LBB112_27
; %bb.28:
	s_or_b64 exec, exec, s[36:37]
.LBB112_29:
	s_or_b64 exec, exec, s[34:35]
	ds_bpermute_b32 v5, v5, v10
	s_waitcnt lgkmcnt(0)
	v_add_f32_e32 v5, v10, v5
	ds_bpermute_b32 v7, v7, v5
	s_waitcnt lgkmcnt(0)
	v_add_f32_e32 v5, v5, v7
	ds_bpermute_b32 v7, v9, v5
	v_xor_b32_e32 v9, 4, v1
	v_cmp_lt_i32_e64 s[10:11], v9, v2
	v_cndmask_b32_e64 v9, v1, v9, s[10:11]
	v_lshlrev_b32_e32 v9, 2, v9
	s_waitcnt lgkmcnt(0)
	v_add_f32_e32 v5, v5, v7
	ds_bpermute_b32 v7, v9, v5
	v_xor_b32_e32 v9, 2, v1
	v_cmp_lt_i32_e64 s[10:11], v9, v2
	v_cndmask_b32_e64 v2, v1, v9, s[10:11]
	v_lshlrev_b32_e32 v2, 2, v2
	s_waitcnt lgkmcnt(0)
	v_add_f32_e32 v5, v5, v7
	ds_bpermute_b32 v2, v2, v5
	s_waitcnt lgkmcnt(0)
	v_add_f32_e32 v2, v5, v2
	ds_bpermute_b32 v5, v8, v2
	s_waitcnt lgkmcnt(0)
	v_add_f32_e32 v2, v2, v5
	s_and_saveexec_b64 s[10:11], vcc
; %bb.30:
	ds_write_b32 v4, v2 offset:232
; %bb.31:
	s_or_b64 exec, exec, s[10:11]
	s_waitcnt lgkmcnt(0)
	s_barrier
	s_and_saveexec_b64 s[10:11], s[4:5]
; %bb.32:
	ds_read_b32 v2, v6 offset:232
; %bb.33:
	s_or_b64 exec, exec, s[10:11]
	s_waitcnt lgkmcnt(0)
	ds_bpermute_b32 v4, v8, v2
	v_lshlrev_b32_e32 v1, 2, v1
	v_and_b32_e32 v1, 0x100, v1
	s_waitcnt lgkmcnt(0)
	v_add_f32_e32 v2, v2, v4
	ds_bpermute_b32 v1, v1, v2
	s_and_saveexec_b64 s[4:5], s[6:7]
	s_cbranch_execz .LBB112_36
; %bb.34:
	s_waitcnt lgkmcnt(0)
	v_add_f32_e32 v2, 0x358637bd, v1
	v_div_scale_f32 v1, s[6:7], v2, v2, 1.0
	v_div_scale_f32 v4, vcc, 1.0, v2, 1.0
	s_mov_b64 s[6:7], 0
	v_rcp_f32_e32 v5, v1
	v_fma_f32 v6, -v1, v5, 1.0
	v_fmac_f32_e32 v5, v6, v5
	v_mul_f32_e32 v6, v4, v5
	v_fma_f32 v7, -v1, v6, v4
	v_fmac_f32_e32 v6, v7, v5
	v_fma_f32 v1, -v1, v6, v4
	v_div_fmas_f32 v4, v1, v5, v6
	v_mov_b32_e32 v1, 0xf0
	v_lshl_add_u32 v1, v0, 2, v1
	v_div_fixup_f32 v2, v4, v2, 1.0
	v_mov_b32_e32 v4, v0
.LBB112_35:                             ; =>This Inner Loop Header: Depth=1
	ds_read_b32 v5, v1
	v_add_u32_e32 v4, 0x80, v4
	v_cmp_le_i32_e32 vcc, s15, v4
	s_or_b64 s[6:7], vcc, s[6:7]
	s_waitcnt lgkmcnt(0)
	v_mul_f32_e32 v5, v2, v5
	ds_write_b32 v1, v5
	v_add_u32_e32 v1, 0x200, v1
	s_andn2_b64 exec, exec, s[6:7]
	s_cbranch_execnz .LBB112_35
.LBB112_36:
	s_or_b64 exec, exec, s[4:5]
	v_mov_b32_e32 v15, 0
	v_mov_b32_e32 v16, v15
	;; [unrolled: 1-line block ×4, first 2 shown]
	s_waitcnt lgkmcnt(0)
	s_barrier
	s_and_saveexec_b64 s[10:11], s[2:3]
	s_cbranch_execz .LBB112_48
; %bb.37:
	s_ashr_i32 s15, s14, 31
	s_sub_i32 s34, s12, s17
	s_lshl_b64 s[2:3], s[14:15], 1
	s_add_u32 s30, s30, s2
	s_addc_u32 s31, s31, s3
	s_abs_i32 s18, s18
	v_cvt_f32_u32_e32 v1, s18
	s_sub_i32 s3, 0, s18
	s_add_i32 s37, s44, -1
	s_lshl_b64 s[4:5], s[28:29], 2
	v_rcp_iflag_f32_e32 v1, v1
	s_add_u32 s4, s26, s4
	v_and_b32_e32 v3, 60, v3
	s_addc_u32 s5, s27, s5
	v_mul_f32_e32 v1, 0x4f7ffffe, v1
	v_cvt_u32_f32_e32 v1, v1
	v_or_b32_e32 v4, 64, v22
	s_movk_i32 s2, 0x70
	v_add_co_u32_e32 v17, vcc, s4, v3
	v_mul_lo_u32 v5, s3, v1
	v_lshlrev_b32_e32 v2, 3, v22
	v_cmp_gt_u32_e64 s[2:3], s2, v4
	v_lshlrev_b32_e32 v4, 3, v4
	v_mul_hi_u32 v5, v1, v5
	v_mov_b32_e32 v16, v15
	v_mov_b32_e32 v13, v15
	s_mov_b32 s35, s13
	v_add_u32_e32 v23, v1, v5
	v_mov_b32_e32 v1, s5
	v_addc_co_u32_e32 v18, vcc, 0, v1, vcc
	v_mov_b32_e32 v1, 0xf0
	s_mov_b32 s36, s21
	v_lshl_add_u32 v24, v20, 5, v1
	s_mov_b64 s[12:13], 0
	v_lshlrev_b32_e32 v25, 1, v2
	s_mov_b32 s26, 0x5040100
	s_movk_i32 s27, 0x7fff
	s_mov_b32 s28, 0x7060302
	v_lshlrev_b32_e32 v26, 1, v4
	v_mov_b32_e32 v14, v16
	s_branch .LBB112_41
.LBB112_38:                             ;   in Loop: Header=BB112_41 Depth=1
	s_or_b64 exec, exec, s[16:17]
	v_perm_b32 v9, v10, v9, s28
	v_perm_b32 v5, v6, v5, s28
	;; [unrolled: 1-line block ×3, first 2 shown]
	s_waitcnt vmcnt(0)
	v_lshlrev_b32_e32 v7, 16, v1
	v_lshlrev_b32_e32 v8, 16, v9
	v_mul_f32_e32 v7, v8, v7
	v_bfe_u32 v8, v7, 16, 1
	v_perm_b32 v10, v12, v11, s28
	v_add3_u32 v8, v8, v7, s27
	v_or_b32_e32 v11, 0x400000, v7
	v_cmp_u_f32_e32 vcc, v7, v7
	v_cndmask_b32_e32 v7, v8, v11, vcc
	v_and_b32_e32 v1, 0xffff0000, v1
	v_and_b32_e32 v8, 0xffff0000, v9
	v_mul_f32_e32 v1, v8, v1
	v_bfe_u32 v8, v1, 16, 1
	v_add3_u32 v8, v8, v1, s27
	v_or_b32_e32 v9, 0x400000, v1
	v_cmp_u_f32_e32 vcc, v1, v1
	v_cndmask_b32_e32 v1, v8, v9, vcc
	v_lshlrev_b32_e32 v8, 16, v2
	v_lshlrev_b32_e32 v9, 16, v10
	v_mul_f32_e32 v8, v9, v8
	v_bfe_u32 v9, v8, 16, 1
	v_add3_u32 v9, v9, v8, s27
	v_or_b32_e32 v11, 0x400000, v8
	v_cmp_u_f32_e32 vcc, v8, v8
	v_cndmask_b32_e32 v8, v9, v11, vcc
	v_and_b32_e32 v2, 0xffff0000, v2
	v_and_b32_e32 v9, 0xffff0000, v10
	v_mul_f32_e32 v2, v9, v2
	v_bfe_u32 v9, v2, 16, 1
	v_add3_u32 v9, v9, v2, s27
	v_or_b32_e32 v10, 0x400000, v2
	v_cmp_u_f32_e32 vcc, v2, v2
	v_cndmask_b32_e32 v2, v9, v10, vcc
	v_lshlrev_b32_e32 v9, 16, v3
	v_lshlrev_b32_e32 v10, 16, v5
	v_mul_f32_e32 v9, v10, v9
	v_and_b32_e32 v3, 0xffff0000, v3
	v_and_b32_e32 v5, 0xffff0000, v5
	v_bfe_u32 v10, v9, 16, 1
	v_mul_f32_e32 v3, v5, v3
	v_add3_u32 v10, v10, v9, s27
	v_or_b32_e32 v11, 0x400000, v9
	v_cmp_u_f32_e32 vcc, v9, v9
	v_bfe_u32 v5, v3, 16, 1
	v_cndmask_b32_e32 v9, v10, v11, vcc
	v_add3_u32 v5, v5, v3, s27
	v_or_b32_e32 v10, 0x400000, v3
	v_cmp_u_f32_e32 vcc, v3, v3
	v_cndmask_b32_e32 v3, v5, v10, vcc
	v_lshlrev_b32_e32 v5, 16, v4
	v_lshlrev_b32_e32 v10, 16, v6
	v_mul_f32_e32 v5, v10, v5
	v_and_b32_e32 v4, 0xffff0000, v4
	v_and_b32_e32 v6, 0xffff0000, v6
	v_bfe_u32 v10, v5, 16, 1
	v_mul_f32_e32 v4, v6, v4
	v_add3_u32 v10, v10, v5, s27
	v_or_b32_e32 v11, 0x400000, v5
	v_cmp_u_f32_e32 vcc, v5, v5
	v_bfe_u32 v6, v4, 16, 1
	v_cndmask_b32_e32 v5, v10, v11, vcc
	v_add3_u32 v6, v6, v4, s27
	v_or_b32_e32 v10, 0x400000, v4
	v_cmp_u_f32_e32 vcc, v4, v4
	v_cndmask_b32_e32 v4, v6, v10, vcc
	v_and_b32_e32 v1, 0xffff0000, v1
	v_and_b32_e32 v6, 0xffff0000, v7
	v_add_f32_e32 v1, v6, v1
	v_and_b32_e32 v2, 0xffff0000, v2
	v_and_b32_e32 v6, 0xffff0000, v8
	v_add_f32_e32 v2, v6, v2
	v_add_f32_e32 v1, v2, v1
	v_and_b32_e32 v2, 0xffff0000, v3
	v_and_b32_e32 v3, 0xffff0000, v9
	v_add_f32_e32 v2, v3, v2
	;; [unrolled: 4-line block ×3, first 2 shown]
	v_add_f32_e32 v1, v2, v1
	v_add_f32_e32 v14, v14, v1
.LBB112_39:                             ;   in Loop: Header=BB112_41 Depth=1
	s_or_b64 exec, exec, s[6:7]
.LBB112_40:                             ;   in Loop: Header=BB112_41 Depth=1
	s_or_b64 exec, exec, s[14:15]
	v_add_co_u32_e32 v17, vcc, 8, v17
	v_add_u32_e32 v20, 2, v20
	v_addc_co_u32_e32 v18, vcc, 0, v18, vcc
	v_cmp_le_i32_e32 vcc, s44, v20
	v_add_u32_e32 v21, 16, v21
	s_or_b64 s[12:13], vcc, s[12:13]
	v_add_u32_e32 v24, 64, v24
	s_andn2_b64 exec, exec, s[12:13]
	s_cbranch_execz .LBB112_47
.LBB112_41:                             ; =>This Inner Loop Header: Depth=1
	v_mul_hi_u32 v1, v21, s33
	v_mul_lo_u32 v2, v1, s23
	v_add_u32_e32 v3, 1, v1
	v_sub_u32_e32 v2, v21, v2
	v_cmp_le_u32_e32 vcc, s23, v2
	v_cndmask_b32_e32 v1, v1, v3, vcc
	v_subrev_u32_e32 v3, s23, v2
	v_cndmask_b32_e32 v2, v2, v3, vcc
	v_add_u32_e32 v3, 1, v1
	v_cmp_le_u32_e32 vcc, s23, v2
	v_cndmask_b32_e32 v1, v1, v3, vcc
	v_xor_b32_e32 v1, s43, v1
	v_subrev_u32_e32 v1, s43, v1
	v_add_u32_e32 v2, s42, v1
	v_sub_u32_e32 v3, 0, v2
	v_max_i32_e32 v3, v2, v3
	v_mul_hi_u32 v4, v3, v23
	v_ashrrev_i32_e32 v2, 31, v2
	v_cmp_lt_i32_e64 s[4:5], s34, v1
	v_mul_lo_u32 v4, v4, s18
	v_sub_u32_e32 v3, v3, v4
	v_subrev_u32_e32 v4, s18, v3
	v_cmp_le_u32_e32 vcc, s18, v3
	v_cndmask_b32_e32 v3, v3, v4, vcc
	v_subrev_u32_e32 v4, s18, v3
	v_cmp_le_u32_e32 vcc, s18, v3
	v_cndmask_b32_e32 v3, v3, v4, vcc
	v_xor_b32_e32 v3, v3, v2
	v_sub_u32_e32 v2, v3, v2
	v_cmp_eq_u32_e32 vcc, 0, v2
	s_or_b64 s[4:5], vcc, s[4:5]
	s_and_saveexec_b64 s[14:15], s[4:5]
	s_cbranch_execz .LBB112_40
; %bb.42:                               ;   in Loop: Header=BB112_41 Depth=1
	global_load_dword v1, v[17:18], off
	v_mov_b32_e32 v3, s31
	s_waitcnt vmcnt(0)
	v_mad_i64_i32 v[1:2], s[4:5], v1, s35, 0
	v_cmp_eq_u32_e64 s[4:5], s37, v20
	v_lshlrev_b64 v[1:2], 1, v[1:2]
	v_add_co_u32_e32 v16, vcc, s30, v1
	v_addc_co_u32_e32 v27, vcc, v3, v2, vcc
	v_add_co_u32_e32 v1, vcc, v16, v25
	v_addc_co_u32_e32 v2, vcc, 0, v27, vcc
	global_load_dwordx4 v[1:4], v[1:2], off
	ds_read2_b64 v[9:12], v24 offset1:1
	ds_read2_b64 v[5:8], v24 offset0:2 offset1:3
	s_and_saveexec_b64 s[16:17], s[4:5]
	s_cbranch_execz .LBB112_44
; %bb.43:                               ;   in Loop: Header=BB112_41 Depth=1
	v_add_u32_e32 v28, 1, v21
	v_cmp_gt_i32_e32 vcc, s36, v28
	s_waitcnt vmcnt(0)
	v_cndmask_b32_sdwa v28, v15, v1, vcc dst_sel:DWORD dst_unused:UNUSED_PAD src0_sel:DWORD src1_sel:WORD_1
	v_cmp_gt_i32_e32 vcc, s21, v21
	v_cndmask_b32_e32 v1, 0, v1, vcc
	v_perm_b32 v1, v28, v1, s26
	v_or_b32_e32 v28, 3, v21
	v_or_b32_e32 v29, 2, v21
	v_cmp_gt_i32_e32 vcc, s36, v28
	v_cmp_gt_i32_e64 s[6:7], s21, v29
	v_cndmask_b32_e64 v28, 0, v2, s[6:7]
	v_cndmask_b32_sdwa v2, v15, v2, vcc dst_sel:DWORD dst_unused:UNUSED_PAD src0_sel:DWORD src1_sel:WORD_1
	v_perm_b32 v2, v2, v28, s26
	v_or_b32_e32 v28, 5, v21
	v_or_b32_e32 v29, 4, v21
	v_cmp_gt_i32_e32 vcc, s36, v28
	v_cmp_gt_i32_e64 s[6:7], s21, v29
	v_cndmask_b32_e64 v28, 0, v3, s[6:7]
	v_cndmask_b32_sdwa v3, v15, v3, vcc dst_sel:DWORD dst_unused:UNUSED_PAD src0_sel:DWORD src1_sel:WORD_1
	v_perm_b32 v3, v3, v28, s26
	v_or_b32_e32 v28, 7, v21
	v_or_b32_e32 v29, 6, v21
	v_cmp_gt_i32_e32 vcc, s36, v28
	v_cmp_gt_i32_e64 s[6:7], s21, v29
	v_cndmask_b32_e64 v28, 0, v4, s[6:7]
	v_cndmask_b32_sdwa v4, v15, v4, vcc dst_sel:DWORD dst_unused:UNUSED_PAD src0_sel:DWORD src1_sel:WORD_1
	v_perm_b32 v4, v4, v28, s26
.LBB112_44:                             ;   in Loop: Header=BB112_41 Depth=1
	s_or_b64 exec, exec, s[16:17]
	s_waitcnt lgkmcnt(1)
	v_bfe_u32 v28, v9, 16, 1
	v_add3_u32 v28, v28, v9, s27
	v_or_b32_e32 v29, 0x400000, v9
	v_cmp_u_f32_e32 vcc, v9, v9
	v_cndmask_b32_e32 v9, v28, v29, vcc
	v_bfe_u32 v28, v10, 16, 1
	v_add3_u32 v28, v28, v10, s27
	v_or_b32_e32 v29, 0x400000, v10
	v_cmp_u_f32_e32 vcc, v10, v10
	v_cndmask_b32_e32 v10, v28, v29, vcc
	;; [unrolled: 5-line block ×4, first 2 shown]
	s_waitcnt lgkmcnt(0)
	v_bfe_u32 v28, v5, 16, 1
	v_add3_u32 v28, v28, v5, s27
	v_or_b32_e32 v29, 0x400000, v5
	v_cmp_u_f32_e32 vcc, v5, v5
	v_cndmask_b32_e32 v5, v28, v29, vcc
	v_bfe_u32 v28, v6, 16, 1
	v_add3_u32 v28, v28, v6, s27
	v_or_b32_e32 v29, 0x400000, v6
	v_cmp_u_f32_e32 vcc, v6, v6
	v_cndmask_b32_e32 v6, v28, v29, vcc
	v_bfe_u32 v28, v7, 16, 1
	v_add3_u32 v28, v28, v7, s27
	v_or_b32_e32 v29, 0x400000, v7
	v_cmp_u_f32_e32 vcc, v7, v7
	v_cndmask_b32_e32 v7, v28, v29, vcc
	v_bfe_u32 v28, v8, 16, 1
	v_add3_u32 v28, v28, v8, s27
	v_or_b32_e32 v29, 0x400000, v8
	v_cmp_u_f32_e32 vcc, v8, v8
	v_cndmask_b32_e32 v8, v28, v29, vcc
	v_and_b32_e32 v28, 0xffff0000, v9
	s_waitcnt vmcnt(0)
	v_lshlrev_b32_e32 v29, 16, v1
	v_mul_f32_e32 v28, v28, v29
	v_bfe_u32 v29, v28, 16, 1
	v_add3_u32 v29, v29, v28, s27
	v_or_b32_e32 v30, 0x400000, v28
	v_cmp_u_f32_e32 vcc, v28, v28
	v_cndmask_b32_e32 v28, v29, v30, vcc
	v_and_b32_e32 v29, 0xffff0000, v10
	v_and_b32_e32 v1, 0xffff0000, v1
	v_mul_f32_e32 v1, v29, v1
	v_bfe_u32 v29, v1, 16, 1
	v_add3_u32 v29, v29, v1, s27
	v_or_b32_e32 v30, 0x400000, v1
	v_cmp_u_f32_e32 vcc, v1, v1
	v_cndmask_b32_e32 v1, v29, v30, vcc
	v_and_b32_e32 v29, 0xffff0000, v11
	v_lshlrev_b32_e32 v30, 16, v2
	v_mul_f32_e32 v29, v29, v30
	v_bfe_u32 v30, v29, 16, 1
	v_add3_u32 v30, v30, v29, s27
	v_or_b32_e32 v31, 0x400000, v29
	v_cmp_u_f32_e32 vcc, v29, v29
	v_cndmask_b32_e32 v29, v30, v31, vcc
	v_and_b32_e32 v30, 0xffff0000, v12
	v_and_b32_e32 v2, 0xffff0000, v2
	v_mul_f32_e32 v2, v30, v2
	v_bfe_u32 v30, v2, 16, 1
	v_add3_u32 v30, v30, v2, s27
	v_or_b32_e32 v31, 0x400000, v2
	v_cmp_u_f32_e32 vcc, v2, v2
	v_cndmask_b32_e32 v2, v30, v31, vcc
	v_and_b32_e32 v30, 0xffff0000, v5
	v_lshlrev_b32_e32 v31, 16, v3
	v_mul_f32_e32 v30, v30, v31
	v_bfe_u32 v31, v30, 16, 1
	v_add3_u32 v31, v31, v30, s27
	v_or_b32_e32 v32, 0x400000, v30
	v_cmp_u_f32_e32 vcc, v30, v30
	v_cndmask_b32_e32 v30, v31, v32, vcc
	v_and_b32_e32 v31, 0xffff0000, v6
	v_and_b32_e32 v3, 0xffff0000, v3
	v_mul_f32_e32 v3, v31, v3
	v_bfe_u32 v31, v3, 16, 1
	v_add3_u32 v31, v31, v3, s27
	v_or_b32_e32 v32, 0x400000, v3
	v_cmp_u_f32_e32 vcc, v3, v3
	v_cndmask_b32_e32 v3, v31, v32, vcc
	v_and_b32_e32 v31, 0xffff0000, v7
	v_lshlrev_b32_e32 v32, 16, v4
	v_mul_f32_e32 v31, v31, v32
	v_bfe_u32 v32, v31, 16, 1
	v_add3_u32 v32, v32, v31, s27
	v_or_b32_e32 v33, 0x400000, v31
	v_cmp_u_f32_e32 vcc, v31, v31
	v_cndmask_b32_e32 v31, v32, v33, vcc
	v_and_b32_e32 v32, 0xffff0000, v8
	v_and_b32_e32 v4, 0xffff0000, v4
	;; [unrolled: 1-line block ×4, first 2 shown]
	v_mul_f32_e32 v4, v32, v4
	v_add_f32_e32 v1, v28, v1
	v_and_b32_e32 v2, 0xffff0000, v2
	v_and_b32_e32 v28, 0xffff0000, v29
	v_bfe_u32 v32, v4, 16, 1
	v_add_f32_e32 v2, v28, v2
	v_add3_u32 v32, v32, v4, s27
	v_or_b32_e32 v33, 0x400000, v4
	v_cmp_u_f32_e32 vcc, v4, v4
	v_add_f32_e32 v1, v2, v1
	v_and_b32_e32 v2, 0xffff0000, v3
	v_and_b32_e32 v3, 0xffff0000, v30
	v_cndmask_b32_e32 v4, v32, v33, vcc
	v_add_f32_e32 v2, v3, v2
	v_add_f32_e32 v1, v2, v1
	v_and_b32_e32 v2, 0xffff0000, v4
	v_and_b32_e32 v3, 0xffff0000, v31
	v_add_f32_e32 v2, v3, v2
	v_add_f32_e32 v1, v2, v1
	v_add_f32_e32 v13, v13, v1
	s_and_saveexec_b64 s[6:7], s[2:3]
	s_cbranch_execz .LBB112_39
; %bb.45:                               ;   in Loop: Header=BB112_41 Depth=1
	v_add_co_u32_e32 v1, vcc, v16, v26
	v_addc_co_u32_e32 v2, vcc, 0, v27, vcc
	global_load_dwordx4 v[1:4], v[1:2], off
	s_and_saveexec_b64 s[16:17], s[4:5]
	s_cbranch_execz .LBB112_38
; %bb.46:                               ;   in Loop: Header=BB112_41 Depth=1
	v_add_u32_e32 v16, 1, v21
	v_cmp_gt_i32_e32 vcc, s36, v16
	s_waitcnt vmcnt(0)
	v_cndmask_b32_sdwa v16, v15, v1, vcc dst_sel:DWORD dst_unused:UNUSED_PAD src0_sel:DWORD src1_sel:WORD_1
	v_cmp_gt_i32_e32 vcc, s21, v21
	v_cndmask_b32_e32 v1, 0, v1, vcc
	v_perm_b32 v1, v16, v1, s26
	v_or_b32_e32 v16, 3, v21
	v_or_b32_e32 v27, 2, v21
	v_cmp_gt_i32_e32 vcc, s36, v16
	v_cmp_gt_i32_e64 s[4:5], s21, v27
	v_cndmask_b32_e64 v16, 0, v2, s[4:5]
	v_cndmask_b32_sdwa v2, v15, v2, vcc dst_sel:DWORD dst_unused:UNUSED_PAD src0_sel:DWORD src1_sel:WORD_1
	v_perm_b32 v2, v2, v16, s26
	v_or_b32_e32 v16, 5, v21
	v_or_b32_e32 v27, 4, v21
	v_cmp_gt_i32_e32 vcc, s36, v16
	v_cmp_gt_i32_e64 s[4:5], s21, v27
	v_cndmask_b32_e64 v16, 0, v3, s[4:5]
	v_cndmask_b32_sdwa v3, v15, v3, vcc dst_sel:DWORD dst_unused:UNUSED_PAD src0_sel:DWORD src1_sel:WORD_1
	v_perm_b32 v3, v3, v16, s26
	v_or_b32_e32 v16, 7, v21
	v_or_b32_e32 v27, 6, v21
	v_cmp_gt_i32_e32 vcc, s36, v16
	v_cmp_gt_i32_e64 s[4:5], s21, v27
	v_cndmask_b32_e64 v16, 0, v4, s[4:5]
	v_cndmask_b32_sdwa v4, v15, v4, vcc dst_sel:DWORD dst_unused:UNUSED_PAD src0_sel:DWORD src1_sel:WORD_1
	v_perm_b32 v4, v4, v16, s26
	s_branch .LBB112_38
.LBB112_47:
	s_or_b64 exec, exec, s[12:13]
.LBB112_48:
	s_or_b64 exec, exec, s[10:11]
	v_and_b32_e32 v1, 0x3c0, v0
	v_cmp_eq_u32_e32 vcc, 64, v1
	s_barrier
	s_and_saveexec_b64 s[2:3], vcc
	s_cbranch_execz .LBB112_51
; %bb.49:
	v_mov_b32_e32 v1, 0xf0
	v_lshl_add_u32 v2, v22, 2, v1
	ds_write_b32 v2, v13
	s_and_b64 exec, exec, s[0:1]
; %bb.50:
	v_lshl_add_u32 v1, v0, 2, v1
	ds_write_b32 v1, v14
.LBB112_51:
	s_or_b64 exec, exec, s[2:3]
	v_cmp_gt_u32_e32 vcc, 64, v0
	v_or_b32_e32 v1, 64, v0
	s_waitcnt lgkmcnt(0)
	s_barrier
	s_and_saveexec_b64 s[2:3], vcc
	s_cbranch_execz .LBB112_55
; %bb.52:
	v_mov_b32_e32 v2, 0xf0
	v_lshl_add_u32 v0, v0, 2, v2
	ds_read_b32 v2, v0
	s_movk_i32 s0, 0x70
	v_cmp_gt_u32_e64 s[0:1], s0, v1
	s_waitcnt lgkmcnt(0)
	v_add_f32_e32 v13, v13, v2
	s_and_saveexec_b64 s[4:5], s[0:1]
	s_cbranch_execz .LBB112_54
; %bb.53:
	ds_read_b32 v0, v0 offset:256
	s_waitcnt lgkmcnt(0)
	v_add_f32_e32 v14, v14, v0
.LBB112_54:
	s_or_b64 exec, exec, s[4:5]
.LBB112_55:
	s_or_b64 exec, exec, s[2:3]
	s_barrier
	s_and_saveexec_b64 s[0:1], vcc
	s_cbranch_execz .LBB112_58
; %bb.56:
	s_mul_i32 s0, s20, s19
	s_mul_i32 s0, s0, s9
	s_mulk_i32 s0, 0x70
	s_ashr_i32 s1, s0, 31
	s_lshl_b64 s[0:1], s[0:1], 1
	s_add_u32 s2, s24, s0
	s_mul_i32 s0, s19, s22
	s_addc_u32 s4, s25, s1
	s_ashr_i32 s1, s0, 31
	s_lshl_b64 s[0:1], s[0:1], 1
	s_add_u32 s2, s2, s0
	s_mul_i32 s0, s8, 0x70
	s_addc_u32 s4, s4, s1
	s_ashr_i32 s1, s0, 31
	s_lshl_b64 s[0:1], s[0:1], 1
	s_add_u32 s0, s2, s0
	v_bfe_u32 v0, v13, 16, 1
	s_movk_i32 s2, 0x7fff
	s_movk_i32 s3, 0x70
	v_add3_u32 v0, v0, v13, s2
	v_or_b32_e32 v2, 0x400000, v13
	v_cmp_u_f32_e32 vcc, v13, v13
	s_addc_u32 s1, s4, s1
	v_cndmask_b32_e32 v0, v0, v2, vcc
	v_cmp_gt_u32_e32 vcc, s3, v1
	global_store_short_d16_hi v19, v0, s[0:1]
	s_and_b64 exec, exec, vcc
	s_cbranch_execz .LBB112_58
; %bb.57:
	v_mov_b32_e32 v1, s1
	v_add_co_u32_e32 v0, vcc, s0, v19
	v_addc_co_u32_e32 v1, vcc, 0, v1, vcc
	v_bfe_u32 v2, v14, 16, 1
	v_add3_u32 v2, v2, v14, s2
	v_or_b32_e32 v3, 0x400000, v14
	v_cmp_u_f32_e32 vcc, v14, v14
	v_cndmask_b32_e32 v2, v2, v3, vcc
	global_store_short_d16_hi v[0:1], v2, off offset:128
.LBB112_58:
	s_endpgm
	.section	.rodata,"a",@progbits
	.p2align	6, 0x0
	.amdhsa_kernel _ZN4vllm25paged_attention_v1_kernelI14__hip_bfloat16S1_Li112ELi8ELi128ELNS_18Fp8KVCacheDataTypeE0ELb1EEEvPT_PKS3_PKT0_S9_ifPKiSB_iPKfiiiSD_SD_iiiii
		.amdhsa_group_segment_fixed_size 240
		.amdhsa_private_segment_fixed_size 0
		.amdhsa_kernarg_size 384
		.amdhsa_user_sgpr_count 6
		.amdhsa_user_sgpr_private_segment_buffer 1
		.amdhsa_user_sgpr_dispatch_ptr 0
		.amdhsa_user_sgpr_queue_ptr 0
		.amdhsa_user_sgpr_kernarg_segment_ptr 1
		.amdhsa_user_sgpr_dispatch_id 0
		.amdhsa_user_sgpr_flat_scratch_init 0
		.amdhsa_user_sgpr_private_segment_size 0
		.amdhsa_uses_dynamic_stack 0
		.amdhsa_system_sgpr_private_segment_wavefront_offset 0
		.amdhsa_system_sgpr_workgroup_id_x 1
		.amdhsa_system_sgpr_workgroup_id_y 1
		.amdhsa_system_sgpr_workgroup_id_z 1
		.amdhsa_system_sgpr_workgroup_info 0
		.amdhsa_system_vgpr_workitem_id 0
		.amdhsa_next_free_vgpr 52
		.amdhsa_next_free_sgpr 46
		.amdhsa_reserve_vcc 1
		.amdhsa_reserve_flat_scratch 0
		.amdhsa_float_round_mode_32 0
		.amdhsa_float_round_mode_16_64 0
		.amdhsa_float_denorm_mode_32 3
		.amdhsa_float_denorm_mode_16_64 3
		.amdhsa_dx10_clamp 1
		.amdhsa_ieee_mode 1
		.amdhsa_fp16_overflow 0
		.amdhsa_exception_fp_ieee_invalid_op 0
		.amdhsa_exception_fp_denorm_src 0
		.amdhsa_exception_fp_ieee_div_zero 0
		.amdhsa_exception_fp_ieee_overflow 0
		.amdhsa_exception_fp_ieee_underflow 0
		.amdhsa_exception_fp_ieee_inexact 0
		.amdhsa_exception_int_div_zero 0
	.end_amdhsa_kernel
	.section	.text._ZN4vllm25paged_attention_v1_kernelI14__hip_bfloat16S1_Li112ELi8ELi128ELNS_18Fp8KVCacheDataTypeE0ELb1EEEvPT_PKS3_PKT0_S9_ifPKiSB_iPKfiiiSD_SD_iiiii,"axG",@progbits,_ZN4vllm25paged_attention_v1_kernelI14__hip_bfloat16S1_Li112ELi8ELi128ELNS_18Fp8KVCacheDataTypeE0ELb1EEEvPT_PKS3_PKT0_S9_ifPKiSB_iPKfiiiSD_SD_iiiii,comdat
.Lfunc_end112:
	.size	_ZN4vllm25paged_attention_v1_kernelI14__hip_bfloat16S1_Li112ELi8ELi128ELNS_18Fp8KVCacheDataTypeE0ELb1EEEvPT_PKS3_PKT0_S9_ifPKiSB_iPKfiiiSD_SD_iiiii, .Lfunc_end112-_ZN4vllm25paged_attention_v1_kernelI14__hip_bfloat16S1_Li112ELi8ELi128ELNS_18Fp8KVCacheDataTypeE0ELb1EEEvPT_PKS3_PKT0_S9_ifPKiSB_iPKfiiiSD_SD_iiiii
                                        ; -- End function
	.set _ZN4vllm25paged_attention_v1_kernelI14__hip_bfloat16S1_Li112ELi8ELi128ELNS_18Fp8KVCacheDataTypeE0ELb1EEEvPT_PKS3_PKT0_S9_ifPKiSB_iPKfiiiSD_SD_iiiii.num_vgpr, 52
	.set _ZN4vllm25paged_attention_v1_kernelI14__hip_bfloat16S1_Li112ELi8ELi128ELNS_18Fp8KVCacheDataTypeE0ELb1EEEvPT_PKS3_PKT0_S9_ifPKiSB_iPKfiiiSD_SD_iiiii.num_agpr, 0
	.set _ZN4vllm25paged_attention_v1_kernelI14__hip_bfloat16S1_Li112ELi8ELi128ELNS_18Fp8KVCacheDataTypeE0ELb1EEEvPT_PKS3_PKT0_S9_ifPKiSB_iPKfiiiSD_SD_iiiii.numbered_sgpr, 46
	.set _ZN4vllm25paged_attention_v1_kernelI14__hip_bfloat16S1_Li112ELi8ELi128ELNS_18Fp8KVCacheDataTypeE0ELb1EEEvPT_PKS3_PKT0_S9_ifPKiSB_iPKfiiiSD_SD_iiiii.num_named_barrier, 0
	.set _ZN4vllm25paged_attention_v1_kernelI14__hip_bfloat16S1_Li112ELi8ELi128ELNS_18Fp8KVCacheDataTypeE0ELb1EEEvPT_PKS3_PKT0_S9_ifPKiSB_iPKfiiiSD_SD_iiiii.private_seg_size, 0
	.set _ZN4vllm25paged_attention_v1_kernelI14__hip_bfloat16S1_Li112ELi8ELi128ELNS_18Fp8KVCacheDataTypeE0ELb1EEEvPT_PKS3_PKT0_S9_ifPKiSB_iPKfiiiSD_SD_iiiii.uses_vcc, 1
	.set _ZN4vllm25paged_attention_v1_kernelI14__hip_bfloat16S1_Li112ELi8ELi128ELNS_18Fp8KVCacheDataTypeE0ELb1EEEvPT_PKS3_PKT0_S9_ifPKiSB_iPKfiiiSD_SD_iiiii.uses_flat_scratch, 0
	.set _ZN4vllm25paged_attention_v1_kernelI14__hip_bfloat16S1_Li112ELi8ELi128ELNS_18Fp8KVCacheDataTypeE0ELb1EEEvPT_PKS3_PKT0_S9_ifPKiSB_iPKfiiiSD_SD_iiiii.has_dyn_sized_stack, 0
	.set _ZN4vllm25paged_attention_v1_kernelI14__hip_bfloat16S1_Li112ELi8ELi128ELNS_18Fp8KVCacheDataTypeE0ELb1EEEvPT_PKS3_PKT0_S9_ifPKiSB_iPKfiiiSD_SD_iiiii.has_recursion, 0
	.set _ZN4vllm25paged_attention_v1_kernelI14__hip_bfloat16S1_Li112ELi8ELi128ELNS_18Fp8KVCacheDataTypeE0ELb1EEEvPT_PKS3_PKT0_S9_ifPKiSB_iPKfiiiSD_SD_iiiii.has_indirect_call, 0
	.section	.AMDGPU.csdata,"",@progbits
; Kernel info:
; codeLenInByte = 5352
; TotalNumSgprs: 50
; NumVgprs: 52
; ScratchSize: 0
; MemoryBound: 0
; FloatMode: 240
; IeeeMode: 1
; LDSByteSize: 240 bytes/workgroup (compile time only)
; SGPRBlocks: 6
; VGPRBlocks: 12
; NumSGPRsForWavesPerEU: 50
; NumVGPRsForWavesPerEU: 52
; Occupancy: 4
; WaveLimiterHint : 1
; COMPUTE_PGM_RSRC2:SCRATCH_EN: 0
; COMPUTE_PGM_RSRC2:USER_SGPR: 6
; COMPUTE_PGM_RSRC2:TRAP_HANDLER: 0
; COMPUTE_PGM_RSRC2:TGID_X_EN: 1
; COMPUTE_PGM_RSRC2:TGID_Y_EN: 1
; COMPUTE_PGM_RSRC2:TGID_Z_EN: 1
; COMPUTE_PGM_RSRC2:TIDIG_COMP_CNT: 0
	.section	.text._ZN4vllm25paged_attention_v1_kernelI14__hip_bfloat16S1_Li120ELi8ELi128ELNS_18Fp8KVCacheDataTypeE0ELb1EEEvPT_PKS3_PKT0_S9_ifPKiSB_iPKfiiiSD_SD_iiiii,"axG",@progbits,_ZN4vllm25paged_attention_v1_kernelI14__hip_bfloat16S1_Li120ELi8ELi128ELNS_18Fp8KVCacheDataTypeE0ELb1EEEvPT_PKS3_PKT0_S9_ifPKiSB_iPKfiiiSD_SD_iiiii,comdat
	.protected	_ZN4vllm25paged_attention_v1_kernelI14__hip_bfloat16S1_Li120ELi8ELi128ELNS_18Fp8KVCacheDataTypeE0ELb1EEEvPT_PKS3_PKT0_S9_ifPKiSB_iPKfiiiSD_SD_iiiii ; -- Begin function _ZN4vllm25paged_attention_v1_kernelI14__hip_bfloat16S1_Li120ELi8ELi128ELNS_18Fp8KVCacheDataTypeE0ELb1EEEvPT_PKS3_PKT0_S9_ifPKiSB_iPKfiiiSD_SD_iiiii
	.globl	_ZN4vllm25paged_attention_v1_kernelI14__hip_bfloat16S1_Li120ELi8ELi128ELNS_18Fp8KVCacheDataTypeE0ELb1EEEvPT_PKS3_PKT0_S9_ifPKiSB_iPKfiiiSD_SD_iiiii
	.p2align	8
	.type	_ZN4vllm25paged_attention_v1_kernelI14__hip_bfloat16S1_Li120ELi8ELi128ELNS_18Fp8KVCacheDataTypeE0ELb1EEEvPT_PKS3_PKT0_S9_ifPKiSB_iPKfiiiSD_SD_iiiii,@function
_ZN4vllm25paged_attention_v1_kernelI14__hip_bfloat16S1_Li120ELi8ELi128ELNS_18Fp8KVCacheDataTypeE0ELb1EEEvPT_PKS3_PKT0_S9_ifPKiSB_iPKfiiiSD_SD_iiiii: ; @_ZN4vllm25paged_attention_v1_kernelI14__hip_bfloat16S1_Li120ELi8ELi128ELNS_18Fp8KVCacheDataTypeE0ELb1EEEvPT_PKS3_PKT0_S9_ifPKiSB_iPKfiiiSD_SD_iiiii
; %bb.0:
	s_load_dword s9, s[4:5], 0x80
	s_load_dwordx2 s[0:1], s[4:5], 0x30
	s_load_dwordx2 s[34:35], s[4:5], 0x20
	s_mov_b32 s20, s7
	s_ashr_i32 s21, s7, 31
	s_lshl_b64 s[2:3], s[20:21], 2
	s_waitcnt lgkmcnt(0)
	s_add_u32 s0, s0, s2
	s_addc_u32 s1, s1, s3
	s_abs_i32 s2, s34
	v_cvt_f32_u32_e32 v1, s2
	s_sub_i32 s10, 0, s2
	s_abs_i32 s7, s9
	s_xor_b32 s3, s9, s34
	v_rcp_iflag_f32_e32 v1, v1
	s_ashr_i32 s3, s3, 31
	s_mov_b32 s45, 0
	v_mul_f32_e32 v1, 0x4f7ffffe, v1
	v_cvt_u32_f32_e32 v1, v1
	v_readfirstlane_b32 s11, v1
	s_mul_i32 s10, s10, s11
	s_mul_hi_u32 s10, s11, s10
	s_add_i32 s11, s11, s10
	s_mul_hi_u32 s10, s7, s11
	s_mul_i32 s11, s10, s2
	s_sub_i32 s7, s7, s11
	s_add_i32 s11, s10, 1
	s_sub_i32 s12, s7, s2
	s_cmp_ge_u32 s7, s2
	s_cselect_b32 s10, s11, s10
	s_cselect_b32 s7, s12, s7
	s_add_i32 s11, s10, 1
	s_cmp_ge_u32 s7, s2
	s_cselect_b32 s2, s11, s10
	s_xor_b32 s2, s2, s3
	s_sub_i32 s12, s2, s3
	s_abs_i32 s10, s12
	v_cvt_f32_u32_e32 v1, s10
	s_load_dwordx2 s[2:3], s[4:5], 0x40
	s_sub_i32 s7, 0, s10
	s_abs_i32 s11, s6
	v_rcp_iflag_f32_e32 v1, v1
	v_mul_f32_e32 v1, 0x4f7ffffe, v1
	v_cvt_u32_f32_e32 v1, v1
	v_readfirstlane_b32 s13, v1
	s_mul_i32 s7, s7, s13
	s_mul_hi_u32 s7, s13, s7
	s_add_i32 s13, s13, s7
	s_waitcnt lgkmcnt(0)
	s_cmp_eq_u64 s[2:3], 0
	s_mul_hi_u32 s24, s11, s13
	s_cbranch_scc1 .LBB113_2
; %bb.1:
	s_ashr_i32 s7, s6, 31
	s_lshl_b64 s[14:15], s[6:7], 2
	s_add_u32 s2, s2, s14
	s_addc_u32 s3, s3, s15
	s_load_dword s45, s[2:3], 0x0
.LBB113_2:
	s_load_dword s21, s[0:1], 0x0
	s_ashr_i32 s25, s12, 31
	s_load_dwordx4 s[12:15], s[4:5], 0x48
	s_movk_i32 s0, 0x78
	s_ashr_i32 s7, s6, 31
	v_and_b32_e32 v1, 7, v0
	s_mul_i32 s22, s6, 0x78
	v_cmp_gt_u32_e64 s[0:1], s0, v0
	v_lshlrev_b32_e32 v19, 1, v0
	s_and_saveexec_b64 s[2:3], s[0:1]
	s_cbranch_execz .LBB113_4
; %bb.3:
	s_load_dwordx2 s[16:17], s[4:5], 0x8
	s_waitcnt lgkmcnt(0)
	s_mul_i32 s18, s12, s20
	s_ashr_i32 s19, s18, 31
	s_lshl_b64 s[18:19], s[18:19], 1
	v_lshrrev_b32_e32 v3, 2, v0
	s_add_u32 s12, s16, s18
	s_addc_u32 s15, s17, s19
	s_ashr_i32 s23, s22, 31
	s_lshl_b64 s[16:17], s[22:23], 1
	s_add_u32 s16, s12, s16
	s_addc_u32 s17, s15, s17
	global_load_ushort v2, v19, s[16:17]
	v_and_b32_e32 v3, 0xfe, v3
	v_mad_u32_u24 v3, v1, 30, v3
	s_waitcnt vmcnt(0)
	ds_write_b16 v3, v2
.LBB113_4:
	s_or_b64 exec, exec, s[2:3]
	s_mul_i32 s3, s24, s10
	s_sub_i32 s3, s11, s3
	s_xor_b32 s2, s7, s25
	s_add_i32 s7, s24, 1
	s_sub_i32 s11, s3, s10
	s_load_dwordx4 s[16:19], s[4:5], 0x68
	s_waitcnt lgkmcnt(0)
	s_load_dword s12, s[4:5], 0x78
	s_cmp_ge_u32 s3, s10
	s_cselect_b32 s7, s7, s24
	s_cselect_b32 s3, s11, s3
	s_add_i32 s11, s7, 1
	s_cmp_ge_u32 s3, s10
	s_cselect_b32 s3, s11, s7
	s_abs_i32 s23, s19
	v_cvt_f32_u32_e32 v2, s23
	s_xor_b32 s3, s3, s2
	s_sub_i32 s7, s3, s2
	s_sub_i32 s2, 0, s23
	v_rcp_iflag_f32_e32 v2, v2
	s_add_i32 s15, s21, -1
	s_abs_i32 s10, s15
	s_waitcnt lgkmcnt(0)
	v_mul_f32_e32 v2, 0x4f7ffffe, v2
	v_cvt_u32_f32_e32 v2, v2
	s_barrier
	v_readfirstlane_b32 s33, v2
	s_mul_i32 s2, s2, s33
	s_mul_hi_u32 s2, s33, s2
	s_add_i32 s33, s33, s2
	s_cmp_lt_i32 s12, 0
	s_mul_hi_u32 s11, s10, s33
	s_cbranch_scc0 .LBB113_6
; %bb.5:
	s_mul_i32 s2, s16, s34
	s_add_i32 s2, s7, s2
	s_mul_i32 s2, s2, s12
	s_sub_i32 s42, 1, s2
	s_mov_b64 s[2:3], 0
	s_branch .LBB113_7
.LBB113_6:
	s_mov_b64 s[2:3], -1
                                        ; implicit-def: $sgpr42
.LBB113_7:
	s_load_dwordx2 s[26:27], s[4:5], 0x28
	s_ashr_i32 s15, s15, 31
	s_andn2_b64 vcc, exec, s[2:3]
	s_ashr_i32 s43, s19, 31
	s_cbranch_vccnz .LBB113_9
; %bb.8:
	s_mul_i32 s2, s9, s16
	s_add_i32 s2, s2, s6
	s_mul_i32 s2, s2, s12
	s_add_i32 s42, s2, 1
.LBB113_9:
	s_load_dword s2, s[4:5], 0x38
	s_load_dwordx2 s[24:25], s[4:5], 0x0
	s_load_dwordx2 s[30:31], s[4:5], 0x18
	s_load_dword s19, s[4:5], 0x88
	s_xor_b32 s3, s15, s43
	s_waitcnt lgkmcnt(0)
	s_mul_i32 s28, s2, s20
	s_mul_i32 s2, s11, s23
	s_sub_i32 s2, s10, s2
	s_ashr_i32 s29, s28, 31
	s_add_i32 s6, s11, 1
	s_sub_i32 s10, s2, s23
	s_cmp_ge_u32 s2, s23
	s_cselect_b32 s6, s6, s11
	s_cselect_b32 s2, s10, s2
	s_add_i32 s10, s6, 1
	s_cmp_ge_u32 s2, s23
	s_cselect_b32 s2, s10, s6
	s_xor_b32 s2, s2, s3
	s_sub_i32 s12, s2, s3
	s_add_i32 s2, s21, 7
	s_ashr_i32 s3, s2, 31
	s_lshr_b32 s3, s3, 29
	s_add_i32 s2, s2, s3
	s_ashr_i32 s44, s2, 3
	v_lshrrev_b32_e32 v20, 6, v0
	v_cmp_gt_i32_e64 s[2:3], s44, v20
	v_mov_b32_e32 v8, 0xff7fffff
	s_mul_i32 s14, s7, s14
	v_lshrrev_b32_e32 v3, 4, v0
	v_lshlrev_b32_e32 v21, 3, v20
	v_mbcnt_lo_u32_b32 v4, -1, 0
	s_and_saveexec_b64 s[36:37], s[2:3]
	s_cbranch_execz .LBB113_21
; %bb.10:
	s_load_dwordx2 s[4:5], s[4:5], 0x10
	s_ashr_i32 s15, s14, 31
	s_sub_i32 s16, s12, s17
	s_lshl_b64 s[6:7], s[14:15], 1
	v_bfe_u32 v5, v0, 3, 3
	s_waitcnt lgkmcnt(0)
	s_add_u32 s4, s4, s6
	s_addc_u32 s5, s5, s7
	s_abs_i32 s15, s18
	v_cvt_f32_u32_e32 v2, s15
	v_mov_b32_e32 v8, s5
	s_sub_i32 s5, 0, s15
	v_lshlrev_b32_e32 v7, 4, v5
	v_rcp_iflag_f32_e32 v2, v2
	v_lshlrev_b32_e32 v6, 1, v1
	s_lshl_b64 s[6:7], s[28:29], 2
	s_add_u32 s6, s26, s6
	v_mul_f32_e32 v2, 0x4f7ffffe, v2
	v_cvt_u32_f32_e32 v2, v2
	v_cmp_eq_u32_e32 vcc, 0, v1
	s_addc_u32 s7, s27, s7
	v_mbcnt_hi_u32_b32 v15, -1, v4
	v_mul_lo_u32 v9, s5, v2
	v_add_co_u32_e64 v7, s[4:5], s4, v7
	v_addc_co_u32_e64 v8, s[4:5], 0, v8, s[4:5]
	v_mul_hi_u32 v10, v2, v9
	v_add_co_u32_e64 v6, s[4:5], v7, v6
	v_addc_co_u32_e64 v7, s[4:5], 0, v8, s[4:5]
	v_subrev_u32_e32 v8, s21, v5
	v_add_u32_e32 v12, 1, v8
	v_lshlrev_b32_e32 v8, 2, v5
	v_mul_u32_u24_e32 v9, 30, v1
	v_and_b32_e32 v1, 60, v3
	v_lshl_or_b32 v8, v20, 5, v8
	v_add_u32_e32 v10, v2, v10
	v_mov_b32_e32 v2, s7
	v_add_co_u32_e64 v1, s[6:7], s6, v1
	v_add_u32_e32 v13, 0x100, v8
	v_and_b32_e32 v8, 64, v15
	s_mov_b32 s34, s13
	v_cmp_neq_f32_e64 s[4:5], s45, 0
	v_addc_co_u32_e64 v2, s[6:7], 0, v2, s[6:7]
	v_lshlrev_b32_e32 v11, 3, v20
	v_mov_b32_e32 v14, 0xff7fffff
	s_mov_b64 s[38:39], 0
	v_add_u32_e32 v16, 64, v8
	v_xor_b32_e32 v17, 4, v15
	v_xor_b32_e32 v18, 2, v15
	v_mov_b32_e32 v8, 0xff7fffff
	v_mov_b32_e32 v22, v20
	s_branch .LBB113_13
.LBB113_11:                             ;   in Loop: Header=BB113_13 Depth=1
	s_or_b64 exec, exec, s[40:41]
.LBB113_12:                             ;   in Loop: Header=BB113_13 Depth=1
	s_or_b64 exec, exec, s[10:11]
	v_add_co_u32_e64 v1, s[6:7], 8, v1
	v_add_u32_e32 v22, 2, v22
	v_addc_co_u32_e64 v2, s[6:7], 0, v2, s[6:7]
	v_cmp_le_i32_e64 s[6:7], s44, v22
	v_add_u32_e32 v11, 16, v11
	s_or_b64 s[38:39], s[6:7], s[38:39]
	v_add_u32_e32 v13, 64, v13
	s_andn2_b64 exec, exec, s[38:39]
	s_cbranch_execz .LBB113_20
.LBB113_13:                             ; =>This Inner Loop Header: Depth=1
	v_mul_hi_u32 v23, v11, s33
	s_waitcnt lgkmcnt(0)
	v_mul_lo_u32 v24, v23, s23
	v_add_u32_e32 v25, 1, v23
	v_sub_u32_e32 v24, v11, v24
	v_cmp_le_u32_e64 s[6:7], s23, v24
	v_cndmask_b32_e64 v23, v23, v25, s[6:7]
	v_subrev_u32_e32 v25, s23, v24
	v_cndmask_b32_e64 v24, v24, v25, s[6:7]
	v_add_u32_e32 v25, 1, v23
	v_cmp_le_u32_e64 s[6:7], s23, v24
	v_cndmask_b32_e64 v23, v23, v25, s[6:7]
	v_xor_b32_e32 v23, s43, v23
	v_subrev_u32_e32 v23, s43, v23
	v_add_u32_e32 v24, s42, v23
	v_sub_u32_e32 v25, 0, v24
	v_max_i32_e32 v25, v24, v25
	v_mul_hi_u32 v26, v25, v10
	v_ashrrev_i32_e32 v24, 31, v24
	v_cmp_ge_i32_e64 s[10:11], s16, v23
	v_mul_lo_u32 v26, v26, s15
	v_sub_u32_e32 v25, v25, v26
	v_subrev_u32_e32 v26, s15, v25
	v_cmp_le_u32_e64 s[6:7], s15, v25
	v_cndmask_b32_e64 v25, v25, v26, s[6:7]
	v_subrev_u32_e32 v26, s15, v25
	v_cmp_le_u32_e64 s[6:7], s15, v25
	v_cndmask_b32_e64 v25, v25, v26, s[6:7]
	v_xor_b32_e32 v25, v25, v24
	v_sub_u32_e32 v24, v25, v24
	v_cmp_ne_u32_e64 s[6:7], 0, v24
	s_and_b64 s[6:7], s[6:7], s[10:11]
	s_and_saveexec_b64 s[10:11], s[6:7]
	s_xor_b64 s[6:7], exec, s[10:11]
	s_cbranch_execz .LBB113_17
; %bb.14:                               ;   in Loop: Header=BB113_13 Depth=1
	s_and_saveexec_b64 s[10:11], vcc
; %bb.15:                               ;   in Loop: Header=BB113_13 Depth=1
	ds_write_b32 v13, v14
; %bb.16:                               ;   in Loop: Header=BB113_13 Depth=1
	s_or_b64 exec, exec, s[10:11]
.LBB113_17:                             ;   in Loop: Header=BB113_13 Depth=1
	s_andn2_saveexec_b64 s[10:11], s[6:7]
	s_cbranch_execz .LBB113_12
; %bb.18:                               ;   in Loop: Header=BB113_13 Depth=1
	global_load_dword v23, v[1:2], off
	s_waitcnt vmcnt(0)
	v_mad_i64_i32 v[23:24], s[6:7], v23, s34, 0
	v_lshlrev_b64 v[23:24], 1, v[23:24]
	v_add_co_u32_e64 v23, s[6:7], v6, v23
	v_addc_co_u32_e64 v24, s[6:7], v7, v24, s[6:7]
	global_load_ushort v30, v[23:24], off offset:128
	global_load_ushort v31, v[23:24], off offset:256
	;; [unrolled: 1-line block ×7, first 2 shown]
	global_load_ushort v37, v[23:24], off
	global_load_ushort v38, v[23:24], off offset:1024
	global_load_ushort v39, v[23:24], off offset:1152
	;; [unrolled: 1-line block ×7, first 2 shown]
	ds_read_b128 v[23:26], v9
	ds_read_b96 v[27:29], v9 offset:16
	ds_read_u16 v45, v9 offset:28
	v_cmp_lt_i32_e64 s[6:7], v17, v16
	v_cndmask_b32_e64 v46, v15, v17, s[6:7]
	s_waitcnt lgkmcnt(2)
	v_lshlrev_b32_e32 v47, 16, v23
	v_and_b32_e32 v23, 0xffff0000, v23
	v_lshlrev_b32_e32 v48, 16, v24
	v_and_b32_e32 v24, 0xffff0000, v24
	;; [unrolled: 2-line block ×4, first 2 shown]
	s_waitcnt lgkmcnt(1)
	v_lshlrev_b32_e32 v51, 16, v27
	v_and_b32_e32 v27, 0xffff0000, v27
	v_lshlrev_b32_e32 v52, 16, v28
	v_and_b32_e32 v28, 0xffff0000, v28
	;; [unrolled: 2-line block ×3, first 2 shown]
	s_waitcnt lgkmcnt(0)
	v_lshlrev_b32_e32 v45, 16, v45
	v_lshlrev_b32_e32 v46, 2, v46
	v_cmp_lt_i32_e64 s[6:7], v18, v16
	s_waitcnt vmcnt(14)
	v_lshlrev_b32_e32 v30, 16, v30
	v_mul_f32_e32 v23, v23, v30
	s_waitcnt vmcnt(13)
	v_lshlrev_b32_e32 v31, 16, v31
	s_waitcnt vmcnt(12)
	v_lshlrev_b32_e32 v32, 16, v32
	;; [unrolled: 2-line block ×6, first 2 shown]
	v_fmac_f32_e32 v23, v47, v37
	v_fmac_f32_e32 v23, v48, v31
	;; [unrolled: 1-line block ×5, first 2 shown]
	v_lshlrev_b32_e32 v36, 16, v36
	v_fmac_f32_e32 v23, v50, v35
	s_waitcnt vmcnt(6)
	v_lshlrev_b32_e32 v38, 16, v38
	v_fmac_f32_e32 v23, v26, v36
	s_waitcnt vmcnt(5)
	;; [unrolled: 3-line block ×6, first 2 shown]
	v_lshlrev_b32_e32 v43, 16, v43
	v_fmac_f32_e32 v23, v53, v42
	v_fmac_f32_e32 v23, v29, v43
	s_waitcnt vmcnt(0)
	v_lshlrev_b32_e32 v24, 16, v44
	v_fmac_f32_e32 v23, v45, v24
	ds_bpermute_b32 v24, v46, v23
	v_cndmask_b32_e64 v25, v15, v18, s[6:7]
	v_lshlrev_b32_e32 v25, 2, v25
	s_waitcnt lgkmcnt(0)
	v_add_f32_e32 v23, v23, v24
	ds_bpermute_b32 v24, v25, v23
	v_xor_b32_e32 v25, 1, v15
	v_cmp_lt_i32_e64 s[6:7], v25, v16
	v_cndmask_b32_e64 v25, v15, v25, s[6:7]
	v_lshlrev_b32_e32 v25, 2, v25
	s_waitcnt lgkmcnt(0)
	v_add_f32_e32 v23, v23, v24
	ds_bpermute_b32 v24, v25, v23
	s_and_saveexec_b64 s[40:41], vcc
	s_cbranch_execz .LBB113_11
; %bb.19:                               ;   in Loop: Header=BB113_13 Depth=1
	v_add_u32_e32 v25, v12, v11
	v_cvt_f32_i32_e32 v25, v25
	s_waitcnt lgkmcnt(0)
	v_add_f32_e32 v23, v23, v24
	v_add_u32_e32 v26, v5, v11
	v_cmp_gt_i32_e64 s[6:7], s21, v26
	v_mul_f32_e32 v24, s45, v25
	v_cndmask_b32_e64 v24, 0, v24, s[4:5]
	v_fmac_f32_e32 v24, s35, v23
	v_cndmask_b32_e64 v23, 0, v24, s[6:7]
	ds_write_b32 v13, v23
	v_max_f32_e32 v23, v8, v8
	v_max_f32_e32 v23, v23, v24
	v_cndmask_b32_e64 v8, v8, v23, s[6:7]
	s_branch .LBB113_11
.LBB113_20:
	s_or_b64 exec, exec, s[38:39]
.LBB113_21:
	s_or_b64 exec, exec, s[36:37]
	v_mbcnt_hi_u32_b32 v1, -1, v4
	v_and_b32_e32 v10, 64, v1
	v_add_u32_e32 v2, 64, v10
	v_xor_b32_e32 v4, 32, v1
	v_cmp_lt_i32_e32 vcc, v4, v2
	v_cndmask_b32_e32 v4, v1, v4, vcc
	v_lshlrev_b32_e32 v5, 2, v4
	ds_bpermute_b32 v4, v5, v8
	v_xor_b32_e32 v7, 16, v1
	v_max_f32_e32 v6, v8, v8
	v_cmp_lt_i32_e32 vcc, v7, v2
	v_xor_b32_e32 v8, 8, v1
	s_waitcnt lgkmcnt(0)
	v_max_f32_e32 v4, v4, v4
	v_max_f32_e32 v4, v6, v4
	v_cndmask_b32_e32 v6, v1, v7, vcc
	v_lshlrev_b32_e32 v7, 2, v6
	ds_bpermute_b32 v6, v7, v4
	v_cmp_lt_i32_e32 vcc, v8, v2
	v_and_b32_e32 v22, 63, v0
	s_waitcnt lgkmcnt(0)
	v_max_f32_e32 v6, v6, v6
	v_max_f32_e32 v6, v4, v6
	v_cndmask_b32_e32 v4, v1, v8, vcc
	v_lshlrev_b32_e32 v9, 2, v4
	ds_bpermute_b32 v8, v9, v6
	v_cmp_eq_u32_e32 vcc, 0, v22
	v_lshlrev_b32_e32 v4, 2, v20
	s_and_saveexec_b64 s[4:5], vcc
	s_cbranch_execz .LBB113_23
; %bb.22:
	s_waitcnt lgkmcnt(0)
	v_max_f32_e32 v8, v8, v8
	v_max_f32_e32 v6, v6, v6
	;; [unrolled: 1-line block ×3, first 2 shown]
	ds_write_b32 v4, v6 offset:240
.LBB113_23:
	s_or_b64 exec, exec, s[4:5]
	v_cmp_gt_u32_e64 s[4:5], 2, v22
	v_mov_b32_e32 v11, 0xff7fffff
	v_lshlrev_b32_e32 v6, 2, v22
	s_waitcnt lgkmcnt(0)
	s_barrier
	s_and_saveexec_b64 s[6:7], s[4:5]
; %bb.24:
	ds_read_b32 v11, v6 offset:240
; %bb.25:
	s_or_b64 exec, exec, s[6:7]
	v_xor_b32_e32 v8, 1, v1
	v_cmp_lt_i32_e64 s[6:7], v8, v2
	v_cndmask_b32_e64 v8, v1, v8, s[6:7]
	v_lshlrev_b32_e32 v8, 2, v8
	s_waitcnt lgkmcnt(0)
	ds_bpermute_b32 v12, v8, v11
	v_max_f32_e32 v11, v11, v11
	v_lshlrev_b32_e32 v10, 2, v10
	s_lshl_b32 s6, s44, 3
	s_min_i32 s15, s6, s21
	s_waitcnt lgkmcnt(0)
	v_max_f32_e32 v12, v12, v12
	v_max_f32_e32 v11, v11, v12
	ds_bpermute_b32 v11, v10, v11
	v_cmp_gt_i32_e64 s[6:7], s15, v0
	v_mov_b32_e32 v10, 0
	s_and_saveexec_b64 s[34:35], s[6:7]
	s_cbranch_execz .LBB113_29
; %bb.26:
	v_mov_b32_e32 v10, 0x100
	v_lshl_add_u32 v12, v0, 2, v10
	v_mov_b32_e32 v10, 0
	s_mov_b64 s[36:37], 0
	v_mov_b32_e32 v13, v0
.LBB113_27:                             ; =>This Inner Loop Header: Depth=1
	ds_read_b32 v14, v12
	v_add_u32_e32 v13, 0x80, v13
	v_cmp_le_i32_e64 s[10:11], s15, v13
	s_or_b64 s[36:37], s[10:11], s[36:37]
	s_waitcnt lgkmcnt(0)
	v_sub_f32_e32 v14, v14, v11
	v_mul_f32_e32 v14, 0x3fb8aa3b, v14
	v_exp_f32_e32 v14, v14
	ds_write_b32 v12, v14
	v_add_f32_e32 v10, v10, v14
	v_add_u32_e32 v12, 0x200, v12
	s_andn2_b64 exec, exec, s[36:37]
	s_cbranch_execnz .LBB113_27
; %bb.28:
	s_or_b64 exec, exec, s[36:37]
.LBB113_29:
	s_or_b64 exec, exec, s[34:35]
	ds_bpermute_b32 v5, v5, v10
	s_waitcnt lgkmcnt(0)
	v_add_f32_e32 v5, v10, v5
	ds_bpermute_b32 v7, v7, v5
	s_waitcnt lgkmcnt(0)
	v_add_f32_e32 v5, v5, v7
	ds_bpermute_b32 v7, v9, v5
	v_xor_b32_e32 v9, 4, v1
	v_cmp_lt_i32_e64 s[10:11], v9, v2
	v_cndmask_b32_e64 v9, v1, v9, s[10:11]
	v_lshlrev_b32_e32 v9, 2, v9
	s_waitcnt lgkmcnt(0)
	v_add_f32_e32 v5, v5, v7
	ds_bpermute_b32 v7, v9, v5
	v_xor_b32_e32 v9, 2, v1
	v_cmp_lt_i32_e64 s[10:11], v9, v2
	v_cndmask_b32_e64 v2, v1, v9, s[10:11]
	v_lshlrev_b32_e32 v2, 2, v2
	s_waitcnt lgkmcnt(0)
	v_add_f32_e32 v5, v5, v7
	ds_bpermute_b32 v2, v2, v5
	s_waitcnt lgkmcnt(0)
	v_add_f32_e32 v2, v5, v2
	ds_bpermute_b32 v5, v8, v2
	s_waitcnt lgkmcnt(0)
	v_add_f32_e32 v2, v2, v5
	s_and_saveexec_b64 s[10:11], vcc
; %bb.30:
	ds_write_b32 v4, v2 offset:248
; %bb.31:
	s_or_b64 exec, exec, s[10:11]
	s_waitcnt lgkmcnt(0)
	s_barrier
	s_and_saveexec_b64 s[10:11], s[4:5]
; %bb.32:
	ds_read_b32 v2, v6 offset:248
; %bb.33:
	s_or_b64 exec, exec, s[10:11]
	s_waitcnt lgkmcnt(0)
	ds_bpermute_b32 v4, v8, v2
	v_lshlrev_b32_e32 v1, 2, v1
	v_and_b32_e32 v1, 0x100, v1
	s_waitcnt lgkmcnt(0)
	v_add_f32_e32 v2, v2, v4
	ds_bpermute_b32 v1, v1, v2
	s_and_saveexec_b64 s[4:5], s[6:7]
	s_cbranch_execz .LBB113_36
; %bb.34:
	s_waitcnt lgkmcnt(0)
	v_add_f32_e32 v2, 0x358637bd, v1
	v_div_scale_f32 v1, s[6:7], v2, v2, 1.0
	v_div_scale_f32 v4, vcc, 1.0, v2, 1.0
	s_mov_b64 s[6:7], 0
	v_rcp_f32_e32 v5, v1
	v_fma_f32 v6, -v1, v5, 1.0
	v_fmac_f32_e32 v5, v6, v5
	v_mul_f32_e32 v6, v4, v5
	v_fma_f32 v7, -v1, v6, v4
	v_fmac_f32_e32 v6, v7, v5
	v_fma_f32 v1, -v1, v6, v4
	v_div_fmas_f32 v4, v1, v5, v6
	v_mov_b32_e32 v1, 0x100
	v_lshl_add_u32 v1, v0, 2, v1
	v_div_fixup_f32 v2, v4, v2, 1.0
	v_mov_b32_e32 v4, v0
.LBB113_35:                             ; =>This Inner Loop Header: Depth=1
	ds_read_b32 v5, v1
	v_add_u32_e32 v4, 0x80, v4
	v_cmp_le_i32_e32 vcc, s15, v4
	s_or_b64 s[6:7], vcc, s[6:7]
	s_waitcnt lgkmcnt(0)
	v_mul_f32_e32 v5, v2, v5
	ds_write_b32 v1, v5
	v_add_u32_e32 v1, 0x200, v1
	s_andn2_b64 exec, exec, s[6:7]
	s_cbranch_execnz .LBB113_35
.LBB113_36:
	s_or_b64 exec, exec, s[4:5]
	v_mov_b32_e32 v15, 0
	v_mov_b32_e32 v16, v15
	;; [unrolled: 1-line block ×4, first 2 shown]
	s_waitcnt lgkmcnt(0)
	s_barrier
	s_and_saveexec_b64 s[10:11], s[2:3]
	s_cbranch_execz .LBB113_48
; %bb.37:
	s_ashr_i32 s15, s14, 31
	s_sub_i32 s34, s12, s17
	s_lshl_b64 s[2:3], s[14:15], 1
	s_add_u32 s30, s30, s2
	s_addc_u32 s31, s31, s3
	s_abs_i32 s18, s18
	v_cvt_f32_u32_e32 v1, s18
	s_sub_i32 s3, 0, s18
	s_add_i32 s37, s44, -1
	s_lshl_b64 s[4:5], s[28:29], 2
	v_rcp_iflag_f32_e32 v1, v1
	s_add_u32 s4, s26, s4
	v_and_b32_e32 v3, 60, v3
	s_addc_u32 s5, s27, s5
	v_mul_f32_e32 v1, 0x4f7ffffe, v1
	v_cvt_u32_f32_e32 v1, v1
	v_or_b32_e32 v4, 64, v22
	s_movk_i32 s2, 0x78
	v_add_co_u32_e32 v17, vcc, s4, v3
	v_mul_lo_u32 v5, s3, v1
	v_lshlrev_b32_e32 v2, 3, v22
	v_cmp_gt_u32_e64 s[2:3], s2, v4
	v_lshlrev_b32_e32 v4, 3, v4
	v_mul_hi_u32 v5, v1, v5
	v_mov_b32_e32 v16, v15
	v_mov_b32_e32 v13, v15
	s_mov_b32 s35, s13
	v_add_u32_e32 v23, v1, v5
	v_mov_b32_e32 v1, s5
	v_addc_co_u32_e32 v18, vcc, 0, v1, vcc
	v_mov_b32_e32 v1, 0x100
	s_mov_b32 s36, s21
	v_lshl_add_u32 v24, v20, 5, v1
	s_mov_b64 s[12:13], 0
	v_lshlrev_b32_e32 v25, 1, v2
	s_mov_b32 s26, 0x5040100
	s_movk_i32 s27, 0x7fff
	s_mov_b32 s28, 0x7060302
	v_lshlrev_b32_e32 v26, 1, v4
	v_mov_b32_e32 v14, v16
	s_branch .LBB113_41
.LBB113_38:                             ;   in Loop: Header=BB113_41 Depth=1
	s_or_b64 exec, exec, s[16:17]
	v_perm_b32 v9, v10, v9, s28
	v_perm_b32 v5, v6, v5, s28
	;; [unrolled: 1-line block ×3, first 2 shown]
	s_waitcnt vmcnt(0)
	v_lshlrev_b32_e32 v7, 16, v1
	v_lshlrev_b32_e32 v8, 16, v9
	v_mul_f32_e32 v7, v8, v7
	v_bfe_u32 v8, v7, 16, 1
	v_perm_b32 v10, v12, v11, s28
	v_add3_u32 v8, v8, v7, s27
	v_or_b32_e32 v11, 0x400000, v7
	v_cmp_u_f32_e32 vcc, v7, v7
	v_cndmask_b32_e32 v7, v8, v11, vcc
	v_and_b32_e32 v1, 0xffff0000, v1
	v_and_b32_e32 v8, 0xffff0000, v9
	v_mul_f32_e32 v1, v8, v1
	v_bfe_u32 v8, v1, 16, 1
	v_add3_u32 v8, v8, v1, s27
	v_or_b32_e32 v9, 0x400000, v1
	v_cmp_u_f32_e32 vcc, v1, v1
	v_cndmask_b32_e32 v1, v8, v9, vcc
	v_lshlrev_b32_e32 v8, 16, v2
	v_lshlrev_b32_e32 v9, 16, v10
	v_mul_f32_e32 v8, v9, v8
	v_bfe_u32 v9, v8, 16, 1
	v_add3_u32 v9, v9, v8, s27
	v_or_b32_e32 v11, 0x400000, v8
	v_cmp_u_f32_e32 vcc, v8, v8
	v_cndmask_b32_e32 v8, v9, v11, vcc
	v_and_b32_e32 v2, 0xffff0000, v2
	v_and_b32_e32 v9, 0xffff0000, v10
	v_mul_f32_e32 v2, v9, v2
	v_bfe_u32 v9, v2, 16, 1
	v_add3_u32 v9, v9, v2, s27
	v_or_b32_e32 v10, 0x400000, v2
	v_cmp_u_f32_e32 vcc, v2, v2
	v_cndmask_b32_e32 v2, v9, v10, vcc
	v_lshlrev_b32_e32 v9, 16, v3
	v_lshlrev_b32_e32 v10, 16, v5
	v_mul_f32_e32 v9, v10, v9
	v_and_b32_e32 v3, 0xffff0000, v3
	v_and_b32_e32 v5, 0xffff0000, v5
	v_bfe_u32 v10, v9, 16, 1
	v_mul_f32_e32 v3, v5, v3
	v_add3_u32 v10, v10, v9, s27
	v_or_b32_e32 v11, 0x400000, v9
	v_cmp_u_f32_e32 vcc, v9, v9
	v_bfe_u32 v5, v3, 16, 1
	v_cndmask_b32_e32 v9, v10, v11, vcc
	v_add3_u32 v5, v5, v3, s27
	v_or_b32_e32 v10, 0x400000, v3
	v_cmp_u_f32_e32 vcc, v3, v3
	v_cndmask_b32_e32 v3, v5, v10, vcc
	v_lshlrev_b32_e32 v5, 16, v4
	v_lshlrev_b32_e32 v10, 16, v6
	v_mul_f32_e32 v5, v10, v5
	v_and_b32_e32 v4, 0xffff0000, v4
	v_and_b32_e32 v6, 0xffff0000, v6
	v_bfe_u32 v10, v5, 16, 1
	v_mul_f32_e32 v4, v6, v4
	v_add3_u32 v10, v10, v5, s27
	v_or_b32_e32 v11, 0x400000, v5
	v_cmp_u_f32_e32 vcc, v5, v5
	v_bfe_u32 v6, v4, 16, 1
	v_cndmask_b32_e32 v5, v10, v11, vcc
	v_add3_u32 v6, v6, v4, s27
	v_or_b32_e32 v10, 0x400000, v4
	v_cmp_u_f32_e32 vcc, v4, v4
	v_cndmask_b32_e32 v4, v6, v10, vcc
	v_and_b32_e32 v1, 0xffff0000, v1
	v_and_b32_e32 v6, 0xffff0000, v7
	v_add_f32_e32 v1, v6, v1
	v_and_b32_e32 v2, 0xffff0000, v2
	v_and_b32_e32 v6, 0xffff0000, v8
	v_add_f32_e32 v2, v6, v2
	v_add_f32_e32 v1, v2, v1
	v_and_b32_e32 v2, 0xffff0000, v3
	v_and_b32_e32 v3, 0xffff0000, v9
	v_add_f32_e32 v2, v3, v2
	;; [unrolled: 4-line block ×3, first 2 shown]
	v_add_f32_e32 v1, v2, v1
	v_add_f32_e32 v14, v14, v1
.LBB113_39:                             ;   in Loop: Header=BB113_41 Depth=1
	s_or_b64 exec, exec, s[6:7]
.LBB113_40:                             ;   in Loop: Header=BB113_41 Depth=1
	s_or_b64 exec, exec, s[14:15]
	v_add_co_u32_e32 v17, vcc, 8, v17
	v_add_u32_e32 v20, 2, v20
	v_addc_co_u32_e32 v18, vcc, 0, v18, vcc
	v_cmp_le_i32_e32 vcc, s44, v20
	v_add_u32_e32 v21, 16, v21
	s_or_b64 s[12:13], vcc, s[12:13]
	v_add_u32_e32 v24, 64, v24
	s_andn2_b64 exec, exec, s[12:13]
	s_cbranch_execz .LBB113_47
.LBB113_41:                             ; =>This Inner Loop Header: Depth=1
	v_mul_hi_u32 v1, v21, s33
	v_mul_lo_u32 v2, v1, s23
	v_add_u32_e32 v3, 1, v1
	v_sub_u32_e32 v2, v21, v2
	v_cmp_le_u32_e32 vcc, s23, v2
	v_cndmask_b32_e32 v1, v1, v3, vcc
	v_subrev_u32_e32 v3, s23, v2
	v_cndmask_b32_e32 v2, v2, v3, vcc
	v_add_u32_e32 v3, 1, v1
	v_cmp_le_u32_e32 vcc, s23, v2
	v_cndmask_b32_e32 v1, v1, v3, vcc
	v_xor_b32_e32 v1, s43, v1
	v_subrev_u32_e32 v1, s43, v1
	v_add_u32_e32 v2, s42, v1
	v_sub_u32_e32 v3, 0, v2
	v_max_i32_e32 v3, v2, v3
	v_mul_hi_u32 v4, v3, v23
	v_ashrrev_i32_e32 v2, 31, v2
	v_cmp_lt_i32_e64 s[4:5], s34, v1
	v_mul_lo_u32 v4, v4, s18
	v_sub_u32_e32 v3, v3, v4
	v_subrev_u32_e32 v4, s18, v3
	v_cmp_le_u32_e32 vcc, s18, v3
	v_cndmask_b32_e32 v3, v3, v4, vcc
	v_subrev_u32_e32 v4, s18, v3
	v_cmp_le_u32_e32 vcc, s18, v3
	v_cndmask_b32_e32 v3, v3, v4, vcc
	v_xor_b32_e32 v3, v3, v2
	v_sub_u32_e32 v2, v3, v2
	v_cmp_eq_u32_e32 vcc, 0, v2
	s_or_b64 s[4:5], vcc, s[4:5]
	s_and_saveexec_b64 s[14:15], s[4:5]
	s_cbranch_execz .LBB113_40
; %bb.42:                               ;   in Loop: Header=BB113_41 Depth=1
	global_load_dword v1, v[17:18], off
	v_mov_b32_e32 v3, s31
	s_waitcnt vmcnt(0)
	v_mad_i64_i32 v[1:2], s[4:5], v1, s35, 0
	v_cmp_eq_u32_e64 s[4:5], s37, v20
	v_lshlrev_b64 v[1:2], 1, v[1:2]
	v_add_co_u32_e32 v16, vcc, s30, v1
	v_addc_co_u32_e32 v27, vcc, v3, v2, vcc
	v_add_co_u32_e32 v1, vcc, v16, v25
	v_addc_co_u32_e32 v2, vcc, 0, v27, vcc
	global_load_dwordx4 v[1:4], v[1:2], off
	ds_read2_b64 v[9:12], v24 offset1:1
	ds_read2_b64 v[5:8], v24 offset0:2 offset1:3
	s_and_saveexec_b64 s[16:17], s[4:5]
	s_cbranch_execz .LBB113_44
; %bb.43:                               ;   in Loop: Header=BB113_41 Depth=1
	v_add_u32_e32 v28, 1, v21
	v_cmp_gt_i32_e32 vcc, s36, v28
	s_waitcnt vmcnt(0)
	v_cndmask_b32_sdwa v28, v15, v1, vcc dst_sel:DWORD dst_unused:UNUSED_PAD src0_sel:DWORD src1_sel:WORD_1
	v_cmp_gt_i32_e32 vcc, s21, v21
	v_cndmask_b32_e32 v1, 0, v1, vcc
	v_perm_b32 v1, v28, v1, s26
	v_or_b32_e32 v28, 3, v21
	v_or_b32_e32 v29, 2, v21
	v_cmp_gt_i32_e32 vcc, s36, v28
	v_cmp_gt_i32_e64 s[6:7], s21, v29
	v_cndmask_b32_e64 v28, 0, v2, s[6:7]
	v_cndmask_b32_sdwa v2, v15, v2, vcc dst_sel:DWORD dst_unused:UNUSED_PAD src0_sel:DWORD src1_sel:WORD_1
	v_perm_b32 v2, v2, v28, s26
	v_or_b32_e32 v28, 5, v21
	v_or_b32_e32 v29, 4, v21
	v_cmp_gt_i32_e32 vcc, s36, v28
	v_cmp_gt_i32_e64 s[6:7], s21, v29
	v_cndmask_b32_e64 v28, 0, v3, s[6:7]
	v_cndmask_b32_sdwa v3, v15, v3, vcc dst_sel:DWORD dst_unused:UNUSED_PAD src0_sel:DWORD src1_sel:WORD_1
	;; [unrolled: 7-line block ×3, first 2 shown]
	v_perm_b32 v4, v4, v28, s26
.LBB113_44:                             ;   in Loop: Header=BB113_41 Depth=1
	s_or_b64 exec, exec, s[16:17]
	s_waitcnt lgkmcnt(1)
	v_bfe_u32 v28, v9, 16, 1
	v_add3_u32 v28, v28, v9, s27
	v_or_b32_e32 v29, 0x400000, v9
	v_cmp_u_f32_e32 vcc, v9, v9
	v_cndmask_b32_e32 v9, v28, v29, vcc
	v_bfe_u32 v28, v10, 16, 1
	v_add3_u32 v28, v28, v10, s27
	v_or_b32_e32 v29, 0x400000, v10
	v_cmp_u_f32_e32 vcc, v10, v10
	v_cndmask_b32_e32 v10, v28, v29, vcc
	;; [unrolled: 5-line block ×4, first 2 shown]
	s_waitcnt lgkmcnt(0)
	v_bfe_u32 v28, v5, 16, 1
	v_add3_u32 v28, v28, v5, s27
	v_or_b32_e32 v29, 0x400000, v5
	v_cmp_u_f32_e32 vcc, v5, v5
	v_cndmask_b32_e32 v5, v28, v29, vcc
	v_bfe_u32 v28, v6, 16, 1
	v_add3_u32 v28, v28, v6, s27
	v_or_b32_e32 v29, 0x400000, v6
	v_cmp_u_f32_e32 vcc, v6, v6
	v_cndmask_b32_e32 v6, v28, v29, vcc
	;; [unrolled: 5-line block ×4, first 2 shown]
	v_and_b32_e32 v28, 0xffff0000, v9
	s_waitcnt vmcnt(0)
	v_lshlrev_b32_e32 v29, 16, v1
	v_mul_f32_e32 v28, v28, v29
	v_bfe_u32 v29, v28, 16, 1
	v_add3_u32 v29, v29, v28, s27
	v_or_b32_e32 v30, 0x400000, v28
	v_cmp_u_f32_e32 vcc, v28, v28
	v_cndmask_b32_e32 v28, v29, v30, vcc
	v_and_b32_e32 v29, 0xffff0000, v10
	v_and_b32_e32 v1, 0xffff0000, v1
	v_mul_f32_e32 v1, v29, v1
	v_bfe_u32 v29, v1, 16, 1
	v_add3_u32 v29, v29, v1, s27
	v_or_b32_e32 v30, 0x400000, v1
	v_cmp_u_f32_e32 vcc, v1, v1
	v_cndmask_b32_e32 v1, v29, v30, vcc
	v_and_b32_e32 v29, 0xffff0000, v11
	v_lshlrev_b32_e32 v30, 16, v2
	v_mul_f32_e32 v29, v29, v30
	v_bfe_u32 v30, v29, 16, 1
	v_add3_u32 v30, v30, v29, s27
	v_or_b32_e32 v31, 0x400000, v29
	v_cmp_u_f32_e32 vcc, v29, v29
	v_cndmask_b32_e32 v29, v30, v31, vcc
	v_and_b32_e32 v30, 0xffff0000, v12
	v_and_b32_e32 v2, 0xffff0000, v2
	v_mul_f32_e32 v2, v30, v2
	v_bfe_u32 v30, v2, 16, 1
	v_add3_u32 v30, v30, v2, s27
	v_or_b32_e32 v31, 0x400000, v2
	v_cmp_u_f32_e32 vcc, v2, v2
	v_cndmask_b32_e32 v2, v30, v31, vcc
	v_and_b32_e32 v30, 0xffff0000, v5
	;; [unrolled: 16-line block ×3, first 2 shown]
	v_lshlrev_b32_e32 v32, 16, v4
	v_mul_f32_e32 v31, v31, v32
	v_bfe_u32 v32, v31, 16, 1
	v_add3_u32 v32, v32, v31, s27
	v_or_b32_e32 v33, 0x400000, v31
	v_cmp_u_f32_e32 vcc, v31, v31
	v_cndmask_b32_e32 v31, v32, v33, vcc
	v_and_b32_e32 v32, 0xffff0000, v8
	v_and_b32_e32 v4, 0xffff0000, v4
	;; [unrolled: 1-line block ×4, first 2 shown]
	v_mul_f32_e32 v4, v32, v4
	v_add_f32_e32 v1, v28, v1
	v_and_b32_e32 v2, 0xffff0000, v2
	v_and_b32_e32 v28, 0xffff0000, v29
	v_bfe_u32 v32, v4, 16, 1
	v_add_f32_e32 v2, v28, v2
	v_add3_u32 v32, v32, v4, s27
	v_or_b32_e32 v33, 0x400000, v4
	v_cmp_u_f32_e32 vcc, v4, v4
	v_add_f32_e32 v1, v2, v1
	v_and_b32_e32 v2, 0xffff0000, v3
	v_and_b32_e32 v3, 0xffff0000, v30
	v_cndmask_b32_e32 v4, v32, v33, vcc
	v_add_f32_e32 v2, v3, v2
	v_add_f32_e32 v1, v2, v1
	v_and_b32_e32 v2, 0xffff0000, v4
	v_and_b32_e32 v3, 0xffff0000, v31
	v_add_f32_e32 v2, v3, v2
	v_add_f32_e32 v1, v2, v1
	;; [unrolled: 1-line block ×3, first 2 shown]
	s_and_saveexec_b64 s[6:7], s[2:3]
	s_cbranch_execz .LBB113_39
; %bb.45:                               ;   in Loop: Header=BB113_41 Depth=1
	v_add_co_u32_e32 v1, vcc, v16, v26
	v_addc_co_u32_e32 v2, vcc, 0, v27, vcc
	global_load_dwordx4 v[1:4], v[1:2], off
	s_and_saveexec_b64 s[16:17], s[4:5]
	s_cbranch_execz .LBB113_38
; %bb.46:                               ;   in Loop: Header=BB113_41 Depth=1
	v_add_u32_e32 v16, 1, v21
	v_cmp_gt_i32_e32 vcc, s36, v16
	s_waitcnt vmcnt(0)
	v_cndmask_b32_sdwa v16, v15, v1, vcc dst_sel:DWORD dst_unused:UNUSED_PAD src0_sel:DWORD src1_sel:WORD_1
	v_cmp_gt_i32_e32 vcc, s21, v21
	v_cndmask_b32_e32 v1, 0, v1, vcc
	v_perm_b32 v1, v16, v1, s26
	v_or_b32_e32 v16, 3, v21
	v_or_b32_e32 v27, 2, v21
	v_cmp_gt_i32_e32 vcc, s36, v16
	v_cmp_gt_i32_e64 s[4:5], s21, v27
	v_cndmask_b32_e64 v16, 0, v2, s[4:5]
	v_cndmask_b32_sdwa v2, v15, v2, vcc dst_sel:DWORD dst_unused:UNUSED_PAD src0_sel:DWORD src1_sel:WORD_1
	v_perm_b32 v2, v2, v16, s26
	v_or_b32_e32 v16, 5, v21
	v_or_b32_e32 v27, 4, v21
	v_cmp_gt_i32_e32 vcc, s36, v16
	v_cmp_gt_i32_e64 s[4:5], s21, v27
	v_cndmask_b32_e64 v16, 0, v3, s[4:5]
	v_cndmask_b32_sdwa v3, v15, v3, vcc dst_sel:DWORD dst_unused:UNUSED_PAD src0_sel:DWORD src1_sel:WORD_1
	;; [unrolled: 7-line block ×3, first 2 shown]
	v_perm_b32 v4, v4, v16, s26
	s_branch .LBB113_38
.LBB113_47:
	s_or_b64 exec, exec, s[12:13]
.LBB113_48:
	s_or_b64 exec, exec, s[10:11]
	v_and_b32_e32 v1, 0x3c0, v0
	v_cmp_eq_u32_e32 vcc, 64, v1
	s_barrier
	s_and_saveexec_b64 s[2:3], vcc
	s_cbranch_execz .LBB113_51
; %bb.49:
	v_mov_b32_e32 v1, 0x100
	v_lshl_add_u32 v2, v22, 2, v1
	ds_write_b32 v2, v13
	s_and_b64 exec, exec, s[0:1]
; %bb.50:
	v_lshl_add_u32 v1, v0, 2, v1
	ds_write_b32 v1, v14
.LBB113_51:
	s_or_b64 exec, exec, s[2:3]
	v_cmp_gt_u32_e32 vcc, 64, v0
	v_or_b32_e32 v1, 64, v0
	s_waitcnt lgkmcnt(0)
	s_barrier
	s_and_saveexec_b64 s[2:3], vcc
	s_cbranch_execz .LBB113_55
; %bb.52:
	v_mov_b32_e32 v2, 0x100
	v_lshl_add_u32 v0, v0, 2, v2
	ds_read_b32 v2, v0
	s_movk_i32 s0, 0x78
	v_cmp_gt_u32_e64 s[0:1], s0, v1
	s_waitcnt lgkmcnt(0)
	v_add_f32_e32 v13, v13, v2
	s_and_saveexec_b64 s[4:5], s[0:1]
	s_cbranch_execz .LBB113_54
; %bb.53:
	ds_read_b32 v0, v0 offset:256
	s_waitcnt lgkmcnt(0)
	v_add_f32_e32 v14, v14, v0
.LBB113_54:
	s_or_b64 exec, exec, s[4:5]
.LBB113_55:
	s_or_b64 exec, exec, s[2:3]
	s_barrier
	s_and_saveexec_b64 s[0:1], vcc
	s_cbranch_execz .LBB113_58
; %bb.56:
	s_mul_i32 s0, s20, s19
	s_mul_i32 s0, s0, s9
	s_mulk_i32 s0, 0x78
	s_ashr_i32 s1, s0, 31
	s_lshl_b64 s[0:1], s[0:1], 1
	s_add_u32 s2, s24, s0
	s_mul_i32 s0, s19, s22
	s_addc_u32 s4, s25, s1
	s_ashr_i32 s1, s0, 31
	s_lshl_b64 s[0:1], s[0:1], 1
	s_add_u32 s2, s2, s0
	s_mul_i32 s0, s8, 0x78
	s_addc_u32 s4, s4, s1
	s_ashr_i32 s1, s0, 31
	s_lshl_b64 s[0:1], s[0:1], 1
	s_add_u32 s0, s2, s0
	v_bfe_u32 v0, v13, 16, 1
	s_movk_i32 s2, 0x7fff
	s_movk_i32 s3, 0x78
	v_add3_u32 v0, v0, v13, s2
	v_or_b32_e32 v2, 0x400000, v13
	v_cmp_u_f32_e32 vcc, v13, v13
	s_addc_u32 s1, s4, s1
	v_cndmask_b32_e32 v0, v0, v2, vcc
	v_cmp_gt_u32_e32 vcc, s3, v1
	global_store_short_d16_hi v19, v0, s[0:1]
	s_and_b64 exec, exec, vcc
	s_cbranch_execz .LBB113_58
; %bb.57:
	v_mov_b32_e32 v1, s1
	v_add_co_u32_e32 v0, vcc, s0, v19
	v_addc_co_u32_e32 v1, vcc, 0, v1, vcc
	v_bfe_u32 v2, v14, 16, 1
	v_add3_u32 v2, v2, v14, s2
	v_or_b32_e32 v3, 0x400000, v14
	v_cmp_u_f32_e32 vcc, v14, v14
	v_cndmask_b32_e32 v2, v2, v3, vcc
	global_store_short_d16_hi v[0:1], v2, off offset:128
.LBB113_58:
	s_endpgm
	.section	.rodata,"a",@progbits
	.p2align	6, 0x0
	.amdhsa_kernel _ZN4vllm25paged_attention_v1_kernelI14__hip_bfloat16S1_Li120ELi8ELi128ELNS_18Fp8KVCacheDataTypeE0ELb1EEEvPT_PKS3_PKT0_S9_ifPKiSB_iPKfiiiSD_SD_iiiii
		.amdhsa_group_segment_fixed_size 256
		.amdhsa_private_segment_fixed_size 0
		.amdhsa_kernarg_size 384
		.amdhsa_user_sgpr_count 6
		.amdhsa_user_sgpr_private_segment_buffer 1
		.amdhsa_user_sgpr_dispatch_ptr 0
		.amdhsa_user_sgpr_queue_ptr 0
		.amdhsa_user_sgpr_kernarg_segment_ptr 1
		.amdhsa_user_sgpr_dispatch_id 0
		.amdhsa_user_sgpr_flat_scratch_init 0
		.amdhsa_user_sgpr_private_segment_size 0
		.amdhsa_uses_dynamic_stack 0
		.amdhsa_system_sgpr_private_segment_wavefront_offset 0
		.amdhsa_system_sgpr_workgroup_id_x 1
		.amdhsa_system_sgpr_workgroup_id_y 1
		.amdhsa_system_sgpr_workgroup_id_z 1
		.amdhsa_system_sgpr_workgroup_info 0
		.amdhsa_system_vgpr_workitem_id 0
		.amdhsa_next_free_vgpr 54
		.amdhsa_next_free_sgpr 46
		.amdhsa_reserve_vcc 1
		.amdhsa_reserve_flat_scratch 0
		.amdhsa_float_round_mode_32 0
		.amdhsa_float_round_mode_16_64 0
		.amdhsa_float_denorm_mode_32 3
		.amdhsa_float_denorm_mode_16_64 3
		.amdhsa_dx10_clamp 1
		.amdhsa_ieee_mode 1
		.amdhsa_fp16_overflow 0
		.amdhsa_exception_fp_ieee_invalid_op 0
		.amdhsa_exception_fp_denorm_src 0
		.amdhsa_exception_fp_ieee_div_zero 0
		.amdhsa_exception_fp_ieee_overflow 0
		.amdhsa_exception_fp_ieee_underflow 0
		.amdhsa_exception_fp_ieee_inexact 0
		.amdhsa_exception_int_div_zero 0
	.end_amdhsa_kernel
	.section	.text._ZN4vllm25paged_attention_v1_kernelI14__hip_bfloat16S1_Li120ELi8ELi128ELNS_18Fp8KVCacheDataTypeE0ELb1EEEvPT_PKS3_PKT0_S9_ifPKiSB_iPKfiiiSD_SD_iiiii,"axG",@progbits,_ZN4vllm25paged_attention_v1_kernelI14__hip_bfloat16S1_Li120ELi8ELi128ELNS_18Fp8KVCacheDataTypeE0ELb1EEEvPT_PKS3_PKT0_S9_ifPKiSB_iPKfiiiSD_SD_iiiii,comdat
.Lfunc_end113:
	.size	_ZN4vllm25paged_attention_v1_kernelI14__hip_bfloat16S1_Li120ELi8ELi128ELNS_18Fp8KVCacheDataTypeE0ELb1EEEvPT_PKS3_PKT0_S9_ifPKiSB_iPKfiiiSD_SD_iiiii, .Lfunc_end113-_ZN4vllm25paged_attention_v1_kernelI14__hip_bfloat16S1_Li120ELi8ELi128ELNS_18Fp8KVCacheDataTypeE0ELb1EEEvPT_PKS3_PKT0_S9_ifPKiSB_iPKfiiiSD_SD_iiiii
                                        ; -- End function
	.set _ZN4vllm25paged_attention_v1_kernelI14__hip_bfloat16S1_Li120ELi8ELi128ELNS_18Fp8KVCacheDataTypeE0ELb1EEEvPT_PKS3_PKT0_S9_ifPKiSB_iPKfiiiSD_SD_iiiii.num_vgpr, 54
	.set _ZN4vllm25paged_attention_v1_kernelI14__hip_bfloat16S1_Li120ELi8ELi128ELNS_18Fp8KVCacheDataTypeE0ELb1EEEvPT_PKS3_PKT0_S9_ifPKiSB_iPKfiiiSD_SD_iiiii.num_agpr, 0
	.set _ZN4vllm25paged_attention_v1_kernelI14__hip_bfloat16S1_Li120ELi8ELi128ELNS_18Fp8KVCacheDataTypeE0ELb1EEEvPT_PKS3_PKT0_S9_ifPKiSB_iPKfiiiSD_SD_iiiii.numbered_sgpr, 46
	.set _ZN4vllm25paged_attention_v1_kernelI14__hip_bfloat16S1_Li120ELi8ELi128ELNS_18Fp8KVCacheDataTypeE0ELb1EEEvPT_PKS3_PKT0_S9_ifPKiSB_iPKfiiiSD_SD_iiiii.num_named_barrier, 0
	.set _ZN4vllm25paged_attention_v1_kernelI14__hip_bfloat16S1_Li120ELi8ELi128ELNS_18Fp8KVCacheDataTypeE0ELb1EEEvPT_PKS3_PKT0_S9_ifPKiSB_iPKfiiiSD_SD_iiiii.private_seg_size, 0
	.set _ZN4vllm25paged_attention_v1_kernelI14__hip_bfloat16S1_Li120ELi8ELi128ELNS_18Fp8KVCacheDataTypeE0ELb1EEEvPT_PKS3_PKT0_S9_ifPKiSB_iPKfiiiSD_SD_iiiii.uses_vcc, 1
	.set _ZN4vllm25paged_attention_v1_kernelI14__hip_bfloat16S1_Li120ELi8ELi128ELNS_18Fp8KVCacheDataTypeE0ELb1EEEvPT_PKS3_PKT0_S9_ifPKiSB_iPKfiiiSD_SD_iiiii.uses_flat_scratch, 0
	.set _ZN4vllm25paged_attention_v1_kernelI14__hip_bfloat16S1_Li120ELi8ELi128ELNS_18Fp8KVCacheDataTypeE0ELb1EEEvPT_PKS3_PKT0_S9_ifPKiSB_iPKfiiiSD_SD_iiiii.has_dyn_sized_stack, 0
	.set _ZN4vllm25paged_attention_v1_kernelI14__hip_bfloat16S1_Li120ELi8ELi128ELNS_18Fp8KVCacheDataTypeE0ELb1EEEvPT_PKS3_PKT0_S9_ifPKiSB_iPKfiiiSD_SD_iiiii.has_recursion, 0
	.set _ZN4vllm25paged_attention_v1_kernelI14__hip_bfloat16S1_Li120ELi8ELi128ELNS_18Fp8KVCacheDataTypeE0ELb1EEEvPT_PKS3_PKT0_S9_ifPKiSB_iPKfiiiSD_SD_iiiii.has_indirect_call, 0
	.section	.AMDGPU.csdata,"",@progbits
; Kernel info:
; codeLenInByte = 5364
; TotalNumSgprs: 50
; NumVgprs: 54
; ScratchSize: 0
; MemoryBound: 0
; FloatMode: 240
; IeeeMode: 1
; LDSByteSize: 256 bytes/workgroup (compile time only)
; SGPRBlocks: 6
; VGPRBlocks: 13
; NumSGPRsForWavesPerEU: 50
; NumVGPRsForWavesPerEU: 54
; Occupancy: 4
; WaveLimiterHint : 1
; COMPUTE_PGM_RSRC2:SCRATCH_EN: 0
; COMPUTE_PGM_RSRC2:USER_SGPR: 6
; COMPUTE_PGM_RSRC2:TRAP_HANDLER: 0
; COMPUTE_PGM_RSRC2:TGID_X_EN: 1
; COMPUTE_PGM_RSRC2:TGID_Y_EN: 1
; COMPUTE_PGM_RSRC2:TGID_Z_EN: 1
; COMPUTE_PGM_RSRC2:TIDIG_COMP_CNT: 0
	.section	.text._ZN4vllm25paged_attention_v1_kernelI14__hip_bfloat16S1_Li128ELi8ELi128ELNS_18Fp8KVCacheDataTypeE0ELb1EEEvPT_PKS3_PKT0_S9_ifPKiSB_iPKfiiiSD_SD_iiiii,"axG",@progbits,_ZN4vllm25paged_attention_v1_kernelI14__hip_bfloat16S1_Li128ELi8ELi128ELNS_18Fp8KVCacheDataTypeE0ELb1EEEvPT_PKS3_PKT0_S9_ifPKiSB_iPKfiiiSD_SD_iiiii,comdat
	.protected	_ZN4vllm25paged_attention_v1_kernelI14__hip_bfloat16S1_Li128ELi8ELi128ELNS_18Fp8KVCacheDataTypeE0ELb1EEEvPT_PKS3_PKT0_S9_ifPKiSB_iPKfiiiSD_SD_iiiii ; -- Begin function _ZN4vllm25paged_attention_v1_kernelI14__hip_bfloat16S1_Li128ELi8ELi128ELNS_18Fp8KVCacheDataTypeE0ELb1EEEvPT_PKS3_PKT0_S9_ifPKiSB_iPKfiiiSD_SD_iiiii
	.globl	_ZN4vllm25paged_attention_v1_kernelI14__hip_bfloat16S1_Li128ELi8ELi128ELNS_18Fp8KVCacheDataTypeE0ELb1EEEvPT_PKS3_PKT0_S9_ifPKiSB_iPKfiiiSD_SD_iiiii
	.p2align	8
	.type	_ZN4vllm25paged_attention_v1_kernelI14__hip_bfloat16S1_Li128ELi8ELi128ELNS_18Fp8KVCacheDataTypeE0ELb1EEEvPT_PKS3_PKT0_S9_ifPKiSB_iPKfiiiSD_SD_iiiii,@function
_ZN4vllm25paged_attention_v1_kernelI14__hip_bfloat16S1_Li128ELi8ELi128ELNS_18Fp8KVCacheDataTypeE0ELb1EEEvPT_PKS3_PKT0_S9_ifPKiSB_iPKfiiiSD_SD_iiiii: ; @_ZN4vllm25paged_attention_v1_kernelI14__hip_bfloat16S1_Li128ELi8ELi128ELNS_18Fp8KVCacheDataTypeE0ELb1EEEvPT_PKS3_PKT0_S9_ifPKiSB_iPKfiiiSD_SD_iiiii
; %bb.0:
	s_load_dword s9, s[4:5], 0x80
	s_load_dwordx2 s[0:1], s[4:5], 0x30
	s_load_dwordx2 s[30:31], s[4:5], 0x20
	s_mov_b32 s10, s7
	s_ashr_i32 s11, s7, 31
	s_lshl_b64 s[2:3], s[10:11], 2
	s_waitcnt lgkmcnt(0)
	s_add_u32 s0, s0, s2
	s_addc_u32 s1, s1, s3
	s_abs_i32 s2, s30
	v_cvt_f32_u32_e32 v1, s2
	s_sub_i32 s11, 0, s2
	s_abs_i32 s7, s9
	s_xor_b32 s3, s9, s30
	v_rcp_iflag_f32_e32 v1, v1
	s_ashr_i32 s3, s3, 31
	s_mov_b32 s42, 0
	v_mul_f32_e32 v1, 0x4f7ffffe, v1
	v_cvt_u32_f32_e32 v1, v1
	v_readfirstlane_b32 s12, v1
	s_mul_i32 s11, s11, s12
	s_mul_hi_u32 s11, s12, s11
	s_add_i32 s12, s12, s11
	s_mul_hi_u32 s11, s7, s12
	s_mul_i32 s12, s11, s2
	s_sub_i32 s7, s7, s12
	s_add_i32 s12, s11, 1
	s_sub_i32 s13, s7, s2
	s_cmp_ge_u32 s7, s2
	s_cselect_b32 s11, s12, s11
	s_cselect_b32 s7, s13, s7
	s_add_i32 s12, s11, 1
	s_cmp_ge_u32 s7, s2
	s_cselect_b32 s2, s12, s11
	s_xor_b32 s2, s2, s3
	s_sub_i32 s12, s2, s3
	s_abs_i32 s22, s12
	v_cvt_f32_u32_e32 v1, s22
	s_load_dwordx2 s[2:3], s[4:5], 0x40
	s_sub_i32 s7, 0, s22
	s_abs_i32 s23, s6
	v_rcp_iflag_f32_e32 v1, v1
	v_mul_f32_e32 v1, 0x4f7ffffe, v1
	v_cvt_u32_f32_e32 v1, v1
	v_readfirstlane_b32 s11, v1
	s_mul_i32 s7, s7, s11
	s_mul_hi_u32 s7, s11, s7
	s_add_i32 s11, s11, s7
	s_waitcnt lgkmcnt(0)
	s_cmp_eq_u64 s[2:3], 0
	s_mul_hi_u32 s24, s23, s11
	s_cbranch_scc1 .LBB114_2
; %bb.1:
	s_ashr_i32 s7, s6, 31
	s_lshl_b64 s[14:15], s[6:7], 2
	s_add_u32 s2, s2, s14
	s_addc_u32 s3, s3, s15
	s_load_dword s42, s[2:3], 0x0
.LBB114_2:
	s_load_dword s11, s[0:1], 0x0
	s_ashr_i32 s7, s12, 31
	s_load_dwordx4 s[12:15], s[4:5], 0x48
	s_movk_i32 s0, 0x80
	s_ashr_i32 s2, s6, 31
	v_and_b32_e32 v1, 7, v0
	s_lshl_b32 s20, s6, 7
	v_cmp_gt_u32_e32 vcc, s0, v0
	v_lshlrev_b32_e32 v19, 1, v0
	s_and_saveexec_b64 s[0:1], vcc
	s_cbranch_execz .LBB114_4
; %bb.3:
	s_load_dwordx2 s[16:17], s[4:5], 0x8
	s_waitcnt lgkmcnt(0)
	s_mul_i32 s18, s12, s10
	s_ashr_i32 s19, s18, 31
	s_lshl_b64 s[18:19], s[18:19], 1
	v_lshrrev_b32_e32 v3, 2, v0
	s_add_u32 s3, s16, s18
	s_addc_u32 s12, s17, s19
	s_ashr_i32 s21, s20, 31
	s_lshl_b64 s[16:17], s[20:21], 1
	s_add_u32 s16, s3, s16
	s_addc_u32 s17, s12, s17
	global_load_ushort v2, v19, s[16:17]
	v_and_b32_e32 v3, 0xfe, v3
	v_lshl_add_u32 v3, v1, 5, v3
	s_waitcnt vmcnt(0)
	ds_write_b16 v3, v2
.LBB114_4:
	s_or_b64 exec, exec, s[0:1]
	s_mul_i32 s1, s24, s22
	s_sub_i32 s1, s23, s1
	s_xor_b32 s0, s2, s7
	s_add_i32 s2, s24, 1
	s_sub_i32 s7, s1, s22
	s_load_dwordx4 s[16:19], s[4:5], 0x68
	s_load_dword s3, s[4:5], 0x78
	s_cmp_ge_u32 s1, s22
	s_cselect_b32 s2, s2, s24
	s_cselect_b32 s1, s7, s1
	s_add_i32 s7, s2, 1
	s_cmp_ge_u32 s1, s22
	s_cselect_b32 s1, s7, s2
	s_waitcnt lgkmcnt(0)
	s_abs_i32 s21, s19
	v_cvt_f32_u32_e32 v2, s21
	s_xor_b32 s1, s1, s0
	s_sub_i32 s2, s1, s0
	s_sub_i32 s0, 0, s21
	v_rcp_iflag_f32_e32 v2, v2
	s_add_i32 s15, s11, -1
	s_abs_i32 s7, s15
	v_mul_f32_e32 v2, 0x4f7ffffe, v2
	v_cvt_u32_f32_e32 v2, v2
	s_barrier
	v_readfirstlane_b32 s33, v2
	s_mul_i32 s0, s0, s33
	s_mul_hi_u32 s0, s33, s0
	s_add_i32 s33, s33, s0
	s_cmp_lt_i32 s3, 0
	s_mul_hi_u32 s12, s7, s33
	s_cbranch_scc0 .LBB114_6
; %bb.5:
	s_mul_i32 s0, s16, s30
	s_add_i32 s0, s2, s0
	s_mul_i32 s0, s0, s3
	s_sub_i32 s40, 1, s0
	s_mov_b64 s[0:1], 0
	s_branch .LBB114_7
.LBB114_6:
	s_mov_b64 s[0:1], -1
                                        ; implicit-def: $sgpr40
.LBB114_7:
	s_load_dwordx2 s[24:25], s[4:5], 0x28
	s_ashr_i32 s15, s15, 31
	s_andn2_b64 vcc, exec, s[0:1]
	s_ashr_i32 s19, s19, 31
	s_cbranch_vccnz .LBB114_9
; %bb.8:
	s_mul_i32 s0, s9, s16
	s_add_i32 s0, s0, s6
	s_mul_i32 s0, s0, s3
	s_add_i32 s40, s0, 1
.LBB114_9:
	s_load_dword s0, s[4:5], 0x38
	s_load_dwordx2 s[22:23], s[4:5], 0x0
	s_load_dwordx2 s[28:29], s[4:5], 0x18
	s_load_dword s16, s[4:5], 0x88
	s_xor_b32 s1, s15, s19
	s_waitcnt lgkmcnt(0)
	s_mul_i32 s26, s0, s10
	s_mul_i32 s0, s12, s21
	s_sub_i32 s0, s7, s0
	s_ashr_i32 s27, s26, 31
	s_add_i32 s3, s12, 1
	s_sub_i32 s6, s0, s21
	s_cmp_ge_u32 s0, s21
	s_cselect_b32 s3, s3, s12
	s_cselect_b32 s0, s6, s0
	s_add_i32 s6, s3, 1
	s_cmp_ge_u32 s0, s21
	s_cselect_b32 s0, s6, s3
	s_xor_b32 s0, s0, s1
	s_sub_i32 s12, s0, s1
	s_add_i32 s0, s11, 7
	s_ashr_i32 s1, s0, 31
	s_lshr_b32 s1, s1, 29
	s_add_i32 s0, s0, s1
	s_ashr_i32 s41, s0, 3
	v_lshrrev_b32_e32 v20, 6, v0
	v_cmp_gt_i32_e64 s[0:1], s41, v20
	v_mov_b32_e32 v8, 0xff7fffff
	s_mul_i32 s14, s2, s14
	v_lshrrev_b32_e32 v3, 4, v0
	v_lshlrev_b32_e32 v21, 3, v20
	v_mbcnt_lo_u32_b32 v4, -1, 0
	s_and_saveexec_b64 s[34:35], s[0:1]
	s_cbranch_execz .LBB114_21
; %bb.10:
	s_load_dwordx2 s[2:3], s[4:5], 0x10
	s_ashr_i32 s15, s14, 31
	s_sub_i32 s30, s12, s17
	s_lshl_b64 s[4:5], s[14:15], 1
	v_bfe_u32 v5, v0, 3, 3
	s_waitcnt lgkmcnt(0)
	s_add_u32 s2, s2, s4
	s_addc_u32 s3, s3, s5
	s_abs_i32 s15, s18
	v_cvt_f32_u32_e32 v2, s15
	v_mov_b32_e32 v8, s3
	s_sub_i32 s3, 0, s15
	v_lshlrev_b32_e32 v7, 4, v5
	v_rcp_iflag_f32_e32 v2, v2
	v_lshlrev_b32_e32 v6, 1, v1
	s_lshl_b64 s[4:5], s[26:27], 2
	s_add_u32 s4, s24, s4
	v_mul_f32_e32 v2, 0x4f7ffffe, v2
	v_cvt_u32_f32_e32 v2, v2
	v_cmp_eq_u32_e32 vcc, 0, v1
	s_addc_u32 s5, s25, s5
	v_mbcnt_hi_u32_b32 v15, -1, v4
	v_mul_lo_u32 v9, s3, v2
	v_add_co_u32_e64 v7, s[2:3], s2, v7
	v_addc_co_u32_e64 v8, s[2:3], 0, v8, s[2:3]
	v_mul_hi_u32 v10, v2, v9
	v_add_co_u32_e64 v6, s[2:3], v7, v6
	v_addc_co_u32_e64 v7, s[2:3], 0, v8, s[2:3]
	v_subrev_u32_e32 v8, s11, v5
	v_add_u32_e32 v12, 1, v8
	v_lshlrev_b32_e32 v8, 2, v5
	v_lshlrev_b32_e32 v9, 5, v1
	v_and_b32_e32 v1, 60, v3
	v_lshl_or_b32 v8, v20, 5, v8
	v_add_u32_e32 v10, v2, v10
	v_mov_b32_e32 v2, s5
	v_add_co_u32_e64 v1, s[4:5], s4, v1
	v_add_u32_e32 v13, 0x110, v8
	v_and_b32_e32 v8, 64, v15
	s_mov_b32 s43, s13
	v_cmp_neq_f32_e64 s[2:3], s42, 0
	v_addc_co_u32_e64 v2, s[4:5], 0, v2, s[4:5]
	v_lshlrev_b32_e32 v11, 3, v20
	v_mov_b32_e32 v14, 0xff7fffff
	s_mov_b64 s[36:37], 0
	v_add_u32_e32 v16, 64, v8
	v_xor_b32_e32 v17, 4, v15
	v_xor_b32_e32 v18, 2, v15
	v_mov_b32_e32 v8, 0xff7fffff
	v_mov_b32_e32 v22, v20
	s_branch .LBB114_13
.LBB114_11:                             ;   in Loop: Header=BB114_13 Depth=1
	s_or_b64 exec, exec, s[38:39]
.LBB114_12:                             ;   in Loop: Header=BB114_13 Depth=1
	s_or_b64 exec, exec, s[6:7]
	v_add_co_u32_e64 v1, s[4:5], 8, v1
	v_add_u32_e32 v22, 2, v22
	v_addc_co_u32_e64 v2, s[4:5], 0, v2, s[4:5]
	v_cmp_le_i32_e64 s[4:5], s41, v22
	v_add_u32_e32 v11, 16, v11
	s_or_b64 s[36:37], s[4:5], s[36:37]
	v_add_u32_e32 v13, 64, v13
	s_andn2_b64 exec, exec, s[36:37]
	s_cbranch_execz .LBB114_20
.LBB114_13:                             ; =>This Inner Loop Header: Depth=1
	v_mul_hi_u32 v23, v11, s33
	s_waitcnt lgkmcnt(0)
	v_mul_lo_u32 v24, v23, s21
	v_add_u32_e32 v25, 1, v23
	v_sub_u32_e32 v24, v11, v24
	v_cmp_le_u32_e64 s[4:5], s21, v24
	v_cndmask_b32_e64 v23, v23, v25, s[4:5]
	v_subrev_u32_e32 v25, s21, v24
	v_cndmask_b32_e64 v24, v24, v25, s[4:5]
	v_add_u32_e32 v25, 1, v23
	v_cmp_le_u32_e64 s[4:5], s21, v24
	v_cndmask_b32_e64 v23, v23, v25, s[4:5]
	v_xor_b32_e32 v23, s19, v23
	v_subrev_u32_e32 v23, s19, v23
	v_add_u32_e32 v24, s40, v23
	v_sub_u32_e32 v25, 0, v24
	v_max_i32_e32 v25, v24, v25
	v_mul_hi_u32 v26, v25, v10
	v_ashrrev_i32_e32 v24, 31, v24
	v_cmp_ge_i32_e64 s[6:7], s30, v23
	v_mul_lo_u32 v26, v26, s15
	v_sub_u32_e32 v25, v25, v26
	v_subrev_u32_e32 v26, s15, v25
	v_cmp_le_u32_e64 s[4:5], s15, v25
	v_cndmask_b32_e64 v25, v25, v26, s[4:5]
	v_subrev_u32_e32 v26, s15, v25
	v_cmp_le_u32_e64 s[4:5], s15, v25
	v_cndmask_b32_e64 v25, v25, v26, s[4:5]
	v_xor_b32_e32 v25, v25, v24
	v_sub_u32_e32 v24, v25, v24
	v_cmp_ne_u32_e64 s[4:5], 0, v24
	s_and_b64 s[4:5], s[4:5], s[6:7]
	s_and_saveexec_b64 s[6:7], s[4:5]
	s_xor_b64 s[4:5], exec, s[6:7]
	s_cbranch_execz .LBB114_17
; %bb.14:                               ;   in Loop: Header=BB114_13 Depth=1
	s_and_saveexec_b64 s[6:7], vcc
; %bb.15:                               ;   in Loop: Header=BB114_13 Depth=1
	ds_write_b32 v13, v14
; %bb.16:                               ;   in Loop: Header=BB114_13 Depth=1
	s_or_b64 exec, exec, s[6:7]
.LBB114_17:                             ;   in Loop: Header=BB114_13 Depth=1
	s_andn2_saveexec_b64 s[6:7], s[4:5]
	s_cbranch_execz .LBB114_12
; %bb.18:                               ;   in Loop: Header=BB114_13 Depth=1
	global_load_dword v23, v[1:2], off
	s_waitcnt vmcnt(0)
	v_mad_i64_i32 v[23:24], s[4:5], v23, s43, 0
	v_lshlrev_b64 v[23:24], 1, v[23:24]
	v_add_co_u32_e64 v25, s[4:5], v6, v23
	v_addc_co_u32_e64 v26, s[4:5], v7, v24, s[4:5]
	global_load_ushort v23, v[25:26], off offset:128
	global_load_ushort v32, v[25:26], off offset:256
	;; [unrolled: 1-line block ×7, first 2 shown]
	global_load_ushort v38, v[25:26], off
	global_load_ushort v39, v[25:26], off offset:1024
	global_load_ushort v40, v[25:26], off offset:1152
	;; [unrolled: 1-line block ×8, first 2 shown]
	ds_read_b128 v[24:27], v9
	ds_read_b128 v[28:31], v9 offset:16
	v_cmp_lt_i32_e64 s[4:5], v17, v16
	v_cndmask_b32_e64 v47, v15, v17, s[4:5]
	v_lshlrev_b32_e32 v47, 2, v47
	s_waitcnt lgkmcnt(1)
	v_lshlrev_b32_e32 v48, 16, v24
	v_and_b32_e32 v24, 0xffff0000, v24
	v_lshlrev_b32_e32 v49, 16, v25
	v_and_b32_e32 v25, 0xffff0000, v25
	;; [unrolled: 2-line block ×4, first 2 shown]
	s_waitcnt lgkmcnt(0)
	v_lshlrev_b32_e32 v52, 16, v28
	v_and_b32_e32 v28, 0xffff0000, v28
	v_lshlrev_b32_e32 v53, 16, v29
	v_and_b32_e32 v29, 0xffff0000, v29
	;; [unrolled: 2-line block ×4, first 2 shown]
	v_cmp_lt_i32_e64 s[4:5], v18, v16
	s_waitcnt vmcnt(15)
	v_lshlrev_b32_e32 v23, 16, v23
	v_mul_f32_e32 v23, v24, v23
	s_waitcnt vmcnt(14)
	v_lshlrev_b32_e32 v32, 16, v32
	s_waitcnt vmcnt(13)
	v_lshlrev_b32_e32 v33, 16, v33
	;; [unrolled: 2-line block ×6, first 2 shown]
	v_fmac_f32_e32 v23, v48, v38
	v_fmac_f32_e32 v23, v49, v32
	;; [unrolled: 1-line block ×5, first 2 shown]
	v_lshlrev_b32_e32 v37, 16, v37
	v_fmac_f32_e32 v23, v51, v36
	s_waitcnt vmcnt(7)
	v_lshlrev_b32_e32 v39, 16, v39
	v_fmac_f32_e32 v23, v27, v37
	s_waitcnt vmcnt(6)
	;; [unrolled: 3-line block ×7, first 2 shown]
	v_lshlrev_b32_e32 v45, 16, v45
	v_fmac_f32_e32 v23, v30, v44
	v_fmac_f32_e32 v23, v55, v45
	s_waitcnt vmcnt(0)
	v_lshlrev_b32_e32 v24, 16, v46
	v_fmac_f32_e32 v23, v31, v24
	ds_bpermute_b32 v24, v47, v23
	v_cndmask_b32_e64 v25, v15, v18, s[4:5]
	v_lshlrev_b32_e32 v25, 2, v25
	s_waitcnt lgkmcnt(0)
	v_add_f32_e32 v23, v23, v24
	ds_bpermute_b32 v24, v25, v23
	v_xor_b32_e32 v25, 1, v15
	v_cmp_lt_i32_e64 s[4:5], v25, v16
	v_cndmask_b32_e64 v25, v15, v25, s[4:5]
	v_lshlrev_b32_e32 v25, 2, v25
	s_waitcnt lgkmcnt(0)
	v_add_f32_e32 v23, v23, v24
	ds_bpermute_b32 v24, v25, v23
	s_and_saveexec_b64 s[38:39], vcc
	s_cbranch_execz .LBB114_11
; %bb.19:                               ;   in Loop: Header=BB114_13 Depth=1
	v_add_u32_e32 v25, v12, v11
	v_cvt_f32_i32_e32 v25, v25
	s_waitcnt lgkmcnt(0)
	v_add_f32_e32 v23, v23, v24
	v_add_u32_e32 v26, v5, v11
	v_cmp_gt_i32_e64 s[4:5], s11, v26
	v_mul_f32_e32 v24, s42, v25
	v_cndmask_b32_e64 v24, 0, v24, s[2:3]
	v_fmac_f32_e32 v24, s31, v23
	v_cndmask_b32_e64 v23, 0, v24, s[4:5]
	ds_write_b32 v13, v23
	v_max_f32_e32 v23, v8, v8
	v_max_f32_e32 v23, v23, v24
	v_cndmask_b32_e64 v8, v8, v23, s[4:5]
	s_branch .LBB114_11
.LBB114_20:
	s_or_b64 exec, exec, s[36:37]
.LBB114_21:
	s_or_b64 exec, exec, s[34:35]
	v_mbcnt_hi_u32_b32 v1, -1, v4
	v_and_b32_e32 v10, 64, v1
	v_add_u32_e32 v2, 64, v10
	v_xor_b32_e32 v4, 32, v1
	v_cmp_lt_i32_e32 vcc, v4, v2
	v_cndmask_b32_e32 v4, v1, v4, vcc
	v_lshlrev_b32_e32 v5, 2, v4
	ds_bpermute_b32 v4, v5, v8
	v_xor_b32_e32 v7, 16, v1
	v_max_f32_e32 v6, v8, v8
	v_cmp_lt_i32_e32 vcc, v7, v2
	v_xor_b32_e32 v8, 8, v1
	s_waitcnt lgkmcnt(0)
	v_max_f32_e32 v4, v4, v4
	v_max_f32_e32 v4, v6, v4
	v_cndmask_b32_e32 v6, v1, v7, vcc
	v_lshlrev_b32_e32 v7, 2, v6
	ds_bpermute_b32 v6, v7, v4
	v_cmp_lt_i32_e32 vcc, v8, v2
	v_and_b32_e32 v22, 63, v0
	s_waitcnt lgkmcnt(0)
	v_max_f32_e32 v6, v6, v6
	v_max_f32_e32 v6, v4, v6
	v_cndmask_b32_e32 v4, v1, v8, vcc
	v_lshlrev_b32_e32 v9, 2, v4
	ds_bpermute_b32 v8, v9, v6
	v_cmp_eq_u32_e32 vcc, 0, v22
	v_lshlrev_b32_e32 v4, 2, v20
	s_and_saveexec_b64 s[2:3], vcc
	s_cbranch_execz .LBB114_23
; %bb.22:
	s_waitcnt lgkmcnt(0)
	v_max_f32_e32 v8, v8, v8
	v_max_f32_e32 v6, v6, v6
	;; [unrolled: 1-line block ×3, first 2 shown]
	ds_write_b32 v4, v6 offset:256
.LBB114_23:
	s_or_b64 exec, exec, s[2:3]
	v_cmp_gt_u32_e64 s[2:3], 2, v22
	v_mov_b32_e32 v11, 0xff7fffff
	v_lshlrev_b32_e32 v6, 2, v22
	s_waitcnt lgkmcnt(0)
	s_barrier
	s_and_saveexec_b64 s[4:5], s[2:3]
; %bb.24:
	ds_read_b32 v11, v6 offset:256
; %bb.25:
	s_or_b64 exec, exec, s[4:5]
	v_xor_b32_e32 v8, 1, v1
	v_cmp_lt_i32_e64 s[4:5], v8, v2
	v_cndmask_b32_e64 v8, v1, v8, s[4:5]
	v_lshlrev_b32_e32 v8, 2, v8
	s_waitcnt lgkmcnt(0)
	ds_bpermute_b32 v12, v8, v11
	v_max_f32_e32 v11, v11, v11
	v_lshlrev_b32_e32 v10, 2, v10
	s_lshl_b32 s4, s41, 3
	s_min_i32 s15, s4, s11
	s_waitcnt lgkmcnt(0)
	v_max_f32_e32 v12, v12, v12
	v_max_f32_e32 v11, v11, v12
	ds_bpermute_b32 v11, v10, v11
	v_cmp_gt_i32_e64 s[4:5], s15, v0
	v_mov_b32_e32 v10, 0
	s_and_saveexec_b64 s[30:31], s[4:5]
	s_cbranch_execz .LBB114_29
; %bb.26:
	v_mov_b32_e32 v10, 0x110
	v_lshl_add_u32 v12, v0, 2, v10
	v_mov_b32_e32 v10, 0
	s_mov_b64 s[34:35], 0
	v_mov_b32_e32 v13, v0
.LBB114_27:                             ; =>This Inner Loop Header: Depth=1
	ds_read_b32 v14, v12
	v_add_u32_e32 v13, 0x80, v13
	v_cmp_le_i32_e64 s[6:7], s15, v13
	s_or_b64 s[34:35], s[6:7], s[34:35]
	s_waitcnt lgkmcnt(0)
	v_sub_f32_e32 v14, v14, v11
	v_mul_f32_e32 v14, 0x3fb8aa3b, v14
	v_exp_f32_e32 v14, v14
	ds_write_b32 v12, v14
	v_add_f32_e32 v10, v10, v14
	v_add_u32_e32 v12, 0x200, v12
	s_andn2_b64 exec, exec, s[34:35]
	s_cbranch_execnz .LBB114_27
; %bb.28:
	s_or_b64 exec, exec, s[34:35]
.LBB114_29:
	s_or_b64 exec, exec, s[30:31]
	ds_bpermute_b32 v5, v5, v10
	s_waitcnt lgkmcnt(0)
	v_add_f32_e32 v5, v10, v5
	ds_bpermute_b32 v7, v7, v5
	s_waitcnt lgkmcnt(0)
	v_add_f32_e32 v5, v5, v7
	ds_bpermute_b32 v7, v9, v5
	v_xor_b32_e32 v9, 4, v1
	v_cmp_lt_i32_e64 s[6:7], v9, v2
	v_cndmask_b32_e64 v9, v1, v9, s[6:7]
	v_lshlrev_b32_e32 v9, 2, v9
	s_waitcnt lgkmcnt(0)
	v_add_f32_e32 v5, v5, v7
	ds_bpermute_b32 v7, v9, v5
	v_xor_b32_e32 v9, 2, v1
	v_cmp_lt_i32_e64 s[6:7], v9, v2
	v_cndmask_b32_e64 v2, v1, v9, s[6:7]
	v_lshlrev_b32_e32 v2, 2, v2
	s_waitcnt lgkmcnt(0)
	v_add_f32_e32 v5, v5, v7
	ds_bpermute_b32 v2, v2, v5
	s_waitcnt lgkmcnt(0)
	v_add_f32_e32 v2, v5, v2
	ds_bpermute_b32 v5, v8, v2
	s_waitcnt lgkmcnt(0)
	v_add_f32_e32 v2, v2, v5
	s_and_saveexec_b64 s[6:7], vcc
; %bb.30:
	ds_write_b32 v4, v2 offset:264
; %bb.31:
	s_or_b64 exec, exec, s[6:7]
	s_waitcnt lgkmcnt(0)
	s_barrier
	s_and_saveexec_b64 s[6:7], s[2:3]
; %bb.32:
	ds_read_b32 v2, v6 offset:264
; %bb.33:
	s_or_b64 exec, exec, s[6:7]
	s_waitcnt lgkmcnt(0)
	ds_bpermute_b32 v4, v8, v2
	v_lshlrev_b32_e32 v1, 2, v1
	v_and_b32_e32 v1, 0x100, v1
	s_waitcnt lgkmcnt(0)
	v_add_f32_e32 v2, v2, v4
	ds_bpermute_b32 v1, v1, v2
	s_and_saveexec_b64 s[2:3], s[4:5]
	s_cbranch_execz .LBB114_36
; %bb.34:
	s_waitcnt lgkmcnt(0)
	v_add_f32_e32 v2, 0x358637bd, v1
	v_div_scale_f32 v1, s[4:5], v2, v2, 1.0
	v_div_scale_f32 v4, vcc, 1.0, v2, 1.0
	s_mov_b64 s[4:5], 0
	v_rcp_f32_e32 v5, v1
	v_fma_f32 v6, -v1, v5, 1.0
	v_fmac_f32_e32 v5, v6, v5
	v_mul_f32_e32 v6, v4, v5
	v_fma_f32 v7, -v1, v6, v4
	v_fmac_f32_e32 v6, v7, v5
	v_fma_f32 v1, -v1, v6, v4
	v_div_fmas_f32 v4, v1, v5, v6
	v_mov_b32_e32 v1, 0x110
	v_lshl_add_u32 v1, v0, 2, v1
	v_div_fixup_f32 v2, v4, v2, 1.0
	v_mov_b32_e32 v4, v0
.LBB114_35:                             ; =>This Inner Loop Header: Depth=1
	ds_read_b32 v5, v1
	v_add_u32_e32 v4, 0x80, v4
	v_cmp_le_i32_e32 vcc, s15, v4
	s_or_b64 s[4:5], vcc, s[4:5]
	s_waitcnt lgkmcnt(0)
	v_mul_f32_e32 v5, v2, v5
	ds_write_b32 v1, v5
	v_add_u32_e32 v1, 0x200, v1
	s_andn2_b64 exec, exec, s[4:5]
	s_cbranch_execnz .LBB114_35
.LBB114_36:
	s_or_b64 exec, exec, s[2:3]
	v_mov_b32_e32 v23, 0
	v_mov_b32_e32 v24, 0
	s_waitcnt lgkmcnt(0)
	s_barrier
	s_and_saveexec_b64 s[4:5], s[0:1]
	s_cbranch_execz .LBB114_46
; %bb.37:
	s_ashr_i32 s15, s14, 31
	s_sub_i32 s17, s12, s17
	s_lshl_b64 s[0:1], s[14:15], 1
	s_add_u32 s2, s28, s0
	s_addc_u32 s3, s29, s1
	s_abs_i32 s18, s18
	v_cvt_f32_u32_e32 v1, s18
	s_sub_i32 s0, 0, s18
	v_lshlrev_b32_e32 v2, 4, v22
	s_add_i32 s30, s41, -1
	v_rcp_iflag_f32_e32 v1, v1
	v_mov_b32_e32 v5, s3
	v_add_co_u32_e32 v26, vcc, s2, v2
	v_mul_f32_e32 v1, 0x4f7ffffe, v1
	v_cvt_u32_f32_e32 v1, v1
	v_and_b32_e32 v3, 60, v3
	v_addc_co_u32_e32 v27, vcc, 0, v5, vcc
	v_mul_lo_u32 v4, s0, v1
	s_lshl_b64 s[0:1], s[26:27], 2
	s_add_u32 s0, s24, s0
	s_addc_u32 s1, s25, s1
	v_mul_hi_u32 v4, v1, v4
	v_add_co_u32_e32 v17, vcc, s0, v3
	s_mov_b32 s28, s13
	v_add_u32_e32 v28, v1, v4
	v_mov_b32_e32 v1, s1
	v_addc_co_u32_e32 v18, vcc, 0, v1, vcc
	v_mov_b32_e32 v1, 0x110
	v_mov_b32_e32 v25, 0
	s_mov_b32 s29, s11
	v_lshl_add_u32 v29, v20, 5, v1
	s_mov_b64 s[6:7], 0
	s_mov_b32 s24, 0x5040100
	s_movk_i32 s25, 0x7fff
	v_mov_b32_e32 v24, 0
	v_mov_b32_e32 v23, 0
	s_branch .LBB114_40
.LBB114_38:                             ;   in Loop: Header=BB114_40 Depth=1
	s_or_b64 exec, exec, s[2:3]
	s_waitcnt lgkmcnt(1)
	v_bfe_u32 v30, v13, 16, 1
	v_add3_u32 v30, v30, v13, s25
	v_or_b32_e32 v31, 0x400000, v13
	v_cmp_u_f32_e32 vcc, v13, v13
	v_cndmask_b32_e32 v13, v30, v31, vcc
	v_bfe_u32 v30, v14, 16, 1
	v_add3_u32 v30, v30, v14, s25
	v_or_b32_e32 v31, 0x400000, v14
	v_cmp_u_f32_e32 vcc, v14, v14
	v_cndmask_b32_e32 v14, v30, v31, vcc
	;; [unrolled: 5-line block ×4, first 2 shown]
	s_waitcnt lgkmcnt(0)
	v_bfe_u32 v30, v9, 16, 1
	v_add3_u32 v30, v30, v9, s25
	v_or_b32_e32 v31, 0x400000, v9
	v_cmp_u_f32_e32 vcc, v9, v9
	v_cndmask_b32_e32 v9, v30, v31, vcc
	v_bfe_u32 v30, v10, 16, 1
	v_add3_u32 v30, v30, v10, s25
	v_or_b32_e32 v31, 0x400000, v10
	v_cmp_u_f32_e32 vcc, v10, v10
	v_cndmask_b32_e32 v10, v30, v31, vcc
	v_bfe_u32 v30, v11, 16, 1
	v_add3_u32 v30, v30, v11, s25
	v_or_b32_e32 v31, 0x400000, v11
	v_cmp_u_f32_e32 vcc, v11, v11
	v_cndmask_b32_e32 v11, v30, v31, vcc
	v_bfe_u32 v30, v12, 16, 1
	v_add3_u32 v30, v30, v12, s25
	v_or_b32_e32 v31, 0x400000, v12
	v_cmp_u_f32_e32 vcc, v12, v12
	v_cndmask_b32_e32 v12, v30, v31, vcc
	v_and_b32_e32 v13, 0xffff0000, v13
	s_waitcnt vmcnt(1)
	v_lshlrev_b32_e32 v30, 16, v5
	v_mul_f32_e32 v30, v13, v30
	v_bfe_u32 v31, v30, 16, 1
	v_and_b32_e32 v14, 0xffff0000, v14
	v_and_b32_e32 v5, 0xffff0000, v5
	v_add3_u32 v31, v31, v30, s25
	v_or_b32_e32 v32, 0x400000, v30
	v_cmp_u_f32_e32 vcc, v30, v30
	v_mul_f32_e32 v5, v14, v5
	v_cndmask_b32_e32 v30, v31, v32, vcc
	v_bfe_u32 v31, v5, 16, 1
	v_add3_u32 v31, v31, v5, s25
	v_or_b32_e32 v32, 0x400000, v5
	v_cmp_u_f32_e32 vcc, v5, v5
	v_cndmask_b32_e32 v5, v31, v32, vcc
	v_and_b32_e32 v15, 0xffff0000, v15
	v_lshlrev_b32_e32 v31, 16, v6
	v_mul_f32_e32 v31, v15, v31
	v_bfe_u32 v32, v31, 16, 1
	v_and_b32_e32 v16, 0xffff0000, v16
	v_and_b32_e32 v6, 0xffff0000, v6
	v_add3_u32 v32, v32, v31, s25
	v_or_b32_e32 v33, 0x400000, v31
	v_cmp_u_f32_e32 vcc, v31, v31
	v_mul_f32_e32 v6, v16, v6
	v_cndmask_b32_e32 v31, v32, v33, vcc
	v_bfe_u32 v32, v6, 16, 1
	v_add3_u32 v32, v32, v6, s25
	v_or_b32_e32 v33, 0x400000, v6
	v_cmp_u_f32_e32 vcc, v6, v6
	v_cndmask_b32_e32 v6, v32, v33, vcc
	v_and_b32_e32 v9, 0xffff0000, v9
	;; [unrolled: 16-line block ×3, first 2 shown]
	v_lshlrev_b32_e32 v33, 16, v8
	v_mul_f32_e32 v33, v11, v33
	v_bfe_u32 v34, v33, 16, 1
	v_and_b32_e32 v12, 0xffff0000, v12
	v_and_b32_e32 v8, 0xffff0000, v8
	;; [unrolled: 1-line block ×4, first 2 shown]
	v_add3_u32 v34, v34, v33, s25
	v_or_b32_e32 v35, 0x400000, v33
	v_cmp_u_f32_e32 vcc, v33, v33
	v_mul_f32_e32 v8, v12, v8
	v_add_f32_e32 v5, v30, v5
	v_and_b32_e32 v6, 0xffff0000, v6
	v_and_b32_e32 v30, 0xffff0000, v31
	v_cndmask_b32_e32 v33, v34, v35, vcc
	v_bfe_u32 v34, v8, 16, 1
	v_add_f32_e32 v6, v30, v6
	v_add3_u32 v34, v34, v8, s25
	v_or_b32_e32 v35, 0x400000, v8
	v_cmp_u_f32_e32 vcc, v8, v8
	v_add_f32_e32 v5, v6, v5
	v_and_b32_e32 v6, 0xffff0000, v7
	v_and_b32_e32 v7, 0xffff0000, v32
	v_cndmask_b32_e32 v8, v34, v35, vcc
	v_add_f32_e32 v6, v7, v6
	v_add_f32_e32 v5, v6, v5
	v_and_b32_e32 v6, 0xffff0000, v8
	v_and_b32_e32 v7, 0xffff0000, v33
	v_add_f32_e32 v6, v7, v6
	v_add_f32_e32 v5, v6, v5
	;; [unrolled: 1-line block ×3, first 2 shown]
	s_waitcnt vmcnt(0)
	v_lshlrev_b32_e32 v5, 16, v1
	v_mul_f32_e32 v5, v13, v5
	v_bfe_u32 v6, v5, 16, 1
	v_and_b32_e32 v1, 0xffff0000, v1
	v_add3_u32 v6, v6, v5, s25
	v_or_b32_e32 v7, 0x400000, v5
	v_cmp_u_f32_e32 vcc, v5, v5
	v_mul_f32_e32 v1, v14, v1
	v_cndmask_b32_e32 v5, v6, v7, vcc
	v_bfe_u32 v6, v1, 16, 1
	v_add3_u32 v6, v6, v1, s25
	v_or_b32_e32 v7, 0x400000, v1
	v_cmp_u_f32_e32 vcc, v1, v1
	v_cndmask_b32_e32 v1, v6, v7, vcc
	v_lshlrev_b32_e32 v6, 16, v2
	v_mul_f32_e32 v6, v15, v6
	v_bfe_u32 v7, v6, 16, 1
	v_and_b32_e32 v2, 0xffff0000, v2
	v_add3_u32 v7, v7, v6, s25
	v_or_b32_e32 v8, 0x400000, v6
	v_cmp_u_f32_e32 vcc, v6, v6
	v_mul_f32_e32 v2, v16, v2
	v_cndmask_b32_e32 v6, v7, v8, vcc
	v_bfe_u32 v7, v2, 16, 1
	v_add3_u32 v7, v7, v2, s25
	v_or_b32_e32 v8, 0x400000, v2
	v_cmp_u_f32_e32 vcc, v2, v2
	v_cndmask_b32_e32 v2, v7, v8, vcc
	;; [unrolled: 14-line block ×3, first 2 shown]
	v_lshlrev_b32_e32 v8, 16, v4
	v_mul_f32_e32 v8, v11, v8
	v_bfe_u32 v9, v8, 16, 1
	v_and_b32_e32 v4, 0xffff0000, v4
	v_and_b32_e32 v1, 0xffff0000, v1
	;; [unrolled: 1-line block ×3, first 2 shown]
	v_add3_u32 v9, v9, v8, s25
	v_or_b32_e32 v10, 0x400000, v8
	v_cmp_u_f32_e32 vcc, v8, v8
	v_mul_f32_e32 v4, v12, v4
	v_add_f32_e32 v1, v5, v1
	v_and_b32_e32 v2, 0xffff0000, v2
	v_and_b32_e32 v5, 0xffff0000, v6
	v_cndmask_b32_e32 v8, v9, v10, vcc
	v_bfe_u32 v9, v4, 16, 1
	v_add_f32_e32 v2, v5, v2
	v_add3_u32 v9, v9, v4, s25
	v_or_b32_e32 v10, 0x400000, v4
	v_cmp_u_f32_e32 vcc, v4, v4
	v_add_f32_e32 v1, v2, v1
	v_and_b32_e32 v2, 0xffff0000, v3
	v_and_b32_e32 v3, 0xffff0000, v7
	v_cndmask_b32_e32 v4, v9, v10, vcc
	v_add_f32_e32 v2, v3, v2
	v_add_f32_e32 v1, v2, v1
	v_and_b32_e32 v2, 0xffff0000, v4
	v_and_b32_e32 v3, 0xffff0000, v8
	v_add_f32_e32 v2, v3, v2
	v_add_f32_e32 v1, v2, v1
	;; [unrolled: 1-line block ×3, first 2 shown]
.LBB114_39:                             ;   in Loop: Header=BB114_40 Depth=1
	s_or_b64 exec, exec, s[12:13]
	v_add_co_u32_e32 v17, vcc, 8, v17
	v_add_u32_e32 v20, 2, v20
	v_addc_co_u32_e32 v18, vcc, 0, v18, vcc
	v_cmp_le_i32_e32 vcc, s41, v20
	v_add_u32_e32 v21, 16, v21
	s_or_b64 s[6:7], vcc, s[6:7]
	v_add_u32_e32 v29, 64, v29
	s_andn2_b64 exec, exec, s[6:7]
	s_cbranch_execz .LBB114_45
.LBB114_40:                             ; =>This Inner Loop Header: Depth=1
	v_mul_hi_u32 v1, v21, s33
	v_mul_lo_u32 v2, v1, s21
	v_add_u32_e32 v3, 1, v1
	v_sub_u32_e32 v2, v21, v2
	v_cmp_le_u32_e32 vcc, s21, v2
	v_cndmask_b32_e32 v1, v1, v3, vcc
	v_subrev_u32_e32 v3, s21, v2
	v_cndmask_b32_e32 v2, v2, v3, vcc
	v_add_u32_e32 v3, 1, v1
	v_cmp_le_u32_e32 vcc, s21, v2
	v_cndmask_b32_e32 v1, v1, v3, vcc
	v_xor_b32_e32 v1, s19, v1
	v_subrev_u32_e32 v1, s19, v1
	v_add_u32_e32 v2, s40, v1
	v_sub_u32_e32 v3, 0, v2
	v_max_i32_e32 v3, v2, v3
	v_mul_hi_u32 v4, v3, v28
	v_ashrrev_i32_e32 v2, 31, v2
	v_cmp_lt_i32_e64 s[0:1], s17, v1
	v_mul_lo_u32 v4, v4, s18
	v_sub_u32_e32 v3, v3, v4
	v_subrev_u32_e32 v4, s18, v3
	v_cmp_le_u32_e32 vcc, s18, v3
	v_cndmask_b32_e32 v3, v3, v4, vcc
	v_subrev_u32_e32 v4, s18, v3
	v_cmp_le_u32_e32 vcc, s18, v3
	v_cndmask_b32_e32 v3, v3, v4, vcc
	v_xor_b32_e32 v3, v3, v2
	v_sub_u32_e32 v2, v3, v2
	v_cmp_eq_u32_e32 vcc, 0, v2
	s_or_b64 s[0:1], vcc, s[0:1]
	s_and_saveexec_b64 s[12:13], s[0:1]
	s_cbranch_execz .LBB114_39
; %bb.41:                               ;   in Loop: Header=BB114_40 Depth=1
	global_load_dword v1, v[17:18], off
	v_add_u32_e32 v36, 1, v21
	v_or_b32_e32 v34, 3, v21
	v_or_b32_e32 v35, 2, v21
	;; [unrolled: 1-line block ×6, first 2 shown]
	s_waitcnt vmcnt(0)
	v_mad_i64_i32 v[1:2], s[0:1], v1, s28, 0
	v_cmp_eq_u32_e64 s[0:1], s30, v20
	v_lshlrev_b64 v[1:2], 1, v[1:2]
	v_add_co_u32_e32 v1, vcc, v26, v1
	v_addc_co_u32_e32 v2, vcc, v27, v2, vcc
	global_load_dwordx4 v[5:8], v[1:2], off
	ds_read2_b64 v[13:16], v29 offset1:1
	ds_read2_b64 v[9:12], v29 offset0:2 offset1:3
	s_and_saveexec_b64 s[14:15], s[0:1]
	s_cbranch_execz .LBB114_43
; %bb.42:                               ;   in Loop: Header=BB114_40 Depth=1
	v_cmp_gt_i32_e32 vcc, s29, v36
	s_waitcnt vmcnt(0)
	v_cndmask_b32_sdwa v3, v25, v5, vcc dst_sel:DWORD dst_unused:UNUSED_PAD src0_sel:DWORD src1_sel:WORD_1
	v_cmp_gt_i32_e32 vcc, s11, v21
	v_cndmask_b32_e32 v4, 0, v5, vcc
	v_cmp_gt_i32_e32 vcc, s29, v34
	v_cmp_gt_i32_e64 s[2:3], s11, v35
	v_perm_b32 v5, v3, v4, s24
	v_cndmask_b32_e64 v3, 0, v6, s[2:3]
	v_cndmask_b32_sdwa v4, v25, v6, vcc dst_sel:DWORD dst_unused:UNUSED_PAD src0_sel:DWORD src1_sel:WORD_1
	v_cmp_gt_i32_e32 vcc, s29, v32
	v_cmp_gt_i32_e64 s[2:3], s11, v33
	v_perm_b32 v6, v4, v3, s24
	v_cndmask_b32_e64 v3, 0, v7, s[2:3]
	v_cndmask_b32_sdwa v4, v25, v7, vcc dst_sel:DWORD dst_unused:UNUSED_PAD src0_sel:DWORD src1_sel:WORD_1
	;; [unrolled: 5-line block ×3, first 2 shown]
	v_perm_b32 v8, v4, v3, s24
.LBB114_43:                             ;   in Loop: Header=BB114_40 Depth=1
	s_or_b64 exec, exec, s[14:15]
	global_load_dwordx4 v[1:4], v[1:2], off offset:1024
	s_and_saveexec_b64 s[2:3], s[0:1]
	s_cbranch_execz .LBB114_38
; %bb.44:                               ;   in Loop: Header=BB114_40 Depth=1
	v_cmp_gt_i32_e32 vcc, s29, v36
	s_waitcnt vmcnt(0)
	v_cndmask_b32_sdwa v36, v25, v1, vcc dst_sel:DWORD dst_unused:UNUSED_PAD src0_sel:DWORD src1_sel:WORD_1
	v_cmp_gt_i32_e32 vcc, s11, v21
	v_cndmask_b32_e32 v1, 0, v1, vcc
	v_cmp_gt_i32_e32 vcc, s29, v34
	v_cmp_gt_i32_e64 s[0:1], s11, v35
	v_cndmask_b32_e64 v34, 0, v2, s[0:1]
	v_cndmask_b32_sdwa v2, v25, v2, vcc dst_sel:DWORD dst_unused:UNUSED_PAD src0_sel:DWORD src1_sel:WORD_1
	v_cmp_gt_i32_e32 vcc, s29, v32
	v_cmp_gt_i32_e64 s[0:1], s11, v33
	v_cndmask_b32_e64 v32, 0, v3, s[0:1]
	v_cndmask_b32_sdwa v3, v25, v3, vcc dst_sel:DWORD dst_unused:UNUSED_PAD src0_sel:DWORD src1_sel:WORD_1
	;; [unrolled: 4-line block ×3, first 2 shown]
	v_perm_b32 v1, v36, v1, s24
	v_perm_b32 v2, v2, v34, s24
	;; [unrolled: 1-line block ×4, first 2 shown]
	s_branch .LBB114_38
.LBB114_45:
	s_or_b64 exec, exec, s[6:7]
.LBB114_46:
	s_or_b64 exec, exec, s[4:5]
	v_and_b32_e32 v1, 0x3c0, v0
	v_cmp_eq_u32_e32 vcc, 64, v1
	s_barrier
	s_and_saveexec_b64 s[0:1], vcc
; %bb.47:
	v_mov_b32_e32 v1, 0x110
	v_lshl_add_u32 v1, v22, 2, v1
	ds_write2st64_b32 v1, v24, v23 offset1:1
; %bb.48:
	s_or_b64 exec, exec, s[0:1]
	v_cmp_gt_u32_e32 vcc, 64, v0
	s_waitcnt lgkmcnt(0)
	s_barrier
	s_and_saveexec_b64 s[0:1], vcc
	s_cbranch_execz .LBB114_50
; %bb.49:
	v_mov_b32_e32 v1, 0x110
	v_lshl_add_u32 v0, v0, 2, v1
	ds_read2st64_b32 v[0:1], v0 offset1:1
	s_waitcnt lgkmcnt(0)
	v_add_f32_e32 v24, v24, v0
	v_add_f32_e32 v23, v23, v1
.LBB114_50:
	s_or_b64 exec, exec, s[0:1]
	s_barrier
	s_and_saveexec_b64 s[0:1], vcc
	s_cbranch_execz .LBB114_52
; %bb.51:
	s_mul_i32 s0, s10, s16
	s_mul_i32 s0, s0, s9
	s_lshl_b32 s0, s0, 7
	s_ashr_i32 s1, s0, 31
	s_lshl_b64 s[0:1], s[0:1], 1
	s_add_u32 s2, s22, s0
	s_mul_i32 s0, s16, s20
	s_addc_u32 s3, s23, s1
	s_ashr_i32 s1, s0, 31
	s_lshl_b64 s[0:1], s[0:1], 1
	s_add_u32 s2, s2, s0
	s_addc_u32 s3, s3, s1
	s_lshl_b32 s0, s8, 7
	s_ashr_i32 s1, s0, 31
	s_lshl_b64 s[0:1], s[0:1], 1
	s_add_u32 s0, s2, s0
	v_bfe_u32 v0, v24, 16, 1
	s_movk_i32 s2, 0x7fff
	v_add3_u32 v0, v0, v24, s2
	v_or_b32_e32 v1, 0x400000, v24
	v_cmp_u_f32_e32 vcc, v24, v24
	s_addc_u32 s1, s3, s1
	v_cndmask_b32_e32 v0, v0, v1, vcc
	global_store_short_d16_hi v19, v0, s[0:1]
	v_bfe_u32 v0, v23, 16, 1
	v_add3_u32 v0, v0, v23, s2
	v_or_b32_e32 v1, 0x400000, v23
	v_cmp_u_f32_e32 vcc, v23, v23
	v_cndmask_b32_e32 v0, v0, v1, vcc
	global_store_short_d16_hi v19, v0, s[0:1] offset:128
.LBB114_52:
	s_endpgm
	.section	.rodata,"a",@progbits
	.p2align	6, 0x0
	.amdhsa_kernel _ZN4vllm25paged_attention_v1_kernelI14__hip_bfloat16S1_Li128ELi8ELi128ELNS_18Fp8KVCacheDataTypeE0ELb1EEEvPT_PKS3_PKT0_S9_ifPKiSB_iPKfiiiSD_SD_iiiii
		.amdhsa_group_segment_fixed_size 272
		.amdhsa_private_segment_fixed_size 0
		.amdhsa_kernarg_size 384
		.amdhsa_user_sgpr_count 6
		.amdhsa_user_sgpr_private_segment_buffer 1
		.amdhsa_user_sgpr_dispatch_ptr 0
		.amdhsa_user_sgpr_queue_ptr 0
		.amdhsa_user_sgpr_kernarg_segment_ptr 1
		.amdhsa_user_sgpr_dispatch_id 0
		.amdhsa_user_sgpr_flat_scratch_init 0
		.amdhsa_user_sgpr_private_segment_size 0
		.amdhsa_uses_dynamic_stack 0
		.amdhsa_system_sgpr_private_segment_wavefront_offset 0
		.amdhsa_system_sgpr_workgroup_id_x 1
		.amdhsa_system_sgpr_workgroup_id_y 1
		.amdhsa_system_sgpr_workgroup_id_z 1
		.amdhsa_system_sgpr_workgroup_info 0
		.amdhsa_system_vgpr_workitem_id 0
		.amdhsa_next_free_vgpr 56
		.amdhsa_next_free_sgpr 44
		.amdhsa_reserve_vcc 1
		.amdhsa_reserve_flat_scratch 0
		.amdhsa_float_round_mode_32 0
		.amdhsa_float_round_mode_16_64 0
		.amdhsa_float_denorm_mode_32 3
		.amdhsa_float_denorm_mode_16_64 3
		.amdhsa_dx10_clamp 1
		.amdhsa_ieee_mode 1
		.amdhsa_fp16_overflow 0
		.amdhsa_exception_fp_ieee_invalid_op 0
		.amdhsa_exception_fp_denorm_src 0
		.amdhsa_exception_fp_ieee_div_zero 0
		.amdhsa_exception_fp_ieee_overflow 0
		.amdhsa_exception_fp_ieee_underflow 0
		.amdhsa_exception_fp_ieee_inexact 0
		.amdhsa_exception_int_div_zero 0
	.end_amdhsa_kernel
	.section	.text._ZN4vllm25paged_attention_v1_kernelI14__hip_bfloat16S1_Li128ELi8ELi128ELNS_18Fp8KVCacheDataTypeE0ELb1EEEvPT_PKS3_PKT0_S9_ifPKiSB_iPKfiiiSD_SD_iiiii,"axG",@progbits,_ZN4vllm25paged_attention_v1_kernelI14__hip_bfloat16S1_Li128ELi8ELi128ELNS_18Fp8KVCacheDataTypeE0ELb1EEEvPT_PKS3_PKT0_S9_ifPKiSB_iPKfiiiSD_SD_iiiii,comdat
.Lfunc_end114:
	.size	_ZN4vllm25paged_attention_v1_kernelI14__hip_bfloat16S1_Li128ELi8ELi128ELNS_18Fp8KVCacheDataTypeE0ELb1EEEvPT_PKS3_PKT0_S9_ifPKiSB_iPKfiiiSD_SD_iiiii, .Lfunc_end114-_ZN4vllm25paged_attention_v1_kernelI14__hip_bfloat16S1_Li128ELi8ELi128ELNS_18Fp8KVCacheDataTypeE0ELb1EEEvPT_PKS3_PKT0_S9_ifPKiSB_iPKfiiiSD_SD_iiiii
                                        ; -- End function
	.set _ZN4vllm25paged_attention_v1_kernelI14__hip_bfloat16S1_Li128ELi8ELi128ELNS_18Fp8KVCacheDataTypeE0ELb1EEEvPT_PKS3_PKT0_S9_ifPKiSB_iPKfiiiSD_SD_iiiii.num_vgpr, 56
	.set _ZN4vllm25paged_attention_v1_kernelI14__hip_bfloat16S1_Li128ELi8ELi128ELNS_18Fp8KVCacheDataTypeE0ELb1EEEvPT_PKS3_PKT0_S9_ifPKiSB_iPKfiiiSD_SD_iiiii.num_agpr, 0
	.set _ZN4vllm25paged_attention_v1_kernelI14__hip_bfloat16S1_Li128ELi8ELi128ELNS_18Fp8KVCacheDataTypeE0ELb1EEEvPT_PKS3_PKT0_S9_ifPKiSB_iPKfiiiSD_SD_iiiii.numbered_sgpr, 44
	.set _ZN4vllm25paged_attention_v1_kernelI14__hip_bfloat16S1_Li128ELi8ELi128ELNS_18Fp8KVCacheDataTypeE0ELb1EEEvPT_PKS3_PKT0_S9_ifPKiSB_iPKfiiiSD_SD_iiiii.num_named_barrier, 0
	.set _ZN4vllm25paged_attention_v1_kernelI14__hip_bfloat16S1_Li128ELi8ELi128ELNS_18Fp8KVCacheDataTypeE0ELb1EEEvPT_PKS3_PKT0_S9_ifPKiSB_iPKfiiiSD_SD_iiiii.private_seg_size, 0
	.set _ZN4vllm25paged_attention_v1_kernelI14__hip_bfloat16S1_Li128ELi8ELi128ELNS_18Fp8KVCacheDataTypeE0ELb1EEEvPT_PKS3_PKT0_S9_ifPKiSB_iPKfiiiSD_SD_iiiii.uses_vcc, 1
	.set _ZN4vllm25paged_attention_v1_kernelI14__hip_bfloat16S1_Li128ELi8ELi128ELNS_18Fp8KVCacheDataTypeE0ELb1EEEvPT_PKS3_PKT0_S9_ifPKiSB_iPKfiiiSD_SD_iiiii.uses_flat_scratch, 0
	.set _ZN4vllm25paged_attention_v1_kernelI14__hip_bfloat16S1_Li128ELi8ELi128ELNS_18Fp8KVCacheDataTypeE0ELb1EEEvPT_PKS3_PKT0_S9_ifPKiSB_iPKfiiiSD_SD_iiiii.has_dyn_sized_stack, 0
	.set _ZN4vllm25paged_attention_v1_kernelI14__hip_bfloat16S1_Li128ELi8ELi128ELNS_18Fp8KVCacheDataTypeE0ELb1EEEvPT_PKS3_PKT0_S9_ifPKiSB_iPKfiiiSD_SD_iiiii.has_recursion, 0
	.set _ZN4vllm25paged_attention_v1_kernelI14__hip_bfloat16S1_Li128ELi8ELi128ELNS_18Fp8KVCacheDataTypeE0ELb1EEEvPT_PKS3_PKT0_S9_ifPKiSB_iPKfiiiSD_SD_iiiii.has_indirect_call, 0
	.section	.AMDGPU.csdata,"",@progbits
; Kernel info:
; codeLenInByte = 5100
; TotalNumSgprs: 48
; NumVgprs: 56
; ScratchSize: 0
; MemoryBound: 0
; FloatMode: 240
; IeeeMode: 1
; LDSByteSize: 272 bytes/workgroup (compile time only)
; SGPRBlocks: 5
; VGPRBlocks: 13
; NumSGPRsForWavesPerEU: 48
; NumVGPRsForWavesPerEU: 56
; Occupancy: 4
; WaveLimiterHint : 1
; COMPUTE_PGM_RSRC2:SCRATCH_EN: 0
; COMPUTE_PGM_RSRC2:USER_SGPR: 6
; COMPUTE_PGM_RSRC2:TRAP_HANDLER: 0
; COMPUTE_PGM_RSRC2:TGID_X_EN: 1
; COMPUTE_PGM_RSRC2:TGID_Y_EN: 1
; COMPUTE_PGM_RSRC2:TGID_Z_EN: 1
; COMPUTE_PGM_RSRC2:TIDIG_COMP_CNT: 0
	.section	.text._ZN4vllm25paged_attention_v1_kernelI14__hip_bfloat16S1_Li192ELi8ELi128ELNS_18Fp8KVCacheDataTypeE0ELb1EEEvPT_PKS3_PKT0_S9_ifPKiSB_iPKfiiiSD_SD_iiiii,"axG",@progbits,_ZN4vllm25paged_attention_v1_kernelI14__hip_bfloat16S1_Li192ELi8ELi128ELNS_18Fp8KVCacheDataTypeE0ELb1EEEvPT_PKS3_PKT0_S9_ifPKiSB_iPKfiiiSD_SD_iiiii,comdat
	.protected	_ZN4vllm25paged_attention_v1_kernelI14__hip_bfloat16S1_Li192ELi8ELi128ELNS_18Fp8KVCacheDataTypeE0ELb1EEEvPT_PKS3_PKT0_S9_ifPKiSB_iPKfiiiSD_SD_iiiii ; -- Begin function _ZN4vllm25paged_attention_v1_kernelI14__hip_bfloat16S1_Li192ELi8ELi128ELNS_18Fp8KVCacheDataTypeE0ELb1EEEvPT_PKS3_PKT0_S9_ifPKiSB_iPKfiiiSD_SD_iiiii
	.globl	_ZN4vllm25paged_attention_v1_kernelI14__hip_bfloat16S1_Li192ELi8ELi128ELNS_18Fp8KVCacheDataTypeE0ELb1EEEvPT_PKS3_PKT0_S9_ifPKiSB_iPKfiiiSD_SD_iiiii
	.p2align	8
	.type	_ZN4vllm25paged_attention_v1_kernelI14__hip_bfloat16S1_Li192ELi8ELi128ELNS_18Fp8KVCacheDataTypeE0ELb1EEEvPT_PKS3_PKT0_S9_ifPKiSB_iPKfiiiSD_SD_iiiii,@function
_ZN4vllm25paged_attention_v1_kernelI14__hip_bfloat16S1_Li192ELi8ELi128ELNS_18Fp8KVCacheDataTypeE0ELb1EEEvPT_PKS3_PKT0_S9_ifPKiSB_iPKfiiiSD_SD_iiiii: ; @_ZN4vllm25paged_attention_v1_kernelI14__hip_bfloat16S1_Li192ELi8ELi128ELNS_18Fp8KVCacheDataTypeE0ELb1EEEvPT_PKS3_PKT0_S9_ifPKiSB_iPKfiiiSD_SD_iiiii
; %bb.0:
	s_load_dword s9, s[4:5], 0x80
	s_load_dwordx2 s[0:1], s[4:5], 0x30
	s_load_dwordx2 s[30:31], s[4:5], 0x20
	s_mov_b32 s10, s7
	s_ashr_i32 s11, s7, 31
	s_lshl_b64 s[2:3], s[10:11], 2
	s_waitcnt lgkmcnt(0)
	s_add_u32 s0, s0, s2
	s_addc_u32 s1, s1, s3
	s_abs_i32 s2, s30
	v_cvt_f32_u32_e32 v1, s2
	s_sub_i32 s11, 0, s2
	s_abs_i32 s7, s9
	s_xor_b32 s3, s9, s30
	v_rcp_iflag_f32_e32 v1, v1
	s_ashr_i32 s3, s3, 31
	s_mov_b32 s42, 0
	v_mul_f32_e32 v1, 0x4f7ffffe, v1
	v_cvt_u32_f32_e32 v1, v1
	v_readfirstlane_b32 s12, v1
	s_mul_i32 s11, s11, s12
	s_mul_hi_u32 s11, s12, s11
	s_add_i32 s12, s12, s11
	s_mul_hi_u32 s11, s7, s12
	s_mul_i32 s12, s11, s2
	s_sub_i32 s7, s7, s12
	s_add_i32 s12, s11, 1
	s_sub_i32 s13, s7, s2
	s_cmp_ge_u32 s7, s2
	s_cselect_b32 s11, s12, s11
	s_cselect_b32 s7, s13, s7
	s_add_i32 s12, s11, 1
	s_cmp_ge_u32 s7, s2
	s_cselect_b32 s2, s12, s11
	s_xor_b32 s2, s2, s3
	s_sub_i32 s11, s2, s3
	s_abs_i32 s22, s11
	v_cvt_f32_u32_e32 v1, s22
	s_load_dwordx2 s[2:3], s[4:5], 0x40
	s_sub_i32 s7, 0, s22
	s_abs_i32 s23, s6
	v_rcp_iflag_f32_e32 v1, v1
	v_mul_f32_e32 v1, 0x4f7ffffe, v1
	v_cvt_u32_f32_e32 v1, v1
	v_readfirstlane_b32 s12, v1
	s_mul_i32 s7, s7, s12
	s_mul_hi_u32 s7, s12, s7
	s_add_i32 s12, s12, s7
	s_waitcnt lgkmcnt(0)
	s_cmp_eq_u64 s[2:3], 0
	s_mul_hi_u32 s24, s23, s12
	s_cbranch_scc1 .LBB115_2
; %bb.1:
	s_ashr_i32 s7, s6, 31
	s_lshl_b64 s[12:13], s[6:7], 2
	s_add_u32 s2, s2, s12
	s_addc_u32 s3, s3, s13
	s_load_dword s42, s[2:3], 0x0
.LBB115_2:
	s_load_dword s33, s[0:1], 0x0
	s_ashr_i32 s25, s11, 31
	s_load_dword s11, s[4:5], 0x88
	s_load_dwordx4 s[12:15], s[4:5], 0x48
	s_movk_i32 s0, 0xc0
	s_ashr_i32 s7, s6, 31
	v_and_b32_e32 v1, 7, v0
	s_mul_i32 s20, s6, 0xc0
	v_cmp_gt_u32_e32 vcc, s0, v0
	v_lshlrev_b32_e32 v23, 1, v0
	s_and_saveexec_b64 s[0:1], vcc
	s_cbranch_execz .LBB115_5
; %bb.3:
	s_load_dwordx2 s[2:3], s[4:5], 0x8
	s_waitcnt lgkmcnt(0)
	s_mul_i32 s16, s12, s10
	s_ashr_i32 s17, s16, 31
	s_lshl_b64 s[16:17], s[16:17], 1
	v_lshrrev_b32_e32 v3, 3, v0
	s_add_u32 s12, s2, s16
	s_addc_u32 s15, s3, s17
	s_ashr_i32 s21, s20, 31
	s_lshl_b64 s[2:3], s[20:21], 1
	s_add_u32 s2, s12, s2
	s_addc_u32 s3, s15, s3
	global_load_ushort v4, v23, s[2:3]
	v_lshlrev_b32_e32 v2, 1, v3
	v_mad_u32_u24 v2, v1, 48, v2
	v_cmp_gt_u32_e32 vcc, 64, v0
	s_waitcnt vmcnt(0)
	ds_write_b16 v2, v4
	s_and_b64 exec, exec, vcc
	s_cbranch_execz .LBB115_5
; %bb.4:
	v_lshlrev_b32_e32 v3, 4, v3
	v_lshlrev_b32_e32 v4, 1, v1
	s_movk_i32 s12, 0x100
	v_or3_b32 v3, v3, v4, s12
	global_load_ushort v3, v3, s[2:3]
	s_waitcnt vmcnt(0)
	ds_write_b16 v2, v3 offset:32
.LBB115_5:
	s_or_b64 exec, exec, s[0:1]
	s_mul_i32 s1, s24, s22
	s_sub_i32 s1, s23, s1
	s_xor_b32 s0, s7, s25
	s_add_i32 s2, s24, 1
	s_sub_i32 s7, s1, s22
	s_load_dwordx4 s[16:19], s[4:5], 0x68
	s_load_dword s3, s[4:5], 0x78
	s_cmp_ge_u32 s1, s22
	s_cselect_b32 s2, s2, s24
	s_cselect_b32 s1, s7, s1
	s_add_i32 s7, s2, 1
	s_cmp_ge_u32 s1, s22
	s_cselect_b32 s1, s7, s2
	s_waitcnt lgkmcnt(0)
	s_abs_i32 s21, s19
	v_cvt_f32_u32_e32 v2, s21
	s_xor_b32 s1, s1, s0
	s_sub_i32 s2, s1, s0
	s_sub_i32 s0, 0, s21
	v_rcp_iflag_f32_e32 v2, v2
	s_add_i32 s15, s33, -1
	s_abs_i32 s7, s15
	v_mul_f32_e32 v2, 0x4f7ffffe, v2
	v_cvt_u32_f32_e32 v2, v2
	s_barrier
	v_readfirstlane_b32 s40, v2
	s_mul_i32 s0, s0, s40
	s_mul_hi_u32 s0, s40, s0
	s_add_i32 s40, s40, s0
	s_cmp_lt_i32 s3, 0
	s_mul_hi_u32 s12, s7, s40
	s_cbranch_scc0 .LBB115_7
; %bb.6:
	s_mul_i32 s0, s16, s30
	s_add_i32 s0, s2, s0
	s_mul_i32 s0, s0, s3
	s_sub_i32 s41, 1, s0
	s_mov_b64 s[0:1], 0
	s_branch .LBB115_8
.LBB115_7:
	s_mov_b64 s[0:1], -1
                                        ; implicit-def: $sgpr41
.LBB115_8:
	s_load_dwordx2 s[24:25], s[4:5], 0x28
	s_ashr_i32 s15, s15, 31
	s_andn2_b64 vcc, exec, s[0:1]
	s_ashr_i32 s19, s19, 31
	s_cbranch_vccnz .LBB115_10
; %bb.9:
	s_mul_i32 s0, s9, s16
	s_add_i32 s0, s0, s6
	s_mul_i32 s0, s0, s3
	s_add_i32 s41, s0, 1
.LBB115_10:
	s_load_dword s0, s[4:5], 0x38
	s_load_dwordx2 s[22:23], s[4:5], 0x0
	s_load_dwordx2 s[28:29], s[4:5], 0x18
	s_mul_i32 s3, s12, s21
	s_xor_b32 s1, s15, s19
	s_waitcnt lgkmcnt(0)
	s_mul_i32 s26, s0, s10
	s_sub_i32 s0, s7, s3
	s_ashr_i32 s27, s26, 31
	s_add_i32 s3, s12, 1
	s_sub_i32 s6, s0, s21
	s_cmp_ge_u32 s0, s21
	s_cselect_b32 s3, s3, s12
	s_cselect_b32 s0, s6, s0
	s_add_i32 s6, s3, 1
	s_cmp_ge_u32 s0, s21
	s_cselect_b32 s0, s6, s3
	s_xor_b32 s0, s0, s1
	s_sub_i32 s12, s0, s1
	s_add_i32 s0, s33, 7
	s_ashr_i32 s1, s0, 31
	s_lshr_b32 s1, s1, 29
	s_add_i32 s0, s0, s1
	s_ashr_i32 s16, s0, 3
	v_lshrrev_b32_e32 v24, 6, v0
	v_cmp_gt_i32_e64 s[0:1], s16, v24
	v_mov_b32_e32 v10, 0xff7fffff
	s_mul_i32 s14, s2, s14
	v_lshrrev_b32_e32 v5, 4, v0
	v_lshlrev_b32_e32 v25, 3, v24
	v_mbcnt_lo_u32_b32 v6, -1, 0
	s_and_saveexec_b64 s[34:35], s[0:1]
	s_cbranch_execz .LBB115_22
; %bb.11:
	s_load_dwordx2 s[2:3], s[4:5], 0x10
	s_ashr_i32 s15, s14, 31
	s_sub_i32 s30, s12, s17
	s_lshl_b64 s[4:5], s[14:15], 1
	v_bfe_u32 v7, v0, 3, 3
	s_waitcnt lgkmcnt(0)
	s_add_u32 s2, s2, s4
	s_addc_u32 s3, s3, s5
	s_abs_i32 s15, s18
	v_cvt_f32_u32_e32 v2, s15
	v_mov_b32_e32 v8, s3
	s_sub_i32 s3, 0, s15
	v_lshlrev_b32_e32 v4, 4, v7
	v_rcp_iflag_f32_e32 v2, v2
	v_lshlrev_b32_e32 v3, 1, v1
	s_lshl_b64 s[4:5], s[26:27], 2
	s_add_u32 s4, s24, s4
	v_mul_f32_e32 v2, 0x4f7ffffe, v2
	v_cvt_u32_f32_e32 v2, v2
	v_cmp_eq_u32_e32 vcc, 0, v1
	v_mul_u32_u24_e32 v11, 48, v1
	v_and_b32_e32 v1, 60, v5
	v_mul_lo_u32 v9, s3, v2
	v_add_co_u32_e64 v4, s[2:3], s2, v4
	v_addc_co_u32_e64 v10, s[2:3], 0, v8, s[2:3]
	v_mul_hi_u32 v12, v2, v9
	v_add_co_u32_e64 v8, s[2:3], v4, v3
	v_subrev_u32_e32 v3, s33, v7
	v_add_u32_e32 v14, 1, v3
	v_lshlrev_b32_e32 v3, 2, v7
	s_addc_u32 s5, s25, s5
	v_lshl_or_b32 v3, v24, 5, v3
	v_mbcnt_hi_u32_b32 v17, -1, v6
	v_addc_co_u32_e64 v9, s[2:3], 0, v10, s[2:3]
	v_add_u32_e32 v12, v2, v12
	v_mov_b32_e32 v2, s5
	v_add_co_u32_e64 v1, s[4:5], s4, v1
	v_add_u32_e32 v15, 0x190, v3
	v_and_b32_e32 v3, 64, v17
	s_mov_b32 s43, s13
	v_cmp_neq_f32_e64 s[2:3], s42, 0
	v_addc_co_u32_e64 v2, s[4:5], 0, v2, s[4:5]
	v_lshlrev_b32_e32 v13, 3, v24
	v_mov_b32_e32 v16, 0xff7fffff
	s_mov_b64 s[36:37], 0
	v_add_u32_e32 v18, 64, v3
	v_xor_b32_e32 v19, 4, v17
	v_xor_b32_e32 v20, 2, v17
	v_mov_b32_e32 v10, 0xff7fffff
	v_mov_b32_e32 v21, v24
	s_branch .LBB115_14
.LBB115_12:                             ;   in Loop: Header=BB115_14 Depth=1
	s_or_b64 exec, exec, s[38:39]
.LBB115_13:                             ;   in Loop: Header=BB115_14 Depth=1
	s_or_b64 exec, exec, s[6:7]
	v_add_co_u32_e64 v1, s[4:5], 8, v1
	v_add_u32_e32 v21, 2, v21
	v_addc_co_u32_e64 v2, s[4:5], 0, v2, s[4:5]
	v_cmp_le_i32_e64 s[4:5], s16, v21
	v_add_u32_e32 v13, 16, v13
	s_or_b64 s[36:37], s[4:5], s[36:37]
	v_add_u32_e32 v15, 64, v15
	s_andn2_b64 exec, exec, s[36:37]
	s_cbranch_execz .LBB115_21
.LBB115_14:                             ; =>This Inner Loop Header: Depth=1
	v_mul_hi_u32 v3, v13, s40
	s_waitcnt lgkmcnt(0)
	v_mul_lo_u32 v4, v3, s21
	v_add_u32_e32 v22, 1, v3
	v_sub_u32_e32 v4, v13, v4
	v_cmp_le_u32_e64 s[4:5], s21, v4
	v_cndmask_b32_e64 v3, v3, v22, s[4:5]
	v_subrev_u32_e32 v22, s21, v4
	v_cndmask_b32_e64 v4, v4, v22, s[4:5]
	v_add_u32_e32 v22, 1, v3
	v_cmp_le_u32_e64 s[4:5], s21, v4
	v_cndmask_b32_e64 v3, v3, v22, s[4:5]
	v_xor_b32_e32 v3, s19, v3
	v_subrev_u32_e32 v3, s19, v3
	v_add_u32_e32 v4, s41, v3
	v_sub_u32_e32 v22, 0, v4
	v_max_i32_e32 v22, v4, v22
	v_mul_hi_u32 v26, v22, v12
	v_ashrrev_i32_e32 v4, 31, v4
	v_cmp_ge_i32_e64 s[6:7], s30, v3
	v_mul_lo_u32 v26, v26, s15
	v_sub_u32_e32 v22, v22, v26
	v_subrev_u32_e32 v26, s15, v22
	v_cmp_le_u32_e64 s[4:5], s15, v22
	v_cndmask_b32_e64 v22, v22, v26, s[4:5]
	v_subrev_u32_e32 v26, s15, v22
	v_cmp_le_u32_e64 s[4:5], s15, v22
	v_cndmask_b32_e64 v22, v22, v26, s[4:5]
	v_xor_b32_e32 v22, v22, v4
	v_sub_u32_e32 v4, v22, v4
	v_cmp_ne_u32_e64 s[4:5], 0, v4
	s_and_b64 s[4:5], s[4:5], s[6:7]
	s_and_saveexec_b64 s[6:7], s[4:5]
	s_xor_b64 s[4:5], exec, s[6:7]
	s_cbranch_execz .LBB115_18
; %bb.15:                               ;   in Loop: Header=BB115_14 Depth=1
	s_and_saveexec_b64 s[6:7], vcc
; %bb.16:                               ;   in Loop: Header=BB115_14 Depth=1
	ds_write_b32 v15, v16
; %bb.17:                               ;   in Loop: Header=BB115_14 Depth=1
	s_or_b64 exec, exec, s[6:7]
.LBB115_18:                             ;   in Loop: Header=BB115_14 Depth=1
	s_andn2_saveexec_b64 s[6:7], s[4:5]
	s_cbranch_execz .LBB115_13
; %bb.19:                               ;   in Loop: Header=BB115_14 Depth=1
	global_load_dword v3, v[1:2], off
	ds_read_b128 v[26:29], v11
	ds_read_b128 v[30:33], v11 offset:16
	ds_read_b128 v[35:38], v11 offset:32
	s_waitcnt lgkmcnt(2)
	v_lshlrev_b32_e32 v45, 16, v26
	v_and_b32_e32 v46, 0xffff0000, v26
	v_lshlrev_b32_e32 v47, 16, v27
	v_and_b32_e32 v48, 0xffff0000, v27
	v_lshlrev_b32_e32 v49, 16, v28
	v_and_b32_e32 v44, 0xffff0000, v28
	v_lshlrev_b32_e32 v43, 16, v29
	v_and_b32_e32 v42, 0xffff0000, v29
	s_waitcnt lgkmcnt(1)
	v_lshlrev_b32_e32 v41, 16, v30
	v_and_b32_e32 v40, 0xffff0000, v30
	v_lshlrev_b32_e32 v39, 16, v31
	v_and_b32_e32 v26, 0xffff0000, v31
	v_lshlrev_b32_e32 v27, 16, v32
	v_and_b32_e32 v28, 0xffff0000, v32
	v_lshlrev_b32_e32 v29, 16, v33
	v_and_b32_e32 v30, 0xffff0000, v33
	;; [unrolled: 9-line block ×3, first 2 shown]
	s_waitcnt vmcnt(0)
	v_mad_i64_i32 v[3:4], s[4:5], v3, s43, 0
	v_lshlrev_b64 v[3:4], 1, v[3:4]
	v_add_co_u32_e64 v3, s[4:5], v8, v3
	v_addc_co_u32_e64 v4, s[4:5], v9, v4, s[4:5]
	global_load_ushort v38, v[3:4], off offset:128
	global_load_ushort v50, v[3:4], off
	v_cmp_lt_i32_e64 s[4:5], v19, v18
	s_waitcnt vmcnt(1)
	v_lshlrev_b32_e32 v38, 16, v38
	v_mul_f32_e32 v38, v46, v38
	global_load_ushort v46, v[3:4], off offset:256
	s_waitcnt vmcnt(1)
	v_lshlrev_b32_e32 v50, 16, v50
	v_fmac_f32_e32 v38, v45, v50
	global_load_ushort v45, v[3:4], off offset:384
	global_load_ushort v50, v[3:4], off offset:512
	s_waitcnt vmcnt(2)
	v_lshlrev_b32_e32 v46, 16, v46
	v_fmac_f32_e32 v38, v47, v46
	global_load_ushort v46, v[3:4], off offset:640
	;; [unrolled: 5-line block ×10, first 2 shown]
	global_load_ushort v50, v[3:4], off offset:2816
	s_nop 0
	global_load_ushort v3, v[3:4], off offset:2944
	v_cndmask_b32_e64 v4, v17, v19, s[4:5]
	v_lshlrev_b32_e32 v4, 2, v4
	v_cmp_lt_i32_e64 s[4:5], v20, v18
	s_waitcnt vmcnt(12)
	v_lshlrev_b32_e32 v44, 16, v44
	s_waitcnt vmcnt(11)
	v_lshlrev_b32_e32 v46, 16, v46
	v_fmac_f32_e32 v38, v26, v44
	s_waitcnt vmcnt(10)
	v_lshlrev_b32_e32 v43, 16, v43
	v_fmac_f32_e32 v38, v27, v46
	;; [unrolled: 3-line block ×11, first 2 shown]
	v_fmac_f32_e32 v38, v37, v50
	s_waitcnt vmcnt(0)
	v_lshlrev_b32_e32 v3, 16, v3
	v_fmac_f32_e32 v38, v22, v3
	ds_bpermute_b32 v3, v4, v38
	v_cndmask_b32_e64 v4, v17, v20, s[4:5]
	v_lshlrev_b32_e32 v4, 2, v4
	v_xor_b32_e32 v22, 1, v17
	v_cmp_lt_i32_e64 s[4:5], v22, v18
	s_waitcnt lgkmcnt(0)
	v_add_f32_e32 v3, v38, v3
	ds_bpermute_b32 v4, v4, v3
	v_cndmask_b32_e64 v22, v17, v22, s[4:5]
	v_lshlrev_b32_e32 v22, 2, v22
	s_waitcnt lgkmcnt(0)
	v_add_f32_e32 v3, v3, v4
	ds_bpermute_b32 v4, v22, v3
	s_and_saveexec_b64 s[38:39], vcc
	s_cbranch_execz .LBB115_12
; %bb.20:                               ;   in Loop: Header=BB115_14 Depth=1
	v_add_u32_e32 v22, v14, v13
	v_cvt_f32_i32_e32 v22, v22
	s_waitcnt lgkmcnt(0)
	v_add_f32_e32 v3, v3, v4
	v_add_u32_e32 v26, v7, v13
	v_cmp_gt_i32_e64 s[4:5], s33, v26
	v_mul_f32_e32 v4, s42, v22
	v_cndmask_b32_e64 v4, 0, v4, s[2:3]
	v_fmac_f32_e32 v4, s31, v3
	v_cndmask_b32_e64 v3, 0, v4, s[4:5]
	ds_write_b32 v15, v3
	v_max_f32_e32 v3, v10, v10
	v_max_f32_e32 v3, v3, v4
	v_cndmask_b32_e64 v10, v10, v3, s[4:5]
	s_branch .LBB115_12
.LBB115_21:
	s_or_b64 exec, exec, s[36:37]
.LBB115_22:
	s_or_b64 exec, exec, s[34:35]
	v_mbcnt_hi_u32_b32 v1, -1, v6
	v_and_b32_e32 v11, 64, v1
	v_add_u32_e32 v2, 64, v11
	v_xor_b32_e32 v3, 32, v1
	v_cmp_lt_i32_e32 vcc, v3, v2
	v_cndmask_b32_e32 v3, v1, v3, vcc
	s_waitcnt lgkmcnt(0)
	v_lshlrev_b32_e32 v4, 2, v3
	ds_bpermute_b32 v3, v4, v10
	v_xor_b32_e32 v7, 16, v1
	v_max_f32_e32 v6, v10, v10
	v_cmp_lt_i32_e32 vcc, v7, v2
	v_xor_b32_e32 v8, 8, v1
	s_waitcnt lgkmcnt(0)
	v_max_f32_e32 v3, v3, v3
	v_max_f32_e32 v3, v6, v3
	v_cndmask_b32_e32 v6, v1, v7, vcc
	v_lshlrev_b32_e32 v7, 2, v6
	ds_bpermute_b32 v6, v7, v3
	v_cmp_lt_i32_e32 vcc, v8, v2
	v_and_b32_e32 v26, 63, v0
	s_waitcnt lgkmcnt(0)
	v_max_f32_e32 v6, v6, v6
	v_max_f32_e32 v6, v3, v6
	v_cndmask_b32_e32 v3, v1, v8, vcc
	v_lshlrev_b32_e32 v9, 2, v3
	ds_bpermute_b32 v8, v9, v6
	v_cmp_eq_u32_e32 vcc, 0, v26
	v_lshlrev_b32_e32 v3, 2, v24
	s_and_saveexec_b64 s[2:3], vcc
	s_cbranch_execz .LBB115_24
; %bb.23:
	s_waitcnt lgkmcnt(0)
	v_max_f32_e32 v8, v8, v8
	v_max_f32_e32 v6, v6, v6
	;; [unrolled: 1-line block ×3, first 2 shown]
	ds_write_b32 v3, v6 offset:384
.LBB115_24:
	s_or_b64 exec, exec, s[2:3]
	v_cmp_gt_u32_e64 s[2:3], 2, v26
	v_mov_b32_e32 v10, 0xff7fffff
	v_lshlrev_b32_e32 v6, 2, v26
	s_waitcnt lgkmcnt(0)
	s_barrier
	s_and_saveexec_b64 s[4:5], s[2:3]
; %bb.25:
	ds_read_b32 v10, v6 offset:384
; %bb.26:
	s_or_b64 exec, exec, s[4:5]
	v_xor_b32_e32 v8, 1, v1
	v_cmp_lt_i32_e64 s[4:5], v8, v2
	v_cndmask_b32_e64 v8, v1, v8, s[4:5]
	v_lshlrev_b32_e32 v8, 2, v8
	s_waitcnt lgkmcnt(0)
	ds_bpermute_b32 v12, v8, v10
	v_max_f32_e32 v10, v10, v10
	v_lshlrev_b32_e32 v11, 2, v11
	s_lshl_b32 s4, s16, 3
	s_min_i32 s15, s4, s33
	s_waitcnt lgkmcnt(0)
	v_max_f32_e32 v12, v12, v12
	v_max_f32_e32 v10, v10, v12
	ds_bpermute_b32 v11, v11, v10
	v_cmp_gt_i32_e64 s[4:5], s15, v0
	v_mov_b32_e32 v10, 0
	s_and_saveexec_b64 s[30:31], s[4:5]
	s_cbranch_execz .LBB115_30
; %bb.27:
	v_mov_b32_e32 v10, 0x190
	v_lshl_add_u32 v12, v0, 2, v10
	v_mov_b32_e32 v10, 0
	s_mov_b64 s[34:35], 0
	v_mov_b32_e32 v13, v0
.LBB115_28:                             ; =>This Inner Loop Header: Depth=1
	ds_read_b32 v14, v12
	v_add_u32_e32 v13, 0x80, v13
	v_cmp_le_i32_e64 s[6:7], s15, v13
	s_or_b64 s[34:35], s[6:7], s[34:35]
	s_waitcnt lgkmcnt(0)
	v_sub_f32_e32 v14, v14, v11
	v_mul_f32_e32 v14, 0x3fb8aa3b, v14
	v_exp_f32_e32 v14, v14
	ds_write_b32 v12, v14
	v_add_f32_e32 v10, v10, v14
	v_add_u32_e32 v12, 0x200, v12
	s_andn2_b64 exec, exec, s[34:35]
	s_cbranch_execnz .LBB115_28
; %bb.29:
	s_or_b64 exec, exec, s[34:35]
.LBB115_30:
	s_or_b64 exec, exec, s[30:31]
	ds_bpermute_b32 v4, v4, v10
	s_waitcnt lgkmcnt(0)
	v_add_f32_e32 v4, v10, v4
	ds_bpermute_b32 v7, v7, v4
	s_waitcnt lgkmcnt(0)
	v_add_f32_e32 v4, v4, v7
	ds_bpermute_b32 v7, v9, v4
	v_xor_b32_e32 v9, 4, v1
	v_cmp_lt_i32_e64 s[6:7], v9, v2
	v_cndmask_b32_e64 v9, v1, v9, s[6:7]
	v_lshlrev_b32_e32 v9, 2, v9
	s_waitcnt lgkmcnt(0)
	v_add_f32_e32 v4, v4, v7
	ds_bpermute_b32 v7, v9, v4
	v_xor_b32_e32 v9, 2, v1
	v_cmp_lt_i32_e64 s[6:7], v9, v2
	v_cndmask_b32_e64 v2, v1, v9, s[6:7]
	v_lshlrev_b32_e32 v2, 2, v2
	s_waitcnt lgkmcnt(0)
	v_add_f32_e32 v4, v4, v7
	ds_bpermute_b32 v2, v2, v4
	s_waitcnt lgkmcnt(0)
	v_add_f32_e32 v2, v4, v2
	ds_bpermute_b32 v4, v8, v2
	s_waitcnt lgkmcnt(0)
	v_add_f32_e32 v2, v2, v4
	s_and_saveexec_b64 s[6:7], vcc
; %bb.31:
	ds_write_b32 v3, v2 offset:392
; %bb.32:
	s_or_b64 exec, exec, s[6:7]
	s_waitcnt lgkmcnt(0)
	s_barrier
	s_and_saveexec_b64 s[6:7], s[2:3]
; %bb.33:
	ds_read_b32 v2, v6 offset:392
; %bb.34:
	s_or_b64 exec, exec, s[6:7]
	s_waitcnt lgkmcnt(0)
	ds_bpermute_b32 v3, v8, v2
	v_lshlrev_b32_e32 v1, 2, v1
	v_and_b32_e32 v1, 0x100, v1
	s_waitcnt lgkmcnt(0)
	v_add_f32_e32 v2, v2, v3
	ds_bpermute_b32 v1, v1, v2
	s_and_saveexec_b64 s[2:3], s[4:5]
	s_cbranch_execz .LBB115_37
; %bb.35:
	s_waitcnt lgkmcnt(0)
	v_add_f32_e32 v2, 0x358637bd, v1
	v_div_scale_f32 v1, s[4:5], v2, v2, 1.0
	v_div_scale_f32 v3, vcc, 1.0, v2, 1.0
	s_mov_b64 s[4:5], 0
	v_rcp_f32_e32 v4, v1
	v_fma_f32 v6, -v1, v4, 1.0
	v_fmac_f32_e32 v4, v6, v4
	v_mul_f32_e32 v6, v3, v4
	v_fma_f32 v7, -v1, v6, v3
	v_fmac_f32_e32 v6, v7, v4
	v_fma_f32 v1, -v1, v6, v3
	v_div_fmas_f32 v3, v1, v4, v6
	v_mov_b32_e32 v1, 0x190
	v_lshl_add_u32 v1, v0, 2, v1
	v_div_fixup_f32 v2, v3, v2, 1.0
	v_mov_b32_e32 v3, v0
.LBB115_36:                             ; =>This Inner Loop Header: Depth=1
	ds_read_b32 v4, v1
	v_add_u32_e32 v3, 0x80, v3
	v_cmp_le_i32_e32 vcc, s15, v3
	s_or_b64 s[4:5], vcc, s[4:5]
	s_waitcnt lgkmcnt(0)
	v_mul_f32_e32 v4, v2, v4
	ds_write_b32 v1, v4
	v_add_u32_e32 v1, 0x200, v1
	s_andn2_b64 exec, exec, s[4:5]
	s_cbranch_execnz .LBB115_36
.LBB115_37:
	s_or_b64 exec, exec, s[2:3]
	v_mov_b32_e32 v29, 0
	v_mov_b32_e32 v28, 0
	;; [unrolled: 1-line block ×3, first 2 shown]
	s_waitcnt lgkmcnt(0)
	s_barrier
	s_and_saveexec_b64 s[4:5], s[0:1]
	s_cbranch_execz .LBB115_49
; %bb.38:
	s_ashr_i32 s15, s14, 31
	s_sub_i32 s17, s12, s17
	s_lshl_b64 s[0:1], s[14:15], 1
	s_add_u32 s2, s28, s0
	s_addc_u32 s3, s29, s1
	s_abs_i32 s18, s18
	v_cvt_f32_u32_e32 v1, s18
	s_sub_i32 s0, 0, s18
	v_lshlrev_b32_e32 v2, 4, v26
	s_add_i32 s30, s16, -1
	v_rcp_iflag_f32_e32 v1, v1
	v_and_b32_e32 v3, 60, v5
	v_mov_b32_e32 v5, s3
	v_add_co_u32_e32 v31, vcc, s2, v2
	v_mul_f32_e32 v1, 0x4f7ffffe, v1
	v_cvt_u32_f32_e32 v1, v1
	v_addc_co_u32_e32 v32, vcc, 0, v5, vcc
	s_mov_b32 s28, s13
	v_mul_lo_u32 v4, s0, v1
	s_lshl_b64 s[0:1], s[26:27], 2
	s_add_u32 s0, s24, s0
	s_addc_u32 s1, s25, s1
	v_mul_hi_u32 v4, v1, v4
	v_add_co_u32_e32 v21, vcc, s0, v3
	v_mov_b32_e32 v30, 0
	v_add_u32_e32 v33, v1, v4
	v_mov_b32_e32 v1, s1
	v_addc_co_u32_e32 v22, vcc, 0, v1, vcc
	v_mov_b32_e32 v1, 0x190
	s_mov_b32 s29, s33
	v_lshl_add_u32 v34, v24, 5, v1
	s_mov_b64 s[6:7], 0
	s_mov_b32 s24, 0x5040100
	s_movk_i32 s25, 0x7fff
	v_mov_b32_e32 v27, 0
	v_mov_b32_e32 v28, 0
	;; [unrolled: 1-line block ×3, first 2 shown]
	s_branch .LBB115_41
.LBB115_39:                             ;   in Loop: Header=BB115_41 Depth=1
	s_or_b64 exec, exec, s[2:3]
	s_waitcnt lgkmcnt(1)
	v_bfe_u32 v35, v17, 16, 1
	v_add3_u32 v35, v35, v17, s25
	v_or_b32_e32 v36, 0x400000, v17
	v_cmp_u_f32_e32 vcc, v17, v17
	v_cndmask_b32_e32 v17, v35, v36, vcc
	v_bfe_u32 v35, v18, 16, 1
	v_add3_u32 v35, v35, v18, s25
	v_or_b32_e32 v36, 0x400000, v18
	v_cmp_u_f32_e32 vcc, v18, v18
	v_cndmask_b32_e32 v18, v35, v36, vcc
	;; [unrolled: 5-line block ×4, first 2 shown]
	s_waitcnt lgkmcnt(0)
	v_bfe_u32 v35, v9, 16, 1
	v_add3_u32 v35, v35, v9, s25
	v_or_b32_e32 v36, 0x400000, v9
	v_cmp_u_f32_e32 vcc, v9, v9
	v_bfe_u32 v9, v10, 16, 1
	v_cndmask_b32_e32 v35, v35, v36, vcc
	v_add3_u32 v9, v9, v10, s25
	v_or_b32_e32 v36, 0x400000, v10
	v_cmp_u_f32_e32 vcc, v10, v10
	v_cndmask_b32_e32 v36, v9, v36, vcc
	v_bfe_u32 v9, v11, 16, 1
	v_add3_u32 v9, v9, v11, s25
	v_or_b32_e32 v10, 0x400000, v11
	v_cmp_u_f32_e32 vcc, v11, v11
	v_cndmask_b32_e32 v37, v9, v10, vcc
	v_bfe_u32 v9, v12, 16, 1
	v_add3_u32 v9, v9, v12, s25
	v_or_b32_e32 v10, 0x400000, v12
	v_cmp_u_f32_e32 vcc, v12, v12
	v_cndmask_b32_e32 v38, v9, v10, vcc
	v_and_b32_e32 v9, 0xffff0000, v18
	s_waitcnt vmcnt(1)
	v_and_b32_e32 v10, 0xffff0000, v13
	v_mul_f32_e32 v10, v9, v10
	v_bfe_u32 v11, v10, 16, 1
	v_add3_u32 v11, v11, v10, s25
	v_or_b32_e32 v12, 0x400000, v10
	v_cmp_u_f32_e32 vcc, v10, v10
	v_cndmask_b32_e32 v18, v11, v12, vcc
	v_and_b32_e32 v10, 0xffff0000, v17
	v_lshlrev_b32_e32 v11, 16, v13
	v_mul_f32_e32 v11, v10, v11
	v_bfe_u32 v12, v11, 16, 1
	v_add3_u32 v12, v12, v11, s25
	v_or_b32_e32 v13, 0x400000, v11
	v_cmp_u_f32_e32 vcc, v11, v11
	v_cndmask_b32_e32 v39, v12, v13, vcc
	v_and_b32_e32 v11, 0xffff0000, v20
	v_and_b32_e32 v12, 0xffff0000, v14
	v_mul_f32_e32 v12, v11, v12
	v_bfe_u32 v13, v12, 16, 1
	v_add3_u32 v13, v13, v12, s25
	v_or_b32_e32 v17, 0x400000, v12
	v_cmp_u_f32_e32 vcc, v12, v12
	v_cndmask_b32_e32 v20, v13, v17, vcc
	v_and_b32_e32 v12, 0xffff0000, v19
	v_lshlrev_b32_e32 v13, 16, v14
	v_mul_f32_e32 v13, v12, v13
	v_bfe_u32 v14, v13, 16, 1
	v_add3_u32 v14, v14, v13, s25
	v_or_b32_e32 v17, 0x400000, v13
	v_cmp_u_f32_e32 vcc, v13, v13
	v_cndmask_b32_e32 v19, v14, v17, vcc
	v_and_b32_e32 v13, 0xffff0000, v36
	v_and_b32_e32 v14, 0xffff0000, v15
	v_mul_f32_e32 v14, v13, v14
	v_bfe_u32 v17, v14, 16, 1
	v_add3_u32 v17, v17, v14, s25
	v_or_b32_e32 v36, 0x400000, v14
	v_cmp_u_f32_e32 vcc, v14, v14
	v_and_b32_e32 v14, 0xffff0000, v35
	v_lshlrev_b32_e32 v15, 16, v15
	v_mul_f32_e32 v15, v14, v15
	v_cndmask_b32_e32 v36, v17, v36, vcc
	v_bfe_u32 v17, v15, 16, 1
	v_add3_u32 v17, v17, v15, s25
	v_or_b32_e32 v35, 0x400000, v15
	v_cmp_u_f32_e32 vcc, v15, v15
	v_cndmask_b32_e32 v35, v17, v35, vcc
	v_and_b32_e32 v15, 0xffff0000, v38
	v_and_b32_e32 v17, 0xffff0000, v16
	v_mul_f32_e32 v17, v15, v17
	v_bfe_u32 v38, v17, 16, 1
	v_add3_u32 v38, v38, v17, s25
	v_or_b32_e32 v40, 0x400000, v17
	v_cmp_u_f32_e32 vcc, v17, v17
	v_and_b32_e32 v17, 0xffff0000, v37
	v_lshlrev_b32_e32 v16, 16, v16
	v_mul_f32_e32 v16, v17, v16
	v_bfe_u32 v37, v16, 16, 1
	v_cndmask_b32_e32 v38, v38, v40, vcc
	v_add3_u32 v37, v37, v16, s25
	v_or_b32_e32 v40, 0x400000, v16
	v_cmp_u_f32_e32 vcc, v16, v16
	v_cndmask_b32_e32 v16, v37, v40, vcc
	v_and_b32_e32 v37, 0xffff0000, v39
	v_and_b32_e32 v18, 0xffff0000, v18
	;; [unrolled: 1-line block ×4, first 2 shown]
	v_add_f32_e32 v18, v37, v18
	v_add_f32_e32 v19, v19, v20
	;; [unrolled: 1-line block ×3, first 2 shown]
	v_and_b32_e32 v19, 0xffff0000, v35
	v_and_b32_e32 v20, 0xffff0000, v36
	v_add_f32_e32 v19, v19, v20
	v_add_f32_e32 v18, v19, v18
	v_and_b32_e32 v16, 0xffff0000, v16
	v_and_b32_e32 v19, 0xffff0000, v38
	v_add_f32_e32 v16, v16, v19
	v_add_f32_e32 v16, v16, v18
	;; [unrolled: 1-line block ×3, first 2 shown]
	v_and_b32_e32 v16, 0xffff0000, v1
	v_mul_f32_e32 v16, v9, v16
	v_bfe_u32 v18, v16, 16, 1
	v_lshlrev_b32_e32 v1, 16, v1
	v_add3_u32 v18, v18, v16, s25
	v_or_b32_e32 v19, 0x400000, v16
	v_cmp_u_f32_e32 vcc, v16, v16
	v_mul_f32_e32 v1, v10, v1
	v_cndmask_b32_e32 v16, v18, v19, vcc
	v_bfe_u32 v18, v1, 16, 1
	v_add3_u32 v18, v18, v1, s25
	v_or_b32_e32 v19, 0x400000, v1
	v_cmp_u_f32_e32 vcc, v1, v1
	v_cndmask_b32_e32 v1, v18, v19, vcc
	v_and_b32_e32 v18, 0xffff0000, v2
	v_mul_f32_e32 v18, v11, v18
	v_bfe_u32 v19, v18, 16, 1
	v_lshlrev_b32_e32 v2, 16, v2
	v_add3_u32 v19, v19, v18, s25
	v_or_b32_e32 v20, 0x400000, v18
	v_cmp_u_f32_e32 vcc, v18, v18
	v_mul_f32_e32 v2, v12, v2
	v_cndmask_b32_e32 v18, v19, v20, vcc
	v_bfe_u32 v19, v2, 16, 1
	v_add3_u32 v19, v19, v2, s25
	v_or_b32_e32 v20, 0x400000, v2
	v_cmp_u_f32_e32 vcc, v2, v2
	v_cndmask_b32_e32 v2, v19, v20, vcc
	;; [unrolled: 14-line block ×3, first 2 shown]
	v_and_b32_e32 v20, 0xffff0000, v4
	v_mul_f32_e32 v20, v15, v20
	v_bfe_u32 v35, v20, 16, 1
	v_lshlrev_b32_e32 v4, 16, v4
	v_and_b32_e32 v1, 0xffff0000, v1
	v_and_b32_e32 v16, 0xffff0000, v16
	v_add3_u32 v35, v35, v20, s25
	v_or_b32_e32 v36, 0x400000, v20
	v_cmp_u_f32_e32 vcc, v20, v20
	v_mul_f32_e32 v4, v17, v4
	v_add_f32_e32 v1, v1, v16
	v_and_b32_e32 v2, 0xffff0000, v2
	v_and_b32_e32 v16, 0xffff0000, v18
	v_cndmask_b32_e32 v20, v35, v36, vcc
	v_bfe_u32 v35, v4, 16, 1
	v_add_f32_e32 v2, v2, v16
	v_add3_u32 v35, v35, v4, s25
	v_or_b32_e32 v36, 0x400000, v4
	v_cmp_u_f32_e32 vcc, v4, v4
	v_add_f32_e32 v1, v2, v1
	v_and_b32_e32 v2, 0xffff0000, v3
	v_and_b32_e32 v3, 0xffff0000, v19
	v_cndmask_b32_e32 v4, v35, v36, vcc
	v_add_f32_e32 v2, v2, v3
	v_add_f32_e32 v1, v2, v1
	v_and_b32_e32 v2, 0xffff0000, v4
	v_and_b32_e32 v3, 0xffff0000, v20
	v_add_f32_e32 v2, v2, v3
	v_add_f32_e32 v1, v2, v1
	v_add_f32_e32 v29, v29, v1
	s_waitcnt vmcnt(0)
	v_and_b32_e32 v1, 0xffff0000, v5
	v_mul_f32_e32 v1, v9, v1
	v_bfe_u32 v2, v1, 16, 1
	v_add3_u32 v2, v2, v1, s25
	v_or_b32_e32 v3, 0x400000, v1
	v_cmp_u_f32_e32 vcc, v1, v1
	v_cndmask_b32_e32 v1, v2, v3, vcc
	v_lshlrev_b32_e32 v2, 16, v5
	v_mul_f32_e32 v2, v10, v2
	v_bfe_u32 v3, v2, 16, 1
	v_add3_u32 v3, v3, v2, s25
	v_or_b32_e32 v4, 0x400000, v2
	v_cmp_u_f32_e32 vcc, v2, v2
	v_cndmask_b32_e32 v2, v3, v4, vcc
	v_and_b32_e32 v3, 0xffff0000, v6
	v_mul_f32_e32 v3, v11, v3
	v_bfe_u32 v4, v3, 16, 1
	v_add3_u32 v4, v4, v3, s25
	v_or_b32_e32 v5, 0x400000, v3
	v_cmp_u_f32_e32 vcc, v3, v3
	v_cndmask_b32_e32 v3, v4, v5, vcc
	v_lshlrev_b32_e32 v4, 16, v6
	v_mul_f32_e32 v4, v12, v4
	v_bfe_u32 v5, v4, 16, 1
	v_add3_u32 v5, v5, v4, s25
	v_or_b32_e32 v6, 0x400000, v4
	v_cmp_u_f32_e32 vcc, v4, v4
	v_cndmask_b32_e32 v4, v5, v6, vcc
	;; [unrolled: 14-line block ×3, first 2 shown]
	v_and_b32_e32 v7, 0xffff0000, v8
	v_mul_f32_e32 v7, v15, v7
	v_bfe_u32 v9, v7, 16, 1
	v_lshlrev_b32_e32 v8, 16, v8
	v_and_b32_e32 v2, 0xffff0000, v2
	v_and_b32_e32 v1, 0xffff0000, v1
	v_add3_u32 v9, v9, v7, s25
	v_or_b32_e32 v10, 0x400000, v7
	v_cmp_u_f32_e32 vcc, v7, v7
	v_mul_f32_e32 v8, v17, v8
	v_add_f32_e32 v1, v2, v1
	v_and_b32_e32 v2, 0xffff0000, v4
	v_and_b32_e32 v3, 0xffff0000, v3
	v_cndmask_b32_e32 v7, v9, v10, vcc
	v_bfe_u32 v9, v8, 16, 1
	v_add_f32_e32 v2, v2, v3
	v_add3_u32 v9, v9, v8, s25
	v_or_b32_e32 v10, 0x400000, v8
	v_cmp_u_f32_e32 vcc, v8, v8
	v_add_f32_e32 v1, v2, v1
	v_and_b32_e32 v2, 0xffff0000, v6
	v_and_b32_e32 v3, 0xffff0000, v5
	v_cndmask_b32_e32 v8, v9, v10, vcc
	v_add_f32_e32 v2, v2, v3
	v_add_f32_e32 v1, v2, v1
	v_and_b32_e32 v2, 0xffff0000, v8
	v_and_b32_e32 v3, 0xffff0000, v7
	v_add_f32_e32 v2, v2, v3
	v_add_f32_e32 v1, v2, v1
	;; [unrolled: 1-line block ×3, first 2 shown]
.LBB115_40:                             ;   in Loop: Header=BB115_41 Depth=1
	s_or_b64 exec, exec, s[12:13]
	v_add_co_u32_e32 v21, vcc, 8, v21
	v_add_u32_e32 v24, 2, v24
	v_addc_co_u32_e32 v22, vcc, 0, v22, vcc
	v_cmp_le_i32_e32 vcc, s16, v24
	v_add_u32_e32 v25, 16, v25
	s_or_b64 s[6:7], vcc, s[6:7]
	v_add_u32_e32 v34, 64, v34
	s_andn2_b64 exec, exec, s[6:7]
	s_cbranch_execz .LBB115_48
.LBB115_41:                             ; =>This Inner Loop Header: Depth=1
	v_mul_hi_u32 v1, v25, s40
	v_mul_lo_u32 v2, v1, s21
	v_add_u32_e32 v3, 1, v1
	v_sub_u32_e32 v2, v25, v2
	v_cmp_le_u32_e32 vcc, s21, v2
	v_cndmask_b32_e32 v1, v1, v3, vcc
	v_subrev_u32_e32 v3, s21, v2
	v_cndmask_b32_e32 v2, v2, v3, vcc
	v_add_u32_e32 v3, 1, v1
	v_cmp_le_u32_e32 vcc, s21, v2
	v_cndmask_b32_e32 v1, v1, v3, vcc
	v_xor_b32_e32 v1, s19, v1
	v_subrev_u32_e32 v1, s19, v1
	v_add_u32_e32 v2, s41, v1
	v_sub_u32_e32 v3, 0, v2
	v_max_i32_e32 v3, v2, v3
	v_mul_hi_u32 v4, v3, v33
	v_ashrrev_i32_e32 v2, 31, v2
	v_cmp_lt_i32_e64 s[0:1], s17, v1
	v_mul_lo_u32 v4, v4, s18
	v_sub_u32_e32 v3, v3, v4
	v_subrev_u32_e32 v4, s18, v3
	v_cmp_le_u32_e32 vcc, s18, v3
	v_cndmask_b32_e32 v3, v3, v4, vcc
	v_subrev_u32_e32 v4, s18, v3
	v_cmp_le_u32_e32 vcc, s18, v3
	v_cndmask_b32_e32 v3, v3, v4, vcc
	v_xor_b32_e32 v3, v3, v2
	v_sub_u32_e32 v2, v3, v2
	v_cmp_eq_u32_e32 vcc, 0, v2
	s_or_b64 s[0:1], vcc, s[0:1]
	s_and_saveexec_b64 s[12:13], s[0:1]
	s_cbranch_execz .LBB115_40
; %bb.42:                               ;   in Loop: Header=BB115_41 Depth=1
	global_load_dword v1, v[21:22], off
	v_add_u32_e32 v41, 1, v25
	v_or_b32_e32 v39, 3, v25
	v_or_b32_e32 v40, 2, v25
	;; [unrolled: 1-line block ×6, first 2 shown]
	s_waitcnt vmcnt(0)
	v_mad_i64_i32 v[1:2], s[0:1], v1, s28, 0
	v_cmp_eq_u32_e64 s[0:1], s30, v24
	v_lshlrev_b64 v[1:2], 1, v[1:2]
	v_add_co_u32_e32 v5, vcc, v31, v1
	v_addc_co_u32_e32 v6, vcc, v32, v2, vcc
	global_load_dwordx4 v[1:4], v[5:6], off
	ds_read2_b64 v[17:20], v34 offset1:1
	ds_read2_b64 v[9:12], v34 offset0:2 offset1:3
	s_and_saveexec_b64 s[14:15], s[0:1]
	s_cbranch_execnz .LBB115_45
; %bb.43:                               ;   in Loop: Header=BB115_41 Depth=1
	s_or_b64 exec, exec, s[14:15]
	global_load_dwordx4 v[13:16], v[5:6], off offset:1024
	s_and_saveexec_b64 s[14:15], s[0:1]
	s_cbranch_execnz .LBB115_46
.LBB115_44:                             ;   in Loop: Header=BB115_41 Depth=1
	s_or_b64 exec, exec, s[14:15]
	global_load_dwordx4 v[5:8], v[5:6], off offset:2048
	s_and_saveexec_b64 s[2:3], s[0:1]
	s_cbranch_execz .LBB115_39
	s_branch .LBB115_47
.LBB115_45:                             ;   in Loop: Header=BB115_41 Depth=1
	v_cmp_gt_i32_e32 vcc, s29, v41
	s_waitcnt vmcnt(0)
	v_cndmask_b32_sdwa v7, v30, v1, vcc dst_sel:DWORD dst_unused:UNUSED_PAD src0_sel:DWORD src1_sel:WORD_1
	v_cmp_gt_i32_e32 vcc, s33, v25
	v_cndmask_b32_e32 v1, 0, v1, vcc
	v_cmp_gt_i32_e32 vcc, s29, v39
	v_cmp_gt_i32_e64 s[2:3], s33, v40
	v_perm_b32 v1, v7, v1, s24
	v_cndmask_b32_e64 v7, 0, v2, s[2:3]
	v_cndmask_b32_sdwa v2, v30, v2, vcc dst_sel:DWORD dst_unused:UNUSED_PAD src0_sel:DWORD src1_sel:WORD_1
	v_cmp_gt_i32_e32 vcc, s29, v37
	v_cmp_gt_i32_e64 s[2:3], s33, v38
	v_perm_b32 v2, v2, v7, s24
	v_cndmask_b32_e64 v7, 0, v3, s[2:3]
	v_cndmask_b32_sdwa v3, v30, v3, vcc dst_sel:DWORD dst_unused:UNUSED_PAD src0_sel:DWORD src1_sel:WORD_1
	;; [unrolled: 5-line block ×3, first 2 shown]
	v_perm_b32 v4, v4, v7, s24
	s_or_b64 exec, exec, s[14:15]
	global_load_dwordx4 v[13:16], v[5:6], off offset:1024
	s_and_saveexec_b64 s[14:15], s[0:1]
	s_cbranch_execz .LBB115_44
.LBB115_46:                             ;   in Loop: Header=BB115_41 Depth=1
	v_cmp_gt_i32_e32 vcc, s29, v41
	s_waitcnt vmcnt(0)
	v_cndmask_b32_sdwa v7, v30, v13, vcc dst_sel:DWORD dst_unused:UNUSED_PAD src0_sel:DWORD src1_sel:WORD_1
	v_cmp_gt_i32_e32 vcc, s33, v25
	v_cndmask_b32_e32 v8, 0, v13, vcc
	v_cmp_gt_i32_e32 vcc, s29, v39
	v_cmp_gt_i32_e64 s[2:3], s33, v40
	v_perm_b32 v13, v7, v8, s24
	v_cndmask_b32_e64 v7, 0, v14, s[2:3]
	v_cndmask_b32_sdwa v8, v30, v14, vcc dst_sel:DWORD dst_unused:UNUSED_PAD src0_sel:DWORD src1_sel:WORD_1
	v_cmp_gt_i32_e32 vcc, s29, v37
	v_cmp_gt_i32_e64 s[2:3], s33, v38
	v_perm_b32 v14, v8, v7, s24
	v_cndmask_b32_e64 v7, 0, v15, s[2:3]
	v_cndmask_b32_sdwa v8, v30, v15, vcc dst_sel:DWORD dst_unused:UNUSED_PAD src0_sel:DWORD src1_sel:WORD_1
	;; [unrolled: 5-line block ×3, first 2 shown]
	v_perm_b32 v16, v8, v7, s24
	s_or_b64 exec, exec, s[14:15]
	global_load_dwordx4 v[5:8], v[5:6], off offset:2048
	s_and_saveexec_b64 s[2:3], s[0:1]
	s_cbranch_execz .LBB115_39
.LBB115_47:                             ;   in Loop: Header=BB115_41 Depth=1
	v_cmp_gt_i32_e32 vcc, s29, v41
	s_waitcnt vmcnt(0)
	v_cndmask_b32_sdwa v41, v30, v5, vcc dst_sel:DWORD dst_unused:UNUSED_PAD src0_sel:DWORD src1_sel:WORD_1
	v_cmp_gt_i32_e32 vcc, s33, v25
	v_cndmask_b32_e32 v5, 0, v5, vcc
	v_cmp_gt_i32_e32 vcc, s29, v39
	v_cmp_gt_i32_e64 s[0:1], s33, v40
	v_cndmask_b32_e64 v39, 0, v6, s[0:1]
	v_cndmask_b32_sdwa v6, v30, v6, vcc dst_sel:DWORD dst_unused:UNUSED_PAD src0_sel:DWORD src1_sel:WORD_1
	v_cmp_gt_i32_e32 vcc, s29, v37
	v_cmp_gt_i32_e64 s[0:1], s33, v38
	v_cndmask_b32_e64 v37, 0, v7, s[0:1]
	v_cndmask_b32_sdwa v7, v30, v7, vcc dst_sel:DWORD dst_unused:UNUSED_PAD src0_sel:DWORD src1_sel:WORD_1
	;; [unrolled: 4-line block ×3, first 2 shown]
	v_perm_b32 v5, v41, v5, s24
	v_perm_b32 v6, v6, v39, s24
	;; [unrolled: 1-line block ×4, first 2 shown]
	s_branch .LBB115_39
.LBB115_48:
	s_or_b64 exec, exec, s[6:7]
.LBB115_49:
	s_or_b64 exec, exec, s[4:5]
	v_and_b32_e32 v1, 0x3c0, v0
	v_cmp_eq_u32_e32 vcc, 64, v1
	s_barrier
	s_and_saveexec_b64 s[0:1], vcc
	s_cbranch_execz .LBB115_51
; %bb.50:
	v_mov_b32_e32 v1, 0x190
	v_lshl_add_u32 v1, v26, 2, v1
	ds_write2st64_b32 v1, v29, v28 offset1:1
	ds_write_b32 v1, v27 offset:512
.LBB115_51:
	s_or_b64 exec, exec, s[0:1]
	v_cmp_gt_u32_e32 vcc, 64, v0
	s_waitcnt lgkmcnt(0)
	s_barrier
	s_and_saveexec_b64 s[0:1], vcc
	s_cbranch_execz .LBB115_53
; %bb.52:
	v_mov_b32_e32 v1, 0x190
	v_lshl_add_u32 v2, v0, 2, v1
	ds_read2st64_b32 v[0:1], v2 offset1:1
	ds_read_b32 v2, v2 offset:512
	s_waitcnt lgkmcnt(1)
	v_add_f32_e32 v29, v29, v0
	v_add_f32_e32 v28, v28, v1
	s_waitcnt lgkmcnt(0)
	v_add_f32_e32 v27, v27, v2
.LBB115_53:
	s_or_b64 exec, exec, s[0:1]
	s_barrier
	s_and_saveexec_b64 s[0:1], vcc
	s_cbranch_execz .LBB115_55
; %bb.54:
	s_mul_i32 s0, s10, s11
	s_mul_i32 s0, s0, s9
	s_mulk_i32 s0, 0xc0
	s_ashr_i32 s1, s0, 31
	s_lshl_b64 s[0:1], s[0:1], 1
	s_add_u32 s2, s22, s0
	s_mul_i32 s0, s11, s20
	s_addc_u32 s3, s23, s1
	s_ashr_i32 s1, s0, 31
	s_lshl_b64 s[0:1], s[0:1], 1
	s_add_u32 s2, s2, s0
	s_mul_i32 s0, s8, 0xc0
	s_addc_u32 s3, s3, s1
	s_ashr_i32 s1, s0, 31
	s_lshl_b64 s[0:1], s[0:1], 1
	s_add_u32 s0, s2, s0
	v_bfe_u32 v0, v29, 16, 1
	s_movk_i32 s2, 0x7fff
	v_add3_u32 v0, v0, v29, s2
	v_or_b32_e32 v1, 0x400000, v29
	v_cmp_u_f32_e32 vcc, v29, v29
	s_addc_u32 s1, s3, s1
	v_cndmask_b32_e32 v0, v0, v1, vcc
	global_store_short_d16_hi v23, v0, s[0:1]
	v_bfe_u32 v0, v28, 16, 1
	v_add3_u32 v0, v0, v28, s2
	v_or_b32_e32 v1, 0x400000, v28
	v_cmp_u_f32_e32 vcc, v28, v28
	v_cndmask_b32_e32 v0, v0, v1, vcc
	global_store_short_d16_hi v23, v0, s[0:1] offset:128
	v_bfe_u32 v0, v27, 16, 1
	v_add3_u32 v0, v0, v27, s2
	v_or_b32_e32 v1, 0x400000, v27
	v_cmp_u_f32_e32 vcc, v27, v27
	v_cndmask_b32_e32 v0, v0, v1, vcc
	global_store_short_d16_hi v23, v0, s[0:1] offset:256
.LBB115_55:
	s_endpgm
	.section	.rodata,"a",@progbits
	.p2align	6, 0x0
	.amdhsa_kernel _ZN4vllm25paged_attention_v1_kernelI14__hip_bfloat16S1_Li192ELi8ELi128ELNS_18Fp8KVCacheDataTypeE0ELb1EEEvPT_PKS3_PKT0_S9_ifPKiSB_iPKfiiiSD_SD_iiiii
		.amdhsa_group_segment_fixed_size 400
		.amdhsa_private_segment_fixed_size 0
		.amdhsa_kernarg_size 384
		.amdhsa_user_sgpr_count 6
		.amdhsa_user_sgpr_private_segment_buffer 1
		.amdhsa_user_sgpr_dispatch_ptr 0
		.amdhsa_user_sgpr_queue_ptr 0
		.amdhsa_user_sgpr_kernarg_segment_ptr 1
		.amdhsa_user_sgpr_dispatch_id 0
		.amdhsa_user_sgpr_flat_scratch_init 0
		.amdhsa_user_sgpr_private_segment_size 0
		.amdhsa_uses_dynamic_stack 0
		.amdhsa_system_sgpr_private_segment_wavefront_offset 0
		.amdhsa_system_sgpr_workgroup_id_x 1
		.amdhsa_system_sgpr_workgroup_id_y 1
		.amdhsa_system_sgpr_workgroup_id_z 1
		.amdhsa_system_sgpr_workgroup_info 0
		.amdhsa_system_vgpr_workitem_id 0
		.amdhsa_next_free_vgpr 51
		.amdhsa_next_free_sgpr 44
		.amdhsa_reserve_vcc 1
		.amdhsa_reserve_flat_scratch 0
		.amdhsa_float_round_mode_32 0
		.amdhsa_float_round_mode_16_64 0
		.amdhsa_float_denorm_mode_32 3
		.amdhsa_float_denorm_mode_16_64 3
		.amdhsa_dx10_clamp 1
		.amdhsa_ieee_mode 1
		.amdhsa_fp16_overflow 0
		.amdhsa_exception_fp_ieee_invalid_op 0
		.amdhsa_exception_fp_denorm_src 0
		.amdhsa_exception_fp_ieee_div_zero 0
		.amdhsa_exception_fp_ieee_overflow 0
		.amdhsa_exception_fp_ieee_underflow 0
		.amdhsa_exception_fp_ieee_inexact 0
		.amdhsa_exception_int_div_zero 0
	.end_amdhsa_kernel
	.section	.text._ZN4vllm25paged_attention_v1_kernelI14__hip_bfloat16S1_Li192ELi8ELi128ELNS_18Fp8KVCacheDataTypeE0ELb1EEEvPT_PKS3_PKT0_S9_ifPKiSB_iPKfiiiSD_SD_iiiii,"axG",@progbits,_ZN4vllm25paged_attention_v1_kernelI14__hip_bfloat16S1_Li192ELi8ELi128ELNS_18Fp8KVCacheDataTypeE0ELb1EEEvPT_PKS3_PKT0_S9_ifPKiSB_iPKfiiiSD_SD_iiiii,comdat
.Lfunc_end115:
	.size	_ZN4vllm25paged_attention_v1_kernelI14__hip_bfloat16S1_Li192ELi8ELi128ELNS_18Fp8KVCacheDataTypeE0ELb1EEEvPT_PKS3_PKT0_S9_ifPKiSB_iPKfiiiSD_SD_iiiii, .Lfunc_end115-_ZN4vllm25paged_attention_v1_kernelI14__hip_bfloat16S1_Li192ELi8ELi128ELNS_18Fp8KVCacheDataTypeE0ELb1EEEvPT_PKS3_PKT0_S9_ifPKiSB_iPKfiiiSD_SD_iiiii
                                        ; -- End function
	.set _ZN4vllm25paged_attention_v1_kernelI14__hip_bfloat16S1_Li192ELi8ELi128ELNS_18Fp8KVCacheDataTypeE0ELb1EEEvPT_PKS3_PKT0_S9_ifPKiSB_iPKfiiiSD_SD_iiiii.num_vgpr, 51
	.set _ZN4vllm25paged_attention_v1_kernelI14__hip_bfloat16S1_Li192ELi8ELi128ELNS_18Fp8KVCacheDataTypeE0ELb1EEEvPT_PKS3_PKT0_S9_ifPKiSB_iPKfiiiSD_SD_iiiii.num_agpr, 0
	.set _ZN4vllm25paged_attention_v1_kernelI14__hip_bfloat16S1_Li192ELi8ELi128ELNS_18Fp8KVCacheDataTypeE0ELb1EEEvPT_PKS3_PKT0_S9_ifPKiSB_iPKfiiiSD_SD_iiiii.numbered_sgpr, 44
	.set _ZN4vllm25paged_attention_v1_kernelI14__hip_bfloat16S1_Li192ELi8ELi128ELNS_18Fp8KVCacheDataTypeE0ELb1EEEvPT_PKS3_PKT0_S9_ifPKiSB_iPKfiiiSD_SD_iiiii.num_named_barrier, 0
	.set _ZN4vllm25paged_attention_v1_kernelI14__hip_bfloat16S1_Li192ELi8ELi128ELNS_18Fp8KVCacheDataTypeE0ELb1EEEvPT_PKS3_PKT0_S9_ifPKiSB_iPKfiiiSD_SD_iiiii.private_seg_size, 0
	.set _ZN4vllm25paged_attention_v1_kernelI14__hip_bfloat16S1_Li192ELi8ELi128ELNS_18Fp8KVCacheDataTypeE0ELb1EEEvPT_PKS3_PKT0_S9_ifPKiSB_iPKfiiiSD_SD_iiiii.uses_vcc, 1
	.set _ZN4vllm25paged_attention_v1_kernelI14__hip_bfloat16S1_Li192ELi8ELi128ELNS_18Fp8KVCacheDataTypeE0ELb1EEEvPT_PKS3_PKT0_S9_ifPKiSB_iPKfiiiSD_SD_iiiii.uses_flat_scratch, 0
	.set _ZN4vllm25paged_attention_v1_kernelI14__hip_bfloat16S1_Li192ELi8ELi128ELNS_18Fp8KVCacheDataTypeE0ELb1EEEvPT_PKS3_PKT0_S9_ifPKiSB_iPKfiiiSD_SD_iiiii.has_dyn_sized_stack, 0
	.set _ZN4vllm25paged_attention_v1_kernelI14__hip_bfloat16S1_Li192ELi8ELi128ELNS_18Fp8KVCacheDataTypeE0ELb1EEEvPT_PKS3_PKT0_S9_ifPKiSB_iPKfiiiSD_SD_iiiii.has_recursion, 0
	.set _ZN4vllm25paged_attention_v1_kernelI14__hip_bfloat16S1_Li192ELi8ELi128ELNS_18Fp8KVCacheDataTypeE0ELb1EEEvPT_PKS3_PKT0_S9_ifPKiSB_iPKfiiiSD_SD_iiiii.has_indirect_call, 0
	.section	.AMDGPU.csdata,"",@progbits
; Kernel info:
; codeLenInByte = 6100
; TotalNumSgprs: 48
; NumVgprs: 51
; ScratchSize: 0
; MemoryBound: 0
; FloatMode: 240
; IeeeMode: 1
; LDSByteSize: 400 bytes/workgroup (compile time only)
; SGPRBlocks: 5
; VGPRBlocks: 12
; NumSGPRsForWavesPerEU: 48
; NumVGPRsForWavesPerEU: 51
; Occupancy: 4
; WaveLimiterHint : 1
; COMPUTE_PGM_RSRC2:SCRATCH_EN: 0
; COMPUTE_PGM_RSRC2:USER_SGPR: 6
; COMPUTE_PGM_RSRC2:TRAP_HANDLER: 0
; COMPUTE_PGM_RSRC2:TGID_X_EN: 1
; COMPUTE_PGM_RSRC2:TGID_Y_EN: 1
; COMPUTE_PGM_RSRC2:TGID_Z_EN: 1
; COMPUTE_PGM_RSRC2:TIDIG_COMP_CNT: 0
	.section	.text._ZN4vllm25paged_attention_v1_kernelI14__hip_bfloat16S1_Li256ELi8ELi128ELNS_18Fp8KVCacheDataTypeE0ELb1EEEvPT_PKS3_PKT0_S9_ifPKiSB_iPKfiiiSD_SD_iiiii,"axG",@progbits,_ZN4vllm25paged_attention_v1_kernelI14__hip_bfloat16S1_Li256ELi8ELi128ELNS_18Fp8KVCacheDataTypeE0ELb1EEEvPT_PKS3_PKT0_S9_ifPKiSB_iPKfiiiSD_SD_iiiii,comdat
	.protected	_ZN4vllm25paged_attention_v1_kernelI14__hip_bfloat16S1_Li256ELi8ELi128ELNS_18Fp8KVCacheDataTypeE0ELb1EEEvPT_PKS3_PKT0_S9_ifPKiSB_iPKfiiiSD_SD_iiiii ; -- Begin function _ZN4vllm25paged_attention_v1_kernelI14__hip_bfloat16S1_Li256ELi8ELi128ELNS_18Fp8KVCacheDataTypeE0ELb1EEEvPT_PKS3_PKT0_S9_ifPKiSB_iPKfiiiSD_SD_iiiii
	.globl	_ZN4vllm25paged_attention_v1_kernelI14__hip_bfloat16S1_Li256ELi8ELi128ELNS_18Fp8KVCacheDataTypeE0ELb1EEEvPT_PKS3_PKT0_S9_ifPKiSB_iPKfiiiSD_SD_iiiii
	.p2align	8
	.type	_ZN4vllm25paged_attention_v1_kernelI14__hip_bfloat16S1_Li256ELi8ELi128ELNS_18Fp8KVCacheDataTypeE0ELb1EEEvPT_PKS3_PKT0_S9_ifPKiSB_iPKfiiiSD_SD_iiiii,@function
_ZN4vllm25paged_attention_v1_kernelI14__hip_bfloat16S1_Li256ELi8ELi128ELNS_18Fp8KVCacheDataTypeE0ELb1EEEvPT_PKS3_PKT0_S9_ifPKiSB_iPKfiiiSD_SD_iiiii: ; @_ZN4vllm25paged_attention_v1_kernelI14__hip_bfloat16S1_Li256ELi8ELi128ELNS_18Fp8KVCacheDataTypeE0ELb1EEEvPT_PKS3_PKT0_S9_ifPKiSB_iPKfiiiSD_SD_iiiii
; %bb.0:
	s_load_dword s9, s[4:5], 0x80
	s_load_dwordx2 s[0:1], s[4:5], 0x30
	s_load_dwordx2 s[30:31], s[4:5], 0x20
	s_mov_b32 s10, s7
	s_ashr_i32 s11, s7, 31
	s_lshl_b64 s[2:3], s[10:11], 2
	s_waitcnt lgkmcnt(0)
	s_add_u32 s0, s0, s2
	s_addc_u32 s1, s1, s3
	s_abs_i32 s2, s30
	v_cvt_f32_u32_e32 v1, s2
	s_sub_i32 s11, 0, s2
	s_abs_i32 s7, s9
	s_xor_b32 s3, s9, s30
	v_rcp_iflag_f32_e32 v1, v1
	s_ashr_i32 s3, s3, 31
	s_mov_b32 s42, 0
	v_mul_f32_e32 v1, 0x4f7ffffe, v1
	v_cvt_u32_f32_e32 v1, v1
	v_readfirstlane_b32 s12, v1
	s_mul_i32 s11, s11, s12
	s_mul_hi_u32 s11, s12, s11
	s_add_i32 s12, s12, s11
	s_mul_hi_u32 s11, s7, s12
	s_mul_i32 s12, s11, s2
	s_sub_i32 s7, s7, s12
	s_add_i32 s12, s11, 1
	s_sub_i32 s13, s7, s2
	s_cmp_ge_u32 s7, s2
	s_cselect_b32 s11, s12, s11
	s_cselect_b32 s7, s13, s7
	s_add_i32 s12, s11, 1
	s_cmp_ge_u32 s7, s2
	s_cselect_b32 s2, s12, s11
	s_xor_b32 s2, s2, s3
	s_sub_i32 s11, s2, s3
	s_abs_i32 s22, s11
	v_cvt_f32_u32_e32 v1, s22
	s_load_dwordx2 s[2:3], s[4:5], 0x40
	s_sub_i32 s7, 0, s22
	s_abs_i32 s23, s6
	v_rcp_iflag_f32_e32 v1, v1
	v_mul_f32_e32 v1, 0x4f7ffffe, v1
	v_cvt_u32_f32_e32 v1, v1
	v_readfirstlane_b32 s12, v1
	s_mul_i32 s7, s7, s12
	s_mul_hi_u32 s7, s12, s7
	s_add_i32 s12, s12, s7
	s_waitcnt lgkmcnt(0)
	s_cmp_eq_u64 s[2:3], 0
	s_mul_hi_u32 s24, s23, s12
	s_cbranch_scc1 .LBB116_2
; %bb.1:
	s_ashr_i32 s7, s6, 31
	s_lshl_b64 s[12:13], s[6:7], 2
	s_add_u32 s2, s2, s12
	s_addc_u32 s3, s3, s13
	s_load_dword s42, s[2:3], 0x0
.LBB116_2:
	s_load_dword s33, s[0:1], 0x0
	s_ashr_i32 s25, s11, 31
	s_load_dword s11, s[4:5], 0x88
	s_load_dwordx4 s[12:15], s[4:5], 0x48
	s_movk_i32 s0, 0x100
	s_ashr_i32 s7, s6, 31
	v_and_b32_e32 v1, 7, v0
	s_lshl_b32 s20, s6, 8
	v_cmp_gt_u32_e32 vcc, s0, v0
	v_lshlrev_b32_e32 v27, 1, v0
	s_and_saveexec_b64 s[0:1], vcc
	s_cbranch_execz .LBB116_5
; %bb.3:
	s_load_dwordx2 s[2:3], s[4:5], 0x8
	s_waitcnt lgkmcnt(0)
	s_mul_i32 s16, s12, s10
	s_ashr_i32 s17, s16, 31
	s_lshl_b64 s[16:17], s[16:17], 1
	v_lshrrev_b32_e32 v3, 3, v0
	s_add_u32 s12, s2, s16
	s_addc_u32 s15, s3, s17
	s_ashr_i32 s21, s20, 31
	s_lshl_b64 s[2:3], s[20:21], 1
	s_add_u32 s2, s12, s2
	s_addc_u32 s3, s15, s3
	global_load_ushort v4, v27, s[2:3]
	s_movk_i32 s12, 0x80
	v_lshlrev_b32_e32 v2, 1, v3
	v_lshl_add_u32 v2, v1, 6, v2
	v_cmp_gt_u32_e32 vcc, s12, v0
	s_waitcnt vmcnt(0)
	ds_write_b16 v2, v4
	s_and_b64 exec, exec, vcc
	s_cbranch_execz .LBB116_5
; %bb.4:
	v_lshlrev_b32_e32 v3, 4, v3
	v_lshlrev_b32_e32 v4, 1, v1
	s_movk_i32 s12, 0x100
	v_or3_b32 v3, v3, v4, s12
	global_load_ushort v3, v3, s[2:3]
	s_waitcnt vmcnt(0)
	ds_write_b16 v2, v3 offset:32
.LBB116_5:
	s_or_b64 exec, exec, s[0:1]
	s_mul_i32 s1, s24, s22
	s_sub_i32 s1, s23, s1
	s_xor_b32 s0, s7, s25
	s_add_i32 s2, s24, 1
	s_sub_i32 s7, s1, s22
	s_load_dwordx4 s[16:19], s[4:5], 0x68
	s_load_dword s3, s[4:5], 0x78
	s_cmp_ge_u32 s1, s22
	s_cselect_b32 s2, s2, s24
	s_cselect_b32 s1, s7, s1
	s_add_i32 s7, s2, 1
	s_cmp_ge_u32 s1, s22
	s_cselect_b32 s1, s7, s2
	s_waitcnt lgkmcnt(0)
	s_abs_i32 s21, s19
	v_cvt_f32_u32_e32 v2, s21
	s_xor_b32 s1, s1, s0
	s_sub_i32 s2, s1, s0
	s_sub_i32 s0, 0, s21
	v_rcp_iflag_f32_e32 v2, v2
	s_add_i32 s15, s33, -1
	s_abs_i32 s7, s15
	v_mul_f32_e32 v2, 0x4f7ffffe, v2
	v_cvt_u32_f32_e32 v2, v2
	s_barrier
	v_readfirstlane_b32 s40, v2
	s_mul_i32 s0, s0, s40
	s_mul_hi_u32 s0, s40, s0
	s_add_i32 s40, s40, s0
	s_cmp_lt_i32 s3, 0
	s_mul_hi_u32 s12, s7, s40
	s_cbranch_scc0 .LBB116_7
; %bb.6:
	s_mul_i32 s0, s16, s30
	s_add_i32 s0, s2, s0
	s_mul_i32 s0, s0, s3
	s_sub_i32 s41, 1, s0
	s_mov_b64 s[0:1], 0
	s_branch .LBB116_8
.LBB116_7:
	s_mov_b64 s[0:1], -1
                                        ; implicit-def: $sgpr41
.LBB116_8:
	s_load_dwordx2 s[24:25], s[4:5], 0x28
	s_ashr_i32 s15, s15, 31
	s_andn2_b64 vcc, exec, s[0:1]
	s_ashr_i32 s19, s19, 31
	s_cbranch_vccnz .LBB116_10
; %bb.9:
	s_mul_i32 s0, s9, s16
	s_add_i32 s0, s0, s6
	s_mul_i32 s0, s0, s3
	s_add_i32 s41, s0, 1
.LBB116_10:
	s_load_dword s0, s[4:5], 0x38
	s_load_dwordx2 s[22:23], s[4:5], 0x0
	s_load_dwordx2 s[28:29], s[4:5], 0x18
	s_mul_i32 s3, s12, s21
	s_xor_b32 s1, s15, s19
	s_waitcnt lgkmcnt(0)
	s_mul_i32 s26, s0, s10
	s_sub_i32 s0, s7, s3
	s_ashr_i32 s27, s26, 31
	s_add_i32 s3, s12, 1
	s_sub_i32 s6, s0, s21
	s_cmp_ge_u32 s0, s21
	s_cselect_b32 s3, s3, s12
	s_cselect_b32 s0, s6, s0
	s_add_i32 s6, s3, 1
	s_cmp_ge_u32 s0, s21
	s_cselect_b32 s0, s6, s3
	s_xor_b32 s0, s0, s1
	s_sub_i32 s12, s0, s1
	s_add_i32 s0, s33, 7
	s_ashr_i32 s1, s0, 31
	s_lshr_b32 s1, s1, 29
	s_add_i32 s0, s0, s1
	s_ashr_i32 s16, s0, 3
	v_lshrrev_b32_e32 v28, 6, v0
	v_cmp_gt_i32_e64 s[0:1], s16, v28
	v_mov_b32_e32 v10, 0xff7fffff
	s_mul_i32 s14, s2, s14
	v_lshrrev_b32_e32 v5, 4, v0
	v_lshlrev_b32_e32 v29, 3, v28
	v_mbcnt_lo_u32_b32 v6, -1, 0
	s_and_saveexec_b64 s[34:35], s[0:1]
	s_cbranch_execz .LBB116_22
; %bb.11:
	s_load_dwordx2 s[2:3], s[4:5], 0x10
	s_ashr_i32 s15, s14, 31
	s_sub_i32 s30, s12, s17
	s_lshl_b64 s[4:5], s[14:15], 1
	v_bfe_u32 v7, v0, 3, 3
	s_waitcnt lgkmcnt(0)
	s_add_u32 s2, s2, s4
	s_addc_u32 s3, s3, s5
	s_abs_i32 s15, s18
	v_cvt_f32_u32_e32 v2, s15
	v_mov_b32_e32 v8, s3
	s_sub_i32 s3, 0, s15
	v_lshlrev_b32_e32 v4, 4, v7
	v_rcp_iflag_f32_e32 v2, v2
	v_lshlrev_b32_e32 v3, 1, v1
	s_lshl_b64 s[4:5], s[26:27], 2
	s_add_u32 s4, s24, s4
	v_mul_f32_e32 v2, 0x4f7ffffe, v2
	v_cvt_u32_f32_e32 v2, v2
	v_cmp_eq_u32_e32 vcc, 0, v1
	v_lshlrev_b32_e32 v11, 6, v1
	v_and_b32_e32 v1, 60, v5
	v_mul_lo_u32 v9, s3, v2
	v_add_co_u32_e64 v4, s[2:3], s2, v4
	v_addc_co_u32_e64 v10, s[2:3], 0, v8, s[2:3]
	v_mul_hi_u32 v12, v2, v9
	v_add_co_u32_e64 v8, s[2:3], v4, v3
	v_subrev_u32_e32 v3, s33, v7
	v_add_u32_e32 v14, 1, v3
	v_lshlrev_b32_e32 v3, 2, v7
	s_addc_u32 s5, s25, s5
	v_lshl_or_b32 v3, v28, 5, v3
	v_mbcnt_hi_u32_b32 v17, -1, v6
	v_addc_co_u32_e64 v9, s[2:3], 0, v10, s[2:3]
	v_add_u32_e32 v12, v2, v12
	v_mov_b32_e32 v2, s5
	v_add_co_u32_e64 v1, s[4:5], s4, v1
	v_add_u32_e32 v15, 0x210, v3
	v_and_b32_e32 v3, 64, v17
	s_mov_b32 s43, s13
	v_cmp_neq_f32_e64 s[2:3], s42, 0
	v_addc_co_u32_e64 v2, s[4:5], 0, v2, s[4:5]
	v_lshlrev_b32_e32 v13, 3, v28
	v_mov_b32_e32 v16, 0xff7fffff
	s_mov_b64 s[36:37], 0
	v_add_u32_e32 v18, 64, v3
	v_xor_b32_e32 v19, 4, v17
	v_xor_b32_e32 v20, 2, v17
	v_mov_b32_e32 v10, 0xff7fffff
	v_mov_b32_e32 v21, v28
	s_branch .LBB116_14
.LBB116_12:                             ;   in Loop: Header=BB116_14 Depth=1
	s_or_b64 exec, exec, s[38:39]
.LBB116_13:                             ;   in Loop: Header=BB116_14 Depth=1
	s_or_b64 exec, exec, s[6:7]
	v_add_co_u32_e64 v1, s[4:5], 8, v1
	v_add_u32_e32 v21, 2, v21
	v_addc_co_u32_e64 v2, s[4:5], 0, v2, s[4:5]
	v_cmp_le_i32_e64 s[4:5], s16, v21
	v_add_u32_e32 v13, 16, v13
	s_or_b64 s[36:37], s[4:5], s[36:37]
	v_add_u32_e32 v15, 64, v15
	s_andn2_b64 exec, exec, s[36:37]
	s_cbranch_execz .LBB116_21
.LBB116_14:                             ; =>This Inner Loop Header: Depth=1
	v_mul_hi_u32 v3, v13, s40
	s_waitcnt lgkmcnt(0)
	v_mul_lo_u32 v4, v3, s21
	v_add_u32_e32 v22, 1, v3
	v_sub_u32_e32 v4, v13, v4
	v_cmp_le_u32_e64 s[4:5], s21, v4
	v_cndmask_b32_e64 v3, v3, v22, s[4:5]
	v_subrev_u32_e32 v22, s21, v4
	v_cndmask_b32_e64 v4, v4, v22, s[4:5]
	v_add_u32_e32 v22, 1, v3
	v_cmp_le_u32_e64 s[4:5], s21, v4
	v_cndmask_b32_e64 v3, v3, v22, s[4:5]
	v_xor_b32_e32 v3, s19, v3
	v_subrev_u32_e32 v3, s19, v3
	v_add_u32_e32 v4, s41, v3
	v_sub_u32_e32 v22, 0, v4
	v_max_i32_e32 v22, v4, v22
	v_mul_hi_u32 v23, v22, v12
	v_ashrrev_i32_e32 v4, 31, v4
	v_cmp_ge_i32_e64 s[6:7], s30, v3
	v_mul_lo_u32 v23, v23, s15
	v_sub_u32_e32 v22, v22, v23
	v_subrev_u32_e32 v23, s15, v22
	v_cmp_le_u32_e64 s[4:5], s15, v22
	v_cndmask_b32_e64 v22, v22, v23, s[4:5]
	v_subrev_u32_e32 v23, s15, v22
	v_cmp_le_u32_e64 s[4:5], s15, v22
	v_cndmask_b32_e64 v22, v22, v23, s[4:5]
	v_xor_b32_e32 v22, v22, v4
	v_sub_u32_e32 v4, v22, v4
	v_cmp_ne_u32_e64 s[4:5], 0, v4
	s_and_b64 s[4:5], s[4:5], s[6:7]
	s_and_saveexec_b64 s[6:7], s[4:5]
	s_xor_b64 s[4:5], exec, s[6:7]
	s_cbranch_execz .LBB116_18
; %bb.15:                               ;   in Loop: Header=BB116_14 Depth=1
	s_and_saveexec_b64 s[6:7], vcc
; %bb.16:                               ;   in Loop: Header=BB116_14 Depth=1
	ds_write_b32 v15, v16
; %bb.17:                               ;   in Loop: Header=BB116_14 Depth=1
	s_or_b64 exec, exec, s[6:7]
.LBB116_18:                             ;   in Loop: Header=BB116_14 Depth=1
	s_andn2_saveexec_b64 s[6:7], s[4:5]
	s_cbranch_execz .LBB116_13
; %bb.19:                               ;   in Loop: Header=BB116_14 Depth=1
	ds_read_b128 v[22:25], v11
	ds_read_b128 v[30:33], v11 offset:16
	ds_read_b128 v[34:37], v11 offset:32
	global_load_dword v3, v[1:2], off
	ds_read_b128 v[56:59], v11 offset:48
	s_waitcnt lgkmcnt(3)
	v_and_b32_e32 v39, 0xffff0000, v22
	s_waitcnt lgkmcnt(2)
	v_lshlrev_b32_e32 v47, 16, v31
	v_and_b32_e32 v46, 0xffff0000, v31
	v_lshlrev_b32_e32 v45, 16, v32
	v_and_b32_e32 v44, 0xffff0000, v32
	s_waitcnt lgkmcnt(0)
	v_lshlrev_b32_e32 v31, 16, v56
	v_and_b32_e32 v32, 0xffff0000, v56
	v_lshlrev_b32_e32 v60, 16, v22
	v_lshlrev_b32_e32 v55, 16, v23
	v_and_b32_e32 v54, 0xffff0000, v23
	v_lshlrev_b32_e32 v53, 16, v24
	v_and_b32_e32 v52, 0xffff0000, v24
	;; [unrolled: 2-line block ×12, first 2 shown]
	s_waitcnt vmcnt(0)
	v_mad_i64_i32 v[3:4], s[4:5], v3, s43, 0
	v_lshlrev_b64 v[3:4], 1, v[3:4]
	v_add_co_u32_e64 v3, s[4:5], v8, v3
	v_addc_co_u32_e64 v4, s[4:5], v9, v4, s[4:5]
	global_load_ushort v56, v[3:4], off offset:128
	v_cmp_lt_i32_e64 s[4:5], v19, v18
	s_waitcnt vmcnt(0)
	v_lshlrev_b32_e32 v56, 16, v56
	v_mul_f32_e32 v39, v39, v56
	global_load_ushort v56, v[3:4], off
	s_waitcnt vmcnt(0)
	v_lshlrev_b32_e32 v56, 16, v56
	v_fmac_f32_e32 v39, v60, v56
	global_load_ushort v56, v[3:4], off offset:256
	s_waitcnt vmcnt(0)
	v_lshlrev_b32_e32 v56, 16, v56
	v_fmac_f32_e32 v39, v55, v56
	global_load_ushort v55, v[3:4], off offset:384
	;; [unrolled: 4-line block ×8, first 2 shown]
	global_load_ushort v50, v[3:4], off offset:1280
	s_waitcnt vmcnt(1)
	v_lshlrev_b32_e32 v49, 16, v49
	v_fmac_f32_e32 v39, v48, v49
	global_load_ushort v48, v[3:4], off offset:1408
	global_load_ushort v49, v[3:4], off offset:1536
	s_waitcnt vmcnt(2)
	v_lshlrev_b32_e32 v50, 16, v50
	v_fmac_f32_e32 v39, v47, v50
	global_load_ushort v47, v[3:4], off offset:1664
	;; [unrolled: 5-line block ×10, first 2 shown]
	global_load_ushort v49, v[3:4], off offset:3840
	s_nop 0
	global_load_ushort v3, v[3:4], off offset:3968
	s_waitcnt vmcnt(12)
	v_lshlrev_b32_e32 v44, 16, v44
	s_waitcnt vmcnt(11)
	v_lshlrev_b32_e32 v47, 16, v47
	v_fmac_f32_e32 v39, v23, v44
	s_waitcnt vmcnt(10)
	v_lshlrev_b32_e32 v43, 16, v43
	v_fmac_f32_e32 v39, v24, v47
	;; [unrolled: 3-line block ×3, first 2 shown]
	v_fmac_f32_e32 v39, v26, v50
	v_cndmask_b32_e64 v4, v17, v19, s[4:5]
	v_lshlrev_b32_e32 v4, 2, v4
	v_cmp_lt_i32_e64 s[4:5], v20, v18
	s_waitcnt vmcnt(8)
	v_lshlrev_b32_e32 v42, 16, v42
	s_waitcnt vmcnt(7)
	v_lshlrev_b32_e32 v46, 16, v46
	v_fmac_f32_e32 v39, v30, v42
	s_waitcnt vmcnt(6)
	v_lshlrev_b32_e32 v41, 16, v41
	v_fmac_f32_e32 v39, v31, v46
	;; [unrolled: 3-line block ×7, first 2 shown]
	v_fmac_f32_e32 v39, v37, v49
	s_waitcnt vmcnt(0)
	v_lshlrev_b32_e32 v3, 16, v3
	v_fmac_f32_e32 v39, v22, v3
	ds_bpermute_b32 v3, v4, v39
	v_cndmask_b32_e64 v4, v17, v20, s[4:5]
	v_lshlrev_b32_e32 v4, 2, v4
	v_xor_b32_e32 v22, 1, v17
	v_cmp_lt_i32_e64 s[4:5], v22, v18
	s_waitcnt lgkmcnt(0)
	v_add_f32_e32 v3, v39, v3
	ds_bpermute_b32 v4, v4, v3
	v_cndmask_b32_e64 v22, v17, v22, s[4:5]
	v_lshlrev_b32_e32 v22, 2, v22
	s_waitcnt lgkmcnt(0)
	v_add_f32_e32 v3, v3, v4
	ds_bpermute_b32 v4, v22, v3
	s_and_saveexec_b64 s[38:39], vcc
	s_cbranch_execz .LBB116_12
; %bb.20:                               ;   in Loop: Header=BB116_14 Depth=1
	v_add_u32_e32 v22, v14, v13
	v_cvt_f32_i32_e32 v22, v22
	s_waitcnt lgkmcnt(0)
	v_add_f32_e32 v3, v3, v4
	v_add_u32_e32 v23, v7, v13
	v_cmp_gt_i32_e64 s[4:5], s33, v23
	v_mul_f32_e32 v4, s42, v22
	v_cndmask_b32_e64 v4, 0, v4, s[2:3]
	v_fmac_f32_e32 v4, s31, v3
	v_cndmask_b32_e64 v3, 0, v4, s[4:5]
	ds_write_b32 v15, v3
	v_max_f32_e32 v3, v10, v10
	v_max_f32_e32 v3, v3, v4
	v_cndmask_b32_e64 v10, v10, v3, s[4:5]
	s_branch .LBB116_12
.LBB116_21:
	s_or_b64 exec, exec, s[36:37]
.LBB116_22:
	s_or_b64 exec, exec, s[34:35]
	v_mbcnt_hi_u32_b32 v1, -1, v6
	v_and_b32_e32 v11, 64, v1
	v_add_u32_e32 v2, 64, v11
	v_xor_b32_e32 v3, 32, v1
	v_cmp_lt_i32_e32 vcc, v3, v2
	v_cndmask_b32_e32 v3, v1, v3, vcc
	s_waitcnt lgkmcnt(0)
	v_lshlrev_b32_e32 v4, 2, v3
	ds_bpermute_b32 v3, v4, v10
	v_xor_b32_e32 v7, 16, v1
	v_max_f32_e32 v6, v10, v10
	v_cmp_lt_i32_e32 vcc, v7, v2
	v_xor_b32_e32 v8, 8, v1
	s_waitcnt lgkmcnt(0)
	v_max_f32_e32 v3, v3, v3
	v_max_f32_e32 v3, v6, v3
	v_cndmask_b32_e32 v6, v1, v7, vcc
	v_lshlrev_b32_e32 v7, 2, v6
	ds_bpermute_b32 v6, v7, v3
	v_cmp_lt_i32_e32 vcc, v8, v2
	v_and_b32_e32 v30, 63, v0
	s_waitcnt lgkmcnt(0)
	v_max_f32_e32 v6, v6, v6
	v_max_f32_e32 v6, v3, v6
	v_cndmask_b32_e32 v3, v1, v8, vcc
	v_lshlrev_b32_e32 v9, 2, v3
	ds_bpermute_b32 v8, v9, v6
	v_cmp_eq_u32_e32 vcc, 0, v30
	v_lshlrev_b32_e32 v3, 2, v28
	s_and_saveexec_b64 s[2:3], vcc
	s_cbranch_execz .LBB116_24
; %bb.23:
	s_waitcnt lgkmcnt(0)
	v_max_f32_e32 v8, v8, v8
	v_max_f32_e32 v6, v6, v6
	;; [unrolled: 1-line block ×3, first 2 shown]
	ds_write_b32 v3, v6 offset:512
.LBB116_24:
	s_or_b64 exec, exec, s[2:3]
	v_cmp_gt_u32_e64 s[2:3], 2, v30
	v_mov_b32_e32 v10, 0xff7fffff
	v_lshlrev_b32_e32 v6, 2, v30
	s_waitcnt lgkmcnt(0)
	s_barrier
	s_and_saveexec_b64 s[4:5], s[2:3]
; %bb.25:
	ds_read_b32 v10, v6 offset:512
; %bb.26:
	s_or_b64 exec, exec, s[4:5]
	v_xor_b32_e32 v8, 1, v1
	v_cmp_lt_i32_e64 s[4:5], v8, v2
	v_cndmask_b32_e64 v8, v1, v8, s[4:5]
	v_lshlrev_b32_e32 v8, 2, v8
	s_waitcnt lgkmcnt(0)
	ds_bpermute_b32 v12, v8, v10
	v_max_f32_e32 v10, v10, v10
	v_lshlrev_b32_e32 v11, 2, v11
	s_lshl_b32 s4, s16, 3
	s_min_i32 s15, s4, s33
	s_waitcnt lgkmcnt(0)
	v_max_f32_e32 v12, v12, v12
	v_max_f32_e32 v10, v10, v12
	ds_bpermute_b32 v11, v11, v10
	v_cmp_gt_i32_e64 s[4:5], s15, v0
	v_mov_b32_e32 v10, 0
	s_and_saveexec_b64 s[30:31], s[4:5]
	s_cbranch_execz .LBB116_30
; %bb.27:
	v_mov_b32_e32 v10, 0x210
	v_lshl_add_u32 v12, v0, 2, v10
	v_mov_b32_e32 v10, 0
	s_mov_b64 s[34:35], 0
	v_mov_b32_e32 v13, v0
.LBB116_28:                             ; =>This Inner Loop Header: Depth=1
	ds_read_b32 v14, v12
	v_add_u32_e32 v13, 0x80, v13
	v_cmp_le_i32_e64 s[6:7], s15, v13
	s_or_b64 s[34:35], s[6:7], s[34:35]
	s_waitcnt lgkmcnt(0)
	v_sub_f32_e32 v14, v14, v11
	v_mul_f32_e32 v14, 0x3fb8aa3b, v14
	v_exp_f32_e32 v14, v14
	ds_write_b32 v12, v14
	v_add_f32_e32 v10, v10, v14
	v_add_u32_e32 v12, 0x200, v12
	s_andn2_b64 exec, exec, s[34:35]
	s_cbranch_execnz .LBB116_28
; %bb.29:
	s_or_b64 exec, exec, s[34:35]
.LBB116_30:
	s_or_b64 exec, exec, s[30:31]
	ds_bpermute_b32 v4, v4, v10
	s_waitcnt lgkmcnt(0)
	v_add_f32_e32 v4, v10, v4
	ds_bpermute_b32 v7, v7, v4
	s_waitcnt lgkmcnt(0)
	v_add_f32_e32 v4, v4, v7
	ds_bpermute_b32 v7, v9, v4
	v_xor_b32_e32 v9, 4, v1
	v_cmp_lt_i32_e64 s[6:7], v9, v2
	v_cndmask_b32_e64 v9, v1, v9, s[6:7]
	v_lshlrev_b32_e32 v9, 2, v9
	s_waitcnt lgkmcnt(0)
	v_add_f32_e32 v4, v4, v7
	ds_bpermute_b32 v7, v9, v4
	v_xor_b32_e32 v9, 2, v1
	v_cmp_lt_i32_e64 s[6:7], v9, v2
	v_cndmask_b32_e64 v2, v1, v9, s[6:7]
	v_lshlrev_b32_e32 v2, 2, v2
	s_waitcnt lgkmcnt(0)
	v_add_f32_e32 v4, v4, v7
	ds_bpermute_b32 v2, v2, v4
	s_waitcnt lgkmcnt(0)
	v_add_f32_e32 v2, v4, v2
	ds_bpermute_b32 v4, v8, v2
	s_waitcnt lgkmcnt(0)
	v_add_f32_e32 v2, v2, v4
	s_and_saveexec_b64 s[6:7], vcc
; %bb.31:
	ds_write_b32 v3, v2 offset:520
; %bb.32:
	s_or_b64 exec, exec, s[6:7]
	s_waitcnt lgkmcnt(0)
	s_barrier
	s_and_saveexec_b64 s[6:7], s[2:3]
; %bb.33:
	ds_read_b32 v2, v6 offset:520
; %bb.34:
	s_or_b64 exec, exec, s[6:7]
	s_waitcnt lgkmcnt(0)
	ds_bpermute_b32 v3, v8, v2
	v_lshlrev_b32_e32 v1, 2, v1
	v_and_b32_e32 v1, 0x100, v1
	s_waitcnt lgkmcnt(0)
	v_add_f32_e32 v2, v2, v3
	ds_bpermute_b32 v1, v1, v2
	s_and_saveexec_b64 s[2:3], s[4:5]
	s_cbranch_execz .LBB116_37
; %bb.35:
	s_waitcnt lgkmcnt(0)
	v_add_f32_e32 v2, 0x358637bd, v1
	v_div_scale_f32 v1, s[4:5], v2, v2, 1.0
	v_div_scale_f32 v3, vcc, 1.0, v2, 1.0
	s_mov_b64 s[4:5], 0
	v_rcp_f32_e32 v4, v1
	v_fma_f32 v6, -v1, v4, 1.0
	v_fmac_f32_e32 v4, v6, v4
	v_mul_f32_e32 v6, v3, v4
	v_fma_f32 v7, -v1, v6, v3
	v_fmac_f32_e32 v6, v7, v4
	v_fma_f32 v1, -v1, v6, v3
	v_div_fmas_f32 v3, v1, v4, v6
	v_mov_b32_e32 v1, 0x210
	v_lshl_add_u32 v1, v0, 2, v1
	v_div_fixup_f32 v2, v3, v2, 1.0
	v_mov_b32_e32 v3, v0
.LBB116_36:                             ; =>This Inner Loop Header: Depth=1
	ds_read_b32 v4, v1
	v_add_u32_e32 v3, 0x80, v3
	v_cmp_le_i32_e32 vcc, s15, v3
	s_or_b64 s[4:5], vcc, s[4:5]
	s_waitcnt lgkmcnt(0)
	v_mul_f32_e32 v4, v2, v4
	ds_write_b32 v1, v4
	v_add_u32_e32 v1, 0x200, v1
	s_andn2_b64 exec, exec, s[4:5]
	s_cbranch_execnz .LBB116_36
.LBB116_37:
	s_or_b64 exec, exec, s[2:3]
	v_mov_b32_e32 v34, 0
	v_mov_b32_e32 v33, 0
	;; [unrolled: 1-line block ×4, first 2 shown]
	s_waitcnt lgkmcnt(0)
	s_barrier
	s_and_saveexec_b64 s[4:5], s[0:1]
	s_cbranch_execz .LBB116_51
; %bb.38:
	s_ashr_i32 s15, s14, 31
	s_sub_i32 s17, s12, s17
	s_lshl_b64 s[0:1], s[14:15], 1
	s_add_u32 s2, s28, s0
	s_addc_u32 s3, s29, s1
	s_abs_i32 s18, s18
	v_cvt_f32_u32_e32 v1, s18
	s_sub_i32 s0, 0, s18
	v_lshlrev_b32_e32 v2, 4, v30
	s_add_i32 s30, s16, -1
	v_rcp_iflag_f32_e32 v1, v1
	v_and_b32_e32 v3, 60, v5
	v_mov_b32_e32 v5, s3
	v_add_co_u32_e32 v36, vcc, s2, v2
	v_mul_f32_e32 v1, 0x4f7ffffe, v1
	v_cvt_u32_f32_e32 v1, v1
	v_addc_co_u32_e32 v37, vcc, 0, v5, vcc
	s_mov_b32 s28, s13
	v_mul_lo_u32 v4, s0, v1
	s_lshl_b64 s[0:1], s[26:27], 2
	s_add_u32 s0, s24, s0
	s_addc_u32 s1, s25, s1
	v_mul_hi_u32 v4, v1, v4
	v_add_co_u32_e32 v25, vcc, s0, v3
	v_mov_b32_e32 v35, 0
	v_add_u32_e32 v38, v1, v4
	v_mov_b32_e32 v1, s1
	v_addc_co_u32_e32 v26, vcc, 0, v1, vcc
	v_mov_b32_e32 v1, 0x210
	s_mov_b32 s29, s33
	v_lshl_add_u32 v39, v28, 5, v1
	s_mov_b64 s[6:7], 0
	s_mov_b32 s24, 0x5040100
	s_movk_i32 s25, 0x7fff
	v_mov_b32_e32 v31, 0
	v_mov_b32_e32 v32, 0
	;; [unrolled: 1-line block ×4, first 2 shown]
	s_branch .LBB116_41
.LBB116_39:                             ;   in Loop: Header=BB116_41 Depth=1
	s_or_b64 exec, exec, s[2:3]
	s_waitcnt lgkmcnt(1)
	v_bfe_u32 v40, v17, 16, 1
	v_add3_u32 v40, v40, v17, s25
	v_or_b32_e32 v41, 0x400000, v17
	v_cmp_u_f32_e32 vcc, v17, v17
	v_cndmask_b32_e32 v17, v40, v41, vcc
	v_bfe_u32 v40, v18, 16, 1
	v_add3_u32 v40, v40, v18, s25
	v_or_b32_e32 v41, 0x400000, v18
	v_cmp_u_f32_e32 vcc, v18, v18
	v_cndmask_b32_e32 v18, v40, v41, vcc
	;; [unrolled: 5-line block ×4, first 2 shown]
	s_waitcnt lgkmcnt(0)
	v_bfe_u32 v40, v13, 16, 1
	v_add3_u32 v40, v40, v13, s25
	v_or_b32_e32 v41, 0x400000, v13
	v_cmp_u_f32_e32 vcc, v13, v13
	v_bfe_u32 v13, v14, 16, 1
	v_cndmask_b32_e32 v40, v40, v41, vcc
	v_add3_u32 v13, v13, v14, s25
	v_or_b32_e32 v41, 0x400000, v14
	v_cmp_u_f32_e32 vcc, v14, v14
	v_cndmask_b32_e32 v41, v13, v41, vcc
	v_bfe_u32 v13, v15, 16, 1
	v_add3_u32 v13, v13, v15, s25
	v_or_b32_e32 v14, 0x400000, v15
	v_cmp_u_f32_e32 vcc, v15, v15
	v_cndmask_b32_e32 v42, v13, v14, vcc
	v_bfe_u32 v13, v16, 16, 1
	v_add3_u32 v13, v13, v16, s25
	v_or_b32_e32 v14, 0x400000, v16
	v_cmp_u_f32_e32 vcc, v16, v16
	v_cndmask_b32_e32 v43, v13, v14, vcc
	v_and_b32_e32 v13, 0xffff0000, v18
	s_waitcnt vmcnt(1)
	v_and_b32_e32 v14, 0xffff0000, v21
	v_mul_f32_e32 v14, v13, v14
	v_bfe_u32 v15, v14, 16, 1
	v_add3_u32 v15, v15, v14, s25
	v_or_b32_e32 v16, 0x400000, v14
	v_cmp_u_f32_e32 vcc, v14, v14
	v_cndmask_b32_e32 v44, v15, v16, vcc
	v_and_b32_e32 v14, 0xffff0000, v17
	v_lshlrev_b32_e32 v15, 16, v21
	v_mul_f32_e32 v15, v14, v15
	v_bfe_u32 v16, v15, 16, 1
	v_add3_u32 v16, v16, v15, s25
	v_or_b32_e32 v17, 0x400000, v15
	v_cmp_u_f32_e32 vcc, v15, v15
	v_cndmask_b32_e32 v21, v16, v17, vcc
	v_and_b32_e32 v15, 0xffff0000, v20
	v_and_b32_e32 v16, 0xffff0000, v22
	v_mul_f32_e32 v16, v15, v16
	v_bfe_u32 v17, v16, 16, 1
	v_add3_u32 v17, v17, v16, s25
	v_or_b32_e32 v18, 0x400000, v16
	v_cmp_u_f32_e32 vcc, v16, v16
	v_cndmask_b32_e32 v45, v17, v18, vcc
	v_and_b32_e32 v16, 0xffff0000, v19
	v_lshlrev_b32_e32 v17, 16, v22
	v_mul_f32_e32 v17, v16, v17
	v_bfe_u32 v18, v17, 16, 1
	v_add3_u32 v18, v18, v17, s25
	v_or_b32_e32 v19, 0x400000, v17
	v_cmp_u_f32_e32 vcc, v17, v17
	v_cndmask_b32_e32 v22, v18, v19, vcc
	v_and_b32_e32 v17, 0xffff0000, v41
	v_and_b32_e32 v18, 0xffff0000, v23
	v_mul_f32_e32 v18, v17, v18
	v_bfe_u32 v19, v18, 16, 1
	v_add3_u32 v19, v19, v18, s25
	v_or_b32_e32 v20, 0x400000, v18
	v_cmp_u_f32_e32 vcc, v18, v18
	v_cndmask_b32_e32 v41, v19, v20, vcc
	v_and_b32_e32 v18, 0xffff0000, v40
	v_lshlrev_b32_e32 v19, 16, v23
	v_mul_f32_e32 v19, v18, v19
	v_bfe_u32 v20, v19, 16, 1
	v_add3_u32 v20, v20, v19, s25
	v_or_b32_e32 v23, 0x400000, v19
	v_cmp_u_f32_e32 vcc, v19, v19
	v_cndmask_b32_e32 v23, v20, v23, vcc
	v_and_b32_e32 v19, 0xffff0000, v43
	v_and_b32_e32 v20, 0xffff0000, v24
	v_mul_f32_e32 v20, v19, v20
	v_bfe_u32 v40, v20, 16, 1
	v_add3_u32 v40, v40, v20, s25
	v_or_b32_e32 v43, 0x400000, v20
	v_cmp_u_f32_e32 vcc, v20, v20
	v_and_b32_e32 v20, 0xffff0000, v42
	v_lshlrev_b32_e32 v24, 16, v24
	v_mul_f32_e32 v24, v20, v24
	v_bfe_u32 v42, v24, 16, 1
	v_cndmask_b32_e32 v40, v40, v43, vcc
	v_add3_u32 v42, v42, v24, s25
	v_or_b32_e32 v43, 0x400000, v24
	v_cmp_u_f32_e32 vcc, v24, v24
	v_cndmask_b32_e32 v24, v42, v43, vcc
	v_and_b32_e32 v21, 0xffff0000, v21
	v_and_b32_e32 v42, 0xffff0000, v44
	v_add_f32_e32 v21, v21, v42
	v_and_b32_e32 v22, 0xffff0000, v22
	v_and_b32_e32 v42, 0xffff0000, v45
	v_add_f32_e32 v22, v22, v42
	v_add_f32_e32 v21, v22, v21
	v_and_b32_e32 v22, 0xffff0000, v23
	v_and_b32_e32 v23, 0xffff0000, v41
	v_add_f32_e32 v22, v22, v23
	;; [unrolled: 4-line block ×3, first 2 shown]
	v_add_f32_e32 v21, v22, v21
	v_add_f32_e32 v32, v32, v21
	v_and_b32_e32 v21, 0xffff0000, v9
	v_mul_f32_e32 v21, v13, v21
	v_bfe_u32 v22, v21, 16, 1
	v_lshlrev_b32_e32 v9, 16, v9
	v_add3_u32 v22, v22, v21, s25
	v_or_b32_e32 v23, 0x400000, v21
	v_cmp_u_f32_e32 vcc, v21, v21
	v_mul_f32_e32 v9, v14, v9
	v_cndmask_b32_e32 v21, v22, v23, vcc
	v_bfe_u32 v22, v9, 16, 1
	v_add3_u32 v22, v22, v9, s25
	v_or_b32_e32 v23, 0x400000, v9
	v_cmp_u_f32_e32 vcc, v9, v9
	v_cndmask_b32_e32 v9, v22, v23, vcc
	v_and_b32_e32 v22, 0xffff0000, v10
	v_mul_f32_e32 v22, v15, v22
	v_bfe_u32 v23, v22, 16, 1
	v_lshlrev_b32_e32 v10, 16, v10
	v_add3_u32 v23, v23, v22, s25
	v_or_b32_e32 v24, 0x400000, v22
	v_cmp_u_f32_e32 vcc, v22, v22
	v_mul_f32_e32 v10, v16, v10
	v_cndmask_b32_e32 v22, v23, v24, vcc
	v_bfe_u32 v23, v10, 16, 1
	v_add3_u32 v23, v23, v10, s25
	v_or_b32_e32 v24, 0x400000, v10
	v_cmp_u_f32_e32 vcc, v10, v10
	v_cndmask_b32_e32 v10, v23, v24, vcc
	;; [unrolled: 14-line block ×3, first 2 shown]
	v_and_b32_e32 v24, 0xffff0000, v12
	v_mul_f32_e32 v24, v19, v24
	v_bfe_u32 v40, v24, 16, 1
	v_lshlrev_b32_e32 v12, 16, v12
	v_and_b32_e32 v9, 0xffff0000, v9
	v_and_b32_e32 v21, 0xffff0000, v21
	v_add3_u32 v40, v40, v24, s25
	v_or_b32_e32 v41, 0x400000, v24
	v_cmp_u_f32_e32 vcc, v24, v24
	v_mul_f32_e32 v12, v20, v12
	v_add_f32_e32 v9, v9, v21
	v_and_b32_e32 v10, 0xffff0000, v10
	v_and_b32_e32 v21, 0xffff0000, v22
	v_cndmask_b32_e32 v24, v40, v41, vcc
	v_bfe_u32 v40, v12, 16, 1
	v_add_f32_e32 v10, v10, v21
	v_add3_u32 v40, v40, v12, s25
	v_or_b32_e32 v41, 0x400000, v12
	v_cmp_u_f32_e32 vcc, v12, v12
	v_add_f32_e32 v9, v10, v9
	v_and_b32_e32 v10, 0xffff0000, v11
	v_and_b32_e32 v11, 0xffff0000, v23
	v_cndmask_b32_e32 v12, v40, v41, vcc
	v_add_f32_e32 v10, v10, v11
	v_add_f32_e32 v9, v10, v9
	v_and_b32_e32 v10, 0xffff0000, v12
	v_and_b32_e32 v11, 0xffff0000, v24
	v_add_f32_e32 v10, v10, v11
	v_add_f32_e32 v9, v10, v9
	;; [unrolled: 1-line block ×3, first 2 shown]
	v_and_b32_e32 v9, 0xffff0000, v1
	v_mul_f32_e32 v9, v13, v9
	v_bfe_u32 v10, v9, 16, 1
	v_lshlrev_b32_e32 v1, 16, v1
	v_add3_u32 v10, v10, v9, s25
	v_or_b32_e32 v11, 0x400000, v9
	v_cmp_u_f32_e32 vcc, v9, v9
	v_mul_f32_e32 v1, v14, v1
	v_cndmask_b32_e32 v9, v10, v11, vcc
	v_bfe_u32 v10, v1, 16, 1
	v_add3_u32 v10, v10, v1, s25
	v_or_b32_e32 v11, 0x400000, v1
	v_cmp_u_f32_e32 vcc, v1, v1
	v_cndmask_b32_e32 v1, v10, v11, vcc
	v_and_b32_e32 v10, 0xffff0000, v2
	v_mul_f32_e32 v10, v15, v10
	v_bfe_u32 v11, v10, 16, 1
	v_lshlrev_b32_e32 v2, 16, v2
	v_add3_u32 v11, v11, v10, s25
	v_or_b32_e32 v12, 0x400000, v10
	v_cmp_u_f32_e32 vcc, v10, v10
	v_mul_f32_e32 v2, v16, v2
	v_cndmask_b32_e32 v10, v11, v12, vcc
	v_bfe_u32 v11, v2, 16, 1
	v_add3_u32 v11, v11, v2, s25
	v_or_b32_e32 v12, 0x400000, v2
	v_cmp_u_f32_e32 vcc, v2, v2
	v_cndmask_b32_e32 v2, v11, v12, vcc
	;; [unrolled: 14-line block ×3, first 2 shown]
	v_and_b32_e32 v12, 0xffff0000, v4
	v_mul_f32_e32 v12, v19, v12
	v_bfe_u32 v21, v12, 16, 1
	v_lshlrev_b32_e32 v4, 16, v4
	v_and_b32_e32 v1, 0xffff0000, v1
	v_and_b32_e32 v9, 0xffff0000, v9
	v_add3_u32 v21, v21, v12, s25
	v_or_b32_e32 v22, 0x400000, v12
	v_cmp_u_f32_e32 vcc, v12, v12
	v_mul_f32_e32 v4, v20, v4
	v_add_f32_e32 v1, v1, v9
	v_and_b32_e32 v2, 0xffff0000, v2
	v_and_b32_e32 v9, 0xffff0000, v10
	v_cndmask_b32_e32 v12, v21, v22, vcc
	v_bfe_u32 v21, v4, 16, 1
	v_add_f32_e32 v2, v2, v9
	v_add3_u32 v21, v21, v4, s25
	v_or_b32_e32 v22, 0x400000, v4
	v_cmp_u_f32_e32 vcc, v4, v4
	v_add_f32_e32 v1, v2, v1
	v_and_b32_e32 v2, 0xffff0000, v3
	v_and_b32_e32 v3, 0xffff0000, v11
	v_cndmask_b32_e32 v4, v21, v22, vcc
	v_add_f32_e32 v2, v2, v3
	v_add_f32_e32 v1, v2, v1
	v_and_b32_e32 v2, 0xffff0000, v4
	v_and_b32_e32 v3, 0xffff0000, v12
	v_add_f32_e32 v2, v2, v3
	v_add_f32_e32 v1, v2, v1
	;; [unrolled: 1-line block ×3, first 2 shown]
	s_waitcnt vmcnt(0)
	v_and_b32_e32 v1, 0xffff0000, v5
	v_mul_f32_e32 v1, v13, v1
	v_bfe_u32 v2, v1, 16, 1
	v_add3_u32 v2, v2, v1, s25
	v_or_b32_e32 v3, 0x400000, v1
	v_cmp_u_f32_e32 vcc, v1, v1
	v_cndmask_b32_e32 v1, v2, v3, vcc
	v_lshlrev_b32_e32 v2, 16, v5
	v_mul_f32_e32 v2, v14, v2
	v_bfe_u32 v3, v2, 16, 1
	v_add3_u32 v3, v3, v2, s25
	v_or_b32_e32 v4, 0x400000, v2
	v_cmp_u_f32_e32 vcc, v2, v2
	v_cndmask_b32_e32 v2, v3, v4, vcc
	v_and_b32_e32 v3, 0xffff0000, v6
	v_mul_f32_e32 v3, v15, v3
	v_bfe_u32 v4, v3, 16, 1
	v_add3_u32 v4, v4, v3, s25
	v_or_b32_e32 v5, 0x400000, v3
	v_cmp_u_f32_e32 vcc, v3, v3
	v_cndmask_b32_e32 v3, v4, v5, vcc
	v_lshlrev_b32_e32 v4, 16, v6
	v_mul_f32_e32 v4, v16, v4
	v_bfe_u32 v5, v4, 16, 1
	v_add3_u32 v5, v5, v4, s25
	v_or_b32_e32 v6, 0x400000, v4
	v_cmp_u_f32_e32 vcc, v4, v4
	v_cndmask_b32_e32 v4, v5, v6, vcc
	v_and_b32_e32 v5, 0xffff0000, v7
	v_mul_f32_e32 v5, v17, v5
	v_bfe_u32 v6, v5, 16, 1
	v_add3_u32 v6, v6, v5, s25
	v_or_b32_e32 v9, 0x400000, v5
	v_cmp_u_f32_e32 vcc, v5, v5
	v_cndmask_b32_e32 v5, v6, v9, vcc
	v_lshlrev_b32_e32 v6, 16, v7
	v_mul_f32_e32 v6, v18, v6
	v_bfe_u32 v7, v6, 16, 1
	v_add3_u32 v7, v7, v6, s25
	v_or_b32_e32 v9, 0x400000, v6
	v_cmp_u_f32_e32 vcc, v6, v6
	v_cndmask_b32_e32 v6, v7, v9, vcc
	v_and_b32_e32 v7, 0xffff0000, v8
	v_mul_f32_e32 v7, v19, v7
	v_bfe_u32 v9, v7, 16, 1
	v_lshlrev_b32_e32 v8, 16, v8
	v_and_b32_e32 v2, 0xffff0000, v2
	v_and_b32_e32 v1, 0xffff0000, v1
	v_add3_u32 v9, v9, v7, s25
	v_or_b32_e32 v10, 0x400000, v7
	v_cmp_u_f32_e32 vcc, v7, v7
	v_mul_f32_e32 v8, v20, v8
	v_add_f32_e32 v1, v2, v1
	v_and_b32_e32 v2, 0xffff0000, v4
	v_and_b32_e32 v3, 0xffff0000, v3
	v_cndmask_b32_e32 v7, v9, v10, vcc
	v_bfe_u32 v9, v8, 16, 1
	v_add_f32_e32 v2, v2, v3
	v_add3_u32 v9, v9, v8, s25
	v_or_b32_e32 v10, 0x400000, v8
	v_cmp_u_f32_e32 vcc, v8, v8
	v_add_f32_e32 v1, v2, v1
	v_and_b32_e32 v2, 0xffff0000, v6
	v_and_b32_e32 v3, 0xffff0000, v5
	v_cndmask_b32_e32 v8, v9, v10, vcc
	v_add_f32_e32 v2, v2, v3
	v_add_f32_e32 v1, v2, v1
	v_and_b32_e32 v2, 0xffff0000, v8
	v_and_b32_e32 v3, 0xffff0000, v7
	v_add_f32_e32 v2, v2, v3
	v_add_f32_e32 v1, v2, v1
	;; [unrolled: 1-line block ×3, first 2 shown]
.LBB116_40:                             ;   in Loop: Header=BB116_41 Depth=1
	s_or_b64 exec, exec, s[12:13]
	v_add_co_u32_e32 v25, vcc, 8, v25
	v_add_u32_e32 v28, 2, v28
	v_addc_co_u32_e32 v26, vcc, 0, v26, vcc
	v_cmp_le_i32_e32 vcc, s16, v28
	v_add_u32_e32 v29, 16, v29
	s_or_b64 s[6:7], vcc, s[6:7]
	v_add_u32_e32 v39, 64, v39
	s_andn2_b64 exec, exec, s[6:7]
	s_cbranch_execz .LBB116_50
.LBB116_41:                             ; =>This Inner Loop Header: Depth=1
	v_mul_hi_u32 v1, v29, s40
	v_mul_lo_u32 v2, v1, s21
	v_add_u32_e32 v3, 1, v1
	v_sub_u32_e32 v2, v29, v2
	v_cmp_le_u32_e32 vcc, s21, v2
	v_cndmask_b32_e32 v1, v1, v3, vcc
	v_subrev_u32_e32 v3, s21, v2
	v_cndmask_b32_e32 v2, v2, v3, vcc
	v_add_u32_e32 v3, 1, v1
	v_cmp_le_u32_e32 vcc, s21, v2
	v_cndmask_b32_e32 v1, v1, v3, vcc
	v_xor_b32_e32 v1, s19, v1
	v_subrev_u32_e32 v1, s19, v1
	v_add_u32_e32 v2, s41, v1
	v_sub_u32_e32 v3, 0, v2
	v_max_i32_e32 v3, v2, v3
	v_mul_hi_u32 v4, v3, v38
	v_ashrrev_i32_e32 v2, 31, v2
	v_cmp_lt_i32_e64 s[0:1], s17, v1
	v_mul_lo_u32 v4, v4, s18
	v_sub_u32_e32 v3, v3, v4
	v_subrev_u32_e32 v4, s18, v3
	v_cmp_le_u32_e32 vcc, s18, v3
	v_cndmask_b32_e32 v3, v3, v4, vcc
	v_subrev_u32_e32 v4, s18, v3
	v_cmp_le_u32_e32 vcc, s18, v3
	v_cndmask_b32_e32 v3, v3, v4, vcc
	v_xor_b32_e32 v3, v3, v2
	v_sub_u32_e32 v2, v3, v2
	v_cmp_eq_u32_e32 vcc, 0, v2
	s_or_b64 s[0:1], vcc, s[0:1]
	s_and_saveexec_b64 s[12:13], s[0:1]
	s_cbranch_execz .LBB116_40
; %bb.42:                               ;   in Loop: Header=BB116_41 Depth=1
	global_load_dword v1, v[25:26], off
	v_add_u32_e32 v46, 1, v29
	v_or_b32_e32 v44, 3, v29
	v_or_b32_e32 v45, 2, v29
	;; [unrolled: 1-line block ×6, first 2 shown]
	s_waitcnt vmcnt(0)
	v_mad_i64_i32 v[1:2], s[0:1], v1, s28, 0
	v_cmp_eq_u32_e64 s[0:1], s30, v28
	v_lshlrev_b64 v[1:2], 1, v[1:2]
	v_add_co_u32_e32 v5, vcc, v36, v1
	v_addc_co_u32_e32 v6, vcc, v37, v2, vcc
	global_load_dwordx4 v[1:4], v[5:6], off
	ds_read2_b64 v[17:20], v39 offset1:1
	ds_read2_b64 v[13:16], v39 offset0:2 offset1:3
	s_and_saveexec_b64 s[14:15], s[0:1]
	s_cbranch_execnz .LBB116_46
; %bb.43:                               ;   in Loop: Header=BB116_41 Depth=1
	s_or_b64 exec, exec, s[14:15]
	global_load_dwordx4 v[9:12], v[5:6], off offset:1024
	s_and_saveexec_b64 s[14:15], s[0:1]
	s_cbranch_execnz .LBB116_47
.LBB116_44:                             ;   in Loop: Header=BB116_41 Depth=1
	s_or_b64 exec, exec, s[14:15]
	global_load_dwordx4 v[21:24], v[5:6], off offset:2048
	s_and_saveexec_b64 s[14:15], s[0:1]
	s_cbranch_execnz .LBB116_48
.LBB116_45:                             ;   in Loop: Header=BB116_41 Depth=1
	s_or_b64 exec, exec, s[14:15]
	global_load_dwordx4 v[5:8], v[5:6], off offset:3072
	s_and_saveexec_b64 s[2:3], s[0:1]
	s_cbranch_execz .LBB116_39
	s_branch .LBB116_49
.LBB116_46:                             ;   in Loop: Header=BB116_41 Depth=1
	v_cmp_gt_i32_e32 vcc, s29, v46
	s_waitcnt vmcnt(0)
	v_cndmask_b32_sdwa v7, v35, v1, vcc dst_sel:DWORD dst_unused:UNUSED_PAD src0_sel:DWORD src1_sel:WORD_1
	v_cmp_gt_i32_e32 vcc, s33, v29
	v_cndmask_b32_e32 v1, 0, v1, vcc
	v_cmp_gt_i32_e32 vcc, s29, v44
	v_cmp_gt_i32_e64 s[2:3], s33, v45
	v_perm_b32 v1, v7, v1, s24
	v_cndmask_b32_e64 v7, 0, v2, s[2:3]
	v_cndmask_b32_sdwa v2, v35, v2, vcc dst_sel:DWORD dst_unused:UNUSED_PAD src0_sel:DWORD src1_sel:WORD_1
	v_cmp_gt_i32_e32 vcc, s29, v42
	v_cmp_gt_i32_e64 s[2:3], s33, v43
	v_perm_b32 v2, v2, v7, s24
	v_cndmask_b32_e64 v7, 0, v3, s[2:3]
	v_cndmask_b32_sdwa v3, v35, v3, vcc dst_sel:DWORD dst_unused:UNUSED_PAD src0_sel:DWORD src1_sel:WORD_1
	;; [unrolled: 5-line block ×3, first 2 shown]
	v_perm_b32 v4, v4, v7, s24
	s_or_b64 exec, exec, s[14:15]
	global_load_dwordx4 v[9:12], v[5:6], off offset:1024
	s_and_saveexec_b64 s[14:15], s[0:1]
	s_cbranch_execz .LBB116_44
.LBB116_47:                             ;   in Loop: Header=BB116_41 Depth=1
	v_cmp_gt_i32_e32 vcc, s29, v46
	s_waitcnt vmcnt(0)
	v_cndmask_b32_sdwa v7, v35, v9, vcc dst_sel:DWORD dst_unused:UNUSED_PAD src0_sel:DWORD src1_sel:WORD_1
	v_cmp_gt_i32_e32 vcc, s33, v29
	v_cndmask_b32_e32 v8, 0, v9, vcc
	v_cmp_gt_i32_e32 vcc, s29, v44
	v_cmp_gt_i32_e64 s[2:3], s33, v45
	v_perm_b32 v9, v7, v8, s24
	v_cndmask_b32_e64 v7, 0, v10, s[2:3]
	v_cndmask_b32_sdwa v8, v35, v10, vcc dst_sel:DWORD dst_unused:UNUSED_PAD src0_sel:DWORD src1_sel:WORD_1
	v_cmp_gt_i32_e32 vcc, s29, v42
	v_cmp_gt_i32_e64 s[2:3], s33, v43
	v_perm_b32 v10, v8, v7, s24
	v_cndmask_b32_e64 v7, 0, v11, s[2:3]
	v_cndmask_b32_sdwa v8, v35, v11, vcc dst_sel:DWORD dst_unused:UNUSED_PAD src0_sel:DWORD src1_sel:WORD_1
	;; [unrolled: 5-line block ×3, first 2 shown]
	v_perm_b32 v12, v8, v7, s24
	s_or_b64 exec, exec, s[14:15]
	global_load_dwordx4 v[21:24], v[5:6], off offset:2048
	s_and_saveexec_b64 s[14:15], s[0:1]
	s_cbranch_execz .LBB116_45
.LBB116_48:                             ;   in Loop: Header=BB116_41 Depth=1
	v_cmp_gt_i32_e32 vcc, s29, v46
	s_waitcnt vmcnt(0)
	v_cndmask_b32_sdwa v7, v35, v21, vcc dst_sel:DWORD dst_unused:UNUSED_PAD src0_sel:DWORD src1_sel:WORD_1
	v_cmp_gt_i32_e32 vcc, s33, v29
	v_cndmask_b32_e32 v8, 0, v21, vcc
	v_cmp_gt_i32_e32 vcc, s29, v44
	v_cmp_gt_i32_e64 s[2:3], s33, v45
	v_perm_b32 v21, v7, v8, s24
	v_cndmask_b32_e64 v7, 0, v22, s[2:3]
	v_cndmask_b32_sdwa v8, v35, v22, vcc dst_sel:DWORD dst_unused:UNUSED_PAD src0_sel:DWORD src1_sel:WORD_1
	v_cmp_gt_i32_e32 vcc, s29, v42
	v_cmp_gt_i32_e64 s[2:3], s33, v43
	v_perm_b32 v22, v8, v7, s24
	v_cndmask_b32_e64 v7, 0, v23, s[2:3]
	v_cndmask_b32_sdwa v8, v35, v23, vcc dst_sel:DWORD dst_unused:UNUSED_PAD src0_sel:DWORD src1_sel:WORD_1
	;; [unrolled: 5-line block ×3, first 2 shown]
	v_perm_b32 v24, v8, v7, s24
	s_or_b64 exec, exec, s[14:15]
	global_load_dwordx4 v[5:8], v[5:6], off offset:3072
	s_and_saveexec_b64 s[2:3], s[0:1]
	s_cbranch_execz .LBB116_39
.LBB116_49:                             ;   in Loop: Header=BB116_41 Depth=1
	v_cmp_gt_i32_e32 vcc, s29, v46
	s_waitcnt vmcnt(0)
	v_cndmask_b32_sdwa v46, v35, v5, vcc dst_sel:DWORD dst_unused:UNUSED_PAD src0_sel:DWORD src1_sel:WORD_1
	v_cmp_gt_i32_e32 vcc, s33, v29
	v_cndmask_b32_e32 v5, 0, v5, vcc
	v_cmp_gt_i32_e32 vcc, s29, v44
	v_cmp_gt_i32_e64 s[0:1], s33, v45
	v_cndmask_b32_e64 v44, 0, v6, s[0:1]
	v_cndmask_b32_sdwa v6, v35, v6, vcc dst_sel:DWORD dst_unused:UNUSED_PAD src0_sel:DWORD src1_sel:WORD_1
	v_cmp_gt_i32_e32 vcc, s29, v42
	v_cmp_gt_i32_e64 s[0:1], s33, v43
	v_cndmask_b32_e64 v42, 0, v7, s[0:1]
	v_cndmask_b32_sdwa v7, v35, v7, vcc dst_sel:DWORD dst_unused:UNUSED_PAD src0_sel:DWORD src1_sel:WORD_1
	;; [unrolled: 4-line block ×3, first 2 shown]
	v_perm_b32 v5, v46, v5, s24
	v_perm_b32 v6, v6, v44, s24
	;; [unrolled: 1-line block ×4, first 2 shown]
	s_branch .LBB116_39
.LBB116_50:
	s_or_b64 exec, exec, s[6:7]
.LBB116_51:
	s_or_b64 exec, exec, s[4:5]
	v_and_b32_e32 v1, 0x3c0, v0
	v_cmp_eq_u32_e32 vcc, 64, v1
	s_barrier
	s_and_saveexec_b64 s[0:1], vcc
	s_cbranch_execz .LBB116_53
; %bb.52:
	v_mov_b32_e32 v1, 0x210
	v_lshl_add_u32 v1, v30, 2, v1
	ds_write2st64_b32 v1, v34, v33 offset1:1
	ds_write2st64_b32 v1, v32, v31 offset0:2 offset1:3
.LBB116_53:
	s_or_b64 exec, exec, s[0:1]
	v_cmp_gt_u32_e32 vcc, 64, v0
	s_waitcnt lgkmcnt(0)
	s_barrier
	s_and_saveexec_b64 s[0:1], vcc
	s_cbranch_execz .LBB116_55
; %bb.54:
	v_mov_b32_e32 v1, 0x210
	v_lshl_add_u32 v2, v0, 2, v1
	ds_read2st64_b32 v[0:1], v2 offset1:1
	ds_read2st64_b32 v[2:3], v2 offset0:2 offset1:3
	s_waitcnt lgkmcnt(1)
	v_add_f32_e32 v34, v34, v0
	v_add_f32_e32 v33, v33, v1
	s_waitcnt lgkmcnt(0)
	v_add_f32_e32 v32, v32, v2
	v_add_f32_e32 v31, v31, v3
.LBB116_55:
	s_or_b64 exec, exec, s[0:1]
	s_barrier
	s_and_saveexec_b64 s[0:1], vcc
	s_cbranch_execz .LBB116_57
; %bb.56:
	s_mul_i32 s0, s10, s11
	s_mul_i32 s0, s0, s9
	s_lshl_b32 s0, s0, 8
	s_ashr_i32 s1, s0, 31
	s_lshl_b64 s[0:1], s[0:1], 1
	s_add_u32 s2, s22, s0
	s_mul_i32 s0, s11, s20
	s_addc_u32 s3, s23, s1
	s_ashr_i32 s1, s0, 31
	s_lshl_b64 s[0:1], s[0:1], 1
	s_add_u32 s2, s2, s0
	s_addc_u32 s3, s3, s1
	s_lshl_b32 s0, s8, 8
	s_ashr_i32 s1, s0, 31
	s_lshl_b64 s[0:1], s[0:1], 1
	s_add_u32 s0, s2, s0
	v_bfe_u32 v0, v34, 16, 1
	s_movk_i32 s2, 0x7fff
	v_add3_u32 v0, v0, v34, s2
	v_or_b32_e32 v1, 0x400000, v34
	v_cmp_u_f32_e32 vcc, v34, v34
	s_addc_u32 s1, s3, s1
	v_cndmask_b32_e32 v0, v0, v1, vcc
	global_store_short_d16_hi v27, v0, s[0:1]
	v_bfe_u32 v0, v33, 16, 1
	v_add3_u32 v0, v0, v33, s2
	v_or_b32_e32 v1, 0x400000, v33
	v_cmp_u_f32_e32 vcc, v33, v33
	v_cndmask_b32_e32 v0, v0, v1, vcc
	global_store_short_d16_hi v27, v0, s[0:1] offset:128
	v_bfe_u32 v0, v32, 16, 1
	v_add3_u32 v0, v0, v32, s2
	v_or_b32_e32 v1, 0x400000, v32
	v_cmp_u_f32_e32 vcc, v32, v32
	v_cndmask_b32_e32 v0, v0, v1, vcc
	global_store_short_d16_hi v27, v0, s[0:1] offset:256
	;; [unrolled: 6-line block ×3, first 2 shown]
.LBB116_57:
	s_endpgm
	.section	.rodata,"a",@progbits
	.p2align	6, 0x0
	.amdhsa_kernel _ZN4vllm25paged_attention_v1_kernelI14__hip_bfloat16S1_Li256ELi8ELi128ELNS_18Fp8KVCacheDataTypeE0ELb1EEEvPT_PKS3_PKT0_S9_ifPKiSB_iPKfiiiSD_SD_iiiii
		.amdhsa_group_segment_fixed_size 528
		.amdhsa_private_segment_fixed_size 0
		.amdhsa_kernarg_size 384
		.amdhsa_user_sgpr_count 6
		.amdhsa_user_sgpr_private_segment_buffer 1
		.amdhsa_user_sgpr_dispatch_ptr 0
		.amdhsa_user_sgpr_queue_ptr 0
		.amdhsa_user_sgpr_kernarg_segment_ptr 1
		.amdhsa_user_sgpr_dispatch_id 0
		.amdhsa_user_sgpr_flat_scratch_init 0
		.amdhsa_user_sgpr_private_segment_size 0
		.amdhsa_uses_dynamic_stack 0
		.amdhsa_system_sgpr_private_segment_wavefront_offset 0
		.amdhsa_system_sgpr_workgroup_id_x 1
		.amdhsa_system_sgpr_workgroup_id_y 1
		.amdhsa_system_sgpr_workgroup_id_z 1
		.amdhsa_system_sgpr_workgroup_info 0
		.amdhsa_system_vgpr_workitem_id 0
		.amdhsa_next_free_vgpr 61
		.amdhsa_next_free_sgpr 44
		.amdhsa_reserve_vcc 1
		.amdhsa_reserve_flat_scratch 0
		.amdhsa_float_round_mode_32 0
		.amdhsa_float_round_mode_16_64 0
		.amdhsa_float_denorm_mode_32 3
		.amdhsa_float_denorm_mode_16_64 3
		.amdhsa_dx10_clamp 1
		.amdhsa_ieee_mode 1
		.amdhsa_fp16_overflow 0
		.amdhsa_exception_fp_ieee_invalid_op 0
		.amdhsa_exception_fp_denorm_src 0
		.amdhsa_exception_fp_ieee_div_zero 0
		.amdhsa_exception_fp_ieee_overflow 0
		.amdhsa_exception_fp_ieee_underflow 0
		.amdhsa_exception_fp_ieee_inexact 0
		.amdhsa_exception_int_div_zero 0
	.end_amdhsa_kernel
	.section	.text._ZN4vllm25paged_attention_v1_kernelI14__hip_bfloat16S1_Li256ELi8ELi128ELNS_18Fp8KVCacheDataTypeE0ELb1EEEvPT_PKS3_PKT0_S9_ifPKiSB_iPKfiiiSD_SD_iiiii,"axG",@progbits,_ZN4vllm25paged_attention_v1_kernelI14__hip_bfloat16S1_Li256ELi8ELi128ELNS_18Fp8KVCacheDataTypeE0ELb1EEEvPT_PKS3_PKT0_S9_ifPKiSB_iPKfiiiSD_SD_iiiii,comdat
.Lfunc_end116:
	.size	_ZN4vllm25paged_attention_v1_kernelI14__hip_bfloat16S1_Li256ELi8ELi128ELNS_18Fp8KVCacheDataTypeE0ELb1EEEvPT_PKS3_PKT0_S9_ifPKiSB_iPKfiiiSD_SD_iiiii, .Lfunc_end116-_ZN4vllm25paged_attention_v1_kernelI14__hip_bfloat16S1_Li256ELi8ELi128ELNS_18Fp8KVCacheDataTypeE0ELb1EEEvPT_PKS3_PKT0_S9_ifPKiSB_iPKfiiiSD_SD_iiiii
                                        ; -- End function
	.set _ZN4vllm25paged_attention_v1_kernelI14__hip_bfloat16S1_Li256ELi8ELi128ELNS_18Fp8KVCacheDataTypeE0ELb1EEEvPT_PKS3_PKT0_S9_ifPKiSB_iPKfiiiSD_SD_iiiii.num_vgpr, 61
	.set _ZN4vllm25paged_attention_v1_kernelI14__hip_bfloat16S1_Li256ELi8ELi128ELNS_18Fp8KVCacheDataTypeE0ELb1EEEvPT_PKS3_PKT0_S9_ifPKiSB_iPKfiiiSD_SD_iiiii.num_agpr, 0
	.set _ZN4vllm25paged_attention_v1_kernelI14__hip_bfloat16S1_Li256ELi8ELi128ELNS_18Fp8KVCacheDataTypeE0ELb1EEEvPT_PKS3_PKT0_S9_ifPKiSB_iPKfiiiSD_SD_iiiii.numbered_sgpr, 44
	.set _ZN4vllm25paged_attention_v1_kernelI14__hip_bfloat16S1_Li256ELi8ELi128ELNS_18Fp8KVCacheDataTypeE0ELb1EEEvPT_PKS3_PKT0_S9_ifPKiSB_iPKfiiiSD_SD_iiiii.num_named_barrier, 0
	.set _ZN4vllm25paged_attention_v1_kernelI14__hip_bfloat16S1_Li256ELi8ELi128ELNS_18Fp8KVCacheDataTypeE0ELb1EEEvPT_PKS3_PKT0_S9_ifPKiSB_iPKfiiiSD_SD_iiiii.private_seg_size, 0
	.set _ZN4vllm25paged_attention_v1_kernelI14__hip_bfloat16S1_Li256ELi8ELi128ELNS_18Fp8KVCacheDataTypeE0ELb1EEEvPT_PKS3_PKT0_S9_ifPKiSB_iPKfiiiSD_SD_iiiii.uses_vcc, 1
	.set _ZN4vllm25paged_attention_v1_kernelI14__hip_bfloat16S1_Li256ELi8ELi128ELNS_18Fp8KVCacheDataTypeE0ELb1EEEvPT_PKS3_PKT0_S9_ifPKiSB_iPKfiiiSD_SD_iiiii.uses_flat_scratch, 0
	.set _ZN4vllm25paged_attention_v1_kernelI14__hip_bfloat16S1_Li256ELi8ELi128ELNS_18Fp8KVCacheDataTypeE0ELb1EEEvPT_PKS3_PKT0_S9_ifPKiSB_iPKfiiiSD_SD_iiiii.has_dyn_sized_stack, 0
	.set _ZN4vllm25paged_attention_v1_kernelI14__hip_bfloat16S1_Li256ELi8ELi128ELNS_18Fp8KVCacheDataTypeE0ELb1EEEvPT_PKS3_PKT0_S9_ifPKiSB_iPKfiiiSD_SD_iiiii.has_recursion, 0
	.set _ZN4vllm25paged_attention_v1_kernelI14__hip_bfloat16S1_Li256ELi8ELi128ELNS_18Fp8KVCacheDataTypeE0ELb1EEEvPT_PKS3_PKT0_S9_ifPKiSB_iPKfiiiSD_SD_iiiii.has_indirect_call, 0
	.section	.AMDGPU.csdata,"",@progbits
; Kernel info:
; codeLenInByte = 6976
; TotalNumSgprs: 48
; NumVgprs: 61
; ScratchSize: 0
; MemoryBound: 0
; FloatMode: 240
; IeeeMode: 1
; LDSByteSize: 528 bytes/workgroup (compile time only)
; SGPRBlocks: 5
; VGPRBlocks: 15
; NumSGPRsForWavesPerEU: 48
; NumVGPRsForWavesPerEU: 61
; Occupancy: 4
; WaveLimiterHint : 1
; COMPUTE_PGM_RSRC2:SCRATCH_EN: 0
; COMPUTE_PGM_RSRC2:USER_SGPR: 6
; COMPUTE_PGM_RSRC2:TRAP_HANDLER: 0
; COMPUTE_PGM_RSRC2:TGID_X_EN: 1
; COMPUTE_PGM_RSRC2:TGID_Y_EN: 1
; COMPUTE_PGM_RSRC2:TGID_Z_EN: 1
; COMPUTE_PGM_RSRC2:TIDIG_COMP_CNT: 0
	.section	.text._ZN4vllm25paged_attention_v1_kernelI14__hip_bfloat16S1_Li32ELi8ELi128ELNS_18Fp8KVCacheDataTypeE0ELb0EEEvPT_PKS3_PKT0_S9_ifPKiSB_iPKfiiiSD_SD_iiiii,"axG",@progbits,_ZN4vllm25paged_attention_v1_kernelI14__hip_bfloat16S1_Li32ELi8ELi128ELNS_18Fp8KVCacheDataTypeE0ELb0EEEvPT_PKS3_PKT0_S9_ifPKiSB_iPKfiiiSD_SD_iiiii,comdat
	.protected	_ZN4vllm25paged_attention_v1_kernelI14__hip_bfloat16S1_Li32ELi8ELi128ELNS_18Fp8KVCacheDataTypeE0ELb0EEEvPT_PKS3_PKT0_S9_ifPKiSB_iPKfiiiSD_SD_iiiii ; -- Begin function _ZN4vllm25paged_attention_v1_kernelI14__hip_bfloat16S1_Li32ELi8ELi128ELNS_18Fp8KVCacheDataTypeE0ELb0EEEvPT_PKS3_PKT0_S9_ifPKiSB_iPKfiiiSD_SD_iiiii
	.globl	_ZN4vllm25paged_attention_v1_kernelI14__hip_bfloat16S1_Li32ELi8ELi128ELNS_18Fp8KVCacheDataTypeE0ELb0EEEvPT_PKS3_PKT0_S9_ifPKiSB_iPKfiiiSD_SD_iiiii
	.p2align	8
	.type	_ZN4vllm25paged_attention_v1_kernelI14__hip_bfloat16S1_Li32ELi8ELi128ELNS_18Fp8KVCacheDataTypeE0ELb0EEEvPT_PKS3_PKT0_S9_ifPKiSB_iPKfiiiSD_SD_iiiii,@function
_ZN4vllm25paged_attention_v1_kernelI14__hip_bfloat16S1_Li32ELi8ELi128ELNS_18Fp8KVCacheDataTypeE0ELb0EEEvPT_PKS3_PKT0_S9_ifPKiSB_iPKfiiiSD_SD_iiiii: ; @_ZN4vllm25paged_attention_v1_kernelI14__hip_bfloat16S1_Li32ELi8ELi128ELNS_18Fp8KVCacheDataTypeE0ELb0EEEvPT_PKS3_PKT0_S9_ifPKiSB_iPKfiiiSD_SD_iiiii
; %bb.0:
	s_load_dword s9, s[4:5], 0x80
	s_load_dwordx2 s[0:1], s[4:5], 0x30
	s_load_dwordx2 s[26:27], s[4:5], 0x20
	s_mov_b32 s10, s7
	s_ashr_i32 s11, s7, 31
	s_lshl_b64 s[2:3], s[10:11], 2
	s_waitcnt lgkmcnt(0)
	s_add_u32 s0, s0, s2
	s_addc_u32 s1, s1, s3
	s_abs_i32 s2, s26
	v_cvt_f32_u32_e32 v1, s2
	s_sub_i32 s11, 0, s2
	s_abs_i32 s7, s9
	s_xor_b32 s3, s9, s26
	v_rcp_iflag_f32_e32 v1, v1
	s_ashr_i32 s3, s3, 31
	s_mov_b32 s26, 0
	v_mul_f32_e32 v1, 0x4f7ffffe, v1
	v_cvt_u32_f32_e32 v1, v1
	v_readfirstlane_b32 s12, v1
	s_mul_i32 s11, s11, s12
	s_mul_hi_u32 s11, s12, s11
	s_add_i32 s12, s12, s11
	s_mul_hi_u32 s11, s7, s12
	s_mul_i32 s12, s11, s2
	s_sub_i32 s7, s7, s12
	s_add_i32 s12, s11, 1
	s_sub_i32 s13, s7, s2
	s_cmp_ge_u32 s7, s2
	s_cselect_b32 s11, s12, s11
	s_cselect_b32 s7, s13, s7
	s_add_i32 s12, s11, 1
	s_cmp_ge_u32 s7, s2
	s_cselect_b32 s2, s12, s11
	s_xor_b32 s2, s2, s3
	s_sub_i32 s16, s2, s3
	s_abs_i32 s18, s16
	v_cvt_f32_u32_e32 v1, s18
	s_load_dwordx2 s[2:3], s[4:5], 0x40
	s_sub_i32 s7, 0, s18
	s_abs_i32 s19, s6
	v_rcp_iflag_f32_e32 v1, v1
	v_mul_f32_e32 v1, 0x4f7ffffe, v1
	v_cvt_u32_f32_e32 v1, v1
	v_readfirstlane_b32 s11, v1
	s_mul_i32 s7, s7, s11
	s_mul_hi_u32 s7, s11, s7
	s_add_i32 s11, s11, s7
	s_waitcnt lgkmcnt(0)
	s_cmp_eq_u64 s[2:3], 0
	s_mul_hi_u32 s22, s19, s11
	s_cbranch_scc1 .LBB117_2
; %bb.1:
	s_ashr_i32 s7, s6, 31
	s_lshl_b64 s[12:13], s[6:7], 2
	s_add_u32 s2, s2, s12
	s_addc_u32 s3, s3, s13
	s_load_dword s26, s[2:3], 0x0
.LBB117_2:
	s_load_dword s11, s[0:1], 0x0
	s_load_dwordx4 s[12:15], s[4:5], 0x48
	s_ashr_i32 s2, s6, 31
	s_ashr_i32 s3, s16, 31
	v_and_b32_e32 v1, 7, v0
	s_lshl_b32 s16, s6, 5
	v_cmp_gt_u32_e32 vcc, 32, v0
	s_and_saveexec_b64 s[0:1], vcc
	s_cbranch_execz .LBB117_4
; %bb.3:
	s_load_dwordx2 s[6:7], s[4:5], 0x8
	s_waitcnt lgkmcnt(0)
	s_mul_i32 s20, s12, s10
	s_ashr_i32 s21, s20, 31
	s_lshl_b64 s[20:21], s[20:21], 1
	v_lshlrev_b32_e32 v2, 1, v0
	s_add_u32 s12, s6, s20
	s_addc_u32 s15, s7, s21
	s_ashr_i32 s17, s16, 31
	s_lshl_b64 s[6:7], s[16:17], 1
	s_add_u32 s6, s12, s6
	s_addc_u32 s7, s15, s7
	global_load_ushort v2, v2, s[6:7]
	v_lshrrev_b32_e32 v3, 2, v0
	v_and_b32_e32 v3, 0xfe, v3
	v_lshl_add_u32 v3, v1, 3, v3
	s_waitcnt vmcnt(0)
	ds_write_b16 v3, v2
.LBB117_4:
	s_or_b64 exec, exec, s[0:1]
	s_waitcnt lgkmcnt(0)
	s_add_i32 s1, s11, 7
	s_ashr_i32 s6, s1, 31
	s_lshr_b32 s6, s6, 29
	s_add_i32 s1, s1, s6
	s_ashr_i32 s33, s1, 3
	s_xor_b32 s1, s2, s3
	s_mul_i32 s2, s22, s18
	s_sub_i32 s2, s19, s2
	s_add_i32 s3, s22, 1
	s_sub_i32 s6, s2, s18
	s_load_dwordx2 s[20:21], s[4:5], 0x28
	s_load_dword s0, s[4:5], 0x38
	s_cmp_ge_u32 s2, s18
	s_cselect_b32 s3, s3, s22
	s_cselect_b32 s2, s6, s2
	s_add_i32 s6, s3, 1
	s_cmp_ge_u32 s2, s18
	s_cselect_b32 s2, s6, s3
	v_lshrrev_b32_e32 v15, 6, v0
	s_xor_b32 s2, s2, s1
	s_waitcnt lgkmcnt(0)
	s_mul_i32 s22, s0, s10
	s_sub_i32 s12, s2, s1
	s_ashr_i32 s23, s22, 31
	v_cmp_gt_i32_e64 s[0:1], s33, v15
	v_cmp_le_i32_e32 vcc, s33, v15
	v_mbcnt_lo_u32_b32 v2, -1, 0
	s_barrier
                                        ; implicit-def: $vgpr4
                                        ; implicit-def: $vgpr6
                                        ; implicit-def: $vgpr5
	s_and_saveexec_b64 s[2:3], vcc
	s_xor_b64 s[2:3], exec, s[2:3]
; %bb.5:
	v_mbcnt_hi_u32_b32 v4, -1, v2
	v_and_b32_e32 v6, 64, v4
	v_add_u32_e32 v5, 64, v6
                                        ; implicit-def: $vgpr1
                                        ; implicit-def: $vgpr2
; %bb.6:
	s_or_saveexec_b64 s[6:7], s[2:3]
	s_load_dwordx2 s[18:19], s[4:5], 0x0
	s_load_dwordx2 s[24:25], s[4:5], 0x18
	s_load_dword s17, s[4:5], 0x88
	v_mov_b32_e32 v11, 0xff7fffff
	s_mul_i32 s14, s12, s14
	v_lshrrev_b32_e32 v3, 4, v0
	s_xor_b64 exec, exec, s[6:7]
	s_cbranch_execz .LBB117_12
; %bb.7:
	s_load_dwordx2 s[2:3], s[4:5], 0x10
	s_ashr_i32 s15, s14, 31
	s_lshl_b64 s[4:5], s[14:15], 1
	v_bfe_u32 v11, v0, 3, 3
	v_lshlrev_b32_e32 v4, 4, v11
	s_waitcnt lgkmcnt(0)
	s_add_u32 s2, s2, s4
	s_addc_u32 s3, s3, s5
	v_mov_b32_e32 v5, s3
	v_add_co_u32_e32 v6, vcc, s2, v4
	v_lshlrev_b32_e32 v4, 3, v1
	v_addc_co_u32_e32 v8, vcc, 0, v5, vcc
	ds_read_b64 v[4:5], v4
	v_lshlrev_b32_e32 v7, 1, v1
	v_add_co_u32_e32 v7, vcc, v6, v7
	v_addc_co_u32_e32 v8, vcc, 0, v8, vcc
	s_waitcnt lgkmcnt(0)
	v_lshlrev_b32_e32 v9, 16, v4
	v_and_b32_e32 v10, 0xffff0000, v4
	v_mbcnt_hi_u32_b32 v4, -1, v2
	v_and_b32_e32 v6, 64, v4
	v_lshlrev_b32_e32 v12, 16, v5
	v_and_b32_e32 v13, 0xffff0000, v5
	v_add_u32_e32 v5, 64, v6
	v_xor_b32_e32 v2, 4, v4
	v_cmp_lt_i32_e32 vcc, v2, v5
	v_cndmask_b32_e32 v2, v4, v2, vcc
	v_lshlrev_b32_e32 v14, 2, v2
	v_xor_b32_e32 v2, 2, v4
	v_cmp_lt_i32_e32 vcc, v2, v5
	v_cndmask_b32_e32 v2, v4, v2, vcc
	v_lshlrev_b32_e32 v16, 2, v2
	v_xor_b32_e32 v2, 1, v4
	v_cmp_lt_i32_e32 vcc, v2, v5
	v_cndmask_b32_e32 v2, v4, v2, vcc
	v_cmp_eq_u32_e32 vcc, 0, v1
	s_sub_i32 s15, 1, s11
	v_lshlrev_b32_e32 v1, 2, v11
	s_lshl_b64 s[4:5], s[22:23], 2
	v_lshl_or_b32 v1, v15, 5, v1
	s_add_u32 s4, s20, s4
	v_add_u32_e32 v19, 0x50, v1
	v_and_b32_e32 v1, 60, v3
	s_addc_u32 s5, s21, s5
	v_lshlrev_b32_e32 v17, 2, v2
	v_mov_b32_e32 v2, s5
	v_add_co_u32_e64 v1, s[4:5], s4, v1
	s_mov_b32 s12, s13
	v_cmp_neq_f32_e64 s[2:3], s26, 0
	v_lshl_or_b32 v18, v15, 3, v11
	v_addc_co_u32_e64 v2, s[4:5], 0, v2, s[4:5]
	v_mov_b32_e32 v11, 0xff7fffff
	s_mov_b64 s[28:29], 0
	v_mov_b32_e32 v20, v15
	s_branch .LBB117_9
.LBB117_8:                              ;   in Loop: Header=BB117_9 Depth=1
	s_or_b64 exec, exec, s[30:31]
	v_add_u32_e32 v20, 2, v20
	v_cmp_le_i32_e64 s[4:5], s33, v20
	s_or_b64 s[28:29], s[4:5], s[28:29]
	v_add_co_u32_e64 v1, s[4:5], 8, v1
	v_add_u32_e32 v18, 16, v18
	v_add_u32_e32 v19, 64, v19
	v_addc_co_u32_e64 v2, s[4:5], 0, v2, s[4:5]
	s_andn2_b64 exec, exec, s[28:29]
	s_cbranch_execz .LBB117_11
.LBB117_9:                              ; =>This Inner Loop Header: Depth=1
	global_load_dword v21, v[1:2], off
	s_waitcnt vmcnt(0) lgkmcnt(0)
	v_mad_i64_i32 v[21:22], s[4:5], v21, s12, 0
	v_lshlrev_b64 v[21:22], 1, v[21:22]
	v_add_co_u32_e64 v21, s[4:5], v7, v21
	v_addc_co_u32_e64 v22, s[4:5], v8, v22, s[4:5]
	global_load_ushort v23, v[21:22], off
	global_load_ushort v24, v[21:22], off offset:128
	global_load_ushort v25, v[21:22], off offset:256
	;; [unrolled: 1-line block ×3, first 2 shown]
	s_waitcnt vmcnt(3)
	v_lshlrev_b32_e32 v21, 16, v23
	s_waitcnt vmcnt(2)
	v_lshlrev_b32_e32 v22, 16, v24
	v_mul_f32_e32 v22, v10, v22
	s_waitcnt vmcnt(1)
	v_lshlrev_b32_e32 v23, 16, v25
	v_fmac_f32_e32 v22, v9, v21
	v_fmac_f32_e32 v22, v12, v23
	s_waitcnt vmcnt(0)
	v_lshlrev_b32_e32 v21, 16, v26
	v_fmac_f32_e32 v22, v13, v21
	ds_bpermute_b32 v21, v14, v22
	s_waitcnt lgkmcnt(0)
	v_add_f32_e32 v21, v22, v21
	ds_bpermute_b32 v22, v16, v21
	s_waitcnt lgkmcnt(0)
	v_add_f32_e32 v21, v21, v22
	ds_bpermute_b32 v22, v17, v21
	s_and_saveexec_b64 s[30:31], vcc
	s_cbranch_execz .LBB117_8
; %bb.10:                               ;   in Loop: Header=BB117_9 Depth=1
	v_add_u32_e32 v23, s15, v18
	v_cvt_f32_i32_e32 v23, v23
	s_waitcnt lgkmcnt(0)
	v_add_f32_e32 v21, v21, v22
	v_cmp_gt_i32_e64 s[4:5], s11, v18
	v_max_f32_e32 v22, v11, v11
	v_mul_f32_e32 v23, s26, v23
	v_cndmask_b32_e64 v23, 0, v23, s[2:3]
	v_fmac_f32_e32 v23, s27, v21
	v_cndmask_b32_e64 v21, 0, v23, s[4:5]
	ds_write_b32 v19, v21
	v_max_f32_e32 v21, v22, v23
	v_cndmask_b32_e64 v11, v11, v21, s[4:5]
	s_branch .LBB117_8
.LBB117_11:
	s_or_b64 exec, exec, s[28:29]
.LBB117_12:
	s_or_b64 exec, exec, s[6:7]
	v_xor_b32_e32 v1, 32, v4
	v_cmp_lt_i32_e32 vcc, v1, v5
	v_cndmask_b32_e32 v1, v4, v1, vcc
	v_lshlrev_b32_e32 v2, 2, v1
	ds_bpermute_b32 v1, v2, v11
	v_xor_b32_e32 v8, 16, v4
	v_max_f32_e32 v7, v11, v11
	v_cmp_lt_i32_e32 vcc, v8, v5
	v_xor_b32_e32 v9, 8, v4
	s_waitcnt lgkmcnt(0)
	v_max_f32_e32 v1, v1, v1
	v_max_f32_e32 v1, v7, v1
	v_cndmask_b32_e32 v7, v4, v8, vcc
	v_lshlrev_b32_e32 v8, 2, v7
	ds_bpermute_b32 v7, v8, v1
	v_cmp_lt_i32_e32 vcc, v9, v5
	v_and_b32_e32 v16, 63, v0
	s_waitcnt lgkmcnt(0)
	v_max_f32_e32 v7, v7, v7
	v_max_f32_e32 v7, v1, v7
	v_cndmask_b32_e32 v1, v4, v9, vcc
	v_lshlrev_b32_e32 v10, 2, v1
	ds_bpermute_b32 v9, v10, v7
	v_cmp_eq_u32_e32 vcc, 0, v16
	v_lshlrev_b32_e32 v1, 2, v15
	s_and_saveexec_b64 s[2:3], vcc
	s_cbranch_execz .LBB117_14
; %bb.13:
	s_waitcnt lgkmcnt(0)
	v_max_f32_e32 v9, v9, v9
	v_max_f32_e32 v7, v7, v7
	v_max_f32_e32 v7, v7, v9
	ds_write_b32 v1, v7 offset:64
.LBB117_14:
	s_or_b64 exec, exec, s[2:3]
	v_cmp_gt_u32_e64 s[2:3], 2, v16
	v_mov_b32_e32 v11, 0xff7fffff
	v_lshlrev_b32_e32 v7, 2, v16
	s_waitcnt lgkmcnt(0)
	s_barrier
	s_and_saveexec_b64 s[4:5], s[2:3]
; %bb.15:
	ds_read_b32 v11, v7 offset:64
; %bb.16:
	s_or_b64 exec, exec, s[4:5]
	v_xor_b32_e32 v9, 1, v4
	v_cmp_lt_i32_e64 s[4:5], v9, v5
	v_cndmask_b32_e64 v9, v4, v9, s[4:5]
	v_lshlrev_b32_e32 v9, 2, v9
	s_waitcnt lgkmcnt(0)
	ds_bpermute_b32 v12, v9, v11
	v_max_f32_e32 v11, v11, v11
	v_lshlrev_b32_e32 v6, 2, v6
	s_lshl_b32 s4, s33, 3
	s_min_i32 s12, s4, s11
	s_waitcnt lgkmcnt(0)
	v_max_f32_e32 v12, v12, v12
	v_max_f32_e32 v11, v11, v12
	ds_bpermute_b32 v11, v6, v11
	v_cmp_gt_i32_e64 s[4:5], s12, v0
	v_mov_b32_e32 v6, 0
	s_and_saveexec_b64 s[26:27], s[4:5]
	s_cbranch_execz .LBB117_20
; %bb.17:
	v_mov_b32_e32 v6, 0x50
	v_lshl_add_u32 v12, v0, 2, v6
	v_mov_b32_e32 v6, 0
	s_mov_b64 s[28:29], 0
	v_mov_b32_e32 v13, v0
.LBB117_18:                             ; =>This Inner Loop Header: Depth=1
	ds_read_b32 v14, v12
	v_add_u32_e32 v13, 0x80, v13
	v_cmp_le_i32_e64 s[6:7], s12, v13
	s_or_b64 s[28:29], s[6:7], s[28:29]
	s_waitcnt lgkmcnt(0)
	v_sub_f32_e32 v14, v14, v11
	v_mul_f32_e32 v14, 0x3fb8aa3b, v14
	v_exp_f32_e32 v14, v14
	ds_write_b32 v12, v14
	v_add_f32_e32 v6, v6, v14
	v_add_u32_e32 v12, 0x200, v12
	s_andn2_b64 exec, exec, s[28:29]
	s_cbranch_execnz .LBB117_18
; %bb.19:
	s_or_b64 exec, exec, s[28:29]
.LBB117_20:
	s_or_b64 exec, exec, s[26:27]
	ds_bpermute_b32 v2, v2, v6
	s_waitcnt lgkmcnt(0)
	v_add_f32_e32 v2, v6, v2
	ds_bpermute_b32 v6, v8, v2
	v_xor_b32_e32 v8, 4, v4
	v_cmp_lt_i32_e64 s[6:7], v8, v5
	v_cndmask_b32_e64 v8, v4, v8, s[6:7]
	v_lshlrev_b32_e32 v8, 2, v8
	s_waitcnt lgkmcnt(0)
	v_add_f32_e32 v2, v2, v6
	ds_bpermute_b32 v6, v10, v2
	s_waitcnt lgkmcnt(0)
	v_add_f32_e32 v2, v2, v6
	ds_bpermute_b32 v6, v8, v2
	v_xor_b32_e32 v8, 2, v4
	v_cmp_lt_i32_e64 s[6:7], v8, v5
	v_cndmask_b32_e64 v5, v4, v8, s[6:7]
	v_lshlrev_b32_e32 v5, 2, v5
	s_waitcnt lgkmcnt(0)
	v_add_f32_e32 v2, v2, v6
	ds_bpermute_b32 v5, v5, v2
	s_waitcnt lgkmcnt(0)
	v_add_f32_e32 v2, v2, v5
	ds_bpermute_b32 v5, v9, v2
	s_waitcnt lgkmcnt(0)
	v_add_f32_e32 v2, v2, v5
	s_and_saveexec_b64 s[6:7], vcc
; %bb.21:
	ds_write_b32 v1, v2 offset:72
; %bb.22:
	s_or_b64 exec, exec, s[6:7]
	s_waitcnt lgkmcnt(0)
	s_barrier
	s_and_saveexec_b64 s[6:7], s[2:3]
; %bb.23:
	ds_read_b32 v2, v7 offset:72
; %bb.24:
	s_or_b64 exec, exec, s[6:7]
	s_waitcnt lgkmcnt(0)
	ds_bpermute_b32 v1, v9, v2
	v_lshlrev_b32_e32 v4, 2, v4
	s_waitcnt lgkmcnt(0)
	v_add_f32_e32 v1, v2, v1
	v_and_b32_e32 v2, 0xffffff00, v4
	ds_bpermute_b32 v1, v2, v1
	s_and_saveexec_b64 s[2:3], s[4:5]
	s_cbranch_execz .LBB117_27
; %bb.25:
	s_waitcnt lgkmcnt(0)
	v_add_f32_e32 v2, 0x358637bd, v1
	v_div_scale_f32 v1, s[4:5], v2, v2, 1.0
	v_div_scale_f32 v4, vcc, 1.0, v2, 1.0
	s_mov_b64 s[4:5], 0
	v_rcp_f32_e32 v5, v1
	v_fma_f32 v6, -v1, v5, 1.0
	v_fmac_f32_e32 v5, v6, v5
	v_mul_f32_e32 v6, v4, v5
	v_fma_f32 v7, -v1, v6, v4
	v_fmac_f32_e32 v6, v7, v5
	v_fma_f32 v1, -v1, v6, v4
	v_div_fmas_f32 v4, v1, v5, v6
	v_mov_b32_e32 v1, 0x50
	v_lshl_add_u32 v1, v0, 2, v1
	v_div_fixup_f32 v2, v4, v2, 1.0
	v_mov_b32_e32 v4, v0
.LBB117_26:                             ; =>This Inner Loop Header: Depth=1
	ds_read_b32 v5, v1
	v_add_u32_e32 v4, 0x80, v4
	v_cmp_le_i32_e32 vcc, s12, v4
	s_or_b64 s[4:5], vcc, s[4:5]
	s_waitcnt lgkmcnt(0)
	v_mul_f32_e32 v5, v2, v5
	ds_write_b32 v1, v5
	v_add_u32_e32 v1, 0x200, v1
	s_andn2_b64 exec, exec, s[4:5]
	s_cbranch_execnz .LBB117_26
.LBB117_27:
	s_or_b64 exec, exec, s[2:3]
	v_mov_b32_e32 v17, 0
	s_waitcnt lgkmcnt(0)
	s_barrier
	s_and_saveexec_b64 s[4:5], s[0:1]
	s_cbranch_execz .LBB117_35
; %bb.28:
	s_ashr_i32 s15, s14, 31
	s_lshl_b64 s[0:1], s[14:15], 1
	s_add_u32 s2, s24, s0
	s_addc_u32 s3, s25, s1
	v_lshlrev_b32_e32 v1, 4, v16
	v_mov_b32_e32 v2, s3
	v_add_co_u32_e32 v19, vcc, s2, v1
	s_add_i32 s24, s33, -1
	s_lshl_b64 s[2:3], s[22:23], 2
	s_add_u32 s2, s20, s2
	v_addc_co_u32_e32 v20, vcc, 0, v2, vcc
	v_and_b32_e32 v1, 60, v3
	s_addc_u32 s3, s21, s3
	v_mov_b32_e32 v2, s3
	v_add_co_u32_e32 v13, vcc, s2, v1
	v_mov_b32_e32 v1, 0x50
	s_mov_b32 s26, s13
	v_cmp_gt_u32_e64 s[0:1], 32, v16
	v_mov_b32_e32 v18, 0
	s_mov_b32 s25, s11
	v_addc_co_u32_e32 v14, vcc, 0, v2, vcc
	v_lshlrev_b32_e32 v21, 3, v15
	v_lshl_add_u32 v22, v15, 5, v1
	s_mov_b64 s[6:7], 0
	s_mov_b32 s20, 0x5040100
	s_movk_i32 s21, 0x7fff
	v_mov_b32_e32 v17, 0
	s_branch .LBB117_31
.LBB117_29:                             ;   in Loop: Header=BB117_31 Depth=1
	s_or_b64 exec, exec, s[14:15]
	s_waitcnt lgkmcnt(1)
	v_bfe_u32 v23, v9, 16, 1
	v_add3_u32 v23, v23, v9, s21
	v_or_b32_e32 v24, 0x400000, v9
	v_cmp_u_f32_e32 vcc, v9, v9
	v_cndmask_b32_e32 v9, v23, v24, vcc
	v_bfe_u32 v23, v10, 16, 1
	v_add3_u32 v23, v23, v10, s21
	v_or_b32_e32 v24, 0x400000, v10
	v_cmp_u_f32_e32 vcc, v10, v10
	v_cndmask_b32_e32 v10, v23, v24, vcc
	;; [unrolled: 5-line block ×4, first 2 shown]
	s_waitcnt lgkmcnt(0)
	v_bfe_u32 v23, v5, 16, 1
	v_add3_u32 v23, v23, v5, s21
	v_or_b32_e32 v24, 0x400000, v5
	v_cmp_u_f32_e32 vcc, v5, v5
	v_cndmask_b32_e32 v5, v23, v24, vcc
	v_bfe_u32 v23, v6, 16, 1
	v_add3_u32 v23, v23, v6, s21
	v_or_b32_e32 v24, 0x400000, v6
	v_cmp_u_f32_e32 vcc, v6, v6
	v_cndmask_b32_e32 v6, v23, v24, vcc
	;; [unrolled: 5-line block ×4, first 2 shown]
	v_and_b32_e32 v9, 0xffff0000, v9
	s_waitcnt vmcnt(0)
	v_lshlrev_b32_e32 v23, 16, v1
	v_mul_f32_e32 v9, v9, v23
	v_and_b32_e32 v10, 0xffff0000, v10
	v_and_b32_e32 v1, 0xffff0000, v1
	v_bfe_u32 v23, v9, 16, 1
	v_mul_f32_e32 v1, v10, v1
	v_add3_u32 v23, v23, v9, s21
	v_or_b32_e32 v24, 0x400000, v9
	v_cmp_u_f32_e32 vcc, v9, v9
	v_bfe_u32 v10, v1, 16, 1
	v_cndmask_b32_e32 v9, v23, v24, vcc
	v_add3_u32 v10, v10, v1, s21
	v_or_b32_e32 v23, 0x400000, v1
	v_cmp_u_f32_e32 vcc, v1, v1
	v_cndmask_b32_e32 v1, v10, v23, vcc
	v_and_b32_e32 v10, 0xffff0000, v11
	v_lshlrev_b32_e32 v11, 16, v2
	v_mul_f32_e32 v10, v10, v11
	v_bfe_u32 v11, v10, 16, 1
	v_add3_u32 v11, v11, v10, s21
	v_or_b32_e32 v23, 0x400000, v10
	v_cmp_u_f32_e32 vcc, v10, v10
	v_cndmask_b32_e32 v10, v11, v23, vcc
	v_and_b32_e32 v11, 0xffff0000, v12
	v_and_b32_e32 v2, 0xffff0000, v2
	v_mul_f32_e32 v2, v11, v2
	v_bfe_u32 v11, v2, 16, 1
	v_add3_u32 v11, v11, v2, s21
	v_or_b32_e32 v12, 0x400000, v2
	v_cmp_u_f32_e32 vcc, v2, v2
	v_cndmask_b32_e32 v2, v11, v12, vcc
	v_and_b32_e32 v5, 0xffff0000, v5
	v_lshlrev_b32_e32 v11, 16, v3
	v_mul_f32_e32 v5, v5, v11
	v_and_b32_e32 v6, 0xffff0000, v6
	v_and_b32_e32 v3, 0xffff0000, v3
	v_bfe_u32 v11, v5, 16, 1
	v_mul_f32_e32 v3, v6, v3
	v_add3_u32 v11, v11, v5, s21
	v_or_b32_e32 v12, 0x400000, v5
	v_cmp_u_f32_e32 vcc, v5, v5
	v_bfe_u32 v6, v3, 16, 1
	v_cndmask_b32_e32 v5, v11, v12, vcc
	v_add3_u32 v6, v6, v3, s21
	v_or_b32_e32 v11, 0x400000, v3
	v_cmp_u_f32_e32 vcc, v3, v3
	v_cndmask_b32_e32 v3, v6, v11, vcc
	v_and_b32_e32 v6, 0xffff0000, v7
	v_lshlrev_b32_e32 v7, 16, v4
	v_mul_f32_e32 v6, v6, v7
	v_bfe_u32 v7, v6, 16, 1
	v_add3_u32 v7, v7, v6, s21
	v_or_b32_e32 v11, 0x400000, v6
	v_cmp_u_f32_e32 vcc, v6, v6
	v_cndmask_b32_e32 v6, v7, v11, vcc
	v_and_b32_e32 v7, 0xffff0000, v8
	v_and_b32_e32 v4, 0xffff0000, v4
	v_mul_f32_e32 v4, v7, v4
	v_bfe_u32 v7, v4, 16, 1
	v_add3_u32 v7, v7, v4, s21
	v_or_b32_e32 v8, 0x400000, v4
	v_cmp_u_f32_e32 vcc, v4, v4
	v_cndmask_b32_e32 v4, v7, v8, vcc
	v_and_b32_e32 v1, 0xffff0000, v1
	v_and_b32_e32 v7, 0xffff0000, v9
	v_add_f32_e32 v1, v7, v1
	v_and_b32_e32 v2, 0xffff0000, v2
	v_and_b32_e32 v7, 0xffff0000, v10
	v_add_f32_e32 v2, v7, v2
	v_add_f32_e32 v1, v2, v1
	v_and_b32_e32 v2, 0xffff0000, v3
	v_and_b32_e32 v3, 0xffff0000, v5
	v_add_f32_e32 v2, v3, v2
	;; [unrolled: 4-line block ×3, first 2 shown]
	v_add_f32_e32 v1, v2, v1
	v_add_f32_e32 v17, v17, v1
.LBB117_30:                             ;   in Loop: Header=BB117_31 Depth=1
	s_or_b64 exec, exec, s[12:13]
	v_add_co_u32_e32 v13, vcc, 8, v13
	v_add_u32_e32 v15, 2, v15
	v_addc_co_u32_e32 v14, vcc, 0, v14, vcc
	v_cmp_le_i32_e32 vcc, s33, v15
	v_add_u32_e32 v21, 16, v21
	s_or_b64 s[6:7], vcc, s[6:7]
	v_add_u32_e32 v22, 64, v22
	s_andn2_b64 exec, exec, s[6:7]
	s_cbranch_execz .LBB117_34
.LBB117_31:                             ; =>This Inner Loop Header: Depth=1
	s_and_saveexec_b64 s[12:13], s[0:1]
	s_cbranch_execz .LBB117_30
; %bb.32:                               ;   in Loop: Header=BB117_31 Depth=1
	global_load_dword v1, v[13:14], off
	s_waitcnt vmcnt(0)
	v_mad_i64_i32 v[1:2], s[2:3], v1, s26, 0
	v_lshlrev_b64 v[1:2], 1, v[1:2]
	v_add_co_u32_e32 v1, vcc, v19, v1
	v_addc_co_u32_e32 v2, vcc, v20, v2, vcc
	global_load_dwordx4 v[1:4], v[1:2], off
	ds_read2_b64 v[9:12], v22 offset1:1
	ds_read2_b64 v[5:8], v22 offset0:2 offset1:3
	v_cmp_eq_u32_e32 vcc, s24, v15
	s_and_saveexec_b64 s[14:15], vcc
	s_cbranch_execz .LBB117_29
; %bb.33:                               ;   in Loop: Header=BB117_31 Depth=1
	v_add_u32_e32 v23, 1, v21
	v_cmp_gt_i32_e32 vcc, s25, v23
	s_waitcnt vmcnt(0)
	v_cndmask_b32_sdwa v23, v18, v1, vcc dst_sel:DWORD dst_unused:UNUSED_PAD src0_sel:DWORD src1_sel:WORD_1
	v_cmp_gt_i32_e32 vcc, s11, v21
	v_cndmask_b32_e32 v1, 0, v1, vcc
	v_perm_b32 v1, v23, v1, s20
	v_or_b32_e32 v23, 3, v21
	v_or_b32_e32 v24, 2, v21
	v_cmp_gt_i32_e32 vcc, s25, v23
	v_cmp_gt_i32_e64 s[2:3], s11, v24
	v_cndmask_b32_e64 v23, 0, v2, s[2:3]
	v_cndmask_b32_sdwa v2, v18, v2, vcc dst_sel:DWORD dst_unused:UNUSED_PAD src0_sel:DWORD src1_sel:WORD_1
	v_perm_b32 v2, v2, v23, s20
	v_or_b32_e32 v23, 5, v21
	v_or_b32_e32 v24, 4, v21
	v_cmp_gt_i32_e32 vcc, s25, v23
	v_cmp_gt_i32_e64 s[2:3], s11, v24
	v_cndmask_b32_e64 v23, 0, v3, s[2:3]
	v_cndmask_b32_sdwa v3, v18, v3, vcc dst_sel:DWORD dst_unused:UNUSED_PAD src0_sel:DWORD src1_sel:WORD_1
	;; [unrolled: 7-line block ×3, first 2 shown]
	v_perm_b32 v4, v4, v23, s20
	s_branch .LBB117_29
.LBB117_34:
	s_or_b64 exec, exec, s[6:7]
.LBB117_35:
	s_or_b64 exec, exec, s[4:5]
	v_and_b32_e32 v1, 0x3c0, v0
	v_cmp_eq_u32_e64 s[0:1], 64, v1
	v_cmp_gt_u32_e64 s[2:3], 32, v16
	v_mov_b32_e32 v1, 0x50
	v_cmp_lt_u32_e32 vcc, 31, v16
	v_lshl_add_u32 v1, v16, 2, v1
	s_and_b64 s[2:3], s[0:1], s[2:3]
	s_barrier
	s_and_saveexec_b64 s[0:1], s[2:3]
; %bb.36:
	ds_write_b32 v1, v17
; %bb.37:
	s_or_b64 exec, exec, s[0:1]
	v_cmp_gt_u32_e64 s[0:1], 64, v0
	s_xor_b64 s[2:3], vcc, -1
	s_and_b64 s[2:3], s[0:1], s[2:3]
	s_waitcnt lgkmcnt(0)
	s_barrier
	s_and_saveexec_b64 s[0:1], s[2:3]
	s_cbranch_execz .LBB117_39
; %bb.38:
	ds_read_b32 v1, v1
	s_waitcnt lgkmcnt(0)
	v_add_f32_e32 v17, v17, v1
.LBB117_39:
	s_or_b64 exec, exec, s[0:1]
	v_cmp_gt_u32_e32 vcc, 64, v0
	v_cmp_gt_u32_e64 s[0:1], 32, v16
	s_and_b64 s[0:1], vcc, s[0:1]
	s_barrier
	s_and_saveexec_b64 s[2:3], s[0:1]
	s_cbranch_execz .LBB117_41
; %bb.40:
	s_mul_i32 s0, s10, s17
	s_mul_i32 s0, s0, s9
	s_lshl_b32 s0, s0, 5
	s_ashr_i32 s1, s0, 31
	s_lshl_b64 s[0:1], s[0:1], 1
	s_add_u32 s2, s18, s0
	s_mul_i32 s0, s17, s16
	s_addc_u32 s3, s19, s1
	s_ashr_i32 s1, s0, 31
	s_lshl_b64 s[0:1], s[0:1], 1
	s_add_u32 s2, s2, s0
	s_addc_u32 s3, s3, s1
	s_lshl_b32 s0, s8, 5
	s_ashr_i32 s1, s0, 31
	s_lshl_b64 s[0:1], s[0:1], 1
	s_add_u32 s0, s2, s0
	v_bfe_u32 v1, v17, 16, 1
	s_movk_i32 s2, 0x7fff
	v_add3_u32 v1, v1, v17, s2
	v_or_b32_e32 v2, 0x400000, v17
	v_cmp_u_f32_e32 vcc, v17, v17
	s_addc_u32 s1, s3, s1
	v_lshlrev_b32_e32 v0, 1, v16
	v_cndmask_b32_e32 v1, v1, v2, vcc
	global_store_short_d16_hi v0, v1, s[0:1]
.LBB117_41:
	s_endpgm
	.section	.rodata,"a",@progbits
	.p2align	6, 0x0
	.amdhsa_kernel _ZN4vllm25paged_attention_v1_kernelI14__hip_bfloat16S1_Li32ELi8ELi128ELNS_18Fp8KVCacheDataTypeE0ELb0EEEvPT_PKS3_PKT0_S9_ifPKiSB_iPKfiiiSD_SD_iiiii
		.amdhsa_group_segment_fixed_size 80
		.amdhsa_private_segment_fixed_size 0
		.amdhsa_kernarg_size 384
		.amdhsa_user_sgpr_count 6
		.amdhsa_user_sgpr_private_segment_buffer 1
		.amdhsa_user_sgpr_dispatch_ptr 0
		.amdhsa_user_sgpr_queue_ptr 0
		.amdhsa_user_sgpr_kernarg_segment_ptr 1
		.amdhsa_user_sgpr_dispatch_id 0
		.amdhsa_user_sgpr_flat_scratch_init 0
		.amdhsa_user_sgpr_private_segment_size 0
		.amdhsa_uses_dynamic_stack 0
		.amdhsa_system_sgpr_private_segment_wavefront_offset 0
		.amdhsa_system_sgpr_workgroup_id_x 1
		.amdhsa_system_sgpr_workgroup_id_y 1
		.amdhsa_system_sgpr_workgroup_id_z 1
		.amdhsa_system_sgpr_workgroup_info 0
		.amdhsa_system_vgpr_workitem_id 0
		.amdhsa_next_free_vgpr 27
		.amdhsa_next_free_sgpr 34
		.amdhsa_reserve_vcc 1
		.amdhsa_reserve_flat_scratch 0
		.amdhsa_float_round_mode_32 0
		.amdhsa_float_round_mode_16_64 0
		.amdhsa_float_denorm_mode_32 3
		.amdhsa_float_denorm_mode_16_64 3
		.amdhsa_dx10_clamp 1
		.amdhsa_ieee_mode 1
		.amdhsa_fp16_overflow 0
		.amdhsa_exception_fp_ieee_invalid_op 0
		.amdhsa_exception_fp_denorm_src 0
		.amdhsa_exception_fp_ieee_div_zero 0
		.amdhsa_exception_fp_ieee_overflow 0
		.amdhsa_exception_fp_ieee_underflow 0
		.amdhsa_exception_fp_ieee_inexact 0
		.amdhsa_exception_int_div_zero 0
	.end_amdhsa_kernel
	.section	.text._ZN4vllm25paged_attention_v1_kernelI14__hip_bfloat16S1_Li32ELi8ELi128ELNS_18Fp8KVCacheDataTypeE0ELb0EEEvPT_PKS3_PKT0_S9_ifPKiSB_iPKfiiiSD_SD_iiiii,"axG",@progbits,_ZN4vllm25paged_attention_v1_kernelI14__hip_bfloat16S1_Li32ELi8ELi128ELNS_18Fp8KVCacheDataTypeE0ELb0EEEvPT_PKS3_PKT0_S9_ifPKiSB_iPKfiiiSD_SD_iiiii,comdat
.Lfunc_end117:
	.size	_ZN4vllm25paged_attention_v1_kernelI14__hip_bfloat16S1_Li32ELi8ELi128ELNS_18Fp8KVCacheDataTypeE0ELb0EEEvPT_PKS3_PKT0_S9_ifPKiSB_iPKfiiiSD_SD_iiiii, .Lfunc_end117-_ZN4vllm25paged_attention_v1_kernelI14__hip_bfloat16S1_Li32ELi8ELi128ELNS_18Fp8KVCacheDataTypeE0ELb0EEEvPT_PKS3_PKT0_S9_ifPKiSB_iPKfiiiSD_SD_iiiii
                                        ; -- End function
	.set _ZN4vllm25paged_attention_v1_kernelI14__hip_bfloat16S1_Li32ELi8ELi128ELNS_18Fp8KVCacheDataTypeE0ELb0EEEvPT_PKS3_PKT0_S9_ifPKiSB_iPKfiiiSD_SD_iiiii.num_vgpr, 27
	.set _ZN4vllm25paged_attention_v1_kernelI14__hip_bfloat16S1_Li32ELi8ELi128ELNS_18Fp8KVCacheDataTypeE0ELb0EEEvPT_PKS3_PKT0_S9_ifPKiSB_iPKfiiiSD_SD_iiiii.num_agpr, 0
	.set _ZN4vllm25paged_attention_v1_kernelI14__hip_bfloat16S1_Li32ELi8ELi128ELNS_18Fp8KVCacheDataTypeE0ELb0EEEvPT_PKS3_PKT0_S9_ifPKiSB_iPKfiiiSD_SD_iiiii.numbered_sgpr, 34
	.set _ZN4vllm25paged_attention_v1_kernelI14__hip_bfloat16S1_Li32ELi8ELi128ELNS_18Fp8KVCacheDataTypeE0ELb0EEEvPT_PKS3_PKT0_S9_ifPKiSB_iPKfiiiSD_SD_iiiii.num_named_barrier, 0
	.set _ZN4vllm25paged_attention_v1_kernelI14__hip_bfloat16S1_Li32ELi8ELi128ELNS_18Fp8KVCacheDataTypeE0ELb0EEEvPT_PKS3_PKT0_S9_ifPKiSB_iPKfiiiSD_SD_iiiii.private_seg_size, 0
	.set _ZN4vllm25paged_attention_v1_kernelI14__hip_bfloat16S1_Li32ELi8ELi128ELNS_18Fp8KVCacheDataTypeE0ELb0EEEvPT_PKS3_PKT0_S9_ifPKiSB_iPKfiiiSD_SD_iiiii.uses_vcc, 1
	.set _ZN4vllm25paged_attention_v1_kernelI14__hip_bfloat16S1_Li32ELi8ELi128ELNS_18Fp8KVCacheDataTypeE0ELb0EEEvPT_PKS3_PKT0_S9_ifPKiSB_iPKfiiiSD_SD_iiiii.uses_flat_scratch, 0
	.set _ZN4vllm25paged_attention_v1_kernelI14__hip_bfloat16S1_Li32ELi8ELi128ELNS_18Fp8KVCacheDataTypeE0ELb0EEEvPT_PKS3_PKT0_S9_ifPKiSB_iPKfiiiSD_SD_iiiii.has_dyn_sized_stack, 0
	.set _ZN4vllm25paged_attention_v1_kernelI14__hip_bfloat16S1_Li32ELi8ELi128ELNS_18Fp8KVCacheDataTypeE0ELb0EEEvPT_PKS3_PKT0_S9_ifPKiSB_iPKfiiiSD_SD_iiiii.has_recursion, 0
	.set _ZN4vllm25paged_attention_v1_kernelI14__hip_bfloat16S1_Li32ELi8ELi128ELNS_18Fp8KVCacheDataTypeE0ELb0EEEvPT_PKS3_PKT0_S9_ifPKiSB_iPKfiiiSD_SD_iiiii.has_indirect_call, 0
	.section	.AMDGPU.csdata,"",@progbits
; Kernel info:
; codeLenInByte = 3464
; TotalNumSgprs: 38
; NumVgprs: 27
; ScratchSize: 0
; MemoryBound: 0
; FloatMode: 240
; IeeeMode: 1
; LDSByteSize: 80 bytes/workgroup (compile time only)
; SGPRBlocks: 4
; VGPRBlocks: 6
; NumSGPRsForWavesPerEU: 38
; NumVGPRsForWavesPerEU: 27
; Occupancy: 9
; WaveLimiterHint : 1
; COMPUTE_PGM_RSRC2:SCRATCH_EN: 0
; COMPUTE_PGM_RSRC2:USER_SGPR: 6
; COMPUTE_PGM_RSRC2:TRAP_HANDLER: 0
; COMPUTE_PGM_RSRC2:TGID_X_EN: 1
; COMPUTE_PGM_RSRC2:TGID_Y_EN: 1
; COMPUTE_PGM_RSRC2:TGID_Z_EN: 1
; COMPUTE_PGM_RSRC2:TIDIG_COMP_CNT: 0
	.section	.text._ZN4vllm25paged_attention_v1_kernelI14__hip_bfloat16S1_Li64ELi8ELi128ELNS_18Fp8KVCacheDataTypeE0ELb0EEEvPT_PKS3_PKT0_S9_ifPKiSB_iPKfiiiSD_SD_iiiii,"axG",@progbits,_ZN4vllm25paged_attention_v1_kernelI14__hip_bfloat16S1_Li64ELi8ELi128ELNS_18Fp8KVCacheDataTypeE0ELb0EEEvPT_PKS3_PKT0_S9_ifPKiSB_iPKfiiiSD_SD_iiiii,comdat
	.protected	_ZN4vllm25paged_attention_v1_kernelI14__hip_bfloat16S1_Li64ELi8ELi128ELNS_18Fp8KVCacheDataTypeE0ELb0EEEvPT_PKS3_PKT0_S9_ifPKiSB_iPKfiiiSD_SD_iiiii ; -- Begin function _ZN4vllm25paged_attention_v1_kernelI14__hip_bfloat16S1_Li64ELi8ELi128ELNS_18Fp8KVCacheDataTypeE0ELb0EEEvPT_PKS3_PKT0_S9_ifPKiSB_iPKfiiiSD_SD_iiiii
	.globl	_ZN4vllm25paged_attention_v1_kernelI14__hip_bfloat16S1_Li64ELi8ELi128ELNS_18Fp8KVCacheDataTypeE0ELb0EEEvPT_PKS3_PKT0_S9_ifPKiSB_iPKfiiiSD_SD_iiiii
	.p2align	8
	.type	_ZN4vllm25paged_attention_v1_kernelI14__hip_bfloat16S1_Li64ELi8ELi128ELNS_18Fp8KVCacheDataTypeE0ELb0EEEvPT_PKS3_PKT0_S9_ifPKiSB_iPKfiiiSD_SD_iiiii,@function
_ZN4vllm25paged_attention_v1_kernelI14__hip_bfloat16S1_Li64ELi8ELi128ELNS_18Fp8KVCacheDataTypeE0ELb0EEEvPT_PKS3_PKT0_S9_ifPKiSB_iPKfiiiSD_SD_iiiii: ; @_ZN4vllm25paged_attention_v1_kernelI14__hip_bfloat16S1_Li64ELi8ELi128ELNS_18Fp8KVCacheDataTypeE0ELb0EEEvPT_PKS3_PKT0_S9_ifPKiSB_iPKfiiiSD_SD_iiiii
; %bb.0:
	s_load_dword s9, s[4:5], 0x80
	s_load_dwordx2 s[0:1], s[4:5], 0x30
	s_load_dwordx2 s[10:11], s[4:5], 0x20
	s_mov_b32 s16, s7
	s_ashr_i32 s17, s7, 31
	s_lshl_b64 s[2:3], s[16:17], 2
	s_waitcnt lgkmcnt(0)
	s_add_u32 s0, s0, s2
	s_addc_u32 s1, s1, s3
	s_abs_i32 s2, s10
	v_cvt_f32_u32_e32 v1, s2
	s_xor_b32 s3, s9, s10
	s_sub_i32 s10, 0, s2
	s_abs_i32 s7, s9
	v_rcp_iflag_f32_e32 v1, v1
	s_ashr_i32 s3, s3, 31
	v_mul_f32_e32 v1, 0x4f7ffffe, v1
	v_cvt_u32_f32_e32 v1, v1
	v_readfirstlane_b32 s12, v1
	s_mul_i32 s10, s10, s12
	s_mul_hi_u32 s10, s12, s10
	s_add_i32 s12, s12, s10
	s_mul_hi_u32 s10, s7, s12
	s_mul_i32 s12, s10, s2
	s_sub_i32 s7, s7, s12
	s_add_i32 s12, s10, 1
	s_sub_i32 s13, s7, s2
	s_cmp_ge_u32 s7, s2
	s_cselect_b32 s10, s12, s10
	s_cselect_b32 s7, s13, s7
	s_add_i32 s12, s10, 1
	s_cmp_ge_u32 s7, s2
	s_cselect_b32 s2, s12, s10
	s_xor_b32 s2, s2, s3
	s_sub_i32 s18, s2, s3
	s_abs_i32 s20, s18
	v_cvt_f32_u32_e32 v1, s20
	s_load_dwordx2 s[2:3], s[4:5], 0x40
	s_sub_i32 s7, 0, s20
	s_abs_i32 s21, s6
	v_rcp_iflag_f32_e32 v1, v1
	s_mov_b32 s10, 0
	v_mul_f32_e32 v1, 0x4f7ffffe, v1
	v_cvt_u32_f32_e32 v1, v1
	v_readfirstlane_b32 s12, v1
	s_mul_i32 s7, s7, s12
	s_mul_hi_u32 s7, s12, s7
	s_add_i32 s12, s12, s7
	s_waitcnt lgkmcnt(0)
	s_cmp_eq_u64 s[2:3], 0
	s_mul_hi_u32 s24, s21, s12
	s_cbranch_scc1 .LBB118_2
; %bb.1:
	s_ashr_i32 s7, s6, 31
	s_lshl_b64 s[12:13], s[6:7], 2
	s_add_u32 s2, s2, s12
	s_addc_u32 s3, s3, s13
	s_load_dword s10, s[2:3], 0x0
.LBB118_2:
	s_load_dword s17, s[0:1], 0x0
	s_load_dwordx4 s[12:15], s[4:5], 0x48
	s_ashr_i32 s7, s6, 31
	s_waitcnt lgkmcnt(0)
	s_ashr_i32 s15, s18, 31
	v_and_b32_e32 v1, 7, v0
	s_lshl_b32 s18, s6, 6
	v_cmp_gt_u32_e64 s[0:1], 64, v0
	s_and_saveexec_b64 s[2:3], s[0:1]
	s_cbranch_execz .LBB118_4
; %bb.3:
	s_load_dwordx2 s[22:23], s[4:5], 0x8
	s_mul_i32 s26, s12, s16
	s_ashr_i32 s27, s26, 31
	s_lshl_b64 s[26:27], s[26:27], 1
	v_lshlrev_b32_e32 v2, 1, v0
	s_waitcnt lgkmcnt(0)
	s_add_u32 s6, s22, s26
	s_addc_u32 s12, s23, s27
	s_ashr_i32 s19, s18, 31
	s_lshl_b64 s[22:23], s[18:19], 1
	s_add_u32 s22, s6, s22
	s_addc_u32 s23, s12, s23
	global_load_ushort v2, v2, s[22:23]
	v_lshrrev_b32_e32 v3, 2, v0
	v_and_b32_e32 v3, 0xfe, v3
	v_lshl_add_u32 v3, v1, 4, v3
	s_waitcnt vmcnt(0)
	ds_write_b16 v3, v2
.LBB118_4:
	s_or_b64 exec, exec, s[2:3]
	s_add_i32 s3, s17, 7
	s_ashr_i32 s6, s3, 31
	s_lshr_b32 s6, s6, 29
	s_add_i32 s3, s3, s6
	s_mul_i32 s6, s24, s20
	s_sub_i32 s6, s21, s6
	s_ashr_i32 s19, s3, 3
	s_xor_b32 s3, s7, s15
	s_add_i32 s7, s24, 1
	s_sub_i32 s12, s6, s20
	s_load_dwordx2 s[22:23], s[4:5], 0x28
	s_load_dword s2, s[4:5], 0x38
	s_cmp_ge_u32 s6, s20
	s_cselect_b32 s7, s7, s24
	s_cselect_b32 s6, s12, s6
	s_add_i32 s12, s7, 1
	s_cmp_ge_u32 s6, s20
	s_cselect_b32 s6, s12, s7
	v_lshrrev_b32_e32 v15, 6, v0
	s_xor_b32 s6, s6, s3
	s_waitcnt lgkmcnt(0)
	s_mul_i32 s24, s2, s16
	s_sub_i32 s15, s6, s3
	s_ashr_i32 s25, s24, 31
	v_cmp_gt_i32_e64 s[2:3], s19, v15
	v_cmp_le_i32_e32 vcc, s19, v15
	v_mbcnt_lo_u32_b32 v2, -1, 0
	s_barrier
                                        ; implicit-def: $vgpr4
                                        ; implicit-def: $vgpr6
                                        ; implicit-def: $vgpr5
	s_and_saveexec_b64 s[6:7], vcc
	s_xor_b64 s[6:7], exec, s[6:7]
; %bb.5:
	v_mbcnt_hi_u32_b32 v4, -1, v2
	v_and_b32_e32 v6, 64, v4
	v_add_u32_e32 v5, 64, v6
                                        ; implicit-def: $vgpr1
                                        ; implicit-def: $vgpr2
; %bb.6:
	s_or_saveexec_b64 s[28:29], s[6:7]
	s_load_dwordx2 s[20:21], s[4:5], 0x0
	s_load_dwordx2 s[26:27], s[4:5], 0x18
	s_load_dword s12, s[4:5], 0x88
	v_mov_b32_e32 v18, 0xff7fffff
	s_mul_i32 s14, s15, s14
	v_lshrrev_b32_e32 v3, 4, v0
	s_xor_b64 exec, exec, s[28:29]
	s_cbranch_execz .LBB118_12
; %bb.7:
	s_load_dwordx2 s[4:5], s[4:5], 0x10
	s_ashr_i32 s15, s14, 31
	s_lshl_b64 s[6:7], s[14:15], 1
	v_bfe_u32 v23, v0, 3, 3
	v_lshlrev_b32_e32 v4, 4, v23
	s_waitcnt lgkmcnt(0)
	s_add_u32 s4, s4, s6
	s_addc_u32 s5, s5, s7
	v_mov_b32_e32 v5, s5
	v_add_co_u32_e32 v4, vcc, s4, v4
	v_lshlrev_b32_e32 v7, 4, v1
	v_addc_co_u32_e32 v5, vcc, 0, v5, vcc
	v_lshlrev_b32_e32 v6, 1, v1
	ds_read_b128 v[16:19], v7
	v_add_co_u32_e32 v7, vcc, v4, v6
	s_sub_i32 s15, 1, s17
	s_lshl_b64 s[4:5], s[24:25], 2
	v_addc_co_u32_e32 v8, vcc, 0, v5, vcc
	s_add_u32 s4, s22, s4
	v_mbcnt_hi_u32_b32 v4, -1, v2
	v_cmp_eq_u32_e32 vcc, 0, v1
	v_and_b32_e32 v1, 60, v3
	s_addc_u32 s5, s23, s5
	v_and_b32_e32 v6, 64, v4
	v_mov_b32_e32 v2, s5
	v_add_co_u32_e64 v1, s[4:5], s4, v1
	s_waitcnt lgkmcnt(0)
	v_lshlrev_b32_e32 v13, 16, v18
	v_and_b32_e32 v14, 0xffff0000, v18
	v_add_u32_e32 v5, 64, v6
	v_addc_co_u32_e64 v2, s[4:5], 0, v2, s[4:5]
	v_xor_b32_e32 v18, 4, v4
	v_cmp_lt_i32_e64 s[4:5], v18, v5
	v_cndmask_b32_e64 v18, v4, v18, s[4:5]
	v_lshlrev_b32_e32 v9, 16, v16
	v_and_b32_e32 v10, 0xffff0000, v16
	v_lshlrev_b32_e32 v11, 16, v17
	v_and_b32_e32 v12, 0xffff0000, v17
	;; [unrolled: 2-line block ×3, first 2 shown]
	v_lshlrev_b32_e32 v19, 2, v18
	v_xor_b32_e32 v18, 2, v4
	v_cmp_lt_i32_e64 s[4:5], v18, v5
	v_cndmask_b32_e64 v18, v4, v18, s[4:5]
	v_lshlrev_b32_e32 v20, 2, v18
	v_xor_b32_e32 v18, 1, v4
	v_cmp_lt_i32_e64 s[4:5], v18, v5
	v_cndmask_b32_e64 v18, v4, v18, s[4:5]
	v_lshlrev_b32_e32 v21, 2, v18
	v_lshlrev_b32_e32 v18, 2, v23
	v_lshl_or_b32 v18, v15, 5, v18
	s_mov_b32 s33, s13
	v_cmp_neq_f32_e64 s[4:5], s10, 0
	v_lshl_or_b32 v22, v15, 3, v23
	v_add_u32_e32 v23, 0x90, v18
	s_mov_b64 s[30:31], 0
	v_mov_b32_e32 v18, 0xff7fffff
	v_mov_b32_e32 v24, v15
	s_branch .LBB118_9
.LBB118_8:                              ;   in Loop: Header=BB118_9 Depth=1
	s_or_b64 exec, exec, s[34:35]
	v_add_u32_e32 v24, 2, v24
	v_cmp_le_i32_e64 s[6:7], s19, v24
	s_or_b64 s[30:31], s[6:7], s[30:31]
	v_add_co_u32_e64 v1, s[6:7], 8, v1
	v_add_u32_e32 v22, 16, v22
	v_add_u32_e32 v23, 64, v23
	v_addc_co_u32_e64 v2, s[6:7], 0, v2, s[6:7]
	s_andn2_b64 exec, exec, s[30:31]
	s_cbranch_execz .LBB118_11
.LBB118_9:                              ; =>This Inner Loop Header: Depth=1
	global_load_dword v25, v[1:2], off
	s_waitcnt vmcnt(0) lgkmcnt(0)
	v_mad_i64_i32 v[25:26], s[6:7], v25, s33, 0
	v_lshlrev_b64 v[25:26], 1, v[25:26]
	v_add_co_u32_e64 v25, s[6:7], v7, v25
	v_addc_co_u32_e64 v26, s[6:7], v8, v26, s[6:7]
	global_load_ushort v27, v[25:26], off
	global_load_ushort v28, v[25:26], off offset:128
	global_load_ushort v29, v[25:26], off offset:256
	;; [unrolled: 1-line block ×6, first 2 shown]
	s_nop 0
	global_load_ushort v25, v[25:26], off offset:896
	s_waitcnt vmcnt(7)
	v_lshlrev_b32_e32 v26, 16, v27
	s_waitcnt vmcnt(6)
	v_lshlrev_b32_e32 v27, 16, v28
	v_mul_f32_e32 v27, v10, v27
	s_waitcnt vmcnt(5)
	v_lshlrev_b32_e32 v28, 16, v29
	v_fmac_f32_e32 v27, v9, v26
	s_waitcnt vmcnt(4)
	v_lshlrev_b32_e32 v29, 16, v30
	v_fmac_f32_e32 v27, v11, v28
	s_waitcnt vmcnt(3)
	v_lshlrev_b32_e32 v30, 16, v31
	v_fmac_f32_e32 v27, v12, v29
	s_waitcnt vmcnt(2)
	v_lshlrev_b32_e32 v31, 16, v32
	v_fmac_f32_e32 v27, v13, v30
	s_waitcnt vmcnt(1)
	v_lshlrev_b32_e32 v32, 16, v33
	v_fmac_f32_e32 v27, v14, v31
	v_fmac_f32_e32 v27, v16, v32
	s_waitcnt vmcnt(0)
	v_lshlrev_b32_e32 v25, 16, v25
	v_fmac_f32_e32 v27, v17, v25
	ds_bpermute_b32 v25, v19, v27
	s_waitcnt lgkmcnt(0)
	v_add_f32_e32 v25, v27, v25
	ds_bpermute_b32 v26, v20, v25
	s_waitcnt lgkmcnt(0)
	v_add_f32_e32 v25, v25, v26
	ds_bpermute_b32 v26, v21, v25
	s_and_saveexec_b64 s[34:35], vcc
	s_cbranch_execz .LBB118_8
; %bb.10:                               ;   in Loop: Header=BB118_9 Depth=1
	v_add_u32_e32 v27, s15, v22
	v_cvt_f32_i32_e32 v27, v27
	s_waitcnt lgkmcnt(0)
	v_add_f32_e32 v25, v25, v26
	v_cmp_gt_i32_e64 s[6:7], s17, v22
	v_max_f32_e32 v26, v18, v18
	v_mul_f32_e32 v27, s10, v27
	v_cndmask_b32_e64 v27, 0, v27, s[4:5]
	v_fmac_f32_e32 v27, s11, v25
	v_cndmask_b32_e64 v25, 0, v27, s[6:7]
	ds_write_b32 v23, v25
	v_max_f32_e32 v25, v26, v27
	v_cndmask_b32_e64 v18, v18, v25, s[6:7]
	s_branch .LBB118_8
.LBB118_11:
	s_or_b64 exec, exec, s[30:31]
.LBB118_12:
	s_or_b64 exec, exec, s[28:29]
	v_xor_b32_e32 v1, 32, v4
	v_cmp_lt_i32_e32 vcc, v1, v5
	v_cndmask_b32_e32 v1, v4, v1, vcc
	v_lshlrev_b32_e32 v2, 2, v1
	ds_bpermute_b32 v1, v2, v18
	v_xor_b32_e32 v8, 16, v4
	v_max_f32_e32 v7, v18, v18
	v_cmp_lt_i32_e32 vcc, v8, v5
	v_xor_b32_e32 v9, 8, v4
	s_waitcnt lgkmcnt(0)
	v_max_f32_e32 v1, v1, v1
	v_max_f32_e32 v1, v7, v1
	v_cndmask_b32_e32 v7, v4, v8, vcc
	v_lshlrev_b32_e32 v8, 2, v7
	ds_bpermute_b32 v7, v8, v1
	v_cmp_lt_i32_e32 vcc, v9, v5
	v_and_b32_e32 v16, 63, v0
	s_waitcnt lgkmcnt(0)
	v_max_f32_e32 v7, v7, v7
	v_max_f32_e32 v7, v1, v7
	v_cndmask_b32_e32 v1, v4, v9, vcc
	v_lshlrev_b32_e32 v10, 2, v1
	ds_bpermute_b32 v9, v10, v7
	v_cmp_eq_u32_e32 vcc, 0, v16
	v_lshlrev_b32_e32 v1, 2, v15
	s_and_saveexec_b64 s[4:5], vcc
	s_cbranch_execz .LBB118_14
; %bb.13:
	s_waitcnt lgkmcnt(0)
	v_max_f32_e32 v9, v9, v9
	v_max_f32_e32 v7, v7, v7
	;; [unrolled: 1-line block ×3, first 2 shown]
	ds_write_b32 v1, v7 offset:128
.LBB118_14:
	s_or_b64 exec, exec, s[4:5]
	v_cmp_gt_u32_e64 s[4:5], 2, v16
	v_mov_b32_e32 v11, 0xff7fffff
	v_lshlrev_b32_e32 v7, 2, v16
	s_waitcnt lgkmcnt(0)
	s_barrier
	s_and_saveexec_b64 s[6:7], s[4:5]
; %bb.15:
	ds_read_b32 v11, v7 offset:128
; %bb.16:
	s_or_b64 exec, exec, s[6:7]
	v_xor_b32_e32 v9, 1, v4
	v_cmp_lt_i32_e64 s[6:7], v9, v5
	v_cndmask_b32_e64 v9, v4, v9, s[6:7]
	v_lshlrev_b32_e32 v9, 2, v9
	s_waitcnt lgkmcnt(0)
	ds_bpermute_b32 v12, v9, v11
	v_max_f32_e32 v11, v11, v11
	v_lshlrev_b32_e32 v6, 2, v6
	s_lshl_b32 s6, s19, 3
	s_min_i32 s15, s6, s17
	s_waitcnt lgkmcnt(0)
	v_max_f32_e32 v12, v12, v12
	v_max_f32_e32 v11, v11, v12
	ds_bpermute_b32 v11, v6, v11
	v_cmp_gt_i32_e64 s[6:7], s15, v0
	v_mov_b32_e32 v6, 0
	s_and_saveexec_b64 s[28:29], s[6:7]
	s_cbranch_execz .LBB118_20
; %bb.17:
	v_mov_b32_e32 v6, 0x90
	v_lshl_add_u32 v12, v0, 2, v6
	v_mov_b32_e32 v6, 0
	s_mov_b64 s[30:31], 0
	v_mov_b32_e32 v13, v0
.LBB118_18:                             ; =>This Inner Loop Header: Depth=1
	ds_read_b32 v14, v12
	v_add_u32_e32 v13, 0x80, v13
	v_cmp_le_i32_e64 s[10:11], s15, v13
	s_or_b64 s[30:31], s[10:11], s[30:31]
	s_waitcnt lgkmcnt(0)
	v_sub_f32_e32 v14, v14, v11
	v_mul_f32_e32 v14, 0x3fb8aa3b, v14
	v_exp_f32_e32 v14, v14
	ds_write_b32 v12, v14
	v_add_f32_e32 v6, v6, v14
	v_add_u32_e32 v12, 0x200, v12
	s_andn2_b64 exec, exec, s[30:31]
	s_cbranch_execnz .LBB118_18
; %bb.19:
	s_or_b64 exec, exec, s[30:31]
.LBB118_20:
	s_or_b64 exec, exec, s[28:29]
	ds_bpermute_b32 v2, v2, v6
	s_waitcnt lgkmcnt(0)
	v_add_f32_e32 v2, v6, v2
	ds_bpermute_b32 v6, v8, v2
	v_xor_b32_e32 v8, 4, v4
	v_cmp_lt_i32_e64 s[10:11], v8, v5
	v_cndmask_b32_e64 v8, v4, v8, s[10:11]
	v_lshlrev_b32_e32 v8, 2, v8
	s_waitcnt lgkmcnt(0)
	v_add_f32_e32 v2, v2, v6
	ds_bpermute_b32 v6, v10, v2
	s_waitcnt lgkmcnt(0)
	v_add_f32_e32 v2, v2, v6
	ds_bpermute_b32 v6, v8, v2
	v_xor_b32_e32 v8, 2, v4
	v_cmp_lt_i32_e64 s[10:11], v8, v5
	v_cndmask_b32_e64 v5, v4, v8, s[10:11]
	v_lshlrev_b32_e32 v5, 2, v5
	s_waitcnt lgkmcnt(0)
	v_add_f32_e32 v2, v2, v6
	ds_bpermute_b32 v5, v5, v2
	s_waitcnt lgkmcnt(0)
	v_add_f32_e32 v2, v2, v5
	ds_bpermute_b32 v5, v9, v2
	s_waitcnt lgkmcnt(0)
	v_add_f32_e32 v2, v2, v5
	s_and_saveexec_b64 s[10:11], vcc
; %bb.21:
	ds_write_b32 v1, v2 offset:136
; %bb.22:
	s_or_b64 exec, exec, s[10:11]
	s_waitcnt lgkmcnt(0)
	s_barrier
	s_and_saveexec_b64 s[10:11], s[4:5]
; %bb.23:
	ds_read_b32 v2, v7 offset:136
; %bb.24:
	s_or_b64 exec, exec, s[10:11]
	s_waitcnt lgkmcnt(0)
	ds_bpermute_b32 v1, v9, v2
	v_lshlrev_b32_e32 v4, 2, v4
	s_waitcnt lgkmcnt(0)
	v_add_f32_e32 v1, v2, v1
	v_and_b32_e32 v2, 0xffffff00, v4
	ds_bpermute_b32 v1, v2, v1
	s_and_saveexec_b64 s[4:5], s[6:7]
	s_cbranch_execz .LBB118_27
; %bb.25:
	s_waitcnt lgkmcnt(0)
	v_add_f32_e32 v2, 0x358637bd, v1
	v_div_scale_f32 v1, s[6:7], v2, v2, 1.0
	v_div_scale_f32 v4, vcc, 1.0, v2, 1.0
	s_mov_b64 s[6:7], 0
	v_rcp_f32_e32 v5, v1
	v_fma_f32 v6, -v1, v5, 1.0
	v_fmac_f32_e32 v5, v6, v5
	v_mul_f32_e32 v6, v4, v5
	v_fma_f32 v7, -v1, v6, v4
	v_fmac_f32_e32 v6, v7, v5
	v_fma_f32 v1, -v1, v6, v4
	v_div_fmas_f32 v4, v1, v5, v6
	v_mov_b32_e32 v1, 0x90
	v_lshl_add_u32 v1, v0, 2, v1
	v_div_fixup_f32 v2, v4, v2, 1.0
	v_mov_b32_e32 v4, v0
.LBB118_26:                             ; =>This Inner Loop Header: Depth=1
	ds_read_b32 v5, v1
	v_add_u32_e32 v4, 0x80, v4
	v_cmp_le_i32_e32 vcc, s15, v4
	s_or_b64 s[6:7], vcc, s[6:7]
	s_waitcnt lgkmcnt(0)
	v_mul_f32_e32 v5, v2, v5
	ds_write_b32 v1, v5
	v_add_u32_e32 v1, 0x200, v1
	s_andn2_b64 exec, exec, s[6:7]
	s_cbranch_execnz .LBB118_26
.LBB118_27:
	s_or_b64 exec, exec, s[4:5]
	v_mov_b32_e32 v17, 0
	s_waitcnt lgkmcnt(0)
	s_barrier
	s_and_saveexec_b64 s[4:5], s[2:3]
	s_cbranch_execz .LBB118_33
; %bb.28:
	s_ashr_i32 s15, s14, 31
	s_lshl_b64 s[2:3], s[14:15], 1
	s_add_u32 s2, s26, s2
	s_addc_u32 s3, s27, s3
	v_lshlrev_b32_e32 v1, 4, v16
	v_mov_b32_e32 v2, s3
	v_add_co_u32_e32 v19, vcc, s2, v1
	s_add_i32 s14, s19, -1
	s_lshl_b64 s[2:3], s[24:25], 2
	v_mov_b32_e32 v1, 0x90
	s_add_u32 s2, s22, s2
	v_addc_co_u32_e32 v20, vcc, 0, v2, vcc
	v_lshl_add_u32 v22, v15, 5, v1
	v_and_b32_e32 v1, 60, v3
	s_addc_u32 s3, s23, s3
	v_mov_b32_e32 v2, s3
	v_add_co_u32_e32 v13, vcc, s2, v1
	v_mov_b32_e32 v18, 0
	s_mov_b32 s15, s17
	v_lshlrev_b32_e32 v21, 3, v15
	v_addc_co_u32_e32 v14, vcc, 0, v2, vcc
	s_mov_b64 s[6:7], 0
	s_mov_b32 s22, 0x5040100
	s_movk_i32 s23, 0x7fff
	v_mov_b32_e32 v17, 0
	s_branch .LBB118_30
.LBB118_29:                             ;   in Loop: Header=BB118_30 Depth=1
	s_or_b64 exec, exec, s[10:11]
	s_waitcnt lgkmcnt(1)
	v_bfe_u32 v23, v9, 16, 1
	v_add3_u32 v23, v23, v9, s23
	v_or_b32_e32 v24, 0x400000, v9
	v_cmp_u_f32_e32 vcc, v9, v9
	v_cndmask_b32_e32 v9, v23, v24, vcc
	v_bfe_u32 v23, v10, 16, 1
	v_add3_u32 v23, v23, v10, s23
	v_or_b32_e32 v24, 0x400000, v10
	v_cmp_u_f32_e32 vcc, v10, v10
	v_cndmask_b32_e32 v10, v23, v24, vcc
	;; [unrolled: 5-line block ×4, first 2 shown]
	s_waitcnt lgkmcnt(0)
	v_bfe_u32 v23, v5, 16, 1
	v_add3_u32 v23, v23, v5, s23
	v_or_b32_e32 v24, 0x400000, v5
	v_cmp_u_f32_e32 vcc, v5, v5
	v_cndmask_b32_e32 v5, v23, v24, vcc
	v_bfe_u32 v23, v6, 16, 1
	v_add3_u32 v23, v23, v6, s23
	v_or_b32_e32 v24, 0x400000, v6
	v_cmp_u_f32_e32 vcc, v6, v6
	v_cndmask_b32_e32 v6, v23, v24, vcc
	v_bfe_u32 v23, v7, 16, 1
	v_add3_u32 v23, v23, v7, s23
	v_or_b32_e32 v24, 0x400000, v7
	v_cmp_u_f32_e32 vcc, v7, v7
	v_cndmask_b32_e32 v7, v23, v24, vcc
	v_bfe_u32 v23, v8, 16, 1
	v_add3_u32 v23, v23, v8, s23
	v_or_b32_e32 v24, 0x400000, v8
	v_cmp_u_f32_e32 vcc, v8, v8
	v_cndmask_b32_e32 v8, v23, v24, vcc
	v_and_b32_e32 v9, 0xffff0000, v9
	s_waitcnt vmcnt(0)
	v_lshlrev_b32_e32 v23, 16, v1
	v_mul_f32_e32 v9, v9, v23
	v_and_b32_e32 v10, 0xffff0000, v10
	v_and_b32_e32 v1, 0xffff0000, v1
	v_bfe_u32 v23, v9, 16, 1
	v_mul_f32_e32 v1, v10, v1
	v_add3_u32 v23, v23, v9, s23
	v_or_b32_e32 v24, 0x400000, v9
	v_cmp_u_f32_e32 vcc, v9, v9
	v_bfe_u32 v10, v1, 16, 1
	v_cndmask_b32_e32 v9, v23, v24, vcc
	v_add3_u32 v10, v10, v1, s23
	v_or_b32_e32 v23, 0x400000, v1
	v_cmp_u_f32_e32 vcc, v1, v1
	v_cndmask_b32_e32 v1, v10, v23, vcc
	v_and_b32_e32 v10, 0xffff0000, v11
	v_lshlrev_b32_e32 v11, 16, v2
	v_mul_f32_e32 v10, v10, v11
	v_bfe_u32 v11, v10, 16, 1
	v_add3_u32 v11, v11, v10, s23
	v_or_b32_e32 v23, 0x400000, v10
	v_cmp_u_f32_e32 vcc, v10, v10
	v_cndmask_b32_e32 v10, v11, v23, vcc
	v_and_b32_e32 v11, 0xffff0000, v12
	v_and_b32_e32 v2, 0xffff0000, v2
	v_mul_f32_e32 v2, v11, v2
	v_bfe_u32 v11, v2, 16, 1
	v_add3_u32 v11, v11, v2, s23
	v_or_b32_e32 v12, 0x400000, v2
	v_cmp_u_f32_e32 vcc, v2, v2
	v_cndmask_b32_e32 v2, v11, v12, vcc
	v_and_b32_e32 v5, 0xffff0000, v5
	v_lshlrev_b32_e32 v11, 16, v3
	v_mul_f32_e32 v5, v5, v11
	v_and_b32_e32 v6, 0xffff0000, v6
	v_and_b32_e32 v3, 0xffff0000, v3
	v_bfe_u32 v11, v5, 16, 1
	v_mul_f32_e32 v3, v6, v3
	v_add3_u32 v11, v11, v5, s23
	v_or_b32_e32 v12, 0x400000, v5
	v_cmp_u_f32_e32 vcc, v5, v5
	v_bfe_u32 v6, v3, 16, 1
	v_cndmask_b32_e32 v5, v11, v12, vcc
	v_add3_u32 v6, v6, v3, s23
	v_or_b32_e32 v11, 0x400000, v3
	v_cmp_u_f32_e32 vcc, v3, v3
	v_cndmask_b32_e32 v3, v6, v11, vcc
	v_and_b32_e32 v6, 0xffff0000, v7
	v_lshlrev_b32_e32 v7, 16, v4
	v_mul_f32_e32 v6, v6, v7
	v_bfe_u32 v7, v6, 16, 1
	v_add3_u32 v7, v7, v6, s23
	v_or_b32_e32 v11, 0x400000, v6
	v_cmp_u_f32_e32 vcc, v6, v6
	v_cndmask_b32_e32 v6, v7, v11, vcc
	v_and_b32_e32 v7, 0xffff0000, v8
	v_and_b32_e32 v4, 0xffff0000, v4
	v_mul_f32_e32 v4, v7, v4
	v_bfe_u32 v7, v4, 16, 1
	v_add3_u32 v7, v7, v4, s23
	v_or_b32_e32 v8, 0x400000, v4
	v_cmp_u_f32_e32 vcc, v4, v4
	v_cndmask_b32_e32 v4, v7, v8, vcc
	v_and_b32_e32 v1, 0xffff0000, v1
	v_and_b32_e32 v7, 0xffff0000, v9
	v_add_f32_e32 v1, v7, v1
	v_and_b32_e32 v2, 0xffff0000, v2
	v_and_b32_e32 v7, 0xffff0000, v10
	v_add_f32_e32 v2, v7, v2
	v_add_f32_e32 v1, v2, v1
	v_and_b32_e32 v2, 0xffff0000, v3
	v_and_b32_e32 v3, 0xffff0000, v5
	v_add_f32_e32 v2, v3, v2
	v_add_f32_e32 v1, v2, v1
	v_and_b32_e32 v2, 0xffff0000, v4
	v_and_b32_e32 v3, 0xffff0000, v6
	v_add_u32_e32 v15, 2, v15
	v_add_f32_e32 v2, v3, v2
	v_cmp_le_i32_e32 vcc, s19, v15
	v_add_f32_e32 v1, v2, v1
	s_or_b64 s[6:7], vcc, s[6:7]
	v_add_co_u32_e32 v13, vcc, 8, v13
	v_add_f32_e32 v17, v17, v1
	v_add_u32_e32 v21, 16, v21
	v_add_u32_e32 v22, 64, v22
	v_addc_co_u32_e32 v14, vcc, 0, v14, vcc
	s_andn2_b64 exec, exec, s[6:7]
	s_cbranch_execz .LBB118_32
.LBB118_30:                             ; =>This Inner Loop Header: Depth=1
	global_load_dword v1, v[13:14], off
	s_waitcnt vmcnt(0)
	v_mad_i64_i32 v[1:2], s[2:3], v1, s13, 0
	v_lshlrev_b64 v[1:2], 1, v[1:2]
	v_add_co_u32_e32 v1, vcc, v19, v1
	v_addc_co_u32_e32 v2, vcc, v20, v2, vcc
	global_load_dwordx4 v[1:4], v[1:2], off
	ds_read2_b64 v[9:12], v22 offset1:1
	ds_read2_b64 v[5:8], v22 offset0:2 offset1:3
	v_cmp_eq_u32_e32 vcc, s14, v15
	s_and_saveexec_b64 s[10:11], vcc
	s_cbranch_execz .LBB118_29
; %bb.31:                               ;   in Loop: Header=BB118_30 Depth=1
	v_add_u32_e32 v23, 1, v21
	v_cmp_gt_i32_e32 vcc, s15, v23
	s_waitcnt vmcnt(0)
	v_cndmask_b32_sdwa v23, v18, v1, vcc dst_sel:DWORD dst_unused:UNUSED_PAD src0_sel:DWORD src1_sel:WORD_1
	v_cmp_gt_i32_e32 vcc, s17, v21
	v_cndmask_b32_e32 v1, 0, v1, vcc
	v_perm_b32 v1, v23, v1, s22
	v_or_b32_e32 v23, 3, v21
	v_or_b32_e32 v24, 2, v21
	v_cmp_gt_i32_e32 vcc, s15, v23
	v_cmp_gt_i32_e64 s[2:3], s17, v24
	v_cndmask_b32_e64 v23, 0, v2, s[2:3]
	v_cndmask_b32_sdwa v2, v18, v2, vcc dst_sel:DWORD dst_unused:UNUSED_PAD src0_sel:DWORD src1_sel:WORD_1
	v_perm_b32 v2, v2, v23, s22
	v_or_b32_e32 v23, 5, v21
	v_or_b32_e32 v24, 4, v21
	v_cmp_gt_i32_e32 vcc, s15, v23
	v_cmp_gt_i32_e64 s[2:3], s17, v24
	v_cndmask_b32_e64 v23, 0, v3, s[2:3]
	v_cndmask_b32_sdwa v3, v18, v3, vcc dst_sel:DWORD dst_unused:UNUSED_PAD src0_sel:DWORD src1_sel:WORD_1
	;; [unrolled: 7-line block ×3, first 2 shown]
	v_perm_b32 v4, v4, v23, s22
	s_branch .LBB118_29
.LBB118_32:
	s_or_b64 exec, exec, s[6:7]
.LBB118_33:
	s_or_b64 exec, exec, s[4:5]
	v_and_b32_e32 v0, 0x3c0, v0
	v_cmp_eq_u32_e32 vcc, 64, v0
	v_mov_b32_e32 v0, 0x90
	v_lshl_add_u32 v0, v16, 2, v0
	s_barrier
	s_and_saveexec_b64 s[2:3], vcc
; %bb.34:
	ds_write_b32 v0, v17
; %bb.35:
	s_or_b64 exec, exec, s[2:3]
	s_waitcnt lgkmcnt(0)
	s_barrier
	s_and_saveexec_b64 s[2:3], s[0:1]
	s_cbranch_execz .LBB118_37
; %bb.36:
	ds_read_b32 v0, v0
	s_waitcnt lgkmcnt(0)
	v_add_f32_e32 v17, v17, v0
.LBB118_37:
	s_or_b64 exec, exec, s[2:3]
	s_barrier
	s_and_saveexec_b64 s[2:3], s[0:1]
	s_cbranch_execz .LBB118_39
; %bb.38:
	s_mul_i32 s0, s16, s12
	s_mul_i32 s0, s0, s9
	s_lshl_b32 s0, s0, 6
	s_ashr_i32 s1, s0, 31
	s_lshl_b64 s[0:1], s[0:1], 1
	s_add_u32 s2, s20, s0
	s_mul_i32 s0, s12, s18
	s_addc_u32 s3, s21, s1
	s_ashr_i32 s1, s0, 31
	s_lshl_b64 s[0:1], s[0:1], 1
	s_add_u32 s2, s2, s0
	s_addc_u32 s3, s3, s1
	s_lshl_b32 s0, s8, 6
	s_ashr_i32 s1, s0, 31
	s_lshl_b64 s[0:1], s[0:1], 1
	s_add_u32 s0, s2, s0
	v_bfe_u32 v1, v17, 16, 1
	s_movk_i32 s2, 0x7fff
	v_add3_u32 v1, v1, v17, s2
	v_or_b32_e32 v2, 0x400000, v17
	v_cmp_u_f32_e32 vcc, v17, v17
	s_addc_u32 s1, s3, s1
	v_lshlrev_b32_e32 v0, 1, v16
	v_cndmask_b32_e32 v1, v1, v2, vcc
	global_store_short_d16_hi v0, v1, s[0:1]
.LBB118_39:
	s_endpgm
	.section	.rodata,"a",@progbits
	.p2align	6, 0x0
	.amdhsa_kernel _ZN4vllm25paged_attention_v1_kernelI14__hip_bfloat16S1_Li64ELi8ELi128ELNS_18Fp8KVCacheDataTypeE0ELb0EEEvPT_PKS3_PKT0_S9_ifPKiSB_iPKfiiiSD_SD_iiiii
		.amdhsa_group_segment_fixed_size 144
		.amdhsa_private_segment_fixed_size 0
		.amdhsa_kernarg_size 384
		.amdhsa_user_sgpr_count 6
		.amdhsa_user_sgpr_private_segment_buffer 1
		.amdhsa_user_sgpr_dispatch_ptr 0
		.amdhsa_user_sgpr_queue_ptr 0
		.amdhsa_user_sgpr_kernarg_segment_ptr 1
		.amdhsa_user_sgpr_dispatch_id 0
		.amdhsa_user_sgpr_flat_scratch_init 0
		.amdhsa_user_sgpr_private_segment_size 0
		.amdhsa_uses_dynamic_stack 0
		.amdhsa_system_sgpr_private_segment_wavefront_offset 0
		.amdhsa_system_sgpr_workgroup_id_x 1
		.amdhsa_system_sgpr_workgroup_id_y 1
		.amdhsa_system_sgpr_workgroup_id_z 1
		.amdhsa_system_sgpr_workgroup_info 0
		.amdhsa_system_vgpr_workitem_id 0
		.amdhsa_next_free_vgpr 34
		.amdhsa_next_free_sgpr 36
		.amdhsa_reserve_vcc 1
		.amdhsa_reserve_flat_scratch 0
		.amdhsa_float_round_mode_32 0
		.amdhsa_float_round_mode_16_64 0
		.amdhsa_float_denorm_mode_32 3
		.amdhsa_float_denorm_mode_16_64 3
		.amdhsa_dx10_clamp 1
		.amdhsa_ieee_mode 1
		.amdhsa_fp16_overflow 0
		.amdhsa_exception_fp_ieee_invalid_op 0
		.amdhsa_exception_fp_denorm_src 0
		.amdhsa_exception_fp_ieee_div_zero 0
		.amdhsa_exception_fp_ieee_overflow 0
		.amdhsa_exception_fp_ieee_underflow 0
		.amdhsa_exception_fp_ieee_inexact 0
		.amdhsa_exception_int_div_zero 0
	.end_amdhsa_kernel
	.section	.text._ZN4vllm25paged_attention_v1_kernelI14__hip_bfloat16S1_Li64ELi8ELi128ELNS_18Fp8KVCacheDataTypeE0ELb0EEEvPT_PKS3_PKT0_S9_ifPKiSB_iPKfiiiSD_SD_iiiii,"axG",@progbits,_ZN4vllm25paged_attention_v1_kernelI14__hip_bfloat16S1_Li64ELi8ELi128ELNS_18Fp8KVCacheDataTypeE0ELb0EEEvPT_PKS3_PKT0_S9_ifPKiSB_iPKfiiiSD_SD_iiiii,comdat
.Lfunc_end118:
	.size	_ZN4vllm25paged_attention_v1_kernelI14__hip_bfloat16S1_Li64ELi8ELi128ELNS_18Fp8KVCacheDataTypeE0ELb0EEEvPT_PKS3_PKT0_S9_ifPKiSB_iPKfiiiSD_SD_iiiii, .Lfunc_end118-_ZN4vllm25paged_attention_v1_kernelI14__hip_bfloat16S1_Li64ELi8ELi128ELNS_18Fp8KVCacheDataTypeE0ELb0EEEvPT_PKS3_PKT0_S9_ifPKiSB_iPKfiiiSD_SD_iiiii
                                        ; -- End function
	.set _ZN4vllm25paged_attention_v1_kernelI14__hip_bfloat16S1_Li64ELi8ELi128ELNS_18Fp8KVCacheDataTypeE0ELb0EEEvPT_PKS3_PKT0_S9_ifPKiSB_iPKfiiiSD_SD_iiiii.num_vgpr, 34
	.set _ZN4vllm25paged_attention_v1_kernelI14__hip_bfloat16S1_Li64ELi8ELi128ELNS_18Fp8KVCacheDataTypeE0ELb0EEEvPT_PKS3_PKT0_S9_ifPKiSB_iPKfiiiSD_SD_iiiii.num_agpr, 0
	.set _ZN4vllm25paged_attention_v1_kernelI14__hip_bfloat16S1_Li64ELi8ELi128ELNS_18Fp8KVCacheDataTypeE0ELb0EEEvPT_PKS3_PKT0_S9_ifPKiSB_iPKfiiiSD_SD_iiiii.numbered_sgpr, 36
	.set _ZN4vllm25paged_attention_v1_kernelI14__hip_bfloat16S1_Li64ELi8ELi128ELNS_18Fp8KVCacheDataTypeE0ELb0EEEvPT_PKS3_PKT0_S9_ifPKiSB_iPKfiiiSD_SD_iiiii.num_named_barrier, 0
	.set _ZN4vllm25paged_attention_v1_kernelI14__hip_bfloat16S1_Li64ELi8ELi128ELNS_18Fp8KVCacheDataTypeE0ELb0EEEvPT_PKS3_PKT0_S9_ifPKiSB_iPKfiiiSD_SD_iiiii.private_seg_size, 0
	.set _ZN4vllm25paged_attention_v1_kernelI14__hip_bfloat16S1_Li64ELi8ELi128ELNS_18Fp8KVCacheDataTypeE0ELb0EEEvPT_PKS3_PKT0_S9_ifPKiSB_iPKfiiiSD_SD_iiiii.uses_vcc, 1
	.set _ZN4vllm25paged_attention_v1_kernelI14__hip_bfloat16S1_Li64ELi8ELi128ELNS_18Fp8KVCacheDataTypeE0ELb0EEEvPT_PKS3_PKT0_S9_ifPKiSB_iPKfiiiSD_SD_iiiii.uses_flat_scratch, 0
	.set _ZN4vllm25paged_attention_v1_kernelI14__hip_bfloat16S1_Li64ELi8ELi128ELNS_18Fp8KVCacheDataTypeE0ELb0EEEvPT_PKS3_PKT0_S9_ifPKiSB_iPKfiiiSD_SD_iiiii.has_dyn_sized_stack, 0
	.set _ZN4vllm25paged_attention_v1_kernelI14__hip_bfloat16S1_Li64ELi8ELi128ELNS_18Fp8KVCacheDataTypeE0ELb0EEEvPT_PKS3_PKT0_S9_ifPKiSB_iPKfiiiSD_SD_iiiii.has_recursion, 0
	.set _ZN4vllm25paged_attention_v1_kernelI14__hip_bfloat16S1_Li64ELi8ELi128ELNS_18Fp8KVCacheDataTypeE0ELb0EEEvPT_PKS3_PKT0_S9_ifPKiSB_iPKfiiiSD_SD_iiiii.has_indirect_call, 0
	.section	.AMDGPU.csdata,"",@progbits
; Kernel info:
; codeLenInByte = 3524
; TotalNumSgprs: 40
; NumVgprs: 34
; ScratchSize: 0
; MemoryBound: 0
; FloatMode: 240
; IeeeMode: 1
; LDSByteSize: 144 bytes/workgroup (compile time only)
; SGPRBlocks: 4
; VGPRBlocks: 8
; NumSGPRsForWavesPerEU: 40
; NumVGPRsForWavesPerEU: 34
; Occupancy: 7
; WaveLimiterHint : 1
; COMPUTE_PGM_RSRC2:SCRATCH_EN: 0
; COMPUTE_PGM_RSRC2:USER_SGPR: 6
; COMPUTE_PGM_RSRC2:TRAP_HANDLER: 0
; COMPUTE_PGM_RSRC2:TGID_X_EN: 1
; COMPUTE_PGM_RSRC2:TGID_Y_EN: 1
; COMPUTE_PGM_RSRC2:TGID_Z_EN: 1
; COMPUTE_PGM_RSRC2:TIDIG_COMP_CNT: 0
	.section	.text._ZN4vllm25paged_attention_v1_kernelI14__hip_bfloat16S1_Li80ELi8ELi128ELNS_18Fp8KVCacheDataTypeE0ELb0EEEvPT_PKS3_PKT0_S9_ifPKiSB_iPKfiiiSD_SD_iiiii,"axG",@progbits,_ZN4vllm25paged_attention_v1_kernelI14__hip_bfloat16S1_Li80ELi8ELi128ELNS_18Fp8KVCacheDataTypeE0ELb0EEEvPT_PKS3_PKT0_S9_ifPKiSB_iPKfiiiSD_SD_iiiii,comdat
	.protected	_ZN4vllm25paged_attention_v1_kernelI14__hip_bfloat16S1_Li80ELi8ELi128ELNS_18Fp8KVCacheDataTypeE0ELb0EEEvPT_PKS3_PKT0_S9_ifPKiSB_iPKfiiiSD_SD_iiiii ; -- Begin function _ZN4vllm25paged_attention_v1_kernelI14__hip_bfloat16S1_Li80ELi8ELi128ELNS_18Fp8KVCacheDataTypeE0ELb0EEEvPT_PKS3_PKT0_S9_ifPKiSB_iPKfiiiSD_SD_iiiii
	.globl	_ZN4vllm25paged_attention_v1_kernelI14__hip_bfloat16S1_Li80ELi8ELi128ELNS_18Fp8KVCacheDataTypeE0ELb0EEEvPT_PKS3_PKT0_S9_ifPKiSB_iPKfiiiSD_SD_iiiii
	.p2align	8
	.type	_ZN4vllm25paged_attention_v1_kernelI14__hip_bfloat16S1_Li80ELi8ELi128ELNS_18Fp8KVCacheDataTypeE0ELb0EEEvPT_PKS3_PKT0_S9_ifPKiSB_iPKfiiiSD_SD_iiiii,@function
_ZN4vllm25paged_attention_v1_kernelI14__hip_bfloat16S1_Li80ELi8ELi128ELNS_18Fp8KVCacheDataTypeE0ELb0EEEvPT_PKS3_PKT0_S9_ifPKiSB_iPKfiiiSD_SD_iiiii: ; @_ZN4vllm25paged_attention_v1_kernelI14__hip_bfloat16S1_Li80ELi8ELi128ELNS_18Fp8KVCacheDataTypeE0ELb0EEEvPT_PKS3_PKT0_S9_ifPKiSB_iPKfiiiSD_SD_iiiii
; %bb.0:
	s_load_dword s9, s[4:5], 0x80
	s_load_dwordx2 s[0:1], s[4:5], 0x30
	s_load_dwordx2 s[10:11], s[4:5], 0x20
	s_mov_b32 s16, s7
	s_ashr_i32 s17, s7, 31
	s_lshl_b64 s[2:3], s[16:17], 2
	s_waitcnt lgkmcnt(0)
	s_add_u32 s0, s0, s2
	s_addc_u32 s1, s1, s3
	s_abs_i32 s2, s10
	v_cvt_f32_u32_e32 v1, s2
	s_xor_b32 s3, s9, s10
	s_sub_i32 s10, 0, s2
	s_abs_i32 s7, s9
	v_rcp_iflag_f32_e32 v1, v1
	s_ashr_i32 s3, s3, 31
	v_mul_f32_e32 v1, 0x4f7ffffe, v1
	v_cvt_u32_f32_e32 v1, v1
	v_readfirstlane_b32 s12, v1
	s_mul_i32 s10, s10, s12
	s_mul_hi_u32 s10, s12, s10
	s_add_i32 s12, s12, s10
	s_mul_hi_u32 s10, s7, s12
	s_mul_i32 s12, s10, s2
	s_sub_i32 s7, s7, s12
	s_add_i32 s12, s10, 1
	s_sub_i32 s13, s7, s2
	s_cmp_ge_u32 s7, s2
	s_cselect_b32 s10, s12, s10
	s_cselect_b32 s7, s13, s7
	s_add_i32 s12, s10, 1
	s_cmp_ge_u32 s7, s2
	s_cselect_b32 s2, s12, s10
	s_xor_b32 s2, s2, s3
	s_sub_i32 s12, s2, s3
	s_abs_i32 s20, s12
	v_cvt_f32_u32_e32 v1, s20
	s_load_dwordx2 s[2:3], s[4:5], 0x40
	s_sub_i32 s7, 0, s20
	s_abs_i32 s21, s6
	v_rcp_iflag_f32_e32 v1, v1
	s_mov_b32 s10, 0
	v_mul_f32_e32 v1, 0x4f7ffffe, v1
	v_cvt_u32_f32_e32 v1, v1
	v_readfirstlane_b32 s13, v1
	s_mul_i32 s7, s7, s13
	s_mul_hi_u32 s7, s13, s7
	s_add_i32 s13, s13, s7
	s_waitcnt lgkmcnt(0)
	s_cmp_eq_u64 s[2:3], 0
	s_mul_hi_u32 s24, s21, s13
	s_cbranch_scc1 .LBB119_2
; %bb.1:
	s_ashr_i32 s7, s6, 31
	s_lshl_b64 s[14:15], s[6:7], 2
	s_add_u32 s2, s2, s14
	s_addc_u32 s3, s3, s15
	s_load_dword s10, s[2:3], 0x0
.LBB119_2:
	s_load_dword s17, s[0:1], 0x0
	s_ashr_i32 s25, s12, 31
	s_load_dwordx4 s[12:15], s[4:5], 0x48
	s_movk_i32 s0, 0x50
	s_ashr_i32 s7, s6, 31
	v_and_b32_e32 v1, 7, v0
	s_mul_i32 s18, s6, 0x50
	v_cmp_gt_u32_e64 s[0:1], s0, v0
	v_lshlrev_b32_e32 v19, 1, v0
	s_and_saveexec_b64 s[2:3], s[0:1]
	s_cbranch_execz .LBB119_4
; %bb.3:
	s_load_dwordx2 s[22:23], s[4:5], 0x8
	s_waitcnt lgkmcnt(0)
	s_mul_i32 s26, s12, s16
	s_ashr_i32 s27, s26, 31
	s_lshl_b64 s[26:27], s[26:27], 1
	v_lshrrev_b32_e32 v3, 2, v0
	s_add_u32 s6, s22, s26
	s_addc_u32 s12, s23, s27
	s_ashr_i32 s19, s18, 31
	s_lshl_b64 s[22:23], s[18:19], 1
	s_add_u32 s22, s6, s22
	s_addc_u32 s23, s12, s23
	global_load_ushort v2, v19, s[22:23]
	v_and_b32_e32 v3, 0xfe, v3
	v_mad_u32_u24 v3, v1, 20, v3
	s_waitcnt vmcnt(0)
	ds_write_b16 v3, v2
.LBB119_4:
	s_or_b64 exec, exec, s[2:3]
	s_waitcnt lgkmcnt(0)
	s_add_i32 s3, s17, 7
	s_ashr_i32 s6, s3, 31
	s_lshr_b32 s6, s6, 29
	s_add_i32 s3, s3, s6
	s_mul_i32 s6, s24, s20
	s_sub_i32 s6, s21, s6
	s_ashr_i32 s33, s3, 3
	s_xor_b32 s3, s7, s25
	s_add_i32 s7, s24, 1
	s_sub_i32 s12, s6, s20
	s_load_dwordx2 s[22:23], s[4:5], 0x28
	s_load_dword s2, s[4:5], 0x38
	s_cmp_ge_u32 s6, s20
	s_cselect_b32 s7, s7, s24
	s_cselect_b32 s6, s12, s6
	s_add_i32 s12, s7, 1
	s_cmp_ge_u32 s6, s20
	s_cselect_b32 s6, s12, s7
	v_lshrrev_b32_e32 v20, 6, v0
	s_xor_b32 s6, s6, s3
	s_waitcnt lgkmcnt(0)
	s_mul_i32 s24, s2, s16
	s_sub_i32 s12, s6, s3
	s_ashr_i32 s25, s24, 31
	v_cmp_gt_i32_e64 s[2:3], s33, v20
	v_cmp_le_i32_e32 vcc, s33, v20
	v_mbcnt_lo_u32_b32 v2, -1, 0
	s_barrier
                                        ; implicit-def: $vgpr4
                                        ; implicit-def: $vgpr6
                                        ; implicit-def: $vgpr5
	s_and_saveexec_b64 s[6:7], vcc
	s_xor_b64 s[6:7], exec, s[6:7]
; %bb.5:
	v_mbcnt_hi_u32_b32 v4, -1, v2
	v_and_b32_e32 v6, 64, v4
	v_add_u32_e32 v5, 64, v6
                                        ; implicit-def: $vgpr1
                                        ; implicit-def: $vgpr2
; %bb.6:
	s_or_saveexec_b64 s[28:29], s[6:7]
	s_load_dwordx2 s[20:21], s[4:5], 0x0
	s_load_dwordx2 s[26:27], s[4:5], 0x18
	s_load_dword s19, s[4:5], 0x88
	v_mov_b32_e32 v21, 0xff7fffff
	s_mul_i32 s14, s12, s14
	v_lshrrev_b32_e32 v3, 4, v0
	s_xor_b64 exec, exec, s[28:29]
	s_cbranch_execz .LBB119_12
; %bb.7:
	s_load_dwordx2 s[4:5], s[4:5], 0x10
	s_ashr_i32 s15, s14, 31
	s_lshl_b64 s[6:7], s[14:15], 1
	v_bfe_u32 v21, v0, 3, 3
	v_lshlrev_b32_e32 v4, 4, v21
	s_waitcnt lgkmcnt(0)
	s_add_u32 s4, s4, s6
	s_addc_u32 s5, s5, s7
	v_mov_b32_e32 v5, s5
	v_add_co_u32_e32 v6, vcc, s4, v4
	v_mul_u32_u24_e32 v9, 20, v1
	v_addc_co_u32_e32 v8, vcc, 0, v5, vcc
	v_lshlrev_b32_e32 v7, 1, v1
	ds_read2_b32 v[4:5], v9 offset1:1
	v_add_co_u32_e32 v7, vcc, v6, v7
	ds_read2_b32 v[15:16], v9 offset0:2 offset1:3
	ds_read_b32 v6, v9 offset:16
	s_sub_i32 s15, 1, s17
	s_lshl_b64 s[4:5], s[24:25], 2
	v_addc_co_u32_e32 v8, vcc, 0, v8, vcc
	s_add_u32 s4, s22, s4
	s_waitcnt lgkmcnt(2)
	v_lshlrev_b32_e32 v9, 16, v4
	v_and_b32_e32 v10, 0xffff0000, v4
	v_mbcnt_hi_u32_b32 v4, -1, v2
	v_cmp_eq_u32_e32 vcc, 0, v1
	v_and_b32_e32 v1, 60, v3
	s_addc_u32 s5, s23, s5
	s_waitcnt lgkmcnt(0)
	v_lshlrev_b32_e32 v17, 16, v6
	v_and_b32_e32 v18, 0xffff0000, v6
	v_mov_b32_e32 v2, s5
	v_add_co_u32_e64 v1, s[4:5], s4, v1
	v_and_b32_e32 v6, 64, v4
	v_lshlrev_b32_e32 v11, 16, v5
	v_and_b32_e32 v12, 0xffff0000, v5
	v_addc_co_u32_e64 v2, s[4:5], 0, v2, s[4:5]
	v_add_u32_e32 v5, 64, v6
	v_xor_b32_e32 v22, 4, v4
	v_cmp_lt_i32_e64 s[4:5], v22, v5
	v_xor_b32_e32 v23, 2, v4
	v_cndmask_b32_e64 v22, v4, v22, s[4:5]
	v_cmp_lt_i32_e64 s[4:5], v23, v5
	v_xor_b32_e32 v24, 1, v4
	v_cndmask_b32_e64 v23, v4, v23, s[4:5]
	v_cmp_lt_i32_e64 s[4:5], v24, v5
	v_lshl_or_b32 v25, v20, 3, v21
	v_lshlrev_b32_e32 v21, 2, v21
	v_cndmask_b32_e64 v24, v4, v24, s[4:5]
	v_lshl_or_b32 v21, v20, 5, v21
	s_mov_b32 s12, s13
	v_lshlrev_b32_e32 v13, 16, v15
	v_and_b32_e32 v14, 0xffff0000, v15
	v_lshlrev_b32_e32 v15, 16, v16
	v_and_b32_e32 v16, 0xffff0000, v16
	v_lshlrev_b32_e32 v22, 2, v22
	v_lshlrev_b32_e32 v23, 2, v23
	;; [unrolled: 1-line block ×3, first 2 shown]
	v_cmp_neq_f32_e64 s[4:5], s10, 0
	v_add_u32_e32 v26, 0xb0, v21
	s_mov_b64 s[30:31], 0
	v_mov_b32_e32 v21, 0xff7fffff
	v_mov_b32_e32 v27, v20
	s_branch .LBB119_9
.LBB119_8:                              ;   in Loop: Header=BB119_9 Depth=1
	s_or_b64 exec, exec, s[34:35]
	v_add_u32_e32 v27, 2, v27
	v_cmp_le_i32_e64 s[6:7], s33, v27
	s_or_b64 s[30:31], s[6:7], s[30:31]
	v_add_co_u32_e64 v1, s[6:7], 8, v1
	v_add_u32_e32 v25, 16, v25
	v_add_u32_e32 v26, 64, v26
	v_addc_co_u32_e64 v2, s[6:7], 0, v2, s[6:7]
	s_andn2_b64 exec, exec, s[30:31]
	s_cbranch_execz .LBB119_11
.LBB119_9:                              ; =>This Inner Loop Header: Depth=1
	global_load_dword v28, v[1:2], off
	s_waitcnt vmcnt(0) lgkmcnt(0)
	v_mad_i64_i32 v[28:29], s[6:7], v28, s12, 0
	v_lshlrev_b64 v[28:29], 1, v[28:29]
	v_add_co_u32_e64 v28, s[6:7], v7, v28
	v_addc_co_u32_e64 v29, s[6:7], v8, v29, s[6:7]
	global_load_ushort v30, v[28:29], off
	global_load_ushort v31, v[28:29], off offset:128
	global_load_ushort v32, v[28:29], off offset:256
	;; [unrolled: 1-line block ×8, first 2 shown]
	s_nop 0
	global_load_ushort v28, v[28:29], off offset:1152
	s_waitcnt vmcnt(9)
	v_lshlrev_b32_e32 v29, 16, v30
	s_waitcnt vmcnt(8)
	v_lshlrev_b32_e32 v30, 16, v31
	v_mul_f32_e32 v30, v10, v30
	s_waitcnt vmcnt(7)
	v_lshlrev_b32_e32 v31, 16, v32
	v_fmac_f32_e32 v30, v9, v29
	s_waitcnt vmcnt(6)
	v_lshlrev_b32_e32 v32, 16, v33
	v_fmac_f32_e32 v30, v11, v31
	;; [unrolled: 3-line block ×7, first 2 shown]
	v_fmac_f32_e32 v30, v17, v37
	s_waitcnt vmcnt(0)
	v_lshlrev_b32_e32 v28, 16, v28
	v_fmac_f32_e32 v30, v18, v28
	ds_bpermute_b32 v28, v22, v30
	s_waitcnt lgkmcnt(0)
	v_add_f32_e32 v28, v30, v28
	ds_bpermute_b32 v29, v23, v28
	s_waitcnt lgkmcnt(0)
	v_add_f32_e32 v28, v28, v29
	ds_bpermute_b32 v29, v24, v28
	s_and_saveexec_b64 s[34:35], vcc
	s_cbranch_execz .LBB119_8
; %bb.10:                               ;   in Loop: Header=BB119_9 Depth=1
	v_add_u32_e32 v30, s15, v25
	v_cvt_f32_i32_e32 v30, v30
	s_waitcnt lgkmcnt(0)
	v_add_f32_e32 v28, v28, v29
	v_cmp_gt_i32_e64 s[6:7], s17, v25
	v_max_f32_e32 v29, v21, v21
	v_mul_f32_e32 v30, s10, v30
	v_cndmask_b32_e64 v30, 0, v30, s[4:5]
	v_fmac_f32_e32 v30, s11, v28
	v_cndmask_b32_e64 v28, 0, v30, s[6:7]
	ds_write_b32 v26, v28
	v_max_f32_e32 v28, v29, v30
	v_cndmask_b32_e64 v21, v21, v28, s[6:7]
	s_branch .LBB119_8
.LBB119_11:
	s_or_b64 exec, exec, s[30:31]
.LBB119_12:
	s_or_b64 exec, exec, s[28:29]
	v_xor_b32_e32 v1, 32, v4
	v_cmp_lt_i32_e32 vcc, v1, v5
	v_cndmask_b32_e32 v1, v4, v1, vcc
	v_lshlrev_b32_e32 v2, 2, v1
	ds_bpermute_b32 v1, v2, v21
	v_xor_b32_e32 v8, 16, v4
	v_max_f32_e32 v7, v21, v21
	v_cmp_lt_i32_e32 vcc, v8, v5
	v_xor_b32_e32 v9, 8, v4
	s_waitcnt lgkmcnt(0)
	v_max_f32_e32 v1, v1, v1
	v_max_f32_e32 v1, v7, v1
	v_cndmask_b32_e32 v7, v4, v8, vcc
	v_lshlrev_b32_e32 v8, 2, v7
	ds_bpermute_b32 v7, v8, v1
	v_cmp_lt_i32_e32 vcc, v9, v5
	v_and_b32_e32 v21, 63, v0
	s_waitcnt lgkmcnt(0)
	v_max_f32_e32 v7, v7, v7
	v_max_f32_e32 v7, v1, v7
	v_cndmask_b32_e32 v1, v4, v9, vcc
	v_lshlrev_b32_e32 v10, 2, v1
	ds_bpermute_b32 v9, v10, v7
	v_cmp_eq_u32_e32 vcc, 0, v21
	v_lshlrev_b32_e32 v1, 2, v20
	s_and_saveexec_b64 s[4:5], vcc
	s_cbranch_execz .LBB119_14
; %bb.13:
	s_waitcnt lgkmcnt(0)
	v_max_f32_e32 v9, v9, v9
	v_max_f32_e32 v7, v7, v7
	;; [unrolled: 1-line block ×3, first 2 shown]
	ds_write_b32 v1, v7 offset:160
.LBB119_14:
	s_or_b64 exec, exec, s[4:5]
	v_cmp_gt_u32_e64 s[4:5], 2, v21
	v_mov_b32_e32 v11, 0xff7fffff
	v_lshlrev_b32_e32 v7, 2, v21
	s_waitcnt lgkmcnt(0)
	s_barrier
	s_and_saveexec_b64 s[6:7], s[4:5]
; %bb.15:
	ds_read_b32 v11, v7 offset:160
; %bb.16:
	s_or_b64 exec, exec, s[6:7]
	v_xor_b32_e32 v9, 1, v4
	v_cmp_lt_i32_e64 s[6:7], v9, v5
	v_cndmask_b32_e64 v9, v4, v9, s[6:7]
	v_lshlrev_b32_e32 v9, 2, v9
	s_waitcnt lgkmcnt(0)
	ds_bpermute_b32 v12, v9, v11
	v_max_f32_e32 v11, v11, v11
	v_lshlrev_b32_e32 v6, 2, v6
	s_lshl_b32 s6, s33, 3
	s_min_i32 s12, s6, s17
	s_waitcnt lgkmcnt(0)
	v_max_f32_e32 v12, v12, v12
	v_max_f32_e32 v11, v11, v12
	ds_bpermute_b32 v11, v6, v11
	v_cmp_gt_i32_e64 s[6:7], s12, v0
	v_mov_b32_e32 v6, 0
	s_and_saveexec_b64 s[28:29], s[6:7]
	s_cbranch_execz .LBB119_20
; %bb.17:
	v_mov_b32_e32 v6, 0xb0
	v_lshl_add_u32 v12, v0, 2, v6
	v_mov_b32_e32 v6, 0
	s_mov_b64 s[30:31], 0
	v_mov_b32_e32 v13, v0
.LBB119_18:                             ; =>This Inner Loop Header: Depth=1
	ds_read_b32 v14, v12
	v_add_u32_e32 v13, 0x80, v13
	v_cmp_le_i32_e64 s[10:11], s12, v13
	s_or_b64 s[30:31], s[10:11], s[30:31]
	s_waitcnt lgkmcnt(0)
	v_sub_f32_e32 v14, v14, v11
	v_mul_f32_e32 v14, 0x3fb8aa3b, v14
	v_exp_f32_e32 v14, v14
	ds_write_b32 v12, v14
	v_add_f32_e32 v6, v6, v14
	v_add_u32_e32 v12, 0x200, v12
	s_andn2_b64 exec, exec, s[30:31]
	s_cbranch_execnz .LBB119_18
; %bb.19:
	s_or_b64 exec, exec, s[30:31]
.LBB119_20:
	s_or_b64 exec, exec, s[28:29]
	ds_bpermute_b32 v2, v2, v6
	s_waitcnt lgkmcnt(0)
	v_add_f32_e32 v2, v6, v2
	ds_bpermute_b32 v6, v8, v2
	v_xor_b32_e32 v8, 4, v4
	v_cmp_lt_i32_e64 s[10:11], v8, v5
	v_cndmask_b32_e64 v8, v4, v8, s[10:11]
	v_lshlrev_b32_e32 v8, 2, v8
	s_waitcnt lgkmcnt(0)
	v_add_f32_e32 v2, v2, v6
	ds_bpermute_b32 v6, v10, v2
	s_waitcnt lgkmcnt(0)
	v_add_f32_e32 v2, v2, v6
	ds_bpermute_b32 v6, v8, v2
	v_xor_b32_e32 v8, 2, v4
	v_cmp_lt_i32_e64 s[10:11], v8, v5
	v_cndmask_b32_e64 v5, v4, v8, s[10:11]
	v_lshlrev_b32_e32 v5, 2, v5
	s_waitcnt lgkmcnt(0)
	v_add_f32_e32 v2, v2, v6
	ds_bpermute_b32 v5, v5, v2
	s_waitcnt lgkmcnt(0)
	v_add_f32_e32 v2, v2, v5
	ds_bpermute_b32 v5, v9, v2
	s_waitcnt lgkmcnt(0)
	v_add_f32_e32 v2, v2, v5
	s_and_saveexec_b64 s[10:11], vcc
; %bb.21:
	ds_write_b32 v1, v2 offset:168
; %bb.22:
	s_or_b64 exec, exec, s[10:11]
	s_waitcnt lgkmcnt(0)
	s_barrier
	s_and_saveexec_b64 s[10:11], s[4:5]
; %bb.23:
	ds_read_b32 v2, v7 offset:168
; %bb.24:
	s_or_b64 exec, exec, s[10:11]
	s_waitcnt lgkmcnt(0)
	ds_bpermute_b32 v1, v9, v2
	v_lshlrev_b32_e32 v4, 2, v4
	s_waitcnt lgkmcnt(0)
	v_add_f32_e32 v1, v2, v1
	v_and_b32_e32 v2, 0xffffff00, v4
	ds_bpermute_b32 v1, v2, v1
	s_and_saveexec_b64 s[4:5], s[6:7]
	s_cbranch_execz .LBB119_27
; %bb.25:
	s_waitcnt lgkmcnt(0)
	v_add_f32_e32 v2, 0x358637bd, v1
	v_div_scale_f32 v1, s[6:7], v2, v2, 1.0
	v_div_scale_f32 v4, vcc, 1.0, v2, 1.0
	s_mov_b64 s[6:7], 0
	v_rcp_f32_e32 v5, v1
	v_fma_f32 v6, -v1, v5, 1.0
	v_fmac_f32_e32 v5, v6, v5
	v_mul_f32_e32 v6, v4, v5
	v_fma_f32 v7, -v1, v6, v4
	v_fmac_f32_e32 v6, v7, v5
	v_fma_f32 v1, -v1, v6, v4
	v_div_fmas_f32 v4, v1, v5, v6
	v_mov_b32_e32 v1, 0xb0
	v_lshl_add_u32 v1, v0, 2, v1
	v_div_fixup_f32 v2, v4, v2, 1.0
	v_mov_b32_e32 v4, v0
.LBB119_26:                             ; =>This Inner Loop Header: Depth=1
	ds_read_b32 v5, v1
	v_add_u32_e32 v4, 0x80, v4
	v_cmp_le_i32_e32 vcc, s12, v4
	s_or_b64 s[6:7], vcc, s[6:7]
	s_waitcnt lgkmcnt(0)
	v_mul_f32_e32 v5, v2, v5
	ds_write_b32 v1, v5
	v_add_u32_e32 v1, 0x200, v1
	s_andn2_b64 exec, exec, s[6:7]
	s_cbranch_execnz .LBB119_26
.LBB119_27:
	s_or_b64 exec, exec, s[4:5]
	v_mov_b32_e32 v15, 0
	v_mov_b32_e32 v16, v15
	;; [unrolled: 1-line block ×4, first 2 shown]
	s_waitcnt lgkmcnt(0)
	s_barrier
	s_and_saveexec_b64 s[10:11], s[2:3]
	s_cbranch_execz .LBB119_37
; %bb.28:
	s_ashr_i32 s15, s14, 31
	s_lshl_b64 s[2:3], s[14:15], 1
	s_add_u32 s26, s26, s2
	s_addc_u32 s6, s27, s3
	s_add_i32 s27, s33, -1
	s_lshl_b64 s[4:5], s[24:25], 2
	s_add_u32 s4, s22, s4
	v_or_b32_e32 v2, 64, v21
	s_movk_i32 s2, 0x50
	v_mov_b32_e32 v4, 0xb0
	v_and_b32_e32 v3, 60, v3
	s_addc_u32 s5, s23, s5
	v_lshlrev_b32_e32 v1, 3, v21
	v_cmp_gt_u32_e64 s[2:3], s2, v2
	v_lshlrev_b32_e32 v2, 3, v2
	v_lshl_add_u32 v23, v20, 5, v4
	v_mov_b32_e32 v4, s5
	v_add_co_u32_e32 v17, vcc, s4, v3
	v_mov_b32_e32 v16, v15
	v_mov_b32_e32 v13, v15
	s_mov_b32 s28, s13
	s_mov_b32 s29, s17
	v_lshlrev_b32_e32 v22, 3, v20
	v_addc_co_u32_e32 v18, vcc, 0, v4, vcc
	s_mov_b64 s[12:13], 0
	v_mov_b32_e32 v24, s6
	v_lshlrev_b32_e32 v25, 1, v1
	s_mov_b32 s22, 0x5040100
	s_movk_i32 s23, 0x7fff
	s_mov_b32 s24, 0x7060302
	v_lshlrev_b32_e32 v26, 1, v2
	v_mov_b32_e32 v14, v16
	s_branch .LBB119_31
.LBB119_29:                             ;   in Loop: Header=BB119_31 Depth=1
	s_or_b64 exec, exec, s[14:15]
	v_perm_b32 v9, v10, v9, s24
	v_perm_b32 v5, v6, v5, s24
	;; [unrolled: 1-line block ×3, first 2 shown]
	s_waitcnt vmcnt(0)
	v_lshlrev_b32_e32 v7, 16, v1
	v_lshlrev_b32_e32 v8, 16, v9
	v_mul_f32_e32 v7, v8, v7
	v_bfe_u32 v8, v7, 16, 1
	v_perm_b32 v10, v12, v11, s24
	v_add3_u32 v8, v8, v7, s23
	v_or_b32_e32 v11, 0x400000, v7
	v_cmp_u_f32_e32 vcc, v7, v7
	v_cndmask_b32_e32 v7, v8, v11, vcc
	v_and_b32_e32 v1, 0xffff0000, v1
	v_and_b32_e32 v8, 0xffff0000, v9
	v_mul_f32_e32 v1, v8, v1
	v_bfe_u32 v8, v1, 16, 1
	v_add3_u32 v8, v8, v1, s23
	v_or_b32_e32 v9, 0x400000, v1
	v_cmp_u_f32_e32 vcc, v1, v1
	v_cndmask_b32_e32 v1, v8, v9, vcc
	v_lshlrev_b32_e32 v8, 16, v2
	v_lshlrev_b32_e32 v9, 16, v10
	v_mul_f32_e32 v8, v9, v8
	v_bfe_u32 v9, v8, 16, 1
	v_add3_u32 v9, v9, v8, s23
	v_or_b32_e32 v11, 0x400000, v8
	v_cmp_u_f32_e32 vcc, v8, v8
	v_cndmask_b32_e32 v8, v9, v11, vcc
	v_and_b32_e32 v2, 0xffff0000, v2
	v_and_b32_e32 v9, 0xffff0000, v10
	v_mul_f32_e32 v2, v9, v2
	v_bfe_u32 v9, v2, 16, 1
	v_add3_u32 v9, v9, v2, s23
	v_or_b32_e32 v10, 0x400000, v2
	v_cmp_u_f32_e32 vcc, v2, v2
	v_cndmask_b32_e32 v2, v9, v10, vcc
	v_lshlrev_b32_e32 v9, 16, v3
	v_lshlrev_b32_e32 v10, 16, v5
	v_mul_f32_e32 v9, v10, v9
	v_and_b32_e32 v3, 0xffff0000, v3
	v_and_b32_e32 v5, 0xffff0000, v5
	v_bfe_u32 v10, v9, 16, 1
	v_mul_f32_e32 v3, v5, v3
	v_add3_u32 v10, v10, v9, s23
	v_or_b32_e32 v11, 0x400000, v9
	v_cmp_u_f32_e32 vcc, v9, v9
	v_bfe_u32 v5, v3, 16, 1
	v_cndmask_b32_e32 v9, v10, v11, vcc
	v_add3_u32 v5, v5, v3, s23
	v_or_b32_e32 v10, 0x400000, v3
	v_cmp_u_f32_e32 vcc, v3, v3
	v_cndmask_b32_e32 v3, v5, v10, vcc
	v_lshlrev_b32_e32 v5, 16, v4
	v_lshlrev_b32_e32 v10, 16, v6
	v_mul_f32_e32 v5, v10, v5
	v_and_b32_e32 v4, 0xffff0000, v4
	v_and_b32_e32 v6, 0xffff0000, v6
	v_bfe_u32 v10, v5, 16, 1
	v_mul_f32_e32 v4, v6, v4
	v_add3_u32 v10, v10, v5, s23
	v_or_b32_e32 v11, 0x400000, v5
	v_cmp_u_f32_e32 vcc, v5, v5
	v_bfe_u32 v6, v4, 16, 1
	v_cndmask_b32_e32 v5, v10, v11, vcc
	v_add3_u32 v6, v6, v4, s23
	v_or_b32_e32 v10, 0x400000, v4
	v_cmp_u_f32_e32 vcc, v4, v4
	v_cndmask_b32_e32 v4, v6, v10, vcc
	v_and_b32_e32 v1, 0xffff0000, v1
	v_and_b32_e32 v6, 0xffff0000, v7
	v_add_f32_e32 v1, v6, v1
	v_and_b32_e32 v2, 0xffff0000, v2
	v_and_b32_e32 v6, 0xffff0000, v8
	v_add_f32_e32 v2, v6, v2
	v_add_f32_e32 v1, v2, v1
	v_and_b32_e32 v2, 0xffff0000, v3
	v_and_b32_e32 v3, 0xffff0000, v9
	v_add_f32_e32 v2, v3, v2
	;; [unrolled: 4-line block ×3, first 2 shown]
	v_add_f32_e32 v1, v2, v1
	v_add_f32_e32 v14, v14, v1
.LBB119_30:                             ;   in Loop: Header=BB119_31 Depth=1
	s_or_b64 exec, exec, s[6:7]
	v_add_u32_e32 v20, 2, v20
	v_cmp_le_i32_e32 vcc, s33, v20
	s_or_b64 s[12:13], vcc, s[12:13]
	v_add_co_u32_e32 v17, vcc, 8, v17
	v_add_u32_e32 v22, 16, v22
	v_add_u32_e32 v23, 64, v23
	v_addc_co_u32_e32 v18, vcc, 0, v18, vcc
	s_andn2_b64 exec, exec, s[12:13]
	s_cbranch_execz .LBB119_36
.LBB119_31:                             ; =>This Inner Loop Header: Depth=1
	global_load_dword v1, v[17:18], off
	s_waitcnt vmcnt(0)
	v_mad_i64_i32 v[1:2], s[4:5], v1, s28, 0
	v_cmp_eq_u32_e64 s[4:5], s27, v20
	v_lshlrev_b64 v[1:2], 1, v[1:2]
	v_add_co_u32_e32 v16, vcc, s26, v1
	v_addc_co_u32_e32 v27, vcc, v24, v2, vcc
	v_add_co_u32_e32 v1, vcc, v16, v25
	v_addc_co_u32_e32 v2, vcc, 0, v27, vcc
	global_load_dwordx4 v[1:4], v[1:2], off
	ds_read2_b64 v[9:12], v23 offset1:1
	ds_read2_b64 v[5:8], v23 offset0:2 offset1:3
	s_and_saveexec_b64 s[14:15], s[4:5]
	s_cbranch_execz .LBB119_33
; %bb.32:                               ;   in Loop: Header=BB119_31 Depth=1
	v_add_u32_e32 v28, 1, v22
	v_cmp_gt_i32_e32 vcc, s29, v28
	s_waitcnt vmcnt(0)
	v_cndmask_b32_sdwa v28, v15, v1, vcc dst_sel:DWORD dst_unused:UNUSED_PAD src0_sel:DWORD src1_sel:WORD_1
	v_cmp_gt_i32_e32 vcc, s17, v22
	v_cndmask_b32_e32 v1, 0, v1, vcc
	v_perm_b32 v1, v28, v1, s22
	v_or_b32_e32 v28, 3, v22
	v_or_b32_e32 v29, 2, v22
	v_cmp_gt_i32_e32 vcc, s29, v28
	v_cmp_gt_i32_e64 s[6:7], s17, v29
	v_cndmask_b32_e64 v28, 0, v2, s[6:7]
	v_cndmask_b32_sdwa v2, v15, v2, vcc dst_sel:DWORD dst_unused:UNUSED_PAD src0_sel:DWORD src1_sel:WORD_1
	v_perm_b32 v2, v2, v28, s22
	v_or_b32_e32 v28, 5, v22
	v_or_b32_e32 v29, 4, v22
	v_cmp_gt_i32_e32 vcc, s29, v28
	v_cmp_gt_i32_e64 s[6:7], s17, v29
	v_cndmask_b32_e64 v28, 0, v3, s[6:7]
	v_cndmask_b32_sdwa v3, v15, v3, vcc dst_sel:DWORD dst_unused:UNUSED_PAD src0_sel:DWORD src1_sel:WORD_1
	v_perm_b32 v3, v3, v28, s22
	v_or_b32_e32 v28, 7, v22
	v_or_b32_e32 v29, 6, v22
	v_cmp_gt_i32_e32 vcc, s29, v28
	v_cmp_gt_i32_e64 s[6:7], s17, v29
	v_cndmask_b32_e64 v28, 0, v4, s[6:7]
	v_cndmask_b32_sdwa v4, v15, v4, vcc dst_sel:DWORD dst_unused:UNUSED_PAD src0_sel:DWORD src1_sel:WORD_1
	v_perm_b32 v4, v4, v28, s22
.LBB119_33:                             ;   in Loop: Header=BB119_31 Depth=1
	s_or_b64 exec, exec, s[14:15]
	s_waitcnt lgkmcnt(1)
	v_bfe_u32 v28, v9, 16, 1
	v_add3_u32 v28, v28, v9, s23
	v_or_b32_e32 v29, 0x400000, v9
	v_cmp_u_f32_e32 vcc, v9, v9
	v_cndmask_b32_e32 v9, v28, v29, vcc
	v_bfe_u32 v28, v10, 16, 1
	v_add3_u32 v28, v28, v10, s23
	v_or_b32_e32 v29, 0x400000, v10
	v_cmp_u_f32_e32 vcc, v10, v10
	v_cndmask_b32_e32 v10, v28, v29, vcc
	;; [unrolled: 5-line block ×4, first 2 shown]
	s_waitcnt lgkmcnt(0)
	v_bfe_u32 v28, v5, 16, 1
	v_add3_u32 v28, v28, v5, s23
	v_or_b32_e32 v29, 0x400000, v5
	v_cmp_u_f32_e32 vcc, v5, v5
	v_cndmask_b32_e32 v5, v28, v29, vcc
	v_bfe_u32 v28, v6, 16, 1
	v_add3_u32 v28, v28, v6, s23
	v_or_b32_e32 v29, 0x400000, v6
	v_cmp_u_f32_e32 vcc, v6, v6
	v_cndmask_b32_e32 v6, v28, v29, vcc
	;; [unrolled: 5-line block ×4, first 2 shown]
	v_and_b32_e32 v28, 0xffff0000, v9
	s_waitcnt vmcnt(0)
	v_lshlrev_b32_e32 v29, 16, v1
	v_mul_f32_e32 v28, v28, v29
	v_bfe_u32 v29, v28, 16, 1
	v_add3_u32 v29, v29, v28, s23
	v_or_b32_e32 v30, 0x400000, v28
	v_cmp_u_f32_e32 vcc, v28, v28
	v_cndmask_b32_e32 v28, v29, v30, vcc
	v_and_b32_e32 v29, 0xffff0000, v10
	v_and_b32_e32 v1, 0xffff0000, v1
	v_mul_f32_e32 v1, v29, v1
	v_bfe_u32 v29, v1, 16, 1
	v_add3_u32 v29, v29, v1, s23
	v_or_b32_e32 v30, 0x400000, v1
	v_cmp_u_f32_e32 vcc, v1, v1
	v_cndmask_b32_e32 v1, v29, v30, vcc
	v_and_b32_e32 v29, 0xffff0000, v11
	v_lshlrev_b32_e32 v30, 16, v2
	v_mul_f32_e32 v29, v29, v30
	v_bfe_u32 v30, v29, 16, 1
	v_add3_u32 v30, v30, v29, s23
	v_or_b32_e32 v31, 0x400000, v29
	v_cmp_u_f32_e32 vcc, v29, v29
	v_cndmask_b32_e32 v29, v30, v31, vcc
	v_and_b32_e32 v30, 0xffff0000, v12
	v_and_b32_e32 v2, 0xffff0000, v2
	v_mul_f32_e32 v2, v30, v2
	v_bfe_u32 v30, v2, 16, 1
	v_add3_u32 v30, v30, v2, s23
	v_or_b32_e32 v31, 0x400000, v2
	v_cmp_u_f32_e32 vcc, v2, v2
	v_cndmask_b32_e32 v2, v30, v31, vcc
	v_and_b32_e32 v30, 0xffff0000, v5
	;; [unrolled: 16-line block ×3, first 2 shown]
	v_lshlrev_b32_e32 v32, 16, v4
	v_mul_f32_e32 v31, v31, v32
	v_bfe_u32 v32, v31, 16, 1
	v_add3_u32 v32, v32, v31, s23
	v_or_b32_e32 v33, 0x400000, v31
	v_cmp_u_f32_e32 vcc, v31, v31
	v_cndmask_b32_e32 v31, v32, v33, vcc
	v_and_b32_e32 v32, 0xffff0000, v8
	v_and_b32_e32 v4, 0xffff0000, v4
	;; [unrolled: 1-line block ×4, first 2 shown]
	v_mul_f32_e32 v4, v32, v4
	v_add_f32_e32 v1, v28, v1
	v_and_b32_e32 v2, 0xffff0000, v2
	v_and_b32_e32 v28, 0xffff0000, v29
	v_bfe_u32 v32, v4, 16, 1
	v_add_f32_e32 v2, v28, v2
	v_add3_u32 v32, v32, v4, s23
	v_or_b32_e32 v33, 0x400000, v4
	v_cmp_u_f32_e32 vcc, v4, v4
	v_add_f32_e32 v1, v2, v1
	v_and_b32_e32 v2, 0xffff0000, v3
	v_and_b32_e32 v3, 0xffff0000, v30
	v_cndmask_b32_e32 v4, v32, v33, vcc
	v_add_f32_e32 v2, v3, v2
	v_add_f32_e32 v1, v2, v1
	v_and_b32_e32 v2, 0xffff0000, v4
	v_and_b32_e32 v3, 0xffff0000, v31
	v_add_f32_e32 v2, v3, v2
	v_add_f32_e32 v1, v2, v1
	;; [unrolled: 1-line block ×3, first 2 shown]
	s_and_saveexec_b64 s[6:7], s[2:3]
	s_cbranch_execz .LBB119_30
; %bb.34:                               ;   in Loop: Header=BB119_31 Depth=1
	v_add_co_u32_e32 v1, vcc, v16, v26
	v_addc_co_u32_e32 v2, vcc, 0, v27, vcc
	global_load_dwordx4 v[1:4], v[1:2], off
	s_and_saveexec_b64 s[14:15], s[4:5]
	s_cbranch_execz .LBB119_29
; %bb.35:                               ;   in Loop: Header=BB119_31 Depth=1
	v_add_u32_e32 v16, 1, v22
	v_cmp_gt_i32_e32 vcc, s29, v16
	s_waitcnt vmcnt(0)
	v_cndmask_b32_sdwa v16, v15, v1, vcc dst_sel:DWORD dst_unused:UNUSED_PAD src0_sel:DWORD src1_sel:WORD_1
	v_cmp_gt_i32_e32 vcc, s17, v22
	v_cndmask_b32_e32 v1, 0, v1, vcc
	v_perm_b32 v1, v16, v1, s22
	v_or_b32_e32 v16, 3, v22
	v_or_b32_e32 v27, 2, v22
	v_cmp_gt_i32_e32 vcc, s29, v16
	v_cmp_gt_i32_e64 s[4:5], s17, v27
	v_cndmask_b32_e64 v16, 0, v2, s[4:5]
	v_cndmask_b32_sdwa v2, v15, v2, vcc dst_sel:DWORD dst_unused:UNUSED_PAD src0_sel:DWORD src1_sel:WORD_1
	v_perm_b32 v2, v2, v16, s22
	v_or_b32_e32 v16, 5, v22
	v_or_b32_e32 v27, 4, v22
	v_cmp_gt_i32_e32 vcc, s29, v16
	v_cmp_gt_i32_e64 s[4:5], s17, v27
	v_cndmask_b32_e64 v16, 0, v3, s[4:5]
	v_cndmask_b32_sdwa v3, v15, v3, vcc dst_sel:DWORD dst_unused:UNUSED_PAD src0_sel:DWORD src1_sel:WORD_1
	;; [unrolled: 7-line block ×3, first 2 shown]
	v_perm_b32 v4, v4, v16, s22
	s_branch .LBB119_29
.LBB119_36:
	s_or_b64 exec, exec, s[12:13]
.LBB119_37:
	s_or_b64 exec, exec, s[10:11]
	v_and_b32_e32 v1, 0x3c0, v0
	v_cmp_eq_u32_e32 vcc, 64, v1
	s_barrier
	s_and_saveexec_b64 s[2:3], vcc
	s_cbranch_execz .LBB119_40
; %bb.38:
	v_mov_b32_e32 v1, 0xb0
	v_lshl_add_u32 v2, v21, 2, v1
	ds_write_b32 v2, v13
	s_and_b64 exec, exec, s[0:1]
; %bb.39:
	v_lshl_add_u32 v1, v0, 2, v1
	ds_write_b32 v1, v14
.LBB119_40:
	s_or_b64 exec, exec, s[2:3]
	v_cmp_gt_u32_e32 vcc, 64, v0
	v_or_b32_e32 v1, 64, v0
	s_waitcnt lgkmcnt(0)
	s_barrier
	s_and_saveexec_b64 s[2:3], vcc
	s_cbranch_execz .LBB119_44
; %bb.41:
	v_mov_b32_e32 v2, 0xb0
	v_lshl_add_u32 v0, v0, 2, v2
	ds_read_b32 v2, v0
	s_movk_i32 s0, 0x50
	v_cmp_gt_u32_e64 s[0:1], s0, v1
	s_waitcnt lgkmcnt(0)
	v_add_f32_e32 v13, v13, v2
	s_and_saveexec_b64 s[4:5], s[0:1]
	s_cbranch_execz .LBB119_43
; %bb.42:
	ds_read_b32 v0, v0 offset:256
	s_waitcnt lgkmcnt(0)
	v_add_f32_e32 v14, v14, v0
.LBB119_43:
	s_or_b64 exec, exec, s[4:5]
.LBB119_44:
	s_or_b64 exec, exec, s[2:3]
	s_barrier
	s_and_saveexec_b64 s[0:1], vcc
	s_cbranch_execz .LBB119_47
; %bb.45:
	s_mul_i32 s0, s16, s19
	s_mul_i32 s0, s0, s9
	s_mulk_i32 s0, 0x50
	s_ashr_i32 s1, s0, 31
	s_lshl_b64 s[0:1], s[0:1], 1
	s_add_u32 s2, s20, s0
	s_mul_i32 s0, s19, s18
	s_addc_u32 s4, s21, s1
	s_ashr_i32 s1, s0, 31
	s_lshl_b64 s[0:1], s[0:1], 1
	s_add_u32 s2, s2, s0
	s_mul_i32 s0, s8, 0x50
	s_addc_u32 s4, s4, s1
	s_ashr_i32 s1, s0, 31
	s_lshl_b64 s[0:1], s[0:1], 1
	s_add_u32 s0, s2, s0
	v_bfe_u32 v0, v13, 16, 1
	s_movk_i32 s2, 0x7fff
	s_movk_i32 s3, 0x50
	v_add3_u32 v0, v0, v13, s2
	v_or_b32_e32 v2, 0x400000, v13
	v_cmp_u_f32_e32 vcc, v13, v13
	s_addc_u32 s1, s4, s1
	v_cndmask_b32_e32 v0, v0, v2, vcc
	v_cmp_gt_u32_e32 vcc, s3, v1
	global_store_short_d16_hi v19, v0, s[0:1]
	s_and_b64 exec, exec, vcc
	s_cbranch_execz .LBB119_47
; %bb.46:
	v_mov_b32_e32 v1, s1
	v_add_co_u32_e32 v0, vcc, s0, v19
	v_addc_co_u32_e32 v1, vcc, 0, v1, vcc
	v_bfe_u32 v2, v14, 16, 1
	v_add3_u32 v2, v2, v14, s2
	v_or_b32_e32 v3, 0x400000, v14
	v_cmp_u_f32_e32 vcc, v14, v14
	v_cndmask_b32_e32 v2, v2, v3, vcc
	global_store_short_d16_hi v[0:1], v2, off offset:128
.LBB119_47:
	s_endpgm
	.section	.rodata,"a",@progbits
	.p2align	6, 0x0
	.amdhsa_kernel _ZN4vllm25paged_attention_v1_kernelI14__hip_bfloat16S1_Li80ELi8ELi128ELNS_18Fp8KVCacheDataTypeE0ELb0EEEvPT_PKS3_PKT0_S9_ifPKiSB_iPKfiiiSD_SD_iiiii
		.amdhsa_group_segment_fixed_size 176
		.amdhsa_private_segment_fixed_size 0
		.amdhsa_kernarg_size 384
		.amdhsa_user_sgpr_count 6
		.amdhsa_user_sgpr_private_segment_buffer 1
		.amdhsa_user_sgpr_dispatch_ptr 0
		.amdhsa_user_sgpr_queue_ptr 0
		.amdhsa_user_sgpr_kernarg_segment_ptr 1
		.amdhsa_user_sgpr_dispatch_id 0
		.amdhsa_user_sgpr_flat_scratch_init 0
		.amdhsa_user_sgpr_private_segment_size 0
		.amdhsa_uses_dynamic_stack 0
		.amdhsa_system_sgpr_private_segment_wavefront_offset 0
		.amdhsa_system_sgpr_workgroup_id_x 1
		.amdhsa_system_sgpr_workgroup_id_y 1
		.amdhsa_system_sgpr_workgroup_id_z 1
		.amdhsa_system_sgpr_workgroup_info 0
		.amdhsa_system_vgpr_workitem_id 0
		.amdhsa_next_free_vgpr 39
		.amdhsa_next_free_sgpr 36
		.amdhsa_reserve_vcc 1
		.amdhsa_reserve_flat_scratch 0
		.amdhsa_float_round_mode_32 0
		.amdhsa_float_round_mode_16_64 0
		.amdhsa_float_denorm_mode_32 3
		.amdhsa_float_denorm_mode_16_64 3
		.amdhsa_dx10_clamp 1
		.amdhsa_ieee_mode 1
		.amdhsa_fp16_overflow 0
		.amdhsa_exception_fp_ieee_invalid_op 0
		.amdhsa_exception_fp_denorm_src 0
		.amdhsa_exception_fp_ieee_div_zero 0
		.amdhsa_exception_fp_ieee_overflow 0
		.amdhsa_exception_fp_ieee_underflow 0
		.amdhsa_exception_fp_ieee_inexact 0
		.amdhsa_exception_int_div_zero 0
	.end_amdhsa_kernel
	.section	.text._ZN4vllm25paged_attention_v1_kernelI14__hip_bfloat16S1_Li80ELi8ELi128ELNS_18Fp8KVCacheDataTypeE0ELb0EEEvPT_PKS3_PKT0_S9_ifPKiSB_iPKfiiiSD_SD_iiiii,"axG",@progbits,_ZN4vllm25paged_attention_v1_kernelI14__hip_bfloat16S1_Li80ELi8ELi128ELNS_18Fp8KVCacheDataTypeE0ELb0EEEvPT_PKS3_PKT0_S9_ifPKiSB_iPKfiiiSD_SD_iiiii,comdat
.Lfunc_end119:
	.size	_ZN4vllm25paged_attention_v1_kernelI14__hip_bfloat16S1_Li80ELi8ELi128ELNS_18Fp8KVCacheDataTypeE0ELb0EEEvPT_PKS3_PKT0_S9_ifPKiSB_iPKfiiiSD_SD_iiiii, .Lfunc_end119-_ZN4vllm25paged_attention_v1_kernelI14__hip_bfloat16S1_Li80ELi8ELi128ELNS_18Fp8KVCacheDataTypeE0ELb0EEEvPT_PKS3_PKT0_S9_ifPKiSB_iPKfiiiSD_SD_iiiii
                                        ; -- End function
	.set _ZN4vllm25paged_attention_v1_kernelI14__hip_bfloat16S1_Li80ELi8ELi128ELNS_18Fp8KVCacheDataTypeE0ELb0EEEvPT_PKS3_PKT0_S9_ifPKiSB_iPKfiiiSD_SD_iiiii.num_vgpr, 39
	.set _ZN4vllm25paged_attention_v1_kernelI14__hip_bfloat16S1_Li80ELi8ELi128ELNS_18Fp8KVCacheDataTypeE0ELb0EEEvPT_PKS3_PKT0_S9_ifPKiSB_iPKfiiiSD_SD_iiiii.num_agpr, 0
	.set _ZN4vllm25paged_attention_v1_kernelI14__hip_bfloat16S1_Li80ELi8ELi128ELNS_18Fp8KVCacheDataTypeE0ELb0EEEvPT_PKS3_PKT0_S9_ifPKiSB_iPKfiiiSD_SD_iiiii.numbered_sgpr, 36
	.set _ZN4vllm25paged_attention_v1_kernelI14__hip_bfloat16S1_Li80ELi8ELi128ELNS_18Fp8KVCacheDataTypeE0ELb0EEEvPT_PKS3_PKT0_S9_ifPKiSB_iPKfiiiSD_SD_iiiii.num_named_barrier, 0
	.set _ZN4vllm25paged_attention_v1_kernelI14__hip_bfloat16S1_Li80ELi8ELi128ELNS_18Fp8KVCacheDataTypeE0ELb0EEEvPT_PKS3_PKT0_S9_ifPKiSB_iPKfiiiSD_SD_iiiii.private_seg_size, 0
	.set _ZN4vllm25paged_attention_v1_kernelI14__hip_bfloat16S1_Li80ELi8ELi128ELNS_18Fp8KVCacheDataTypeE0ELb0EEEvPT_PKS3_PKT0_S9_ifPKiSB_iPKfiiiSD_SD_iiiii.uses_vcc, 1
	.set _ZN4vllm25paged_attention_v1_kernelI14__hip_bfloat16S1_Li80ELi8ELi128ELNS_18Fp8KVCacheDataTypeE0ELb0EEEvPT_PKS3_PKT0_S9_ifPKiSB_iPKfiiiSD_SD_iiiii.uses_flat_scratch, 0
	.set _ZN4vllm25paged_attention_v1_kernelI14__hip_bfloat16S1_Li80ELi8ELi128ELNS_18Fp8KVCacheDataTypeE0ELb0EEEvPT_PKS3_PKT0_S9_ifPKiSB_iPKfiiiSD_SD_iiiii.has_dyn_sized_stack, 0
	.set _ZN4vllm25paged_attention_v1_kernelI14__hip_bfloat16S1_Li80ELi8ELi128ELNS_18Fp8KVCacheDataTypeE0ELb0EEEvPT_PKS3_PKT0_S9_ifPKiSB_iPKfiiiSD_SD_iiiii.has_recursion, 0
	.set _ZN4vllm25paged_attention_v1_kernelI14__hip_bfloat16S1_Li80ELi8ELi128ELNS_18Fp8KVCacheDataTypeE0ELb0EEEvPT_PKS3_PKT0_S9_ifPKiSB_iPKfiiiSD_SD_iiiii.has_indirect_call, 0
	.section	.AMDGPU.csdata,"",@progbits
; Kernel info:
; codeLenInByte = 4544
; TotalNumSgprs: 40
; NumVgprs: 39
; ScratchSize: 0
; MemoryBound: 0
; FloatMode: 240
; IeeeMode: 1
; LDSByteSize: 176 bytes/workgroup (compile time only)
; SGPRBlocks: 4
; VGPRBlocks: 9
; NumSGPRsForWavesPerEU: 40
; NumVGPRsForWavesPerEU: 39
; Occupancy: 6
; WaveLimiterHint : 1
; COMPUTE_PGM_RSRC2:SCRATCH_EN: 0
; COMPUTE_PGM_RSRC2:USER_SGPR: 6
; COMPUTE_PGM_RSRC2:TRAP_HANDLER: 0
; COMPUTE_PGM_RSRC2:TGID_X_EN: 1
; COMPUTE_PGM_RSRC2:TGID_Y_EN: 1
; COMPUTE_PGM_RSRC2:TGID_Z_EN: 1
; COMPUTE_PGM_RSRC2:TIDIG_COMP_CNT: 0
	.section	.text._ZN4vllm25paged_attention_v1_kernelI14__hip_bfloat16S1_Li96ELi8ELi128ELNS_18Fp8KVCacheDataTypeE0ELb0EEEvPT_PKS3_PKT0_S9_ifPKiSB_iPKfiiiSD_SD_iiiii,"axG",@progbits,_ZN4vllm25paged_attention_v1_kernelI14__hip_bfloat16S1_Li96ELi8ELi128ELNS_18Fp8KVCacheDataTypeE0ELb0EEEvPT_PKS3_PKT0_S9_ifPKiSB_iPKfiiiSD_SD_iiiii,comdat
	.protected	_ZN4vllm25paged_attention_v1_kernelI14__hip_bfloat16S1_Li96ELi8ELi128ELNS_18Fp8KVCacheDataTypeE0ELb0EEEvPT_PKS3_PKT0_S9_ifPKiSB_iPKfiiiSD_SD_iiiii ; -- Begin function _ZN4vllm25paged_attention_v1_kernelI14__hip_bfloat16S1_Li96ELi8ELi128ELNS_18Fp8KVCacheDataTypeE0ELb0EEEvPT_PKS3_PKT0_S9_ifPKiSB_iPKfiiiSD_SD_iiiii
	.globl	_ZN4vllm25paged_attention_v1_kernelI14__hip_bfloat16S1_Li96ELi8ELi128ELNS_18Fp8KVCacheDataTypeE0ELb0EEEvPT_PKS3_PKT0_S9_ifPKiSB_iPKfiiiSD_SD_iiiii
	.p2align	8
	.type	_ZN4vllm25paged_attention_v1_kernelI14__hip_bfloat16S1_Li96ELi8ELi128ELNS_18Fp8KVCacheDataTypeE0ELb0EEEvPT_PKS3_PKT0_S9_ifPKiSB_iPKfiiiSD_SD_iiiii,@function
_ZN4vllm25paged_attention_v1_kernelI14__hip_bfloat16S1_Li96ELi8ELi128ELNS_18Fp8KVCacheDataTypeE0ELb0EEEvPT_PKS3_PKT0_S9_ifPKiSB_iPKfiiiSD_SD_iiiii: ; @_ZN4vllm25paged_attention_v1_kernelI14__hip_bfloat16S1_Li96ELi8ELi128ELNS_18Fp8KVCacheDataTypeE0ELb0EEEvPT_PKS3_PKT0_S9_ifPKiSB_iPKfiiiSD_SD_iiiii
; %bb.0:
	s_load_dword s9, s[4:5], 0x80
	s_load_dwordx2 s[0:1], s[4:5], 0x30
	s_load_dwordx2 s[10:11], s[4:5], 0x20
	s_mov_b32 s16, s7
	s_ashr_i32 s17, s7, 31
	s_lshl_b64 s[2:3], s[16:17], 2
	s_waitcnt lgkmcnt(0)
	s_add_u32 s0, s0, s2
	s_addc_u32 s1, s1, s3
	s_abs_i32 s2, s10
	v_cvt_f32_u32_e32 v1, s2
	s_xor_b32 s3, s9, s10
	s_sub_i32 s10, 0, s2
	s_abs_i32 s7, s9
	v_rcp_iflag_f32_e32 v1, v1
	s_ashr_i32 s3, s3, 31
	v_mul_f32_e32 v1, 0x4f7ffffe, v1
	v_cvt_u32_f32_e32 v1, v1
	v_readfirstlane_b32 s12, v1
	s_mul_i32 s10, s10, s12
	s_mul_hi_u32 s10, s12, s10
	s_add_i32 s12, s12, s10
	s_mul_hi_u32 s10, s7, s12
	s_mul_i32 s12, s10, s2
	s_sub_i32 s7, s7, s12
	s_add_i32 s12, s10, 1
	s_sub_i32 s13, s7, s2
	s_cmp_ge_u32 s7, s2
	s_cselect_b32 s10, s12, s10
	s_cselect_b32 s7, s13, s7
	s_add_i32 s12, s10, 1
	s_cmp_ge_u32 s7, s2
	s_cselect_b32 s2, s12, s10
	s_xor_b32 s2, s2, s3
	s_sub_i32 s12, s2, s3
	s_abs_i32 s20, s12
	v_cvt_f32_u32_e32 v1, s20
	s_load_dwordx2 s[2:3], s[4:5], 0x40
	s_sub_i32 s7, 0, s20
	s_abs_i32 s21, s6
	v_rcp_iflag_f32_e32 v1, v1
	s_mov_b32 s10, 0
	v_mul_f32_e32 v1, 0x4f7ffffe, v1
	v_cvt_u32_f32_e32 v1, v1
	v_readfirstlane_b32 s13, v1
	s_mul_i32 s7, s7, s13
	s_mul_hi_u32 s7, s13, s7
	s_add_i32 s13, s13, s7
	s_waitcnt lgkmcnt(0)
	s_cmp_eq_u64 s[2:3], 0
	s_mul_hi_u32 s24, s21, s13
	s_cbranch_scc1 .LBB120_2
; %bb.1:
	s_ashr_i32 s7, s6, 31
	s_lshl_b64 s[14:15], s[6:7], 2
	s_add_u32 s2, s2, s14
	s_addc_u32 s3, s3, s15
	s_load_dword s10, s[2:3], 0x0
.LBB120_2:
	s_load_dword s17, s[0:1], 0x0
	s_ashr_i32 s25, s12, 31
	s_load_dwordx4 s[12:15], s[4:5], 0x48
	s_movk_i32 s0, 0x60
	s_ashr_i32 s7, s6, 31
	v_and_b32_e32 v1, 7, v0
	s_mul_i32 s18, s6, 0x60
	v_cmp_gt_u32_e64 s[0:1], s0, v0
	v_lshlrev_b32_e32 v19, 1, v0
	s_and_saveexec_b64 s[2:3], s[0:1]
	s_cbranch_execz .LBB120_4
; %bb.3:
	s_load_dwordx2 s[22:23], s[4:5], 0x8
	s_waitcnt lgkmcnt(0)
	s_mul_i32 s26, s12, s16
	s_ashr_i32 s27, s26, 31
	s_lshl_b64 s[26:27], s[26:27], 1
	v_lshrrev_b32_e32 v3, 2, v0
	s_add_u32 s6, s22, s26
	s_addc_u32 s12, s23, s27
	s_ashr_i32 s19, s18, 31
	s_lshl_b64 s[22:23], s[18:19], 1
	s_add_u32 s22, s6, s22
	s_addc_u32 s23, s12, s23
	global_load_ushort v2, v19, s[22:23]
	v_and_b32_e32 v3, 0xfe, v3
	v_mad_u32_u24 v3, v1, 24, v3
	s_waitcnt vmcnt(0)
	ds_write_b16 v3, v2
.LBB120_4:
	s_or_b64 exec, exec, s[2:3]
	s_waitcnt lgkmcnt(0)
	s_add_i32 s3, s17, 7
	s_ashr_i32 s6, s3, 31
	s_lshr_b32 s6, s6, 29
	s_add_i32 s3, s3, s6
	s_mul_i32 s6, s24, s20
	s_sub_i32 s6, s21, s6
	s_ashr_i32 s33, s3, 3
	s_xor_b32 s3, s7, s25
	s_add_i32 s7, s24, 1
	s_sub_i32 s12, s6, s20
	s_load_dwordx2 s[22:23], s[4:5], 0x28
	s_load_dword s2, s[4:5], 0x38
	s_cmp_ge_u32 s6, s20
	s_cselect_b32 s7, s7, s24
	s_cselect_b32 s6, s12, s6
	s_add_i32 s12, s7, 1
	s_cmp_ge_u32 s6, s20
	s_cselect_b32 s6, s12, s7
	v_lshrrev_b32_e32 v20, 6, v0
	s_xor_b32 s6, s6, s3
	s_waitcnt lgkmcnt(0)
	s_mul_i32 s24, s2, s16
	s_sub_i32 s12, s6, s3
	s_ashr_i32 s25, s24, 31
	v_cmp_gt_i32_e64 s[2:3], s33, v20
	v_cmp_le_i32_e32 vcc, s33, v20
	v_mbcnt_lo_u32_b32 v24, -1, 0
	s_barrier
                                        ; implicit-def: $vgpr4
                                        ; implicit-def: $vgpr6
                                        ; implicit-def: $vgpr5
	s_and_saveexec_b64 s[6:7], vcc
	s_xor_b64 s[6:7], exec, s[6:7]
; %bb.5:
	v_mbcnt_hi_u32_b32 v4, -1, v24
	v_and_b32_e32 v6, 64, v4
	v_add_u32_e32 v5, 64, v6
                                        ; implicit-def: $vgpr1
                                        ; implicit-def: $vgpr24
; %bb.6:
	s_or_saveexec_b64 s[28:29], s[6:7]
	s_load_dwordx2 s[20:21], s[4:5], 0x0
	s_load_dwordx2 s[26:27], s[4:5], 0x18
	s_load_dword s19, s[4:5], 0x88
	v_mov_b32_e32 v21, 0xff7fffff
	s_mul_i32 s14, s12, s14
	v_lshrrev_b32_e32 v3, 4, v0
	s_xor_b64 exec, exec, s[28:29]
	s_cbranch_execz .LBB120_12
; %bb.7:
	s_load_dwordx2 s[4:5], s[4:5], 0x10
	s_ashr_i32 s15, s14, 31
	s_lshl_b64 s[6:7], s[14:15], 1
	v_bfe_u32 v21, v0, 3, 3
	v_mul_u32_u24_e32 v2, 24, v1
	s_waitcnt lgkmcnt(0)
	s_add_u32 s4, s4, s6
	ds_read2_b64 v[11:14], v2 offset1:1
	ds_read_b64 v[4:5], v2 offset:16
	s_addc_u32 s5, s5, s7
	v_lshlrev_b32_e32 v6, 4, v21
	v_mov_b32_e32 v2, s5
	v_add_co_u32_e32 v6, vcc, s4, v6
	s_sub_i32 s12, 1, s17
	s_lshl_b64 s[4:5], s[24:25], 2
	v_addc_co_u32_e32 v23, vcc, 0, v2, vcc
	s_add_u32 s4, s22, s4
	v_lshlrev_b32_e32 v22, 1, v1
	v_cmp_eq_u32_e32 vcc, 0, v1
	v_and_b32_e32 v1, 60, v3
	s_addc_u32 s5, s23, s5
	v_mov_b32_e32 v2, s5
	v_add_co_u32_e64 v1, s[4:5], s4, v1
	s_waitcnt lgkmcnt(0)
	v_lshlrev_b32_e32 v15, 16, v4
	v_and_b32_e32 v16, 0xffff0000, v4
	v_addc_co_u32_e64 v2, s[4:5], 0, v2, s[4:5]
	v_mbcnt_hi_u32_b32 v4, -1, v24
	v_add_co_u32_e64 v22, s[4:5], v6, v22
	v_and_b32_e32 v6, 64, v4
	v_lshlrev_b32_e32 v17, 16, v5
	v_and_b32_e32 v18, 0xffff0000, v5
	v_addc_co_u32_e64 v23, s[4:5], 0, v23, s[4:5]
	v_add_u32_e32 v5, 64, v6
	v_xor_b32_e32 v24, 4, v4
	v_cmp_lt_i32_e64 s[4:5], v24, v5
	v_xor_b32_e32 v25, 2, v4
	v_cndmask_b32_e64 v24, v4, v24, s[4:5]
	v_cmp_lt_i32_e64 s[4:5], v25, v5
	v_xor_b32_e32 v26, 1, v4
	v_cndmask_b32_e64 v25, v4, v25, s[4:5]
	v_cmp_lt_i32_e64 s[4:5], v26, v5
	v_lshl_or_b32 v27, v20, 3, v21
	v_lshlrev_b32_e32 v21, 2, v21
	v_cndmask_b32_e64 v26, v4, v26, s[4:5]
	v_lshl_or_b32 v21, v20, 5, v21
	v_lshlrev_b32_e32 v7, 16, v11
	v_and_b32_e32 v8, 0xffff0000, v11
	v_lshlrev_b32_e32 v9, 16, v12
	v_and_b32_e32 v10, 0xffff0000, v12
	;; [unrolled: 2-line block ×4, first 2 shown]
	s_mov_b32 s15, s13
	v_lshlrev_b32_e32 v24, 2, v24
	v_lshlrev_b32_e32 v25, 2, v25
	;; [unrolled: 1-line block ×3, first 2 shown]
	v_cmp_neq_f32_e64 s[4:5], s10, 0
	v_add_u32_e32 v28, 0xd0, v21
	s_mov_b64 s[30:31], 0
	v_mov_b32_e32 v21, 0xff7fffff
	v_mov_b32_e32 v29, v20
	s_branch .LBB120_9
.LBB120_8:                              ;   in Loop: Header=BB120_9 Depth=1
	s_or_b64 exec, exec, s[34:35]
	v_add_u32_e32 v29, 2, v29
	v_cmp_le_i32_e64 s[6:7], s33, v29
	s_or_b64 s[30:31], s[6:7], s[30:31]
	v_add_co_u32_e64 v1, s[6:7], 8, v1
	v_add_u32_e32 v27, 16, v27
	v_add_u32_e32 v28, 64, v28
	v_addc_co_u32_e64 v2, s[6:7], 0, v2, s[6:7]
	s_andn2_b64 exec, exec, s[30:31]
	s_cbranch_execz .LBB120_11
.LBB120_9:                              ; =>This Inner Loop Header: Depth=1
	global_load_dword v30, v[1:2], off
	s_waitcnt vmcnt(0) lgkmcnt(0)
	v_mad_i64_i32 v[30:31], s[6:7], v30, s15, 0
	v_lshlrev_b64 v[30:31], 1, v[30:31]
	v_add_co_u32_e64 v30, s[6:7], v22, v30
	v_addc_co_u32_e64 v31, s[6:7], v23, v31, s[6:7]
	global_load_ushort v32, v[30:31], off
	global_load_ushort v33, v[30:31], off offset:128
	global_load_ushort v34, v[30:31], off offset:256
	;; [unrolled: 1-line block ×10, first 2 shown]
	s_nop 0
	global_load_ushort v30, v[30:31], off offset:1408
	s_waitcnt vmcnt(11)
	v_lshlrev_b32_e32 v31, 16, v32
	s_waitcnt vmcnt(10)
	v_lshlrev_b32_e32 v32, 16, v33
	v_mul_f32_e32 v32, v8, v32
	s_waitcnt vmcnt(9)
	v_lshlrev_b32_e32 v33, 16, v34
	v_fmac_f32_e32 v32, v7, v31
	s_waitcnt vmcnt(8)
	v_lshlrev_b32_e32 v34, 16, v35
	v_fmac_f32_e32 v32, v9, v33
	s_waitcnt vmcnt(7)
	v_lshlrev_b32_e32 v35, 16, v36
	v_fmac_f32_e32 v32, v10, v34
	s_waitcnt vmcnt(6)
	v_lshlrev_b32_e32 v36, 16, v37
	v_fmac_f32_e32 v32, v11, v35
	s_waitcnt vmcnt(5)
	v_lshlrev_b32_e32 v37, 16, v38
	v_fmac_f32_e32 v32, v12, v36
	s_waitcnt vmcnt(4)
	v_lshlrev_b32_e32 v38, 16, v39
	v_fmac_f32_e32 v32, v13, v37
	s_waitcnt vmcnt(3)
	v_lshlrev_b32_e32 v39, 16, v40
	v_fmac_f32_e32 v32, v14, v38
	s_waitcnt vmcnt(2)
	v_lshlrev_b32_e32 v40, 16, v41
	v_fmac_f32_e32 v32, v15, v39
	s_waitcnt vmcnt(1)
	v_lshlrev_b32_e32 v41, 16, v42
	v_fmac_f32_e32 v32, v16, v40
	v_fmac_f32_e32 v32, v17, v41
	s_waitcnt vmcnt(0)
	v_lshlrev_b32_e32 v30, 16, v30
	v_fmac_f32_e32 v32, v18, v30
	ds_bpermute_b32 v30, v24, v32
	s_waitcnt lgkmcnt(0)
	v_add_f32_e32 v30, v32, v30
	ds_bpermute_b32 v31, v25, v30
	s_waitcnt lgkmcnt(0)
	v_add_f32_e32 v30, v30, v31
	ds_bpermute_b32 v31, v26, v30
	s_and_saveexec_b64 s[34:35], vcc
	s_cbranch_execz .LBB120_8
; %bb.10:                               ;   in Loop: Header=BB120_9 Depth=1
	v_add_u32_e32 v32, s12, v27
	v_cvt_f32_i32_e32 v32, v32
	s_waitcnt lgkmcnt(0)
	v_add_f32_e32 v30, v30, v31
	v_cmp_gt_i32_e64 s[6:7], s17, v27
	v_max_f32_e32 v31, v21, v21
	v_mul_f32_e32 v32, s10, v32
	v_cndmask_b32_e64 v32, 0, v32, s[4:5]
	v_fmac_f32_e32 v32, s11, v30
	v_cndmask_b32_e64 v30, 0, v32, s[6:7]
	ds_write_b32 v28, v30
	v_max_f32_e32 v30, v31, v32
	v_cndmask_b32_e64 v21, v21, v30, s[6:7]
	s_branch .LBB120_8
.LBB120_11:
	s_or_b64 exec, exec, s[30:31]
.LBB120_12:
	s_or_b64 exec, exec, s[28:29]
	v_xor_b32_e32 v1, 32, v4
	v_cmp_lt_i32_e32 vcc, v1, v5
	v_cndmask_b32_e32 v1, v4, v1, vcc
	v_lshlrev_b32_e32 v2, 2, v1
	ds_bpermute_b32 v1, v2, v21
	v_xor_b32_e32 v8, 16, v4
	v_max_f32_e32 v7, v21, v21
	v_cmp_lt_i32_e32 vcc, v8, v5
	v_xor_b32_e32 v9, 8, v4
	s_waitcnt lgkmcnt(0)
	v_max_f32_e32 v1, v1, v1
	v_max_f32_e32 v1, v7, v1
	v_cndmask_b32_e32 v7, v4, v8, vcc
	v_lshlrev_b32_e32 v8, 2, v7
	ds_bpermute_b32 v7, v8, v1
	v_cmp_lt_i32_e32 vcc, v9, v5
	v_and_b32_e32 v21, 63, v0
	s_waitcnt lgkmcnt(0)
	v_max_f32_e32 v7, v7, v7
	v_max_f32_e32 v7, v1, v7
	v_cndmask_b32_e32 v1, v4, v9, vcc
	v_lshlrev_b32_e32 v10, 2, v1
	ds_bpermute_b32 v9, v10, v7
	v_cmp_eq_u32_e32 vcc, 0, v21
	v_lshlrev_b32_e32 v1, 2, v20
	s_and_saveexec_b64 s[4:5], vcc
	s_cbranch_execz .LBB120_14
; %bb.13:
	s_waitcnt lgkmcnt(0)
	v_max_f32_e32 v9, v9, v9
	v_max_f32_e32 v7, v7, v7
	;; [unrolled: 1-line block ×3, first 2 shown]
	ds_write_b32 v1, v7 offset:192
.LBB120_14:
	s_or_b64 exec, exec, s[4:5]
	v_cmp_gt_u32_e64 s[4:5], 2, v21
	v_mov_b32_e32 v11, 0xff7fffff
	v_lshlrev_b32_e32 v7, 2, v21
	s_waitcnt lgkmcnt(0)
	s_barrier
	s_and_saveexec_b64 s[6:7], s[4:5]
; %bb.15:
	ds_read_b32 v11, v7 offset:192
; %bb.16:
	s_or_b64 exec, exec, s[6:7]
	v_xor_b32_e32 v9, 1, v4
	v_cmp_lt_i32_e64 s[6:7], v9, v5
	v_cndmask_b32_e64 v9, v4, v9, s[6:7]
	v_lshlrev_b32_e32 v9, 2, v9
	s_waitcnt lgkmcnt(0)
	ds_bpermute_b32 v12, v9, v11
	v_max_f32_e32 v11, v11, v11
	v_lshlrev_b32_e32 v6, 2, v6
	s_lshl_b32 s6, s33, 3
	s_min_i32 s12, s6, s17
	s_waitcnt lgkmcnt(0)
	v_max_f32_e32 v12, v12, v12
	v_max_f32_e32 v11, v11, v12
	ds_bpermute_b32 v11, v6, v11
	v_cmp_gt_i32_e64 s[6:7], s12, v0
	v_mov_b32_e32 v6, 0
	s_and_saveexec_b64 s[28:29], s[6:7]
	s_cbranch_execz .LBB120_20
; %bb.17:
	v_mov_b32_e32 v6, 0xd0
	v_lshl_add_u32 v12, v0, 2, v6
	v_mov_b32_e32 v6, 0
	s_mov_b64 s[30:31], 0
	v_mov_b32_e32 v13, v0
.LBB120_18:                             ; =>This Inner Loop Header: Depth=1
	ds_read_b32 v14, v12
	v_add_u32_e32 v13, 0x80, v13
	v_cmp_le_i32_e64 s[10:11], s12, v13
	s_or_b64 s[30:31], s[10:11], s[30:31]
	s_waitcnt lgkmcnt(0)
	v_sub_f32_e32 v14, v14, v11
	v_mul_f32_e32 v14, 0x3fb8aa3b, v14
	v_exp_f32_e32 v14, v14
	ds_write_b32 v12, v14
	v_add_f32_e32 v6, v6, v14
	v_add_u32_e32 v12, 0x200, v12
	s_andn2_b64 exec, exec, s[30:31]
	s_cbranch_execnz .LBB120_18
; %bb.19:
	s_or_b64 exec, exec, s[30:31]
.LBB120_20:
	s_or_b64 exec, exec, s[28:29]
	ds_bpermute_b32 v2, v2, v6
	s_waitcnt lgkmcnt(0)
	v_add_f32_e32 v2, v6, v2
	ds_bpermute_b32 v6, v8, v2
	v_xor_b32_e32 v8, 4, v4
	v_cmp_lt_i32_e64 s[10:11], v8, v5
	v_cndmask_b32_e64 v8, v4, v8, s[10:11]
	v_lshlrev_b32_e32 v8, 2, v8
	s_waitcnt lgkmcnt(0)
	v_add_f32_e32 v2, v2, v6
	ds_bpermute_b32 v6, v10, v2
	s_waitcnt lgkmcnt(0)
	v_add_f32_e32 v2, v2, v6
	ds_bpermute_b32 v6, v8, v2
	v_xor_b32_e32 v8, 2, v4
	v_cmp_lt_i32_e64 s[10:11], v8, v5
	v_cndmask_b32_e64 v5, v4, v8, s[10:11]
	v_lshlrev_b32_e32 v5, 2, v5
	s_waitcnt lgkmcnt(0)
	v_add_f32_e32 v2, v2, v6
	ds_bpermute_b32 v5, v5, v2
	s_waitcnt lgkmcnt(0)
	v_add_f32_e32 v2, v2, v5
	ds_bpermute_b32 v5, v9, v2
	s_waitcnt lgkmcnt(0)
	v_add_f32_e32 v2, v2, v5
	s_and_saveexec_b64 s[10:11], vcc
; %bb.21:
	ds_write_b32 v1, v2 offset:200
; %bb.22:
	s_or_b64 exec, exec, s[10:11]
	s_waitcnt lgkmcnt(0)
	s_barrier
	s_and_saveexec_b64 s[10:11], s[4:5]
; %bb.23:
	ds_read_b32 v2, v7 offset:200
; %bb.24:
	s_or_b64 exec, exec, s[10:11]
	s_waitcnt lgkmcnt(0)
	ds_bpermute_b32 v1, v9, v2
	v_lshlrev_b32_e32 v4, 2, v4
	s_waitcnt lgkmcnt(0)
	v_add_f32_e32 v1, v2, v1
	v_and_b32_e32 v2, 0xffffff00, v4
	ds_bpermute_b32 v1, v2, v1
	s_and_saveexec_b64 s[4:5], s[6:7]
	s_cbranch_execz .LBB120_27
; %bb.25:
	s_waitcnt lgkmcnt(0)
	v_add_f32_e32 v2, 0x358637bd, v1
	v_div_scale_f32 v1, s[6:7], v2, v2, 1.0
	v_div_scale_f32 v4, vcc, 1.0, v2, 1.0
	s_mov_b64 s[6:7], 0
	v_rcp_f32_e32 v5, v1
	v_fma_f32 v6, -v1, v5, 1.0
	v_fmac_f32_e32 v5, v6, v5
	v_mul_f32_e32 v6, v4, v5
	v_fma_f32 v7, -v1, v6, v4
	v_fmac_f32_e32 v6, v7, v5
	v_fma_f32 v1, -v1, v6, v4
	v_div_fmas_f32 v4, v1, v5, v6
	v_mov_b32_e32 v1, 0xd0
	v_lshl_add_u32 v1, v0, 2, v1
	v_div_fixup_f32 v2, v4, v2, 1.0
	v_mov_b32_e32 v4, v0
.LBB120_26:                             ; =>This Inner Loop Header: Depth=1
	ds_read_b32 v5, v1
	v_add_u32_e32 v4, 0x80, v4
	v_cmp_le_i32_e32 vcc, s12, v4
	s_or_b64 s[6:7], vcc, s[6:7]
	s_waitcnt lgkmcnt(0)
	v_mul_f32_e32 v5, v2, v5
	ds_write_b32 v1, v5
	v_add_u32_e32 v1, 0x200, v1
	s_andn2_b64 exec, exec, s[6:7]
	s_cbranch_execnz .LBB120_26
.LBB120_27:
	s_or_b64 exec, exec, s[4:5]
	v_mov_b32_e32 v15, 0
	v_mov_b32_e32 v16, v15
	;; [unrolled: 1-line block ×4, first 2 shown]
	s_waitcnt lgkmcnt(0)
	s_barrier
	s_and_saveexec_b64 s[10:11], s[2:3]
	s_cbranch_execz .LBB120_37
; %bb.28:
	s_ashr_i32 s15, s14, 31
	s_lshl_b64 s[2:3], s[14:15], 1
	s_add_u32 s26, s26, s2
	s_addc_u32 s6, s27, s3
	s_add_i32 s27, s33, -1
	s_lshl_b64 s[4:5], s[24:25], 2
	s_add_u32 s4, s22, s4
	v_or_b32_e32 v2, 64, v21
	s_movk_i32 s2, 0x60
	v_mov_b32_e32 v4, 0xd0
	v_and_b32_e32 v3, 60, v3
	s_addc_u32 s5, s23, s5
	v_lshlrev_b32_e32 v1, 3, v21
	v_cmp_gt_u32_e64 s[2:3], s2, v2
	v_lshlrev_b32_e32 v2, 3, v2
	v_lshl_add_u32 v23, v20, 5, v4
	v_mov_b32_e32 v4, s5
	v_add_co_u32_e32 v17, vcc, s4, v3
	v_mov_b32_e32 v16, v15
	v_mov_b32_e32 v13, v15
	s_mov_b32 s28, s13
	s_mov_b32 s29, s17
	v_lshlrev_b32_e32 v22, 3, v20
	v_addc_co_u32_e32 v18, vcc, 0, v4, vcc
	s_mov_b64 s[12:13], 0
	v_mov_b32_e32 v24, s6
	v_lshlrev_b32_e32 v25, 1, v1
	s_mov_b32 s22, 0x5040100
	s_movk_i32 s23, 0x7fff
	s_mov_b32 s24, 0x7060302
	v_lshlrev_b32_e32 v26, 1, v2
	v_mov_b32_e32 v14, v16
	s_branch .LBB120_31
.LBB120_29:                             ;   in Loop: Header=BB120_31 Depth=1
	s_or_b64 exec, exec, s[14:15]
	v_perm_b32 v9, v10, v9, s24
	v_perm_b32 v5, v6, v5, s24
	;; [unrolled: 1-line block ×3, first 2 shown]
	s_waitcnt vmcnt(0)
	v_lshlrev_b32_e32 v7, 16, v1
	v_lshlrev_b32_e32 v8, 16, v9
	v_mul_f32_e32 v7, v8, v7
	v_bfe_u32 v8, v7, 16, 1
	v_perm_b32 v10, v12, v11, s24
	v_add3_u32 v8, v8, v7, s23
	v_or_b32_e32 v11, 0x400000, v7
	v_cmp_u_f32_e32 vcc, v7, v7
	v_cndmask_b32_e32 v7, v8, v11, vcc
	v_and_b32_e32 v1, 0xffff0000, v1
	v_and_b32_e32 v8, 0xffff0000, v9
	v_mul_f32_e32 v1, v8, v1
	v_bfe_u32 v8, v1, 16, 1
	v_add3_u32 v8, v8, v1, s23
	v_or_b32_e32 v9, 0x400000, v1
	v_cmp_u_f32_e32 vcc, v1, v1
	v_cndmask_b32_e32 v1, v8, v9, vcc
	v_lshlrev_b32_e32 v8, 16, v2
	v_lshlrev_b32_e32 v9, 16, v10
	v_mul_f32_e32 v8, v9, v8
	v_bfe_u32 v9, v8, 16, 1
	v_add3_u32 v9, v9, v8, s23
	v_or_b32_e32 v11, 0x400000, v8
	v_cmp_u_f32_e32 vcc, v8, v8
	v_cndmask_b32_e32 v8, v9, v11, vcc
	v_and_b32_e32 v2, 0xffff0000, v2
	v_and_b32_e32 v9, 0xffff0000, v10
	v_mul_f32_e32 v2, v9, v2
	v_bfe_u32 v9, v2, 16, 1
	v_add3_u32 v9, v9, v2, s23
	v_or_b32_e32 v10, 0x400000, v2
	v_cmp_u_f32_e32 vcc, v2, v2
	v_cndmask_b32_e32 v2, v9, v10, vcc
	v_lshlrev_b32_e32 v9, 16, v3
	v_lshlrev_b32_e32 v10, 16, v5
	v_mul_f32_e32 v9, v10, v9
	v_and_b32_e32 v3, 0xffff0000, v3
	v_and_b32_e32 v5, 0xffff0000, v5
	v_bfe_u32 v10, v9, 16, 1
	v_mul_f32_e32 v3, v5, v3
	v_add3_u32 v10, v10, v9, s23
	v_or_b32_e32 v11, 0x400000, v9
	v_cmp_u_f32_e32 vcc, v9, v9
	v_bfe_u32 v5, v3, 16, 1
	v_cndmask_b32_e32 v9, v10, v11, vcc
	v_add3_u32 v5, v5, v3, s23
	v_or_b32_e32 v10, 0x400000, v3
	v_cmp_u_f32_e32 vcc, v3, v3
	v_cndmask_b32_e32 v3, v5, v10, vcc
	v_lshlrev_b32_e32 v5, 16, v4
	v_lshlrev_b32_e32 v10, 16, v6
	v_mul_f32_e32 v5, v10, v5
	v_and_b32_e32 v4, 0xffff0000, v4
	v_and_b32_e32 v6, 0xffff0000, v6
	v_bfe_u32 v10, v5, 16, 1
	v_mul_f32_e32 v4, v6, v4
	v_add3_u32 v10, v10, v5, s23
	v_or_b32_e32 v11, 0x400000, v5
	v_cmp_u_f32_e32 vcc, v5, v5
	v_bfe_u32 v6, v4, 16, 1
	v_cndmask_b32_e32 v5, v10, v11, vcc
	v_add3_u32 v6, v6, v4, s23
	v_or_b32_e32 v10, 0x400000, v4
	v_cmp_u_f32_e32 vcc, v4, v4
	v_cndmask_b32_e32 v4, v6, v10, vcc
	v_and_b32_e32 v1, 0xffff0000, v1
	v_and_b32_e32 v6, 0xffff0000, v7
	v_add_f32_e32 v1, v6, v1
	v_and_b32_e32 v2, 0xffff0000, v2
	v_and_b32_e32 v6, 0xffff0000, v8
	v_add_f32_e32 v2, v6, v2
	v_add_f32_e32 v1, v2, v1
	v_and_b32_e32 v2, 0xffff0000, v3
	v_and_b32_e32 v3, 0xffff0000, v9
	v_add_f32_e32 v2, v3, v2
	;; [unrolled: 4-line block ×3, first 2 shown]
	v_add_f32_e32 v1, v2, v1
	v_add_f32_e32 v14, v14, v1
.LBB120_30:                             ;   in Loop: Header=BB120_31 Depth=1
	s_or_b64 exec, exec, s[6:7]
	v_add_u32_e32 v20, 2, v20
	v_cmp_le_i32_e32 vcc, s33, v20
	s_or_b64 s[12:13], vcc, s[12:13]
	v_add_co_u32_e32 v17, vcc, 8, v17
	v_add_u32_e32 v22, 16, v22
	v_add_u32_e32 v23, 64, v23
	v_addc_co_u32_e32 v18, vcc, 0, v18, vcc
	s_andn2_b64 exec, exec, s[12:13]
	s_cbranch_execz .LBB120_36
.LBB120_31:                             ; =>This Inner Loop Header: Depth=1
	global_load_dword v1, v[17:18], off
	s_waitcnt vmcnt(0)
	v_mad_i64_i32 v[1:2], s[4:5], v1, s28, 0
	v_cmp_eq_u32_e64 s[4:5], s27, v20
	v_lshlrev_b64 v[1:2], 1, v[1:2]
	v_add_co_u32_e32 v16, vcc, s26, v1
	v_addc_co_u32_e32 v27, vcc, v24, v2, vcc
	v_add_co_u32_e32 v1, vcc, v16, v25
	v_addc_co_u32_e32 v2, vcc, 0, v27, vcc
	global_load_dwordx4 v[1:4], v[1:2], off
	ds_read2_b64 v[9:12], v23 offset1:1
	ds_read2_b64 v[5:8], v23 offset0:2 offset1:3
	s_and_saveexec_b64 s[14:15], s[4:5]
	s_cbranch_execz .LBB120_33
; %bb.32:                               ;   in Loop: Header=BB120_31 Depth=1
	v_add_u32_e32 v28, 1, v22
	v_cmp_gt_i32_e32 vcc, s29, v28
	s_waitcnt vmcnt(0)
	v_cndmask_b32_sdwa v28, v15, v1, vcc dst_sel:DWORD dst_unused:UNUSED_PAD src0_sel:DWORD src1_sel:WORD_1
	v_cmp_gt_i32_e32 vcc, s17, v22
	v_cndmask_b32_e32 v1, 0, v1, vcc
	v_perm_b32 v1, v28, v1, s22
	v_or_b32_e32 v28, 3, v22
	v_or_b32_e32 v29, 2, v22
	v_cmp_gt_i32_e32 vcc, s29, v28
	v_cmp_gt_i32_e64 s[6:7], s17, v29
	v_cndmask_b32_e64 v28, 0, v2, s[6:7]
	v_cndmask_b32_sdwa v2, v15, v2, vcc dst_sel:DWORD dst_unused:UNUSED_PAD src0_sel:DWORD src1_sel:WORD_1
	v_perm_b32 v2, v2, v28, s22
	v_or_b32_e32 v28, 5, v22
	v_or_b32_e32 v29, 4, v22
	v_cmp_gt_i32_e32 vcc, s29, v28
	v_cmp_gt_i32_e64 s[6:7], s17, v29
	v_cndmask_b32_e64 v28, 0, v3, s[6:7]
	v_cndmask_b32_sdwa v3, v15, v3, vcc dst_sel:DWORD dst_unused:UNUSED_PAD src0_sel:DWORD src1_sel:WORD_1
	;; [unrolled: 7-line block ×3, first 2 shown]
	v_perm_b32 v4, v4, v28, s22
.LBB120_33:                             ;   in Loop: Header=BB120_31 Depth=1
	s_or_b64 exec, exec, s[14:15]
	s_waitcnt lgkmcnt(1)
	v_bfe_u32 v28, v9, 16, 1
	v_add3_u32 v28, v28, v9, s23
	v_or_b32_e32 v29, 0x400000, v9
	v_cmp_u_f32_e32 vcc, v9, v9
	v_cndmask_b32_e32 v9, v28, v29, vcc
	v_bfe_u32 v28, v10, 16, 1
	v_add3_u32 v28, v28, v10, s23
	v_or_b32_e32 v29, 0x400000, v10
	v_cmp_u_f32_e32 vcc, v10, v10
	v_cndmask_b32_e32 v10, v28, v29, vcc
	v_bfe_u32 v28, v11, 16, 1
	v_add3_u32 v28, v28, v11, s23
	v_or_b32_e32 v29, 0x400000, v11
	v_cmp_u_f32_e32 vcc, v11, v11
	v_cndmask_b32_e32 v11, v28, v29, vcc
	v_bfe_u32 v28, v12, 16, 1
	v_add3_u32 v28, v28, v12, s23
	v_or_b32_e32 v29, 0x400000, v12
	v_cmp_u_f32_e32 vcc, v12, v12
	v_cndmask_b32_e32 v12, v28, v29, vcc
	s_waitcnt lgkmcnt(0)
	v_bfe_u32 v28, v5, 16, 1
	v_add3_u32 v28, v28, v5, s23
	v_or_b32_e32 v29, 0x400000, v5
	v_cmp_u_f32_e32 vcc, v5, v5
	v_cndmask_b32_e32 v5, v28, v29, vcc
	v_bfe_u32 v28, v6, 16, 1
	v_add3_u32 v28, v28, v6, s23
	v_or_b32_e32 v29, 0x400000, v6
	v_cmp_u_f32_e32 vcc, v6, v6
	v_cndmask_b32_e32 v6, v28, v29, vcc
	;; [unrolled: 5-line block ×4, first 2 shown]
	v_and_b32_e32 v28, 0xffff0000, v9
	s_waitcnt vmcnt(0)
	v_lshlrev_b32_e32 v29, 16, v1
	v_mul_f32_e32 v28, v28, v29
	v_bfe_u32 v29, v28, 16, 1
	v_add3_u32 v29, v29, v28, s23
	v_or_b32_e32 v30, 0x400000, v28
	v_cmp_u_f32_e32 vcc, v28, v28
	v_cndmask_b32_e32 v28, v29, v30, vcc
	v_and_b32_e32 v29, 0xffff0000, v10
	v_and_b32_e32 v1, 0xffff0000, v1
	v_mul_f32_e32 v1, v29, v1
	v_bfe_u32 v29, v1, 16, 1
	v_add3_u32 v29, v29, v1, s23
	v_or_b32_e32 v30, 0x400000, v1
	v_cmp_u_f32_e32 vcc, v1, v1
	v_cndmask_b32_e32 v1, v29, v30, vcc
	v_and_b32_e32 v29, 0xffff0000, v11
	v_lshlrev_b32_e32 v30, 16, v2
	v_mul_f32_e32 v29, v29, v30
	v_bfe_u32 v30, v29, 16, 1
	v_add3_u32 v30, v30, v29, s23
	v_or_b32_e32 v31, 0x400000, v29
	v_cmp_u_f32_e32 vcc, v29, v29
	v_cndmask_b32_e32 v29, v30, v31, vcc
	v_and_b32_e32 v30, 0xffff0000, v12
	v_and_b32_e32 v2, 0xffff0000, v2
	v_mul_f32_e32 v2, v30, v2
	v_bfe_u32 v30, v2, 16, 1
	v_add3_u32 v30, v30, v2, s23
	v_or_b32_e32 v31, 0x400000, v2
	v_cmp_u_f32_e32 vcc, v2, v2
	v_cndmask_b32_e32 v2, v30, v31, vcc
	v_and_b32_e32 v30, 0xffff0000, v5
	;; [unrolled: 16-line block ×3, first 2 shown]
	v_lshlrev_b32_e32 v32, 16, v4
	v_mul_f32_e32 v31, v31, v32
	v_bfe_u32 v32, v31, 16, 1
	v_add3_u32 v32, v32, v31, s23
	v_or_b32_e32 v33, 0x400000, v31
	v_cmp_u_f32_e32 vcc, v31, v31
	v_cndmask_b32_e32 v31, v32, v33, vcc
	v_and_b32_e32 v32, 0xffff0000, v8
	v_and_b32_e32 v4, 0xffff0000, v4
	;; [unrolled: 1-line block ×4, first 2 shown]
	v_mul_f32_e32 v4, v32, v4
	v_add_f32_e32 v1, v28, v1
	v_and_b32_e32 v2, 0xffff0000, v2
	v_and_b32_e32 v28, 0xffff0000, v29
	v_bfe_u32 v32, v4, 16, 1
	v_add_f32_e32 v2, v28, v2
	v_add3_u32 v32, v32, v4, s23
	v_or_b32_e32 v33, 0x400000, v4
	v_cmp_u_f32_e32 vcc, v4, v4
	v_add_f32_e32 v1, v2, v1
	v_and_b32_e32 v2, 0xffff0000, v3
	v_and_b32_e32 v3, 0xffff0000, v30
	v_cndmask_b32_e32 v4, v32, v33, vcc
	v_add_f32_e32 v2, v3, v2
	v_add_f32_e32 v1, v2, v1
	v_and_b32_e32 v2, 0xffff0000, v4
	v_and_b32_e32 v3, 0xffff0000, v31
	v_add_f32_e32 v2, v3, v2
	v_add_f32_e32 v1, v2, v1
	;; [unrolled: 1-line block ×3, first 2 shown]
	s_and_saveexec_b64 s[6:7], s[2:3]
	s_cbranch_execz .LBB120_30
; %bb.34:                               ;   in Loop: Header=BB120_31 Depth=1
	v_add_co_u32_e32 v1, vcc, v16, v26
	v_addc_co_u32_e32 v2, vcc, 0, v27, vcc
	global_load_dwordx4 v[1:4], v[1:2], off
	s_and_saveexec_b64 s[14:15], s[4:5]
	s_cbranch_execz .LBB120_29
; %bb.35:                               ;   in Loop: Header=BB120_31 Depth=1
	v_add_u32_e32 v16, 1, v22
	v_cmp_gt_i32_e32 vcc, s29, v16
	s_waitcnt vmcnt(0)
	v_cndmask_b32_sdwa v16, v15, v1, vcc dst_sel:DWORD dst_unused:UNUSED_PAD src0_sel:DWORD src1_sel:WORD_1
	v_cmp_gt_i32_e32 vcc, s17, v22
	v_cndmask_b32_e32 v1, 0, v1, vcc
	v_perm_b32 v1, v16, v1, s22
	v_or_b32_e32 v16, 3, v22
	v_or_b32_e32 v27, 2, v22
	v_cmp_gt_i32_e32 vcc, s29, v16
	v_cmp_gt_i32_e64 s[4:5], s17, v27
	v_cndmask_b32_e64 v16, 0, v2, s[4:5]
	v_cndmask_b32_sdwa v2, v15, v2, vcc dst_sel:DWORD dst_unused:UNUSED_PAD src0_sel:DWORD src1_sel:WORD_1
	v_perm_b32 v2, v2, v16, s22
	v_or_b32_e32 v16, 5, v22
	v_or_b32_e32 v27, 4, v22
	v_cmp_gt_i32_e32 vcc, s29, v16
	v_cmp_gt_i32_e64 s[4:5], s17, v27
	v_cndmask_b32_e64 v16, 0, v3, s[4:5]
	v_cndmask_b32_sdwa v3, v15, v3, vcc dst_sel:DWORD dst_unused:UNUSED_PAD src0_sel:DWORD src1_sel:WORD_1
	;; [unrolled: 7-line block ×3, first 2 shown]
	v_perm_b32 v4, v4, v16, s22
	s_branch .LBB120_29
.LBB120_36:
	s_or_b64 exec, exec, s[12:13]
.LBB120_37:
	s_or_b64 exec, exec, s[10:11]
	v_and_b32_e32 v1, 0x3c0, v0
	v_cmp_eq_u32_e32 vcc, 64, v1
	s_barrier
	s_and_saveexec_b64 s[2:3], vcc
	s_cbranch_execz .LBB120_40
; %bb.38:
	v_mov_b32_e32 v1, 0xd0
	v_lshl_add_u32 v2, v21, 2, v1
	ds_write_b32 v2, v13
	s_and_b64 exec, exec, s[0:1]
; %bb.39:
	v_lshl_add_u32 v1, v0, 2, v1
	ds_write_b32 v1, v14
.LBB120_40:
	s_or_b64 exec, exec, s[2:3]
	v_cmp_gt_u32_e32 vcc, 64, v0
	v_or_b32_e32 v1, 64, v0
	s_waitcnt lgkmcnt(0)
	s_barrier
	s_and_saveexec_b64 s[2:3], vcc
	s_cbranch_execz .LBB120_44
; %bb.41:
	v_mov_b32_e32 v2, 0xd0
	v_lshl_add_u32 v0, v0, 2, v2
	ds_read_b32 v2, v0
	s_movk_i32 s0, 0x60
	v_cmp_gt_u32_e64 s[0:1], s0, v1
	s_waitcnt lgkmcnt(0)
	v_add_f32_e32 v13, v13, v2
	s_and_saveexec_b64 s[4:5], s[0:1]
	s_cbranch_execz .LBB120_43
; %bb.42:
	ds_read_b32 v0, v0 offset:256
	s_waitcnt lgkmcnt(0)
	v_add_f32_e32 v14, v14, v0
.LBB120_43:
	s_or_b64 exec, exec, s[4:5]
.LBB120_44:
	s_or_b64 exec, exec, s[2:3]
	s_barrier
	s_and_saveexec_b64 s[0:1], vcc
	s_cbranch_execz .LBB120_47
; %bb.45:
	s_mul_i32 s0, s16, s19
	s_mul_i32 s0, s0, s9
	s_mulk_i32 s0, 0x60
	s_ashr_i32 s1, s0, 31
	s_lshl_b64 s[0:1], s[0:1], 1
	s_add_u32 s2, s20, s0
	s_mul_i32 s0, s19, s18
	s_addc_u32 s4, s21, s1
	s_ashr_i32 s1, s0, 31
	s_lshl_b64 s[0:1], s[0:1], 1
	s_add_u32 s2, s2, s0
	s_mul_i32 s0, s8, 0x60
	s_addc_u32 s4, s4, s1
	s_ashr_i32 s1, s0, 31
	s_lshl_b64 s[0:1], s[0:1], 1
	s_add_u32 s0, s2, s0
	v_bfe_u32 v0, v13, 16, 1
	s_movk_i32 s2, 0x7fff
	s_movk_i32 s3, 0x60
	v_add3_u32 v0, v0, v13, s2
	v_or_b32_e32 v2, 0x400000, v13
	v_cmp_u_f32_e32 vcc, v13, v13
	s_addc_u32 s1, s4, s1
	v_cndmask_b32_e32 v0, v0, v2, vcc
	v_cmp_gt_u32_e32 vcc, s3, v1
	global_store_short_d16_hi v19, v0, s[0:1]
	s_and_b64 exec, exec, vcc
	s_cbranch_execz .LBB120_47
; %bb.46:
	v_mov_b32_e32 v1, s1
	v_add_co_u32_e32 v0, vcc, s0, v19
	v_addc_co_u32_e32 v1, vcc, 0, v1, vcc
	v_bfe_u32 v2, v14, 16, 1
	v_add3_u32 v2, v2, v14, s2
	v_or_b32_e32 v3, 0x400000, v14
	v_cmp_u_f32_e32 vcc, v14, v14
	v_cndmask_b32_e32 v2, v2, v3, vcc
	global_store_short_d16_hi v[0:1], v2, off offset:128
.LBB120_47:
	s_endpgm
	.section	.rodata,"a",@progbits
	.p2align	6, 0x0
	.amdhsa_kernel _ZN4vllm25paged_attention_v1_kernelI14__hip_bfloat16S1_Li96ELi8ELi128ELNS_18Fp8KVCacheDataTypeE0ELb0EEEvPT_PKS3_PKT0_S9_ifPKiSB_iPKfiiiSD_SD_iiiii
		.amdhsa_group_segment_fixed_size 208
		.amdhsa_private_segment_fixed_size 0
		.amdhsa_kernarg_size 384
		.amdhsa_user_sgpr_count 6
		.amdhsa_user_sgpr_private_segment_buffer 1
		.amdhsa_user_sgpr_dispatch_ptr 0
		.amdhsa_user_sgpr_queue_ptr 0
		.amdhsa_user_sgpr_kernarg_segment_ptr 1
		.amdhsa_user_sgpr_dispatch_id 0
		.amdhsa_user_sgpr_flat_scratch_init 0
		.amdhsa_user_sgpr_private_segment_size 0
		.amdhsa_uses_dynamic_stack 0
		.amdhsa_system_sgpr_private_segment_wavefront_offset 0
		.amdhsa_system_sgpr_workgroup_id_x 1
		.amdhsa_system_sgpr_workgroup_id_y 1
		.amdhsa_system_sgpr_workgroup_id_z 1
		.amdhsa_system_sgpr_workgroup_info 0
		.amdhsa_system_vgpr_workitem_id 0
		.amdhsa_next_free_vgpr 43
		.amdhsa_next_free_sgpr 36
		.amdhsa_reserve_vcc 1
		.amdhsa_reserve_flat_scratch 0
		.amdhsa_float_round_mode_32 0
		.amdhsa_float_round_mode_16_64 0
		.amdhsa_float_denorm_mode_32 3
		.amdhsa_float_denorm_mode_16_64 3
		.amdhsa_dx10_clamp 1
		.amdhsa_ieee_mode 1
		.amdhsa_fp16_overflow 0
		.amdhsa_exception_fp_ieee_invalid_op 0
		.amdhsa_exception_fp_denorm_src 0
		.amdhsa_exception_fp_ieee_div_zero 0
		.amdhsa_exception_fp_ieee_overflow 0
		.amdhsa_exception_fp_ieee_underflow 0
		.amdhsa_exception_fp_ieee_inexact 0
		.amdhsa_exception_int_div_zero 0
	.end_amdhsa_kernel
	.section	.text._ZN4vllm25paged_attention_v1_kernelI14__hip_bfloat16S1_Li96ELi8ELi128ELNS_18Fp8KVCacheDataTypeE0ELb0EEEvPT_PKS3_PKT0_S9_ifPKiSB_iPKfiiiSD_SD_iiiii,"axG",@progbits,_ZN4vllm25paged_attention_v1_kernelI14__hip_bfloat16S1_Li96ELi8ELi128ELNS_18Fp8KVCacheDataTypeE0ELb0EEEvPT_PKS3_PKT0_S9_ifPKiSB_iPKfiiiSD_SD_iiiii,comdat
.Lfunc_end120:
	.size	_ZN4vllm25paged_attention_v1_kernelI14__hip_bfloat16S1_Li96ELi8ELi128ELNS_18Fp8KVCacheDataTypeE0ELb0EEEvPT_PKS3_PKT0_S9_ifPKiSB_iPKfiiiSD_SD_iiiii, .Lfunc_end120-_ZN4vllm25paged_attention_v1_kernelI14__hip_bfloat16S1_Li96ELi8ELi128ELNS_18Fp8KVCacheDataTypeE0ELb0EEEvPT_PKS3_PKT0_S9_ifPKiSB_iPKfiiiSD_SD_iiiii
                                        ; -- End function
	.set _ZN4vllm25paged_attention_v1_kernelI14__hip_bfloat16S1_Li96ELi8ELi128ELNS_18Fp8KVCacheDataTypeE0ELb0EEEvPT_PKS3_PKT0_S9_ifPKiSB_iPKfiiiSD_SD_iiiii.num_vgpr, 43
	.set _ZN4vllm25paged_attention_v1_kernelI14__hip_bfloat16S1_Li96ELi8ELi128ELNS_18Fp8KVCacheDataTypeE0ELb0EEEvPT_PKS3_PKT0_S9_ifPKiSB_iPKfiiiSD_SD_iiiii.num_agpr, 0
	.set _ZN4vllm25paged_attention_v1_kernelI14__hip_bfloat16S1_Li96ELi8ELi128ELNS_18Fp8KVCacheDataTypeE0ELb0EEEvPT_PKS3_PKT0_S9_ifPKiSB_iPKfiiiSD_SD_iiiii.numbered_sgpr, 36
	.set _ZN4vllm25paged_attention_v1_kernelI14__hip_bfloat16S1_Li96ELi8ELi128ELNS_18Fp8KVCacheDataTypeE0ELb0EEEvPT_PKS3_PKT0_S9_ifPKiSB_iPKfiiiSD_SD_iiiii.num_named_barrier, 0
	.set _ZN4vllm25paged_attention_v1_kernelI14__hip_bfloat16S1_Li96ELi8ELi128ELNS_18Fp8KVCacheDataTypeE0ELb0EEEvPT_PKS3_PKT0_S9_ifPKiSB_iPKfiiiSD_SD_iiiii.private_seg_size, 0
	.set _ZN4vllm25paged_attention_v1_kernelI14__hip_bfloat16S1_Li96ELi8ELi128ELNS_18Fp8KVCacheDataTypeE0ELb0EEEvPT_PKS3_PKT0_S9_ifPKiSB_iPKfiiiSD_SD_iiiii.uses_vcc, 1
	.set _ZN4vllm25paged_attention_v1_kernelI14__hip_bfloat16S1_Li96ELi8ELi128ELNS_18Fp8KVCacheDataTypeE0ELb0EEEvPT_PKS3_PKT0_S9_ifPKiSB_iPKfiiiSD_SD_iiiii.uses_flat_scratch, 0
	.set _ZN4vllm25paged_attention_v1_kernelI14__hip_bfloat16S1_Li96ELi8ELi128ELNS_18Fp8KVCacheDataTypeE0ELb0EEEvPT_PKS3_PKT0_S9_ifPKiSB_iPKfiiiSD_SD_iiiii.has_dyn_sized_stack, 0
	.set _ZN4vllm25paged_attention_v1_kernelI14__hip_bfloat16S1_Li96ELi8ELi128ELNS_18Fp8KVCacheDataTypeE0ELb0EEEvPT_PKS3_PKT0_S9_ifPKiSB_iPKfiiiSD_SD_iiiii.has_recursion, 0
	.set _ZN4vllm25paged_attention_v1_kernelI14__hip_bfloat16S1_Li96ELi8ELi128ELNS_18Fp8KVCacheDataTypeE0ELb0EEEvPT_PKS3_PKT0_S9_ifPKiSB_iPKfiiiSD_SD_iiiii.has_indirect_call, 0
	.section	.AMDGPU.csdata,"",@progbits
; Kernel info:
; codeLenInByte = 4592
; TotalNumSgprs: 40
; NumVgprs: 43
; ScratchSize: 0
; MemoryBound: 0
; FloatMode: 240
; IeeeMode: 1
; LDSByteSize: 208 bytes/workgroup (compile time only)
; SGPRBlocks: 4
; VGPRBlocks: 10
; NumSGPRsForWavesPerEU: 40
; NumVGPRsForWavesPerEU: 43
; Occupancy: 5
; WaveLimiterHint : 1
; COMPUTE_PGM_RSRC2:SCRATCH_EN: 0
; COMPUTE_PGM_RSRC2:USER_SGPR: 6
; COMPUTE_PGM_RSRC2:TRAP_HANDLER: 0
; COMPUTE_PGM_RSRC2:TGID_X_EN: 1
; COMPUTE_PGM_RSRC2:TGID_Y_EN: 1
; COMPUTE_PGM_RSRC2:TGID_Z_EN: 1
; COMPUTE_PGM_RSRC2:TIDIG_COMP_CNT: 0
	.section	.text._ZN4vllm25paged_attention_v1_kernelI14__hip_bfloat16S1_Li112ELi8ELi128ELNS_18Fp8KVCacheDataTypeE0ELb0EEEvPT_PKS3_PKT0_S9_ifPKiSB_iPKfiiiSD_SD_iiiii,"axG",@progbits,_ZN4vllm25paged_attention_v1_kernelI14__hip_bfloat16S1_Li112ELi8ELi128ELNS_18Fp8KVCacheDataTypeE0ELb0EEEvPT_PKS3_PKT0_S9_ifPKiSB_iPKfiiiSD_SD_iiiii,comdat
	.protected	_ZN4vllm25paged_attention_v1_kernelI14__hip_bfloat16S1_Li112ELi8ELi128ELNS_18Fp8KVCacheDataTypeE0ELb0EEEvPT_PKS3_PKT0_S9_ifPKiSB_iPKfiiiSD_SD_iiiii ; -- Begin function _ZN4vllm25paged_attention_v1_kernelI14__hip_bfloat16S1_Li112ELi8ELi128ELNS_18Fp8KVCacheDataTypeE0ELb0EEEvPT_PKS3_PKT0_S9_ifPKiSB_iPKfiiiSD_SD_iiiii
	.globl	_ZN4vllm25paged_attention_v1_kernelI14__hip_bfloat16S1_Li112ELi8ELi128ELNS_18Fp8KVCacheDataTypeE0ELb0EEEvPT_PKS3_PKT0_S9_ifPKiSB_iPKfiiiSD_SD_iiiii
	.p2align	8
	.type	_ZN4vllm25paged_attention_v1_kernelI14__hip_bfloat16S1_Li112ELi8ELi128ELNS_18Fp8KVCacheDataTypeE0ELb0EEEvPT_PKS3_PKT0_S9_ifPKiSB_iPKfiiiSD_SD_iiiii,@function
_ZN4vllm25paged_attention_v1_kernelI14__hip_bfloat16S1_Li112ELi8ELi128ELNS_18Fp8KVCacheDataTypeE0ELb0EEEvPT_PKS3_PKT0_S9_ifPKiSB_iPKfiiiSD_SD_iiiii: ; @_ZN4vllm25paged_attention_v1_kernelI14__hip_bfloat16S1_Li112ELi8ELi128ELNS_18Fp8KVCacheDataTypeE0ELb0EEEvPT_PKS3_PKT0_S9_ifPKiSB_iPKfiiiSD_SD_iiiii
; %bb.0:
	s_load_dword s9, s[4:5], 0x80
	s_load_dwordx2 s[0:1], s[4:5], 0x30
	s_load_dwordx2 s[10:11], s[4:5], 0x20
	s_mov_b32 s16, s7
	s_ashr_i32 s17, s7, 31
	s_lshl_b64 s[2:3], s[16:17], 2
	s_waitcnt lgkmcnt(0)
	s_add_u32 s0, s0, s2
	s_addc_u32 s1, s1, s3
	s_abs_i32 s2, s10
	v_cvt_f32_u32_e32 v1, s2
	s_xor_b32 s3, s9, s10
	s_sub_i32 s10, 0, s2
	s_abs_i32 s7, s9
	v_rcp_iflag_f32_e32 v1, v1
	s_ashr_i32 s3, s3, 31
	v_mul_f32_e32 v1, 0x4f7ffffe, v1
	v_cvt_u32_f32_e32 v1, v1
	v_readfirstlane_b32 s12, v1
	s_mul_i32 s10, s10, s12
	s_mul_hi_u32 s10, s12, s10
	s_add_i32 s12, s12, s10
	s_mul_hi_u32 s10, s7, s12
	s_mul_i32 s12, s10, s2
	s_sub_i32 s7, s7, s12
	s_add_i32 s12, s10, 1
	s_sub_i32 s13, s7, s2
	s_cmp_ge_u32 s7, s2
	s_cselect_b32 s10, s12, s10
	s_cselect_b32 s7, s13, s7
	s_add_i32 s12, s10, 1
	s_cmp_ge_u32 s7, s2
	s_cselect_b32 s2, s12, s10
	s_xor_b32 s2, s2, s3
	s_sub_i32 s12, s2, s3
	s_abs_i32 s20, s12
	v_cvt_f32_u32_e32 v1, s20
	s_load_dwordx2 s[2:3], s[4:5], 0x40
	s_sub_i32 s7, 0, s20
	s_abs_i32 s21, s6
	v_rcp_iflag_f32_e32 v1, v1
	s_mov_b32 s10, 0
	v_mul_f32_e32 v1, 0x4f7ffffe, v1
	v_cvt_u32_f32_e32 v1, v1
	v_readfirstlane_b32 s13, v1
	s_mul_i32 s7, s7, s13
	s_mul_hi_u32 s7, s13, s7
	s_add_i32 s13, s13, s7
	s_waitcnt lgkmcnt(0)
	s_cmp_eq_u64 s[2:3], 0
	s_mul_hi_u32 s24, s21, s13
	s_cbranch_scc1 .LBB121_2
; %bb.1:
	s_ashr_i32 s7, s6, 31
	s_lshl_b64 s[14:15], s[6:7], 2
	s_add_u32 s2, s2, s14
	s_addc_u32 s3, s3, s15
	s_load_dword s10, s[2:3], 0x0
.LBB121_2:
	s_load_dword s17, s[0:1], 0x0
	s_ashr_i32 s25, s12, 31
	s_load_dwordx4 s[12:15], s[4:5], 0x48
	s_movk_i32 s0, 0x70
	s_ashr_i32 s7, s6, 31
	v_and_b32_e32 v1, 7, v0
	s_mul_i32 s18, s6, 0x70
	v_cmp_gt_u32_e64 s[0:1], s0, v0
	v_lshlrev_b32_e32 v19, 1, v0
	s_and_saveexec_b64 s[2:3], s[0:1]
	s_cbranch_execz .LBB121_4
; %bb.3:
	s_load_dwordx2 s[22:23], s[4:5], 0x8
	s_waitcnt lgkmcnt(0)
	s_mul_i32 s26, s12, s16
	s_ashr_i32 s27, s26, 31
	s_lshl_b64 s[26:27], s[26:27], 1
	v_lshrrev_b32_e32 v3, 2, v0
	s_add_u32 s6, s22, s26
	s_addc_u32 s12, s23, s27
	s_ashr_i32 s19, s18, 31
	s_lshl_b64 s[22:23], s[18:19], 1
	s_add_u32 s22, s6, s22
	s_addc_u32 s23, s12, s23
	global_load_ushort v2, v19, s[22:23]
	v_and_b32_e32 v3, 0xfe, v3
	v_mad_u32_u24 v3, v1, 28, v3
	s_waitcnt vmcnt(0)
	ds_write_b16 v3, v2
.LBB121_4:
	s_or_b64 exec, exec, s[2:3]
	s_waitcnt lgkmcnt(0)
	s_add_i32 s3, s17, 7
	s_ashr_i32 s6, s3, 31
	s_lshr_b32 s6, s6, 29
	s_add_i32 s3, s3, s6
	s_mul_i32 s6, s24, s20
	s_sub_i32 s6, s21, s6
	s_ashr_i32 s33, s3, 3
	s_xor_b32 s3, s7, s25
	s_add_i32 s7, s24, 1
	s_sub_i32 s12, s6, s20
	s_load_dwordx2 s[22:23], s[4:5], 0x28
	s_load_dword s2, s[4:5], 0x38
	s_cmp_ge_u32 s6, s20
	s_cselect_b32 s7, s7, s24
	s_cselect_b32 s6, s12, s6
	s_add_i32 s12, s7, 1
	s_cmp_ge_u32 s6, s20
	s_cselect_b32 s6, s12, s7
	v_lshrrev_b32_e32 v20, 6, v0
	s_xor_b32 s6, s6, s3
	s_waitcnt lgkmcnt(0)
	s_mul_i32 s24, s2, s16
	s_sub_i32 s12, s6, s3
	s_ashr_i32 s25, s24, 31
	v_cmp_gt_i32_e64 s[2:3], s33, v20
	v_cmp_le_i32_e32 vcc, s33, v20
	v_mbcnt_lo_u32_b32 v26, -1, 0
	s_barrier
                                        ; implicit-def: $vgpr4
                                        ; implicit-def: $vgpr6
                                        ; implicit-def: $vgpr5
	s_and_saveexec_b64 s[6:7], vcc
	s_xor_b64 s[6:7], exec, s[6:7]
; %bb.5:
	v_mbcnt_hi_u32_b32 v4, -1, v26
	v_and_b32_e32 v6, 64, v4
	v_add_u32_e32 v5, 64, v6
                                        ; implicit-def: $vgpr1
                                        ; implicit-def: $vgpr26
; %bb.6:
	s_or_saveexec_b64 s[28:29], s[6:7]
	s_load_dwordx2 s[20:21], s[4:5], 0x0
	s_load_dwordx2 s[26:27], s[4:5], 0x18
	s_load_dword s19, s[4:5], 0x88
	v_mov_b32_e32 v21, 0xff7fffff
	s_mul_i32 s14, s12, s14
	v_lshrrev_b32_e32 v3, 4, v0
	s_xor_b64 exec, exec, s[28:29]
	s_cbranch_execz .LBB121_12
; %bb.7:
	s_load_dwordx2 s[4:5], s[4:5], 0x10
	s_ashr_i32 s15, s14, 31
	s_lshl_b64 s[6:7], s[14:15], 1
	v_bfe_u32 v21, v0, 3, 3
	v_lshlrev_b32_e32 v2, 4, v21
	s_waitcnt lgkmcnt(0)
	s_add_u32 s4, s4, s6
	s_addc_u32 s5, s5, s7
	v_mov_b32_e32 v4, s5
	v_add_co_u32_e32 v6, vcc, s4, v2
	v_mul_u32_u24_e32 v2, 28, v1
	v_addc_co_u32_e32 v23, vcc, 0, v4, vcc
	ds_read2_b32 v[4:5], v2 offset1:1
	s_sub_i32 s12, 1, s17
	s_lshl_b64 s[4:5], s[24:25], 2
	s_add_u32 s4, s22, s4
	v_lshlrev_b32_e32 v22, 1, v1
	v_cmp_eq_u32_e32 vcc, 0, v1
	s_addc_u32 s5, s23, s5
	v_and_b32_e32 v1, 60, v3
	ds_read2_b32 v[13:14], v2 offset0:2 offset1:3
	ds_read2_b32 v[17:18], v2 offset0:4 offset1:5
	ds_read_b32 v25, v2 offset:24
	v_mov_b32_e32 v2, s5
	v_add_co_u32_e64 v1, s[4:5], s4, v1
	s_waitcnt lgkmcnt(3)
	v_lshlrev_b32_e32 v7, 16, v4
	v_and_b32_e32 v8, 0xffff0000, v4
	v_addc_co_u32_e64 v2, s[4:5], 0, v2, s[4:5]
	v_mbcnt_hi_u32_b32 v4, -1, v26
	v_add_co_u32_e64 v22, s[4:5], v6, v22
	v_and_b32_e32 v6, 64, v4
	v_lshlrev_b32_e32 v9, 16, v5
	v_and_b32_e32 v10, 0xffff0000, v5
	v_addc_co_u32_e64 v23, s[4:5], 0, v23, s[4:5]
	v_add_u32_e32 v5, 64, v6
	v_xor_b32_e32 v26, 4, v4
	v_cmp_lt_i32_e64 s[4:5], v26, v5
	v_xor_b32_e32 v27, 2, v4
	v_cndmask_b32_e64 v26, v4, v26, s[4:5]
	v_cmp_lt_i32_e64 s[4:5], v27, v5
	v_xor_b32_e32 v28, 1, v4
	v_cndmask_b32_e64 v27, v4, v27, s[4:5]
	v_cmp_lt_i32_e64 s[4:5], v28, v5
	v_lshl_or_b32 v29, v20, 3, v21
	v_lshlrev_b32_e32 v21, 2, v21
	v_cndmask_b32_e64 v28, v4, v28, s[4:5]
	v_lshl_or_b32 v21, v20, 5, v21
	s_waitcnt lgkmcnt(2)
	v_lshlrev_b32_e32 v11, 16, v13
	v_and_b32_e32 v12, 0xffff0000, v13
	v_lshlrev_b32_e32 v13, 16, v14
	v_and_b32_e32 v14, 0xffff0000, v14
	s_waitcnt lgkmcnt(1)
	v_lshlrev_b32_e32 v15, 16, v17
	v_and_b32_e32 v16, 0xffff0000, v17
	v_lshlrev_b32_e32 v17, 16, v18
	v_and_b32_e32 v18, 0xffff0000, v18
	s_mov_b32 s15, s13
	s_waitcnt lgkmcnt(0)
	v_lshlrev_b32_e32 v24, 16, v25
	v_and_b32_e32 v25, 0xffff0000, v25
	v_lshlrev_b32_e32 v26, 2, v26
	v_lshlrev_b32_e32 v27, 2, v27
	;; [unrolled: 1-line block ×3, first 2 shown]
	v_cmp_neq_f32_e64 s[4:5], s10, 0
	v_add_u32_e32 v30, 0xf0, v21
	s_mov_b64 s[30:31], 0
	v_mov_b32_e32 v21, 0xff7fffff
	v_mov_b32_e32 v31, v20
	s_branch .LBB121_9
.LBB121_8:                              ;   in Loop: Header=BB121_9 Depth=1
	s_or_b64 exec, exec, s[34:35]
	v_add_u32_e32 v31, 2, v31
	v_cmp_le_i32_e64 s[6:7], s33, v31
	s_or_b64 s[30:31], s[6:7], s[30:31]
	v_add_co_u32_e64 v1, s[6:7], 8, v1
	v_add_u32_e32 v29, 16, v29
	v_add_u32_e32 v30, 64, v30
	v_addc_co_u32_e64 v2, s[6:7], 0, v2, s[6:7]
	s_andn2_b64 exec, exec, s[30:31]
	s_cbranch_execz .LBB121_11
.LBB121_9:                              ; =>This Inner Loop Header: Depth=1
	global_load_dword v32, v[1:2], off
	s_waitcnt vmcnt(0) lgkmcnt(0)
	v_mad_i64_i32 v[32:33], s[6:7], v32, s15, 0
	v_lshlrev_b64 v[32:33], 1, v[32:33]
	v_add_co_u32_e64 v32, s[6:7], v22, v32
	v_addc_co_u32_e64 v33, s[6:7], v23, v33, s[6:7]
	global_load_ushort v34, v[32:33], off
	global_load_ushort v35, v[32:33], off offset:128
	global_load_ushort v36, v[32:33], off offset:256
	;; [unrolled: 1-line block ×12, first 2 shown]
	s_nop 0
	global_load_ushort v32, v[32:33], off offset:1664
	s_waitcnt vmcnt(13)
	v_lshlrev_b32_e32 v33, 16, v34
	s_waitcnt vmcnt(12)
	v_lshlrev_b32_e32 v34, 16, v35
	v_mul_f32_e32 v34, v8, v34
	s_waitcnt vmcnt(11)
	v_lshlrev_b32_e32 v35, 16, v36
	v_fmac_f32_e32 v34, v7, v33
	s_waitcnt vmcnt(10)
	v_lshlrev_b32_e32 v36, 16, v37
	v_fmac_f32_e32 v34, v9, v35
	;; [unrolled: 3-line block ×11, first 2 shown]
	v_fmac_f32_e32 v34, v24, v45
	s_waitcnt vmcnt(0)
	v_lshlrev_b32_e32 v32, 16, v32
	v_fmac_f32_e32 v34, v25, v32
	ds_bpermute_b32 v32, v26, v34
	s_waitcnt lgkmcnt(0)
	v_add_f32_e32 v32, v34, v32
	ds_bpermute_b32 v33, v27, v32
	s_waitcnt lgkmcnt(0)
	v_add_f32_e32 v32, v32, v33
	ds_bpermute_b32 v33, v28, v32
	s_and_saveexec_b64 s[34:35], vcc
	s_cbranch_execz .LBB121_8
; %bb.10:                               ;   in Loop: Header=BB121_9 Depth=1
	v_add_u32_e32 v34, s12, v29
	v_cvt_f32_i32_e32 v34, v34
	s_waitcnt lgkmcnt(0)
	v_add_f32_e32 v32, v32, v33
	v_cmp_gt_i32_e64 s[6:7], s17, v29
	v_max_f32_e32 v33, v21, v21
	v_mul_f32_e32 v34, s10, v34
	v_cndmask_b32_e64 v34, 0, v34, s[4:5]
	v_fmac_f32_e32 v34, s11, v32
	v_cndmask_b32_e64 v32, 0, v34, s[6:7]
	ds_write_b32 v30, v32
	v_max_f32_e32 v32, v33, v34
	v_cndmask_b32_e64 v21, v21, v32, s[6:7]
	s_branch .LBB121_8
.LBB121_11:
	s_or_b64 exec, exec, s[30:31]
.LBB121_12:
	s_or_b64 exec, exec, s[28:29]
	v_xor_b32_e32 v1, 32, v4
	v_cmp_lt_i32_e32 vcc, v1, v5
	v_cndmask_b32_e32 v1, v4, v1, vcc
	v_lshlrev_b32_e32 v2, 2, v1
	ds_bpermute_b32 v1, v2, v21
	v_xor_b32_e32 v8, 16, v4
	v_max_f32_e32 v7, v21, v21
	v_cmp_lt_i32_e32 vcc, v8, v5
	v_xor_b32_e32 v9, 8, v4
	s_waitcnt lgkmcnt(0)
	v_max_f32_e32 v1, v1, v1
	v_max_f32_e32 v1, v7, v1
	v_cndmask_b32_e32 v7, v4, v8, vcc
	v_lshlrev_b32_e32 v8, 2, v7
	ds_bpermute_b32 v7, v8, v1
	v_cmp_lt_i32_e32 vcc, v9, v5
	v_and_b32_e32 v21, 63, v0
	s_waitcnt lgkmcnt(0)
	v_max_f32_e32 v7, v7, v7
	v_max_f32_e32 v7, v1, v7
	v_cndmask_b32_e32 v1, v4, v9, vcc
	v_lshlrev_b32_e32 v10, 2, v1
	ds_bpermute_b32 v9, v10, v7
	v_cmp_eq_u32_e32 vcc, 0, v21
	v_lshlrev_b32_e32 v1, 2, v20
	s_and_saveexec_b64 s[4:5], vcc
	s_cbranch_execz .LBB121_14
; %bb.13:
	s_waitcnt lgkmcnt(0)
	v_max_f32_e32 v9, v9, v9
	v_max_f32_e32 v7, v7, v7
	;; [unrolled: 1-line block ×3, first 2 shown]
	ds_write_b32 v1, v7 offset:224
.LBB121_14:
	s_or_b64 exec, exec, s[4:5]
	v_cmp_gt_u32_e64 s[4:5], 2, v21
	v_mov_b32_e32 v11, 0xff7fffff
	v_lshlrev_b32_e32 v7, 2, v21
	s_waitcnt lgkmcnt(0)
	s_barrier
	s_and_saveexec_b64 s[6:7], s[4:5]
; %bb.15:
	ds_read_b32 v11, v7 offset:224
; %bb.16:
	s_or_b64 exec, exec, s[6:7]
	v_xor_b32_e32 v9, 1, v4
	v_cmp_lt_i32_e64 s[6:7], v9, v5
	v_cndmask_b32_e64 v9, v4, v9, s[6:7]
	v_lshlrev_b32_e32 v9, 2, v9
	s_waitcnt lgkmcnt(0)
	ds_bpermute_b32 v12, v9, v11
	v_max_f32_e32 v11, v11, v11
	v_lshlrev_b32_e32 v6, 2, v6
	s_lshl_b32 s6, s33, 3
	s_min_i32 s12, s6, s17
	s_waitcnt lgkmcnt(0)
	v_max_f32_e32 v12, v12, v12
	v_max_f32_e32 v11, v11, v12
	ds_bpermute_b32 v11, v6, v11
	v_cmp_gt_i32_e64 s[6:7], s12, v0
	v_mov_b32_e32 v6, 0
	s_and_saveexec_b64 s[28:29], s[6:7]
	s_cbranch_execz .LBB121_20
; %bb.17:
	v_mov_b32_e32 v6, 0xf0
	v_lshl_add_u32 v12, v0, 2, v6
	v_mov_b32_e32 v6, 0
	s_mov_b64 s[30:31], 0
	v_mov_b32_e32 v13, v0
.LBB121_18:                             ; =>This Inner Loop Header: Depth=1
	ds_read_b32 v14, v12
	v_add_u32_e32 v13, 0x80, v13
	v_cmp_le_i32_e64 s[10:11], s12, v13
	s_or_b64 s[30:31], s[10:11], s[30:31]
	s_waitcnt lgkmcnt(0)
	v_sub_f32_e32 v14, v14, v11
	v_mul_f32_e32 v14, 0x3fb8aa3b, v14
	v_exp_f32_e32 v14, v14
	ds_write_b32 v12, v14
	v_add_f32_e32 v6, v6, v14
	v_add_u32_e32 v12, 0x200, v12
	s_andn2_b64 exec, exec, s[30:31]
	s_cbranch_execnz .LBB121_18
; %bb.19:
	s_or_b64 exec, exec, s[30:31]
.LBB121_20:
	s_or_b64 exec, exec, s[28:29]
	ds_bpermute_b32 v2, v2, v6
	s_waitcnt lgkmcnt(0)
	v_add_f32_e32 v2, v6, v2
	ds_bpermute_b32 v6, v8, v2
	v_xor_b32_e32 v8, 4, v4
	v_cmp_lt_i32_e64 s[10:11], v8, v5
	v_cndmask_b32_e64 v8, v4, v8, s[10:11]
	v_lshlrev_b32_e32 v8, 2, v8
	s_waitcnt lgkmcnt(0)
	v_add_f32_e32 v2, v2, v6
	ds_bpermute_b32 v6, v10, v2
	s_waitcnt lgkmcnt(0)
	v_add_f32_e32 v2, v2, v6
	ds_bpermute_b32 v6, v8, v2
	v_xor_b32_e32 v8, 2, v4
	v_cmp_lt_i32_e64 s[10:11], v8, v5
	v_cndmask_b32_e64 v5, v4, v8, s[10:11]
	v_lshlrev_b32_e32 v5, 2, v5
	s_waitcnt lgkmcnt(0)
	v_add_f32_e32 v2, v2, v6
	ds_bpermute_b32 v5, v5, v2
	s_waitcnt lgkmcnt(0)
	v_add_f32_e32 v2, v2, v5
	ds_bpermute_b32 v5, v9, v2
	s_waitcnt lgkmcnt(0)
	v_add_f32_e32 v2, v2, v5
	s_and_saveexec_b64 s[10:11], vcc
; %bb.21:
	ds_write_b32 v1, v2 offset:232
; %bb.22:
	s_or_b64 exec, exec, s[10:11]
	s_waitcnt lgkmcnt(0)
	s_barrier
	s_and_saveexec_b64 s[10:11], s[4:5]
; %bb.23:
	ds_read_b32 v2, v7 offset:232
; %bb.24:
	s_or_b64 exec, exec, s[10:11]
	s_waitcnt lgkmcnt(0)
	ds_bpermute_b32 v1, v9, v2
	v_lshlrev_b32_e32 v4, 2, v4
	s_waitcnt lgkmcnt(0)
	v_add_f32_e32 v1, v2, v1
	v_and_b32_e32 v2, 0xffffff00, v4
	ds_bpermute_b32 v1, v2, v1
	s_and_saveexec_b64 s[4:5], s[6:7]
	s_cbranch_execz .LBB121_27
; %bb.25:
	s_waitcnt lgkmcnt(0)
	v_add_f32_e32 v2, 0x358637bd, v1
	v_div_scale_f32 v1, s[6:7], v2, v2, 1.0
	v_div_scale_f32 v4, vcc, 1.0, v2, 1.0
	s_mov_b64 s[6:7], 0
	v_rcp_f32_e32 v5, v1
	v_fma_f32 v6, -v1, v5, 1.0
	v_fmac_f32_e32 v5, v6, v5
	v_mul_f32_e32 v6, v4, v5
	v_fma_f32 v7, -v1, v6, v4
	v_fmac_f32_e32 v6, v7, v5
	v_fma_f32 v1, -v1, v6, v4
	v_div_fmas_f32 v4, v1, v5, v6
	v_mov_b32_e32 v1, 0xf0
	v_lshl_add_u32 v1, v0, 2, v1
	v_div_fixup_f32 v2, v4, v2, 1.0
	v_mov_b32_e32 v4, v0
.LBB121_26:                             ; =>This Inner Loop Header: Depth=1
	ds_read_b32 v5, v1
	v_add_u32_e32 v4, 0x80, v4
	v_cmp_le_i32_e32 vcc, s12, v4
	s_or_b64 s[6:7], vcc, s[6:7]
	s_waitcnt lgkmcnt(0)
	v_mul_f32_e32 v5, v2, v5
	ds_write_b32 v1, v5
	v_add_u32_e32 v1, 0x200, v1
	s_andn2_b64 exec, exec, s[6:7]
	s_cbranch_execnz .LBB121_26
.LBB121_27:
	s_or_b64 exec, exec, s[4:5]
	v_mov_b32_e32 v15, 0
	v_mov_b32_e32 v16, v15
	;; [unrolled: 1-line block ×4, first 2 shown]
	s_waitcnt lgkmcnt(0)
	s_barrier
	s_and_saveexec_b64 s[10:11], s[2:3]
	s_cbranch_execz .LBB121_37
; %bb.28:
	s_ashr_i32 s15, s14, 31
	s_lshl_b64 s[2:3], s[14:15], 1
	s_add_u32 s26, s26, s2
	s_addc_u32 s6, s27, s3
	s_add_i32 s27, s33, -1
	s_lshl_b64 s[4:5], s[24:25], 2
	s_add_u32 s4, s22, s4
	v_or_b32_e32 v2, 64, v21
	s_movk_i32 s2, 0x70
	v_mov_b32_e32 v4, 0xf0
	v_and_b32_e32 v3, 60, v3
	s_addc_u32 s5, s23, s5
	v_lshlrev_b32_e32 v1, 3, v21
	v_cmp_gt_u32_e64 s[2:3], s2, v2
	v_lshlrev_b32_e32 v2, 3, v2
	v_lshl_add_u32 v23, v20, 5, v4
	v_mov_b32_e32 v4, s5
	v_add_co_u32_e32 v17, vcc, s4, v3
	v_mov_b32_e32 v16, v15
	v_mov_b32_e32 v13, v15
	s_mov_b32 s28, s13
	s_mov_b32 s29, s17
	v_lshlrev_b32_e32 v22, 3, v20
	v_addc_co_u32_e32 v18, vcc, 0, v4, vcc
	s_mov_b64 s[12:13], 0
	v_mov_b32_e32 v24, s6
	v_lshlrev_b32_e32 v25, 1, v1
	s_mov_b32 s22, 0x5040100
	s_movk_i32 s23, 0x7fff
	s_mov_b32 s24, 0x7060302
	v_lshlrev_b32_e32 v26, 1, v2
	v_mov_b32_e32 v14, v16
	s_branch .LBB121_31
.LBB121_29:                             ;   in Loop: Header=BB121_31 Depth=1
	s_or_b64 exec, exec, s[14:15]
	v_perm_b32 v9, v10, v9, s24
	v_perm_b32 v5, v6, v5, s24
	;; [unrolled: 1-line block ×3, first 2 shown]
	s_waitcnt vmcnt(0)
	v_lshlrev_b32_e32 v7, 16, v1
	v_lshlrev_b32_e32 v8, 16, v9
	v_mul_f32_e32 v7, v8, v7
	v_bfe_u32 v8, v7, 16, 1
	v_perm_b32 v10, v12, v11, s24
	v_add3_u32 v8, v8, v7, s23
	v_or_b32_e32 v11, 0x400000, v7
	v_cmp_u_f32_e32 vcc, v7, v7
	v_cndmask_b32_e32 v7, v8, v11, vcc
	v_and_b32_e32 v1, 0xffff0000, v1
	v_and_b32_e32 v8, 0xffff0000, v9
	v_mul_f32_e32 v1, v8, v1
	v_bfe_u32 v8, v1, 16, 1
	v_add3_u32 v8, v8, v1, s23
	v_or_b32_e32 v9, 0x400000, v1
	v_cmp_u_f32_e32 vcc, v1, v1
	v_cndmask_b32_e32 v1, v8, v9, vcc
	v_lshlrev_b32_e32 v8, 16, v2
	v_lshlrev_b32_e32 v9, 16, v10
	v_mul_f32_e32 v8, v9, v8
	v_bfe_u32 v9, v8, 16, 1
	v_add3_u32 v9, v9, v8, s23
	v_or_b32_e32 v11, 0x400000, v8
	v_cmp_u_f32_e32 vcc, v8, v8
	v_cndmask_b32_e32 v8, v9, v11, vcc
	v_and_b32_e32 v2, 0xffff0000, v2
	v_and_b32_e32 v9, 0xffff0000, v10
	v_mul_f32_e32 v2, v9, v2
	v_bfe_u32 v9, v2, 16, 1
	v_add3_u32 v9, v9, v2, s23
	v_or_b32_e32 v10, 0x400000, v2
	v_cmp_u_f32_e32 vcc, v2, v2
	v_cndmask_b32_e32 v2, v9, v10, vcc
	v_lshlrev_b32_e32 v9, 16, v3
	v_lshlrev_b32_e32 v10, 16, v5
	v_mul_f32_e32 v9, v10, v9
	v_and_b32_e32 v3, 0xffff0000, v3
	v_and_b32_e32 v5, 0xffff0000, v5
	v_bfe_u32 v10, v9, 16, 1
	v_mul_f32_e32 v3, v5, v3
	v_add3_u32 v10, v10, v9, s23
	v_or_b32_e32 v11, 0x400000, v9
	v_cmp_u_f32_e32 vcc, v9, v9
	v_bfe_u32 v5, v3, 16, 1
	v_cndmask_b32_e32 v9, v10, v11, vcc
	v_add3_u32 v5, v5, v3, s23
	v_or_b32_e32 v10, 0x400000, v3
	v_cmp_u_f32_e32 vcc, v3, v3
	v_cndmask_b32_e32 v3, v5, v10, vcc
	v_lshlrev_b32_e32 v5, 16, v4
	v_lshlrev_b32_e32 v10, 16, v6
	v_mul_f32_e32 v5, v10, v5
	v_and_b32_e32 v4, 0xffff0000, v4
	v_and_b32_e32 v6, 0xffff0000, v6
	v_bfe_u32 v10, v5, 16, 1
	v_mul_f32_e32 v4, v6, v4
	v_add3_u32 v10, v10, v5, s23
	v_or_b32_e32 v11, 0x400000, v5
	v_cmp_u_f32_e32 vcc, v5, v5
	v_bfe_u32 v6, v4, 16, 1
	v_cndmask_b32_e32 v5, v10, v11, vcc
	v_add3_u32 v6, v6, v4, s23
	v_or_b32_e32 v10, 0x400000, v4
	v_cmp_u_f32_e32 vcc, v4, v4
	v_cndmask_b32_e32 v4, v6, v10, vcc
	v_and_b32_e32 v1, 0xffff0000, v1
	v_and_b32_e32 v6, 0xffff0000, v7
	v_add_f32_e32 v1, v6, v1
	v_and_b32_e32 v2, 0xffff0000, v2
	v_and_b32_e32 v6, 0xffff0000, v8
	v_add_f32_e32 v2, v6, v2
	v_add_f32_e32 v1, v2, v1
	v_and_b32_e32 v2, 0xffff0000, v3
	v_and_b32_e32 v3, 0xffff0000, v9
	v_add_f32_e32 v2, v3, v2
	;; [unrolled: 4-line block ×3, first 2 shown]
	v_add_f32_e32 v1, v2, v1
	v_add_f32_e32 v14, v14, v1
.LBB121_30:                             ;   in Loop: Header=BB121_31 Depth=1
	s_or_b64 exec, exec, s[6:7]
	v_add_u32_e32 v20, 2, v20
	v_cmp_le_i32_e32 vcc, s33, v20
	s_or_b64 s[12:13], vcc, s[12:13]
	v_add_co_u32_e32 v17, vcc, 8, v17
	v_add_u32_e32 v22, 16, v22
	v_add_u32_e32 v23, 64, v23
	v_addc_co_u32_e32 v18, vcc, 0, v18, vcc
	s_andn2_b64 exec, exec, s[12:13]
	s_cbranch_execz .LBB121_36
.LBB121_31:                             ; =>This Inner Loop Header: Depth=1
	global_load_dword v1, v[17:18], off
	s_waitcnt vmcnt(0)
	v_mad_i64_i32 v[1:2], s[4:5], v1, s28, 0
	v_cmp_eq_u32_e64 s[4:5], s27, v20
	v_lshlrev_b64 v[1:2], 1, v[1:2]
	v_add_co_u32_e32 v16, vcc, s26, v1
	v_addc_co_u32_e32 v27, vcc, v24, v2, vcc
	v_add_co_u32_e32 v1, vcc, v16, v25
	v_addc_co_u32_e32 v2, vcc, 0, v27, vcc
	global_load_dwordx4 v[1:4], v[1:2], off
	ds_read2_b64 v[9:12], v23 offset1:1
	ds_read2_b64 v[5:8], v23 offset0:2 offset1:3
	s_and_saveexec_b64 s[14:15], s[4:5]
	s_cbranch_execz .LBB121_33
; %bb.32:                               ;   in Loop: Header=BB121_31 Depth=1
	v_add_u32_e32 v28, 1, v22
	v_cmp_gt_i32_e32 vcc, s29, v28
	s_waitcnt vmcnt(0)
	v_cndmask_b32_sdwa v28, v15, v1, vcc dst_sel:DWORD dst_unused:UNUSED_PAD src0_sel:DWORD src1_sel:WORD_1
	v_cmp_gt_i32_e32 vcc, s17, v22
	v_cndmask_b32_e32 v1, 0, v1, vcc
	v_perm_b32 v1, v28, v1, s22
	v_or_b32_e32 v28, 3, v22
	v_or_b32_e32 v29, 2, v22
	v_cmp_gt_i32_e32 vcc, s29, v28
	v_cmp_gt_i32_e64 s[6:7], s17, v29
	v_cndmask_b32_e64 v28, 0, v2, s[6:7]
	v_cndmask_b32_sdwa v2, v15, v2, vcc dst_sel:DWORD dst_unused:UNUSED_PAD src0_sel:DWORD src1_sel:WORD_1
	v_perm_b32 v2, v2, v28, s22
	v_or_b32_e32 v28, 5, v22
	v_or_b32_e32 v29, 4, v22
	v_cmp_gt_i32_e32 vcc, s29, v28
	v_cmp_gt_i32_e64 s[6:7], s17, v29
	v_cndmask_b32_e64 v28, 0, v3, s[6:7]
	v_cndmask_b32_sdwa v3, v15, v3, vcc dst_sel:DWORD dst_unused:UNUSED_PAD src0_sel:DWORD src1_sel:WORD_1
	;; [unrolled: 7-line block ×3, first 2 shown]
	v_perm_b32 v4, v4, v28, s22
.LBB121_33:                             ;   in Loop: Header=BB121_31 Depth=1
	s_or_b64 exec, exec, s[14:15]
	s_waitcnt lgkmcnt(1)
	v_bfe_u32 v28, v9, 16, 1
	v_add3_u32 v28, v28, v9, s23
	v_or_b32_e32 v29, 0x400000, v9
	v_cmp_u_f32_e32 vcc, v9, v9
	v_cndmask_b32_e32 v9, v28, v29, vcc
	v_bfe_u32 v28, v10, 16, 1
	v_add3_u32 v28, v28, v10, s23
	v_or_b32_e32 v29, 0x400000, v10
	v_cmp_u_f32_e32 vcc, v10, v10
	v_cndmask_b32_e32 v10, v28, v29, vcc
	;; [unrolled: 5-line block ×4, first 2 shown]
	s_waitcnt lgkmcnt(0)
	v_bfe_u32 v28, v5, 16, 1
	v_add3_u32 v28, v28, v5, s23
	v_or_b32_e32 v29, 0x400000, v5
	v_cmp_u_f32_e32 vcc, v5, v5
	v_cndmask_b32_e32 v5, v28, v29, vcc
	v_bfe_u32 v28, v6, 16, 1
	v_add3_u32 v28, v28, v6, s23
	v_or_b32_e32 v29, 0x400000, v6
	v_cmp_u_f32_e32 vcc, v6, v6
	v_cndmask_b32_e32 v6, v28, v29, vcc
	;; [unrolled: 5-line block ×4, first 2 shown]
	v_and_b32_e32 v28, 0xffff0000, v9
	s_waitcnt vmcnt(0)
	v_lshlrev_b32_e32 v29, 16, v1
	v_mul_f32_e32 v28, v28, v29
	v_bfe_u32 v29, v28, 16, 1
	v_add3_u32 v29, v29, v28, s23
	v_or_b32_e32 v30, 0x400000, v28
	v_cmp_u_f32_e32 vcc, v28, v28
	v_cndmask_b32_e32 v28, v29, v30, vcc
	v_and_b32_e32 v29, 0xffff0000, v10
	v_and_b32_e32 v1, 0xffff0000, v1
	v_mul_f32_e32 v1, v29, v1
	v_bfe_u32 v29, v1, 16, 1
	v_add3_u32 v29, v29, v1, s23
	v_or_b32_e32 v30, 0x400000, v1
	v_cmp_u_f32_e32 vcc, v1, v1
	v_cndmask_b32_e32 v1, v29, v30, vcc
	v_and_b32_e32 v29, 0xffff0000, v11
	v_lshlrev_b32_e32 v30, 16, v2
	v_mul_f32_e32 v29, v29, v30
	v_bfe_u32 v30, v29, 16, 1
	v_add3_u32 v30, v30, v29, s23
	v_or_b32_e32 v31, 0x400000, v29
	v_cmp_u_f32_e32 vcc, v29, v29
	v_cndmask_b32_e32 v29, v30, v31, vcc
	v_and_b32_e32 v30, 0xffff0000, v12
	v_and_b32_e32 v2, 0xffff0000, v2
	v_mul_f32_e32 v2, v30, v2
	v_bfe_u32 v30, v2, 16, 1
	v_add3_u32 v30, v30, v2, s23
	v_or_b32_e32 v31, 0x400000, v2
	v_cmp_u_f32_e32 vcc, v2, v2
	v_cndmask_b32_e32 v2, v30, v31, vcc
	v_and_b32_e32 v30, 0xffff0000, v5
	;; [unrolled: 16-line block ×3, first 2 shown]
	v_lshlrev_b32_e32 v32, 16, v4
	v_mul_f32_e32 v31, v31, v32
	v_bfe_u32 v32, v31, 16, 1
	v_add3_u32 v32, v32, v31, s23
	v_or_b32_e32 v33, 0x400000, v31
	v_cmp_u_f32_e32 vcc, v31, v31
	v_cndmask_b32_e32 v31, v32, v33, vcc
	v_and_b32_e32 v32, 0xffff0000, v8
	v_and_b32_e32 v4, 0xffff0000, v4
	;; [unrolled: 1-line block ×4, first 2 shown]
	v_mul_f32_e32 v4, v32, v4
	v_add_f32_e32 v1, v28, v1
	v_and_b32_e32 v2, 0xffff0000, v2
	v_and_b32_e32 v28, 0xffff0000, v29
	v_bfe_u32 v32, v4, 16, 1
	v_add_f32_e32 v2, v28, v2
	v_add3_u32 v32, v32, v4, s23
	v_or_b32_e32 v33, 0x400000, v4
	v_cmp_u_f32_e32 vcc, v4, v4
	v_add_f32_e32 v1, v2, v1
	v_and_b32_e32 v2, 0xffff0000, v3
	v_and_b32_e32 v3, 0xffff0000, v30
	v_cndmask_b32_e32 v4, v32, v33, vcc
	v_add_f32_e32 v2, v3, v2
	v_add_f32_e32 v1, v2, v1
	v_and_b32_e32 v2, 0xffff0000, v4
	v_and_b32_e32 v3, 0xffff0000, v31
	v_add_f32_e32 v2, v3, v2
	v_add_f32_e32 v1, v2, v1
	;; [unrolled: 1-line block ×3, first 2 shown]
	s_and_saveexec_b64 s[6:7], s[2:3]
	s_cbranch_execz .LBB121_30
; %bb.34:                               ;   in Loop: Header=BB121_31 Depth=1
	v_add_co_u32_e32 v1, vcc, v16, v26
	v_addc_co_u32_e32 v2, vcc, 0, v27, vcc
	global_load_dwordx4 v[1:4], v[1:2], off
	s_and_saveexec_b64 s[14:15], s[4:5]
	s_cbranch_execz .LBB121_29
; %bb.35:                               ;   in Loop: Header=BB121_31 Depth=1
	v_add_u32_e32 v16, 1, v22
	v_cmp_gt_i32_e32 vcc, s29, v16
	s_waitcnt vmcnt(0)
	v_cndmask_b32_sdwa v16, v15, v1, vcc dst_sel:DWORD dst_unused:UNUSED_PAD src0_sel:DWORD src1_sel:WORD_1
	v_cmp_gt_i32_e32 vcc, s17, v22
	v_cndmask_b32_e32 v1, 0, v1, vcc
	v_perm_b32 v1, v16, v1, s22
	v_or_b32_e32 v16, 3, v22
	v_or_b32_e32 v27, 2, v22
	v_cmp_gt_i32_e32 vcc, s29, v16
	v_cmp_gt_i32_e64 s[4:5], s17, v27
	v_cndmask_b32_e64 v16, 0, v2, s[4:5]
	v_cndmask_b32_sdwa v2, v15, v2, vcc dst_sel:DWORD dst_unused:UNUSED_PAD src0_sel:DWORD src1_sel:WORD_1
	v_perm_b32 v2, v2, v16, s22
	v_or_b32_e32 v16, 5, v22
	v_or_b32_e32 v27, 4, v22
	v_cmp_gt_i32_e32 vcc, s29, v16
	v_cmp_gt_i32_e64 s[4:5], s17, v27
	v_cndmask_b32_e64 v16, 0, v3, s[4:5]
	v_cndmask_b32_sdwa v3, v15, v3, vcc dst_sel:DWORD dst_unused:UNUSED_PAD src0_sel:DWORD src1_sel:WORD_1
	;; [unrolled: 7-line block ×3, first 2 shown]
	v_perm_b32 v4, v4, v16, s22
	s_branch .LBB121_29
.LBB121_36:
	s_or_b64 exec, exec, s[12:13]
.LBB121_37:
	s_or_b64 exec, exec, s[10:11]
	v_and_b32_e32 v1, 0x3c0, v0
	v_cmp_eq_u32_e32 vcc, 64, v1
	s_barrier
	s_and_saveexec_b64 s[2:3], vcc
	s_cbranch_execz .LBB121_40
; %bb.38:
	v_mov_b32_e32 v1, 0xf0
	v_lshl_add_u32 v2, v21, 2, v1
	ds_write_b32 v2, v13
	s_and_b64 exec, exec, s[0:1]
; %bb.39:
	v_lshl_add_u32 v1, v0, 2, v1
	ds_write_b32 v1, v14
.LBB121_40:
	s_or_b64 exec, exec, s[2:3]
	v_cmp_gt_u32_e32 vcc, 64, v0
	v_or_b32_e32 v1, 64, v0
	s_waitcnt lgkmcnt(0)
	s_barrier
	s_and_saveexec_b64 s[2:3], vcc
	s_cbranch_execz .LBB121_44
; %bb.41:
	v_mov_b32_e32 v2, 0xf0
	v_lshl_add_u32 v0, v0, 2, v2
	ds_read_b32 v2, v0
	s_movk_i32 s0, 0x70
	v_cmp_gt_u32_e64 s[0:1], s0, v1
	s_waitcnt lgkmcnt(0)
	v_add_f32_e32 v13, v13, v2
	s_and_saveexec_b64 s[4:5], s[0:1]
	s_cbranch_execz .LBB121_43
; %bb.42:
	ds_read_b32 v0, v0 offset:256
	s_waitcnt lgkmcnt(0)
	v_add_f32_e32 v14, v14, v0
.LBB121_43:
	s_or_b64 exec, exec, s[4:5]
.LBB121_44:
	s_or_b64 exec, exec, s[2:3]
	s_barrier
	s_and_saveexec_b64 s[0:1], vcc
	s_cbranch_execz .LBB121_47
; %bb.45:
	s_mul_i32 s0, s16, s19
	s_mul_i32 s0, s0, s9
	s_mulk_i32 s0, 0x70
	s_ashr_i32 s1, s0, 31
	s_lshl_b64 s[0:1], s[0:1], 1
	s_add_u32 s2, s20, s0
	s_mul_i32 s0, s19, s18
	s_addc_u32 s4, s21, s1
	s_ashr_i32 s1, s0, 31
	s_lshl_b64 s[0:1], s[0:1], 1
	s_add_u32 s2, s2, s0
	s_mul_i32 s0, s8, 0x70
	s_addc_u32 s4, s4, s1
	s_ashr_i32 s1, s0, 31
	s_lshl_b64 s[0:1], s[0:1], 1
	s_add_u32 s0, s2, s0
	v_bfe_u32 v0, v13, 16, 1
	s_movk_i32 s2, 0x7fff
	s_movk_i32 s3, 0x70
	v_add3_u32 v0, v0, v13, s2
	v_or_b32_e32 v2, 0x400000, v13
	v_cmp_u_f32_e32 vcc, v13, v13
	s_addc_u32 s1, s4, s1
	v_cndmask_b32_e32 v0, v0, v2, vcc
	v_cmp_gt_u32_e32 vcc, s3, v1
	global_store_short_d16_hi v19, v0, s[0:1]
	s_and_b64 exec, exec, vcc
	s_cbranch_execz .LBB121_47
; %bb.46:
	v_mov_b32_e32 v1, s1
	v_add_co_u32_e32 v0, vcc, s0, v19
	v_addc_co_u32_e32 v1, vcc, 0, v1, vcc
	v_bfe_u32 v2, v14, 16, 1
	v_add3_u32 v2, v2, v14, s2
	v_or_b32_e32 v3, 0x400000, v14
	v_cmp_u_f32_e32 vcc, v14, v14
	v_cndmask_b32_e32 v2, v2, v3, vcc
	global_store_short_d16_hi v[0:1], v2, off offset:128
.LBB121_47:
	s_endpgm
	.section	.rodata,"a",@progbits
	.p2align	6, 0x0
	.amdhsa_kernel _ZN4vllm25paged_attention_v1_kernelI14__hip_bfloat16S1_Li112ELi8ELi128ELNS_18Fp8KVCacheDataTypeE0ELb0EEEvPT_PKS3_PKT0_S9_ifPKiSB_iPKfiiiSD_SD_iiiii
		.amdhsa_group_segment_fixed_size 240
		.amdhsa_private_segment_fixed_size 0
		.amdhsa_kernarg_size 384
		.amdhsa_user_sgpr_count 6
		.amdhsa_user_sgpr_private_segment_buffer 1
		.amdhsa_user_sgpr_dispatch_ptr 0
		.amdhsa_user_sgpr_queue_ptr 0
		.amdhsa_user_sgpr_kernarg_segment_ptr 1
		.amdhsa_user_sgpr_dispatch_id 0
		.amdhsa_user_sgpr_flat_scratch_init 0
		.amdhsa_user_sgpr_private_segment_size 0
		.amdhsa_uses_dynamic_stack 0
		.amdhsa_system_sgpr_private_segment_wavefront_offset 0
		.amdhsa_system_sgpr_workgroup_id_x 1
		.amdhsa_system_sgpr_workgroup_id_y 1
		.amdhsa_system_sgpr_workgroup_id_z 1
		.amdhsa_system_sgpr_workgroup_info 0
		.amdhsa_system_vgpr_workitem_id 0
		.amdhsa_next_free_vgpr 47
		.amdhsa_next_free_sgpr 36
		.amdhsa_reserve_vcc 1
		.amdhsa_reserve_flat_scratch 0
		.amdhsa_float_round_mode_32 0
		.amdhsa_float_round_mode_16_64 0
		.amdhsa_float_denorm_mode_32 3
		.amdhsa_float_denorm_mode_16_64 3
		.amdhsa_dx10_clamp 1
		.amdhsa_ieee_mode 1
		.amdhsa_fp16_overflow 0
		.amdhsa_exception_fp_ieee_invalid_op 0
		.amdhsa_exception_fp_denorm_src 0
		.amdhsa_exception_fp_ieee_div_zero 0
		.amdhsa_exception_fp_ieee_overflow 0
		.amdhsa_exception_fp_ieee_underflow 0
		.amdhsa_exception_fp_ieee_inexact 0
		.amdhsa_exception_int_div_zero 0
	.end_amdhsa_kernel
	.section	.text._ZN4vllm25paged_attention_v1_kernelI14__hip_bfloat16S1_Li112ELi8ELi128ELNS_18Fp8KVCacheDataTypeE0ELb0EEEvPT_PKS3_PKT0_S9_ifPKiSB_iPKfiiiSD_SD_iiiii,"axG",@progbits,_ZN4vllm25paged_attention_v1_kernelI14__hip_bfloat16S1_Li112ELi8ELi128ELNS_18Fp8KVCacheDataTypeE0ELb0EEEvPT_PKS3_PKT0_S9_ifPKiSB_iPKfiiiSD_SD_iiiii,comdat
.Lfunc_end121:
	.size	_ZN4vllm25paged_attention_v1_kernelI14__hip_bfloat16S1_Li112ELi8ELi128ELNS_18Fp8KVCacheDataTypeE0ELb0EEEvPT_PKS3_PKT0_S9_ifPKiSB_iPKfiiiSD_SD_iiiii, .Lfunc_end121-_ZN4vllm25paged_attention_v1_kernelI14__hip_bfloat16S1_Li112ELi8ELi128ELNS_18Fp8KVCacheDataTypeE0ELb0EEEvPT_PKS3_PKT0_S9_ifPKiSB_iPKfiiiSD_SD_iiiii
                                        ; -- End function
	.set _ZN4vllm25paged_attention_v1_kernelI14__hip_bfloat16S1_Li112ELi8ELi128ELNS_18Fp8KVCacheDataTypeE0ELb0EEEvPT_PKS3_PKT0_S9_ifPKiSB_iPKfiiiSD_SD_iiiii.num_vgpr, 47
	.set _ZN4vllm25paged_attention_v1_kernelI14__hip_bfloat16S1_Li112ELi8ELi128ELNS_18Fp8KVCacheDataTypeE0ELb0EEEvPT_PKS3_PKT0_S9_ifPKiSB_iPKfiiiSD_SD_iiiii.num_agpr, 0
	.set _ZN4vllm25paged_attention_v1_kernelI14__hip_bfloat16S1_Li112ELi8ELi128ELNS_18Fp8KVCacheDataTypeE0ELb0EEEvPT_PKS3_PKT0_S9_ifPKiSB_iPKfiiiSD_SD_iiiii.numbered_sgpr, 36
	.set _ZN4vllm25paged_attention_v1_kernelI14__hip_bfloat16S1_Li112ELi8ELi128ELNS_18Fp8KVCacheDataTypeE0ELb0EEEvPT_PKS3_PKT0_S9_ifPKiSB_iPKfiiiSD_SD_iiiii.num_named_barrier, 0
	.set _ZN4vllm25paged_attention_v1_kernelI14__hip_bfloat16S1_Li112ELi8ELi128ELNS_18Fp8KVCacheDataTypeE0ELb0EEEvPT_PKS3_PKT0_S9_ifPKiSB_iPKfiiiSD_SD_iiiii.private_seg_size, 0
	.set _ZN4vllm25paged_attention_v1_kernelI14__hip_bfloat16S1_Li112ELi8ELi128ELNS_18Fp8KVCacheDataTypeE0ELb0EEEvPT_PKS3_PKT0_S9_ifPKiSB_iPKfiiiSD_SD_iiiii.uses_vcc, 1
	.set _ZN4vllm25paged_attention_v1_kernelI14__hip_bfloat16S1_Li112ELi8ELi128ELNS_18Fp8KVCacheDataTypeE0ELb0EEEvPT_PKS3_PKT0_S9_ifPKiSB_iPKfiiiSD_SD_iiiii.uses_flat_scratch, 0
	.set _ZN4vllm25paged_attention_v1_kernelI14__hip_bfloat16S1_Li112ELi8ELi128ELNS_18Fp8KVCacheDataTypeE0ELb0EEEvPT_PKS3_PKT0_S9_ifPKiSB_iPKfiiiSD_SD_iiiii.has_dyn_sized_stack, 0
	.set _ZN4vllm25paged_attention_v1_kernelI14__hip_bfloat16S1_Li112ELi8ELi128ELNS_18Fp8KVCacheDataTypeE0ELb0EEEvPT_PKS3_PKT0_S9_ifPKiSB_iPKfiiiSD_SD_iiiii.has_recursion, 0
	.set _ZN4vllm25paged_attention_v1_kernelI14__hip_bfloat16S1_Li112ELi8ELi128ELNS_18Fp8KVCacheDataTypeE0ELb0EEEvPT_PKS3_PKT0_S9_ifPKiSB_iPKfiiiSD_SD_iiiii.has_indirect_call, 0
	.section	.AMDGPU.csdata,"",@progbits
; Kernel info:
; codeLenInByte = 4672
; TotalNumSgprs: 40
; NumVgprs: 47
; ScratchSize: 0
; MemoryBound: 0
; FloatMode: 240
; IeeeMode: 1
; LDSByteSize: 240 bytes/workgroup (compile time only)
; SGPRBlocks: 4
; VGPRBlocks: 11
; NumSGPRsForWavesPerEU: 40
; NumVGPRsForWavesPerEU: 47
; Occupancy: 5
; WaveLimiterHint : 1
; COMPUTE_PGM_RSRC2:SCRATCH_EN: 0
; COMPUTE_PGM_RSRC2:USER_SGPR: 6
; COMPUTE_PGM_RSRC2:TRAP_HANDLER: 0
; COMPUTE_PGM_RSRC2:TGID_X_EN: 1
; COMPUTE_PGM_RSRC2:TGID_Y_EN: 1
; COMPUTE_PGM_RSRC2:TGID_Z_EN: 1
; COMPUTE_PGM_RSRC2:TIDIG_COMP_CNT: 0
	.section	.text._ZN4vllm25paged_attention_v1_kernelI14__hip_bfloat16S1_Li120ELi8ELi128ELNS_18Fp8KVCacheDataTypeE0ELb0EEEvPT_PKS3_PKT0_S9_ifPKiSB_iPKfiiiSD_SD_iiiii,"axG",@progbits,_ZN4vllm25paged_attention_v1_kernelI14__hip_bfloat16S1_Li120ELi8ELi128ELNS_18Fp8KVCacheDataTypeE0ELb0EEEvPT_PKS3_PKT0_S9_ifPKiSB_iPKfiiiSD_SD_iiiii,comdat
	.protected	_ZN4vllm25paged_attention_v1_kernelI14__hip_bfloat16S1_Li120ELi8ELi128ELNS_18Fp8KVCacheDataTypeE0ELb0EEEvPT_PKS3_PKT0_S9_ifPKiSB_iPKfiiiSD_SD_iiiii ; -- Begin function _ZN4vllm25paged_attention_v1_kernelI14__hip_bfloat16S1_Li120ELi8ELi128ELNS_18Fp8KVCacheDataTypeE0ELb0EEEvPT_PKS3_PKT0_S9_ifPKiSB_iPKfiiiSD_SD_iiiii
	.globl	_ZN4vllm25paged_attention_v1_kernelI14__hip_bfloat16S1_Li120ELi8ELi128ELNS_18Fp8KVCacheDataTypeE0ELb0EEEvPT_PKS3_PKT0_S9_ifPKiSB_iPKfiiiSD_SD_iiiii
	.p2align	8
	.type	_ZN4vllm25paged_attention_v1_kernelI14__hip_bfloat16S1_Li120ELi8ELi128ELNS_18Fp8KVCacheDataTypeE0ELb0EEEvPT_PKS3_PKT0_S9_ifPKiSB_iPKfiiiSD_SD_iiiii,@function
_ZN4vllm25paged_attention_v1_kernelI14__hip_bfloat16S1_Li120ELi8ELi128ELNS_18Fp8KVCacheDataTypeE0ELb0EEEvPT_PKS3_PKT0_S9_ifPKiSB_iPKfiiiSD_SD_iiiii: ; @_ZN4vllm25paged_attention_v1_kernelI14__hip_bfloat16S1_Li120ELi8ELi128ELNS_18Fp8KVCacheDataTypeE0ELb0EEEvPT_PKS3_PKT0_S9_ifPKiSB_iPKfiiiSD_SD_iiiii
; %bb.0:
	s_load_dword s9, s[4:5], 0x80
	s_load_dwordx2 s[0:1], s[4:5], 0x30
	s_load_dwordx2 s[10:11], s[4:5], 0x20
	s_mov_b32 s16, s7
	s_ashr_i32 s17, s7, 31
	s_lshl_b64 s[2:3], s[16:17], 2
	s_waitcnt lgkmcnt(0)
	s_add_u32 s0, s0, s2
	s_addc_u32 s1, s1, s3
	s_abs_i32 s2, s10
	v_cvt_f32_u32_e32 v1, s2
	s_xor_b32 s3, s9, s10
	s_sub_i32 s10, 0, s2
	s_abs_i32 s7, s9
	v_rcp_iflag_f32_e32 v1, v1
	s_ashr_i32 s3, s3, 31
	v_mul_f32_e32 v1, 0x4f7ffffe, v1
	v_cvt_u32_f32_e32 v1, v1
	v_readfirstlane_b32 s12, v1
	s_mul_i32 s10, s10, s12
	s_mul_hi_u32 s10, s12, s10
	s_add_i32 s12, s12, s10
	s_mul_hi_u32 s10, s7, s12
	s_mul_i32 s12, s10, s2
	s_sub_i32 s7, s7, s12
	s_add_i32 s12, s10, 1
	s_sub_i32 s13, s7, s2
	s_cmp_ge_u32 s7, s2
	s_cselect_b32 s10, s12, s10
	s_cselect_b32 s7, s13, s7
	s_add_i32 s12, s10, 1
	s_cmp_ge_u32 s7, s2
	s_cselect_b32 s2, s12, s10
	s_xor_b32 s2, s2, s3
	s_sub_i32 s12, s2, s3
	s_abs_i32 s20, s12
	v_cvt_f32_u32_e32 v1, s20
	s_load_dwordx2 s[2:3], s[4:5], 0x40
	s_sub_i32 s7, 0, s20
	s_abs_i32 s21, s6
	v_rcp_iflag_f32_e32 v1, v1
	s_mov_b32 s10, 0
	v_mul_f32_e32 v1, 0x4f7ffffe, v1
	v_cvt_u32_f32_e32 v1, v1
	v_readfirstlane_b32 s13, v1
	s_mul_i32 s7, s7, s13
	s_mul_hi_u32 s7, s13, s7
	s_add_i32 s13, s13, s7
	s_waitcnt lgkmcnt(0)
	s_cmp_eq_u64 s[2:3], 0
	s_mul_hi_u32 s24, s21, s13
	s_cbranch_scc1 .LBB122_2
; %bb.1:
	s_ashr_i32 s7, s6, 31
	s_lshl_b64 s[14:15], s[6:7], 2
	s_add_u32 s2, s2, s14
	s_addc_u32 s3, s3, s15
	s_load_dword s10, s[2:3], 0x0
.LBB122_2:
	s_load_dword s17, s[0:1], 0x0
	s_ashr_i32 s25, s12, 31
	s_load_dwordx4 s[12:15], s[4:5], 0x48
	s_movk_i32 s0, 0x78
	s_ashr_i32 s7, s6, 31
	v_and_b32_e32 v1, 7, v0
	s_mul_i32 s18, s6, 0x78
	v_cmp_gt_u32_e64 s[0:1], s0, v0
	v_lshlrev_b32_e32 v19, 1, v0
	s_and_saveexec_b64 s[2:3], s[0:1]
	s_cbranch_execz .LBB122_4
; %bb.3:
	s_load_dwordx2 s[22:23], s[4:5], 0x8
	s_waitcnt lgkmcnt(0)
	s_mul_i32 s26, s12, s16
	s_ashr_i32 s27, s26, 31
	s_lshl_b64 s[26:27], s[26:27], 1
	v_lshrrev_b32_e32 v3, 2, v0
	s_add_u32 s6, s22, s26
	s_addc_u32 s12, s23, s27
	s_ashr_i32 s19, s18, 31
	s_lshl_b64 s[22:23], s[18:19], 1
	s_add_u32 s22, s6, s22
	s_addc_u32 s23, s12, s23
	global_load_ushort v2, v19, s[22:23]
	v_and_b32_e32 v3, 0xfe, v3
	v_mad_u32_u24 v3, v1, 30, v3
	s_waitcnt vmcnt(0)
	ds_write_b16 v3, v2
.LBB122_4:
	s_or_b64 exec, exec, s[2:3]
	s_waitcnt lgkmcnt(0)
	s_add_i32 s3, s17, 7
	s_ashr_i32 s6, s3, 31
	s_lshr_b32 s6, s6, 29
	s_add_i32 s3, s3, s6
	s_mul_i32 s6, s24, s20
	s_sub_i32 s6, s21, s6
	s_ashr_i32 s33, s3, 3
	s_xor_b32 s3, s7, s25
	s_add_i32 s7, s24, 1
	s_sub_i32 s12, s6, s20
	s_load_dwordx2 s[22:23], s[4:5], 0x28
	s_load_dword s2, s[4:5], 0x38
	s_cmp_ge_u32 s6, s20
	s_cselect_b32 s7, s7, s24
	s_cselect_b32 s6, s12, s6
	s_add_i32 s12, s7, 1
	s_cmp_ge_u32 s6, s20
	s_cselect_b32 s6, s12, s7
	v_lshrrev_b32_e32 v20, 6, v0
	s_xor_b32 s6, s6, s3
	s_waitcnt lgkmcnt(0)
	s_mul_i32 s24, s2, s16
	s_sub_i32 s12, s6, s3
	s_ashr_i32 s25, s24, 31
	v_cmp_gt_i32_e64 s[2:3], s33, v20
	v_cmp_le_i32_e32 vcc, s33, v20
	v_mbcnt_lo_u32_b32 v27, -1, 0
	s_barrier
                                        ; implicit-def: $vgpr4
                                        ; implicit-def: $vgpr6
                                        ; implicit-def: $vgpr5
	s_and_saveexec_b64 s[6:7], vcc
	s_xor_b64 s[6:7], exec, s[6:7]
; %bb.5:
	v_mbcnt_hi_u32_b32 v4, -1, v27
	v_and_b32_e32 v6, 64, v4
	v_add_u32_e32 v5, 64, v6
                                        ; implicit-def: $vgpr1
                                        ; implicit-def: $vgpr27
; %bb.6:
	s_or_saveexec_b64 s[28:29], s[6:7]
	s_load_dwordx2 s[20:21], s[4:5], 0x0
	s_load_dwordx2 s[26:27], s[4:5], 0x18
	s_load_dword s19, s[4:5], 0x88
	v_mov_b32_e32 v23, 0xff7fffff
	s_mul_i32 s14, s12, s14
	v_lshrrev_b32_e32 v3, 4, v0
	s_xor_b64 exec, exec, s[28:29]
	s_cbranch_execz .LBB122_12
; %bb.7:
	s_load_dwordx2 s[4:5], s[4:5], 0x10
	v_mul_u32_u24_e32 v23, 30, v1
	ds_read_b128 v[11:14], v23
	ds_read_b96 v[4:6], v23 offset:16
	s_ashr_i32 s15, s14, 31
	s_lshl_b64 s[6:7], s[14:15], 1
	s_waitcnt lgkmcnt(0)
	s_add_u32 s4, s4, s6
	v_bfe_u32 v31, v0, 3, 3
	s_addc_u32 s5, s5, s7
	v_lshlrev_b32_e32 v2, 4, v31
	v_lshlrev_b32_e32 v15, 16, v4
	v_and_b32_e32 v16, 0xffff0000, v4
	v_lshlrev_b32_e32 v17, 16, v5
	v_and_b32_e32 v18, 0xffff0000, v5
	v_mov_b32_e32 v4, s5
	v_add_co_u32_e32 v5, vcc, s4, v2
	s_sub_i32 s12, 1, s17
	s_lshl_b64 s[4:5], s[24:25], 2
	v_addc_co_u32_e32 v4, vcc, 0, v4, vcc
	s_add_u32 s4, s22, s4
	v_lshlrev_b32_e32 v21, 16, v6
	v_and_b32_e32 v22, 0xffff0000, v6
	v_lshlrev_b32_e32 v6, 1, v1
	v_cmp_eq_u32_e32 vcc, 0, v1
	s_addc_u32 s5, s23, s5
	v_and_b32_e32 v1, 60, v3
	v_mov_b32_e32 v2, s5
	v_add_co_u32_e64 v1, s[4:5], s4, v1
	ds_read_u16 v23, v23 offset:28
	v_addc_co_u32_e64 v2, s[4:5], 0, v2, s[4:5]
	v_add_co_u32_e64 v24, s[4:5], v5, v6
	v_addc_co_u32_e64 v25, s[4:5], 0, v4, s[4:5]
	v_mbcnt_hi_u32_b32 v4, -1, v27
	v_and_b32_e32 v6, 64, v4
	s_waitcnt lgkmcnt(0)
	v_lshlrev_b32_e32 v26, 16, v23
	v_add_u32_e32 v5, 64, v6
	v_xor_b32_e32 v23, 4, v4
	v_cmp_lt_i32_e64 s[4:5], v23, v5
	v_cndmask_b32_e64 v23, v4, v23, s[4:5]
	v_lshlrev_b32_e32 v27, 2, v23
	v_xor_b32_e32 v23, 2, v4
	v_cmp_lt_i32_e64 s[4:5], v23, v5
	v_cndmask_b32_e64 v23, v4, v23, s[4:5]
	v_lshlrev_b32_e32 v28, 2, v23
	;; [unrolled: 4-line block ×3, first 2 shown]
	v_lshlrev_b32_e32 v23, 2, v31
	v_lshl_or_b32 v23, v20, 5, v23
	v_lshlrev_b32_e32 v7, 16, v11
	v_and_b32_e32 v8, 0xffff0000, v11
	v_lshlrev_b32_e32 v9, 16, v12
	v_and_b32_e32 v10, 0xffff0000, v12
	v_lshlrev_b32_e32 v11, 16, v13
	v_and_b32_e32 v12, 0xffff0000, v13
	v_lshlrev_b32_e32 v13, 16, v14
	v_and_b32_e32 v14, 0xffff0000, v14
	s_mov_b32 s15, s13
	v_cmp_neq_f32_e64 s[4:5], s10, 0
	v_lshl_or_b32 v30, v20, 3, v31
	v_add_u32_e32 v31, 0x100, v23
	s_mov_b64 s[30:31], 0
	v_mov_b32_e32 v23, 0xff7fffff
	v_mov_b32_e32 v32, v20
	s_branch .LBB122_9
.LBB122_8:                              ;   in Loop: Header=BB122_9 Depth=1
	s_or_b64 exec, exec, s[34:35]
	v_add_u32_e32 v32, 2, v32
	v_cmp_le_i32_e64 s[6:7], s33, v32
	s_or_b64 s[30:31], s[6:7], s[30:31]
	v_add_co_u32_e64 v1, s[6:7], 8, v1
	v_add_u32_e32 v30, 16, v30
	v_add_u32_e32 v31, 64, v31
	v_addc_co_u32_e64 v2, s[6:7], 0, v2, s[6:7]
	s_andn2_b64 exec, exec, s[30:31]
	s_cbranch_execz .LBB122_11
.LBB122_9:                              ; =>This Inner Loop Header: Depth=1
	global_load_dword v33, v[1:2], off
	s_waitcnt vmcnt(0) lgkmcnt(0)
	v_mad_i64_i32 v[33:34], s[6:7], v33, s15, 0
	v_lshlrev_b64 v[33:34], 1, v[33:34]
	v_add_co_u32_e64 v33, s[6:7], v24, v33
	v_addc_co_u32_e64 v34, s[6:7], v25, v34, s[6:7]
	global_load_ushort v35, v[33:34], off
	global_load_ushort v36, v[33:34], off offset:128
	global_load_ushort v37, v[33:34], off offset:256
	;; [unrolled: 1-line block ×13, first 2 shown]
	s_nop 0
	global_load_ushort v33, v[33:34], off offset:1792
	s_waitcnt vmcnt(14)
	v_lshlrev_b32_e32 v34, 16, v35
	s_waitcnt vmcnt(13)
	v_lshlrev_b32_e32 v35, 16, v36
	v_mul_f32_e32 v35, v8, v35
	s_waitcnt vmcnt(12)
	v_lshlrev_b32_e32 v36, 16, v37
	v_fmac_f32_e32 v35, v7, v34
	s_waitcnt vmcnt(11)
	v_lshlrev_b32_e32 v37, 16, v38
	v_fmac_f32_e32 v35, v9, v36
	;; [unrolled: 3-line block ×12, first 2 shown]
	v_fmac_f32_e32 v35, v22, v47
	s_waitcnt vmcnt(0)
	v_lshlrev_b32_e32 v33, 16, v33
	v_fmac_f32_e32 v35, v26, v33
	ds_bpermute_b32 v33, v27, v35
	s_waitcnt lgkmcnt(0)
	v_add_f32_e32 v33, v35, v33
	ds_bpermute_b32 v34, v28, v33
	s_waitcnt lgkmcnt(0)
	v_add_f32_e32 v33, v33, v34
	ds_bpermute_b32 v34, v29, v33
	s_and_saveexec_b64 s[34:35], vcc
	s_cbranch_execz .LBB122_8
; %bb.10:                               ;   in Loop: Header=BB122_9 Depth=1
	v_add_u32_e32 v35, s12, v30
	v_cvt_f32_i32_e32 v35, v35
	s_waitcnt lgkmcnt(0)
	v_add_f32_e32 v33, v33, v34
	v_cmp_gt_i32_e64 s[6:7], s17, v30
	v_max_f32_e32 v34, v23, v23
	v_mul_f32_e32 v35, s10, v35
	v_cndmask_b32_e64 v35, 0, v35, s[4:5]
	v_fmac_f32_e32 v35, s11, v33
	v_cndmask_b32_e64 v33, 0, v35, s[6:7]
	ds_write_b32 v31, v33
	v_max_f32_e32 v33, v34, v35
	v_cndmask_b32_e64 v23, v23, v33, s[6:7]
	s_branch .LBB122_8
.LBB122_11:
	s_or_b64 exec, exec, s[30:31]
.LBB122_12:
	s_or_b64 exec, exec, s[28:29]
	v_xor_b32_e32 v1, 32, v4
	v_cmp_lt_i32_e32 vcc, v1, v5
	v_cndmask_b32_e32 v1, v4, v1, vcc
	v_lshlrev_b32_e32 v2, 2, v1
	ds_bpermute_b32 v1, v2, v23
	v_xor_b32_e32 v8, 16, v4
	v_max_f32_e32 v7, v23, v23
	v_cmp_lt_i32_e32 vcc, v8, v5
	v_xor_b32_e32 v9, 8, v4
	s_waitcnt lgkmcnt(0)
	v_max_f32_e32 v1, v1, v1
	v_max_f32_e32 v1, v7, v1
	v_cndmask_b32_e32 v7, v4, v8, vcc
	v_lshlrev_b32_e32 v8, 2, v7
	ds_bpermute_b32 v7, v8, v1
	v_cmp_lt_i32_e32 vcc, v9, v5
	v_and_b32_e32 v21, 63, v0
	s_waitcnt lgkmcnt(0)
	v_max_f32_e32 v7, v7, v7
	v_max_f32_e32 v7, v1, v7
	v_cndmask_b32_e32 v1, v4, v9, vcc
	v_lshlrev_b32_e32 v10, 2, v1
	ds_bpermute_b32 v9, v10, v7
	v_cmp_eq_u32_e32 vcc, 0, v21
	v_lshlrev_b32_e32 v1, 2, v20
	s_and_saveexec_b64 s[4:5], vcc
	s_cbranch_execz .LBB122_14
; %bb.13:
	s_waitcnt lgkmcnt(0)
	v_max_f32_e32 v9, v9, v9
	v_max_f32_e32 v7, v7, v7
	v_max_f32_e32 v7, v7, v9
	ds_write_b32 v1, v7 offset:240
.LBB122_14:
	s_or_b64 exec, exec, s[4:5]
	v_cmp_gt_u32_e64 s[4:5], 2, v21
	v_mov_b32_e32 v11, 0xff7fffff
	v_lshlrev_b32_e32 v7, 2, v21
	s_waitcnt lgkmcnt(0)
	s_barrier
	s_and_saveexec_b64 s[6:7], s[4:5]
; %bb.15:
	ds_read_b32 v11, v7 offset:240
; %bb.16:
	s_or_b64 exec, exec, s[6:7]
	v_xor_b32_e32 v9, 1, v4
	v_cmp_lt_i32_e64 s[6:7], v9, v5
	v_cndmask_b32_e64 v9, v4, v9, s[6:7]
	v_lshlrev_b32_e32 v9, 2, v9
	s_waitcnt lgkmcnt(0)
	ds_bpermute_b32 v12, v9, v11
	v_max_f32_e32 v11, v11, v11
	v_lshlrev_b32_e32 v6, 2, v6
	s_lshl_b32 s6, s33, 3
	s_min_i32 s12, s6, s17
	s_waitcnt lgkmcnt(0)
	v_max_f32_e32 v12, v12, v12
	v_max_f32_e32 v11, v11, v12
	ds_bpermute_b32 v11, v6, v11
	v_cmp_gt_i32_e64 s[6:7], s12, v0
	v_mov_b32_e32 v6, 0
	s_and_saveexec_b64 s[28:29], s[6:7]
	s_cbranch_execz .LBB122_20
; %bb.17:
	v_mov_b32_e32 v6, 0x100
	v_lshl_add_u32 v12, v0, 2, v6
	v_mov_b32_e32 v6, 0
	s_mov_b64 s[30:31], 0
	v_mov_b32_e32 v13, v0
.LBB122_18:                             ; =>This Inner Loop Header: Depth=1
	ds_read_b32 v14, v12
	v_add_u32_e32 v13, 0x80, v13
	v_cmp_le_i32_e64 s[10:11], s12, v13
	s_or_b64 s[30:31], s[10:11], s[30:31]
	s_waitcnt lgkmcnt(0)
	v_sub_f32_e32 v14, v14, v11
	v_mul_f32_e32 v14, 0x3fb8aa3b, v14
	v_exp_f32_e32 v14, v14
	ds_write_b32 v12, v14
	v_add_f32_e32 v6, v6, v14
	v_add_u32_e32 v12, 0x200, v12
	s_andn2_b64 exec, exec, s[30:31]
	s_cbranch_execnz .LBB122_18
; %bb.19:
	s_or_b64 exec, exec, s[30:31]
.LBB122_20:
	s_or_b64 exec, exec, s[28:29]
	ds_bpermute_b32 v2, v2, v6
	s_waitcnt lgkmcnt(0)
	v_add_f32_e32 v2, v6, v2
	ds_bpermute_b32 v6, v8, v2
	v_xor_b32_e32 v8, 4, v4
	v_cmp_lt_i32_e64 s[10:11], v8, v5
	v_cndmask_b32_e64 v8, v4, v8, s[10:11]
	v_lshlrev_b32_e32 v8, 2, v8
	s_waitcnt lgkmcnt(0)
	v_add_f32_e32 v2, v2, v6
	ds_bpermute_b32 v6, v10, v2
	s_waitcnt lgkmcnt(0)
	v_add_f32_e32 v2, v2, v6
	ds_bpermute_b32 v6, v8, v2
	v_xor_b32_e32 v8, 2, v4
	v_cmp_lt_i32_e64 s[10:11], v8, v5
	v_cndmask_b32_e64 v5, v4, v8, s[10:11]
	v_lshlrev_b32_e32 v5, 2, v5
	s_waitcnt lgkmcnt(0)
	v_add_f32_e32 v2, v2, v6
	ds_bpermute_b32 v5, v5, v2
	s_waitcnt lgkmcnt(0)
	v_add_f32_e32 v2, v2, v5
	ds_bpermute_b32 v5, v9, v2
	s_waitcnt lgkmcnt(0)
	v_add_f32_e32 v2, v2, v5
	s_and_saveexec_b64 s[10:11], vcc
; %bb.21:
	ds_write_b32 v1, v2 offset:248
; %bb.22:
	s_or_b64 exec, exec, s[10:11]
	s_waitcnt lgkmcnt(0)
	s_barrier
	s_and_saveexec_b64 s[10:11], s[4:5]
; %bb.23:
	ds_read_b32 v2, v7 offset:248
; %bb.24:
	s_or_b64 exec, exec, s[10:11]
	s_waitcnt lgkmcnt(0)
	ds_bpermute_b32 v1, v9, v2
	v_lshlrev_b32_e32 v4, 2, v4
	s_waitcnt lgkmcnt(0)
	v_add_f32_e32 v1, v2, v1
	v_and_b32_e32 v2, 0xffffff00, v4
	ds_bpermute_b32 v1, v2, v1
	s_and_saveexec_b64 s[4:5], s[6:7]
	s_cbranch_execz .LBB122_27
; %bb.25:
	s_waitcnt lgkmcnt(0)
	v_add_f32_e32 v2, 0x358637bd, v1
	v_div_scale_f32 v1, s[6:7], v2, v2, 1.0
	v_div_scale_f32 v4, vcc, 1.0, v2, 1.0
	s_mov_b64 s[6:7], 0
	v_rcp_f32_e32 v5, v1
	v_fma_f32 v6, -v1, v5, 1.0
	v_fmac_f32_e32 v5, v6, v5
	v_mul_f32_e32 v6, v4, v5
	v_fma_f32 v7, -v1, v6, v4
	v_fmac_f32_e32 v6, v7, v5
	v_fma_f32 v1, -v1, v6, v4
	v_div_fmas_f32 v4, v1, v5, v6
	v_mov_b32_e32 v1, 0x100
	v_lshl_add_u32 v1, v0, 2, v1
	v_div_fixup_f32 v2, v4, v2, 1.0
	v_mov_b32_e32 v4, v0
.LBB122_26:                             ; =>This Inner Loop Header: Depth=1
	ds_read_b32 v5, v1
	v_add_u32_e32 v4, 0x80, v4
	v_cmp_le_i32_e32 vcc, s12, v4
	s_or_b64 s[6:7], vcc, s[6:7]
	s_waitcnt lgkmcnt(0)
	v_mul_f32_e32 v5, v2, v5
	ds_write_b32 v1, v5
	v_add_u32_e32 v1, 0x200, v1
	s_andn2_b64 exec, exec, s[6:7]
	s_cbranch_execnz .LBB122_26
.LBB122_27:
	s_or_b64 exec, exec, s[4:5]
	v_mov_b32_e32 v15, 0
	v_mov_b32_e32 v16, v15
	;; [unrolled: 1-line block ×4, first 2 shown]
	s_waitcnt lgkmcnt(0)
	s_barrier
	s_and_saveexec_b64 s[10:11], s[2:3]
	s_cbranch_execz .LBB122_37
; %bb.28:
	s_ashr_i32 s15, s14, 31
	s_lshl_b64 s[2:3], s[14:15], 1
	s_add_u32 s26, s26, s2
	s_addc_u32 s6, s27, s3
	s_add_i32 s27, s33, -1
	s_lshl_b64 s[4:5], s[24:25], 2
	s_add_u32 s4, s22, s4
	v_or_b32_e32 v2, 64, v21
	s_movk_i32 s2, 0x78
	v_mov_b32_e32 v4, 0x100
	v_and_b32_e32 v3, 60, v3
	s_addc_u32 s5, s23, s5
	v_lshlrev_b32_e32 v1, 3, v21
	v_cmp_gt_u32_e64 s[2:3], s2, v2
	v_lshlrev_b32_e32 v2, 3, v2
	v_lshl_add_u32 v23, v20, 5, v4
	v_mov_b32_e32 v4, s5
	v_add_co_u32_e32 v17, vcc, s4, v3
	v_mov_b32_e32 v16, v15
	v_mov_b32_e32 v13, v15
	s_mov_b32 s28, s13
	s_mov_b32 s29, s17
	v_lshlrev_b32_e32 v22, 3, v20
	v_addc_co_u32_e32 v18, vcc, 0, v4, vcc
	s_mov_b64 s[12:13], 0
	v_mov_b32_e32 v24, s6
	v_lshlrev_b32_e32 v25, 1, v1
	s_mov_b32 s22, 0x5040100
	s_movk_i32 s23, 0x7fff
	s_mov_b32 s24, 0x7060302
	v_lshlrev_b32_e32 v26, 1, v2
	v_mov_b32_e32 v14, v16
	s_branch .LBB122_31
.LBB122_29:                             ;   in Loop: Header=BB122_31 Depth=1
	s_or_b64 exec, exec, s[14:15]
	v_perm_b32 v9, v10, v9, s24
	v_perm_b32 v5, v6, v5, s24
	;; [unrolled: 1-line block ×3, first 2 shown]
	s_waitcnt vmcnt(0)
	v_lshlrev_b32_e32 v7, 16, v1
	v_lshlrev_b32_e32 v8, 16, v9
	v_mul_f32_e32 v7, v8, v7
	v_bfe_u32 v8, v7, 16, 1
	v_perm_b32 v10, v12, v11, s24
	v_add3_u32 v8, v8, v7, s23
	v_or_b32_e32 v11, 0x400000, v7
	v_cmp_u_f32_e32 vcc, v7, v7
	v_cndmask_b32_e32 v7, v8, v11, vcc
	v_and_b32_e32 v1, 0xffff0000, v1
	v_and_b32_e32 v8, 0xffff0000, v9
	v_mul_f32_e32 v1, v8, v1
	v_bfe_u32 v8, v1, 16, 1
	v_add3_u32 v8, v8, v1, s23
	v_or_b32_e32 v9, 0x400000, v1
	v_cmp_u_f32_e32 vcc, v1, v1
	v_cndmask_b32_e32 v1, v8, v9, vcc
	v_lshlrev_b32_e32 v8, 16, v2
	v_lshlrev_b32_e32 v9, 16, v10
	v_mul_f32_e32 v8, v9, v8
	v_bfe_u32 v9, v8, 16, 1
	v_add3_u32 v9, v9, v8, s23
	v_or_b32_e32 v11, 0x400000, v8
	v_cmp_u_f32_e32 vcc, v8, v8
	v_cndmask_b32_e32 v8, v9, v11, vcc
	v_and_b32_e32 v2, 0xffff0000, v2
	v_and_b32_e32 v9, 0xffff0000, v10
	v_mul_f32_e32 v2, v9, v2
	v_bfe_u32 v9, v2, 16, 1
	v_add3_u32 v9, v9, v2, s23
	v_or_b32_e32 v10, 0x400000, v2
	v_cmp_u_f32_e32 vcc, v2, v2
	v_cndmask_b32_e32 v2, v9, v10, vcc
	v_lshlrev_b32_e32 v9, 16, v3
	v_lshlrev_b32_e32 v10, 16, v5
	v_mul_f32_e32 v9, v10, v9
	v_and_b32_e32 v3, 0xffff0000, v3
	v_and_b32_e32 v5, 0xffff0000, v5
	v_bfe_u32 v10, v9, 16, 1
	v_mul_f32_e32 v3, v5, v3
	v_add3_u32 v10, v10, v9, s23
	v_or_b32_e32 v11, 0x400000, v9
	v_cmp_u_f32_e32 vcc, v9, v9
	v_bfe_u32 v5, v3, 16, 1
	v_cndmask_b32_e32 v9, v10, v11, vcc
	v_add3_u32 v5, v5, v3, s23
	v_or_b32_e32 v10, 0x400000, v3
	v_cmp_u_f32_e32 vcc, v3, v3
	v_cndmask_b32_e32 v3, v5, v10, vcc
	v_lshlrev_b32_e32 v5, 16, v4
	v_lshlrev_b32_e32 v10, 16, v6
	v_mul_f32_e32 v5, v10, v5
	v_and_b32_e32 v4, 0xffff0000, v4
	v_and_b32_e32 v6, 0xffff0000, v6
	v_bfe_u32 v10, v5, 16, 1
	v_mul_f32_e32 v4, v6, v4
	v_add3_u32 v10, v10, v5, s23
	v_or_b32_e32 v11, 0x400000, v5
	v_cmp_u_f32_e32 vcc, v5, v5
	v_bfe_u32 v6, v4, 16, 1
	v_cndmask_b32_e32 v5, v10, v11, vcc
	v_add3_u32 v6, v6, v4, s23
	v_or_b32_e32 v10, 0x400000, v4
	v_cmp_u_f32_e32 vcc, v4, v4
	v_cndmask_b32_e32 v4, v6, v10, vcc
	v_and_b32_e32 v1, 0xffff0000, v1
	v_and_b32_e32 v6, 0xffff0000, v7
	v_add_f32_e32 v1, v6, v1
	v_and_b32_e32 v2, 0xffff0000, v2
	v_and_b32_e32 v6, 0xffff0000, v8
	v_add_f32_e32 v2, v6, v2
	v_add_f32_e32 v1, v2, v1
	v_and_b32_e32 v2, 0xffff0000, v3
	v_and_b32_e32 v3, 0xffff0000, v9
	v_add_f32_e32 v2, v3, v2
	;; [unrolled: 4-line block ×3, first 2 shown]
	v_add_f32_e32 v1, v2, v1
	v_add_f32_e32 v14, v14, v1
.LBB122_30:                             ;   in Loop: Header=BB122_31 Depth=1
	s_or_b64 exec, exec, s[6:7]
	v_add_u32_e32 v20, 2, v20
	v_cmp_le_i32_e32 vcc, s33, v20
	s_or_b64 s[12:13], vcc, s[12:13]
	v_add_co_u32_e32 v17, vcc, 8, v17
	v_add_u32_e32 v22, 16, v22
	v_add_u32_e32 v23, 64, v23
	v_addc_co_u32_e32 v18, vcc, 0, v18, vcc
	s_andn2_b64 exec, exec, s[12:13]
	s_cbranch_execz .LBB122_36
.LBB122_31:                             ; =>This Inner Loop Header: Depth=1
	global_load_dword v1, v[17:18], off
	s_waitcnt vmcnt(0)
	v_mad_i64_i32 v[1:2], s[4:5], v1, s28, 0
	v_cmp_eq_u32_e64 s[4:5], s27, v20
	v_lshlrev_b64 v[1:2], 1, v[1:2]
	v_add_co_u32_e32 v16, vcc, s26, v1
	v_addc_co_u32_e32 v27, vcc, v24, v2, vcc
	v_add_co_u32_e32 v1, vcc, v16, v25
	v_addc_co_u32_e32 v2, vcc, 0, v27, vcc
	global_load_dwordx4 v[1:4], v[1:2], off
	ds_read2_b64 v[9:12], v23 offset1:1
	ds_read2_b64 v[5:8], v23 offset0:2 offset1:3
	s_and_saveexec_b64 s[14:15], s[4:5]
	s_cbranch_execz .LBB122_33
; %bb.32:                               ;   in Loop: Header=BB122_31 Depth=1
	v_add_u32_e32 v28, 1, v22
	v_cmp_gt_i32_e32 vcc, s29, v28
	s_waitcnt vmcnt(0)
	v_cndmask_b32_sdwa v28, v15, v1, vcc dst_sel:DWORD dst_unused:UNUSED_PAD src0_sel:DWORD src1_sel:WORD_1
	v_cmp_gt_i32_e32 vcc, s17, v22
	v_cndmask_b32_e32 v1, 0, v1, vcc
	v_perm_b32 v1, v28, v1, s22
	v_or_b32_e32 v28, 3, v22
	v_or_b32_e32 v29, 2, v22
	v_cmp_gt_i32_e32 vcc, s29, v28
	v_cmp_gt_i32_e64 s[6:7], s17, v29
	v_cndmask_b32_e64 v28, 0, v2, s[6:7]
	v_cndmask_b32_sdwa v2, v15, v2, vcc dst_sel:DWORD dst_unused:UNUSED_PAD src0_sel:DWORD src1_sel:WORD_1
	v_perm_b32 v2, v2, v28, s22
	v_or_b32_e32 v28, 5, v22
	v_or_b32_e32 v29, 4, v22
	v_cmp_gt_i32_e32 vcc, s29, v28
	v_cmp_gt_i32_e64 s[6:7], s17, v29
	v_cndmask_b32_e64 v28, 0, v3, s[6:7]
	v_cndmask_b32_sdwa v3, v15, v3, vcc dst_sel:DWORD dst_unused:UNUSED_PAD src0_sel:DWORD src1_sel:WORD_1
	;; [unrolled: 7-line block ×3, first 2 shown]
	v_perm_b32 v4, v4, v28, s22
.LBB122_33:                             ;   in Loop: Header=BB122_31 Depth=1
	s_or_b64 exec, exec, s[14:15]
	s_waitcnt lgkmcnt(1)
	v_bfe_u32 v28, v9, 16, 1
	v_add3_u32 v28, v28, v9, s23
	v_or_b32_e32 v29, 0x400000, v9
	v_cmp_u_f32_e32 vcc, v9, v9
	v_cndmask_b32_e32 v9, v28, v29, vcc
	v_bfe_u32 v28, v10, 16, 1
	v_add3_u32 v28, v28, v10, s23
	v_or_b32_e32 v29, 0x400000, v10
	v_cmp_u_f32_e32 vcc, v10, v10
	v_cndmask_b32_e32 v10, v28, v29, vcc
	;; [unrolled: 5-line block ×4, first 2 shown]
	s_waitcnt lgkmcnt(0)
	v_bfe_u32 v28, v5, 16, 1
	v_add3_u32 v28, v28, v5, s23
	v_or_b32_e32 v29, 0x400000, v5
	v_cmp_u_f32_e32 vcc, v5, v5
	v_cndmask_b32_e32 v5, v28, v29, vcc
	v_bfe_u32 v28, v6, 16, 1
	v_add3_u32 v28, v28, v6, s23
	v_or_b32_e32 v29, 0x400000, v6
	v_cmp_u_f32_e32 vcc, v6, v6
	v_cndmask_b32_e32 v6, v28, v29, vcc
	;; [unrolled: 5-line block ×4, first 2 shown]
	v_and_b32_e32 v28, 0xffff0000, v9
	s_waitcnt vmcnt(0)
	v_lshlrev_b32_e32 v29, 16, v1
	v_mul_f32_e32 v28, v28, v29
	v_bfe_u32 v29, v28, 16, 1
	v_add3_u32 v29, v29, v28, s23
	v_or_b32_e32 v30, 0x400000, v28
	v_cmp_u_f32_e32 vcc, v28, v28
	v_cndmask_b32_e32 v28, v29, v30, vcc
	v_and_b32_e32 v29, 0xffff0000, v10
	v_and_b32_e32 v1, 0xffff0000, v1
	v_mul_f32_e32 v1, v29, v1
	v_bfe_u32 v29, v1, 16, 1
	v_add3_u32 v29, v29, v1, s23
	v_or_b32_e32 v30, 0x400000, v1
	v_cmp_u_f32_e32 vcc, v1, v1
	v_cndmask_b32_e32 v1, v29, v30, vcc
	v_and_b32_e32 v29, 0xffff0000, v11
	v_lshlrev_b32_e32 v30, 16, v2
	v_mul_f32_e32 v29, v29, v30
	v_bfe_u32 v30, v29, 16, 1
	v_add3_u32 v30, v30, v29, s23
	v_or_b32_e32 v31, 0x400000, v29
	v_cmp_u_f32_e32 vcc, v29, v29
	v_cndmask_b32_e32 v29, v30, v31, vcc
	v_and_b32_e32 v30, 0xffff0000, v12
	v_and_b32_e32 v2, 0xffff0000, v2
	v_mul_f32_e32 v2, v30, v2
	v_bfe_u32 v30, v2, 16, 1
	v_add3_u32 v30, v30, v2, s23
	v_or_b32_e32 v31, 0x400000, v2
	v_cmp_u_f32_e32 vcc, v2, v2
	v_cndmask_b32_e32 v2, v30, v31, vcc
	v_and_b32_e32 v30, 0xffff0000, v5
	;; [unrolled: 16-line block ×3, first 2 shown]
	v_lshlrev_b32_e32 v32, 16, v4
	v_mul_f32_e32 v31, v31, v32
	v_bfe_u32 v32, v31, 16, 1
	v_add3_u32 v32, v32, v31, s23
	v_or_b32_e32 v33, 0x400000, v31
	v_cmp_u_f32_e32 vcc, v31, v31
	v_cndmask_b32_e32 v31, v32, v33, vcc
	v_and_b32_e32 v32, 0xffff0000, v8
	v_and_b32_e32 v4, 0xffff0000, v4
	;; [unrolled: 1-line block ×4, first 2 shown]
	v_mul_f32_e32 v4, v32, v4
	v_add_f32_e32 v1, v28, v1
	v_and_b32_e32 v2, 0xffff0000, v2
	v_and_b32_e32 v28, 0xffff0000, v29
	v_bfe_u32 v32, v4, 16, 1
	v_add_f32_e32 v2, v28, v2
	v_add3_u32 v32, v32, v4, s23
	v_or_b32_e32 v33, 0x400000, v4
	v_cmp_u_f32_e32 vcc, v4, v4
	v_add_f32_e32 v1, v2, v1
	v_and_b32_e32 v2, 0xffff0000, v3
	v_and_b32_e32 v3, 0xffff0000, v30
	v_cndmask_b32_e32 v4, v32, v33, vcc
	v_add_f32_e32 v2, v3, v2
	v_add_f32_e32 v1, v2, v1
	v_and_b32_e32 v2, 0xffff0000, v4
	v_and_b32_e32 v3, 0xffff0000, v31
	v_add_f32_e32 v2, v3, v2
	v_add_f32_e32 v1, v2, v1
	;; [unrolled: 1-line block ×3, first 2 shown]
	s_and_saveexec_b64 s[6:7], s[2:3]
	s_cbranch_execz .LBB122_30
; %bb.34:                               ;   in Loop: Header=BB122_31 Depth=1
	v_add_co_u32_e32 v1, vcc, v16, v26
	v_addc_co_u32_e32 v2, vcc, 0, v27, vcc
	global_load_dwordx4 v[1:4], v[1:2], off
	s_and_saveexec_b64 s[14:15], s[4:5]
	s_cbranch_execz .LBB122_29
; %bb.35:                               ;   in Loop: Header=BB122_31 Depth=1
	v_add_u32_e32 v16, 1, v22
	v_cmp_gt_i32_e32 vcc, s29, v16
	s_waitcnt vmcnt(0)
	v_cndmask_b32_sdwa v16, v15, v1, vcc dst_sel:DWORD dst_unused:UNUSED_PAD src0_sel:DWORD src1_sel:WORD_1
	v_cmp_gt_i32_e32 vcc, s17, v22
	v_cndmask_b32_e32 v1, 0, v1, vcc
	v_perm_b32 v1, v16, v1, s22
	v_or_b32_e32 v16, 3, v22
	v_or_b32_e32 v27, 2, v22
	v_cmp_gt_i32_e32 vcc, s29, v16
	v_cmp_gt_i32_e64 s[4:5], s17, v27
	v_cndmask_b32_e64 v16, 0, v2, s[4:5]
	v_cndmask_b32_sdwa v2, v15, v2, vcc dst_sel:DWORD dst_unused:UNUSED_PAD src0_sel:DWORD src1_sel:WORD_1
	v_perm_b32 v2, v2, v16, s22
	v_or_b32_e32 v16, 5, v22
	v_or_b32_e32 v27, 4, v22
	v_cmp_gt_i32_e32 vcc, s29, v16
	v_cmp_gt_i32_e64 s[4:5], s17, v27
	v_cndmask_b32_e64 v16, 0, v3, s[4:5]
	v_cndmask_b32_sdwa v3, v15, v3, vcc dst_sel:DWORD dst_unused:UNUSED_PAD src0_sel:DWORD src1_sel:WORD_1
	;; [unrolled: 7-line block ×3, first 2 shown]
	v_perm_b32 v4, v4, v16, s22
	s_branch .LBB122_29
.LBB122_36:
	s_or_b64 exec, exec, s[12:13]
.LBB122_37:
	s_or_b64 exec, exec, s[10:11]
	v_and_b32_e32 v1, 0x3c0, v0
	v_cmp_eq_u32_e32 vcc, 64, v1
	s_barrier
	s_and_saveexec_b64 s[2:3], vcc
	s_cbranch_execz .LBB122_40
; %bb.38:
	v_mov_b32_e32 v1, 0x100
	v_lshl_add_u32 v2, v21, 2, v1
	ds_write_b32 v2, v13
	s_and_b64 exec, exec, s[0:1]
; %bb.39:
	v_lshl_add_u32 v1, v0, 2, v1
	ds_write_b32 v1, v14
.LBB122_40:
	s_or_b64 exec, exec, s[2:3]
	v_cmp_gt_u32_e32 vcc, 64, v0
	v_or_b32_e32 v1, 64, v0
	s_waitcnt lgkmcnt(0)
	s_barrier
	s_and_saveexec_b64 s[2:3], vcc
	s_cbranch_execz .LBB122_44
; %bb.41:
	v_mov_b32_e32 v2, 0x100
	v_lshl_add_u32 v0, v0, 2, v2
	ds_read_b32 v2, v0
	s_movk_i32 s0, 0x78
	v_cmp_gt_u32_e64 s[0:1], s0, v1
	s_waitcnt lgkmcnt(0)
	v_add_f32_e32 v13, v13, v2
	s_and_saveexec_b64 s[4:5], s[0:1]
	s_cbranch_execz .LBB122_43
; %bb.42:
	ds_read_b32 v0, v0 offset:256
	s_waitcnt lgkmcnt(0)
	v_add_f32_e32 v14, v14, v0
.LBB122_43:
	s_or_b64 exec, exec, s[4:5]
.LBB122_44:
	s_or_b64 exec, exec, s[2:3]
	s_barrier
	s_and_saveexec_b64 s[0:1], vcc
	s_cbranch_execz .LBB122_47
; %bb.45:
	s_mul_i32 s0, s16, s19
	s_mul_i32 s0, s0, s9
	s_mulk_i32 s0, 0x78
	s_ashr_i32 s1, s0, 31
	s_lshl_b64 s[0:1], s[0:1], 1
	s_add_u32 s2, s20, s0
	s_mul_i32 s0, s19, s18
	s_addc_u32 s4, s21, s1
	s_ashr_i32 s1, s0, 31
	s_lshl_b64 s[0:1], s[0:1], 1
	s_add_u32 s2, s2, s0
	s_mul_i32 s0, s8, 0x78
	s_addc_u32 s4, s4, s1
	s_ashr_i32 s1, s0, 31
	s_lshl_b64 s[0:1], s[0:1], 1
	s_add_u32 s0, s2, s0
	v_bfe_u32 v0, v13, 16, 1
	s_movk_i32 s2, 0x7fff
	s_movk_i32 s3, 0x78
	v_add3_u32 v0, v0, v13, s2
	v_or_b32_e32 v2, 0x400000, v13
	v_cmp_u_f32_e32 vcc, v13, v13
	s_addc_u32 s1, s4, s1
	v_cndmask_b32_e32 v0, v0, v2, vcc
	v_cmp_gt_u32_e32 vcc, s3, v1
	global_store_short_d16_hi v19, v0, s[0:1]
	s_and_b64 exec, exec, vcc
	s_cbranch_execz .LBB122_47
; %bb.46:
	v_mov_b32_e32 v1, s1
	v_add_co_u32_e32 v0, vcc, s0, v19
	v_addc_co_u32_e32 v1, vcc, 0, v1, vcc
	v_bfe_u32 v2, v14, 16, 1
	v_add3_u32 v2, v2, v14, s2
	v_or_b32_e32 v3, 0x400000, v14
	v_cmp_u_f32_e32 vcc, v14, v14
	v_cndmask_b32_e32 v2, v2, v3, vcc
	global_store_short_d16_hi v[0:1], v2, off offset:128
.LBB122_47:
	s_endpgm
	.section	.rodata,"a",@progbits
	.p2align	6, 0x0
	.amdhsa_kernel _ZN4vllm25paged_attention_v1_kernelI14__hip_bfloat16S1_Li120ELi8ELi128ELNS_18Fp8KVCacheDataTypeE0ELb0EEEvPT_PKS3_PKT0_S9_ifPKiSB_iPKfiiiSD_SD_iiiii
		.amdhsa_group_segment_fixed_size 256
		.amdhsa_private_segment_fixed_size 0
		.amdhsa_kernarg_size 384
		.amdhsa_user_sgpr_count 6
		.amdhsa_user_sgpr_private_segment_buffer 1
		.amdhsa_user_sgpr_dispatch_ptr 0
		.amdhsa_user_sgpr_queue_ptr 0
		.amdhsa_user_sgpr_kernarg_segment_ptr 1
		.amdhsa_user_sgpr_dispatch_id 0
		.amdhsa_user_sgpr_flat_scratch_init 0
		.amdhsa_user_sgpr_private_segment_size 0
		.amdhsa_uses_dynamic_stack 0
		.amdhsa_system_sgpr_private_segment_wavefront_offset 0
		.amdhsa_system_sgpr_workgroup_id_x 1
		.amdhsa_system_sgpr_workgroup_id_y 1
		.amdhsa_system_sgpr_workgroup_id_z 1
		.amdhsa_system_sgpr_workgroup_info 0
		.amdhsa_system_vgpr_workitem_id 0
		.amdhsa_next_free_vgpr 49
		.amdhsa_next_free_sgpr 36
		.amdhsa_reserve_vcc 1
		.amdhsa_reserve_flat_scratch 0
		.amdhsa_float_round_mode_32 0
		.amdhsa_float_round_mode_16_64 0
		.amdhsa_float_denorm_mode_32 3
		.amdhsa_float_denorm_mode_16_64 3
		.amdhsa_dx10_clamp 1
		.amdhsa_ieee_mode 1
		.amdhsa_fp16_overflow 0
		.amdhsa_exception_fp_ieee_invalid_op 0
		.amdhsa_exception_fp_denorm_src 0
		.amdhsa_exception_fp_ieee_div_zero 0
		.amdhsa_exception_fp_ieee_overflow 0
		.amdhsa_exception_fp_ieee_underflow 0
		.amdhsa_exception_fp_ieee_inexact 0
		.amdhsa_exception_int_div_zero 0
	.end_amdhsa_kernel
	.section	.text._ZN4vllm25paged_attention_v1_kernelI14__hip_bfloat16S1_Li120ELi8ELi128ELNS_18Fp8KVCacheDataTypeE0ELb0EEEvPT_PKS3_PKT0_S9_ifPKiSB_iPKfiiiSD_SD_iiiii,"axG",@progbits,_ZN4vllm25paged_attention_v1_kernelI14__hip_bfloat16S1_Li120ELi8ELi128ELNS_18Fp8KVCacheDataTypeE0ELb0EEEvPT_PKS3_PKT0_S9_ifPKiSB_iPKfiiiSD_SD_iiiii,comdat
.Lfunc_end122:
	.size	_ZN4vllm25paged_attention_v1_kernelI14__hip_bfloat16S1_Li120ELi8ELi128ELNS_18Fp8KVCacheDataTypeE0ELb0EEEvPT_PKS3_PKT0_S9_ifPKiSB_iPKfiiiSD_SD_iiiii, .Lfunc_end122-_ZN4vllm25paged_attention_v1_kernelI14__hip_bfloat16S1_Li120ELi8ELi128ELNS_18Fp8KVCacheDataTypeE0ELb0EEEvPT_PKS3_PKT0_S9_ifPKiSB_iPKfiiiSD_SD_iiiii
                                        ; -- End function
	.set _ZN4vllm25paged_attention_v1_kernelI14__hip_bfloat16S1_Li120ELi8ELi128ELNS_18Fp8KVCacheDataTypeE0ELb0EEEvPT_PKS3_PKT0_S9_ifPKiSB_iPKfiiiSD_SD_iiiii.num_vgpr, 49
	.set _ZN4vllm25paged_attention_v1_kernelI14__hip_bfloat16S1_Li120ELi8ELi128ELNS_18Fp8KVCacheDataTypeE0ELb0EEEvPT_PKS3_PKT0_S9_ifPKiSB_iPKfiiiSD_SD_iiiii.num_agpr, 0
	.set _ZN4vllm25paged_attention_v1_kernelI14__hip_bfloat16S1_Li120ELi8ELi128ELNS_18Fp8KVCacheDataTypeE0ELb0EEEvPT_PKS3_PKT0_S9_ifPKiSB_iPKfiiiSD_SD_iiiii.numbered_sgpr, 36
	.set _ZN4vllm25paged_attention_v1_kernelI14__hip_bfloat16S1_Li120ELi8ELi128ELNS_18Fp8KVCacheDataTypeE0ELb0EEEvPT_PKS3_PKT0_S9_ifPKiSB_iPKfiiiSD_SD_iiiii.num_named_barrier, 0
	.set _ZN4vllm25paged_attention_v1_kernelI14__hip_bfloat16S1_Li120ELi8ELi128ELNS_18Fp8KVCacheDataTypeE0ELb0EEEvPT_PKS3_PKT0_S9_ifPKiSB_iPKfiiiSD_SD_iiiii.private_seg_size, 0
	.set _ZN4vllm25paged_attention_v1_kernelI14__hip_bfloat16S1_Li120ELi8ELi128ELNS_18Fp8KVCacheDataTypeE0ELb0EEEvPT_PKS3_PKT0_S9_ifPKiSB_iPKfiiiSD_SD_iiiii.uses_vcc, 1
	.set _ZN4vllm25paged_attention_v1_kernelI14__hip_bfloat16S1_Li120ELi8ELi128ELNS_18Fp8KVCacheDataTypeE0ELb0EEEvPT_PKS3_PKT0_S9_ifPKiSB_iPKfiiiSD_SD_iiiii.uses_flat_scratch, 0
	.set _ZN4vllm25paged_attention_v1_kernelI14__hip_bfloat16S1_Li120ELi8ELi128ELNS_18Fp8KVCacheDataTypeE0ELb0EEEvPT_PKS3_PKT0_S9_ifPKiSB_iPKfiiiSD_SD_iiiii.has_dyn_sized_stack, 0
	.set _ZN4vllm25paged_attention_v1_kernelI14__hip_bfloat16S1_Li120ELi8ELi128ELNS_18Fp8KVCacheDataTypeE0ELb0EEEvPT_PKS3_PKT0_S9_ifPKiSB_iPKfiiiSD_SD_iiiii.has_recursion, 0
	.set _ZN4vllm25paged_attention_v1_kernelI14__hip_bfloat16S1_Li120ELi8ELi128ELNS_18Fp8KVCacheDataTypeE0ELb0EEEvPT_PKS3_PKT0_S9_ifPKiSB_iPKfiiiSD_SD_iiiii.has_indirect_call, 0
	.section	.AMDGPU.csdata,"",@progbits
; Kernel info:
; codeLenInByte = 4676
; TotalNumSgprs: 40
; NumVgprs: 49
; ScratchSize: 0
; MemoryBound: 0
; FloatMode: 240
; IeeeMode: 1
; LDSByteSize: 256 bytes/workgroup (compile time only)
; SGPRBlocks: 4
; VGPRBlocks: 12
; NumSGPRsForWavesPerEU: 40
; NumVGPRsForWavesPerEU: 49
; Occupancy: 4
; WaveLimiterHint : 1
; COMPUTE_PGM_RSRC2:SCRATCH_EN: 0
; COMPUTE_PGM_RSRC2:USER_SGPR: 6
; COMPUTE_PGM_RSRC2:TRAP_HANDLER: 0
; COMPUTE_PGM_RSRC2:TGID_X_EN: 1
; COMPUTE_PGM_RSRC2:TGID_Y_EN: 1
; COMPUTE_PGM_RSRC2:TGID_Z_EN: 1
; COMPUTE_PGM_RSRC2:TIDIG_COMP_CNT: 0
	.section	.text._ZN4vllm25paged_attention_v1_kernelI14__hip_bfloat16S1_Li128ELi8ELi128ELNS_18Fp8KVCacheDataTypeE0ELb0EEEvPT_PKS3_PKT0_S9_ifPKiSB_iPKfiiiSD_SD_iiiii,"axG",@progbits,_ZN4vllm25paged_attention_v1_kernelI14__hip_bfloat16S1_Li128ELi8ELi128ELNS_18Fp8KVCacheDataTypeE0ELb0EEEvPT_PKS3_PKT0_S9_ifPKiSB_iPKfiiiSD_SD_iiiii,comdat
	.protected	_ZN4vllm25paged_attention_v1_kernelI14__hip_bfloat16S1_Li128ELi8ELi128ELNS_18Fp8KVCacheDataTypeE0ELb0EEEvPT_PKS3_PKT0_S9_ifPKiSB_iPKfiiiSD_SD_iiiii ; -- Begin function _ZN4vllm25paged_attention_v1_kernelI14__hip_bfloat16S1_Li128ELi8ELi128ELNS_18Fp8KVCacheDataTypeE0ELb0EEEvPT_PKS3_PKT0_S9_ifPKiSB_iPKfiiiSD_SD_iiiii
	.globl	_ZN4vllm25paged_attention_v1_kernelI14__hip_bfloat16S1_Li128ELi8ELi128ELNS_18Fp8KVCacheDataTypeE0ELb0EEEvPT_PKS3_PKT0_S9_ifPKiSB_iPKfiiiSD_SD_iiiii
	.p2align	8
	.type	_ZN4vllm25paged_attention_v1_kernelI14__hip_bfloat16S1_Li128ELi8ELi128ELNS_18Fp8KVCacheDataTypeE0ELb0EEEvPT_PKS3_PKT0_S9_ifPKiSB_iPKfiiiSD_SD_iiiii,@function
_ZN4vllm25paged_attention_v1_kernelI14__hip_bfloat16S1_Li128ELi8ELi128ELNS_18Fp8KVCacheDataTypeE0ELb0EEEvPT_PKS3_PKT0_S9_ifPKiSB_iPKfiiiSD_SD_iiiii: ; @_ZN4vllm25paged_attention_v1_kernelI14__hip_bfloat16S1_Li128ELi8ELi128ELNS_18Fp8KVCacheDataTypeE0ELb0EEEvPT_PKS3_PKT0_S9_ifPKiSB_iPKfiiiSD_SD_iiiii
; %bb.0:
	s_load_dword s9, s[4:5], 0x80
	s_load_dwordx2 s[0:1], s[4:5], 0x30
	s_load_dwordx2 s[26:27], s[4:5], 0x20
	s_mov_b32 s10, s7
	s_ashr_i32 s11, s7, 31
	s_lshl_b64 s[2:3], s[10:11], 2
	s_waitcnt lgkmcnt(0)
	s_add_u32 s0, s0, s2
	s_addc_u32 s1, s1, s3
	s_abs_i32 s2, s26
	v_cvt_f32_u32_e32 v1, s2
	s_sub_i32 s11, 0, s2
	s_abs_i32 s7, s9
	s_xor_b32 s3, s9, s26
	v_rcp_iflag_f32_e32 v1, v1
	s_ashr_i32 s3, s3, 31
	s_mov_b32 s26, 0
	v_mul_f32_e32 v1, 0x4f7ffffe, v1
	v_cvt_u32_f32_e32 v1, v1
	v_readfirstlane_b32 s12, v1
	s_mul_i32 s11, s11, s12
	s_mul_hi_u32 s11, s12, s11
	s_add_i32 s12, s12, s11
	s_mul_hi_u32 s11, s7, s12
	s_mul_i32 s12, s11, s2
	s_sub_i32 s7, s7, s12
	s_add_i32 s12, s11, 1
	s_sub_i32 s13, s7, s2
	s_cmp_ge_u32 s7, s2
	s_cselect_b32 s11, s12, s11
	s_cselect_b32 s7, s13, s7
	s_add_i32 s12, s11, 1
	s_cmp_ge_u32 s7, s2
	s_cselect_b32 s2, s12, s11
	s_xor_b32 s2, s2, s3
	s_sub_i32 s12, s2, s3
	s_abs_i32 s18, s12
	v_cvt_f32_u32_e32 v1, s18
	s_load_dwordx2 s[2:3], s[4:5], 0x40
	s_sub_i32 s7, 0, s18
	s_abs_i32 s19, s6
	v_rcp_iflag_f32_e32 v1, v1
	v_mul_f32_e32 v1, 0x4f7ffffe, v1
	v_cvt_u32_f32_e32 v1, v1
	v_readfirstlane_b32 s11, v1
	s_mul_i32 s7, s7, s11
	s_mul_hi_u32 s7, s11, s7
	s_add_i32 s11, s11, s7
	s_waitcnt lgkmcnt(0)
	s_cmp_eq_u64 s[2:3], 0
	s_mul_hi_u32 s22, s19, s11
	s_cbranch_scc1 .LBB123_2
; %bb.1:
	s_ashr_i32 s7, s6, 31
	s_lshl_b64 s[14:15], s[6:7], 2
	s_add_u32 s2, s2, s14
	s_addc_u32 s3, s3, s15
	s_load_dword s26, s[2:3], 0x0
.LBB123_2:
	s_load_dword s11, s[0:1], 0x0
	s_ashr_i32 s3, s12, 31
	s_load_dwordx4 s[12:15], s[4:5], 0x48
	s_movk_i32 s0, 0x80
	s_ashr_i32 s2, s6, 31
	v_and_b32_e32 v1, 7, v0
	s_lshl_b32 s16, s6, 7
	v_cmp_gt_u32_e32 vcc, s0, v0
	v_lshlrev_b32_e32 v19, 1, v0
	s_and_saveexec_b64 s[0:1], vcc
	s_cbranch_execz .LBB123_4
; %bb.3:
	s_load_dwordx2 s[6:7], s[4:5], 0x8
	s_waitcnt lgkmcnt(0)
	s_mul_i32 s20, s12, s10
	s_ashr_i32 s21, s20, 31
	s_lshl_b64 s[20:21], s[20:21], 1
	v_lshrrev_b32_e32 v3, 2, v0
	s_add_u32 s12, s6, s20
	s_addc_u32 s15, s7, s21
	s_ashr_i32 s17, s16, 31
	s_lshl_b64 s[6:7], s[16:17], 1
	s_add_u32 s6, s12, s6
	s_addc_u32 s7, s15, s7
	global_load_ushort v2, v19, s[6:7]
	v_and_b32_e32 v3, 0xfe, v3
	v_lshl_add_u32 v3, v1, 5, v3
	s_waitcnt vmcnt(0)
	ds_write_b16 v3, v2
.LBB123_4:
	s_or_b64 exec, exec, s[0:1]
	s_waitcnt lgkmcnt(0)
	s_add_i32 s1, s11, 7
	s_ashr_i32 s6, s1, 31
	s_lshr_b32 s6, s6, 29
	s_add_i32 s1, s1, s6
	s_ashr_i32 s33, s1, 3
	s_xor_b32 s1, s2, s3
	s_mul_i32 s2, s22, s18
	s_sub_i32 s2, s19, s2
	s_add_i32 s3, s22, 1
	s_sub_i32 s6, s2, s18
	s_load_dwordx2 s[20:21], s[4:5], 0x28
	s_load_dword s0, s[4:5], 0x38
	s_cmp_ge_u32 s2, s18
	s_cselect_b32 s3, s3, s22
	s_cselect_b32 s2, s6, s2
	s_add_i32 s6, s3, 1
	s_cmp_ge_u32 s2, s18
	s_cselect_b32 s2, s6, s3
	v_lshrrev_b32_e32 v20, 6, v0
	s_xor_b32 s2, s2, s1
	s_waitcnt lgkmcnt(0)
	s_mul_i32 s22, s0, s10
	s_sub_i32 s12, s2, s1
	s_ashr_i32 s23, s22, 31
	v_cmp_gt_i32_e64 s[0:1], s33, v20
	v_cmp_le_i32_e32 vcc, s33, v20
	v_mbcnt_lo_u32_b32 v28, -1, 0
	s_barrier
                                        ; implicit-def: $vgpr4
                                        ; implicit-def: $vgpr6
                                        ; implicit-def: $vgpr5
	s_and_saveexec_b64 s[2:3], vcc
	s_xor_b64 s[2:3], exec, s[2:3]
; %bb.5:
	v_mbcnt_hi_u32_b32 v4, -1, v28
	v_and_b32_e32 v6, 64, v4
	v_add_u32_e32 v5, 64, v6
                                        ; implicit-def: $vgpr1
                                        ; implicit-def: $vgpr28
; %bb.6:
	s_or_saveexec_b64 s[6:7], s[2:3]
	s_load_dwordx2 s[18:19], s[4:5], 0x0
	s_load_dwordx2 s[24:25], s[4:5], 0x18
	s_load_dword s17, s[4:5], 0x88
	v_mov_b32_e32 v25, 0xff7fffff
	s_mul_i32 s14, s12, s14
	v_lshrrev_b32_e32 v3, 4, v0
	s_xor_b64 exec, exec, s[6:7]
	s_cbranch_execz .LBB123_12
; %bb.7:
	s_load_dwordx2 s[2:3], s[4:5], 0x10
	s_ashr_i32 s15, s14, 31
	s_lshl_b64 s[4:5], s[14:15], 1
	v_lshlrev_b32_e32 v2, 5, v1
	v_bfe_u32 v25, v0, 3, 3
	s_waitcnt lgkmcnt(0)
	s_add_u32 s2, s2, s4
	ds_read_b128 v[11:14], v2
	ds_read_b128 v[21:24], v2 offset:16
	s_addc_u32 s3, s3, s5
	v_lshlrev_b32_e32 v2, 4, v25
	v_mov_b32_e32 v4, s3
	v_add_co_u32_e32 v5, vcc, s2, v2
	s_sub_i32 s12, 1, s11
	s_lshl_b64 s[2:3], s[22:23], 2
	v_addc_co_u32_e32 v4, vcc, 0, v4, vcc
	s_add_u32 s2, s20, s2
	v_lshlrev_b32_e32 v6, 1, v1
	v_cmp_eq_u32_e32 vcc, 0, v1
	s_addc_u32 s3, s21, s3
	v_and_b32_e32 v1, 60, v3
	v_mov_b32_e32 v2, s3
	v_add_co_u32_e64 v1, s[2:3], s2, v1
	v_addc_co_u32_e64 v2, s[2:3], 0, v2, s[2:3]
	v_add_co_u32_e64 v26, s[2:3], v5, v6
	v_addc_co_u32_e64 v27, s[2:3], 0, v4, s[2:3]
	v_mbcnt_hi_u32_b32 v4, -1, v28
	v_and_b32_e32 v6, 64, v4
	v_add_u32_e32 v5, 64, v6
	v_xor_b32_e32 v28, 4, v4
	v_cmp_lt_i32_e64 s[2:3], v28, v5
	v_xor_b32_e32 v29, 2, v4
	v_cndmask_b32_e64 v28, v4, v28, s[2:3]
	v_cmp_lt_i32_e64 s[2:3], v29, v5
	v_xor_b32_e32 v30, 1, v4
	v_cndmask_b32_e64 v29, v4, v29, s[2:3]
	v_cmp_lt_i32_e64 s[2:3], v30, v5
	v_lshl_or_b32 v31, v20, 3, v25
	v_lshlrev_b32_e32 v25, 2, v25
	v_cndmask_b32_e64 v30, v4, v30, s[2:3]
	v_lshl_or_b32 v25, v20, 5, v25
	s_waitcnt lgkmcnt(1)
	v_lshlrev_b32_e32 v7, 16, v11
	v_and_b32_e32 v8, 0xffff0000, v11
	v_lshlrev_b32_e32 v9, 16, v12
	v_and_b32_e32 v10, 0xffff0000, v12
	;; [unrolled: 2-line block ×4, first 2 shown]
	s_waitcnt lgkmcnt(0)
	v_lshlrev_b32_e32 v15, 16, v21
	v_and_b32_e32 v16, 0xffff0000, v21
	v_lshlrev_b32_e32 v17, 16, v22
	v_and_b32_e32 v18, 0xffff0000, v22
	;; [unrolled: 2-line block ×4, first 2 shown]
	s_mov_b32 s15, s13
	v_lshlrev_b32_e32 v28, 2, v28
	v_lshlrev_b32_e32 v29, 2, v29
	;; [unrolled: 1-line block ×3, first 2 shown]
	v_cmp_neq_f32_e64 s[2:3], s26, 0
	v_add_u32_e32 v32, 0x110, v25
	s_mov_b64 s[28:29], 0
	v_mov_b32_e32 v25, 0xff7fffff
	v_mov_b32_e32 v33, v20
	s_branch .LBB123_9
.LBB123_8:                              ;   in Loop: Header=BB123_9 Depth=1
	s_or_b64 exec, exec, s[30:31]
	v_add_u32_e32 v33, 2, v33
	v_cmp_le_i32_e64 s[4:5], s33, v33
	s_or_b64 s[28:29], s[4:5], s[28:29]
	v_add_co_u32_e64 v1, s[4:5], 8, v1
	v_add_u32_e32 v31, 16, v31
	v_add_u32_e32 v32, 64, v32
	v_addc_co_u32_e64 v2, s[4:5], 0, v2, s[4:5]
	s_andn2_b64 exec, exec, s[28:29]
	s_cbranch_execz .LBB123_11
.LBB123_9:                              ; =>This Inner Loop Header: Depth=1
	global_load_dword v34, v[1:2], off
	s_waitcnt vmcnt(0) lgkmcnt(0)
	v_mad_i64_i32 v[34:35], s[4:5], v34, s15, 0
	v_lshlrev_b64 v[34:35], 1, v[34:35]
	v_add_co_u32_e64 v34, s[4:5], v26, v34
	v_addc_co_u32_e64 v35, s[4:5], v27, v35, s[4:5]
	global_load_ushort v36, v[34:35], off
	global_load_ushort v37, v[34:35], off offset:128
	global_load_ushort v38, v[34:35], off offset:256
	;; [unrolled: 1-line block ×14, first 2 shown]
	s_nop 0
	global_load_ushort v34, v[34:35], off offset:1920
	s_waitcnt vmcnt(15)
	v_lshlrev_b32_e32 v35, 16, v36
	s_waitcnt vmcnt(14)
	v_lshlrev_b32_e32 v36, 16, v37
	v_mul_f32_e32 v36, v8, v36
	s_waitcnt vmcnt(13)
	v_lshlrev_b32_e32 v37, 16, v38
	v_fmac_f32_e32 v36, v7, v35
	s_waitcnt vmcnt(12)
	v_lshlrev_b32_e32 v38, 16, v39
	v_fmac_f32_e32 v36, v9, v37
	;; [unrolled: 3-line block ×13, first 2 shown]
	v_fmac_f32_e32 v36, v23, v49
	s_waitcnt vmcnt(0)
	v_lshlrev_b32_e32 v34, 16, v34
	v_fmac_f32_e32 v36, v24, v34
	ds_bpermute_b32 v34, v28, v36
	s_waitcnt lgkmcnt(0)
	v_add_f32_e32 v34, v36, v34
	ds_bpermute_b32 v35, v29, v34
	s_waitcnt lgkmcnt(0)
	v_add_f32_e32 v34, v34, v35
	ds_bpermute_b32 v35, v30, v34
	s_and_saveexec_b64 s[30:31], vcc
	s_cbranch_execz .LBB123_8
; %bb.10:                               ;   in Loop: Header=BB123_9 Depth=1
	v_add_u32_e32 v36, s12, v31
	v_cvt_f32_i32_e32 v36, v36
	s_waitcnt lgkmcnt(0)
	v_add_f32_e32 v34, v34, v35
	v_cmp_gt_i32_e64 s[4:5], s11, v31
	v_max_f32_e32 v35, v25, v25
	v_mul_f32_e32 v36, s26, v36
	v_cndmask_b32_e64 v36, 0, v36, s[2:3]
	v_fmac_f32_e32 v36, s27, v34
	v_cndmask_b32_e64 v34, 0, v36, s[4:5]
	ds_write_b32 v32, v34
	v_max_f32_e32 v34, v35, v36
	v_cndmask_b32_e64 v25, v25, v34, s[4:5]
	s_branch .LBB123_8
.LBB123_11:
	s_or_b64 exec, exec, s[28:29]
.LBB123_12:
	s_or_b64 exec, exec, s[6:7]
	v_xor_b32_e32 v1, 32, v4
	v_cmp_lt_i32_e32 vcc, v1, v5
	v_cndmask_b32_e32 v1, v4, v1, vcc
	v_lshlrev_b32_e32 v2, 2, v1
	ds_bpermute_b32 v1, v2, v25
	v_xor_b32_e32 v8, 16, v4
	v_max_f32_e32 v7, v25, v25
	v_cmp_lt_i32_e32 vcc, v8, v5
	v_xor_b32_e32 v9, 8, v4
	s_waitcnt lgkmcnt(0)
	v_max_f32_e32 v1, v1, v1
	v_max_f32_e32 v1, v7, v1
	v_cndmask_b32_e32 v7, v4, v8, vcc
	v_lshlrev_b32_e32 v8, 2, v7
	ds_bpermute_b32 v7, v8, v1
	v_cmp_lt_i32_e32 vcc, v9, v5
	v_and_b32_e32 v21, 63, v0
	s_waitcnt lgkmcnt(0)
	v_max_f32_e32 v7, v7, v7
	v_max_f32_e32 v7, v1, v7
	v_cndmask_b32_e32 v1, v4, v9, vcc
	v_lshlrev_b32_e32 v10, 2, v1
	ds_bpermute_b32 v9, v10, v7
	v_cmp_eq_u32_e32 vcc, 0, v21
	v_lshlrev_b32_e32 v1, 2, v20
	s_and_saveexec_b64 s[2:3], vcc
	s_cbranch_execz .LBB123_14
; %bb.13:
	s_waitcnt lgkmcnt(0)
	v_max_f32_e32 v9, v9, v9
	v_max_f32_e32 v7, v7, v7
	;; [unrolled: 1-line block ×3, first 2 shown]
	ds_write_b32 v1, v7 offset:256
.LBB123_14:
	s_or_b64 exec, exec, s[2:3]
	v_cmp_gt_u32_e64 s[2:3], 2, v21
	v_mov_b32_e32 v11, 0xff7fffff
	v_lshlrev_b32_e32 v7, 2, v21
	s_waitcnt lgkmcnt(0)
	s_barrier
	s_and_saveexec_b64 s[4:5], s[2:3]
; %bb.15:
	ds_read_b32 v11, v7 offset:256
; %bb.16:
	s_or_b64 exec, exec, s[4:5]
	v_xor_b32_e32 v9, 1, v4
	v_cmp_lt_i32_e64 s[4:5], v9, v5
	v_cndmask_b32_e64 v9, v4, v9, s[4:5]
	v_lshlrev_b32_e32 v9, 2, v9
	s_waitcnt lgkmcnt(0)
	ds_bpermute_b32 v12, v9, v11
	v_max_f32_e32 v11, v11, v11
	v_lshlrev_b32_e32 v6, 2, v6
	s_lshl_b32 s4, s33, 3
	s_min_i32 s12, s4, s11
	s_waitcnt lgkmcnt(0)
	v_max_f32_e32 v12, v12, v12
	v_max_f32_e32 v11, v11, v12
	ds_bpermute_b32 v11, v6, v11
	v_cmp_gt_i32_e64 s[4:5], s12, v0
	v_mov_b32_e32 v6, 0
	s_and_saveexec_b64 s[26:27], s[4:5]
	s_cbranch_execz .LBB123_20
; %bb.17:
	v_mov_b32_e32 v6, 0x110
	v_lshl_add_u32 v12, v0, 2, v6
	v_mov_b32_e32 v6, 0
	s_mov_b64 s[28:29], 0
	v_mov_b32_e32 v13, v0
.LBB123_18:                             ; =>This Inner Loop Header: Depth=1
	ds_read_b32 v14, v12
	v_add_u32_e32 v13, 0x80, v13
	v_cmp_le_i32_e64 s[6:7], s12, v13
	s_or_b64 s[28:29], s[6:7], s[28:29]
	s_waitcnt lgkmcnt(0)
	v_sub_f32_e32 v14, v14, v11
	v_mul_f32_e32 v14, 0x3fb8aa3b, v14
	v_exp_f32_e32 v14, v14
	ds_write_b32 v12, v14
	v_add_f32_e32 v6, v6, v14
	v_add_u32_e32 v12, 0x200, v12
	s_andn2_b64 exec, exec, s[28:29]
	s_cbranch_execnz .LBB123_18
; %bb.19:
	s_or_b64 exec, exec, s[28:29]
.LBB123_20:
	s_or_b64 exec, exec, s[26:27]
	ds_bpermute_b32 v2, v2, v6
	s_waitcnt lgkmcnt(0)
	v_add_f32_e32 v2, v6, v2
	ds_bpermute_b32 v6, v8, v2
	v_xor_b32_e32 v8, 4, v4
	v_cmp_lt_i32_e64 s[6:7], v8, v5
	v_cndmask_b32_e64 v8, v4, v8, s[6:7]
	v_lshlrev_b32_e32 v8, 2, v8
	s_waitcnt lgkmcnt(0)
	v_add_f32_e32 v2, v2, v6
	ds_bpermute_b32 v6, v10, v2
	s_waitcnt lgkmcnt(0)
	v_add_f32_e32 v2, v2, v6
	ds_bpermute_b32 v6, v8, v2
	v_xor_b32_e32 v8, 2, v4
	v_cmp_lt_i32_e64 s[6:7], v8, v5
	v_cndmask_b32_e64 v5, v4, v8, s[6:7]
	v_lshlrev_b32_e32 v5, 2, v5
	s_waitcnt lgkmcnt(0)
	v_add_f32_e32 v2, v2, v6
	ds_bpermute_b32 v5, v5, v2
	s_waitcnt lgkmcnt(0)
	v_add_f32_e32 v2, v2, v5
	ds_bpermute_b32 v5, v9, v2
	s_waitcnt lgkmcnt(0)
	v_add_f32_e32 v2, v2, v5
	s_and_saveexec_b64 s[6:7], vcc
; %bb.21:
	ds_write_b32 v1, v2 offset:264
; %bb.22:
	s_or_b64 exec, exec, s[6:7]
	s_waitcnt lgkmcnt(0)
	s_barrier
	s_and_saveexec_b64 s[6:7], s[2:3]
; %bb.23:
	ds_read_b32 v2, v7 offset:264
; %bb.24:
	s_or_b64 exec, exec, s[6:7]
	s_waitcnt lgkmcnt(0)
	ds_bpermute_b32 v1, v9, v2
	v_lshlrev_b32_e32 v4, 2, v4
	s_waitcnt lgkmcnt(0)
	v_add_f32_e32 v1, v2, v1
	v_and_b32_e32 v2, 0xffffff00, v4
	ds_bpermute_b32 v1, v2, v1
	s_and_saveexec_b64 s[2:3], s[4:5]
	s_cbranch_execz .LBB123_27
; %bb.25:
	s_waitcnt lgkmcnt(0)
	v_add_f32_e32 v2, 0x358637bd, v1
	v_div_scale_f32 v1, s[4:5], v2, v2, 1.0
	v_div_scale_f32 v4, vcc, 1.0, v2, 1.0
	s_mov_b64 s[4:5], 0
	v_rcp_f32_e32 v5, v1
	v_fma_f32 v6, -v1, v5, 1.0
	v_fmac_f32_e32 v5, v6, v5
	v_mul_f32_e32 v6, v4, v5
	v_fma_f32 v7, -v1, v6, v4
	v_fmac_f32_e32 v6, v7, v5
	v_fma_f32 v1, -v1, v6, v4
	v_div_fmas_f32 v4, v1, v5, v6
	v_mov_b32_e32 v1, 0x110
	v_lshl_add_u32 v1, v0, 2, v1
	v_div_fixup_f32 v2, v4, v2, 1.0
	v_mov_b32_e32 v4, v0
.LBB123_26:                             ; =>This Inner Loop Header: Depth=1
	ds_read_b32 v5, v1
	v_add_u32_e32 v4, 0x80, v4
	v_cmp_le_i32_e32 vcc, s12, v4
	s_or_b64 s[4:5], vcc, s[4:5]
	s_waitcnt lgkmcnt(0)
	v_mul_f32_e32 v5, v2, v5
	ds_write_b32 v1, v5
	v_add_u32_e32 v1, 0x200, v1
	s_andn2_b64 exec, exec, s[4:5]
	s_cbranch_execnz .LBB123_26
.LBB123_27:
	s_or_b64 exec, exec, s[2:3]
	v_mov_b32_e32 v22, 0
	v_mov_b32_e32 v23, 0
	s_waitcnt lgkmcnt(0)
	s_barrier
	s_and_saveexec_b64 s[4:5], s[0:1]
	s_cbranch_execz .LBB123_35
; %bb.28:
	s_ashr_i32 s15, s14, 31
	s_lshl_b64 s[0:1], s[14:15], 1
	s_add_u32 s0, s24, s0
	s_addc_u32 s1, s25, s1
	v_lshlrev_b32_e32 v1, 4, v21
	s_add_i32 s14, s33, -1
	v_mov_b32_e32 v2, s1
	v_add_co_u32_e32 v25, vcc, s0, v1
	s_lshl_b64 s[0:1], s[22:23], 2
	v_mov_b32_e32 v1, 0x110
	s_add_u32 s0, s20, s0
	v_addc_co_u32_e32 v26, vcc, 0, v2, vcc
	v_lshl_add_u32 v28, v20, 5, v1
	v_and_b32_e32 v1, 60, v3
	s_addc_u32 s1, s21, s1
	v_mov_b32_e32 v2, s1
	v_add_co_u32_e32 v17, vcc, s0, v1
	s_mov_b32 s26, s13
	v_mov_b32_e32 v24, 0
	s_mov_b32 s15, s11
	v_lshlrev_b32_e32 v27, 3, v20
	v_addc_co_u32_e32 v18, vcc, 0, v2, vcc
	s_mov_b64 s[6:7], 0
	s_mov_b32 s20, 0x5040100
	s_movk_i32 s21, 0x7fff
	v_mov_b32_e32 v23, 0
	v_mov_b32_e32 v22, 0
	s_branch .LBB123_30
.LBB123_29:                             ;   in Loop: Header=BB123_30 Depth=1
	s_or_b64 exec, exec, s[2:3]
	s_waitcnt lgkmcnt(1)
	v_bfe_u32 v29, v13, 16, 1
	v_add3_u32 v29, v29, v13, s21
	v_or_b32_e32 v30, 0x400000, v13
	v_cmp_u_f32_e32 vcc, v13, v13
	v_cndmask_b32_e32 v13, v29, v30, vcc
	v_bfe_u32 v29, v14, 16, 1
	v_add3_u32 v29, v29, v14, s21
	v_or_b32_e32 v30, 0x400000, v14
	v_cmp_u_f32_e32 vcc, v14, v14
	v_cndmask_b32_e32 v14, v29, v30, vcc
	;; [unrolled: 5-line block ×4, first 2 shown]
	s_waitcnt lgkmcnt(0)
	v_bfe_u32 v29, v9, 16, 1
	v_add3_u32 v29, v29, v9, s21
	v_or_b32_e32 v30, 0x400000, v9
	v_cmp_u_f32_e32 vcc, v9, v9
	v_cndmask_b32_e32 v9, v29, v30, vcc
	v_bfe_u32 v29, v10, 16, 1
	v_add3_u32 v29, v29, v10, s21
	v_or_b32_e32 v30, 0x400000, v10
	v_cmp_u_f32_e32 vcc, v10, v10
	v_cndmask_b32_e32 v10, v29, v30, vcc
	;; [unrolled: 5-line block ×4, first 2 shown]
	v_and_b32_e32 v13, 0xffff0000, v13
	s_waitcnt vmcnt(1)
	v_lshlrev_b32_e32 v29, 16, v5
	v_mul_f32_e32 v29, v13, v29
	v_bfe_u32 v30, v29, 16, 1
	v_and_b32_e32 v14, 0xffff0000, v14
	v_and_b32_e32 v5, 0xffff0000, v5
	v_add3_u32 v30, v30, v29, s21
	v_or_b32_e32 v31, 0x400000, v29
	v_cmp_u_f32_e32 vcc, v29, v29
	v_mul_f32_e32 v5, v14, v5
	v_cndmask_b32_e32 v29, v30, v31, vcc
	v_bfe_u32 v30, v5, 16, 1
	v_add3_u32 v30, v30, v5, s21
	v_or_b32_e32 v31, 0x400000, v5
	v_cmp_u_f32_e32 vcc, v5, v5
	v_cndmask_b32_e32 v5, v30, v31, vcc
	v_and_b32_e32 v15, 0xffff0000, v15
	v_lshlrev_b32_e32 v30, 16, v6
	v_mul_f32_e32 v30, v15, v30
	v_bfe_u32 v31, v30, 16, 1
	v_and_b32_e32 v16, 0xffff0000, v16
	v_and_b32_e32 v6, 0xffff0000, v6
	v_add3_u32 v31, v31, v30, s21
	v_or_b32_e32 v32, 0x400000, v30
	v_cmp_u_f32_e32 vcc, v30, v30
	v_mul_f32_e32 v6, v16, v6
	v_cndmask_b32_e32 v30, v31, v32, vcc
	v_bfe_u32 v31, v6, 16, 1
	v_add3_u32 v31, v31, v6, s21
	v_or_b32_e32 v32, 0x400000, v6
	v_cmp_u_f32_e32 vcc, v6, v6
	v_cndmask_b32_e32 v6, v31, v32, vcc
	v_and_b32_e32 v9, 0xffff0000, v9
	;; [unrolled: 16-line block ×3, first 2 shown]
	v_lshlrev_b32_e32 v32, 16, v8
	v_mul_f32_e32 v32, v11, v32
	v_bfe_u32 v33, v32, 16, 1
	v_and_b32_e32 v12, 0xffff0000, v12
	v_and_b32_e32 v8, 0xffff0000, v8
	;; [unrolled: 1-line block ×4, first 2 shown]
	v_add3_u32 v33, v33, v32, s21
	v_or_b32_e32 v34, 0x400000, v32
	v_cmp_u_f32_e32 vcc, v32, v32
	v_mul_f32_e32 v8, v12, v8
	v_add_f32_e32 v5, v29, v5
	v_and_b32_e32 v6, 0xffff0000, v6
	v_and_b32_e32 v29, 0xffff0000, v30
	v_cndmask_b32_e32 v32, v33, v34, vcc
	v_bfe_u32 v33, v8, 16, 1
	v_add_f32_e32 v6, v29, v6
	v_add3_u32 v33, v33, v8, s21
	v_or_b32_e32 v34, 0x400000, v8
	v_cmp_u_f32_e32 vcc, v8, v8
	v_add_f32_e32 v5, v6, v5
	v_and_b32_e32 v6, 0xffff0000, v7
	v_and_b32_e32 v7, 0xffff0000, v31
	v_cndmask_b32_e32 v8, v33, v34, vcc
	v_add_f32_e32 v6, v7, v6
	v_add_f32_e32 v5, v6, v5
	v_and_b32_e32 v6, 0xffff0000, v8
	v_and_b32_e32 v7, 0xffff0000, v32
	v_add_f32_e32 v6, v7, v6
	v_add_f32_e32 v5, v6, v5
	;; [unrolled: 1-line block ×3, first 2 shown]
	s_waitcnt vmcnt(0)
	v_lshlrev_b32_e32 v5, 16, v1
	v_mul_f32_e32 v5, v13, v5
	v_bfe_u32 v6, v5, 16, 1
	v_and_b32_e32 v1, 0xffff0000, v1
	v_add3_u32 v6, v6, v5, s21
	v_or_b32_e32 v7, 0x400000, v5
	v_cmp_u_f32_e32 vcc, v5, v5
	v_mul_f32_e32 v1, v14, v1
	v_cndmask_b32_e32 v5, v6, v7, vcc
	v_bfe_u32 v6, v1, 16, 1
	v_add3_u32 v6, v6, v1, s21
	v_or_b32_e32 v7, 0x400000, v1
	v_cmp_u_f32_e32 vcc, v1, v1
	v_cndmask_b32_e32 v1, v6, v7, vcc
	v_lshlrev_b32_e32 v6, 16, v2
	v_mul_f32_e32 v6, v15, v6
	v_bfe_u32 v7, v6, 16, 1
	v_and_b32_e32 v2, 0xffff0000, v2
	v_add3_u32 v7, v7, v6, s21
	v_or_b32_e32 v8, 0x400000, v6
	v_cmp_u_f32_e32 vcc, v6, v6
	v_mul_f32_e32 v2, v16, v2
	v_cndmask_b32_e32 v6, v7, v8, vcc
	v_bfe_u32 v7, v2, 16, 1
	v_add3_u32 v7, v7, v2, s21
	v_or_b32_e32 v8, 0x400000, v2
	v_cmp_u_f32_e32 vcc, v2, v2
	v_cndmask_b32_e32 v2, v7, v8, vcc
	;; [unrolled: 14-line block ×3, first 2 shown]
	v_lshlrev_b32_e32 v8, 16, v4
	v_mul_f32_e32 v8, v11, v8
	v_bfe_u32 v9, v8, 16, 1
	v_and_b32_e32 v4, 0xffff0000, v4
	v_and_b32_e32 v1, 0xffff0000, v1
	;; [unrolled: 1-line block ×3, first 2 shown]
	v_add3_u32 v9, v9, v8, s21
	v_or_b32_e32 v10, 0x400000, v8
	v_cmp_u_f32_e32 vcc, v8, v8
	v_mul_f32_e32 v4, v12, v4
	v_add_f32_e32 v1, v5, v1
	v_and_b32_e32 v2, 0xffff0000, v2
	v_and_b32_e32 v5, 0xffff0000, v6
	v_cndmask_b32_e32 v8, v9, v10, vcc
	v_bfe_u32 v9, v4, 16, 1
	v_add_f32_e32 v2, v5, v2
	v_add3_u32 v9, v9, v4, s21
	v_or_b32_e32 v10, 0x400000, v4
	v_cmp_u_f32_e32 vcc, v4, v4
	v_add_f32_e32 v1, v2, v1
	v_and_b32_e32 v2, 0xffff0000, v3
	v_and_b32_e32 v3, 0xffff0000, v7
	v_cndmask_b32_e32 v4, v9, v10, vcc
	v_add_f32_e32 v2, v3, v2
	v_add_f32_e32 v1, v2, v1
	v_and_b32_e32 v2, 0xffff0000, v4
	v_and_b32_e32 v3, 0xffff0000, v8
	v_add_u32_e32 v20, 2, v20
	v_add_f32_e32 v2, v3, v2
	v_cmp_le_i32_e32 vcc, s33, v20
	v_add_f32_e32 v1, v2, v1
	s_or_b64 s[6:7], vcc, s[6:7]
	v_add_co_u32_e32 v17, vcc, 8, v17
	v_add_f32_e32 v22, v22, v1
	v_add_u32_e32 v27, 16, v27
	v_add_u32_e32 v28, 64, v28
	v_addc_co_u32_e32 v18, vcc, 0, v18, vcc
	s_andn2_b64 exec, exec, s[6:7]
	s_cbranch_execz .LBB123_34
.LBB123_30:                             ; =>This Inner Loop Header: Depth=1
	global_load_dword v1, v[17:18], off
	v_add_u32_e32 v35, 1, v27
	v_or_b32_e32 v33, 3, v27
	v_or_b32_e32 v34, 2, v27
	;; [unrolled: 1-line block ×6, first 2 shown]
	s_waitcnt vmcnt(0)
	v_mad_i64_i32 v[1:2], s[0:1], v1, s26, 0
	v_cmp_eq_u32_e64 s[0:1], s14, v20
	v_lshlrev_b64 v[1:2], 1, v[1:2]
	v_add_co_u32_e32 v1, vcc, v25, v1
	v_addc_co_u32_e32 v2, vcc, v26, v2, vcc
	global_load_dwordx4 v[5:8], v[1:2], off
	ds_read2_b64 v[13:16], v28 offset1:1
	ds_read2_b64 v[9:12], v28 offset0:2 offset1:3
	s_and_saveexec_b64 s[12:13], s[0:1]
	s_cbranch_execz .LBB123_32
; %bb.31:                               ;   in Loop: Header=BB123_30 Depth=1
	v_cmp_gt_i32_e32 vcc, s15, v35
	s_waitcnt vmcnt(0)
	v_cndmask_b32_sdwa v3, v24, v5, vcc dst_sel:DWORD dst_unused:UNUSED_PAD src0_sel:DWORD src1_sel:WORD_1
	v_cmp_gt_i32_e32 vcc, s11, v27
	v_cndmask_b32_e32 v4, 0, v5, vcc
	v_cmp_gt_i32_e32 vcc, s15, v33
	v_cmp_gt_i32_e64 s[2:3], s11, v34
	v_perm_b32 v5, v3, v4, s20
	v_cndmask_b32_e64 v3, 0, v6, s[2:3]
	v_cndmask_b32_sdwa v4, v24, v6, vcc dst_sel:DWORD dst_unused:UNUSED_PAD src0_sel:DWORD src1_sel:WORD_1
	v_cmp_gt_i32_e32 vcc, s15, v31
	v_cmp_gt_i32_e64 s[2:3], s11, v32
	v_perm_b32 v6, v4, v3, s20
	v_cndmask_b32_e64 v3, 0, v7, s[2:3]
	v_cndmask_b32_sdwa v4, v24, v7, vcc dst_sel:DWORD dst_unused:UNUSED_PAD src0_sel:DWORD src1_sel:WORD_1
	;; [unrolled: 5-line block ×3, first 2 shown]
	v_perm_b32 v8, v4, v3, s20
.LBB123_32:                             ;   in Loop: Header=BB123_30 Depth=1
	s_or_b64 exec, exec, s[12:13]
	global_load_dwordx4 v[1:4], v[1:2], off offset:1024
	s_and_saveexec_b64 s[2:3], s[0:1]
	s_cbranch_execz .LBB123_29
; %bb.33:                               ;   in Loop: Header=BB123_30 Depth=1
	v_cmp_gt_i32_e32 vcc, s15, v35
	s_waitcnt vmcnt(0)
	v_cndmask_b32_sdwa v35, v24, v1, vcc dst_sel:DWORD dst_unused:UNUSED_PAD src0_sel:DWORD src1_sel:WORD_1
	v_cmp_gt_i32_e32 vcc, s11, v27
	v_cndmask_b32_e32 v1, 0, v1, vcc
	v_cmp_gt_i32_e32 vcc, s15, v33
	v_cmp_gt_i32_e64 s[0:1], s11, v34
	v_cndmask_b32_e64 v33, 0, v2, s[0:1]
	v_cndmask_b32_sdwa v2, v24, v2, vcc dst_sel:DWORD dst_unused:UNUSED_PAD src0_sel:DWORD src1_sel:WORD_1
	v_cmp_gt_i32_e32 vcc, s15, v31
	v_cmp_gt_i32_e64 s[0:1], s11, v32
	v_cndmask_b32_e64 v31, 0, v3, s[0:1]
	v_cndmask_b32_sdwa v3, v24, v3, vcc dst_sel:DWORD dst_unused:UNUSED_PAD src0_sel:DWORD src1_sel:WORD_1
	;; [unrolled: 4-line block ×3, first 2 shown]
	v_perm_b32 v1, v35, v1, s20
	v_perm_b32 v2, v2, v33, s20
	;; [unrolled: 1-line block ×4, first 2 shown]
	s_branch .LBB123_29
.LBB123_34:
	s_or_b64 exec, exec, s[6:7]
.LBB123_35:
	s_or_b64 exec, exec, s[4:5]
	v_and_b32_e32 v1, 0x3c0, v0
	v_cmp_eq_u32_e32 vcc, 64, v1
	s_barrier
	s_and_saveexec_b64 s[0:1], vcc
; %bb.36:
	v_mov_b32_e32 v1, 0x110
	v_lshl_add_u32 v1, v21, 2, v1
	ds_write2st64_b32 v1, v23, v22 offset1:1
; %bb.37:
	s_or_b64 exec, exec, s[0:1]
	v_cmp_gt_u32_e32 vcc, 64, v0
	s_waitcnt lgkmcnt(0)
	s_barrier
	s_and_saveexec_b64 s[0:1], vcc
	s_cbranch_execz .LBB123_39
; %bb.38:
	v_mov_b32_e32 v1, 0x110
	v_lshl_add_u32 v0, v0, 2, v1
	ds_read2st64_b32 v[0:1], v0 offset1:1
	s_waitcnt lgkmcnt(0)
	v_add_f32_e32 v23, v23, v0
	v_add_f32_e32 v22, v22, v1
.LBB123_39:
	s_or_b64 exec, exec, s[0:1]
	s_barrier
	s_and_saveexec_b64 s[0:1], vcc
	s_cbranch_execz .LBB123_41
; %bb.40:
	s_mul_i32 s0, s10, s17
	s_mul_i32 s0, s0, s9
	s_lshl_b32 s0, s0, 7
	s_ashr_i32 s1, s0, 31
	s_lshl_b64 s[0:1], s[0:1], 1
	s_add_u32 s2, s18, s0
	s_mul_i32 s0, s17, s16
	s_addc_u32 s3, s19, s1
	s_ashr_i32 s1, s0, 31
	s_lshl_b64 s[0:1], s[0:1], 1
	s_add_u32 s2, s2, s0
	s_addc_u32 s3, s3, s1
	s_lshl_b32 s0, s8, 7
	s_ashr_i32 s1, s0, 31
	s_lshl_b64 s[0:1], s[0:1], 1
	s_add_u32 s0, s2, s0
	v_bfe_u32 v0, v23, 16, 1
	s_movk_i32 s2, 0x7fff
	v_add3_u32 v0, v0, v23, s2
	v_or_b32_e32 v1, 0x400000, v23
	v_cmp_u_f32_e32 vcc, v23, v23
	s_addc_u32 s1, s3, s1
	v_cndmask_b32_e32 v0, v0, v1, vcc
	global_store_short_d16_hi v19, v0, s[0:1]
	v_bfe_u32 v0, v22, 16, 1
	v_add3_u32 v0, v0, v22, s2
	v_or_b32_e32 v1, 0x400000, v22
	v_cmp_u_f32_e32 vcc, v22, v22
	v_cndmask_b32_e32 v0, v0, v1, vcc
	global_store_short_d16_hi v19, v0, s[0:1] offset:128
.LBB123_41:
	s_endpgm
	.section	.rodata,"a",@progbits
	.p2align	6, 0x0
	.amdhsa_kernel _ZN4vllm25paged_attention_v1_kernelI14__hip_bfloat16S1_Li128ELi8ELi128ELNS_18Fp8KVCacheDataTypeE0ELb0EEEvPT_PKS3_PKT0_S9_ifPKiSB_iPKfiiiSD_SD_iiiii
		.amdhsa_group_segment_fixed_size 272
		.amdhsa_private_segment_fixed_size 0
		.amdhsa_kernarg_size 384
		.amdhsa_user_sgpr_count 6
		.amdhsa_user_sgpr_private_segment_buffer 1
		.amdhsa_user_sgpr_dispatch_ptr 0
		.amdhsa_user_sgpr_queue_ptr 0
		.amdhsa_user_sgpr_kernarg_segment_ptr 1
		.amdhsa_user_sgpr_dispatch_id 0
		.amdhsa_user_sgpr_flat_scratch_init 0
		.amdhsa_user_sgpr_private_segment_size 0
		.amdhsa_uses_dynamic_stack 0
		.amdhsa_system_sgpr_private_segment_wavefront_offset 0
		.amdhsa_system_sgpr_workgroup_id_x 1
		.amdhsa_system_sgpr_workgroup_id_y 1
		.amdhsa_system_sgpr_workgroup_id_z 1
		.amdhsa_system_sgpr_workgroup_info 0
		.amdhsa_system_vgpr_workitem_id 0
		.amdhsa_next_free_vgpr 51
		.amdhsa_next_free_sgpr 34
		.amdhsa_reserve_vcc 1
		.amdhsa_reserve_flat_scratch 0
		.amdhsa_float_round_mode_32 0
		.amdhsa_float_round_mode_16_64 0
		.amdhsa_float_denorm_mode_32 3
		.amdhsa_float_denorm_mode_16_64 3
		.amdhsa_dx10_clamp 1
		.amdhsa_ieee_mode 1
		.amdhsa_fp16_overflow 0
		.amdhsa_exception_fp_ieee_invalid_op 0
		.amdhsa_exception_fp_denorm_src 0
		.amdhsa_exception_fp_ieee_div_zero 0
		.amdhsa_exception_fp_ieee_overflow 0
		.amdhsa_exception_fp_ieee_underflow 0
		.amdhsa_exception_fp_ieee_inexact 0
		.amdhsa_exception_int_div_zero 0
	.end_amdhsa_kernel
	.section	.text._ZN4vllm25paged_attention_v1_kernelI14__hip_bfloat16S1_Li128ELi8ELi128ELNS_18Fp8KVCacheDataTypeE0ELb0EEEvPT_PKS3_PKT0_S9_ifPKiSB_iPKfiiiSD_SD_iiiii,"axG",@progbits,_ZN4vllm25paged_attention_v1_kernelI14__hip_bfloat16S1_Li128ELi8ELi128ELNS_18Fp8KVCacheDataTypeE0ELb0EEEvPT_PKS3_PKT0_S9_ifPKiSB_iPKfiiiSD_SD_iiiii,comdat
.Lfunc_end123:
	.size	_ZN4vllm25paged_attention_v1_kernelI14__hip_bfloat16S1_Li128ELi8ELi128ELNS_18Fp8KVCacheDataTypeE0ELb0EEEvPT_PKS3_PKT0_S9_ifPKiSB_iPKfiiiSD_SD_iiiii, .Lfunc_end123-_ZN4vllm25paged_attention_v1_kernelI14__hip_bfloat16S1_Li128ELi8ELi128ELNS_18Fp8KVCacheDataTypeE0ELb0EEEvPT_PKS3_PKT0_S9_ifPKiSB_iPKfiiiSD_SD_iiiii
                                        ; -- End function
	.set _ZN4vllm25paged_attention_v1_kernelI14__hip_bfloat16S1_Li128ELi8ELi128ELNS_18Fp8KVCacheDataTypeE0ELb0EEEvPT_PKS3_PKT0_S9_ifPKiSB_iPKfiiiSD_SD_iiiii.num_vgpr, 51
	.set _ZN4vllm25paged_attention_v1_kernelI14__hip_bfloat16S1_Li128ELi8ELi128ELNS_18Fp8KVCacheDataTypeE0ELb0EEEvPT_PKS3_PKT0_S9_ifPKiSB_iPKfiiiSD_SD_iiiii.num_agpr, 0
	.set _ZN4vllm25paged_attention_v1_kernelI14__hip_bfloat16S1_Li128ELi8ELi128ELNS_18Fp8KVCacheDataTypeE0ELb0EEEvPT_PKS3_PKT0_S9_ifPKiSB_iPKfiiiSD_SD_iiiii.numbered_sgpr, 34
	.set _ZN4vllm25paged_attention_v1_kernelI14__hip_bfloat16S1_Li128ELi8ELi128ELNS_18Fp8KVCacheDataTypeE0ELb0EEEvPT_PKS3_PKT0_S9_ifPKiSB_iPKfiiiSD_SD_iiiii.num_named_barrier, 0
	.set _ZN4vllm25paged_attention_v1_kernelI14__hip_bfloat16S1_Li128ELi8ELi128ELNS_18Fp8KVCacheDataTypeE0ELb0EEEvPT_PKS3_PKT0_S9_ifPKiSB_iPKfiiiSD_SD_iiiii.private_seg_size, 0
	.set _ZN4vllm25paged_attention_v1_kernelI14__hip_bfloat16S1_Li128ELi8ELi128ELNS_18Fp8KVCacheDataTypeE0ELb0EEEvPT_PKS3_PKT0_S9_ifPKiSB_iPKfiiiSD_SD_iiiii.uses_vcc, 1
	.set _ZN4vllm25paged_attention_v1_kernelI14__hip_bfloat16S1_Li128ELi8ELi128ELNS_18Fp8KVCacheDataTypeE0ELb0EEEvPT_PKS3_PKT0_S9_ifPKiSB_iPKfiiiSD_SD_iiiii.uses_flat_scratch, 0
	.set _ZN4vllm25paged_attention_v1_kernelI14__hip_bfloat16S1_Li128ELi8ELi128ELNS_18Fp8KVCacheDataTypeE0ELb0EEEvPT_PKS3_PKT0_S9_ifPKiSB_iPKfiiiSD_SD_iiiii.has_dyn_sized_stack, 0
	.set _ZN4vllm25paged_attention_v1_kernelI14__hip_bfloat16S1_Li128ELi8ELi128ELNS_18Fp8KVCacheDataTypeE0ELb0EEEvPT_PKS3_PKT0_S9_ifPKiSB_iPKfiiiSD_SD_iiiii.has_recursion, 0
	.set _ZN4vllm25paged_attention_v1_kernelI14__hip_bfloat16S1_Li128ELi8ELi128ELNS_18Fp8KVCacheDataTypeE0ELb0EEEvPT_PKS3_PKT0_S9_ifPKiSB_iPKfiiiSD_SD_iiiii.has_indirect_call, 0
	.section	.AMDGPU.csdata,"",@progbits
; Kernel info:
; codeLenInByte = 4424
; TotalNumSgprs: 38
; NumVgprs: 51
; ScratchSize: 0
; MemoryBound: 0
; FloatMode: 240
; IeeeMode: 1
; LDSByteSize: 272 bytes/workgroup (compile time only)
; SGPRBlocks: 4
; VGPRBlocks: 12
; NumSGPRsForWavesPerEU: 38
; NumVGPRsForWavesPerEU: 51
; Occupancy: 4
; WaveLimiterHint : 1
; COMPUTE_PGM_RSRC2:SCRATCH_EN: 0
; COMPUTE_PGM_RSRC2:USER_SGPR: 6
; COMPUTE_PGM_RSRC2:TRAP_HANDLER: 0
; COMPUTE_PGM_RSRC2:TGID_X_EN: 1
; COMPUTE_PGM_RSRC2:TGID_Y_EN: 1
; COMPUTE_PGM_RSRC2:TGID_Z_EN: 1
; COMPUTE_PGM_RSRC2:TIDIG_COMP_CNT: 0
	.section	.text._ZN4vllm25paged_attention_v1_kernelI14__hip_bfloat16S1_Li192ELi8ELi128ELNS_18Fp8KVCacheDataTypeE0ELb0EEEvPT_PKS3_PKT0_S9_ifPKiSB_iPKfiiiSD_SD_iiiii,"axG",@progbits,_ZN4vllm25paged_attention_v1_kernelI14__hip_bfloat16S1_Li192ELi8ELi128ELNS_18Fp8KVCacheDataTypeE0ELb0EEEvPT_PKS3_PKT0_S9_ifPKiSB_iPKfiiiSD_SD_iiiii,comdat
	.protected	_ZN4vllm25paged_attention_v1_kernelI14__hip_bfloat16S1_Li192ELi8ELi128ELNS_18Fp8KVCacheDataTypeE0ELb0EEEvPT_PKS3_PKT0_S9_ifPKiSB_iPKfiiiSD_SD_iiiii ; -- Begin function _ZN4vllm25paged_attention_v1_kernelI14__hip_bfloat16S1_Li192ELi8ELi128ELNS_18Fp8KVCacheDataTypeE0ELb0EEEvPT_PKS3_PKT0_S9_ifPKiSB_iPKfiiiSD_SD_iiiii
	.globl	_ZN4vllm25paged_attention_v1_kernelI14__hip_bfloat16S1_Li192ELi8ELi128ELNS_18Fp8KVCacheDataTypeE0ELb0EEEvPT_PKS3_PKT0_S9_ifPKiSB_iPKfiiiSD_SD_iiiii
	.p2align	8
	.type	_ZN4vllm25paged_attention_v1_kernelI14__hip_bfloat16S1_Li192ELi8ELi128ELNS_18Fp8KVCacheDataTypeE0ELb0EEEvPT_PKS3_PKT0_S9_ifPKiSB_iPKfiiiSD_SD_iiiii,@function
_ZN4vllm25paged_attention_v1_kernelI14__hip_bfloat16S1_Li192ELi8ELi128ELNS_18Fp8KVCacheDataTypeE0ELb0EEEvPT_PKS3_PKT0_S9_ifPKiSB_iPKfiiiSD_SD_iiiii: ; @_ZN4vllm25paged_attention_v1_kernelI14__hip_bfloat16S1_Li192ELi8ELi128ELNS_18Fp8KVCacheDataTypeE0ELb0EEEvPT_PKS3_PKT0_S9_ifPKiSB_iPKfiiiSD_SD_iiiii
; %bb.0:
	s_load_dword s9, s[4:5], 0x80
	s_load_dwordx2 s[0:1], s[4:5], 0x30
	s_load_dwordx2 s[26:27], s[4:5], 0x20
	s_mov_b32 s10, s7
	s_ashr_i32 s11, s7, 31
	s_lshl_b64 s[2:3], s[10:11], 2
	s_waitcnt lgkmcnt(0)
	s_add_u32 s0, s0, s2
	s_addc_u32 s1, s1, s3
	s_abs_i32 s2, s26
	v_cvt_f32_u32_e32 v1, s2
	s_sub_i32 s11, 0, s2
	s_abs_i32 s7, s9
	s_xor_b32 s3, s9, s26
	v_rcp_iflag_f32_e32 v1, v1
	s_ashr_i32 s3, s3, 31
	s_mov_b32 s26, 0
	v_mul_f32_e32 v1, 0x4f7ffffe, v1
	v_cvt_u32_f32_e32 v1, v1
	v_readfirstlane_b32 s12, v1
	s_mul_i32 s11, s11, s12
	s_mul_hi_u32 s11, s12, s11
	s_add_i32 s12, s12, s11
	s_mul_hi_u32 s11, s7, s12
	s_mul_i32 s12, s11, s2
	s_sub_i32 s7, s7, s12
	s_add_i32 s12, s11, 1
	s_sub_i32 s13, s7, s2
	s_cmp_ge_u32 s7, s2
	s_cselect_b32 s11, s12, s11
	s_cselect_b32 s7, s13, s7
	s_add_i32 s12, s11, 1
	s_cmp_ge_u32 s7, s2
	s_cselect_b32 s2, s12, s11
	s_xor_b32 s2, s2, s3
	s_sub_i32 s11, s2, s3
	s_abs_i32 s18, s11
	v_cvt_f32_u32_e32 v1, s18
	s_load_dwordx2 s[2:3], s[4:5], 0x40
	s_sub_i32 s7, 0, s18
	s_abs_i32 s19, s6
	v_rcp_iflag_f32_e32 v1, v1
	v_mul_f32_e32 v1, 0x4f7ffffe, v1
	v_cvt_u32_f32_e32 v1, v1
	v_readfirstlane_b32 s12, v1
	s_mul_i32 s7, s7, s12
	s_mul_hi_u32 s7, s12, s7
	s_add_i32 s12, s12, s7
	s_waitcnt lgkmcnt(0)
	s_cmp_eq_u64 s[2:3], 0
	s_mul_hi_u32 s22, s19, s12
	s_cbranch_scc1 .LBB124_2
; %bb.1:
	s_ashr_i32 s7, s6, 31
	s_lshl_b64 s[12:13], s[6:7], 2
	s_add_u32 s2, s2, s12
	s_addc_u32 s3, s3, s13
	s_load_dword s26, s[2:3], 0x0
.LBB124_2:
	s_load_dword s33, s[0:1], 0x0
	s_ashr_i32 s23, s11, 31
	s_load_dword s11, s[4:5], 0x88
	s_load_dwordx4 s[12:15], s[4:5], 0x48
	s_movk_i32 s0, 0xc0
	s_ashr_i32 s7, s6, 31
	v_and_b32_e32 v1, 7, v0
	s_mul_i32 s16, s6, 0xc0
	v_cmp_gt_u32_e32 vcc, s0, v0
	v_lshlrev_b32_e32 v23, 1, v0
	s_and_saveexec_b64 s[0:1], vcc
	s_cbranch_execz .LBB124_5
; %bb.3:
	s_load_dwordx2 s[2:3], s[4:5], 0x8
	s_waitcnt lgkmcnt(0)
	s_mul_i32 s20, s12, s10
	s_ashr_i32 s21, s20, 31
	s_lshl_b64 s[20:21], s[20:21], 1
	v_lshrrev_b32_e32 v3, 3, v0
	s_add_u32 s6, s2, s20
	s_addc_u32 s12, s3, s21
	s_ashr_i32 s17, s16, 31
	s_lshl_b64 s[2:3], s[16:17], 1
	s_add_u32 s2, s6, s2
	s_addc_u32 s3, s12, s3
	global_load_ushort v4, v23, s[2:3]
	v_lshlrev_b32_e32 v2, 1, v3
	v_mad_u32_u24 v2, v1, 48, v2
	v_cmp_gt_u32_e32 vcc, 64, v0
	s_waitcnt vmcnt(0)
	ds_write_b16 v2, v4
	s_and_b64 exec, exec, vcc
	s_cbranch_execz .LBB124_5
; %bb.4:
	v_lshlrev_b32_e32 v3, 4, v3
	v_lshlrev_b32_e32 v4, 1, v1
	s_movk_i32 s6, 0x100
	v_or3_b32 v3, v3, v4, s6
	global_load_ushort v3, v3, s[2:3]
	s_waitcnt vmcnt(0)
	ds_write_b16 v2, v3 offset:32
.LBB124_5:
	s_or_b64 exec, exec, s[0:1]
	s_waitcnt lgkmcnt(0)
	s_add_i32 s1, s33, 7
	s_ashr_i32 s2, s1, 31
	s_lshr_b32 s2, s2, 29
	s_add_i32 s1, s1, s2
	s_mul_i32 s2, s22, s18
	s_sub_i32 s2, s19, s2
	s_ashr_i32 s17, s1, 3
	s_xor_b32 s1, s7, s23
	s_add_i32 s3, s22, 1
	s_sub_i32 s6, s2, s18
	s_load_dwordx2 s[20:21], s[4:5], 0x28
	s_load_dword s0, s[4:5], 0x38
	s_cmp_ge_u32 s2, s18
	s_cselect_b32 s3, s3, s22
	s_cselect_b32 s2, s6, s2
	s_add_i32 s6, s3, 1
	s_cmp_ge_u32 s2, s18
	s_cselect_b32 s2, s6, s3
	v_lshrrev_b32_e32 v24, 6, v0
	s_xor_b32 s2, s2, s1
	s_waitcnt lgkmcnt(0)
	s_mul_i32 s22, s0, s10
	s_sub_i32 s12, s2, s1
	s_ashr_i32 s23, s22, 31
	v_cmp_gt_i32_e64 s[0:1], s17, v24
	v_cmp_le_i32_e32 vcc, s17, v24
	v_mbcnt_lo_u32_b32 v3, -1, 0
	s_barrier
                                        ; implicit-def: $vgpr6
                                        ; implicit-def: $vgpr8
                                        ; implicit-def: $vgpr7
	s_and_saveexec_b64 s[2:3], vcc
	s_xor_b64 s[2:3], exec, s[2:3]
; %bb.6:
	v_mbcnt_hi_u32_b32 v6, -1, v3
	v_and_b32_e32 v8, 64, v6
	v_add_u32_e32 v7, 64, v8
                                        ; implicit-def: $vgpr1
                                        ; implicit-def: $vgpr3
; %bb.7:
	s_or_saveexec_b64 s[6:7], s[2:3]
	s_load_dwordx2 s[18:19], s[4:5], 0x0
	s_load_dwordx2 s[24:25], s[4:5], 0x18
	v_mov_b32_e32 v35, 0xff7fffff
	s_mul_i32 s14, s12, s14
	v_lshrrev_b32_e32 v5, 4, v0
	s_xor_b64 exec, exec, s[6:7]
	s_cbranch_execz .LBB124_13
; %bb.8:
	s_load_dwordx2 s[2:3], s[4:5], 0x10
	s_ashr_i32 s15, s14, 31
	s_lshl_b64 s[4:5], s[14:15], 1
	v_mul_u32_u24_e32 v2, 48, v1
	v_lshlrev_b32_e32 v7, 1, v1
	s_waitcnt lgkmcnt(0)
	s_add_u32 s4, s2, s4
	s_addc_u32 s5, s3, s5
	s_sub_i32 s12, 1, s33
	s_lshl_b64 s[2:3], s[22:23], 2
	s_add_u32 s2, s20, s2
	v_cmp_eq_u32_e32 vcc, 0, v1
	s_addc_u32 s3, s21, s3
	v_and_b32_e32 v1, 60, v5
	ds_read_b128 v[13:16], v2
	ds_read_b128 v[25:28], v2 offset:16
	ds_read_b128 v[31:34], v2 offset:32
	v_bfe_u32 v4, v0, 3, 3
	v_mov_b32_e32 v2, s3
	v_add_co_u32_e64 v1, s[2:3], s2, v1
	v_lshlrev_b32_e32 v6, 4, v4
	v_addc_co_u32_e64 v2, s[2:3], 0, v2, s[2:3]
	v_mov_b32_e32 v8, s5
	v_add_co_u32_e64 v6, s[2:3], s4, v6
	v_addc_co_u32_e64 v8, s[2:3], 0, v8, s[2:3]
	v_add_co_u32_e64 v36, s[2:3], v6, v7
	v_mbcnt_hi_u32_b32 v6, -1, v3
	v_addc_co_u32_e64 v37, s[2:3], 0, v8, s[2:3]
	v_and_b32_e32 v8, 64, v6
	v_add_u32_e32 v7, 64, v8
	v_xor_b32_e32 v3, 4, v6
	v_cmp_lt_i32_e64 s[2:3], v3, v7
	v_cndmask_b32_e64 v3, v6, v3, s[2:3]
	v_lshlrev_b32_e32 v38, 2, v3
	v_xor_b32_e32 v3, 2, v6
	v_cmp_lt_i32_e64 s[2:3], v3, v7
	v_cndmask_b32_e64 v3, v6, v3, s[2:3]
	v_lshlrev_b32_e32 v39, 2, v3
	;; [unrolled: 4-line block ×3, first 2 shown]
	v_lshlrev_b32_e32 v3, 2, v4
	v_lshl_or_b32 v3, v24, 5, v3
	s_waitcnt lgkmcnt(2)
	v_lshlrev_b32_e32 v9, 16, v13
	v_and_b32_e32 v10, 0xffff0000, v13
	v_lshlrev_b32_e32 v11, 16, v14
	v_and_b32_e32 v12, 0xffff0000, v14
	v_lshlrev_b32_e32 v13, 16, v15
	v_and_b32_e32 v14, 0xffff0000, v15
	v_lshlrev_b32_e32 v15, 16, v16
	v_and_b32_e32 v16, 0xffff0000, v16
	s_waitcnt lgkmcnt(1)
	v_lshlrev_b32_e32 v17, 16, v25
	v_and_b32_e32 v18, 0xffff0000, v25
	v_lshlrev_b32_e32 v19, 16, v26
	v_and_b32_e32 v20, 0xffff0000, v26
	v_lshlrev_b32_e32 v21, 16, v27
	v_and_b32_e32 v22, 0xffff0000, v27
	v_lshlrev_b32_e32 v25, 16, v28
	v_and_b32_e32 v26, 0xffff0000, v28
	;; [unrolled: 9-line block ×3, first 2 shown]
	s_mov_b32 s15, s13
	v_cmp_neq_f32_e64 s[2:3], s26, 0
	v_lshl_or_b32 v41, v24, 3, v4
	v_add_u32_e32 v42, 0x190, v3
	s_mov_b64 s[28:29], 0
	v_mov_b32_e32 v35, 0xff7fffff
	v_mov_b32_e32 v43, v24
	s_branch .LBB124_10
.LBB124_9:                              ;   in Loop: Header=BB124_10 Depth=1
	s_or_b64 exec, exec, s[30:31]
	v_add_u32_e32 v43, 2, v43
	v_cmp_le_i32_e64 s[4:5], s17, v43
	s_or_b64 s[28:29], s[4:5], s[28:29]
	v_add_co_u32_e64 v1, s[4:5], 8, v1
	v_add_u32_e32 v41, 16, v41
	v_add_u32_e32 v42, 64, v42
	v_addc_co_u32_e64 v2, s[4:5], 0, v2, s[4:5]
	s_andn2_b64 exec, exec, s[28:29]
	s_cbranch_execz .LBB124_12
.LBB124_10:                             ; =>This Inner Loop Header: Depth=1
	global_load_dword v3, v[1:2], off
	s_waitcnt vmcnt(0) lgkmcnt(0)
	v_mad_i64_i32 v[3:4], s[4:5], v3, s15, 0
	v_lshlrev_b64 v[3:4], 1, v[3:4]
	v_add_co_u32_e64 v3, s[4:5], v36, v3
	v_addc_co_u32_e64 v4, s[4:5], v37, v4, s[4:5]
	global_load_ushort v44, v[3:4], off
	s_waitcnt vmcnt(0)
	v_lshlrev_b32_e32 v45, 16, v44
	global_load_ushort v44, v[3:4], off offset:128
	s_waitcnt vmcnt(0)
	v_lshlrev_b32_e32 v44, 16, v44
	v_mul_f32_e32 v44, v10, v44
	v_fmac_f32_e32 v44, v9, v45
	global_load_ushort v45, v[3:4], off offset:256
	s_waitcnt vmcnt(0)
	v_lshlrev_b32_e32 v45, 16, v45
	v_fmac_f32_e32 v44, v11, v45
	global_load_ushort v45, v[3:4], off offset:384
	s_waitcnt vmcnt(0)
	v_lshlrev_b32_e32 v45, 16, v45
	;; [unrolled: 4-line block ×21, first 2 shown]
	global_load_ushort v3, v[3:4], off offset:2944
	v_fmac_f32_e32 v44, v33, v45
	s_waitcnt vmcnt(0)
	v_lshlrev_b32_e32 v3, 16, v3
	v_fmac_f32_e32 v44, v34, v3
	ds_bpermute_b32 v3, v38, v44
	s_waitcnt lgkmcnt(0)
	v_add_f32_e32 v3, v44, v3
	ds_bpermute_b32 v4, v39, v3
	s_waitcnt lgkmcnt(0)
	v_add_f32_e32 v3, v3, v4
	ds_bpermute_b32 v4, v40, v3
	s_and_saveexec_b64 s[30:31], vcc
	s_cbranch_execz .LBB124_9
; %bb.11:                               ;   in Loop: Header=BB124_10 Depth=1
	v_add_u32_e32 v44, s12, v41
	v_cvt_f32_i32_e32 v44, v44
	s_waitcnt lgkmcnt(0)
	v_add_f32_e32 v3, v3, v4
	v_cmp_gt_i32_e64 s[4:5], s33, v41
	v_max_f32_e32 v4, v35, v35
	v_mul_f32_e32 v44, s26, v44
	v_cndmask_b32_e64 v44, 0, v44, s[2:3]
	v_fmac_f32_e32 v44, s27, v3
	v_cndmask_b32_e64 v3, 0, v44, s[4:5]
	ds_write_b32 v42, v3
	v_max_f32_e32 v3, v4, v44
	v_cndmask_b32_e64 v35, v35, v3, s[4:5]
	s_branch .LBB124_9
.LBB124_12:
	s_or_b64 exec, exec, s[28:29]
.LBB124_13:
	s_or_b64 exec, exec, s[6:7]
	v_xor_b32_e32 v1, 32, v6
	v_cmp_lt_i32_e32 vcc, v1, v7
	v_cndmask_b32_e32 v1, v6, v1, vcc
	v_lshlrev_b32_e32 v2, 2, v1
	ds_bpermute_b32 v1, v2, v35
	s_waitcnt lgkmcnt(0)
	v_xor_b32_e32 v4, 16, v6
	v_max_f32_e32 v3, v35, v35
	v_cmp_lt_i32_e32 vcc, v4, v7
	v_xor_b32_e32 v9, 8, v6
	v_max_f32_e32 v1, v1, v1
	v_max_f32_e32 v1, v3, v1
	v_cndmask_b32_e32 v3, v6, v4, vcc
	v_lshlrev_b32_e32 v4, 2, v3
	ds_bpermute_b32 v3, v4, v1
	v_cmp_lt_i32_e32 vcc, v9, v7
	v_and_b32_e32 v25, 63, v0
	s_waitcnt lgkmcnt(0)
	v_max_f32_e32 v3, v3, v3
	v_max_f32_e32 v3, v1, v3
	v_cndmask_b32_e32 v1, v6, v9, vcc
	v_lshlrev_b32_e32 v10, 2, v1
	ds_bpermute_b32 v9, v10, v3
	v_cmp_eq_u32_e32 vcc, 0, v25
	v_lshlrev_b32_e32 v1, 2, v24
	s_and_saveexec_b64 s[2:3], vcc
	s_cbranch_execz .LBB124_15
; %bb.14:
	s_waitcnt lgkmcnt(0)
	v_max_f32_e32 v9, v9, v9
	v_max_f32_e32 v3, v3, v3
	;; [unrolled: 1-line block ×3, first 2 shown]
	ds_write_b32 v1, v3 offset:384
.LBB124_15:
	s_or_b64 exec, exec, s[2:3]
	v_cmp_gt_u32_e64 s[2:3], 2, v25
	v_mov_b32_e32 v11, 0xff7fffff
	v_lshlrev_b32_e32 v3, 2, v25
	s_waitcnt lgkmcnt(0)
	s_barrier
	s_and_saveexec_b64 s[4:5], s[2:3]
; %bb.16:
	ds_read_b32 v11, v3 offset:384
; %bb.17:
	s_or_b64 exec, exec, s[4:5]
	v_xor_b32_e32 v9, 1, v6
	v_cmp_lt_i32_e64 s[4:5], v9, v7
	v_cndmask_b32_e64 v9, v6, v9, s[4:5]
	v_lshlrev_b32_e32 v9, 2, v9
	s_waitcnt lgkmcnt(0)
	ds_bpermute_b32 v12, v9, v11
	v_max_f32_e32 v11, v11, v11
	v_lshlrev_b32_e32 v8, 2, v8
	s_lshl_b32 s4, s17, 3
	s_min_i32 s12, s4, s33
	s_waitcnt lgkmcnt(0)
	v_max_f32_e32 v12, v12, v12
	v_max_f32_e32 v11, v11, v12
	ds_bpermute_b32 v11, v8, v11
	v_cmp_gt_i32_e64 s[4:5], s12, v0
	v_mov_b32_e32 v8, 0
	s_and_saveexec_b64 s[26:27], s[4:5]
	s_cbranch_execz .LBB124_21
; %bb.18:
	v_mov_b32_e32 v8, 0x190
	v_lshl_add_u32 v12, v0, 2, v8
	v_mov_b32_e32 v8, 0
	s_mov_b64 s[28:29], 0
	v_mov_b32_e32 v13, v0
.LBB124_19:                             ; =>This Inner Loop Header: Depth=1
	ds_read_b32 v14, v12
	v_add_u32_e32 v13, 0x80, v13
	v_cmp_le_i32_e64 s[6:7], s12, v13
	s_or_b64 s[28:29], s[6:7], s[28:29]
	s_waitcnt lgkmcnt(0)
	v_sub_f32_e32 v14, v14, v11
	v_mul_f32_e32 v14, 0x3fb8aa3b, v14
	v_exp_f32_e32 v14, v14
	ds_write_b32 v12, v14
	v_add_f32_e32 v8, v8, v14
	v_add_u32_e32 v12, 0x200, v12
	s_andn2_b64 exec, exec, s[28:29]
	s_cbranch_execnz .LBB124_19
; %bb.20:
	s_or_b64 exec, exec, s[28:29]
.LBB124_21:
	s_or_b64 exec, exec, s[26:27]
	ds_bpermute_b32 v2, v2, v8
	s_waitcnt lgkmcnt(0)
	v_add_f32_e32 v2, v8, v2
	ds_bpermute_b32 v4, v4, v2
	v_xor_b32_e32 v8, 4, v6
	v_cmp_lt_i32_e64 s[6:7], v8, v7
	v_cndmask_b32_e64 v8, v6, v8, s[6:7]
	v_lshlrev_b32_e32 v8, 2, v8
	s_waitcnt lgkmcnt(0)
	v_add_f32_e32 v2, v2, v4
	ds_bpermute_b32 v4, v10, v2
	s_waitcnt lgkmcnt(0)
	v_add_f32_e32 v2, v2, v4
	ds_bpermute_b32 v4, v8, v2
	v_xor_b32_e32 v8, 2, v6
	v_cmp_lt_i32_e64 s[6:7], v8, v7
	v_cndmask_b32_e64 v7, v6, v8, s[6:7]
	s_waitcnt lgkmcnt(0)
	v_add_f32_e32 v2, v2, v4
	v_lshlrev_b32_e32 v4, 2, v7
	ds_bpermute_b32 v4, v4, v2
	s_waitcnt lgkmcnt(0)
	v_add_f32_e32 v2, v2, v4
	ds_bpermute_b32 v4, v9, v2
	s_waitcnt lgkmcnt(0)
	v_add_f32_e32 v2, v2, v4
	s_and_saveexec_b64 s[6:7], vcc
; %bb.22:
	ds_write_b32 v1, v2 offset:392
; %bb.23:
	s_or_b64 exec, exec, s[6:7]
	s_waitcnt lgkmcnt(0)
	s_barrier
	s_and_saveexec_b64 s[6:7], s[2:3]
; %bb.24:
	ds_read_b32 v2, v3 offset:392
; %bb.25:
	s_or_b64 exec, exec, s[6:7]
	s_waitcnt lgkmcnt(0)
	ds_bpermute_b32 v1, v9, v2
	v_lshlrev_b32_e32 v3, 2, v6
	s_waitcnt lgkmcnt(0)
	v_add_f32_e32 v1, v2, v1
	v_and_b32_e32 v2, 0xffffff00, v3
	ds_bpermute_b32 v1, v2, v1
	s_and_saveexec_b64 s[2:3], s[4:5]
	s_cbranch_execz .LBB124_28
; %bb.26:
	s_waitcnt lgkmcnt(0)
	v_add_f32_e32 v2, 0x358637bd, v1
	v_div_scale_f32 v1, s[4:5], v2, v2, 1.0
	v_div_scale_f32 v3, vcc, 1.0, v2, 1.0
	s_mov_b64 s[4:5], 0
	v_rcp_f32_e32 v4, v1
	v_fma_f32 v6, -v1, v4, 1.0
	v_fmac_f32_e32 v4, v6, v4
	v_mul_f32_e32 v6, v3, v4
	v_fma_f32 v7, -v1, v6, v3
	v_fmac_f32_e32 v6, v7, v4
	v_fma_f32 v1, -v1, v6, v3
	v_div_fmas_f32 v3, v1, v4, v6
	v_mov_b32_e32 v1, 0x190
	v_lshl_add_u32 v1, v0, 2, v1
	v_div_fixup_f32 v2, v3, v2, 1.0
	v_mov_b32_e32 v3, v0
.LBB124_27:                             ; =>This Inner Loop Header: Depth=1
	ds_read_b32 v4, v1
	v_add_u32_e32 v3, 0x80, v3
	v_cmp_le_i32_e32 vcc, s12, v3
	s_or_b64 s[4:5], vcc, s[4:5]
	s_waitcnt lgkmcnt(0)
	v_mul_f32_e32 v4, v2, v4
	ds_write_b32 v1, v4
	v_add_u32_e32 v1, 0x200, v1
	s_andn2_b64 exec, exec, s[4:5]
	s_cbranch_execnz .LBB124_27
.LBB124_28:
	s_or_b64 exec, exec, s[2:3]
	v_mov_b32_e32 v28, 0
	v_mov_b32_e32 v27, 0
	;; [unrolled: 1-line block ×3, first 2 shown]
	s_waitcnt lgkmcnt(0)
	s_barrier
	s_and_saveexec_b64 s[4:5], s[0:1]
	s_cbranch_execz .LBB124_38
; %bb.29:
	s_ashr_i32 s15, s14, 31
	s_lshl_b64 s[0:1], s[14:15], 1
	s_add_u32 s0, s24, s0
	s_addc_u32 s1, s25, s1
	v_lshlrev_b32_e32 v1, 4, v25
	s_add_i32 s14, s17, -1
	v_mov_b32_e32 v2, s1
	v_add_co_u32_e32 v30, vcc, s0, v1
	s_lshl_b64 s[0:1], s[22:23], 2
	v_mov_b32_e32 v1, 0x190
	s_add_u32 s0, s20, s0
	v_addc_co_u32_e32 v31, vcc, 0, v2, vcc
	v_lshl_add_u32 v33, v24, 5, v1
	v_and_b32_e32 v1, 60, v5
	s_addc_u32 s1, s21, s1
	v_mov_b32_e32 v2, s1
	v_add_co_u32_e32 v21, vcc, s0, v1
	s_mov_b32 s26, s13
	v_mov_b32_e32 v29, 0
	s_mov_b32 s15, s33
	v_lshlrev_b32_e32 v32, 3, v24
	v_addc_co_u32_e32 v22, vcc, 0, v2, vcc
	s_mov_b64 s[6:7], 0
	s_mov_b32 s20, 0x5040100
	s_movk_i32 s21, 0x7fff
	v_mov_b32_e32 v26, 0
	v_mov_b32_e32 v27, 0
	;; [unrolled: 1-line block ×3, first 2 shown]
	s_branch .LBB124_31
.LBB124_30:                             ;   in Loop: Header=BB124_31 Depth=1
	s_or_b64 exec, exec, s[2:3]
	s_waitcnt lgkmcnt(1)
	v_bfe_u32 v34, v17, 16, 1
	v_add3_u32 v34, v34, v17, s21
	v_or_b32_e32 v35, 0x400000, v17
	v_cmp_u_f32_e32 vcc, v17, v17
	v_cndmask_b32_e32 v17, v34, v35, vcc
	v_bfe_u32 v34, v18, 16, 1
	v_add3_u32 v34, v34, v18, s21
	v_or_b32_e32 v35, 0x400000, v18
	v_cmp_u_f32_e32 vcc, v18, v18
	v_cndmask_b32_e32 v18, v34, v35, vcc
	;; [unrolled: 5-line block ×4, first 2 shown]
	s_waitcnt lgkmcnt(0)
	v_bfe_u32 v34, v13, 16, 1
	v_add3_u32 v34, v34, v13, s21
	v_or_b32_e32 v35, 0x400000, v13
	v_cmp_u_f32_e32 vcc, v13, v13
	v_bfe_u32 v13, v14, 16, 1
	v_cndmask_b32_e32 v34, v34, v35, vcc
	v_add3_u32 v13, v13, v14, s21
	v_or_b32_e32 v35, 0x400000, v14
	v_cmp_u_f32_e32 vcc, v14, v14
	v_cndmask_b32_e32 v35, v13, v35, vcc
	v_bfe_u32 v13, v15, 16, 1
	v_add3_u32 v13, v13, v15, s21
	v_or_b32_e32 v14, 0x400000, v15
	v_cmp_u_f32_e32 vcc, v15, v15
	v_cndmask_b32_e32 v36, v13, v14, vcc
	v_bfe_u32 v13, v16, 16, 1
	v_add3_u32 v13, v13, v16, s21
	v_or_b32_e32 v14, 0x400000, v16
	v_cmp_u_f32_e32 vcc, v16, v16
	v_cndmask_b32_e32 v37, v13, v14, vcc
	v_and_b32_e32 v13, 0xffff0000, v18
	s_waitcnt vmcnt(1)
	v_and_b32_e32 v14, 0xffff0000, v9
	v_mul_f32_e32 v14, v13, v14
	v_bfe_u32 v15, v14, 16, 1
	v_add3_u32 v15, v15, v14, s21
	v_or_b32_e32 v16, 0x400000, v14
	v_cmp_u_f32_e32 vcc, v14, v14
	v_and_b32_e32 v14, 0xffff0000, v17
	v_lshlrev_b32_e32 v9, 16, v9
	v_mul_f32_e32 v9, v14, v9
	v_cndmask_b32_e32 v18, v15, v16, vcc
	v_bfe_u32 v15, v9, 16, 1
	v_add3_u32 v15, v15, v9, s21
	v_or_b32_e32 v16, 0x400000, v9
	v_cmp_u_f32_e32 vcc, v9, v9
	v_cndmask_b32_e32 v38, v15, v16, vcc
	v_and_b32_e32 v9, 0xffff0000, v20
	v_and_b32_e32 v15, 0xffff0000, v10
	v_mul_f32_e32 v15, v9, v15
	v_bfe_u32 v16, v15, 16, 1
	v_add3_u32 v16, v16, v15, s21
	v_or_b32_e32 v17, 0x400000, v15
	v_cmp_u_f32_e32 vcc, v15, v15
	v_and_b32_e32 v15, 0xffff0000, v19
	v_lshlrev_b32_e32 v10, 16, v10
	v_mul_f32_e32 v10, v15, v10
	v_cndmask_b32_e32 v20, v16, v17, vcc
	v_bfe_u32 v16, v10, 16, 1
	v_add3_u32 v16, v16, v10, s21
	v_or_b32_e32 v17, 0x400000, v10
	v_cmp_u_f32_e32 vcc, v10, v10
	v_cndmask_b32_e32 v19, v16, v17, vcc
	v_and_b32_e32 v10, 0xffff0000, v35
	;; [unrolled: 16-line block ×3, first 2 shown]
	v_and_b32_e32 v17, 0xffff0000, v12
	v_mul_f32_e32 v17, v11, v17
	v_bfe_u32 v37, v17, 16, 1
	v_add3_u32 v37, v37, v17, s21
	v_or_b32_e32 v39, 0x400000, v17
	v_cmp_u_f32_e32 vcc, v17, v17
	v_and_b32_e32 v17, 0xffff0000, v36
	v_lshlrev_b32_e32 v12, 16, v12
	v_mul_f32_e32 v12, v17, v12
	v_bfe_u32 v36, v12, 16, 1
	v_cndmask_b32_e32 v37, v37, v39, vcc
	v_add3_u32 v36, v36, v12, s21
	v_or_b32_e32 v39, 0x400000, v12
	v_cmp_u_f32_e32 vcc, v12, v12
	v_cndmask_b32_e32 v12, v36, v39, vcc
	v_and_b32_e32 v36, 0xffff0000, v38
	v_and_b32_e32 v18, 0xffff0000, v18
	;; [unrolled: 1-line block ×4, first 2 shown]
	v_add_f32_e32 v18, v36, v18
	v_add_f32_e32 v19, v19, v20
	;; [unrolled: 1-line block ×3, first 2 shown]
	v_and_b32_e32 v19, 0xffff0000, v34
	v_and_b32_e32 v20, 0xffff0000, v35
	v_add_f32_e32 v19, v19, v20
	v_add_f32_e32 v18, v19, v18
	v_and_b32_e32 v12, 0xffff0000, v12
	v_and_b32_e32 v19, 0xffff0000, v37
	v_add_f32_e32 v12, v12, v19
	v_add_f32_e32 v12, v12, v18
	;; [unrolled: 1-line block ×3, first 2 shown]
	v_and_b32_e32 v12, 0xffff0000, v1
	v_mul_f32_e32 v12, v13, v12
	v_bfe_u32 v18, v12, 16, 1
	v_lshlrev_b32_e32 v1, 16, v1
	v_add3_u32 v18, v18, v12, s21
	v_or_b32_e32 v19, 0x400000, v12
	v_cmp_u_f32_e32 vcc, v12, v12
	v_mul_f32_e32 v1, v14, v1
	v_cndmask_b32_e32 v12, v18, v19, vcc
	v_bfe_u32 v18, v1, 16, 1
	v_add3_u32 v18, v18, v1, s21
	v_or_b32_e32 v19, 0x400000, v1
	v_cmp_u_f32_e32 vcc, v1, v1
	v_cndmask_b32_e32 v1, v18, v19, vcc
	v_and_b32_e32 v18, 0xffff0000, v2
	v_mul_f32_e32 v18, v9, v18
	v_bfe_u32 v19, v18, 16, 1
	v_lshlrev_b32_e32 v2, 16, v2
	v_add3_u32 v19, v19, v18, s21
	v_or_b32_e32 v20, 0x400000, v18
	v_cmp_u_f32_e32 vcc, v18, v18
	v_mul_f32_e32 v2, v15, v2
	v_cndmask_b32_e32 v18, v19, v20, vcc
	v_bfe_u32 v19, v2, 16, 1
	v_add3_u32 v19, v19, v2, s21
	v_or_b32_e32 v20, 0x400000, v2
	v_cmp_u_f32_e32 vcc, v2, v2
	v_cndmask_b32_e32 v2, v19, v20, vcc
	;; [unrolled: 14-line block ×3, first 2 shown]
	v_and_b32_e32 v20, 0xffff0000, v4
	v_mul_f32_e32 v20, v11, v20
	v_bfe_u32 v34, v20, 16, 1
	v_lshlrev_b32_e32 v4, 16, v4
	v_and_b32_e32 v1, 0xffff0000, v1
	v_and_b32_e32 v12, 0xffff0000, v12
	v_add3_u32 v34, v34, v20, s21
	v_or_b32_e32 v35, 0x400000, v20
	v_cmp_u_f32_e32 vcc, v20, v20
	v_mul_f32_e32 v4, v17, v4
	v_add_f32_e32 v1, v1, v12
	v_and_b32_e32 v2, 0xffff0000, v2
	v_and_b32_e32 v12, 0xffff0000, v18
	v_cndmask_b32_e32 v20, v34, v35, vcc
	v_bfe_u32 v34, v4, 16, 1
	v_add_f32_e32 v2, v2, v12
	v_add3_u32 v34, v34, v4, s21
	v_or_b32_e32 v35, 0x400000, v4
	v_cmp_u_f32_e32 vcc, v4, v4
	v_add_f32_e32 v1, v2, v1
	v_and_b32_e32 v2, 0xffff0000, v3
	v_and_b32_e32 v3, 0xffff0000, v19
	v_cndmask_b32_e32 v4, v34, v35, vcc
	v_add_f32_e32 v2, v2, v3
	v_add_f32_e32 v1, v2, v1
	v_and_b32_e32 v2, 0xffff0000, v4
	v_and_b32_e32 v3, 0xffff0000, v20
	v_add_f32_e32 v2, v2, v3
	v_add_f32_e32 v1, v2, v1
	;; [unrolled: 1-line block ×3, first 2 shown]
	s_waitcnt vmcnt(0)
	v_lshlrev_b32_e32 v1, 16, v5
	v_mul_f32_e32 v1, v14, v1
	v_bfe_u32 v2, v1, 16, 1
	v_add3_u32 v2, v2, v1, s21
	v_or_b32_e32 v3, 0x400000, v1
	v_cmp_u_f32_e32 vcc, v1, v1
	v_cndmask_b32_e32 v1, v2, v3, vcc
	v_and_b32_e32 v2, 0xffff0000, v5
	v_mul_f32_e32 v2, v13, v2
	v_bfe_u32 v3, v2, 16, 1
	v_add3_u32 v3, v3, v2, s21
	v_or_b32_e32 v4, 0x400000, v2
	v_cmp_u_f32_e32 vcc, v2, v2
	v_cndmask_b32_e32 v2, v3, v4, vcc
	v_lshlrev_b32_e32 v3, 16, v6
	v_mul_f32_e32 v3, v15, v3
	v_bfe_u32 v4, v3, 16, 1
	v_add3_u32 v4, v4, v3, s21
	v_or_b32_e32 v5, 0x400000, v3
	v_cmp_u_f32_e32 vcc, v3, v3
	v_cndmask_b32_e32 v3, v4, v5, vcc
	v_and_b32_e32 v4, 0xffff0000, v6
	v_mul_f32_e32 v4, v9, v4
	v_bfe_u32 v5, v4, 16, 1
	v_add3_u32 v5, v5, v4, s21
	v_or_b32_e32 v6, 0x400000, v4
	v_cmp_u_f32_e32 vcc, v4, v4
	v_cndmask_b32_e32 v4, v5, v6, vcc
	;; [unrolled: 14-line block ×3, first 2 shown]
	v_lshlrev_b32_e32 v7, 16, v8
	v_mul_f32_e32 v7, v17, v7
	v_bfe_u32 v9, v7, 16, 1
	v_and_b32_e32 v8, 0xffff0000, v8
	v_and_b32_e32 v2, 0xffff0000, v2
	;; [unrolled: 1-line block ×3, first 2 shown]
	v_add3_u32 v9, v9, v7, s21
	v_or_b32_e32 v10, 0x400000, v7
	v_cmp_u_f32_e32 vcc, v7, v7
	v_mul_f32_e32 v8, v11, v8
	v_add_f32_e32 v1, v1, v2
	v_and_b32_e32 v2, 0xffff0000, v4
	v_and_b32_e32 v3, 0xffff0000, v3
	v_cndmask_b32_e32 v7, v9, v10, vcc
	v_bfe_u32 v9, v8, 16, 1
	v_add_f32_e32 v2, v3, v2
	v_add3_u32 v9, v9, v8, s21
	v_or_b32_e32 v10, 0x400000, v8
	v_cmp_u_f32_e32 vcc, v8, v8
	v_add_f32_e32 v1, v2, v1
	v_and_b32_e32 v2, 0xffff0000, v6
	v_and_b32_e32 v3, 0xffff0000, v5
	v_cndmask_b32_e32 v8, v9, v10, vcc
	v_add_f32_e32 v2, v3, v2
	v_add_f32_e32 v1, v2, v1
	v_and_b32_e32 v2, 0xffff0000, v8
	v_and_b32_e32 v3, 0xffff0000, v7
	v_add_u32_e32 v24, 2, v24
	v_add_f32_e32 v2, v3, v2
	v_cmp_le_i32_e32 vcc, s17, v24
	v_add_f32_e32 v1, v2, v1
	s_or_b64 s[6:7], vcc, s[6:7]
	v_add_co_u32_e32 v21, vcc, 8, v21
	v_add_f32_e32 v26, v26, v1
	v_add_u32_e32 v32, 16, v32
	v_add_u32_e32 v33, 64, v33
	v_addc_co_u32_e32 v22, vcc, 0, v22, vcc
	s_andn2_b64 exec, exec, s[6:7]
	s_cbranch_execz .LBB124_37
.LBB124_31:                             ; =>This Inner Loop Header: Depth=1
	global_load_dword v1, v[21:22], off
	v_add_u32_e32 v40, 1, v32
	v_or_b32_e32 v38, 3, v32
	v_or_b32_e32 v39, 2, v32
	;; [unrolled: 1-line block ×6, first 2 shown]
	s_waitcnt vmcnt(0)
	v_mad_i64_i32 v[1:2], s[0:1], v1, s26, 0
	v_cmp_eq_u32_e64 s[0:1], s14, v24
	v_lshlrev_b64 v[1:2], 1, v[1:2]
	v_add_co_u32_e32 v5, vcc, v30, v1
	v_addc_co_u32_e32 v6, vcc, v31, v2, vcc
	global_load_dwordx4 v[1:4], v[5:6], off
	ds_read2_b64 v[17:20], v33 offset1:1
	ds_read2_b64 v[13:16], v33 offset0:2 offset1:3
	s_and_saveexec_b64 s[12:13], s[0:1]
	s_cbranch_execnz .LBB124_34
; %bb.32:                               ;   in Loop: Header=BB124_31 Depth=1
	s_or_b64 exec, exec, s[12:13]
	global_load_dwordx4 v[9:12], v[5:6], off offset:1024
	s_and_saveexec_b64 s[12:13], s[0:1]
	s_cbranch_execnz .LBB124_35
.LBB124_33:                             ;   in Loop: Header=BB124_31 Depth=1
	s_or_b64 exec, exec, s[12:13]
	global_load_dwordx4 v[5:8], v[5:6], off offset:2048
	s_and_saveexec_b64 s[2:3], s[0:1]
	s_cbranch_execz .LBB124_30
	s_branch .LBB124_36
.LBB124_34:                             ;   in Loop: Header=BB124_31 Depth=1
	v_cmp_gt_i32_e32 vcc, s15, v40
	s_waitcnt vmcnt(0)
	v_cndmask_b32_sdwa v7, v29, v1, vcc dst_sel:DWORD dst_unused:UNUSED_PAD src0_sel:DWORD src1_sel:WORD_1
	v_cmp_gt_i32_e32 vcc, s33, v32
	v_cndmask_b32_e32 v1, 0, v1, vcc
	v_cmp_gt_i32_e32 vcc, s15, v38
	v_cmp_gt_i32_e64 s[2:3], s33, v39
	v_perm_b32 v1, v7, v1, s20
	v_cndmask_b32_e64 v7, 0, v2, s[2:3]
	v_cndmask_b32_sdwa v2, v29, v2, vcc dst_sel:DWORD dst_unused:UNUSED_PAD src0_sel:DWORD src1_sel:WORD_1
	v_cmp_gt_i32_e32 vcc, s15, v36
	v_cmp_gt_i32_e64 s[2:3], s33, v37
	v_perm_b32 v2, v2, v7, s20
	v_cndmask_b32_e64 v7, 0, v3, s[2:3]
	v_cndmask_b32_sdwa v3, v29, v3, vcc dst_sel:DWORD dst_unused:UNUSED_PAD src0_sel:DWORD src1_sel:WORD_1
	;; [unrolled: 5-line block ×3, first 2 shown]
	v_perm_b32 v4, v4, v7, s20
	s_or_b64 exec, exec, s[12:13]
	global_load_dwordx4 v[9:12], v[5:6], off offset:1024
	s_and_saveexec_b64 s[12:13], s[0:1]
	s_cbranch_execz .LBB124_33
.LBB124_35:                             ;   in Loop: Header=BB124_31 Depth=1
	v_cmp_gt_i32_e32 vcc, s15, v40
	s_waitcnt vmcnt(0)
	v_cndmask_b32_sdwa v7, v29, v9, vcc dst_sel:DWORD dst_unused:UNUSED_PAD src0_sel:DWORD src1_sel:WORD_1
	v_cmp_gt_i32_e32 vcc, s33, v32
	v_cndmask_b32_e32 v8, 0, v9, vcc
	v_cmp_gt_i32_e32 vcc, s15, v38
	v_cmp_gt_i32_e64 s[2:3], s33, v39
	v_perm_b32 v9, v7, v8, s20
	v_cndmask_b32_e64 v7, 0, v10, s[2:3]
	v_cndmask_b32_sdwa v8, v29, v10, vcc dst_sel:DWORD dst_unused:UNUSED_PAD src0_sel:DWORD src1_sel:WORD_1
	v_cmp_gt_i32_e32 vcc, s15, v36
	v_cmp_gt_i32_e64 s[2:3], s33, v37
	v_perm_b32 v10, v8, v7, s20
	v_cndmask_b32_e64 v7, 0, v11, s[2:3]
	v_cndmask_b32_sdwa v8, v29, v11, vcc dst_sel:DWORD dst_unused:UNUSED_PAD src0_sel:DWORD src1_sel:WORD_1
	;; [unrolled: 5-line block ×3, first 2 shown]
	v_perm_b32 v12, v8, v7, s20
	s_or_b64 exec, exec, s[12:13]
	global_load_dwordx4 v[5:8], v[5:6], off offset:2048
	s_and_saveexec_b64 s[2:3], s[0:1]
	s_cbranch_execz .LBB124_30
.LBB124_36:                             ;   in Loop: Header=BB124_31 Depth=1
	v_cmp_gt_i32_e32 vcc, s15, v40
	s_waitcnt vmcnt(0)
	v_cndmask_b32_sdwa v40, v29, v5, vcc dst_sel:DWORD dst_unused:UNUSED_PAD src0_sel:DWORD src1_sel:WORD_1
	v_cmp_gt_i32_e32 vcc, s33, v32
	v_cndmask_b32_e32 v5, 0, v5, vcc
	v_cmp_gt_i32_e32 vcc, s15, v38
	v_cmp_gt_i32_e64 s[0:1], s33, v39
	v_cndmask_b32_e64 v38, 0, v6, s[0:1]
	v_cndmask_b32_sdwa v6, v29, v6, vcc dst_sel:DWORD dst_unused:UNUSED_PAD src0_sel:DWORD src1_sel:WORD_1
	v_cmp_gt_i32_e32 vcc, s15, v36
	v_cmp_gt_i32_e64 s[0:1], s33, v37
	v_cndmask_b32_e64 v36, 0, v7, s[0:1]
	v_cndmask_b32_sdwa v7, v29, v7, vcc dst_sel:DWORD dst_unused:UNUSED_PAD src0_sel:DWORD src1_sel:WORD_1
	;; [unrolled: 4-line block ×3, first 2 shown]
	v_perm_b32 v5, v40, v5, s20
	v_perm_b32 v6, v6, v38, s20
	;; [unrolled: 1-line block ×4, first 2 shown]
	s_branch .LBB124_30
.LBB124_37:
	s_or_b64 exec, exec, s[6:7]
.LBB124_38:
	s_or_b64 exec, exec, s[4:5]
	v_and_b32_e32 v1, 0x3c0, v0
	v_cmp_eq_u32_e32 vcc, 64, v1
	s_barrier
	s_and_saveexec_b64 s[0:1], vcc
	s_cbranch_execz .LBB124_40
; %bb.39:
	v_mov_b32_e32 v1, 0x190
	v_lshl_add_u32 v1, v25, 2, v1
	ds_write2st64_b32 v1, v28, v27 offset1:1
	ds_write_b32 v1, v26 offset:512
.LBB124_40:
	s_or_b64 exec, exec, s[0:1]
	v_cmp_gt_u32_e32 vcc, 64, v0
	s_waitcnt lgkmcnt(0)
	s_barrier
	s_and_saveexec_b64 s[0:1], vcc
	s_cbranch_execz .LBB124_42
; %bb.41:
	v_mov_b32_e32 v1, 0x190
	v_lshl_add_u32 v2, v0, 2, v1
	ds_read2st64_b32 v[0:1], v2 offset1:1
	ds_read_b32 v2, v2 offset:512
	s_waitcnt lgkmcnt(1)
	v_add_f32_e32 v28, v28, v0
	v_add_f32_e32 v27, v27, v1
	s_waitcnt lgkmcnt(0)
	v_add_f32_e32 v26, v26, v2
.LBB124_42:
	s_or_b64 exec, exec, s[0:1]
	s_barrier
	s_and_saveexec_b64 s[0:1], vcc
	s_cbranch_execz .LBB124_44
; %bb.43:
	s_mul_i32 s0, s10, s11
	s_mul_i32 s0, s0, s9
	s_mulk_i32 s0, 0xc0
	s_ashr_i32 s1, s0, 31
	s_lshl_b64 s[0:1], s[0:1], 1
	s_add_u32 s2, s18, s0
	s_mul_i32 s0, s11, s16
	s_addc_u32 s3, s19, s1
	s_ashr_i32 s1, s0, 31
	s_lshl_b64 s[0:1], s[0:1], 1
	s_add_u32 s2, s2, s0
	s_mul_i32 s0, s8, 0xc0
	s_addc_u32 s3, s3, s1
	s_ashr_i32 s1, s0, 31
	s_lshl_b64 s[0:1], s[0:1], 1
	s_add_u32 s0, s2, s0
	v_bfe_u32 v0, v28, 16, 1
	s_movk_i32 s2, 0x7fff
	v_add3_u32 v0, v0, v28, s2
	v_or_b32_e32 v1, 0x400000, v28
	v_cmp_u_f32_e32 vcc, v28, v28
	s_addc_u32 s1, s3, s1
	v_cndmask_b32_e32 v0, v0, v1, vcc
	global_store_short_d16_hi v23, v0, s[0:1]
	v_bfe_u32 v0, v27, 16, 1
	v_add3_u32 v0, v0, v27, s2
	v_or_b32_e32 v1, 0x400000, v27
	v_cmp_u_f32_e32 vcc, v27, v27
	v_cndmask_b32_e32 v0, v0, v1, vcc
	global_store_short_d16_hi v23, v0, s[0:1] offset:128
	v_bfe_u32 v0, v26, 16, 1
	v_add3_u32 v0, v0, v26, s2
	v_or_b32_e32 v1, 0x400000, v26
	v_cmp_u_f32_e32 vcc, v26, v26
	v_cndmask_b32_e32 v0, v0, v1, vcc
	global_store_short_d16_hi v23, v0, s[0:1] offset:256
.LBB124_44:
	s_endpgm
	.section	.rodata,"a",@progbits
	.p2align	6, 0x0
	.amdhsa_kernel _ZN4vllm25paged_attention_v1_kernelI14__hip_bfloat16S1_Li192ELi8ELi128ELNS_18Fp8KVCacheDataTypeE0ELb0EEEvPT_PKS3_PKT0_S9_ifPKiSB_iPKfiiiSD_SD_iiiii
		.amdhsa_group_segment_fixed_size 400
		.amdhsa_private_segment_fixed_size 0
		.amdhsa_kernarg_size 384
		.amdhsa_user_sgpr_count 6
		.amdhsa_user_sgpr_private_segment_buffer 1
		.amdhsa_user_sgpr_dispatch_ptr 0
		.amdhsa_user_sgpr_queue_ptr 0
		.amdhsa_user_sgpr_kernarg_segment_ptr 1
		.amdhsa_user_sgpr_dispatch_id 0
		.amdhsa_user_sgpr_flat_scratch_init 0
		.amdhsa_user_sgpr_private_segment_size 0
		.amdhsa_uses_dynamic_stack 0
		.amdhsa_system_sgpr_private_segment_wavefront_offset 0
		.amdhsa_system_sgpr_workgroup_id_x 1
		.amdhsa_system_sgpr_workgroup_id_y 1
		.amdhsa_system_sgpr_workgroup_id_z 1
		.amdhsa_system_sgpr_workgroup_info 0
		.amdhsa_system_vgpr_workitem_id 0
		.amdhsa_next_free_vgpr 46
		.amdhsa_next_free_sgpr 34
		.amdhsa_reserve_vcc 1
		.amdhsa_reserve_flat_scratch 0
		.amdhsa_float_round_mode_32 0
		.amdhsa_float_round_mode_16_64 0
		.amdhsa_float_denorm_mode_32 3
		.amdhsa_float_denorm_mode_16_64 3
		.amdhsa_dx10_clamp 1
		.amdhsa_ieee_mode 1
		.amdhsa_fp16_overflow 0
		.amdhsa_exception_fp_ieee_invalid_op 0
		.amdhsa_exception_fp_denorm_src 0
		.amdhsa_exception_fp_ieee_div_zero 0
		.amdhsa_exception_fp_ieee_overflow 0
		.amdhsa_exception_fp_ieee_underflow 0
		.amdhsa_exception_fp_ieee_inexact 0
		.amdhsa_exception_int_div_zero 0
	.end_amdhsa_kernel
	.section	.text._ZN4vllm25paged_attention_v1_kernelI14__hip_bfloat16S1_Li192ELi8ELi128ELNS_18Fp8KVCacheDataTypeE0ELb0EEEvPT_PKS3_PKT0_S9_ifPKiSB_iPKfiiiSD_SD_iiiii,"axG",@progbits,_ZN4vllm25paged_attention_v1_kernelI14__hip_bfloat16S1_Li192ELi8ELi128ELNS_18Fp8KVCacheDataTypeE0ELb0EEEvPT_PKS3_PKT0_S9_ifPKiSB_iPKfiiiSD_SD_iiiii,comdat
.Lfunc_end124:
	.size	_ZN4vllm25paged_attention_v1_kernelI14__hip_bfloat16S1_Li192ELi8ELi128ELNS_18Fp8KVCacheDataTypeE0ELb0EEEvPT_PKS3_PKT0_S9_ifPKiSB_iPKfiiiSD_SD_iiiii, .Lfunc_end124-_ZN4vllm25paged_attention_v1_kernelI14__hip_bfloat16S1_Li192ELi8ELi128ELNS_18Fp8KVCacheDataTypeE0ELb0EEEvPT_PKS3_PKT0_S9_ifPKiSB_iPKfiiiSD_SD_iiiii
                                        ; -- End function
	.set _ZN4vllm25paged_attention_v1_kernelI14__hip_bfloat16S1_Li192ELi8ELi128ELNS_18Fp8KVCacheDataTypeE0ELb0EEEvPT_PKS3_PKT0_S9_ifPKiSB_iPKfiiiSD_SD_iiiii.num_vgpr, 46
	.set _ZN4vllm25paged_attention_v1_kernelI14__hip_bfloat16S1_Li192ELi8ELi128ELNS_18Fp8KVCacheDataTypeE0ELb0EEEvPT_PKS3_PKT0_S9_ifPKiSB_iPKfiiiSD_SD_iiiii.num_agpr, 0
	.set _ZN4vllm25paged_attention_v1_kernelI14__hip_bfloat16S1_Li192ELi8ELi128ELNS_18Fp8KVCacheDataTypeE0ELb0EEEvPT_PKS3_PKT0_S9_ifPKiSB_iPKfiiiSD_SD_iiiii.numbered_sgpr, 34
	.set _ZN4vllm25paged_attention_v1_kernelI14__hip_bfloat16S1_Li192ELi8ELi128ELNS_18Fp8KVCacheDataTypeE0ELb0EEEvPT_PKS3_PKT0_S9_ifPKiSB_iPKfiiiSD_SD_iiiii.num_named_barrier, 0
	.set _ZN4vllm25paged_attention_v1_kernelI14__hip_bfloat16S1_Li192ELi8ELi128ELNS_18Fp8KVCacheDataTypeE0ELb0EEEvPT_PKS3_PKT0_S9_ifPKiSB_iPKfiiiSD_SD_iiiii.private_seg_size, 0
	.set _ZN4vllm25paged_attention_v1_kernelI14__hip_bfloat16S1_Li192ELi8ELi128ELNS_18Fp8KVCacheDataTypeE0ELb0EEEvPT_PKS3_PKT0_S9_ifPKiSB_iPKfiiiSD_SD_iiiii.uses_vcc, 1
	.set _ZN4vllm25paged_attention_v1_kernelI14__hip_bfloat16S1_Li192ELi8ELi128ELNS_18Fp8KVCacheDataTypeE0ELb0EEEvPT_PKS3_PKT0_S9_ifPKiSB_iPKfiiiSD_SD_iiiii.uses_flat_scratch, 0
	.set _ZN4vllm25paged_attention_v1_kernelI14__hip_bfloat16S1_Li192ELi8ELi128ELNS_18Fp8KVCacheDataTypeE0ELb0EEEvPT_PKS3_PKT0_S9_ifPKiSB_iPKfiiiSD_SD_iiiii.has_dyn_sized_stack, 0
	.set _ZN4vllm25paged_attention_v1_kernelI14__hip_bfloat16S1_Li192ELi8ELi128ELNS_18Fp8KVCacheDataTypeE0ELb0EEEvPT_PKS3_PKT0_S9_ifPKiSB_iPKfiiiSD_SD_iiiii.has_recursion, 0
	.set _ZN4vllm25paged_attention_v1_kernelI14__hip_bfloat16S1_Li192ELi8ELi128ELNS_18Fp8KVCacheDataTypeE0ELb0EEEvPT_PKS3_PKT0_S9_ifPKiSB_iPKfiiiSD_SD_iiiii.has_indirect_call, 0
	.section	.AMDGPU.csdata,"",@progbits
; Kernel info:
; codeLenInByte = 5416
; TotalNumSgprs: 38
; NumVgprs: 46
; ScratchSize: 0
; MemoryBound: 0
; FloatMode: 240
; IeeeMode: 1
; LDSByteSize: 400 bytes/workgroup (compile time only)
; SGPRBlocks: 4
; VGPRBlocks: 11
; NumSGPRsForWavesPerEU: 38
; NumVGPRsForWavesPerEU: 46
; Occupancy: 5
; WaveLimiterHint : 1
; COMPUTE_PGM_RSRC2:SCRATCH_EN: 0
; COMPUTE_PGM_RSRC2:USER_SGPR: 6
; COMPUTE_PGM_RSRC2:TRAP_HANDLER: 0
; COMPUTE_PGM_RSRC2:TGID_X_EN: 1
; COMPUTE_PGM_RSRC2:TGID_Y_EN: 1
; COMPUTE_PGM_RSRC2:TGID_Z_EN: 1
; COMPUTE_PGM_RSRC2:TIDIG_COMP_CNT: 0
	.section	.text._ZN4vllm25paged_attention_v1_kernelI14__hip_bfloat16S1_Li256ELi8ELi128ELNS_18Fp8KVCacheDataTypeE0ELb0EEEvPT_PKS3_PKT0_S9_ifPKiSB_iPKfiiiSD_SD_iiiii,"axG",@progbits,_ZN4vllm25paged_attention_v1_kernelI14__hip_bfloat16S1_Li256ELi8ELi128ELNS_18Fp8KVCacheDataTypeE0ELb0EEEvPT_PKS3_PKT0_S9_ifPKiSB_iPKfiiiSD_SD_iiiii,comdat
	.protected	_ZN4vllm25paged_attention_v1_kernelI14__hip_bfloat16S1_Li256ELi8ELi128ELNS_18Fp8KVCacheDataTypeE0ELb0EEEvPT_PKS3_PKT0_S9_ifPKiSB_iPKfiiiSD_SD_iiiii ; -- Begin function _ZN4vllm25paged_attention_v1_kernelI14__hip_bfloat16S1_Li256ELi8ELi128ELNS_18Fp8KVCacheDataTypeE0ELb0EEEvPT_PKS3_PKT0_S9_ifPKiSB_iPKfiiiSD_SD_iiiii
	.globl	_ZN4vllm25paged_attention_v1_kernelI14__hip_bfloat16S1_Li256ELi8ELi128ELNS_18Fp8KVCacheDataTypeE0ELb0EEEvPT_PKS3_PKT0_S9_ifPKiSB_iPKfiiiSD_SD_iiiii
	.p2align	8
	.type	_ZN4vllm25paged_attention_v1_kernelI14__hip_bfloat16S1_Li256ELi8ELi128ELNS_18Fp8KVCacheDataTypeE0ELb0EEEvPT_PKS3_PKT0_S9_ifPKiSB_iPKfiiiSD_SD_iiiii,@function
_ZN4vllm25paged_attention_v1_kernelI14__hip_bfloat16S1_Li256ELi8ELi128ELNS_18Fp8KVCacheDataTypeE0ELb0EEEvPT_PKS3_PKT0_S9_ifPKiSB_iPKfiiiSD_SD_iiiii: ; @_ZN4vllm25paged_attention_v1_kernelI14__hip_bfloat16S1_Li256ELi8ELi128ELNS_18Fp8KVCacheDataTypeE0ELb0EEEvPT_PKS3_PKT0_S9_ifPKiSB_iPKfiiiSD_SD_iiiii
; %bb.0:
	s_load_dword s9, s[4:5], 0x80
	s_load_dwordx2 s[0:1], s[4:5], 0x30
	s_load_dwordx2 s[26:27], s[4:5], 0x20
	s_mov_b32 s10, s7
	s_ashr_i32 s11, s7, 31
	s_lshl_b64 s[2:3], s[10:11], 2
	s_waitcnt lgkmcnt(0)
	s_add_u32 s0, s0, s2
	s_addc_u32 s1, s1, s3
	s_abs_i32 s2, s26
	v_cvt_f32_u32_e32 v1, s2
	s_sub_i32 s11, 0, s2
	s_abs_i32 s7, s9
	s_xor_b32 s3, s9, s26
	v_rcp_iflag_f32_e32 v1, v1
	s_ashr_i32 s3, s3, 31
	s_mov_b32 s26, 0
	v_mul_f32_e32 v1, 0x4f7ffffe, v1
	v_cvt_u32_f32_e32 v1, v1
	v_readfirstlane_b32 s12, v1
	s_mul_i32 s11, s11, s12
	s_mul_hi_u32 s11, s12, s11
	s_add_i32 s12, s12, s11
	s_mul_hi_u32 s11, s7, s12
	s_mul_i32 s12, s11, s2
	s_sub_i32 s7, s7, s12
	s_add_i32 s12, s11, 1
	s_sub_i32 s13, s7, s2
	s_cmp_ge_u32 s7, s2
	s_cselect_b32 s11, s12, s11
	s_cselect_b32 s7, s13, s7
	s_add_i32 s12, s11, 1
	s_cmp_ge_u32 s7, s2
	s_cselect_b32 s2, s12, s11
	s_xor_b32 s2, s2, s3
	s_sub_i32 s11, s2, s3
	s_abs_i32 s18, s11
	v_cvt_f32_u32_e32 v1, s18
	s_load_dwordx2 s[2:3], s[4:5], 0x40
	s_sub_i32 s7, 0, s18
	s_abs_i32 s19, s6
	v_rcp_iflag_f32_e32 v1, v1
	v_mul_f32_e32 v1, 0x4f7ffffe, v1
	v_cvt_u32_f32_e32 v1, v1
	v_readfirstlane_b32 s12, v1
	s_mul_i32 s7, s7, s12
	s_mul_hi_u32 s7, s12, s7
	s_add_i32 s12, s12, s7
	s_waitcnt lgkmcnt(0)
	s_cmp_eq_u64 s[2:3], 0
	s_mul_hi_u32 s22, s19, s12
	s_cbranch_scc1 .LBB125_2
; %bb.1:
	s_ashr_i32 s7, s6, 31
	s_lshl_b64 s[12:13], s[6:7], 2
	s_add_u32 s2, s2, s12
	s_addc_u32 s3, s3, s13
	s_load_dword s26, s[2:3], 0x0
.LBB125_2:
	s_load_dword s33, s[0:1], 0x0
	s_ashr_i32 s23, s11, 31
	s_load_dword s11, s[4:5], 0x88
	s_load_dwordx4 s[12:15], s[4:5], 0x48
	s_movk_i32 s0, 0x100
	s_ashr_i32 s7, s6, 31
	v_and_b32_e32 v1, 7, v0
	s_lshl_b32 s16, s6, 8
	v_cmp_gt_u32_e32 vcc, s0, v0
	v_lshlrev_b32_e32 v27, 1, v0
	s_and_saveexec_b64 s[0:1], vcc
	s_cbranch_execz .LBB125_5
; %bb.3:
	s_load_dwordx2 s[2:3], s[4:5], 0x8
	s_waitcnt lgkmcnt(0)
	s_mul_i32 s20, s12, s10
	s_ashr_i32 s21, s20, 31
	s_lshl_b64 s[20:21], s[20:21], 1
	v_lshrrev_b32_e32 v3, 3, v0
	s_add_u32 s6, s2, s20
	s_addc_u32 s12, s3, s21
	s_ashr_i32 s17, s16, 31
	s_lshl_b64 s[2:3], s[16:17], 1
	s_add_u32 s2, s6, s2
	s_addc_u32 s3, s12, s3
	global_load_ushort v4, v27, s[2:3]
	s_movk_i32 s6, 0x80
	v_lshlrev_b32_e32 v2, 1, v3
	v_lshl_add_u32 v2, v1, 6, v2
	v_cmp_gt_u32_e32 vcc, s6, v0
	s_waitcnt vmcnt(0)
	ds_write_b16 v2, v4
	s_and_b64 exec, exec, vcc
	s_cbranch_execz .LBB125_5
; %bb.4:
	v_lshlrev_b32_e32 v3, 4, v3
	v_lshlrev_b32_e32 v4, 1, v1
	s_movk_i32 s6, 0x100
	v_or3_b32 v3, v3, v4, s6
	global_load_ushort v3, v3, s[2:3]
	s_waitcnt vmcnt(0)
	ds_write_b16 v2, v3 offset:32
.LBB125_5:
	s_or_b64 exec, exec, s[0:1]
	s_waitcnt lgkmcnt(0)
	s_add_i32 s1, s33, 7
	s_ashr_i32 s2, s1, 31
	s_lshr_b32 s2, s2, 29
	s_add_i32 s1, s1, s2
	s_mul_i32 s2, s22, s18
	s_sub_i32 s2, s19, s2
	s_ashr_i32 s17, s1, 3
	s_xor_b32 s1, s7, s23
	s_add_i32 s3, s22, 1
	s_sub_i32 s6, s2, s18
	s_load_dwordx2 s[20:21], s[4:5], 0x28
	s_load_dword s0, s[4:5], 0x38
	s_cmp_ge_u32 s2, s18
	s_cselect_b32 s3, s3, s22
	s_cselect_b32 s2, s6, s2
	s_add_i32 s6, s3, 1
	s_cmp_ge_u32 s2, s18
	s_cselect_b32 s2, s6, s3
	v_lshrrev_b32_e32 v28, 6, v0
	s_xor_b32 s2, s2, s1
	s_waitcnt lgkmcnt(0)
	s_mul_i32 s22, s0, s10
	s_sub_i32 s12, s2, s1
	s_ashr_i32 s23, s22, 31
	v_cmp_gt_i32_e64 s[0:1], s17, v28
	v_cmp_le_i32_e32 vcc, s17, v28
	v_mbcnt_lo_u32_b32 v3, -1, 0
	s_barrier
                                        ; implicit-def: $vgpr6
                                        ; implicit-def: $vgpr8
                                        ; implicit-def: $vgpr7
	s_and_saveexec_b64 s[2:3], vcc
	s_xor_b64 s[2:3], exec, s[2:3]
; %bb.6:
	v_mbcnt_hi_u32_b32 v6, -1, v3
	v_and_b32_e32 v8, 64, v6
	v_add_u32_e32 v7, 64, v8
                                        ; implicit-def: $vgpr1
                                        ; implicit-def: $vgpr3
; %bb.7:
	s_or_saveexec_b64 s[6:7], s[2:3]
	s_load_dwordx2 s[18:19], s[4:5], 0x0
	s_load_dwordx2 s[24:25], s[4:5], 0x18
	v_mov_b32_e32 v43, 0xff7fffff
	s_mul_i32 s14, s12, s14
	v_lshrrev_b32_e32 v5, 4, v0
	s_xor_b64 exec, exec, s[6:7]
	s_cbranch_execz .LBB125_13
; %bb.8:
	s_load_dwordx2 s[2:3], s[4:5], 0x10
	s_ashr_i32 s15, s14, 31
	s_lshl_b64 s[4:5], s[14:15], 1
	v_lshlrev_b32_e32 v2, 6, v1
	v_lshlrev_b32_e32 v7, 1, v1
	s_waitcnt lgkmcnt(0)
	s_add_u32 s4, s2, s4
	s_addc_u32 s5, s3, s5
	s_sub_i32 s12, 1, s33
	s_lshl_b64 s[2:3], s[22:23], 2
	s_add_u32 s2, s20, s2
	v_cmp_eq_u32_e32 vcc, 0, v1
	s_addc_u32 s3, s21, s3
	v_and_b32_e32 v1, 60, v5
	ds_read_b128 v[13:16], v2
	ds_read_b128 v[21:24], v2 offset:16
	ds_read_b128 v[31:34], v2 offset:32
	;; [unrolled: 1-line block ×3, first 2 shown]
	v_bfe_u32 v4, v0, 3, 3
	v_mov_b32_e32 v2, s3
	v_add_co_u32_e64 v1, s[2:3], s2, v1
	v_lshlrev_b32_e32 v6, 4, v4
	v_addc_co_u32_e64 v2, s[2:3], 0, v2, s[2:3]
	v_mov_b32_e32 v8, s5
	v_add_co_u32_e64 v6, s[2:3], s4, v6
	v_addc_co_u32_e64 v8, s[2:3], 0, v8, s[2:3]
	v_add_co_u32_e64 v44, s[2:3], v6, v7
	v_mbcnt_hi_u32_b32 v6, -1, v3
	v_addc_co_u32_e64 v45, s[2:3], 0, v8, s[2:3]
	v_and_b32_e32 v8, 64, v6
	v_add_u32_e32 v7, 64, v8
	v_xor_b32_e32 v3, 4, v6
	v_cmp_lt_i32_e64 s[2:3], v3, v7
	v_cndmask_b32_e64 v3, v6, v3, s[2:3]
	v_lshlrev_b32_e32 v46, 2, v3
	v_xor_b32_e32 v3, 2, v6
	v_cmp_lt_i32_e64 s[2:3], v3, v7
	v_cndmask_b32_e64 v3, v6, v3, s[2:3]
	v_lshlrev_b32_e32 v47, 2, v3
	;; [unrolled: 4-line block ×3, first 2 shown]
	v_lshlrev_b32_e32 v3, 2, v4
	v_lshl_or_b32 v3, v28, 5, v3
	s_waitcnt lgkmcnt(3)
	v_lshlrev_b32_e32 v9, 16, v13
	v_and_b32_e32 v10, 0xffff0000, v13
	v_lshlrev_b32_e32 v11, 16, v14
	v_and_b32_e32 v12, 0xffff0000, v14
	v_lshlrev_b32_e32 v13, 16, v15
	v_and_b32_e32 v14, 0xffff0000, v15
	v_lshlrev_b32_e32 v15, 16, v16
	v_and_b32_e32 v16, 0xffff0000, v16
	s_waitcnt lgkmcnt(2)
	v_lshlrev_b32_e32 v17, 16, v21
	v_and_b32_e32 v18, 0xffff0000, v21
	v_lshlrev_b32_e32 v19, 16, v22
	v_and_b32_e32 v20, 0xffff0000, v22
	v_lshlrev_b32_e32 v21, 16, v23
	v_and_b32_e32 v22, 0xffff0000, v23
	v_lshlrev_b32_e32 v23, 16, v24
	v_and_b32_e32 v24, 0xffff0000, v24
	;; [unrolled: 9-line block ×4, first 2 shown]
	s_mov_b32 s15, s13
	v_cmp_neq_f32_e64 s[2:3], s26, 0
	v_lshl_or_b32 v49, v28, 3, v4
	v_add_u32_e32 v50, 0x210, v3
	s_mov_b64 s[28:29], 0
	v_mov_b32_e32 v43, 0xff7fffff
	v_mov_b32_e32 v51, v28
	s_branch .LBB125_10
.LBB125_9:                              ;   in Loop: Header=BB125_10 Depth=1
	s_or_b64 exec, exec, s[30:31]
	v_add_u32_e32 v51, 2, v51
	v_cmp_le_i32_e64 s[4:5], s17, v51
	s_or_b64 s[28:29], s[4:5], s[28:29]
	v_add_co_u32_e64 v1, s[4:5], 8, v1
	v_add_u32_e32 v49, 16, v49
	v_add_u32_e32 v50, 64, v50
	v_addc_co_u32_e64 v2, s[4:5], 0, v2, s[4:5]
	s_andn2_b64 exec, exec, s[28:29]
	s_cbranch_execz .LBB125_12
.LBB125_10:                             ; =>This Inner Loop Header: Depth=1
	global_load_dword v3, v[1:2], off
	s_waitcnt vmcnt(0) lgkmcnt(0)
	v_mad_i64_i32 v[3:4], s[4:5], v3, s15, 0
	v_lshlrev_b64 v[3:4], 1, v[3:4]
	v_add_co_u32_e64 v3, s[4:5], v44, v3
	v_addc_co_u32_e64 v4, s[4:5], v45, v4, s[4:5]
	global_load_ushort v52, v[3:4], off
	s_waitcnt vmcnt(0)
	v_lshlrev_b32_e32 v53, 16, v52
	global_load_ushort v52, v[3:4], off offset:128
	s_waitcnt vmcnt(0)
	v_lshlrev_b32_e32 v52, 16, v52
	v_mul_f32_e32 v52, v10, v52
	v_fmac_f32_e32 v52, v9, v53
	global_load_ushort v53, v[3:4], off offset:256
	s_waitcnt vmcnt(0)
	v_lshlrev_b32_e32 v53, 16, v53
	v_fmac_f32_e32 v52, v11, v53
	global_load_ushort v53, v[3:4], off offset:384
	s_waitcnt vmcnt(0)
	v_lshlrev_b32_e32 v53, 16, v53
	;; [unrolled: 4-line block ×29, first 2 shown]
	global_load_ushort v3, v[3:4], off offset:3968
	v_fmac_f32_e32 v52, v41, v53
	s_waitcnt vmcnt(0)
	v_lshlrev_b32_e32 v3, 16, v3
	v_fmac_f32_e32 v52, v42, v3
	ds_bpermute_b32 v3, v46, v52
	s_waitcnt lgkmcnt(0)
	v_add_f32_e32 v3, v52, v3
	ds_bpermute_b32 v4, v47, v3
	s_waitcnt lgkmcnt(0)
	v_add_f32_e32 v3, v3, v4
	ds_bpermute_b32 v4, v48, v3
	s_and_saveexec_b64 s[30:31], vcc
	s_cbranch_execz .LBB125_9
; %bb.11:                               ;   in Loop: Header=BB125_10 Depth=1
	v_add_u32_e32 v52, s12, v49
	v_cvt_f32_i32_e32 v52, v52
	s_waitcnt lgkmcnt(0)
	v_add_f32_e32 v3, v3, v4
	v_cmp_gt_i32_e64 s[4:5], s33, v49
	v_max_f32_e32 v4, v43, v43
	v_mul_f32_e32 v52, s26, v52
	v_cndmask_b32_e64 v52, 0, v52, s[2:3]
	v_fmac_f32_e32 v52, s27, v3
	v_cndmask_b32_e64 v3, 0, v52, s[4:5]
	ds_write_b32 v50, v3
	v_max_f32_e32 v3, v4, v52
	v_cndmask_b32_e64 v43, v43, v3, s[4:5]
	s_branch .LBB125_9
.LBB125_12:
	s_or_b64 exec, exec, s[28:29]
.LBB125_13:
	s_or_b64 exec, exec, s[6:7]
	v_xor_b32_e32 v1, 32, v6
	v_cmp_lt_i32_e32 vcc, v1, v7
	v_cndmask_b32_e32 v1, v6, v1, vcc
	v_lshlrev_b32_e32 v2, 2, v1
	ds_bpermute_b32 v1, v2, v43
	s_waitcnt lgkmcnt(0)
	v_xor_b32_e32 v4, 16, v6
	v_max_f32_e32 v3, v43, v43
	v_cmp_lt_i32_e32 vcc, v4, v7
	v_xor_b32_e32 v9, 8, v6
	v_max_f32_e32 v1, v1, v1
	v_max_f32_e32 v1, v3, v1
	v_cndmask_b32_e32 v3, v6, v4, vcc
	v_lshlrev_b32_e32 v4, 2, v3
	ds_bpermute_b32 v3, v4, v1
	v_cmp_lt_i32_e32 vcc, v9, v7
	v_and_b32_e32 v29, 63, v0
	s_waitcnt lgkmcnt(0)
	v_max_f32_e32 v3, v3, v3
	v_max_f32_e32 v3, v1, v3
	v_cndmask_b32_e32 v1, v6, v9, vcc
	v_lshlrev_b32_e32 v10, 2, v1
	ds_bpermute_b32 v9, v10, v3
	v_cmp_eq_u32_e32 vcc, 0, v29
	v_lshlrev_b32_e32 v1, 2, v28
	s_and_saveexec_b64 s[2:3], vcc
	s_cbranch_execz .LBB125_15
; %bb.14:
	s_waitcnt lgkmcnt(0)
	v_max_f32_e32 v9, v9, v9
	v_max_f32_e32 v3, v3, v3
	;; [unrolled: 1-line block ×3, first 2 shown]
	ds_write_b32 v1, v3 offset:512
.LBB125_15:
	s_or_b64 exec, exec, s[2:3]
	v_cmp_gt_u32_e64 s[2:3], 2, v29
	v_mov_b32_e32 v11, 0xff7fffff
	v_lshlrev_b32_e32 v3, 2, v29
	s_waitcnt lgkmcnt(0)
	s_barrier
	s_and_saveexec_b64 s[4:5], s[2:3]
; %bb.16:
	ds_read_b32 v11, v3 offset:512
; %bb.17:
	s_or_b64 exec, exec, s[4:5]
	v_xor_b32_e32 v9, 1, v6
	v_cmp_lt_i32_e64 s[4:5], v9, v7
	v_cndmask_b32_e64 v9, v6, v9, s[4:5]
	v_lshlrev_b32_e32 v9, 2, v9
	s_waitcnt lgkmcnt(0)
	ds_bpermute_b32 v12, v9, v11
	v_max_f32_e32 v11, v11, v11
	v_lshlrev_b32_e32 v8, 2, v8
	s_lshl_b32 s4, s17, 3
	s_min_i32 s12, s4, s33
	s_waitcnt lgkmcnt(0)
	v_max_f32_e32 v12, v12, v12
	v_max_f32_e32 v11, v11, v12
	ds_bpermute_b32 v11, v8, v11
	v_cmp_gt_i32_e64 s[4:5], s12, v0
	v_mov_b32_e32 v8, 0
	s_and_saveexec_b64 s[26:27], s[4:5]
	s_cbranch_execz .LBB125_21
; %bb.18:
	v_mov_b32_e32 v8, 0x210
	v_lshl_add_u32 v12, v0, 2, v8
	v_mov_b32_e32 v8, 0
	s_mov_b64 s[28:29], 0
	v_mov_b32_e32 v13, v0
.LBB125_19:                             ; =>This Inner Loop Header: Depth=1
	ds_read_b32 v14, v12
	v_add_u32_e32 v13, 0x80, v13
	v_cmp_le_i32_e64 s[6:7], s12, v13
	s_or_b64 s[28:29], s[6:7], s[28:29]
	s_waitcnt lgkmcnt(0)
	v_sub_f32_e32 v14, v14, v11
	v_mul_f32_e32 v14, 0x3fb8aa3b, v14
	v_exp_f32_e32 v14, v14
	ds_write_b32 v12, v14
	v_add_f32_e32 v8, v8, v14
	v_add_u32_e32 v12, 0x200, v12
	s_andn2_b64 exec, exec, s[28:29]
	s_cbranch_execnz .LBB125_19
; %bb.20:
	s_or_b64 exec, exec, s[28:29]
.LBB125_21:
	s_or_b64 exec, exec, s[26:27]
	ds_bpermute_b32 v2, v2, v8
	s_waitcnt lgkmcnt(0)
	v_add_f32_e32 v2, v8, v2
	ds_bpermute_b32 v4, v4, v2
	v_xor_b32_e32 v8, 4, v6
	v_cmp_lt_i32_e64 s[6:7], v8, v7
	v_cndmask_b32_e64 v8, v6, v8, s[6:7]
	v_lshlrev_b32_e32 v8, 2, v8
	s_waitcnt lgkmcnt(0)
	v_add_f32_e32 v2, v2, v4
	ds_bpermute_b32 v4, v10, v2
	s_waitcnt lgkmcnt(0)
	v_add_f32_e32 v2, v2, v4
	ds_bpermute_b32 v4, v8, v2
	v_xor_b32_e32 v8, 2, v6
	v_cmp_lt_i32_e64 s[6:7], v8, v7
	v_cndmask_b32_e64 v7, v6, v8, s[6:7]
	s_waitcnt lgkmcnt(0)
	v_add_f32_e32 v2, v2, v4
	v_lshlrev_b32_e32 v4, 2, v7
	ds_bpermute_b32 v4, v4, v2
	s_waitcnt lgkmcnt(0)
	v_add_f32_e32 v2, v2, v4
	ds_bpermute_b32 v4, v9, v2
	s_waitcnt lgkmcnt(0)
	v_add_f32_e32 v2, v2, v4
	s_and_saveexec_b64 s[6:7], vcc
; %bb.22:
	ds_write_b32 v1, v2 offset:520
; %bb.23:
	s_or_b64 exec, exec, s[6:7]
	s_waitcnt lgkmcnt(0)
	s_barrier
	s_and_saveexec_b64 s[6:7], s[2:3]
; %bb.24:
	ds_read_b32 v2, v3 offset:520
; %bb.25:
	s_or_b64 exec, exec, s[6:7]
	s_waitcnt lgkmcnt(0)
	ds_bpermute_b32 v1, v9, v2
	v_lshlrev_b32_e32 v3, 2, v6
	s_waitcnt lgkmcnt(0)
	v_add_f32_e32 v1, v2, v1
	v_and_b32_e32 v2, 0xffffff00, v3
	ds_bpermute_b32 v1, v2, v1
	s_and_saveexec_b64 s[2:3], s[4:5]
	s_cbranch_execz .LBB125_28
; %bb.26:
	s_waitcnt lgkmcnt(0)
	v_add_f32_e32 v2, 0x358637bd, v1
	v_div_scale_f32 v1, s[4:5], v2, v2, 1.0
	v_div_scale_f32 v3, vcc, 1.0, v2, 1.0
	s_mov_b64 s[4:5], 0
	v_rcp_f32_e32 v4, v1
	v_fma_f32 v6, -v1, v4, 1.0
	v_fmac_f32_e32 v4, v6, v4
	v_mul_f32_e32 v6, v3, v4
	v_fma_f32 v7, -v1, v6, v3
	v_fmac_f32_e32 v6, v7, v4
	v_fma_f32 v1, -v1, v6, v3
	v_div_fmas_f32 v3, v1, v4, v6
	v_mov_b32_e32 v1, 0x210
	v_lshl_add_u32 v1, v0, 2, v1
	v_div_fixup_f32 v2, v3, v2, 1.0
	v_mov_b32_e32 v3, v0
.LBB125_27:                             ; =>This Inner Loop Header: Depth=1
	ds_read_b32 v4, v1
	v_add_u32_e32 v3, 0x80, v3
	v_cmp_le_i32_e32 vcc, s12, v3
	s_or_b64 s[4:5], vcc, s[4:5]
	s_waitcnt lgkmcnt(0)
	v_mul_f32_e32 v4, v2, v4
	ds_write_b32 v1, v4
	v_add_u32_e32 v1, 0x200, v1
	s_andn2_b64 exec, exec, s[4:5]
	s_cbranch_execnz .LBB125_27
.LBB125_28:
	s_or_b64 exec, exec, s[2:3]
	v_mov_b32_e32 v33, 0
	v_mov_b32_e32 v32, 0
	;; [unrolled: 1-line block ×4, first 2 shown]
	s_waitcnt lgkmcnt(0)
	s_barrier
	s_and_saveexec_b64 s[4:5], s[0:1]
	s_cbranch_execz .LBB125_40
; %bb.29:
	s_ashr_i32 s15, s14, 31
	s_lshl_b64 s[0:1], s[14:15], 1
	s_add_u32 s0, s24, s0
	s_addc_u32 s1, s25, s1
	v_lshlrev_b32_e32 v1, 4, v29
	s_add_i32 s14, s17, -1
	v_mov_b32_e32 v2, s1
	v_add_co_u32_e32 v35, vcc, s0, v1
	s_lshl_b64 s[0:1], s[22:23], 2
	v_mov_b32_e32 v1, 0x210
	s_add_u32 s0, s20, s0
	v_addc_co_u32_e32 v36, vcc, 0, v2, vcc
	v_lshl_add_u32 v38, v28, 5, v1
	v_and_b32_e32 v1, 60, v5
	s_addc_u32 s1, s21, s1
	v_mov_b32_e32 v2, s1
	v_add_co_u32_e32 v25, vcc, s0, v1
	s_mov_b32 s26, s13
	v_mov_b32_e32 v34, 0
	s_mov_b32 s15, s33
	v_lshlrev_b32_e32 v37, 3, v28
	v_addc_co_u32_e32 v26, vcc, 0, v2, vcc
	s_mov_b64 s[6:7], 0
	s_mov_b32 s20, 0x5040100
	s_movk_i32 s21, 0x7fff
	v_mov_b32_e32 v30, 0
	v_mov_b32_e32 v31, 0
	;; [unrolled: 1-line block ×4, first 2 shown]
	s_branch .LBB125_31
.LBB125_30:                             ;   in Loop: Header=BB125_31 Depth=1
	s_or_b64 exec, exec, s[2:3]
	s_waitcnt lgkmcnt(1)
	v_bfe_u32 v39, v17, 16, 1
	v_add3_u32 v39, v39, v17, s21
	v_or_b32_e32 v40, 0x400000, v17
	v_cmp_u_f32_e32 vcc, v17, v17
	v_cndmask_b32_e32 v17, v39, v40, vcc
	v_bfe_u32 v39, v18, 16, 1
	v_add3_u32 v39, v39, v18, s21
	v_or_b32_e32 v40, 0x400000, v18
	v_cmp_u_f32_e32 vcc, v18, v18
	v_cndmask_b32_e32 v18, v39, v40, vcc
	;; [unrolled: 5-line block ×4, first 2 shown]
	s_waitcnt lgkmcnt(0)
	v_bfe_u32 v39, v13, 16, 1
	v_add3_u32 v39, v39, v13, s21
	v_or_b32_e32 v40, 0x400000, v13
	v_cmp_u_f32_e32 vcc, v13, v13
	v_bfe_u32 v13, v14, 16, 1
	v_cndmask_b32_e32 v39, v39, v40, vcc
	v_add3_u32 v13, v13, v14, s21
	v_or_b32_e32 v40, 0x400000, v14
	v_cmp_u_f32_e32 vcc, v14, v14
	v_cndmask_b32_e32 v40, v13, v40, vcc
	v_bfe_u32 v13, v15, 16, 1
	v_add3_u32 v13, v13, v15, s21
	v_or_b32_e32 v14, 0x400000, v15
	v_cmp_u_f32_e32 vcc, v15, v15
	v_cndmask_b32_e32 v41, v13, v14, vcc
	v_bfe_u32 v13, v16, 16, 1
	v_add3_u32 v13, v13, v16, s21
	v_or_b32_e32 v14, 0x400000, v16
	v_cmp_u_f32_e32 vcc, v16, v16
	v_cndmask_b32_e32 v16, v13, v14, vcc
	v_and_b32_e32 v13, 0xffff0000, v18
	s_waitcnt vmcnt(1)
	v_and_b32_e32 v14, 0xffff0000, v21
	v_mul_f32_e32 v14, v13, v14
	v_bfe_u32 v15, v14, 16, 1
	v_add3_u32 v15, v15, v14, s21
	v_or_b32_e32 v18, 0x400000, v14
	v_cmp_u_f32_e32 vcc, v14, v14
	v_and_b32_e32 v17, 0xffff0000, v17
	v_lshlrev_b32_e32 v14, 16, v21
	v_mul_f32_e32 v14, v17, v14
	v_cndmask_b32_e32 v42, v15, v18, vcc
	v_bfe_u32 v15, v14, 16, 1
	v_add3_u32 v15, v15, v14, s21
	v_or_b32_e32 v18, 0x400000, v14
	v_cmp_u_f32_e32 vcc, v14, v14
	v_cndmask_b32_e32 v21, v15, v18, vcc
	v_and_b32_e32 v14, 0xffff0000, v20
	v_and_b32_e32 v15, 0xffff0000, v22
	v_mul_f32_e32 v15, v14, v15
	v_bfe_u32 v18, v15, 16, 1
	v_add3_u32 v18, v18, v15, s21
	v_or_b32_e32 v20, 0x400000, v15
	v_cmp_u_f32_e32 vcc, v15, v15
	v_cndmask_b32_e32 v43, v18, v20, vcc
	v_and_b32_e32 v18, 0xffff0000, v19
	v_lshlrev_b32_e32 v15, 16, v22
	v_mul_f32_e32 v15, v18, v15
	v_bfe_u32 v19, v15, 16, 1
	v_add3_u32 v19, v19, v15, s21
	v_or_b32_e32 v20, 0x400000, v15
	v_cmp_u_f32_e32 vcc, v15, v15
	v_cndmask_b32_e32 v22, v19, v20, vcc
	v_and_b32_e32 v15, 0xffff0000, v40
	v_and_b32_e32 v19, 0xffff0000, v23
	v_mul_f32_e32 v19, v15, v19
	v_bfe_u32 v20, v19, 16, 1
	v_add3_u32 v20, v20, v19, s21
	v_or_b32_e32 v40, 0x400000, v19
	v_cmp_u_f32_e32 vcc, v19, v19
	v_cndmask_b32_e32 v40, v20, v40, vcc
	v_and_b32_e32 v19, 0xffff0000, v39
	v_lshlrev_b32_e32 v20, 16, v23
	v_mul_f32_e32 v20, v19, v20
	v_bfe_u32 v23, v20, 16, 1
	v_add3_u32 v23, v23, v20, s21
	v_or_b32_e32 v39, 0x400000, v20
	v_cmp_u_f32_e32 vcc, v20, v20
	v_and_b32_e32 v16, 0xffff0000, v16
	v_and_b32_e32 v20, 0xffff0000, v24
	v_mul_f32_e32 v20, v16, v20
	v_cndmask_b32_e32 v23, v23, v39, vcc
	v_bfe_u32 v39, v20, 16, 1
	v_add3_u32 v39, v39, v20, s21
	v_or_b32_e32 v44, 0x400000, v20
	v_cmp_u_f32_e32 vcc, v20, v20
	v_and_b32_e32 v20, 0xffff0000, v41
	v_lshlrev_b32_e32 v24, 16, v24
	v_mul_f32_e32 v24, v20, v24
	v_bfe_u32 v41, v24, 16, 1
	v_cndmask_b32_e32 v39, v39, v44, vcc
	v_add3_u32 v41, v41, v24, s21
	v_or_b32_e32 v44, 0x400000, v24
	v_cmp_u_f32_e32 vcc, v24, v24
	v_cndmask_b32_e32 v24, v41, v44, vcc
	v_and_b32_e32 v21, 0xffff0000, v21
	v_and_b32_e32 v41, 0xffff0000, v42
	v_add_f32_e32 v21, v21, v41
	v_and_b32_e32 v22, 0xffff0000, v22
	v_and_b32_e32 v41, 0xffff0000, v43
	v_add_f32_e32 v22, v22, v41
	v_add_f32_e32 v21, v22, v21
	v_and_b32_e32 v22, 0xffff0000, v23
	v_and_b32_e32 v23, 0xffff0000, v40
	v_add_f32_e32 v22, v22, v23
	;; [unrolled: 4-line block ×3, first 2 shown]
	v_add_f32_e32 v21, v22, v21
	v_add_f32_e32 v31, v31, v21
	v_and_b32_e32 v21, 0xffff0000, v9
	v_mul_f32_e32 v21, v13, v21
	v_bfe_u32 v22, v21, 16, 1
	v_lshlrev_b32_e32 v9, 16, v9
	v_add3_u32 v22, v22, v21, s21
	v_or_b32_e32 v23, 0x400000, v21
	v_cmp_u_f32_e32 vcc, v21, v21
	v_mul_f32_e32 v9, v17, v9
	v_cndmask_b32_e32 v21, v22, v23, vcc
	v_bfe_u32 v22, v9, 16, 1
	v_add3_u32 v22, v22, v9, s21
	v_or_b32_e32 v23, 0x400000, v9
	v_cmp_u_f32_e32 vcc, v9, v9
	v_cndmask_b32_e32 v9, v22, v23, vcc
	v_and_b32_e32 v22, 0xffff0000, v10
	v_mul_f32_e32 v22, v14, v22
	v_bfe_u32 v23, v22, 16, 1
	v_lshlrev_b32_e32 v10, 16, v10
	v_add3_u32 v23, v23, v22, s21
	v_or_b32_e32 v24, 0x400000, v22
	v_cmp_u_f32_e32 vcc, v22, v22
	v_mul_f32_e32 v10, v18, v10
	v_cndmask_b32_e32 v22, v23, v24, vcc
	v_bfe_u32 v23, v10, 16, 1
	v_add3_u32 v23, v23, v10, s21
	v_or_b32_e32 v24, 0x400000, v10
	v_cmp_u_f32_e32 vcc, v10, v10
	v_cndmask_b32_e32 v10, v23, v24, vcc
	;; [unrolled: 14-line block ×3, first 2 shown]
	v_and_b32_e32 v24, 0xffff0000, v12
	v_mul_f32_e32 v24, v16, v24
	v_bfe_u32 v39, v24, 16, 1
	v_lshlrev_b32_e32 v12, 16, v12
	v_and_b32_e32 v9, 0xffff0000, v9
	v_and_b32_e32 v21, 0xffff0000, v21
	v_add3_u32 v39, v39, v24, s21
	v_or_b32_e32 v40, 0x400000, v24
	v_cmp_u_f32_e32 vcc, v24, v24
	v_mul_f32_e32 v12, v20, v12
	v_add_f32_e32 v9, v9, v21
	v_and_b32_e32 v10, 0xffff0000, v10
	v_and_b32_e32 v21, 0xffff0000, v22
	v_cndmask_b32_e32 v24, v39, v40, vcc
	v_bfe_u32 v39, v12, 16, 1
	v_add_f32_e32 v10, v10, v21
	v_add3_u32 v39, v39, v12, s21
	v_or_b32_e32 v40, 0x400000, v12
	v_cmp_u_f32_e32 vcc, v12, v12
	v_add_f32_e32 v9, v10, v9
	v_and_b32_e32 v10, 0xffff0000, v11
	v_and_b32_e32 v11, 0xffff0000, v23
	v_cndmask_b32_e32 v12, v39, v40, vcc
	v_add_f32_e32 v10, v10, v11
	v_add_f32_e32 v9, v10, v9
	v_and_b32_e32 v10, 0xffff0000, v12
	v_and_b32_e32 v11, 0xffff0000, v24
	v_add_f32_e32 v10, v10, v11
	v_add_f32_e32 v9, v10, v9
	;; [unrolled: 1-line block ×3, first 2 shown]
	v_and_b32_e32 v9, 0xffff0000, v1
	v_mul_f32_e32 v9, v13, v9
	v_bfe_u32 v10, v9, 16, 1
	v_lshlrev_b32_e32 v1, 16, v1
	v_add3_u32 v10, v10, v9, s21
	v_or_b32_e32 v11, 0x400000, v9
	v_cmp_u_f32_e32 vcc, v9, v9
	v_mul_f32_e32 v1, v17, v1
	v_cndmask_b32_e32 v9, v10, v11, vcc
	v_bfe_u32 v10, v1, 16, 1
	v_add3_u32 v10, v10, v1, s21
	v_or_b32_e32 v11, 0x400000, v1
	v_cmp_u_f32_e32 vcc, v1, v1
	v_cndmask_b32_e32 v1, v10, v11, vcc
	v_and_b32_e32 v10, 0xffff0000, v2
	v_mul_f32_e32 v10, v14, v10
	v_bfe_u32 v11, v10, 16, 1
	v_lshlrev_b32_e32 v2, 16, v2
	v_add3_u32 v11, v11, v10, s21
	v_or_b32_e32 v12, 0x400000, v10
	v_cmp_u_f32_e32 vcc, v10, v10
	v_mul_f32_e32 v2, v18, v2
	v_cndmask_b32_e32 v10, v11, v12, vcc
	v_bfe_u32 v11, v2, 16, 1
	v_add3_u32 v11, v11, v2, s21
	v_or_b32_e32 v12, 0x400000, v2
	v_cmp_u_f32_e32 vcc, v2, v2
	v_cndmask_b32_e32 v2, v11, v12, vcc
	;; [unrolled: 14-line block ×3, first 2 shown]
	v_and_b32_e32 v12, 0xffff0000, v4
	v_mul_f32_e32 v12, v16, v12
	v_bfe_u32 v21, v12, 16, 1
	v_lshlrev_b32_e32 v4, 16, v4
	v_and_b32_e32 v1, 0xffff0000, v1
	v_and_b32_e32 v9, 0xffff0000, v9
	v_add3_u32 v21, v21, v12, s21
	v_or_b32_e32 v22, 0x400000, v12
	v_cmp_u_f32_e32 vcc, v12, v12
	v_mul_f32_e32 v4, v20, v4
	v_add_f32_e32 v1, v1, v9
	v_and_b32_e32 v2, 0xffff0000, v2
	v_and_b32_e32 v9, 0xffff0000, v10
	v_cndmask_b32_e32 v12, v21, v22, vcc
	v_bfe_u32 v21, v4, 16, 1
	v_add_f32_e32 v2, v2, v9
	v_add3_u32 v21, v21, v4, s21
	v_or_b32_e32 v22, 0x400000, v4
	v_cmp_u_f32_e32 vcc, v4, v4
	v_add_f32_e32 v1, v2, v1
	v_and_b32_e32 v2, 0xffff0000, v3
	v_and_b32_e32 v3, 0xffff0000, v11
	v_cndmask_b32_e32 v4, v21, v22, vcc
	v_add_f32_e32 v2, v2, v3
	v_add_f32_e32 v1, v2, v1
	v_and_b32_e32 v2, 0xffff0000, v4
	v_and_b32_e32 v3, 0xffff0000, v12
	v_add_f32_e32 v2, v2, v3
	v_add_f32_e32 v1, v2, v1
	;; [unrolled: 1-line block ×3, first 2 shown]
	s_waitcnt vmcnt(0)
	v_lshlrev_b32_e32 v1, 16, v5
	v_mul_f32_e32 v1, v17, v1
	v_bfe_u32 v2, v1, 16, 1
	v_add3_u32 v2, v2, v1, s21
	v_or_b32_e32 v3, 0x400000, v1
	v_cmp_u_f32_e32 vcc, v1, v1
	v_cndmask_b32_e32 v1, v2, v3, vcc
	v_and_b32_e32 v2, 0xffff0000, v5
	v_mul_f32_e32 v2, v13, v2
	v_bfe_u32 v3, v2, 16, 1
	v_add3_u32 v3, v3, v2, s21
	v_or_b32_e32 v4, 0x400000, v2
	v_cmp_u_f32_e32 vcc, v2, v2
	v_cndmask_b32_e32 v2, v3, v4, vcc
	v_lshlrev_b32_e32 v3, 16, v6
	v_mul_f32_e32 v3, v18, v3
	v_bfe_u32 v4, v3, 16, 1
	v_add3_u32 v4, v4, v3, s21
	v_or_b32_e32 v5, 0x400000, v3
	v_cmp_u_f32_e32 vcc, v3, v3
	v_cndmask_b32_e32 v3, v4, v5, vcc
	v_and_b32_e32 v4, 0xffff0000, v6
	v_mul_f32_e32 v4, v14, v4
	v_bfe_u32 v5, v4, 16, 1
	v_add3_u32 v5, v5, v4, s21
	v_or_b32_e32 v6, 0x400000, v4
	v_cmp_u_f32_e32 vcc, v4, v4
	v_cndmask_b32_e32 v4, v5, v6, vcc
	;; [unrolled: 14-line block ×3, first 2 shown]
	v_lshlrev_b32_e32 v7, 16, v8
	v_mul_f32_e32 v7, v20, v7
	v_bfe_u32 v9, v7, 16, 1
	v_and_b32_e32 v8, 0xffff0000, v8
	v_and_b32_e32 v2, 0xffff0000, v2
	;; [unrolled: 1-line block ×3, first 2 shown]
	v_add3_u32 v9, v9, v7, s21
	v_or_b32_e32 v10, 0x400000, v7
	v_cmp_u_f32_e32 vcc, v7, v7
	v_mul_f32_e32 v8, v16, v8
	v_add_f32_e32 v1, v1, v2
	v_and_b32_e32 v2, 0xffff0000, v4
	v_and_b32_e32 v3, 0xffff0000, v3
	v_cndmask_b32_e32 v7, v9, v10, vcc
	v_bfe_u32 v9, v8, 16, 1
	v_add_f32_e32 v2, v3, v2
	v_add3_u32 v9, v9, v8, s21
	v_or_b32_e32 v10, 0x400000, v8
	v_cmp_u_f32_e32 vcc, v8, v8
	v_add_f32_e32 v1, v2, v1
	v_and_b32_e32 v2, 0xffff0000, v6
	v_and_b32_e32 v3, 0xffff0000, v5
	v_cndmask_b32_e32 v8, v9, v10, vcc
	v_add_f32_e32 v2, v3, v2
	v_add_f32_e32 v1, v2, v1
	v_and_b32_e32 v2, 0xffff0000, v8
	v_and_b32_e32 v3, 0xffff0000, v7
	v_add_u32_e32 v28, 2, v28
	v_add_f32_e32 v2, v3, v2
	v_cmp_le_i32_e32 vcc, s17, v28
	v_add_f32_e32 v1, v2, v1
	s_or_b64 s[6:7], vcc, s[6:7]
	v_add_co_u32_e32 v25, vcc, 8, v25
	v_add_f32_e32 v30, v30, v1
	v_add_u32_e32 v37, 16, v37
	v_add_u32_e32 v38, 64, v38
	v_addc_co_u32_e32 v26, vcc, 0, v26, vcc
	s_andn2_b64 exec, exec, s[6:7]
	s_cbranch_execz .LBB125_39
.LBB125_31:                             ; =>This Inner Loop Header: Depth=1
	global_load_dword v1, v[25:26], off
	v_add_u32_e32 v45, 1, v37
	v_or_b32_e32 v43, 3, v37
	v_or_b32_e32 v44, 2, v37
	;; [unrolled: 1-line block ×6, first 2 shown]
	s_waitcnt vmcnt(0)
	v_mad_i64_i32 v[1:2], s[0:1], v1, s26, 0
	v_cmp_eq_u32_e64 s[0:1], s14, v28
	v_lshlrev_b64 v[1:2], 1, v[1:2]
	v_add_co_u32_e32 v5, vcc, v35, v1
	v_addc_co_u32_e32 v6, vcc, v36, v2, vcc
	global_load_dwordx4 v[1:4], v[5:6], off
	ds_read2_b64 v[17:20], v38 offset1:1
	ds_read2_b64 v[13:16], v38 offset0:2 offset1:3
	s_and_saveexec_b64 s[12:13], s[0:1]
	s_cbranch_execnz .LBB125_35
; %bb.32:                               ;   in Loop: Header=BB125_31 Depth=1
	s_or_b64 exec, exec, s[12:13]
	global_load_dwordx4 v[9:12], v[5:6], off offset:1024
	s_and_saveexec_b64 s[12:13], s[0:1]
	s_cbranch_execnz .LBB125_36
.LBB125_33:                             ;   in Loop: Header=BB125_31 Depth=1
	s_or_b64 exec, exec, s[12:13]
	global_load_dwordx4 v[21:24], v[5:6], off offset:2048
	s_and_saveexec_b64 s[12:13], s[0:1]
	s_cbranch_execnz .LBB125_37
.LBB125_34:                             ;   in Loop: Header=BB125_31 Depth=1
	s_or_b64 exec, exec, s[12:13]
	global_load_dwordx4 v[5:8], v[5:6], off offset:3072
	s_and_saveexec_b64 s[2:3], s[0:1]
	s_cbranch_execz .LBB125_30
	s_branch .LBB125_38
.LBB125_35:                             ;   in Loop: Header=BB125_31 Depth=1
	v_cmp_gt_i32_e32 vcc, s15, v45
	s_waitcnt vmcnt(0)
	v_cndmask_b32_sdwa v7, v34, v1, vcc dst_sel:DWORD dst_unused:UNUSED_PAD src0_sel:DWORD src1_sel:WORD_1
	v_cmp_gt_i32_e32 vcc, s33, v37
	v_cndmask_b32_e32 v1, 0, v1, vcc
	v_cmp_gt_i32_e32 vcc, s15, v43
	v_cmp_gt_i32_e64 s[2:3], s33, v44
	v_perm_b32 v1, v7, v1, s20
	v_cndmask_b32_e64 v7, 0, v2, s[2:3]
	v_cndmask_b32_sdwa v2, v34, v2, vcc dst_sel:DWORD dst_unused:UNUSED_PAD src0_sel:DWORD src1_sel:WORD_1
	v_cmp_gt_i32_e32 vcc, s15, v41
	v_cmp_gt_i32_e64 s[2:3], s33, v42
	v_perm_b32 v2, v2, v7, s20
	v_cndmask_b32_e64 v7, 0, v3, s[2:3]
	v_cndmask_b32_sdwa v3, v34, v3, vcc dst_sel:DWORD dst_unused:UNUSED_PAD src0_sel:DWORD src1_sel:WORD_1
	;; [unrolled: 5-line block ×3, first 2 shown]
	v_perm_b32 v4, v4, v7, s20
	s_or_b64 exec, exec, s[12:13]
	global_load_dwordx4 v[9:12], v[5:6], off offset:1024
	s_and_saveexec_b64 s[12:13], s[0:1]
	s_cbranch_execz .LBB125_33
.LBB125_36:                             ;   in Loop: Header=BB125_31 Depth=1
	v_cmp_gt_i32_e32 vcc, s15, v45
	s_waitcnt vmcnt(0)
	v_cndmask_b32_sdwa v7, v34, v9, vcc dst_sel:DWORD dst_unused:UNUSED_PAD src0_sel:DWORD src1_sel:WORD_1
	v_cmp_gt_i32_e32 vcc, s33, v37
	v_cndmask_b32_e32 v8, 0, v9, vcc
	v_cmp_gt_i32_e32 vcc, s15, v43
	v_cmp_gt_i32_e64 s[2:3], s33, v44
	v_perm_b32 v9, v7, v8, s20
	v_cndmask_b32_e64 v7, 0, v10, s[2:3]
	v_cndmask_b32_sdwa v8, v34, v10, vcc dst_sel:DWORD dst_unused:UNUSED_PAD src0_sel:DWORD src1_sel:WORD_1
	v_cmp_gt_i32_e32 vcc, s15, v41
	v_cmp_gt_i32_e64 s[2:3], s33, v42
	v_perm_b32 v10, v8, v7, s20
	v_cndmask_b32_e64 v7, 0, v11, s[2:3]
	v_cndmask_b32_sdwa v8, v34, v11, vcc dst_sel:DWORD dst_unused:UNUSED_PAD src0_sel:DWORD src1_sel:WORD_1
	;; [unrolled: 5-line block ×3, first 2 shown]
	v_perm_b32 v12, v8, v7, s20
	s_or_b64 exec, exec, s[12:13]
	global_load_dwordx4 v[21:24], v[5:6], off offset:2048
	s_and_saveexec_b64 s[12:13], s[0:1]
	s_cbranch_execz .LBB125_34
.LBB125_37:                             ;   in Loop: Header=BB125_31 Depth=1
	v_cmp_gt_i32_e32 vcc, s15, v45
	s_waitcnt vmcnt(0)
	v_cndmask_b32_sdwa v7, v34, v21, vcc dst_sel:DWORD dst_unused:UNUSED_PAD src0_sel:DWORD src1_sel:WORD_1
	v_cmp_gt_i32_e32 vcc, s33, v37
	v_cndmask_b32_e32 v8, 0, v21, vcc
	v_cmp_gt_i32_e32 vcc, s15, v43
	v_cmp_gt_i32_e64 s[2:3], s33, v44
	v_perm_b32 v21, v7, v8, s20
	v_cndmask_b32_e64 v7, 0, v22, s[2:3]
	v_cndmask_b32_sdwa v8, v34, v22, vcc dst_sel:DWORD dst_unused:UNUSED_PAD src0_sel:DWORD src1_sel:WORD_1
	v_cmp_gt_i32_e32 vcc, s15, v41
	v_cmp_gt_i32_e64 s[2:3], s33, v42
	v_perm_b32 v22, v8, v7, s20
	v_cndmask_b32_e64 v7, 0, v23, s[2:3]
	v_cndmask_b32_sdwa v8, v34, v23, vcc dst_sel:DWORD dst_unused:UNUSED_PAD src0_sel:DWORD src1_sel:WORD_1
	;; [unrolled: 5-line block ×3, first 2 shown]
	v_perm_b32 v24, v8, v7, s20
	s_or_b64 exec, exec, s[12:13]
	global_load_dwordx4 v[5:8], v[5:6], off offset:3072
	s_and_saveexec_b64 s[2:3], s[0:1]
	s_cbranch_execz .LBB125_30
.LBB125_38:                             ;   in Loop: Header=BB125_31 Depth=1
	v_cmp_gt_i32_e32 vcc, s15, v45
	s_waitcnt vmcnt(0)
	v_cndmask_b32_sdwa v45, v34, v5, vcc dst_sel:DWORD dst_unused:UNUSED_PAD src0_sel:DWORD src1_sel:WORD_1
	v_cmp_gt_i32_e32 vcc, s33, v37
	v_cndmask_b32_e32 v5, 0, v5, vcc
	v_cmp_gt_i32_e32 vcc, s15, v43
	v_cmp_gt_i32_e64 s[0:1], s33, v44
	v_cndmask_b32_e64 v43, 0, v6, s[0:1]
	v_cndmask_b32_sdwa v6, v34, v6, vcc dst_sel:DWORD dst_unused:UNUSED_PAD src0_sel:DWORD src1_sel:WORD_1
	v_cmp_gt_i32_e32 vcc, s15, v41
	v_cmp_gt_i32_e64 s[0:1], s33, v42
	v_cndmask_b32_e64 v41, 0, v7, s[0:1]
	v_cndmask_b32_sdwa v7, v34, v7, vcc dst_sel:DWORD dst_unused:UNUSED_PAD src0_sel:DWORD src1_sel:WORD_1
	;; [unrolled: 4-line block ×3, first 2 shown]
	v_perm_b32 v5, v45, v5, s20
	v_perm_b32 v6, v6, v43, s20
	;; [unrolled: 1-line block ×4, first 2 shown]
	s_branch .LBB125_30
.LBB125_39:
	s_or_b64 exec, exec, s[6:7]
.LBB125_40:
	s_or_b64 exec, exec, s[4:5]
	v_and_b32_e32 v1, 0x3c0, v0
	v_cmp_eq_u32_e32 vcc, 64, v1
	s_barrier
	s_and_saveexec_b64 s[0:1], vcc
	s_cbranch_execz .LBB125_42
; %bb.41:
	v_mov_b32_e32 v1, 0x210
	v_lshl_add_u32 v1, v29, 2, v1
	ds_write2st64_b32 v1, v33, v32 offset1:1
	ds_write2st64_b32 v1, v31, v30 offset0:2 offset1:3
.LBB125_42:
	s_or_b64 exec, exec, s[0:1]
	v_cmp_gt_u32_e32 vcc, 64, v0
	s_waitcnt lgkmcnt(0)
	s_barrier
	s_and_saveexec_b64 s[0:1], vcc
	s_cbranch_execz .LBB125_44
; %bb.43:
	v_mov_b32_e32 v1, 0x210
	v_lshl_add_u32 v2, v0, 2, v1
	ds_read2st64_b32 v[0:1], v2 offset1:1
	ds_read2st64_b32 v[2:3], v2 offset0:2 offset1:3
	s_waitcnt lgkmcnt(1)
	v_add_f32_e32 v33, v33, v0
	v_add_f32_e32 v32, v32, v1
	s_waitcnt lgkmcnt(0)
	v_add_f32_e32 v31, v31, v2
	v_add_f32_e32 v30, v30, v3
.LBB125_44:
	s_or_b64 exec, exec, s[0:1]
	s_barrier
	s_and_saveexec_b64 s[0:1], vcc
	s_cbranch_execz .LBB125_46
; %bb.45:
	s_mul_i32 s0, s10, s11
	s_mul_i32 s0, s0, s9
	s_lshl_b32 s0, s0, 8
	s_ashr_i32 s1, s0, 31
	s_lshl_b64 s[0:1], s[0:1], 1
	s_add_u32 s2, s18, s0
	s_mul_i32 s0, s11, s16
	s_addc_u32 s3, s19, s1
	s_ashr_i32 s1, s0, 31
	s_lshl_b64 s[0:1], s[0:1], 1
	s_add_u32 s2, s2, s0
	s_addc_u32 s3, s3, s1
	s_lshl_b32 s0, s8, 8
	s_ashr_i32 s1, s0, 31
	s_lshl_b64 s[0:1], s[0:1], 1
	s_add_u32 s0, s2, s0
	v_bfe_u32 v0, v33, 16, 1
	s_movk_i32 s2, 0x7fff
	v_add3_u32 v0, v0, v33, s2
	v_or_b32_e32 v1, 0x400000, v33
	v_cmp_u_f32_e32 vcc, v33, v33
	s_addc_u32 s1, s3, s1
	v_cndmask_b32_e32 v0, v0, v1, vcc
	global_store_short_d16_hi v27, v0, s[0:1]
	v_bfe_u32 v0, v32, 16, 1
	v_add3_u32 v0, v0, v32, s2
	v_or_b32_e32 v1, 0x400000, v32
	v_cmp_u_f32_e32 vcc, v32, v32
	v_cndmask_b32_e32 v0, v0, v1, vcc
	global_store_short_d16_hi v27, v0, s[0:1] offset:128
	v_bfe_u32 v0, v31, 16, 1
	v_add3_u32 v0, v0, v31, s2
	v_or_b32_e32 v1, 0x400000, v31
	v_cmp_u_f32_e32 vcc, v31, v31
	v_cndmask_b32_e32 v0, v0, v1, vcc
	global_store_short_d16_hi v27, v0, s[0:1] offset:256
	v_bfe_u32 v0, v30, 16, 1
	v_add3_u32 v0, v0, v30, s2
	v_or_b32_e32 v1, 0x400000, v30
	v_cmp_u_f32_e32 vcc, v30, v30
	v_cndmask_b32_e32 v0, v0, v1, vcc
	global_store_short_d16_hi v27, v0, s[0:1] offset:384
.LBB125_46:
	s_endpgm
	.section	.rodata,"a",@progbits
	.p2align	6, 0x0
	.amdhsa_kernel _ZN4vllm25paged_attention_v1_kernelI14__hip_bfloat16S1_Li256ELi8ELi128ELNS_18Fp8KVCacheDataTypeE0ELb0EEEvPT_PKS3_PKT0_S9_ifPKiSB_iPKfiiiSD_SD_iiiii
		.amdhsa_group_segment_fixed_size 528
		.amdhsa_private_segment_fixed_size 0
		.amdhsa_kernarg_size 384
		.amdhsa_user_sgpr_count 6
		.amdhsa_user_sgpr_private_segment_buffer 1
		.amdhsa_user_sgpr_dispatch_ptr 0
		.amdhsa_user_sgpr_queue_ptr 0
		.amdhsa_user_sgpr_kernarg_segment_ptr 1
		.amdhsa_user_sgpr_dispatch_id 0
		.amdhsa_user_sgpr_flat_scratch_init 0
		.amdhsa_user_sgpr_private_segment_size 0
		.amdhsa_uses_dynamic_stack 0
		.amdhsa_system_sgpr_private_segment_wavefront_offset 0
		.amdhsa_system_sgpr_workgroup_id_x 1
		.amdhsa_system_sgpr_workgroup_id_y 1
		.amdhsa_system_sgpr_workgroup_id_z 1
		.amdhsa_system_sgpr_workgroup_info 0
		.amdhsa_system_vgpr_workitem_id 0
		.amdhsa_next_free_vgpr 54
		.amdhsa_next_free_sgpr 34
		.amdhsa_reserve_vcc 1
		.amdhsa_reserve_flat_scratch 0
		.amdhsa_float_round_mode_32 0
		.amdhsa_float_round_mode_16_64 0
		.amdhsa_float_denorm_mode_32 3
		.amdhsa_float_denorm_mode_16_64 3
		.amdhsa_dx10_clamp 1
		.amdhsa_ieee_mode 1
		.amdhsa_fp16_overflow 0
		.amdhsa_exception_fp_ieee_invalid_op 0
		.amdhsa_exception_fp_denorm_src 0
		.amdhsa_exception_fp_ieee_div_zero 0
		.amdhsa_exception_fp_ieee_overflow 0
		.amdhsa_exception_fp_ieee_underflow 0
		.amdhsa_exception_fp_ieee_inexact 0
		.amdhsa_exception_int_div_zero 0
	.end_amdhsa_kernel
	.section	.text._ZN4vllm25paged_attention_v1_kernelI14__hip_bfloat16S1_Li256ELi8ELi128ELNS_18Fp8KVCacheDataTypeE0ELb0EEEvPT_PKS3_PKT0_S9_ifPKiSB_iPKfiiiSD_SD_iiiii,"axG",@progbits,_ZN4vllm25paged_attention_v1_kernelI14__hip_bfloat16S1_Li256ELi8ELi128ELNS_18Fp8KVCacheDataTypeE0ELb0EEEvPT_PKS3_PKT0_S9_ifPKiSB_iPKfiiiSD_SD_iiiii,comdat
.Lfunc_end125:
	.size	_ZN4vllm25paged_attention_v1_kernelI14__hip_bfloat16S1_Li256ELi8ELi128ELNS_18Fp8KVCacheDataTypeE0ELb0EEEvPT_PKS3_PKT0_S9_ifPKiSB_iPKfiiiSD_SD_iiiii, .Lfunc_end125-_ZN4vllm25paged_attention_v1_kernelI14__hip_bfloat16S1_Li256ELi8ELi128ELNS_18Fp8KVCacheDataTypeE0ELb0EEEvPT_PKS3_PKT0_S9_ifPKiSB_iPKfiiiSD_SD_iiiii
                                        ; -- End function
	.set _ZN4vllm25paged_attention_v1_kernelI14__hip_bfloat16S1_Li256ELi8ELi128ELNS_18Fp8KVCacheDataTypeE0ELb0EEEvPT_PKS3_PKT0_S9_ifPKiSB_iPKfiiiSD_SD_iiiii.num_vgpr, 54
	.set _ZN4vllm25paged_attention_v1_kernelI14__hip_bfloat16S1_Li256ELi8ELi128ELNS_18Fp8KVCacheDataTypeE0ELb0EEEvPT_PKS3_PKT0_S9_ifPKiSB_iPKfiiiSD_SD_iiiii.num_agpr, 0
	.set _ZN4vllm25paged_attention_v1_kernelI14__hip_bfloat16S1_Li256ELi8ELi128ELNS_18Fp8KVCacheDataTypeE0ELb0EEEvPT_PKS3_PKT0_S9_ifPKiSB_iPKfiiiSD_SD_iiiii.numbered_sgpr, 34
	.set _ZN4vllm25paged_attention_v1_kernelI14__hip_bfloat16S1_Li256ELi8ELi128ELNS_18Fp8KVCacheDataTypeE0ELb0EEEvPT_PKS3_PKT0_S9_ifPKiSB_iPKfiiiSD_SD_iiiii.num_named_barrier, 0
	.set _ZN4vllm25paged_attention_v1_kernelI14__hip_bfloat16S1_Li256ELi8ELi128ELNS_18Fp8KVCacheDataTypeE0ELb0EEEvPT_PKS3_PKT0_S9_ifPKiSB_iPKfiiiSD_SD_iiiii.private_seg_size, 0
	.set _ZN4vllm25paged_attention_v1_kernelI14__hip_bfloat16S1_Li256ELi8ELi128ELNS_18Fp8KVCacheDataTypeE0ELb0EEEvPT_PKS3_PKT0_S9_ifPKiSB_iPKfiiiSD_SD_iiiii.uses_vcc, 1
	.set _ZN4vllm25paged_attention_v1_kernelI14__hip_bfloat16S1_Li256ELi8ELi128ELNS_18Fp8KVCacheDataTypeE0ELb0EEEvPT_PKS3_PKT0_S9_ifPKiSB_iPKfiiiSD_SD_iiiii.uses_flat_scratch, 0
	.set _ZN4vllm25paged_attention_v1_kernelI14__hip_bfloat16S1_Li256ELi8ELi128ELNS_18Fp8KVCacheDataTypeE0ELb0EEEvPT_PKS3_PKT0_S9_ifPKiSB_iPKfiiiSD_SD_iiiii.has_dyn_sized_stack, 0
	.set _ZN4vllm25paged_attention_v1_kernelI14__hip_bfloat16S1_Li256ELi8ELi128ELNS_18Fp8KVCacheDataTypeE0ELb0EEEvPT_PKS3_PKT0_S9_ifPKiSB_iPKfiiiSD_SD_iiiii.has_recursion, 0
	.set _ZN4vllm25paged_attention_v1_kernelI14__hip_bfloat16S1_Li256ELi8ELi128ELNS_18Fp8KVCacheDataTypeE0ELb0EEEvPT_PKS3_PKT0_S9_ifPKiSB_iPKfiiiSD_SD_iiiii.has_indirect_call, 0
	.section	.AMDGPU.csdata,"",@progbits
; Kernel info:
; codeLenInByte = 6296
; TotalNumSgprs: 38
; NumVgprs: 54
; ScratchSize: 0
; MemoryBound: 0
; FloatMode: 240
; IeeeMode: 1
; LDSByteSize: 528 bytes/workgroup (compile time only)
; SGPRBlocks: 4
; VGPRBlocks: 13
; NumSGPRsForWavesPerEU: 38
; NumVGPRsForWavesPerEU: 54
; Occupancy: 4
; WaveLimiterHint : 1
; COMPUTE_PGM_RSRC2:SCRATCH_EN: 0
; COMPUTE_PGM_RSRC2:USER_SGPR: 6
; COMPUTE_PGM_RSRC2:TRAP_HANDLER: 0
; COMPUTE_PGM_RSRC2:TGID_X_EN: 1
; COMPUTE_PGM_RSRC2:TGID_Y_EN: 1
; COMPUTE_PGM_RSRC2:TGID_Z_EN: 1
; COMPUTE_PGM_RSRC2:TIDIG_COMP_CNT: 0
	.section	.text._ZN4vllm25paged_attention_v1_kernelI14__hip_bfloat16S1_Li32ELi16ELi128ELNS_18Fp8KVCacheDataTypeE0ELb1EEEvPT_PKS3_PKT0_S9_ifPKiSB_iPKfiiiSD_SD_iiiii,"axG",@progbits,_ZN4vllm25paged_attention_v1_kernelI14__hip_bfloat16S1_Li32ELi16ELi128ELNS_18Fp8KVCacheDataTypeE0ELb1EEEvPT_PKS3_PKT0_S9_ifPKiSB_iPKfiiiSD_SD_iiiii,comdat
	.protected	_ZN4vllm25paged_attention_v1_kernelI14__hip_bfloat16S1_Li32ELi16ELi128ELNS_18Fp8KVCacheDataTypeE0ELb1EEEvPT_PKS3_PKT0_S9_ifPKiSB_iPKfiiiSD_SD_iiiii ; -- Begin function _ZN4vllm25paged_attention_v1_kernelI14__hip_bfloat16S1_Li32ELi16ELi128ELNS_18Fp8KVCacheDataTypeE0ELb1EEEvPT_PKS3_PKT0_S9_ifPKiSB_iPKfiiiSD_SD_iiiii
	.globl	_ZN4vllm25paged_attention_v1_kernelI14__hip_bfloat16S1_Li32ELi16ELi128ELNS_18Fp8KVCacheDataTypeE0ELb1EEEvPT_PKS3_PKT0_S9_ifPKiSB_iPKfiiiSD_SD_iiiii
	.p2align	8
	.type	_ZN4vllm25paged_attention_v1_kernelI14__hip_bfloat16S1_Li32ELi16ELi128ELNS_18Fp8KVCacheDataTypeE0ELb1EEEvPT_PKS3_PKT0_S9_ifPKiSB_iPKfiiiSD_SD_iiiii,@function
_ZN4vllm25paged_attention_v1_kernelI14__hip_bfloat16S1_Li32ELi16ELi128ELNS_18Fp8KVCacheDataTypeE0ELb1EEEvPT_PKS3_PKT0_S9_ifPKiSB_iPKfiiiSD_SD_iiiii: ; @_ZN4vllm25paged_attention_v1_kernelI14__hip_bfloat16S1_Li32ELi16ELi128ELNS_18Fp8KVCacheDataTypeE0ELb1EEEvPT_PKS3_PKT0_S9_ifPKiSB_iPKfiiiSD_SD_iiiii
; %bb.0:
	s_load_dword s9, s[4:5], 0x80
	s_load_dwordx2 s[0:1], s[4:5], 0x30
	s_load_dwordx2 s[30:31], s[4:5], 0x20
	s_mov_b32 s10, s7
	s_ashr_i32 s11, s7, 31
	s_lshl_b64 s[2:3], s[10:11], 2
	s_waitcnt lgkmcnt(0)
	s_add_u32 s0, s0, s2
	s_addc_u32 s1, s1, s3
	s_abs_i32 s2, s30
	v_cvt_f32_u32_e32 v1, s2
	s_sub_i32 s11, 0, s2
	s_abs_i32 s7, s9
	s_xor_b32 s3, s9, s30
	v_rcp_iflag_f32_e32 v1, v1
	s_ashr_i32 s3, s3, 31
	s_mov_b32 s42, 0
	v_mul_f32_e32 v1, 0x4f7ffffe, v1
	v_cvt_u32_f32_e32 v1, v1
	v_readfirstlane_b32 s12, v1
	s_mul_i32 s11, s11, s12
	s_mul_hi_u32 s11, s12, s11
	s_add_i32 s12, s12, s11
	s_mul_hi_u32 s11, s7, s12
	s_mul_i32 s12, s11, s2
	s_sub_i32 s7, s7, s12
	s_add_i32 s12, s11, 1
	s_sub_i32 s13, s7, s2
	s_cmp_ge_u32 s7, s2
	s_cselect_b32 s11, s12, s11
	s_cselect_b32 s7, s13, s7
	s_add_i32 s12, s11, 1
	s_cmp_ge_u32 s7, s2
	s_cselect_b32 s2, s12, s11
	s_xor_b32 s2, s2, s3
	s_sub_i32 s12, s2, s3
	s_abs_i32 s22, s12
	v_cvt_f32_u32_e32 v1, s22
	s_load_dwordx2 s[2:3], s[4:5], 0x40
	s_sub_i32 s7, 0, s22
	s_abs_i32 s23, s6
	v_rcp_iflag_f32_e32 v1, v1
	v_mul_f32_e32 v1, 0x4f7ffffe, v1
	v_cvt_u32_f32_e32 v1, v1
	v_readfirstlane_b32 s11, v1
	s_mul_i32 s7, s7, s11
	s_mul_hi_u32 s7, s11, s7
	s_add_i32 s11, s11, s7
	s_waitcnt lgkmcnt(0)
	s_cmp_eq_u64 s[2:3], 0
	s_mul_hi_u32 s24, s23, s11
	s_cbranch_scc1 .LBB126_2
; %bb.1:
	s_ashr_i32 s7, s6, 31
	s_lshl_b64 s[14:15], s[6:7], 2
	s_add_u32 s2, s2, s14
	s_addc_u32 s3, s3, s15
	s_load_dword s42, s[2:3], 0x0
.LBB126_2:
	s_load_dword s11, s[0:1], 0x0
	s_ashr_i32 s7, s12, 31
	s_load_dwordx4 s[12:15], s[4:5], 0x48
	s_ashr_i32 s2, s6, 31
	v_and_b32_e32 v1, 3, v0
	s_lshl_b32 s20, s6, 5
	v_cmp_gt_u32_e32 vcc, 16, v0
	v_lshlrev_b32_e32 v2, 2, v0
	s_and_saveexec_b64 s[0:1], vcc
	s_cbranch_execz .LBB126_4
; %bb.3:
	s_load_dwordx2 s[16:17], s[4:5], 0x8
	s_waitcnt lgkmcnt(0)
	s_mul_i32 s18, s12, s10
	s_ashr_i32 s19, s18, 31
	s_lshl_b64 s[18:19], s[18:19], 1
	v_and_b32_e32 v4, 0x3fc, v0
	s_add_u32 s3, s16, s18
	s_addc_u32 s12, s17, s19
	s_ashr_i32 s21, s20, 31
	s_lshl_b64 s[16:17], s[20:21], 1
	s_add_u32 s16, s3, s16
	s_addc_u32 s17, s12, s17
	global_load_dword v3, v2, s[16:17]
	v_lshl_add_u32 v4, v1, 4, v4
	s_waitcnt vmcnt(0)
	ds_write_b32 v4, v3
.LBB126_4:
	s_or_b64 exec, exec, s[0:1]
	s_mul_i32 s1, s24, s22
	s_sub_i32 s1, s23, s1
	s_xor_b32 s0, s2, s7
	s_add_i32 s2, s24, 1
	s_sub_i32 s7, s1, s22
	s_load_dwordx4 s[16:19], s[4:5], 0x68
	s_load_dword s3, s[4:5], 0x78
	s_cmp_ge_u32 s1, s22
	s_cselect_b32 s2, s2, s24
	s_cselect_b32 s1, s7, s1
	s_add_i32 s7, s2, 1
	s_cmp_ge_u32 s1, s22
	s_cselect_b32 s1, s7, s2
	s_waitcnt lgkmcnt(0)
	s_abs_i32 s21, s19
	v_cvt_f32_u32_e32 v3, s21
	s_xor_b32 s1, s1, s0
	s_sub_i32 s2, s1, s0
	s_sub_i32 s0, 0, s21
	v_rcp_iflag_f32_e32 v3, v3
	s_add_i32 s15, s11, -1
	s_abs_i32 s7, s15
	v_mul_f32_e32 v3, 0x4f7ffffe, v3
	v_cvt_u32_f32_e32 v3, v3
	s_barrier
	v_readfirstlane_b32 s33, v3
	s_mul_i32 s0, s0, s33
	s_mul_hi_u32 s0, s33, s0
	s_add_i32 s33, s33, s0
	s_cmp_lt_i32 s3, 0
	s_mul_hi_u32 s12, s7, s33
	s_cbranch_scc0 .LBB126_6
; %bb.5:
	s_mul_i32 s0, s16, s30
	s_add_i32 s0, s2, s0
	s_mul_i32 s0, s0, s3
	s_sub_i32 s40, 1, s0
	s_mov_b64 s[0:1], 0
	s_branch .LBB126_7
.LBB126_6:
	s_mov_b64 s[0:1], -1
                                        ; implicit-def: $sgpr40
.LBB126_7:
	s_load_dwordx2 s[24:25], s[4:5], 0x28
	s_ashr_i32 s15, s15, 31
	s_andn2_b64 vcc, exec, s[0:1]
	s_ashr_i32 s19, s19, 31
	s_cbranch_vccnz .LBB126_9
; %bb.8:
	s_mul_i32 s0, s9, s16
	s_add_i32 s0, s0, s6
	s_mul_i32 s0, s0, s3
	s_add_i32 s40, s0, 1
.LBB126_9:
	s_load_dword s0, s[4:5], 0x38
	s_load_dwordx2 s[22:23], s[4:5], 0x0
	s_load_dwordx2 s[28:29], s[4:5], 0x18
	s_load_dword s16, s[4:5], 0x88
	s_xor_b32 s1, s15, s19
	s_waitcnt lgkmcnt(0)
	s_mul_i32 s26, s0, s10
	s_mul_i32 s0, s12, s21
	s_sub_i32 s0, s7, s0
	s_ashr_i32 s27, s26, 31
	s_add_i32 s3, s12, 1
	s_sub_i32 s6, s0, s21
	s_cmp_ge_u32 s0, s21
	s_cselect_b32 s3, s3, s12
	s_cselect_b32 s0, s6, s0
	s_add_i32 s6, s3, 1
	s_cmp_ge_u32 s0, s21
	s_cselect_b32 s0, s6, s3
	s_xor_b32 s0, s0, s1
	s_sub_i32 s12, s0, s1
	s_add_i32 s0, s11, 15
	s_ashr_i32 s1, s0, 31
	s_lshr_b32 s1, s1, 28
	s_add_i32 s0, s0, s1
	s_ashr_i32 s41, s0, 4
	v_lshrrev_b32_e32 v15, 6, v0
	v_cmp_gt_i32_e64 s[0:1], s41, v15
	v_mov_b32_e32 v8, 0xff7fffff
	s_mul_i32 s14, s2, s14
	v_lshrrev_b32_e32 v3, 4, v0
	v_lshlrev_b32_e32 v16, 4, v15
	v_mbcnt_lo_u32_b32 v4, -1, 0
	s_and_saveexec_b64 s[34:35], s[0:1]
	s_cbranch_execz .LBB126_21
; %bb.10:
	s_load_dwordx2 s[2:3], s[4:5], 0x10
	s_ashr_i32 s15, s14, 31
	s_sub_i32 s30, s12, s17
	s_lshl_b64 s[4:5], s[14:15], 1
	v_and_b32_e32 v2, 12, v2
	s_waitcnt lgkmcnt(0)
	s_add_u32 s2, s2, s4
	s_addc_u32 s3, s3, s5
	s_abs_i32 s15, s18
	v_cvt_f32_u32_e32 v5, s15
	v_mov_b32_e32 v7, s3
	s_sub_i32 s3, 0, s15
	s_lshl_b64 s[4:5], s[26:27], 2
	v_rcp_iflag_f32_e32 v6, v5
	v_bfe_u32 v5, v0, 2, 4
	s_add_u32 s4, s24, s4
	v_cmp_eq_u32_e32 vcc, 0, v1
	v_mul_f32_e32 v6, 0x4f7ffffe, v6
	v_cvt_u32_f32_e32 v8, v6
	v_lshlrev_b32_e32 v6, 4, v5
	s_addc_u32 s5, s25, s5
	v_mbcnt_hi_u32_b32 v17, -1, v4
	v_mul_lo_u32 v9, s3, v8
	v_add_co_u32_e64 v6, s[2:3], s2, v6
	v_addc_co_u32_e64 v7, s[2:3], 0, v7, s[2:3]
	v_mul_hi_u32 v10, v8, v9
	v_add_co_u32_e64 v6, s[2:3], v6, v2
	v_lshlrev_b32_e32 v9, 4, v1
	v_add_u32_e32 v10, v8, v10
	v_subrev_u32_e32 v8, s11, v5
	v_add_u32_e32 v12, 1, v8
	v_lshlrev_b32_e32 v8, 2, v5
	v_and_b32_e32 v1, 60, v3
	v_lshl_or_b32 v8, v15, 6, v8
	v_addc_co_u32_e64 v7, s[2:3], 0, v7, s[2:3]
	v_mov_b32_e32 v2, s5
	v_add_co_u32_e64 v1, s[4:5], s4, v1
	v_add_u32_e32 v13, 0x50, v8
	v_and_b32_e32 v8, 64, v17
	s_mov_b32 s43, s13
	v_cmp_neq_f32_e64 s[2:3], s42, 0
	v_addc_co_u32_e64 v2, s[4:5], 0, v2, s[4:5]
	v_lshlrev_b32_e32 v11, 4, v15
	v_mov_b32_e32 v14, 0xff7fffff
	s_mov_b64 s[36:37], 0
	v_add_u32_e32 v18, 64, v8
	v_xor_b32_e32 v19, 2, v17
	v_xor_b32_e32 v20, 1, v17
	v_mov_b32_e32 v8, 0xff7fffff
	v_mov_b32_e32 v21, v15
	s_branch .LBB126_13
.LBB126_11:                             ;   in Loop: Header=BB126_13 Depth=1
	s_or_b64 exec, exec, s[38:39]
.LBB126_12:                             ;   in Loop: Header=BB126_13 Depth=1
	s_or_b64 exec, exec, s[6:7]
	v_add_co_u32_e64 v1, s[4:5], 8, v1
	v_add_u32_e32 v21, 2, v21
	v_addc_co_u32_e64 v2, s[4:5], 0, v2, s[4:5]
	v_cmp_le_i32_e64 s[4:5], s41, v21
	v_add_u32_e32 v11, 32, v11
	s_or_b64 s[36:37], s[4:5], s[36:37]
	v_add_u32_e32 v13, 0x80, v13
	s_andn2_b64 exec, exec, s[36:37]
	s_cbranch_execz .LBB126_20
.LBB126_13:                             ; =>This Inner Loop Header: Depth=1
	v_mul_hi_u32 v22, v11, s33
	s_waitcnt lgkmcnt(0)
	v_mul_lo_u32 v23, v22, s21
	v_add_u32_e32 v24, 1, v22
	v_sub_u32_e32 v23, v11, v23
	v_cmp_le_u32_e64 s[4:5], s21, v23
	v_cndmask_b32_e64 v22, v22, v24, s[4:5]
	v_subrev_u32_e32 v24, s21, v23
	v_cndmask_b32_e64 v23, v23, v24, s[4:5]
	v_add_u32_e32 v24, 1, v22
	v_cmp_le_u32_e64 s[4:5], s21, v23
	v_cndmask_b32_e64 v22, v22, v24, s[4:5]
	v_xor_b32_e32 v22, s19, v22
	v_subrev_u32_e32 v22, s19, v22
	v_add_u32_e32 v23, s40, v22
	v_sub_u32_e32 v24, 0, v23
	v_max_i32_e32 v24, v23, v24
	v_mul_hi_u32 v25, v24, v10
	v_ashrrev_i32_e32 v23, 31, v23
	v_cmp_ge_i32_e64 s[6:7], s30, v22
	v_mul_lo_u32 v25, v25, s15
	v_sub_u32_e32 v24, v24, v25
	v_subrev_u32_e32 v25, s15, v24
	v_cmp_le_u32_e64 s[4:5], s15, v24
	v_cndmask_b32_e64 v24, v24, v25, s[4:5]
	v_subrev_u32_e32 v25, s15, v24
	v_cmp_le_u32_e64 s[4:5], s15, v24
	v_cndmask_b32_e64 v24, v24, v25, s[4:5]
	v_xor_b32_e32 v24, v24, v23
	v_sub_u32_e32 v23, v24, v23
	v_cmp_ne_u32_e64 s[4:5], 0, v23
	s_and_b64 s[4:5], s[4:5], s[6:7]
	s_and_saveexec_b64 s[6:7], s[4:5]
	s_xor_b64 s[4:5], exec, s[6:7]
	s_cbranch_execz .LBB126_17
; %bb.14:                               ;   in Loop: Header=BB126_13 Depth=1
	s_and_saveexec_b64 s[6:7], vcc
; %bb.15:                               ;   in Loop: Header=BB126_13 Depth=1
	ds_write_b32 v13, v14
; %bb.16:                               ;   in Loop: Header=BB126_13 Depth=1
	s_or_b64 exec, exec, s[6:7]
.LBB126_17:                             ;   in Loop: Header=BB126_13 Depth=1
	s_andn2_saveexec_b64 s[6:7], s[4:5]
	s_cbranch_execz .LBB126_12
; %bb.18:                               ;   in Loop: Header=BB126_13 Depth=1
	global_load_dword v22, v[1:2], off
	s_waitcnt vmcnt(0)
	v_mad_i64_i32 v[22:23], s[4:5], v22, s43, 0
	v_lshlrev_b64 v[22:23], 1, v[22:23]
	v_add_co_u32_e64 v22, s[4:5], v6, v22
	v_addc_co_u32_e64 v23, s[4:5], v7, v23, s[4:5]
	global_load_dword v26, v[22:23], off
	global_load_dword v27, v[22:23], off offset:256
	global_load_dword v28, v[22:23], off offset:512
	;; [unrolled: 1-line block ×3, first 2 shown]
	ds_read_b128 v[22:25], v9
	v_cmp_lt_i32_e64 s[4:5], v19, v18
	v_cndmask_b32_e64 v30, v17, v19, s[4:5]
	v_lshlrev_b32_e32 v30, 2, v30
	v_cmp_lt_i32_e64 s[4:5], v20, v18
	s_waitcnt lgkmcnt(0)
	v_lshlrev_b32_e32 v32, 16, v23
	v_and_b32_e32 v23, 0xffff0000, v23
	v_lshlrev_b32_e32 v31, 16, v22
	v_and_b32_e32 v22, 0xffff0000, v22
	;; [unrolled: 2-line block ×4, first 2 shown]
	s_waitcnt vmcnt(3)
	v_lshlrev_b32_e32 v35, 16, v26
	s_waitcnt vmcnt(2)
	v_lshlrev_b32_e32 v36, 16, v27
	v_and_b32_e32 v27, 0xffff0000, v27
	v_and_b32_e32 v26, 0xffff0000, v26
	v_mul_f32_e32 v32, v32, v36
	v_mul_f32_e32 v23, v23, v27
	s_waitcnt vmcnt(1)
	v_lshlrev_b32_e32 v37, 16, v28
	v_and_b32_e32 v28, 0xffff0000, v28
	v_fmac_f32_e32 v32, v31, v35
	v_fmac_f32_e32 v23, v22, v26
	s_waitcnt vmcnt(0)
	v_lshlrev_b32_e32 v38, 16, v29
	v_and_b32_e32 v29, 0xffff0000, v29
	v_fmac_f32_e32 v32, v33, v37
	v_fmac_f32_e32 v23, v24, v28
	;; [unrolled: 1-line block ×4, first 2 shown]
	v_add_f32_e32 v22, v32, v23
	ds_bpermute_b32 v23, v30, v22
	v_cndmask_b32_e64 v24, v17, v20, s[4:5]
	v_lshlrev_b32_e32 v24, 2, v24
	s_waitcnt lgkmcnt(0)
	v_add_f32_e32 v22, v22, v23
	ds_bpermute_b32 v23, v24, v22
	s_and_saveexec_b64 s[38:39], vcc
	s_cbranch_execz .LBB126_11
; %bb.19:                               ;   in Loop: Header=BB126_13 Depth=1
	v_add_u32_e32 v24, v12, v11
	v_cvt_f32_i32_e32 v24, v24
	s_waitcnt lgkmcnt(0)
	v_add_f32_e32 v22, v22, v23
	v_add_u32_e32 v25, v5, v11
	v_cmp_gt_i32_e64 s[4:5], s11, v25
	v_mul_f32_e32 v23, s42, v24
	v_cndmask_b32_e64 v23, 0, v23, s[2:3]
	v_fmac_f32_e32 v23, s31, v22
	v_cndmask_b32_e64 v22, 0, v23, s[4:5]
	ds_write_b32 v13, v22
	v_max_f32_e32 v22, v8, v8
	v_max_f32_e32 v22, v22, v23
	v_cndmask_b32_e64 v8, v8, v22, s[4:5]
	s_branch .LBB126_11
.LBB126_20:
	s_or_b64 exec, exec, s[36:37]
.LBB126_21:
	s_or_b64 exec, exec, s[34:35]
	v_mbcnt_hi_u32_b32 v1, -1, v4
	v_and_b32_e32 v10, 64, v1
	v_add_u32_e32 v2, 64, v10
	v_xor_b32_e32 v4, 32, v1
	v_cmp_lt_i32_e32 vcc, v4, v2
	v_cndmask_b32_e32 v4, v1, v4, vcc
	v_lshlrev_b32_e32 v4, 2, v4
	ds_bpermute_b32 v5, v4, v8
	v_xor_b32_e32 v7, 16, v1
	v_max_f32_e32 v6, v8, v8
	v_cmp_lt_i32_e32 vcc, v7, v2
	v_xor_b32_e32 v8, 8, v1
	s_waitcnt lgkmcnt(0)
	v_max_f32_e32 v5, v5, v5
	v_max_f32_e32 v6, v6, v5
	v_cndmask_b32_e32 v5, v1, v7, vcc
	v_lshlrev_b32_e32 v5, 2, v5
	ds_bpermute_b32 v7, v5, v6
	v_cmp_lt_i32_e32 vcc, v8, v2
	v_xor_b32_e32 v9, 4, v1
	v_and_b32_e32 v17, 63, v0
	s_waitcnt lgkmcnt(0)
	v_max_f32_e32 v7, v7, v7
	v_max_f32_e32 v6, v6, v7
	v_cndmask_b32_e32 v7, v1, v8, vcc
	v_lshlrev_b32_e32 v8, 2, v7
	ds_bpermute_b32 v7, v8, v6
	v_cmp_lt_i32_e32 vcc, v9, v2
	s_waitcnt lgkmcnt(0)
	v_max_f32_e32 v7, v7, v7
	v_max_f32_e32 v7, v6, v7
	v_cndmask_b32_e32 v6, v1, v9, vcc
	v_lshlrev_b32_e32 v9, 2, v6
	ds_bpermute_b32 v11, v9, v7
	v_cmp_eq_u32_e32 vcc, 0, v17
	v_lshlrev_b32_e32 v6, 2, v15
	s_and_saveexec_b64 s[2:3], vcc
	s_cbranch_execz .LBB126_23
; %bb.22:
	s_waitcnt lgkmcnt(0)
	v_max_f32_e32 v11, v11, v11
	v_max_f32_e32 v7, v7, v7
	;; [unrolled: 1-line block ×3, first 2 shown]
	ds_write_b32 v6, v7 offset:64
.LBB126_23:
	s_or_b64 exec, exec, s[2:3]
	v_cmp_gt_u32_e64 s[2:3], 2, v17
	s_waitcnt lgkmcnt(0)
	v_mov_b32_e32 v11, 0xff7fffff
	v_lshlrev_b32_e32 v7, 2, v17
	s_barrier
	s_and_saveexec_b64 s[4:5], s[2:3]
; %bb.24:
	ds_read_b32 v11, v7 offset:64
; %bb.25:
	s_or_b64 exec, exec, s[4:5]
	v_xor_b32_e32 v12, 1, v1
	v_cmp_lt_i32_e64 s[4:5], v12, v2
	v_cndmask_b32_e64 v12, v1, v12, s[4:5]
	v_lshlrev_b32_e32 v18, 2, v12
	s_waitcnt lgkmcnt(0)
	ds_bpermute_b32 v12, v18, v11
	v_max_f32_e32 v11, v11, v11
	v_lshlrev_b32_e32 v10, 2, v10
	s_lshl_b32 s4, s41, 4
	s_min_i32 s15, s4, s11
	s_waitcnt lgkmcnt(0)
	v_max_f32_e32 v12, v12, v12
	v_max_f32_e32 v11, v11, v12
	ds_bpermute_b32 v11, v10, v11
	v_cmp_gt_i32_e64 s[4:5], s15, v0
	v_mov_b32_e32 v10, 0
	s_and_saveexec_b64 s[30:31], s[4:5]
	s_cbranch_execz .LBB126_29
; %bb.26:
	v_mov_b32_e32 v10, 0x50
	v_lshl_add_u32 v12, v0, 2, v10
	v_mov_b32_e32 v10, 0
	s_mov_b64 s[34:35], 0
	v_mov_b32_e32 v13, v0
.LBB126_27:                             ; =>This Inner Loop Header: Depth=1
	ds_read_b32 v14, v12
	v_add_u32_e32 v13, 0x80, v13
	v_cmp_le_i32_e64 s[6:7], s15, v13
	s_or_b64 s[34:35], s[6:7], s[34:35]
	s_waitcnt lgkmcnt(0)
	v_sub_f32_e32 v14, v14, v11
	v_mul_f32_e32 v14, 0x3fb8aa3b, v14
	v_exp_f32_e32 v14, v14
	ds_write_b32 v12, v14
	v_add_f32_e32 v10, v10, v14
	v_add_u32_e32 v12, 0x200, v12
	s_andn2_b64 exec, exec, s[34:35]
	s_cbranch_execnz .LBB126_27
; %bb.28:
	s_or_b64 exec, exec, s[34:35]
.LBB126_29:
	s_or_b64 exec, exec, s[30:31]
	ds_bpermute_b32 v4, v4, v10
	s_waitcnt lgkmcnt(0)
	v_add_f32_e32 v4, v10, v4
	ds_bpermute_b32 v5, v5, v4
	s_waitcnt lgkmcnt(0)
	v_add_f32_e32 v4, v4, v5
	ds_bpermute_b32 v5, v8, v4
	v_xor_b32_e32 v8, 2, v1
	v_cmp_lt_i32_e64 s[6:7], v8, v2
	v_cndmask_b32_e64 v2, v1, v8, s[6:7]
	v_lshlrev_b32_e32 v2, 2, v2
	s_waitcnt lgkmcnt(0)
	v_add_f32_e32 v4, v4, v5
	ds_bpermute_b32 v5, v9, v4
	s_waitcnt lgkmcnt(0)
	v_add_f32_e32 v4, v4, v5
	ds_bpermute_b32 v2, v2, v4
	;; [unrolled: 3-line block ×3, first 2 shown]
	s_waitcnt lgkmcnt(0)
	v_add_f32_e32 v2, v2, v4
	s_and_saveexec_b64 s[6:7], vcc
; %bb.30:
	ds_write_b32 v6, v2 offset:72
; %bb.31:
	s_or_b64 exec, exec, s[6:7]
	s_waitcnt lgkmcnt(0)
	s_barrier
	s_and_saveexec_b64 s[6:7], s[2:3]
; %bb.32:
	ds_read_b32 v2, v7 offset:72
; %bb.33:
	s_or_b64 exec, exec, s[6:7]
	s_waitcnt lgkmcnt(0)
	ds_bpermute_b32 v4, v18, v2
	v_lshlrev_b32_e32 v1, 2, v1
	v_and_b32_e32 v1, 0x100, v1
	s_waitcnt lgkmcnt(0)
	v_add_f32_e32 v2, v2, v4
	ds_bpermute_b32 v1, v1, v2
	s_and_saveexec_b64 s[2:3], s[4:5]
	s_cbranch_execz .LBB126_36
; %bb.34:
	s_waitcnt lgkmcnt(0)
	v_add_f32_e32 v2, 0x358637bd, v1
	v_div_scale_f32 v1, s[4:5], v2, v2, 1.0
	v_div_scale_f32 v4, vcc, 1.0, v2, 1.0
	s_mov_b64 s[4:5], 0
	v_rcp_f32_e32 v5, v1
	v_fma_f32 v6, -v1, v5, 1.0
	v_fmac_f32_e32 v5, v6, v5
	v_mul_f32_e32 v6, v4, v5
	v_fma_f32 v7, -v1, v6, v4
	v_fmac_f32_e32 v6, v7, v5
	v_fma_f32 v1, -v1, v6, v4
	v_div_fmas_f32 v4, v1, v5, v6
	v_mov_b32_e32 v1, 0x50
	v_lshl_add_u32 v1, v0, 2, v1
	v_div_fixup_f32 v2, v4, v2, 1.0
	v_mov_b32_e32 v4, v0
.LBB126_35:                             ; =>This Inner Loop Header: Depth=1
	ds_read_b32 v5, v1
	v_add_u32_e32 v4, 0x80, v4
	v_cmp_le_i32_e32 vcc, s15, v4
	s_or_b64 s[4:5], vcc, s[4:5]
	s_waitcnt lgkmcnt(0)
	v_mul_f32_e32 v5, v2, v5
	ds_write_b32 v1, v5
	v_add_u32_e32 v1, 0x200, v1
	s_andn2_b64 exec, exec, s[4:5]
	s_cbranch_execnz .LBB126_35
.LBB126_36:
	s_or_b64 exec, exec, s[2:3]
	v_mov_b32_e32 v24, 0
	s_waitcnt lgkmcnt(0)
	s_barrier
	s_and_saveexec_b64 s[2:3], s[0:1]
	s_cbranch_execz .LBB126_44
; %bb.37:
	s_ashr_i32 s15, s14, 31
	s_sub_i32 s17, s12, s17
	s_lshl_b64 s[0:1], s[14:15], 1
	s_add_u32 s0, s28, s0
	s_addc_u32 s1, s29, s1
	s_abs_i32 s14, s18
	v_cvt_f32_u32_e32 v1, s14
	s_sub_i32 s4, 0, s14
	v_lshlrev_b32_e32 v2, 3, v0
	v_lshlrev_b32_e32 v4, 4, v0
	v_rcp_iflag_f32_e32 v1, v1
	v_and_b32_e32 v20, 8, v2
	v_and_b32_e32 v2, 0x3f0, v4
	v_mov_b32_e32 v4, s1
	v_mul_f32_e32 v1, 0x4f7ffffe, v1
	v_cvt_u32_f32_e32 v1, v1
	v_add_co_u32_e32 v21, vcc, s0, v2
	s_add_i32 s18, s41, -1
	v_mul_lo_u32 v5, s4, v1
	s_lshl_b64 s[0:1], s[26:27], 2
	v_addc_co_u32_e32 v22, vcc, 0, v4, vcc
	v_mul_hi_u32 v5, v1, v5
	s_add_u32 s0, s24, s0
	s_addc_u32 s1, s25, s1
	v_mov_b32_e32 v2, s1
	v_add_u32_e32 v23, v1, v5
	v_and_b32_e32 v1, 60, v3
	v_add_co_u32_e32 v13, vcc, s0, v1
	v_and_b32_e32 v1, 1, v0
	v_lshlrev_b32_e32 v1, 5, v1
	v_lshl_or_b32 v1, v15, 6, v1
	s_mov_b32 s15, s13
	v_mov_b32_e32 v19, 0
	s_mov_b32 s28, s11
	v_addc_co_u32_e32 v14, vcc, 0, v2, vcc
	v_add_u32_e32 v25, 0x50, v1
	s_mov_b64 s[4:5], 0
	s_mov_b32 s24, 0x5040100
	s_movk_i32 s25, 0x7fff
	v_mov_b32_e32 v24, 0
	s_branch .LBB126_40
.LBB126_38:                             ;   in Loop: Header=BB126_40 Depth=1
	s_or_b64 exec, exec, s[12:13]
	s_waitcnt lgkmcnt(1)
	v_bfe_u32 v26, v9, 16, 1
	v_add3_u32 v26, v26, v9, s25
	v_or_b32_e32 v27, 0x400000, v9
	v_cmp_u_f32_e32 vcc, v9, v9
	v_cndmask_b32_e32 v9, v26, v27, vcc
	v_bfe_u32 v26, v10, 16, 1
	v_add3_u32 v26, v26, v10, s25
	v_or_b32_e32 v27, 0x400000, v10
	v_cmp_u_f32_e32 vcc, v10, v10
	v_cndmask_b32_e32 v10, v26, v27, vcc
	;; [unrolled: 5-line block ×4, first 2 shown]
	s_waitcnt lgkmcnt(0)
	v_bfe_u32 v26, v5, 16, 1
	v_add3_u32 v26, v26, v5, s25
	v_or_b32_e32 v27, 0x400000, v5
	v_cmp_u_f32_e32 vcc, v5, v5
	v_cndmask_b32_e32 v5, v26, v27, vcc
	v_bfe_u32 v26, v6, 16, 1
	v_add3_u32 v26, v26, v6, s25
	v_or_b32_e32 v27, 0x400000, v6
	v_cmp_u_f32_e32 vcc, v6, v6
	v_cndmask_b32_e32 v6, v26, v27, vcc
	;; [unrolled: 5-line block ×4, first 2 shown]
	v_and_b32_e32 v9, 0xffff0000, v9
	s_waitcnt vmcnt(0)
	v_lshlrev_b32_e32 v26, 16, v1
	v_mul_f32_e32 v9, v9, v26
	v_and_b32_e32 v10, 0xffff0000, v10
	v_and_b32_e32 v1, 0xffff0000, v1
	v_bfe_u32 v26, v9, 16, 1
	v_mul_f32_e32 v1, v10, v1
	v_add3_u32 v26, v26, v9, s25
	v_or_b32_e32 v27, 0x400000, v9
	v_cmp_u_f32_e32 vcc, v9, v9
	v_bfe_u32 v10, v1, 16, 1
	v_cndmask_b32_e32 v9, v26, v27, vcc
	v_add3_u32 v10, v10, v1, s25
	v_or_b32_e32 v26, 0x400000, v1
	v_cmp_u_f32_e32 vcc, v1, v1
	v_cndmask_b32_e32 v1, v10, v26, vcc
	v_and_b32_e32 v10, 0xffff0000, v11
	v_lshlrev_b32_e32 v11, 16, v2
	v_mul_f32_e32 v10, v10, v11
	v_bfe_u32 v11, v10, 16, 1
	v_add3_u32 v11, v11, v10, s25
	v_or_b32_e32 v26, 0x400000, v10
	v_cmp_u_f32_e32 vcc, v10, v10
	v_cndmask_b32_e32 v10, v11, v26, vcc
	v_and_b32_e32 v11, 0xffff0000, v12
	v_and_b32_e32 v2, 0xffff0000, v2
	v_mul_f32_e32 v2, v11, v2
	v_bfe_u32 v11, v2, 16, 1
	v_add3_u32 v11, v11, v2, s25
	v_or_b32_e32 v12, 0x400000, v2
	v_cmp_u_f32_e32 vcc, v2, v2
	v_cndmask_b32_e32 v2, v11, v12, vcc
	v_and_b32_e32 v5, 0xffff0000, v5
	v_lshlrev_b32_e32 v11, 16, v3
	v_mul_f32_e32 v5, v5, v11
	v_and_b32_e32 v6, 0xffff0000, v6
	v_and_b32_e32 v3, 0xffff0000, v3
	v_bfe_u32 v11, v5, 16, 1
	v_mul_f32_e32 v3, v6, v3
	v_add3_u32 v11, v11, v5, s25
	v_or_b32_e32 v12, 0x400000, v5
	v_cmp_u_f32_e32 vcc, v5, v5
	v_bfe_u32 v6, v3, 16, 1
	v_cndmask_b32_e32 v5, v11, v12, vcc
	v_add3_u32 v6, v6, v3, s25
	v_or_b32_e32 v11, 0x400000, v3
	v_cmp_u_f32_e32 vcc, v3, v3
	v_cndmask_b32_e32 v3, v6, v11, vcc
	v_and_b32_e32 v6, 0xffff0000, v7
	v_lshlrev_b32_e32 v7, 16, v4
	v_mul_f32_e32 v6, v6, v7
	v_bfe_u32 v7, v6, 16, 1
	v_add3_u32 v7, v7, v6, s25
	v_or_b32_e32 v11, 0x400000, v6
	v_cmp_u_f32_e32 vcc, v6, v6
	v_cndmask_b32_e32 v6, v7, v11, vcc
	v_and_b32_e32 v7, 0xffff0000, v8
	v_and_b32_e32 v4, 0xffff0000, v4
	v_mul_f32_e32 v4, v7, v4
	v_bfe_u32 v7, v4, 16, 1
	v_add3_u32 v7, v7, v4, s25
	v_or_b32_e32 v8, 0x400000, v4
	v_cmp_u_f32_e32 vcc, v4, v4
	v_cndmask_b32_e32 v4, v7, v8, vcc
	v_and_b32_e32 v1, 0xffff0000, v1
	v_and_b32_e32 v7, 0xffff0000, v9
	v_add_f32_e32 v1, v7, v1
	v_and_b32_e32 v2, 0xffff0000, v2
	v_and_b32_e32 v7, 0xffff0000, v10
	v_add_f32_e32 v2, v7, v2
	v_add_f32_e32 v1, v2, v1
	v_and_b32_e32 v2, 0xffff0000, v3
	v_and_b32_e32 v3, 0xffff0000, v5
	v_add_f32_e32 v2, v3, v2
	;; [unrolled: 4-line block ×3, first 2 shown]
	v_add_f32_e32 v1, v2, v1
	v_add_f32_e32 v24, v24, v1
.LBB126_39:                             ;   in Loop: Header=BB126_40 Depth=1
	s_or_b64 exec, exec, s[6:7]
	v_add_co_u32_e32 v13, vcc, 8, v13
	v_add_u32_e32 v15, 2, v15
	v_addc_co_u32_e32 v14, vcc, 0, v14, vcc
	v_cmp_le_i32_e32 vcc, s41, v15
	v_add_u32_e32 v16, 32, v16
	s_or_b64 s[4:5], vcc, s[4:5]
	v_add_u32_e32 v25, 0x80, v25
	s_andn2_b64 exec, exec, s[4:5]
	s_cbranch_execz .LBB126_43
.LBB126_40:                             ; =>This Inner Loop Header: Depth=1
	v_mul_hi_u32 v1, v16, s33
	v_mul_lo_u32 v2, v1, s21
	v_add_u32_e32 v3, 1, v1
	v_sub_u32_e32 v2, v16, v2
	v_cmp_le_u32_e32 vcc, s21, v2
	v_cndmask_b32_e32 v1, v1, v3, vcc
	v_subrev_u32_e32 v3, s21, v2
	v_cndmask_b32_e32 v2, v2, v3, vcc
	v_add_u32_e32 v3, 1, v1
	v_cmp_le_u32_e32 vcc, s21, v2
	v_cndmask_b32_e32 v1, v1, v3, vcc
	v_xor_b32_e32 v1, s19, v1
	v_subrev_u32_e32 v1, s19, v1
	v_add_u32_e32 v2, s40, v1
	v_sub_u32_e32 v3, 0, v2
	v_max_i32_e32 v3, v2, v3
	v_mul_hi_u32 v4, v3, v23
	v_ashrrev_i32_e32 v2, 31, v2
	v_cmp_lt_i32_e64 s[0:1], s17, v1
	v_mul_lo_u32 v4, v4, s14
	v_sub_u32_e32 v3, v3, v4
	v_subrev_u32_e32 v4, s14, v3
	v_cmp_le_u32_e32 vcc, s14, v3
	v_cndmask_b32_e32 v3, v3, v4, vcc
	v_subrev_u32_e32 v4, s14, v3
	v_cmp_le_u32_e32 vcc, s14, v3
	v_cndmask_b32_e32 v3, v3, v4, vcc
	v_xor_b32_e32 v3, v3, v2
	v_sub_u32_e32 v2, v3, v2
	v_cmp_eq_u32_e32 vcc, 0, v2
	s_or_b64 s[0:1], vcc, s[0:1]
	s_and_saveexec_b64 s[6:7], s[0:1]
	s_cbranch_execz .LBB126_39
; %bb.41:                               ;   in Loop: Header=BB126_40 Depth=1
	global_load_dword v1, v[13:14], off
	s_waitcnt vmcnt(0)
	v_mad_i64_i32 v[1:2], s[0:1], v1, s15, 0
	v_lshlrev_b64 v[1:2], 1, v[1:2]
	v_add_co_u32_e32 v1, vcc, v21, v1
	v_addc_co_u32_e32 v2, vcc, v22, v2, vcc
	global_load_dwordx4 v[1:4], v[1:2], off
	ds_read2_b64 v[9:12], v25 offset1:1
	ds_read2_b64 v[5:8], v25 offset0:2 offset1:3
	v_cmp_eq_u32_e32 vcc, s18, v15
	s_and_saveexec_b64 s[12:13], vcc
	s_cbranch_execz .LBB126_38
; %bb.42:                               ;   in Loop: Header=BB126_40 Depth=1
	v_add_u32_e32 v26, v20, v16
	v_add_u32_e32 v27, 1, v26
	v_cmp_gt_i32_e32 vcc, s28, v27
	s_waitcnt vmcnt(0)
	v_cndmask_b32_sdwa v27, v19, v1, vcc dst_sel:DWORD dst_unused:UNUSED_PAD src0_sel:DWORD src1_sel:WORD_1
	v_cmp_gt_i32_e32 vcc, s11, v26
	v_cndmask_b32_e32 v1, 0, v1, vcc
	v_perm_b32 v1, v27, v1, s24
	v_or_b32_e32 v27, 3, v26
	v_or_b32_e32 v28, 2, v26
	v_cmp_gt_i32_e32 vcc, s28, v27
	v_cmp_gt_i32_e64 s[0:1], s11, v28
	v_cndmask_b32_e64 v27, 0, v2, s[0:1]
	v_cndmask_b32_sdwa v2, v19, v2, vcc dst_sel:DWORD dst_unused:UNUSED_PAD src0_sel:DWORD src1_sel:WORD_1
	v_perm_b32 v2, v2, v27, s24
	v_or_b32_e32 v27, 5, v26
	v_or_b32_e32 v28, 4, v26
	v_cmp_gt_i32_e32 vcc, s28, v27
	v_cmp_gt_i32_e64 s[0:1], s11, v28
	v_cndmask_b32_e64 v27, 0, v3, s[0:1]
	v_cndmask_b32_sdwa v3, v19, v3, vcc dst_sel:DWORD dst_unused:UNUSED_PAD src0_sel:DWORD src1_sel:WORD_1
	;; [unrolled: 7-line block ×3, first 2 shown]
	v_perm_b32 v4, v4, v26, s24
	s_branch .LBB126_38
.LBB126_43:
	s_or_b64 exec, exec, s[4:5]
.LBB126_44:
	s_or_b64 exec, exec, s[2:3]
	ds_bpermute_b32 v1, v18, v24
	v_and_b32_e32 v2, 0x3c1, v0
	v_cmp_eq_u32_e32 vcc, 64, v2
	s_waitcnt lgkmcnt(0)
	s_barrier
	v_add_f32_e32 v1, v24, v1
	s_and_saveexec_b64 s[0:1], vcc
; %bb.45:
	v_mov_b32_e32 v3, 0x50
	v_lshl_add_u32 v3, v17, 1, v3
	ds_write_b32 v3, v1
; %bb.46:
	s_or_b64 exec, exec, s[0:1]
	v_lshrrev_b32_e32 v0, 1, v0
	v_cmp_eq_u32_e32 vcc, 0, v2
	s_waitcnt lgkmcnt(0)
	s_barrier
	s_and_saveexec_b64 s[0:1], vcc
	s_cbranch_execz .LBB126_48
; %bb.47:
	v_mov_b32_e32 v2, 0x50
	v_lshl_add_u32 v2, v0, 2, v2
	ds_read_b32 v2, v2
	s_waitcnt lgkmcnt(0)
	v_add_f32_e32 v1, v1, v2
.LBB126_48:
	s_or_b64 exec, exec, s[0:1]
	s_barrier
	s_and_saveexec_b64 s[0:1], vcc
	s_cbranch_execz .LBB126_50
; %bb.49:
	s_mul_i32 s0, s10, s16
	s_mul_i32 s0, s0, s9
	s_lshl_b32 s0, s0, 5
	s_ashr_i32 s1, s0, 31
	s_lshl_b64 s[0:1], s[0:1], 1
	s_add_u32 s2, s22, s0
	s_mul_i32 s0, s16, s20
	s_addc_u32 s3, s23, s1
	s_ashr_i32 s1, s0, 31
	s_lshl_b64 s[0:1], s[0:1], 1
	s_add_u32 s2, s2, s0
	s_addc_u32 s3, s3, s1
	s_lshl_b32 s0, s8, 5
	s_ashr_i32 s1, s0, 31
	s_lshl_b64 s[0:1], s[0:1], 1
	s_add_u32 s0, s2, s0
	v_bfe_u32 v2, v1, 16, 1
	s_movk_i32 s2, 0x7fff
	v_add3_u32 v2, v2, v1, s2
	v_or_b32_e32 v3, 0x400000, v1
	v_cmp_u_f32_e32 vcc, v1, v1
	s_addc_u32 s1, s3, s1
	v_lshlrev_b32_e32 v0, 1, v0
	v_cndmask_b32_e32 v1, v2, v3, vcc
	global_store_short_d16_hi v0, v1, s[0:1]
.LBB126_50:
	s_endpgm
	.section	.rodata,"a",@progbits
	.p2align	6, 0x0
	.amdhsa_kernel _ZN4vllm25paged_attention_v1_kernelI14__hip_bfloat16S1_Li32ELi16ELi128ELNS_18Fp8KVCacheDataTypeE0ELb1EEEvPT_PKS3_PKT0_S9_ifPKiSB_iPKfiiiSD_SD_iiiii
		.amdhsa_group_segment_fixed_size 80
		.amdhsa_private_segment_fixed_size 0
		.amdhsa_kernarg_size 384
		.amdhsa_user_sgpr_count 6
		.amdhsa_user_sgpr_private_segment_buffer 1
		.amdhsa_user_sgpr_dispatch_ptr 0
		.amdhsa_user_sgpr_queue_ptr 0
		.amdhsa_user_sgpr_kernarg_segment_ptr 1
		.amdhsa_user_sgpr_dispatch_id 0
		.amdhsa_user_sgpr_flat_scratch_init 0
		.amdhsa_user_sgpr_private_segment_size 0
		.amdhsa_uses_dynamic_stack 0
		.amdhsa_system_sgpr_private_segment_wavefront_offset 0
		.amdhsa_system_sgpr_workgroup_id_x 1
		.amdhsa_system_sgpr_workgroup_id_y 1
		.amdhsa_system_sgpr_workgroup_id_z 1
		.amdhsa_system_sgpr_workgroup_info 0
		.amdhsa_system_vgpr_workitem_id 0
		.amdhsa_next_free_vgpr 39
		.amdhsa_next_free_sgpr 44
		.amdhsa_reserve_vcc 1
		.amdhsa_reserve_flat_scratch 0
		.amdhsa_float_round_mode_32 0
		.amdhsa_float_round_mode_16_64 0
		.amdhsa_float_denorm_mode_32 3
		.amdhsa_float_denorm_mode_16_64 3
		.amdhsa_dx10_clamp 1
		.amdhsa_ieee_mode 1
		.amdhsa_fp16_overflow 0
		.amdhsa_exception_fp_ieee_invalid_op 0
		.amdhsa_exception_fp_denorm_src 0
		.amdhsa_exception_fp_ieee_div_zero 0
		.amdhsa_exception_fp_ieee_overflow 0
		.amdhsa_exception_fp_ieee_underflow 0
		.amdhsa_exception_fp_ieee_inexact 0
		.amdhsa_exception_int_div_zero 0
	.end_amdhsa_kernel
	.section	.text._ZN4vllm25paged_attention_v1_kernelI14__hip_bfloat16S1_Li32ELi16ELi128ELNS_18Fp8KVCacheDataTypeE0ELb1EEEvPT_PKS3_PKT0_S9_ifPKiSB_iPKfiiiSD_SD_iiiii,"axG",@progbits,_ZN4vllm25paged_attention_v1_kernelI14__hip_bfloat16S1_Li32ELi16ELi128ELNS_18Fp8KVCacheDataTypeE0ELb1EEEvPT_PKS3_PKT0_S9_ifPKiSB_iPKfiiiSD_SD_iiiii,comdat
.Lfunc_end126:
	.size	_ZN4vllm25paged_attention_v1_kernelI14__hip_bfloat16S1_Li32ELi16ELi128ELNS_18Fp8KVCacheDataTypeE0ELb1EEEvPT_PKS3_PKT0_S9_ifPKiSB_iPKfiiiSD_SD_iiiii, .Lfunc_end126-_ZN4vllm25paged_attention_v1_kernelI14__hip_bfloat16S1_Li32ELi16ELi128ELNS_18Fp8KVCacheDataTypeE0ELb1EEEvPT_PKS3_PKT0_S9_ifPKiSB_iPKfiiiSD_SD_iiiii
                                        ; -- End function
	.set _ZN4vllm25paged_attention_v1_kernelI14__hip_bfloat16S1_Li32ELi16ELi128ELNS_18Fp8KVCacheDataTypeE0ELb1EEEvPT_PKS3_PKT0_S9_ifPKiSB_iPKfiiiSD_SD_iiiii.num_vgpr, 39
	.set _ZN4vllm25paged_attention_v1_kernelI14__hip_bfloat16S1_Li32ELi16ELi128ELNS_18Fp8KVCacheDataTypeE0ELb1EEEvPT_PKS3_PKT0_S9_ifPKiSB_iPKfiiiSD_SD_iiiii.num_agpr, 0
	.set _ZN4vllm25paged_attention_v1_kernelI14__hip_bfloat16S1_Li32ELi16ELi128ELNS_18Fp8KVCacheDataTypeE0ELb1EEEvPT_PKS3_PKT0_S9_ifPKiSB_iPKfiiiSD_SD_iiiii.numbered_sgpr, 44
	.set _ZN4vllm25paged_attention_v1_kernelI14__hip_bfloat16S1_Li32ELi16ELi128ELNS_18Fp8KVCacheDataTypeE0ELb1EEEvPT_PKS3_PKT0_S9_ifPKiSB_iPKfiiiSD_SD_iiiii.num_named_barrier, 0
	.set _ZN4vllm25paged_attention_v1_kernelI14__hip_bfloat16S1_Li32ELi16ELi128ELNS_18Fp8KVCacheDataTypeE0ELb1EEEvPT_PKS3_PKT0_S9_ifPKiSB_iPKfiiiSD_SD_iiiii.private_seg_size, 0
	.set _ZN4vllm25paged_attention_v1_kernelI14__hip_bfloat16S1_Li32ELi16ELi128ELNS_18Fp8KVCacheDataTypeE0ELb1EEEvPT_PKS3_PKT0_S9_ifPKiSB_iPKfiiiSD_SD_iiiii.uses_vcc, 1
	.set _ZN4vllm25paged_attention_v1_kernelI14__hip_bfloat16S1_Li32ELi16ELi128ELNS_18Fp8KVCacheDataTypeE0ELb1EEEvPT_PKS3_PKT0_S9_ifPKiSB_iPKfiiiSD_SD_iiiii.uses_flat_scratch, 0
	.set _ZN4vllm25paged_attention_v1_kernelI14__hip_bfloat16S1_Li32ELi16ELi128ELNS_18Fp8KVCacheDataTypeE0ELb1EEEvPT_PKS3_PKT0_S9_ifPKiSB_iPKfiiiSD_SD_iiiii.has_dyn_sized_stack, 0
	.set _ZN4vllm25paged_attention_v1_kernelI14__hip_bfloat16S1_Li32ELi16ELi128ELNS_18Fp8KVCacheDataTypeE0ELb1EEEvPT_PKS3_PKT0_S9_ifPKiSB_iPKfiiiSD_SD_iiiii.has_recursion, 0
	.set _ZN4vllm25paged_attention_v1_kernelI14__hip_bfloat16S1_Li32ELi16ELi128ELNS_18Fp8KVCacheDataTypeE0ELb1EEEvPT_PKS3_PKT0_S9_ifPKiSB_iPKfiiiSD_SD_iiiii.has_indirect_call, 0
	.section	.AMDGPU.csdata,"",@progbits
; Kernel info:
; codeLenInByte = 4228
; TotalNumSgprs: 48
; NumVgprs: 39
; ScratchSize: 0
; MemoryBound: 0
; FloatMode: 240
; IeeeMode: 1
; LDSByteSize: 80 bytes/workgroup (compile time only)
; SGPRBlocks: 5
; VGPRBlocks: 9
; NumSGPRsForWavesPerEU: 48
; NumVGPRsForWavesPerEU: 39
; Occupancy: 6
; WaveLimiterHint : 1
; COMPUTE_PGM_RSRC2:SCRATCH_EN: 0
; COMPUTE_PGM_RSRC2:USER_SGPR: 6
; COMPUTE_PGM_RSRC2:TRAP_HANDLER: 0
; COMPUTE_PGM_RSRC2:TGID_X_EN: 1
; COMPUTE_PGM_RSRC2:TGID_Y_EN: 1
; COMPUTE_PGM_RSRC2:TGID_Z_EN: 1
; COMPUTE_PGM_RSRC2:TIDIG_COMP_CNT: 0
	.section	.text._ZN4vllm25paged_attention_v1_kernelI14__hip_bfloat16S1_Li64ELi16ELi128ELNS_18Fp8KVCacheDataTypeE0ELb1EEEvPT_PKS3_PKT0_S9_ifPKiSB_iPKfiiiSD_SD_iiiii,"axG",@progbits,_ZN4vllm25paged_attention_v1_kernelI14__hip_bfloat16S1_Li64ELi16ELi128ELNS_18Fp8KVCacheDataTypeE0ELb1EEEvPT_PKS3_PKT0_S9_ifPKiSB_iPKfiiiSD_SD_iiiii,comdat
	.protected	_ZN4vllm25paged_attention_v1_kernelI14__hip_bfloat16S1_Li64ELi16ELi128ELNS_18Fp8KVCacheDataTypeE0ELb1EEEvPT_PKS3_PKT0_S9_ifPKiSB_iPKfiiiSD_SD_iiiii ; -- Begin function _ZN4vllm25paged_attention_v1_kernelI14__hip_bfloat16S1_Li64ELi16ELi128ELNS_18Fp8KVCacheDataTypeE0ELb1EEEvPT_PKS3_PKT0_S9_ifPKiSB_iPKfiiiSD_SD_iiiii
	.globl	_ZN4vllm25paged_attention_v1_kernelI14__hip_bfloat16S1_Li64ELi16ELi128ELNS_18Fp8KVCacheDataTypeE0ELb1EEEvPT_PKS3_PKT0_S9_ifPKiSB_iPKfiiiSD_SD_iiiii
	.p2align	8
	.type	_ZN4vllm25paged_attention_v1_kernelI14__hip_bfloat16S1_Li64ELi16ELi128ELNS_18Fp8KVCacheDataTypeE0ELb1EEEvPT_PKS3_PKT0_S9_ifPKiSB_iPKfiiiSD_SD_iiiii,@function
_ZN4vllm25paged_attention_v1_kernelI14__hip_bfloat16S1_Li64ELi16ELi128ELNS_18Fp8KVCacheDataTypeE0ELb1EEEvPT_PKS3_PKT0_S9_ifPKiSB_iPKfiiiSD_SD_iiiii: ; @_ZN4vllm25paged_attention_v1_kernelI14__hip_bfloat16S1_Li64ELi16ELi128ELNS_18Fp8KVCacheDataTypeE0ELb1EEEvPT_PKS3_PKT0_S9_ifPKiSB_iPKfiiiSD_SD_iiiii
; %bb.0:
	s_load_dword s9, s[4:5], 0x80
	s_load_dwordx2 s[0:1], s[4:5], 0x30
	s_load_dwordx2 s[30:31], s[4:5], 0x20
	s_mov_b32 s10, s7
	s_ashr_i32 s11, s7, 31
	s_lshl_b64 s[2:3], s[10:11], 2
	s_waitcnt lgkmcnt(0)
	s_add_u32 s0, s0, s2
	s_addc_u32 s1, s1, s3
	s_abs_i32 s2, s30
	v_cvt_f32_u32_e32 v1, s2
	s_sub_i32 s11, 0, s2
	s_abs_i32 s7, s9
	s_xor_b32 s3, s9, s30
	v_rcp_iflag_f32_e32 v1, v1
	s_ashr_i32 s3, s3, 31
	s_mov_b32 s42, 0
	v_mul_f32_e32 v1, 0x4f7ffffe, v1
	v_cvt_u32_f32_e32 v1, v1
	v_readfirstlane_b32 s12, v1
	s_mul_i32 s11, s11, s12
	s_mul_hi_u32 s11, s12, s11
	s_add_i32 s12, s12, s11
	s_mul_hi_u32 s11, s7, s12
	s_mul_i32 s12, s11, s2
	s_sub_i32 s7, s7, s12
	s_add_i32 s12, s11, 1
	s_sub_i32 s13, s7, s2
	s_cmp_ge_u32 s7, s2
	s_cselect_b32 s11, s12, s11
	s_cselect_b32 s7, s13, s7
	s_add_i32 s12, s11, 1
	s_cmp_ge_u32 s7, s2
	s_cselect_b32 s2, s12, s11
	s_xor_b32 s2, s2, s3
	s_sub_i32 s12, s2, s3
	s_abs_i32 s22, s12
	v_cvt_f32_u32_e32 v1, s22
	s_load_dwordx2 s[2:3], s[4:5], 0x40
	s_sub_i32 s7, 0, s22
	s_abs_i32 s23, s6
	v_rcp_iflag_f32_e32 v1, v1
	v_mul_f32_e32 v1, 0x4f7ffffe, v1
	v_cvt_u32_f32_e32 v1, v1
	v_readfirstlane_b32 s11, v1
	s_mul_i32 s7, s7, s11
	s_mul_hi_u32 s7, s11, s7
	s_add_i32 s11, s11, s7
	s_waitcnt lgkmcnt(0)
	s_cmp_eq_u64 s[2:3], 0
	s_mul_hi_u32 s24, s23, s11
	s_cbranch_scc1 .LBB127_2
; %bb.1:
	s_ashr_i32 s7, s6, 31
	s_lshl_b64 s[14:15], s[6:7], 2
	s_add_u32 s2, s2, s14
	s_addc_u32 s3, s3, s15
	s_load_dword s42, s[2:3], 0x0
.LBB127_2:
	s_load_dword s11, s[0:1], 0x0
	s_ashr_i32 s7, s12, 31
	s_load_dwordx4 s[12:15], s[4:5], 0x48
	s_ashr_i32 s2, s6, 31
	v_and_b32_e32 v1, 3, v0
	s_lshl_b32 s20, s6, 6
	v_cmp_gt_u32_e32 vcc, 32, v0
	v_lshlrev_b32_e32 v2, 2, v0
	s_and_saveexec_b64 s[0:1], vcc
	s_cbranch_execz .LBB127_4
; %bb.3:
	s_load_dwordx2 s[16:17], s[4:5], 0x8
	s_waitcnt lgkmcnt(0)
	s_mul_i32 s18, s12, s10
	s_ashr_i32 s19, s18, 31
	s_lshl_b64 s[18:19], s[18:19], 1
	v_and_b32_e32 v4, 0x3fc, v0
	s_add_u32 s3, s16, s18
	s_addc_u32 s12, s17, s19
	s_ashr_i32 s21, s20, 31
	s_lshl_b64 s[16:17], s[20:21], 1
	s_add_u32 s16, s3, s16
	s_addc_u32 s17, s12, s17
	global_load_dword v3, v2, s[16:17]
	v_lshl_add_u32 v4, v1, 5, v4
	s_waitcnt vmcnt(0)
	ds_write_b32 v4, v3
.LBB127_4:
	s_or_b64 exec, exec, s[0:1]
	s_mul_i32 s1, s24, s22
	s_sub_i32 s1, s23, s1
	s_xor_b32 s0, s2, s7
	s_add_i32 s2, s24, 1
	s_sub_i32 s7, s1, s22
	s_load_dwordx4 s[16:19], s[4:5], 0x68
	s_load_dword s3, s[4:5], 0x78
	s_cmp_ge_u32 s1, s22
	s_cselect_b32 s2, s2, s24
	s_cselect_b32 s1, s7, s1
	s_add_i32 s7, s2, 1
	s_cmp_ge_u32 s1, s22
	s_cselect_b32 s1, s7, s2
	s_waitcnt lgkmcnt(0)
	s_abs_i32 s21, s19
	v_cvt_f32_u32_e32 v3, s21
	s_xor_b32 s1, s1, s0
	s_sub_i32 s2, s1, s0
	s_sub_i32 s0, 0, s21
	v_rcp_iflag_f32_e32 v3, v3
	s_add_i32 s15, s11, -1
	s_abs_i32 s7, s15
	v_mul_f32_e32 v3, 0x4f7ffffe, v3
	v_cvt_u32_f32_e32 v3, v3
	s_barrier
	v_readfirstlane_b32 s33, v3
	s_mul_i32 s0, s0, s33
	s_mul_hi_u32 s0, s33, s0
	s_add_i32 s33, s33, s0
	s_cmp_lt_i32 s3, 0
	s_mul_hi_u32 s12, s7, s33
	s_cbranch_scc0 .LBB127_6
; %bb.5:
	s_mul_i32 s0, s16, s30
	s_add_i32 s0, s2, s0
	s_mul_i32 s0, s0, s3
	s_sub_i32 s40, 1, s0
	s_mov_b64 s[0:1], 0
	s_branch .LBB127_7
.LBB127_6:
	s_mov_b64 s[0:1], -1
                                        ; implicit-def: $sgpr40
.LBB127_7:
	s_load_dwordx2 s[24:25], s[4:5], 0x28
	s_ashr_i32 s15, s15, 31
	s_andn2_b64 vcc, exec, s[0:1]
	s_ashr_i32 s19, s19, 31
	s_cbranch_vccnz .LBB127_9
; %bb.8:
	s_mul_i32 s0, s9, s16
	s_add_i32 s0, s0, s6
	s_mul_i32 s0, s0, s3
	s_add_i32 s40, s0, 1
.LBB127_9:
	s_load_dword s0, s[4:5], 0x38
	s_load_dwordx2 s[22:23], s[4:5], 0x0
	s_load_dwordx2 s[28:29], s[4:5], 0x18
	s_load_dword s16, s[4:5], 0x88
	s_xor_b32 s1, s15, s19
	s_waitcnt lgkmcnt(0)
	s_mul_i32 s26, s0, s10
	s_mul_i32 s0, s12, s21
	s_sub_i32 s0, s7, s0
	s_ashr_i32 s27, s26, 31
	s_add_i32 s3, s12, 1
	s_sub_i32 s6, s0, s21
	s_cmp_ge_u32 s0, s21
	s_cselect_b32 s3, s3, s12
	s_cselect_b32 s0, s6, s0
	s_add_i32 s6, s3, 1
	s_cmp_ge_u32 s0, s21
	s_cselect_b32 s0, s6, s3
	s_xor_b32 s0, s0, s1
	s_sub_i32 s12, s0, s1
	s_add_i32 s0, s11, 15
	s_ashr_i32 s1, s0, 31
	s_lshr_b32 s1, s1, 28
	s_add_i32 s0, s0, s1
	s_ashr_i32 s41, s0, 4
	v_lshrrev_b32_e32 v19, 6, v0
	v_cmp_gt_i32_e64 s[0:1], s41, v19
	v_mov_b32_e32 v8, 0xff7fffff
	s_mul_i32 s14, s2, s14
	v_lshrrev_b32_e32 v3, 4, v0
	v_lshlrev_b32_e32 v20, 4, v19
	v_mbcnt_lo_u32_b32 v4, -1, 0
	s_and_saveexec_b64 s[34:35], s[0:1]
	s_cbranch_execz .LBB127_21
; %bb.10:
	s_load_dwordx2 s[2:3], s[4:5], 0x10
	s_ashr_i32 s15, s14, 31
	s_sub_i32 s30, s12, s17
	s_lshl_b64 s[4:5], s[14:15], 1
	v_and_b32_e32 v2, 12, v2
	s_waitcnt lgkmcnt(0)
	s_add_u32 s2, s2, s4
	s_addc_u32 s3, s3, s5
	s_abs_i32 s15, s18
	v_cvt_f32_u32_e32 v5, s15
	v_mov_b32_e32 v7, s3
	s_sub_i32 s3, 0, s15
	s_lshl_b64 s[4:5], s[26:27], 2
	v_rcp_iflag_f32_e32 v6, v5
	v_bfe_u32 v5, v0, 2, 4
	s_add_u32 s4, s24, s4
	v_cmp_eq_u32_e32 vcc, 0, v1
	v_mul_f32_e32 v6, 0x4f7ffffe, v6
	v_cvt_u32_f32_e32 v8, v6
	v_lshlrev_b32_e32 v6, 4, v5
	s_addc_u32 s5, s25, s5
	v_mbcnt_hi_u32_b32 v15, -1, v4
	v_mul_lo_u32 v9, s3, v8
	v_add_co_u32_e64 v6, s[2:3], s2, v6
	v_addc_co_u32_e64 v7, s[2:3], 0, v7, s[2:3]
	v_mul_hi_u32 v10, v8, v9
	v_add_co_u32_e64 v6, s[2:3], v6, v2
	v_lshlrev_b32_e32 v9, 5, v1
	v_add_u32_e32 v10, v8, v10
	v_subrev_u32_e32 v8, s11, v5
	v_add_u32_e32 v12, 1, v8
	v_lshlrev_b32_e32 v8, 2, v5
	v_and_b32_e32 v1, 60, v3
	v_lshl_or_b32 v8, v19, 6, v8
	v_addc_co_u32_e64 v7, s[2:3], 0, v7, s[2:3]
	v_mov_b32_e32 v2, s5
	v_add_co_u32_e64 v1, s[4:5], s4, v1
	v_add_u32_e32 v13, 0x90, v8
	v_and_b32_e32 v8, 64, v15
	s_mov_b32 s43, s13
	v_cmp_neq_f32_e64 s[2:3], s42, 0
	v_addc_co_u32_e64 v2, s[4:5], 0, v2, s[4:5]
	v_lshlrev_b32_e32 v11, 4, v19
	v_mov_b32_e32 v14, 0xff7fffff
	s_mov_b64 s[36:37], 0
	v_add_u32_e32 v16, 64, v8
	v_xor_b32_e32 v17, 2, v15
	v_xor_b32_e32 v18, 1, v15
	v_mov_b32_e32 v8, 0xff7fffff
	v_mov_b32_e32 v21, v19
	s_branch .LBB127_13
.LBB127_11:                             ;   in Loop: Header=BB127_13 Depth=1
	s_or_b64 exec, exec, s[38:39]
.LBB127_12:                             ;   in Loop: Header=BB127_13 Depth=1
	s_or_b64 exec, exec, s[6:7]
	v_add_co_u32_e64 v1, s[4:5], 8, v1
	v_add_u32_e32 v21, 2, v21
	v_addc_co_u32_e64 v2, s[4:5], 0, v2, s[4:5]
	v_cmp_le_i32_e64 s[4:5], s41, v21
	v_add_u32_e32 v11, 32, v11
	s_or_b64 s[36:37], s[4:5], s[36:37]
	v_add_u32_e32 v13, 0x80, v13
	s_andn2_b64 exec, exec, s[36:37]
	s_cbranch_execz .LBB127_20
.LBB127_13:                             ; =>This Inner Loop Header: Depth=1
	v_mul_hi_u32 v22, v11, s33
	s_waitcnt lgkmcnt(0)
	v_mul_lo_u32 v23, v22, s21
	v_add_u32_e32 v24, 1, v22
	v_sub_u32_e32 v23, v11, v23
	v_cmp_le_u32_e64 s[4:5], s21, v23
	v_cndmask_b32_e64 v22, v22, v24, s[4:5]
	v_subrev_u32_e32 v24, s21, v23
	v_cndmask_b32_e64 v23, v23, v24, s[4:5]
	v_add_u32_e32 v24, 1, v22
	v_cmp_le_u32_e64 s[4:5], s21, v23
	v_cndmask_b32_e64 v22, v22, v24, s[4:5]
	v_xor_b32_e32 v22, s19, v22
	v_subrev_u32_e32 v22, s19, v22
	v_add_u32_e32 v23, s40, v22
	v_sub_u32_e32 v24, 0, v23
	v_max_i32_e32 v24, v23, v24
	v_mul_hi_u32 v25, v24, v10
	v_ashrrev_i32_e32 v23, 31, v23
	v_cmp_ge_i32_e64 s[6:7], s30, v22
	v_mul_lo_u32 v25, v25, s15
	v_sub_u32_e32 v24, v24, v25
	v_subrev_u32_e32 v25, s15, v24
	v_cmp_le_u32_e64 s[4:5], s15, v24
	v_cndmask_b32_e64 v24, v24, v25, s[4:5]
	v_subrev_u32_e32 v25, s15, v24
	v_cmp_le_u32_e64 s[4:5], s15, v24
	v_cndmask_b32_e64 v24, v24, v25, s[4:5]
	v_xor_b32_e32 v24, v24, v23
	v_sub_u32_e32 v23, v24, v23
	v_cmp_ne_u32_e64 s[4:5], 0, v23
	s_and_b64 s[4:5], s[4:5], s[6:7]
	s_and_saveexec_b64 s[6:7], s[4:5]
	s_xor_b64 s[4:5], exec, s[6:7]
	s_cbranch_execz .LBB127_17
; %bb.14:                               ;   in Loop: Header=BB127_13 Depth=1
	s_and_saveexec_b64 s[6:7], vcc
; %bb.15:                               ;   in Loop: Header=BB127_13 Depth=1
	ds_write_b32 v13, v14
; %bb.16:                               ;   in Loop: Header=BB127_13 Depth=1
	s_or_b64 exec, exec, s[6:7]
.LBB127_17:                             ;   in Loop: Header=BB127_13 Depth=1
	s_andn2_saveexec_b64 s[6:7], s[4:5]
	s_cbranch_execz .LBB127_12
; %bb.18:                               ;   in Loop: Header=BB127_13 Depth=1
	global_load_dword v22, v[1:2], off
	s_waitcnt vmcnt(0)
	v_mad_i64_i32 v[22:23], s[4:5], v22, s43, 0
	v_lshlrev_b64 v[22:23], 1, v[22:23]
	v_add_co_u32_e64 v22, s[4:5], v6, v22
	v_addc_co_u32_e64 v23, s[4:5], v7, v23, s[4:5]
	global_load_dword v30, v[22:23], off offset:256
	global_load_dword v31, v[22:23], off offset:512
	;; [unrolled: 1-line block ×7, first 2 shown]
	global_load_dword v37, v[22:23], off
	ds_read_b128 v[22:25], v9
	ds_read_b128 v[26:29], v9 offset:16
	v_cmp_lt_i32_e64 s[4:5], v17, v16
	v_cndmask_b32_e64 v38, v15, v17, s[4:5]
	v_lshlrev_b32_e32 v38, 2, v38
	s_waitcnt lgkmcnt(1)
	v_lshlrev_b32_e32 v40, 16, v23
	v_and_b32_e32 v23, 0xffff0000, v23
	v_lshlrev_b32_e32 v39, 16, v22
	v_and_b32_e32 v22, 0xffff0000, v22
	;; [unrolled: 2-line block ×4, first 2 shown]
	s_waitcnt lgkmcnt(0)
	v_lshlrev_b32_e32 v43, 16, v26
	v_and_b32_e32 v26, 0xffff0000, v26
	v_lshlrev_b32_e32 v44, 16, v27
	v_and_b32_e32 v27, 0xffff0000, v27
	v_lshlrev_b32_e32 v45, 16, v28
	v_and_b32_e32 v28, 0xffff0000, v28
	v_lshlrev_b32_e32 v46, 16, v29
	v_and_b32_e32 v29, 0xffff0000, v29
	v_cmp_lt_i32_e64 s[4:5], v18, v16
	s_waitcnt vmcnt(7)
	v_lshlrev_b32_e32 v47, 16, v30
	v_and_b32_e32 v30, 0xffff0000, v30
	v_mul_f32_e32 v40, v40, v47
	v_mul_f32_e32 v23, v23, v30
	s_waitcnt vmcnt(6)
	v_lshlrev_b32_e32 v49, 16, v31
	v_and_b32_e32 v31, 0xffff0000, v31
	s_waitcnt vmcnt(5)
	v_lshlrev_b32_e32 v50, 16, v32
	s_waitcnt vmcnt(0)
	v_lshlrev_b32_e32 v48, 16, v37
	v_and_b32_e32 v37, 0xffff0000, v37
	v_fmac_f32_e32 v40, v39, v48
	v_fmac_f32_e32 v23, v22, v37
	v_and_b32_e32 v32, 0xffff0000, v32
	v_fmac_f32_e32 v40, v41, v49
	v_fmac_f32_e32 v23, v24, v31
	v_lshlrev_b32_e32 v51, 16, v33
	v_and_b32_e32 v33, 0xffff0000, v33
	v_fmac_f32_e32 v40, v42, v50
	v_fmac_f32_e32 v23, v25, v32
	v_lshlrev_b32_e32 v52, 16, v34
	;; [unrolled: 4-line block ×4, first 2 shown]
	v_and_b32_e32 v36, 0xffff0000, v36
	v_fmac_f32_e32 v40, v45, v53
	v_fmac_f32_e32 v23, v28, v35
	;; [unrolled: 1-line block ×4, first 2 shown]
	v_add_f32_e32 v22, v40, v23
	ds_bpermute_b32 v23, v38, v22
	v_cndmask_b32_e64 v24, v15, v18, s[4:5]
	v_lshlrev_b32_e32 v24, 2, v24
	s_waitcnt lgkmcnt(0)
	v_add_f32_e32 v22, v22, v23
	ds_bpermute_b32 v23, v24, v22
	s_and_saveexec_b64 s[38:39], vcc
	s_cbranch_execz .LBB127_11
; %bb.19:                               ;   in Loop: Header=BB127_13 Depth=1
	v_add_u32_e32 v24, v12, v11
	v_cvt_f32_i32_e32 v24, v24
	s_waitcnt lgkmcnt(0)
	v_add_f32_e32 v22, v22, v23
	v_add_u32_e32 v25, v5, v11
	v_cmp_gt_i32_e64 s[4:5], s11, v25
	v_mul_f32_e32 v23, s42, v24
	v_cndmask_b32_e64 v23, 0, v23, s[2:3]
	v_fmac_f32_e32 v23, s31, v22
	v_cndmask_b32_e64 v22, 0, v23, s[4:5]
	ds_write_b32 v13, v22
	v_max_f32_e32 v22, v8, v8
	v_max_f32_e32 v22, v22, v23
	v_cndmask_b32_e64 v8, v8, v22, s[4:5]
	s_branch .LBB127_11
.LBB127_20:
	s_or_b64 exec, exec, s[36:37]
.LBB127_21:
	s_or_b64 exec, exec, s[34:35]
	v_mbcnt_hi_u32_b32 v1, -1, v4
	v_and_b32_e32 v10, 64, v1
	v_add_u32_e32 v2, 64, v10
	v_xor_b32_e32 v4, 32, v1
	v_cmp_lt_i32_e32 vcc, v4, v2
	v_cndmask_b32_e32 v4, v1, v4, vcc
	v_lshlrev_b32_e32 v4, 2, v4
	ds_bpermute_b32 v5, v4, v8
	v_xor_b32_e32 v7, 16, v1
	v_max_f32_e32 v6, v8, v8
	v_cmp_lt_i32_e32 vcc, v7, v2
	v_xor_b32_e32 v8, 8, v1
	s_waitcnt lgkmcnt(0)
	v_max_f32_e32 v5, v5, v5
	v_max_f32_e32 v6, v6, v5
	v_cndmask_b32_e32 v5, v1, v7, vcc
	v_lshlrev_b32_e32 v5, 2, v5
	ds_bpermute_b32 v7, v5, v6
	v_cmp_lt_i32_e32 vcc, v8, v2
	v_xor_b32_e32 v9, 4, v1
	v_and_b32_e32 v21, 63, v0
	s_waitcnt lgkmcnt(0)
	v_max_f32_e32 v7, v7, v7
	v_max_f32_e32 v6, v6, v7
	v_cndmask_b32_e32 v7, v1, v8, vcc
	v_lshlrev_b32_e32 v8, 2, v7
	ds_bpermute_b32 v7, v8, v6
	v_cmp_lt_i32_e32 vcc, v9, v2
	s_waitcnt lgkmcnt(0)
	v_max_f32_e32 v7, v7, v7
	v_max_f32_e32 v7, v6, v7
	v_cndmask_b32_e32 v6, v1, v9, vcc
	v_lshlrev_b32_e32 v9, 2, v6
	ds_bpermute_b32 v11, v9, v7
	v_cmp_eq_u32_e32 vcc, 0, v21
	v_lshlrev_b32_e32 v6, 2, v19
	s_and_saveexec_b64 s[2:3], vcc
	s_cbranch_execz .LBB127_23
; %bb.22:
	s_waitcnt lgkmcnt(0)
	v_max_f32_e32 v11, v11, v11
	v_max_f32_e32 v7, v7, v7
	;; [unrolled: 1-line block ×3, first 2 shown]
	ds_write_b32 v6, v7 offset:128
.LBB127_23:
	s_or_b64 exec, exec, s[2:3]
	v_cmp_gt_u32_e64 s[2:3], 2, v21
	s_waitcnt lgkmcnt(0)
	v_mov_b32_e32 v11, 0xff7fffff
	v_lshlrev_b32_e32 v7, 2, v21
	s_barrier
	s_and_saveexec_b64 s[4:5], s[2:3]
; %bb.24:
	ds_read_b32 v11, v7 offset:128
; %bb.25:
	s_or_b64 exec, exec, s[4:5]
	v_xor_b32_e32 v12, 1, v1
	v_cmp_lt_i32_e64 s[4:5], v12, v2
	v_cndmask_b32_e64 v12, v1, v12, s[4:5]
	v_lshlrev_b32_e32 v22, 2, v12
	s_waitcnt lgkmcnt(0)
	ds_bpermute_b32 v12, v22, v11
	v_max_f32_e32 v11, v11, v11
	v_lshlrev_b32_e32 v10, 2, v10
	s_lshl_b32 s4, s41, 4
	s_min_i32 s15, s4, s11
	s_waitcnt lgkmcnt(0)
	v_max_f32_e32 v12, v12, v12
	v_max_f32_e32 v11, v11, v12
	ds_bpermute_b32 v11, v10, v11
	v_cmp_gt_i32_e64 s[4:5], s15, v0
	v_mov_b32_e32 v10, 0
	s_and_saveexec_b64 s[30:31], s[4:5]
	s_cbranch_execz .LBB127_29
; %bb.26:
	v_mov_b32_e32 v10, 0x90
	v_lshl_add_u32 v12, v0, 2, v10
	v_mov_b32_e32 v10, 0
	s_mov_b64 s[34:35], 0
	v_mov_b32_e32 v13, v0
.LBB127_27:                             ; =>This Inner Loop Header: Depth=1
	ds_read_b32 v14, v12
	v_add_u32_e32 v13, 0x80, v13
	v_cmp_le_i32_e64 s[6:7], s15, v13
	s_or_b64 s[34:35], s[6:7], s[34:35]
	s_waitcnt lgkmcnt(0)
	v_sub_f32_e32 v14, v14, v11
	v_mul_f32_e32 v14, 0x3fb8aa3b, v14
	v_exp_f32_e32 v14, v14
	ds_write_b32 v12, v14
	v_add_f32_e32 v10, v10, v14
	v_add_u32_e32 v12, 0x200, v12
	s_andn2_b64 exec, exec, s[34:35]
	s_cbranch_execnz .LBB127_27
; %bb.28:
	s_or_b64 exec, exec, s[34:35]
.LBB127_29:
	s_or_b64 exec, exec, s[30:31]
	ds_bpermute_b32 v4, v4, v10
	s_waitcnt lgkmcnt(0)
	v_add_f32_e32 v4, v10, v4
	ds_bpermute_b32 v5, v5, v4
	s_waitcnt lgkmcnt(0)
	v_add_f32_e32 v4, v4, v5
	ds_bpermute_b32 v5, v8, v4
	v_xor_b32_e32 v8, 2, v1
	v_cmp_lt_i32_e64 s[6:7], v8, v2
	v_cndmask_b32_e64 v2, v1, v8, s[6:7]
	v_lshlrev_b32_e32 v2, 2, v2
	s_waitcnt lgkmcnt(0)
	v_add_f32_e32 v4, v4, v5
	ds_bpermute_b32 v5, v9, v4
	s_waitcnt lgkmcnt(0)
	v_add_f32_e32 v4, v4, v5
	ds_bpermute_b32 v2, v2, v4
	s_waitcnt lgkmcnt(0)
	v_add_f32_e32 v2, v4, v2
	ds_bpermute_b32 v4, v22, v2
	s_waitcnt lgkmcnt(0)
	v_add_f32_e32 v2, v2, v4
	s_and_saveexec_b64 s[6:7], vcc
; %bb.30:
	ds_write_b32 v6, v2 offset:136
; %bb.31:
	s_or_b64 exec, exec, s[6:7]
	s_waitcnt lgkmcnt(0)
	s_barrier
	s_and_saveexec_b64 s[6:7], s[2:3]
; %bb.32:
	ds_read_b32 v2, v7 offset:136
; %bb.33:
	s_or_b64 exec, exec, s[6:7]
	s_waitcnt lgkmcnt(0)
	ds_bpermute_b32 v4, v22, v2
	v_lshlrev_b32_e32 v1, 2, v1
	v_and_b32_e32 v1, 0x100, v1
	s_waitcnt lgkmcnt(0)
	v_add_f32_e32 v2, v2, v4
	ds_bpermute_b32 v1, v1, v2
	s_and_saveexec_b64 s[2:3], s[4:5]
	s_cbranch_execz .LBB127_36
; %bb.34:
	s_waitcnt lgkmcnt(0)
	v_add_f32_e32 v2, 0x358637bd, v1
	v_div_scale_f32 v1, s[4:5], v2, v2, 1.0
	v_div_scale_f32 v4, vcc, 1.0, v2, 1.0
	s_mov_b64 s[4:5], 0
	v_rcp_f32_e32 v5, v1
	v_fma_f32 v6, -v1, v5, 1.0
	v_fmac_f32_e32 v5, v6, v5
	v_mul_f32_e32 v6, v4, v5
	v_fma_f32 v7, -v1, v6, v4
	v_fmac_f32_e32 v6, v7, v5
	v_fma_f32 v1, -v1, v6, v4
	v_div_fmas_f32 v4, v1, v5, v6
	v_mov_b32_e32 v1, 0x90
	v_lshl_add_u32 v1, v0, 2, v1
	v_div_fixup_f32 v2, v4, v2, 1.0
	v_mov_b32_e32 v4, v0
.LBB127_35:                             ; =>This Inner Loop Header: Depth=1
	ds_read_b32 v5, v1
	v_add_u32_e32 v4, 0x80, v4
	v_cmp_le_i32_e32 vcc, s15, v4
	s_or_b64 s[4:5], vcc, s[4:5]
	s_waitcnt lgkmcnt(0)
	v_mul_f32_e32 v5, v2, v5
	ds_write_b32 v1, v5
	v_add_u32_e32 v1, 0x200, v1
	s_andn2_b64 exec, exec, s[4:5]
	s_cbranch_execnz .LBB127_35
.LBB127_36:
	s_or_b64 exec, exec, s[2:3]
	v_mov_b32_e32 v26, 0
	v_and_b32_e32 v23, 1, v0
	v_mov_b32_e32 v29, 0
	s_waitcnt lgkmcnt(0)
	s_barrier
	s_and_saveexec_b64 s[4:5], s[0:1]
	s_cbranch_execz .LBB127_46
; %bb.37:
	s_ashr_i32 s15, s14, 31
	s_sub_i32 s17, s12, s17
	s_lshl_b64 s[0:1], s[14:15], 1
	s_add_u32 s0, s28, s0
	s_addc_u32 s1, s29, s1
	s_abs_i32 s18, s18
	v_cvt_f32_u32_e32 v1, s18
	v_lshlrev_b32_e32 v2, 3, v0
	s_sub_i32 s2, 0, s18
	v_and_b32_e32 v25, 8, v2
	v_rcp_iflag_f32_e32 v1, v1
	v_lshlrev_b32_e32 v4, 4, v0
	v_and_b32_e32 v4, 0x3f0, v4
	s_add_i32 s29, s41, -1
	v_mul_f32_e32 v1, 0x4f7ffffe, v1
	v_cvt_u32_f32_e32 v1, v1
	v_mov_b32_e32 v5, s1
	v_add_co_u32_e32 v27, vcc, s0, v4
	v_mul_lo_u32 v2, s2, v1
	s_lshl_b64 s[0:1], s[26:27], 2
	v_addc_co_u32_e32 v28, vcc, 0, v5, vcc
	v_mul_hi_u32 v2, v1, v2
	s_add_u32 s0, s24, s0
	s_addc_u32 s1, s25, s1
	s_mov_b32 s28, s13
	v_add_u32_e32 v30, v1, v2
	v_and_b32_e32 v1, 60, v3
	v_add_co_u32_e32 v17, vcc, s0, v1
	v_lshlrev_b32_e32 v1, 5, v23
	v_mov_b32_e32 v2, s1
	v_lshl_or_b32 v1, v19, 6, v1
	v_mov_b32_e32 v24, 0
	s_mov_b32 s30, s11
	v_addc_co_u32_e32 v18, vcc, 0, v2, vcc
	v_add_u32_e32 v31, 0x90, v1
	s_mov_b64 s[6:7], 0
	s_mov_b32 s24, 0x5040100
	s_movk_i32 s25, 0x7fff
	v_mov_b32_e32 v29, 0
	v_mov_b32_e32 v26, 0
	s_branch .LBB127_40
.LBB127_38:                             ;   in Loop: Header=BB127_40 Depth=1
	s_or_b64 exec, exec, s[2:3]
	s_waitcnt lgkmcnt(1)
	v_bfe_u32 v32, v13, 16, 1
	v_add3_u32 v32, v32, v13, s25
	v_or_b32_e32 v33, 0x400000, v13
	v_cmp_u_f32_e32 vcc, v13, v13
	v_cndmask_b32_e32 v13, v32, v33, vcc
	v_bfe_u32 v32, v14, 16, 1
	v_add3_u32 v32, v32, v14, s25
	v_or_b32_e32 v33, 0x400000, v14
	v_cmp_u_f32_e32 vcc, v14, v14
	v_cndmask_b32_e32 v14, v32, v33, vcc
	;; [unrolled: 5-line block ×4, first 2 shown]
	s_waitcnt lgkmcnt(0)
	v_bfe_u32 v32, v9, 16, 1
	v_add3_u32 v32, v32, v9, s25
	v_or_b32_e32 v33, 0x400000, v9
	v_cmp_u_f32_e32 vcc, v9, v9
	v_cndmask_b32_e32 v9, v32, v33, vcc
	v_bfe_u32 v32, v10, 16, 1
	v_add3_u32 v32, v32, v10, s25
	v_or_b32_e32 v33, 0x400000, v10
	v_cmp_u_f32_e32 vcc, v10, v10
	v_cndmask_b32_e32 v10, v32, v33, vcc
	;; [unrolled: 5-line block ×4, first 2 shown]
	v_and_b32_e32 v13, 0xffff0000, v13
	s_waitcnt vmcnt(1)
	v_lshlrev_b32_e32 v32, 16, v5
	v_mul_f32_e32 v32, v13, v32
	v_bfe_u32 v33, v32, 16, 1
	v_and_b32_e32 v14, 0xffff0000, v14
	v_and_b32_e32 v5, 0xffff0000, v5
	v_add3_u32 v33, v33, v32, s25
	v_or_b32_e32 v34, 0x400000, v32
	v_cmp_u_f32_e32 vcc, v32, v32
	v_mul_f32_e32 v5, v14, v5
	v_cndmask_b32_e32 v32, v33, v34, vcc
	v_bfe_u32 v33, v5, 16, 1
	v_add3_u32 v33, v33, v5, s25
	v_or_b32_e32 v34, 0x400000, v5
	v_cmp_u_f32_e32 vcc, v5, v5
	v_cndmask_b32_e32 v5, v33, v34, vcc
	v_and_b32_e32 v15, 0xffff0000, v15
	v_lshlrev_b32_e32 v33, 16, v6
	v_mul_f32_e32 v33, v15, v33
	v_bfe_u32 v34, v33, 16, 1
	v_and_b32_e32 v16, 0xffff0000, v16
	v_and_b32_e32 v6, 0xffff0000, v6
	v_add3_u32 v34, v34, v33, s25
	v_or_b32_e32 v35, 0x400000, v33
	v_cmp_u_f32_e32 vcc, v33, v33
	v_mul_f32_e32 v6, v16, v6
	v_cndmask_b32_e32 v33, v34, v35, vcc
	v_bfe_u32 v34, v6, 16, 1
	v_add3_u32 v34, v34, v6, s25
	v_or_b32_e32 v35, 0x400000, v6
	v_cmp_u_f32_e32 vcc, v6, v6
	v_cndmask_b32_e32 v6, v34, v35, vcc
	v_and_b32_e32 v9, 0xffff0000, v9
	;; [unrolled: 16-line block ×3, first 2 shown]
	v_lshlrev_b32_e32 v35, 16, v8
	v_mul_f32_e32 v35, v11, v35
	v_bfe_u32 v36, v35, 16, 1
	v_and_b32_e32 v12, 0xffff0000, v12
	v_and_b32_e32 v8, 0xffff0000, v8
	;; [unrolled: 1-line block ×4, first 2 shown]
	v_add3_u32 v36, v36, v35, s25
	v_or_b32_e32 v37, 0x400000, v35
	v_cmp_u_f32_e32 vcc, v35, v35
	v_mul_f32_e32 v8, v12, v8
	v_add_f32_e32 v5, v32, v5
	v_and_b32_e32 v6, 0xffff0000, v6
	v_and_b32_e32 v32, 0xffff0000, v33
	v_cndmask_b32_e32 v35, v36, v37, vcc
	v_bfe_u32 v36, v8, 16, 1
	v_add_f32_e32 v6, v32, v6
	v_add3_u32 v36, v36, v8, s25
	v_or_b32_e32 v37, 0x400000, v8
	v_cmp_u_f32_e32 vcc, v8, v8
	v_add_f32_e32 v5, v6, v5
	v_and_b32_e32 v6, 0xffff0000, v7
	v_and_b32_e32 v7, 0xffff0000, v34
	v_cndmask_b32_e32 v8, v36, v37, vcc
	v_add_f32_e32 v6, v7, v6
	v_add_f32_e32 v5, v6, v5
	v_and_b32_e32 v6, 0xffff0000, v8
	v_and_b32_e32 v7, 0xffff0000, v35
	v_add_f32_e32 v6, v7, v6
	v_add_f32_e32 v5, v6, v5
	;; [unrolled: 1-line block ×3, first 2 shown]
	s_waitcnt vmcnt(0)
	v_lshlrev_b32_e32 v5, 16, v1
	v_mul_f32_e32 v5, v13, v5
	v_bfe_u32 v6, v5, 16, 1
	v_and_b32_e32 v1, 0xffff0000, v1
	v_add3_u32 v6, v6, v5, s25
	v_or_b32_e32 v7, 0x400000, v5
	v_cmp_u_f32_e32 vcc, v5, v5
	v_mul_f32_e32 v1, v14, v1
	v_cndmask_b32_e32 v5, v6, v7, vcc
	v_bfe_u32 v6, v1, 16, 1
	v_add3_u32 v6, v6, v1, s25
	v_or_b32_e32 v7, 0x400000, v1
	v_cmp_u_f32_e32 vcc, v1, v1
	v_cndmask_b32_e32 v1, v6, v7, vcc
	v_lshlrev_b32_e32 v6, 16, v2
	v_mul_f32_e32 v6, v15, v6
	v_bfe_u32 v7, v6, 16, 1
	v_and_b32_e32 v2, 0xffff0000, v2
	v_add3_u32 v7, v7, v6, s25
	v_or_b32_e32 v8, 0x400000, v6
	v_cmp_u_f32_e32 vcc, v6, v6
	v_mul_f32_e32 v2, v16, v2
	v_cndmask_b32_e32 v6, v7, v8, vcc
	v_bfe_u32 v7, v2, 16, 1
	v_add3_u32 v7, v7, v2, s25
	v_or_b32_e32 v8, 0x400000, v2
	v_cmp_u_f32_e32 vcc, v2, v2
	v_cndmask_b32_e32 v2, v7, v8, vcc
	;; [unrolled: 14-line block ×3, first 2 shown]
	v_lshlrev_b32_e32 v8, 16, v4
	v_mul_f32_e32 v8, v11, v8
	v_bfe_u32 v9, v8, 16, 1
	v_and_b32_e32 v4, 0xffff0000, v4
	v_and_b32_e32 v1, 0xffff0000, v1
	v_and_b32_e32 v5, 0xffff0000, v5
	v_add3_u32 v9, v9, v8, s25
	v_or_b32_e32 v10, 0x400000, v8
	v_cmp_u_f32_e32 vcc, v8, v8
	v_mul_f32_e32 v4, v12, v4
	v_add_f32_e32 v1, v5, v1
	v_and_b32_e32 v2, 0xffff0000, v2
	v_and_b32_e32 v5, 0xffff0000, v6
	v_cndmask_b32_e32 v8, v9, v10, vcc
	v_bfe_u32 v9, v4, 16, 1
	v_add_f32_e32 v2, v5, v2
	v_add3_u32 v9, v9, v4, s25
	v_or_b32_e32 v10, 0x400000, v4
	v_cmp_u_f32_e32 vcc, v4, v4
	v_add_f32_e32 v1, v2, v1
	v_and_b32_e32 v2, 0xffff0000, v3
	v_and_b32_e32 v3, 0xffff0000, v7
	v_cndmask_b32_e32 v4, v9, v10, vcc
	v_add_f32_e32 v2, v3, v2
	v_add_f32_e32 v1, v2, v1
	v_and_b32_e32 v2, 0xffff0000, v4
	v_and_b32_e32 v3, 0xffff0000, v8
	v_add_f32_e32 v2, v3, v2
	v_add_f32_e32 v1, v2, v1
	;; [unrolled: 1-line block ×3, first 2 shown]
.LBB127_39:                             ;   in Loop: Header=BB127_40 Depth=1
	s_or_b64 exec, exec, s[12:13]
	v_add_co_u32_e32 v17, vcc, 8, v17
	v_add_u32_e32 v19, 2, v19
	v_addc_co_u32_e32 v18, vcc, 0, v18, vcc
	v_cmp_le_i32_e32 vcc, s41, v19
	v_add_u32_e32 v20, 32, v20
	s_or_b64 s[6:7], vcc, s[6:7]
	v_add_u32_e32 v31, 0x80, v31
	s_andn2_b64 exec, exec, s[6:7]
	s_cbranch_execz .LBB127_45
.LBB127_40:                             ; =>This Inner Loop Header: Depth=1
	v_mul_hi_u32 v1, v20, s33
	v_mul_lo_u32 v2, v1, s21
	v_add_u32_e32 v3, 1, v1
	v_sub_u32_e32 v2, v20, v2
	v_cmp_le_u32_e32 vcc, s21, v2
	v_cndmask_b32_e32 v1, v1, v3, vcc
	v_subrev_u32_e32 v3, s21, v2
	v_cndmask_b32_e32 v2, v2, v3, vcc
	v_add_u32_e32 v3, 1, v1
	v_cmp_le_u32_e32 vcc, s21, v2
	v_cndmask_b32_e32 v1, v1, v3, vcc
	v_xor_b32_e32 v1, s19, v1
	v_subrev_u32_e32 v1, s19, v1
	v_add_u32_e32 v2, s40, v1
	v_sub_u32_e32 v3, 0, v2
	v_max_i32_e32 v3, v2, v3
	v_mul_hi_u32 v4, v3, v30
	v_ashrrev_i32_e32 v2, 31, v2
	v_cmp_lt_i32_e64 s[0:1], s17, v1
	v_mul_lo_u32 v4, v4, s18
	v_sub_u32_e32 v3, v3, v4
	v_subrev_u32_e32 v4, s18, v3
	v_cmp_le_u32_e32 vcc, s18, v3
	v_cndmask_b32_e32 v3, v3, v4, vcc
	v_subrev_u32_e32 v4, s18, v3
	v_cmp_le_u32_e32 vcc, s18, v3
	v_cndmask_b32_e32 v3, v3, v4, vcc
	v_xor_b32_e32 v3, v3, v2
	v_sub_u32_e32 v2, v3, v2
	v_cmp_eq_u32_e32 vcc, 0, v2
	s_or_b64 s[0:1], vcc, s[0:1]
	s_and_saveexec_b64 s[12:13], s[0:1]
	s_cbranch_execz .LBB127_39
; %bb.41:                               ;   in Loop: Header=BB127_40 Depth=1
	global_load_dword v1, v[17:18], off
	v_add_u32_e32 v34, v25, v20
	v_add_u32_e32 v39, 1, v34
	v_or_b32_e32 v37, 3, v34
	v_or_b32_e32 v38, 2, v34
	;; [unrolled: 1-line block ×6, first 2 shown]
	s_waitcnt vmcnt(0)
	v_mad_i64_i32 v[1:2], s[0:1], v1, s28, 0
	v_cmp_eq_u32_e64 s[0:1], s29, v19
	v_lshlrev_b64 v[1:2], 1, v[1:2]
	v_add_co_u32_e32 v1, vcc, v27, v1
	v_addc_co_u32_e32 v2, vcc, v28, v2, vcc
	global_load_dwordx4 v[5:8], v[1:2], off
	ds_read2_b64 v[13:16], v31 offset1:1
	ds_read2_b64 v[9:12], v31 offset0:2 offset1:3
	s_and_saveexec_b64 s[14:15], s[0:1]
	s_cbranch_execz .LBB127_43
; %bb.42:                               ;   in Loop: Header=BB127_40 Depth=1
	v_cmp_gt_i32_e32 vcc, s30, v39
	s_waitcnt vmcnt(0)
	v_cndmask_b32_sdwa v3, v24, v5, vcc dst_sel:DWORD dst_unused:UNUSED_PAD src0_sel:DWORD src1_sel:WORD_1
	v_cmp_gt_i32_e32 vcc, s11, v34
	v_cndmask_b32_e32 v4, 0, v5, vcc
	v_cmp_gt_i32_e32 vcc, s30, v37
	v_cmp_gt_i32_e64 s[2:3], s11, v38
	v_perm_b32 v5, v3, v4, s24
	v_cndmask_b32_e64 v3, 0, v6, s[2:3]
	v_cndmask_b32_sdwa v4, v24, v6, vcc dst_sel:DWORD dst_unused:UNUSED_PAD src0_sel:DWORD src1_sel:WORD_1
	v_cmp_gt_i32_e32 vcc, s30, v35
	v_cmp_gt_i32_e64 s[2:3], s11, v36
	v_perm_b32 v6, v4, v3, s24
	v_cndmask_b32_e64 v3, 0, v7, s[2:3]
	v_cndmask_b32_sdwa v4, v24, v7, vcc dst_sel:DWORD dst_unused:UNUSED_PAD src0_sel:DWORD src1_sel:WORD_1
	;; [unrolled: 5-line block ×3, first 2 shown]
	v_perm_b32 v8, v4, v3, s24
.LBB127_43:                             ;   in Loop: Header=BB127_40 Depth=1
	s_or_b64 exec, exec, s[14:15]
	global_load_dwordx4 v[1:4], v[1:2], off offset:1024
	s_and_saveexec_b64 s[2:3], s[0:1]
	s_cbranch_execz .LBB127_38
; %bb.44:                               ;   in Loop: Header=BB127_40 Depth=1
	v_cmp_gt_i32_e32 vcc, s30, v39
	s_waitcnt vmcnt(0)
	v_cndmask_b32_sdwa v39, v24, v1, vcc dst_sel:DWORD dst_unused:UNUSED_PAD src0_sel:DWORD src1_sel:WORD_1
	v_cmp_gt_i32_e32 vcc, s11, v34
	v_cndmask_b32_e32 v1, 0, v1, vcc
	v_cmp_gt_i32_e32 vcc, s30, v37
	v_cmp_gt_i32_e64 s[0:1], s11, v38
	v_cndmask_b32_e64 v34, 0, v2, s[0:1]
	v_cndmask_b32_sdwa v2, v24, v2, vcc dst_sel:DWORD dst_unused:UNUSED_PAD src0_sel:DWORD src1_sel:WORD_1
	v_cmp_gt_i32_e32 vcc, s30, v35
	v_cmp_gt_i32_e64 s[0:1], s11, v36
	v_perm_b32 v2, v2, v34, s24
	v_cndmask_b32_e64 v34, 0, v3, s[0:1]
	v_cndmask_b32_sdwa v3, v24, v3, vcc dst_sel:DWORD dst_unused:UNUSED_PAD src0_sel:DWORD src1_sel:WORD_1
	v_cmp_gt_i32_e32 vcc, s30, v32
	v_cmp_gt_i32_e64 s[0:1], s11, v33
	v_cndmask_b32_e64 v32, 0, v4, s[0:1]
	v_cndmask_b32_sdwa v4, v24, v4, vcc dst_sel:DWORD dst_unused:UNUSED_PAD src0_sel:DWORD src1_sel:WORD_1
	v_perm_b32 v1, v39, v1, s24
	v_perm_b32 v3, v3, v34, s24
	;; [unrolled: 1-line block ×3, first 2 shown]
	s_branch .LBB127_38
.LBB127_45:
	s_or_b64 exec, exec, s[6:7]
.LBB127_46:
	s_or_b64 exec, exec, s[4:5]
	ds_bpermute_b32 v1, v22, v29
	ds_bpermute_b32 v3, v22, v26
	s_waitcnt lgkmcnt(0)
	s_barrier
	v_add_f32_e32 v2, v29, v1
	v_add_f32_e32 v1, v26, v3
	v_and_b32_e32 v3, 0x3c1, v0
	v_cmp_eq_u32_e32 vcc, 64, v3
	s_and_saveexec_b64 s[0:1], vcc
; %bb.47:
	v_mov_b32_e32 v4, 0x90
	v_lshl_add_u32 v4, v21, 1, v4
	ds_write2_b32 v4, v2, v1 offset1:32
; %bb.48:
	s_or_b64 exec, exec, s[0:1]
	v_cmp_gt_u32_e32 vcc, 64, v0
	v_lshrrev_b32_e32 v0, 1, v0
	s_waitcnt lgkmcnt(0)
	s_barrier
	s_and_saveexec_b64 s[0:1], vcc
	s_cbranch_execz .LBB127_54
; %bb.49:
	v_mov_b32_e32 v4, 0x90
	v_cmp_eq_u32_e32 vcc, 0, v23
	v_lshl_add_u32 v4, v0, 2, v4
	s_and_saveexec_b64 s[2:3], vcc
	s_cbranch_execz .LBB127_51
; %bb.50:
	ds_read_b32 v5, v4
	s_waitcnt lgkmcnt(0)
	v_add_f32_e32 v2, v2, v5
.LBB127_51:
	s_or_b64 exec, exec, s[2:3]
	s_and_saveexec_b64 s[2:3], vcc
	s_cbranch_execz .LBB127_53
; %bb.52:
	ds_read_b32 v4, v4 offset:128
	s_waitcnt lgkmcnt(0)
	v_add_f32_e32 v1, v1, v4
.LBB127_53:
	s_or_b64 exec, exec, s[2:3]
.LBB127_54:
	s_or_b64 exec, exec, s[0:1]
	v_cmp_eq_u32_e32 vcc, 0, v3
	s_barrier
	s_and_saveexec_b64 s[0:1], vcc
	s_cbranch_execz .LBB127_56
; %bb.55:
	s_mul_i32 s0, s10, s16
	s_mul_i32 s0, s0, s9
	s_lshl_b32 s0, s0, 6
	s_ashr_i32 s1, s0, 31
	s_lshl_b64 s[0:1], s[0:1], 1
	s_add_u32 s2, s22, s0
	s_mul_i32 s0, s16, s20
	s_addc_u32 s3, s23, s1
	s_ashr_i32 s1, s0, 31
	s_lshl_b64 s[0:1], s[0:1], 1
	s_add_u32 s2, s2, s0
	s_addc_u32 s3, s3, s1
	s_lshl_b32 s0, s8, 6
	s_ashr_i32 s1, s0, 31
	s_lshl_b64 s[0:1], s[0:1], 1
	s_add_u32 s0, s2, s0
	v_bfe_u32 v3, v2, 16, 1
	s_movk_i32 s2, 0x7fff
	v_add3_u32 v3, v3, v2, s2
	v_or_b32_e32 v4, 0x400000, v2
	v_cmp_u_f32_e32 vcc, v2, v2
	s_addc_u32 s1, s3, s1
	v_cndmask_b32_e32 v2, v3, v4, vcc
	v_lshlrev_b32_e32 v0, 1, v0
	global_store_short_d16_hi v0, v2, s[0:1]
	v_bfe_u32 v2, v1, 16, 1
	v_add3_u32 v2, v2, v1, s2
	v_or_b32_e32 v3, 0x400000, v1
	v_cmp_u_f32_e32 vcc, v1, v1
	v_cndmask_b32_e32 v1, v2, v3, vcc
	global_store_short_d16_hi v0, v1, s[0:1] offset:64
.LBB127_56:
	s_endpgm
	.section	.rodata,"a",@progbits
	.p2align	6, 0x0
	.amdhsa_kernel _ZN4vllm25paged_attention_v1_kernelI14__hip_bfloat16S1_Li64ELi16ELi128ELNS_18Fp8KVCacheDataTypeE0ELb1EEEvPT_PKS3_PKT0_S9_ifPKiSB_iPKfiiiSD_SD_iiiii
		.amdhsa_group_segment_fixed_size 144
		.amdhsa_private_segment_fixed_size 0
		.amdhsa_kernarg_size 384
		.amdhsa_user_sgpr_count 6
		.amdhsa_user_sgpr_private_segment_buffer 1
		.amdhsa_user_sgpr_dispatch_ptr 0
		.amdhsa_user_sgpr_queue_ptr 0
		.amdhsa_user_sgpr_kernarg_segment_ptr 1
		.amdhsa_user_sgpr_dispatch_id 0
		.amdhsa_user_sgpr_flat_scratch_init 0
		.amdhsa_user_sgpr_private_segment_size 0
		.amdhsa_uses_dynamic_stack 0
		.amdhsa_system_sgpr_private_segment_wavefront_offset 0
		.amdhsa_system_sgpr_workgroup_id_x 1
		.amdhsa_system_sgpr_workgroup_id_y 1
		.amdhsa_system_sgpr_workgroup_id_z 1
		.amdhsa_system_sgpr_workgroup_info 0
		.amdhsa_system_vgpr_workitem_id 0
		.amdhsa_next_free_vgpr 55
		.amdhsa_next_free_sgpr 44
		.amdhsa_reserve_vcc 1
		.amdhsa_reserve_flat_scratch 0
		.amdhsa_float_round_mode_32 0
		.amdhsa_float_round_mode_16_64 0
		.amdhsa_float_denorm_mode_32 3
		.amdhsa_float_denorm_mode_16_64 3
		.amdhsa_dx10_clamp 1
		.amdhsa_ieee_mode 1
		.amdhsa_fp16_overflow 0
		.amdhsa_exception_fp_ieee_invalid_op 0
		.amdhsa_exception_fp_denorm_src 0
		.amdhsa_exception_fp_ieee_div_zero 0
		.amdhsa_exception_fp_ieee_overflow 0
		.amdhsa_exception_fp_ieee_underflow 0
		.amdhsa_exception_fp_ieee_inexact 0
		.amdhsa_exception_int_div_zero 0
	.end_amdhsa_kernel
	.section	.text._ZN4vllm25paged_attention_v1_kernelI14__hip_bfloat16S1_Li64ELi16ELi128ELNS_18Fp8KVCacheDataTypeE0ELb1EEEvPT_PKS3_PKT0_S9_ifPKiSB_iPKfiiiSD_SD_iiiii,"axG",@progbits,_ZN4vllm25paged_attention_v1_kernelI14__hip_bfloat16S1_Li64ELi16ELi128ELNS_18Fp8KVCacheDataTypeE0ELb1EEEvPT_PKS3_PKT0_S9_ifPKiSB_iPKfiiiSD_SD_iiiii,comdat
.Lfunc_end127:
	.size	_ZN4vllm25paged_attention_v1_kernelI14__hip_bfloat16S1_Li64ELi16ELi128ELNS_18Fp8KVCacheDataTypeE0ELb1EEEvPT_PKS3_PKT0_S9_ifPKiSB_iPKfiiiSD_SD_iiiii, .Lfunc_end127-_ZN4vllm25paged_attention_v1_kernelI14__hip_bfloat16S1_Li64ELi16ELi128ELNS_18Fp8KVCacheDataTypeE0ELb1EEEvPT_PKS3_PKT0_S9_ifPKiSB_iPKfiiiSD_SD_iiiii
                                        ; -- End function
	.set _ZN4vllm25paged_attention_v1_kernelI14__hip_bfloat16S1_Li64ELi16ELi128ELNS_18Fp8KVCacheDataTypeE0ELb1EEEvPT_PKS3_PKT0_S9_ifPKiSB_iPKfiiiSD_SD_iiiii.num_vgpr, 55
	.set _ZN4vllm25paged_attention_v1_kernelI14__hip_bfloat16S1_Li64ELi16ELi128ELNS_18Fp8KVCacheDataTypeE0ELb1EEEvPT_PKS3_PKT0_S9_ifPKiSB_iPKfiiiSD_SD_iiiii.num_agpr, 0
	.set _ZN4vllm25paged_attention_v1_kernelI14__hip_bfloat16S1_Li64ELi16ELi128ELNS_18Fp8KVCacheDataTypeE0ELb1EEEvPT_PKS3_PKT0_S9_ifPKiSB_iPKfiiiSD_SD_iiiii.numbered_sgpr, 44
	.set _ZN4vllm25paged_attention_v1_kernelI14__hip_bfloat16S1_Li64ELi16ELi128ELNS_18Fp8KVCacheDataTypeE0ELb1EEEvPT_PKS3_PKT0_S9_ifPKiSB_iPKfiiiSD_SD_iiiii.num_named_barrier, 0
	.set _ZN4vllm25paged_attention_v1_kernelI14__hip_bfloat16S1_Li64ELi16ELi128ELNS_18Fp8KVCacheDataTypeE0ELb1EEEvPT_PKS3_PKT0_S9_ifPKiSB_iPKfiiiSD_SD_iiiii.private_seg_size, 0
	.set _ZN4vllm25paged_attention_v1_kernelI14__hip_bfloat16S1_Li64ELi16ELi128ELNS_18Fp8KVCacheDataTypeE0ELb1EEEvPT_PKS3_PKT0_S9_ifPKiSB_iPKfiiiSD_SD_iiiii.uses_vcc, 1
	.set _ZN4vllm25paged_attention_v1_kernelI14__hip_bfloat16S1_Li64ELi16ELi128ELNS_18Fp8KVCacheDataTypeE0ELb1EEEvPT_PKS3_PKT0_S9_ifPKiSB_iPKfiiiSD_SD_iiiii.uses_flat_scratch, 0
	.set _ZN4vllm25paged_attention_v1_kernelI14__hip_bfloat16S1_Li64ELi16ELi128ELNS_18Fp8KVCacheDataTypeE0ELb1EEEvPT_PKS3_PKT0_S9_ifPKiSB_iPKfiiiSD_SD_iiiii.has_dyn_sized_stack, 0
	.set _ZN4vllm25paged_attention_v1_kernelI14__hip_bfloat16S1_Li64ELi16ELi128ELNS_18Fp8KVCacheDataTypeE0ELb1EEEvPT_PKS3_PKT0_S9_ifPKiSB_iPKfiiiSD_SD_iiiii.has_recursion, 0
	.set _ZN4vllm25paged_attention_v1_kernelI14__hip_bfloat16S1_Li64ELi16ELi128ELNS_18Fp8KVCacheDataTypeE0ELb1EEEvPT_PKS3_PKT0_S9_ifPKiSB_iPKfiiiSD_SD_iiiii.has_indirect_call, 0
	.section	.AMDGPU.csdata,"",@progbits
; Kernel info:
; codeLenInByte = 5108
; TotalNumSgprs: 48
; NumVgprs: 55
; ScratchSize: 0
; MemoryBound: 0
; FloatMode: 240
; IeeeMode: 1
; LDSByteSize: 144 bytes/workgroup (compile time only)
; SGPRBlocks: 5
; VGPRBlocks: 13
; NumSGPRsForWavesPerEU: 48
; NumVGPRsForWavesPerEU: 55
; Occupancy: 4
; WaveLimiterHint : 1
; COMPUTE_PGM_RSRC2:SCRATCH_EN: 0
; COMPUTE_PGM_RSRC2:USER_SGPR: 6
; COMPUTE_PGM_RSRC2:TRAP_HANDLER: 0
; COMPUTE_PGM_RSRC2:TGID_X_EN: 1
; COMPUTE_PGM_RSRC2:TGID_Y_EN: 1
; COMPUTE_PGM_RSRC2:TGID_Z_EN: 1
; COMPUTE_PGM_RSRC2:TIDIG_COMP_CNT: 0
	.section	.text._ZN4vllm25paged_attention_v1_kernelI14__hip_bfloat16S1_Li80ELi16ELi128ELNS_18Fp8KVCacheDataTypeE0ELb1EEEvPT_PKS3_PKT0_S9_ifPKiSB_iPKfiiiSD_SD_iiiii,"axG",@progbits,_ZN4vllm25paged_attention_v1_kernelI14__hip_bfloat16S1_Li80ELi16ELi128ELNS_18Fp8KVCacheDataTypeE0ELb1EEEvPT_PKS3_PKT0_S9_ifPKiSB_iPKfiiiSD_SD_iiiii,comdat
	.protected	_ZN4vllm25paged_attention_v1_kernelI14__hip_bfloat16S1_Li80ELi16ELi128ELNS_18Fp8KVCacheDataTypeE0ELb1EEEvPT_PKS3_PKT0_S9_ifPKiSB_iPKfiiiSD_SD_iiiii ; -- Begin function _ZN4vllm25paged_attention_v1_kernelI14__hip_bfloat16S1_Li80ELi16ELi128ELNS_18Fp8KVCacheDataTypeE0ELb1EEEvPT_PKS3_PKT0_S9_ifPKiSB_iPKfiiiSD_SD_iiiii
	.globl	_ZN4vllm25paged_attention_v1_kernelI14__hip_bfloat16S1_Li80ELi16ELi128ELNS_18Fp8KVCacheDataTypeE0ELb1EEEvPT_PKS3_PKT0_S9_ifPKiSB_iPKfiiiSD_SD_iiiii
	.p2align	8
	.type	_ZN4vllm25paged_attention_v1_kernelI14__hip_bfloat16S1_Li80ELi16ELi128ELNS_18Fp8KVCacheDataTypeE0ELb1EEEvPT_PKS3_PKT0_S9_ifPKiSB_iPKfiiiSD_SD_iiiii,@function
_ZN4vllm25paged_attention_v1_kernelI14__hip_bfloat16S1_Li80ELi16ELi128ELNS_18Fp8KVCacheDataTypeE0ELb1EEEvPT_PKS3_PKT0_S9_ifPKiSB_iPKfiiiSD_SD_iiiii: ; @_ZN4vllm25paged_attention_v1_kernelI14__hip_bfloat16S1_Li80ELi16ELi128ELNS_18Fp8KVCacheDataTypeE0ELb1EEEvPT_PKS3_PKT0_S9_ifPKiSB_iPKfiiiSD_SD_iiiii
; %bb.0:
	s_load_dword s9, s[4:5], 0x80
	s_load_dwordx2 s[0:1], s[4:5], 0x30
	s_load_dwordx2 s[30:31], s[4:5], 0x20
	s_mov_b32 s10, s7
	s_ashr_i32 s11, s7, 31
	s_lshl_b64 s[2:3], s[10:11], 2
	s_waitcnt lgkmcnt(0)
	s_add_u32 s0, s0, s2
	s_addc_u32 s1, s1, s3
	s_abs_i32 s2, s30
	v_cvt_f32_u32_e32 v1, s2
	s_sub_i32 s11, 0, s2
	s_abs_i32 s7, s9
	s_xor_b32 s3, s9, s30
	v_rcp_iflag_f32_e32 v1, v1
	s_ashr_i32 s3, s3, 31
	s_mov_b32 s43, 0
	v_mul_f32_e32 v1, 0x4f7ffffe, v1
	v_cvt_u32_f32_e32 v1, v1
	v_readfirstlane_b32 s12, v1
	s_mul_i32 s11, s11, s12
	s_mul_hi_u32 s11, s12, s11
	s_add_i32 s12, s12, s11
	s_mul_hi_u32 s11, s7, s12
	s_mul_i32 s12, s11, s2
	s_sub_i32 s7, s7, s12
	s_add_i32 s12, s11, 1
	s_sub_i32 s13, s7, s2
	s_cmp_ge_u32 s7, s2
	s_cselect_b32 s11, s12, s11
	s_cselect_b32 s7, s13, s7
	s_add_i32 s12, s11, 1
	s_cmp_ge_u32 s7, s2
	s_cselect_b32 s2, s12, s11
	s_xor_b32 s2, s2, s3
	s_sub_i32 s12, s2, s3
	s_abs_i32 s11, s12
	v_cvt_f32_u32_e32 v1, s11
	s_load_dwordx2 s[2:3], s[4:5], 0x40
	s_sub_i32 s7, 0, s11
	s_abs_i32 s22, s6
	v_rcp_iflag_f32_e32 v1, v1
	v_mul_f32_e32 v1, 0x4f7ffffe, v1
	v_cvt_u32_f32_e32 v1, v1
	v_readfirstlane_b32 s13, v1
	s_mul_i32 s7, s7, s13
	s_mul_hi_u32 s7, s13, s7
	s_add_i32 s13, s13, s7
	s_waitcnt lgkmcnt(0)
	s_cmp_eq_u64 s[2:3], 0
	s_mul_hi_u32 s23, s22, s13
	s_cbranch_scc1 .LBB128_2
; %bb.1:
	s_ashr_i32 s7, s6, 31
	s_lshl_b64 s[14:15], s[6:7], 2
	s_add_u32 s2, s2, s14
	s_addc_u32 s3, s3, s15
	s_load_dword s43, s[2:3], 0x0
.LBB128_2:
	s_load_dword s33, s[0:1], 0x0
	s_ashr_i32 s7, s12, 31
	s_load_dwordx4 s[12:15], s[4:5], 0x48
	s_ashr_i32 s2, s6, 31
	v_and_b32_e32 v1, 3, v0
	s_mul_i32 s20, s6, 0x50
	v_cmp_gt_u32_e32 vcc, 40, v0
	v_lshlrev_b32_e32 v2, 2, v0
	s_and_saveexec_b64 s[0:1], vcc
	s_cbranch_execz .LBB128_4
; %bb.3:
	s_load_dwordx2 s[16:17], s[4:5], 0x8
	s_waitcnt lgkmcnt(0)
	s_mul_i32 s18, s12, s10
	s_ashr_i32 s19, s18, 31
	s_lshl_b64 s[18:19], s[18:19], 1
	v_and_b32_e32 v4, 0x3fc, v0
	s_add_u32 s3, s16, s18
	s_addc_u32 s12, s17, s19
	s_ashr_i32 s21, s20, 31
	s_lshl_b64 s[16:17], s[20:21], 1
	s_add_u32 s16, s3, s16
	s_addc_u32 s17, s12, s17
	global_load_dword v3, v2, s[16:17]
	v_mad_u32_u24 v4, v1, 40, v4
	s_waitcnt vmcnt(0)
	ds_write_b32 v4, v3
.LBB128_4:
	s_or_b64 exec, exec, s[0:1]
	s_mul_i32 s1, s23, s11
	s_sub_i32 s1, s22, s1
	s_xor_b32 s0, s2, s7
	s_add_i32 s2, s23, 1
	s_sub_i32 s7, s1, s11
	s_load_dwordx4 s[16:19], s[4:5], 0x68
	s_load_dword s3, s[4:5], 0x78
	s_cmp_ge_u32 s1, s11
	s_cselect_b32 s2, s2, s23
	s_cselect_b32 s1, s7, s1
	s_add_i32 s7, s2, 1
	s_cmp_ge_u32 s1, s11
	s_cselect_b32 s1, s7, s2
	s_waitcnt lgkmcnt(0)
	s_abs_i32 s21, s19
	v_cvt_f32_u32_e32 v3, s21
	s_xor_b32 s1, s1, s0
	s_sub_i32 s2, s1, s0
	s_sub_i32 s0, 0, s21
	v_rcp_iflag_f32_e32 v3, v3
	s_add_i32 s11, s33, -1
	s_abs_i32 s7, s11
	v_mul_f32_e32 v3, 0x4f7ffffe, v3
	v_cvt_u32_f32_e32 v3, v3
	s_barrier
	v_readfirstlane_b32 s40, v3
	s_mul_i32 s0, s0, s40
	s_mul_hi_u32 s0, s40, s0
	s_add_i32 s40, s40, s0
	s_cmp_lt_i32 s3, 0
	s_mul_hi_u32 s12, s7, s40
	s_cbranch_scc0 .LBB128_6
; %bb.5:
	s_mul_i32 s0, s16, s30
	s_add_i32 s0, s2, s0
	s_mul_i32 s0, s0, s3
	s_sub_i32 s41, 1, s0
	s_mov_b64 s[0:1], 0
	s_branch .LBB128_7
.LBB128_6:
	s_mov_b64 s[0:1], -1
                                        ; implicit-def: $sgpr41
.LBB128_7:
	s_load_dwordx2 s[24:25], s[4:5], 0x28
	s_ashr_i32 s15, s11, 31
	s_andn2_b64 vcc, exec, s[0:1]
	s_ashr_i32 s19, s19, 31
	s_cbranch_vccnz .LBB128_9
; %bb.8:
	s_mul_i32 s0, s9, s16
	s_add_i32 s0, s0, s6
	s_mul_i32 s0, s0, s3
	s_add_i32 s41, s0, 1
.LBB128_9:
	s_load_dword s0, s[4:5], 0x38
	s_load_dwordx2 s[22:23], s[4:5], 0x0
	s_load_dwordx2 s[28:29], s[4:5], 0x18
	s_load_dword s11, s[4:5], 0x88
	s_xor_b32 s1, s15, s19
	s_waitcnt lgkmcnt(0)
	s_mul_i32 s26, s0, s10
	s_mul_i32 s0, s12, s21
	s_sub_i32 s0, s7, s0
	s_ashr_i32 s27, s26, 31
	s_add_i32 s3, s12, 1
	s_sub_i32 s6, s0, s21
	s_cmp_ge_u32 s0, s21
	s_cselect_b32 s3, s3, s12
	s_cselect_b32 s0, s6, s0
	s_add_i32 s6, s3, 1
	s_cmp_ge_u32 s0, s21
	s_cselect_b32 s0, s6, s3
	s_xor_b32 s0, s0, s1
	s_sub_i32 s12, s0, s1
	s_add_i32 s0, s33, 15
	s_ashr_i32 s1, s0, 31
	s_lshr_b32 s1, s1, 28
	s_add_i32 s0, s0, s1
	s_ashr_i32 s42, s0, 4
	v_lshrrev_b32_e32 v19, 6, v0
	v_cmp_le_i32_e64 s[0:1], s42, v19
	v_cmp_gt_i32_e32 vcc, s42, v19
	v_mov_b32_e32 v8, 0xff7fffff
	s_mul_i32 s14, s2, s14
	v_lshrrev_b32_e32 v3, 4, v0
	v_lshlrev_b32_e32 v20, 4, v19
	v_mbcnt_lo_u32_b32 v4, -1, 0
	s_and_saveexec_b64 s[34:35], vcc
	s_cbranch_execz .LBB128_21
; %bb.10:
	s_load_dwordx2 s[2:3], s[4:5], 0x10
	s_ashr_i32 s15, s14, 31
	s_sub_i32 s16, s12, s17
	s_lshl_b64 s[4:5], s[14:15], 1
	v_and_b32_e32 v2, 12, v2
	s_waitcnt lgkmcnt(0)
	s_add_u32 s2, s2, s4
	s_addc_u32 s3, s3, s5
	s_abs_i32 s15, s18
	v_cvt_f32_u32_e32 v5, s15
	v_mov_b32_e32 v7, s3
	s_sub_i32 s3, 0, s15
	s_lshl_b64 s[4:5], s[26:27], 2
	v_rcp_iflag_f32_e32 v6, v5
	v_bfe_u32 v5, v0, 2, 4
	s_add_u32 s4, s24, s4
	v_cmp_eq_u32_e32 vcc, 0, v1
	v_mul_f32_e32 v6, 0x4f7ffffe, v6
	v_cvt_u32_f32_e32 v8, v6
	v_lshlrev_b32_e32 v6, 4, v5
	s_addc_u32 s5, s25, s5
	v_mbcnt_hi_u32_b32 v15, -1, v4
	v_mul_lo_u32 v9, s3, v8
	v_add_co_u32_e64 v6, s[2:3], s2, v6
	v_addc_co_u32_e64 v7, s[2:3], 0, v7, s[2:3]
	v_mul_hi_u32 v10, v8, v9
	v_add_co_u32_e64 v6, s[2:3], v6, v2
	v_mul_u32_u24_e32 v9, 40, v1
	v_add_u32_e32 v10, v8, v10
	v_subrev_u32_e32 v8, s33, v5
	v_add_u32_e32 v12, 1, v8
	v_lshlrev_b32_e32 v8, 2, v5
	v_and_b32_e32 v1, 60, v3
	v_lshl_or_b32 v8, v19, 6, v8
	v_addc_co_u32_e64 v7, s[2:3], 0, v7, s[2:3]
	v_mov_b32_e32 v2, s5
	v_add_co_u32_e64 v1, s[4:5], s4, v1
	v_add_u32_e32 v13, 0xb0, v8
	v_and_b32_e32 v8, 64, v15
	s_mov_b32 s30, s13
	v_cmp_neq_f32_e64 s[2:3], s43, 0
	v_addc_co_u32_e64 v2, s[4:5], 0, v2, s[4:5]
	v_lshlrev_b32_e32 v11, 4, v19
	v_mov_b32_e32 v14, 0xff7fffff
	s_mov_b64 s[36:37], 0
	v_add_u32_e32 v16, 64, v8
	v_xor_b32_e32 v17, 2, v15
	v_xor_b32_e32 v18, 1, v15
	v_mov_b32_e32 v8, 0xff7fffff
	v_mov_b32_e32 v21, v19
	s_branch .LBB128_13
.LBB128_11:                             ;   in Loop: Header=BB128_13 Depth=1
	s_or_b64 exec, exec, s[38:39]
.LBB128_12:                             ;   in Loop: Header=BB128_13 Depth=1
	s_or_b64 exec, exec, s[6:7]
	v_add_co_u32_e64 v1, s[4:5], 8, v1
	v_add_u32_e32 v21, 2, v21
	v_addc_co_u32_e64 v2, s[4:5], 0, v2, s[4:5]
	v_cmp_le_i32_e64 s[4:5], s42, v21
	v_add_u32_e32 v11, 32, v11
	s_or_b64 s[36:37], s[4:5], s[36:37]
	v_add_u32_e32 v13, 0x80, v13
	s_andn2_b64 exec, exec, s[36:37]
	s_cbranch_execz .LBB128_20
.LBB128_13:                             ; =>This Inner Loop Header: Depth=1
	v_mul_hi_u32 v22, v11, s40
	s_waitcnt lgkmcnt(0)
	v_mul_lo_u32 v23, v22, s21
	v_add_u32_e32 v24, 1, v22
	v_sub_u32_e32 v23, v11, v23
	v_cmp_le_u32_e64 s[4:5], s21, v23
	v_cndmask_b32_e64 v22, v22, v24, s[4:5]
	v_subrev_u32_e32 v24, s21, v23
	v_cndmask_b32_e64 v23, v23, v24, s[4:5]
	v_add_u32_e32 v24, 1, v22
	v_cmp_le_u32_e64 s[4:5], s21, v23
	v_cndmask_b32_e64 v22, v22, v24, s[4:5]
	v_xor_b32_e32 v22, s19, v22
	v_subrev_u32_e32 v22, s19, v22
	v_add_u32_e32 v23, s41, v22
	v_sub_u32_e32 v24, 0, v23
	v_max_i32_e32 v24, v23, v24
	v_mul_hi_u32 v25, v24, v10
	v_ashrrev_i32_e32 v23, 31, v23
	v_cmp_ge_i32_e64 s[6:7], s16, v22
	v_mul_lo_u32 v25, v25, s15
	v_sub_u32_e32 v24, v24, v25
	v_subrev_u32_e32 v25, s15, v24
	v_cmp_le_u32_e64 s[4:5], s15, v24
	v_cndmask_b32_e64 v24, v24, v25, s[4:5]
	v_subrev_u32_e32 v25, s15, v24
	v_cmp_le_u32_e64 s[4:5], s15, v24
	v_cndmask_b32_e64 v24, v24, v25, s[4:5]
	v_xor_b32_e32 v24, v24, v23
	v_sub_u32_e32 v23, v24, v23
	v_cmp_ne_u32_e64 s[4:5], 0, v23
	s_and_b64 s[4:5], s[4:5], s[6:7]
	s_and_saveexec_b64 s[6:7], s[4:5]
	s_xor_b64 s[4:5], exec, s[6:7]
	s_cbranch_execz .LBB128_17
; %bb.14:                               ;   in Loop: Header=BB128_13 Depth=1
	s_and_saveexec_b64 s[6:7], vcc
; %bb.15:                               ;   in Loop: Header=BB128_13 Depth=1
	ds_write_b32 v13, v14
; %bb.16:                               ;   in Loop: Header=BB128_13 Depth=1
	s_or_b64 exec, exec, s[6:7]
.LBB128_17:                             ;   in Loop: Header=BB128_13 Depth=1
	s_andn2_saveexec_b64 s[6:7], s[4:5]
	s_cbranch_execz .LBB128_12
; %bb.18:                               ;   in Loop: Header=BB128_13 Depth=1
	global_load_dword v22, v[1:2], off
	s_waitcnt vmcnt(0)
	v_mad_i64_i32 v[22:23], s[4:5], v22, s30, 0
	v_lshlrev_b64 v[22:23], 1, v[22:23]
	v_add_co_u32_e64 v22, s[4:5], v6, v22
	v_addc_co_u32_e64 v23, s[4:5], v7, v23, s[4:5]
	global_load_dword v32, v[22:23], off offset:256
	global_load_dword v33, v[22:23], off offset:512
	;; [unrolled: 1-line block ×7, first 2 shown]
	global_load_dword v39, v[22:23], off
	global_load_dword v40, v[22:23], off offset:2048
	global_load_dword v41, v[22:23], off offset:2304
	ds_read2_b64 v[22:25], v9 offset1:1
	ds_read2_b64 v[26:29], v9 offset0:2 offset1:3
	ds_read_b64 v[30:31], v9 offset:32
	v_cmp_lt_i32_e64 s[4:5], v17, v16
	v_cndmask_b32_e64 v42, v15, v17, s[4:5]
	s_waitcnt lgkmcnt(2)
	v_lshlrev_b32_e32 v44, 16, v23
	v_and_b32_e32 v23, 0xffff0000, v23
	v_lshlrev_b32_e32 v43, 16, v22
	v_and_b32_e32 v22, 0xffff0000, v22
	;; [unrolled: 2-line block ×4, first 2 shown]
	s_waitcnt lgkmcnt(1)
	v_lshlrev_b32_e32 v47, 16, v26
	v_and_b32_e32 v26, 0xffff0000, v26
	v_lshlrev_b32_e32 v48, 16, v27
	v_and_b32_e32 v27, 0xffff0000, v27
	;; [unrolled: 2-line block ×4, first 2 shown]
	s_waitcnt lgkmcnt(0)
	v_lshlrev_b32_e32 v51, 16, v30
	v_and_b32_e32 v30, 0xffff0000, v30
	v_lshlrev_b32_e32 v52, 16, v31
	v_and_b32_e32 v31, 0xffff0000, v31
	v_lshlrev_b32_e32 v42, 2, v42
	v_cmp_lt_i32_e64 s[4:5], v18, v16
	s_waitcnt vmcnt(9)
	v_lshlrev_b32_e32 v53, 16, v32
	v_and_b32_e32 v32, 0xffff0000, v32
	v_mul_f32_e32 v44, v44, v53
	v_mul_f32_e32 v23, v23, v32
	s_waitcnt vmcnt(8)
	v_lshlrev_b32_e32 v55, 16, v33
	v_and_b32_e32 v33, 0xffff0000, v33
	s_waitcnt vmcnt(7)
	v_lshlrev_b32_e32 v56, 16, v34
	s_waitcnt vmcnt(2)
	v_lshlrev_b32_e32 v54, 16, v39
	v_and_b32_e32 v39, 0xffff0000, v39
	v_fmac_f32_e32 v44, v43, v54
	v_fmac_f32_e32 v23, v22, v39
	v_and_b32_e32 v34, 0xffff0000, v34
	v_fmac_f32_e32 v44, v45, v55
	v_fmac_f32_e32 v23, v24, v33
	v_lshlrev_b32_e32 v57, 16, v35
	v_and_b32_e32 v35, 0xffff0000, v35
	v_fmac_f32_e32 v44, v46, v56
	v_fmac_f32_e32 v23, v25, v34
	v_lshlrev_b32_e32 v58, 16, v36
	;; [unrolled: 4-line block ×4, first 2 shown]
	v_and_b32_e32 v38, 0xffff0000, v38
	v_fmac_f32_e32 v44, v49, v59
	v_fmac_f32_e32 v23, v28, v37
	s_waitcnt vmcnt(1)
	v_lshlrev_b32_e32 v61, 16, v40
	v_and_b32_e32 v40, 0xffff0000, v40
	v_fmac_f32_e32 v44, v50, v60
	v_fmac_f32_e32 v23, v29, v38
	s_waitcnt vmcnt(0)
	v_lshlrev_b32_e32 v62, 16, v41
	v_and_b32_e32 v41, 0xffff0000, v41
	v_fmac_f32_e32 v44, v51, v61
	v_fmac_f32_e32 v23, v30, v40
	;; [unrolled: 1-line block ×4, first 2 shown]
	v_add_f32_e32 v22, v44, v23
	ds_bpermute_b32 v23, v42, v22
	v_cndmask_b32_e64 v24, v15, v18, s[4:5]
	v_lshlrev_b32_e32 v24, 2, v24
	s_waitcnt lgkmcnt(0)
	v_add_f32_e32 v22, v22, v23
	ds_bpermute_b32 v23, v24, v22
	s_and_saveexec_b64 s[38:39], vcc
	s_cbranch_execz .LBB128_11
; %bb.19:                               ;   in Loop: Header=BB128_13 Depth=1
	v_add_u32_e32 v24, v12, v11
	v_cvt_f32_i32_e32 v24, v24
	s_waitcnt lgkmcnt(0)
	v_add_f32_e32 v22, v22, v23
	v_add_u32_e32 v25, v5, v11
	v_cmp_gt_i32_e64 s[4:5], s33, v25
	v_mul_f32_e32 v23, s43, v24
	v_cndmask_b32_e64 v23, 0, v23, s[2:3]
	v_fmac_f32_e32 v23, s31, v22
	v_cndmask_b32_e64 v22, 0, v23, s[4:5]
	ds_write_b32 v13, v22
	v_max_f32_e32 v22, v8, v8
	v_max_f32_e32 v22, v22, v23
	v_cndmask_b32_e64 v8, v8, v22, s[4:5]
	s_branch .LBB128_11
.LBB128_20:
	s_or_b64 exec, exec, s[36:37]
.LBB128_21:
	s_or_b64 exec, exec, s[34:35]
	v_mbcnt_hi_u32_b32 v2, -1, v4
	v_and_b32_e32 v11, 64, v2
	v_add_u32_e32 v4, 64, v11
	v_xor_b32_e32 v1, 32, v2
	v_cmp_lt_i32_e32 vcc, v1, v4
	v_cndmask_b32_e32 v1, v2, v1, vcc
	v_lshlrev_b32_e32 v5, 2, v1
	ds_bpermute_b32 v1, v5, v8
	v_xor_b32_e32 v7, 16, v2
	v_max_f32_e32 v6, v8, v8
	v_cmp_lt_i32_e32 vcc, v7, v4
	v_xor_b32_e32 v8, 8, v2
	s_waitcnt lgkmcnt(0)
	v_max_f32_e32 v1, v1, v1
	v_max_f32_e32 v1, v6, v1
	v_cndmask_b32_e32 v6, v2, v7, vcc
	v_lshlrev_b32_e32 v6, 2, v6
	ds_bpermute_b32 v7, v6, v1
	v_cmp_lt_i32_e32 vcc, v8, v4
	v_xor_b32_e32 v10, 4, v2
	s_waitcnt lgkmcnt(0)
	v_max_f32_e32 v7, v7, v7
	v_max_f32_e32 v1, v1, v7
	v_cndmask_b32_e32 v7, v2, v8, vcc
	v_lshlrev_b32_e32 v9, 2, v7
	ds_bpermute_b32 v7, v9, v1
	v_cmp_lt_i32_e32 vcc, v10, v4
	s_waitcnt lgkmcnt(0)
	v_max_f32_e32 v7, v7, v7
	v_max_f32_e32 v8, v1, v7
	v_cndmask_b32_e32 v1, v2, v10, vcc
	v_lshlrev_b32_e32 v10, 2, v1
	ds_bpermute_b32 v12, v10, v8
	v_and_b32_e32 v1, 63, v0
	v_cmp_eq_u32_e32 vcc, 0, v1
	v_lshlrev_b32_e32 v7, 2, v19
	s_and_saveexec_b64 s[2:3], vcc
	s_cbranch_execz .LBB128_23
; %bb.22:
	s_waitcnt lgkmcnt(0)
	v_max_f32_e32 v12, v12, v12
	v_max_f32_e32 v8, v8, v8
	;; [unrolled: 1-line block ×3, first 2 shown]
	ds_write_b32 v7, v8 offset:160
.LBB128_23:
	s_or_b64 exec, exec, s[2:3]
	v_cmp_gt_u32_e64 s[2:3], 2, v1
	s_waitcnt lgkmcnt(0)
	v_mov_b32_e32 v12, 0xff7fffff
	v_lshlrev_b32_e32 v8, 2, v1
	s_barrier
	s_and_saveexec_b64 s[4:5], s[2:3]
; %bb.24:
	ds_read_b32 v12, v8 offset:160
; %bb.25:
	s_or_b64 exec, exec, s[4:5]
	v_xor_b32_e32 v13, 1, v2
	v_cmp_lt_i32_e64 s[4:5], v13, v4
	v_cndmask_b32_e64 v13, v2, v13, s[4:5]
	v_lshlrev_b32_e32 v21, 2, v13
	s_waitcnt lgkmcnt(0)
	ds_bpermute_b32 v13, v21, v12
	v_max_f32_e32 v12, v12, v12
	v_lshlrev_b32_e32 v11, 2, v11
	s_lshl_b32 s4, s42, 4
	s_min_i32 s15, s4, s33
	s_waitcnt lgkmcnt(0)
	v_max_f32_e32 v13, v13, v13
	v_max_f32_e32 v12, v12, v13
	ds_bpermute_b32 v12, v11, v12
	v_cmp_gt_i32_e64 s[4:5], s15, v0
	v_mov_b32_e32 v11, 0
	s_and_saveexec_b64 s[30:31], s[4:5]
	s_cbranch_execz .LBB128_29
; %bb.26:
	v_mov_b32_e32 v11, 0xb0
	v_lshl_add_u32 v13, v0, 2, v11
	v_mov_b32_e32 v11, 0
	s_mov_b64 s[34:35], 0
	v_mov_b32_e32 v14, v0
.LBB128_27:                             ; =>This Inner Loop Header: Depth=1
	ds_read_b32 v15, v13
	v_add_u32_e32 v14, 0x80, v14
	v_cmp_le_i32_e64 s[6:7], s15, v14
	s_or_b64 s[34:35], s[6:7], s[34:35]
	s_waitcnt lgkmcnt(0)
	v_sub_f32_e32 v15, v15, v12
	v_mul_f32_e32 v15, 0x3fb8aa3b, v15
	v_exp_f32_e32 v15, v15
	ds_write_b32 v13, v15
	v_add_f32_e32 v11, v11, v15
	v_add_u32_e32 v13, 0x200, v13
	s_andn2_b64 exec, exec, s[34:35]
	s_cbranch_execnz .LBB128_27
; %bb.28:
	s_or_b64 exec, exec, s[34:35]
.LBB128_29:
	s_or_b64 exec, exec, s[30:31]
	ds_bpermute_b32 v5, v5, v11
	s_waitcnt lgkmcnt(0)
	v_add_f32_e32 v5, v11, v5
	ds_bpermute_b32 v6, v6, v5
	s_waitcnt lgkmcnt(0)
	v_add_f32_e32 v5, v5, v6
	ds_bpermute_b32 v6, v9, v5
	v_xor_b32_e32 v9, 2, v2
	v_cmp_lt_i32_e64 s[6:7], v9, v4
	v_cndmask_b32_e64 v4, v2, v9, s[6:7]
	v_lshlrev_b32_e32 v4, 2, v4
	s_waitcnt lgkmcnt(0)
	v_add_f32_e32 v5, v5, v6
	ds_bpermute_b32 v6, v10, v5
	s_waitcnt lgkmcnt(0)
	v_add_f32_e32 v5, v5, v6
	ds_bpermute_b32 v4, v4, v5
	;; [unrolled: 3-line block ×3, first 2 shown]
	s_waitcnt lgkmcnt(0)
	v_add_f32_e32 v4, v4, v5
	s_and_saveexec_b64 s[6:7], vcc
; %bb.30:
	ds_write_b32 v7, v4 offset:168
; %bb.31:
	s_or_b64 exec, exec, s[6:7]
	s_waitcnt lgkmcnt(0)
	s_barrier
	s_and_saveexec_b64 s[6:7], s[2:3]
; %bb.32:
	ds_read_b32 v4, v8 offset:168
; %bb.33:
	s_or_b64 exec, exec, s[6:7]
	s_waitcnt lgkmcnt(0)
	ds_bpermute_b32 v5, v21, v4
	v_lshlrev_b32_e32 v2, 2, v2
	v_and_b32_e32 v2, 0x100, v2
	s_waitcnt lgkmcnt(0)
	v_add_f32_e32 v4, v4, v5
	ds_bpermute_b32 v2, v2, v4
	s_and_saveexec_b64 s[2:3], s[4:5]
	s_cbranch_execz .LBB128_36
; %bb.34:
	s_waitcnt lgkmcnt(0)
	v_add_f32_e32 v4, 0x358637bd, v2
	v_div_scale_f32 v2, s[4:5], v4, v4, 1.0
	v_div_scale_f32 v5, vcc, 1.0, v4, 1.0
	s_mov_b64 s[4:5], 0
	v_rcp_f32_e32 v6, v2
	v_fma_f32 v7, -v2, v6, 1.0
	v_fmac_f32_e32 v6, v7, v6
	v_mul_f32_e32 v7, v5, v6
	v_fma_f32 v8, -v2, v7, v5
	v_fmac_f32_e32 v7, v8, v6
	v_fma_f32 v2, -v2, v7, v5
	v_div_fmas_f32 v5, v2, v6, v7
	v_mov_b32_e32 v2, 0xb0
	v_lshl_add_u32 v2, v0, 2, v2
	v_div_fixup_f32 v4, v5, v4, 1.0
	v_mov_b32_e32 v5, v0
.LBB128_35:                             ; =>This Inner Loop Header: Depth=1
	ds_read_b32 v6, v2
	v_add_u32_e32 v5, 0x80, v5
	v_cmp_le_i32_e32 vcc, s15, v5
	s_or_b64 s[4:5], vcc, s[4:5]
	s_waitcnt lgkmcnt(0)
	v_mul_f32_e32 v6, v4, v6
	ds_write_b32 v2, v6
	v_add_u32_e32 v2, 0x200, v2
	s_andn2_b64 exec, exec, s[4:5]
	s_cbranch_execnz .LBB128_35
.LBB128_36:
	s_or_b64 exec, exec, s[2:3]
	v_lshrrev_b32_e32 v22, 1, v1
	s_waitcnt lgkmcnt(0)
	s_barrier
	s_and_saveexec_b64 s[2:3], s[0:1]
	s_xor_b64 s[0:1], exec, s[2:3]
; %bb.37:
	v_lshrrev_b32_e32 v22, 1, v1
                                        ; implicit-def: $vgpr20
                                        ; implicit-def: $vgpr19
                                        ; implicit-def: $vgpr3
; %bb.38:
	s_or_saveexec_b64 s[6:7], s[0:1]
	v_mov_b32_e32 v26, 0
	v_and_b32_e32 v23, 1, v0
	v_mov_b32_e32 v27, 0
	v_mov_b32_e32 v28, 0
	s_xor_b64 exec, exec, s[6:7]
	s_cbranch_execz .LBB128_52
; %bb.39:
	s_ashr_i32 s15, s14, 31
	s_sub_i32 s30, s12, s17
	s_lshl_b64 s[0:1], s[14:15], 1
	s_add_u32 s28, s28, s0
	s_addc_u32 s29, s29, s1
	s_abs_i32 s18, s18
	v_cvt_f32_u32_e32 v1, s18
	s_sub_i32 s1, 0, s18
	v_lshlrev_b32_e32 v2, 3, v0
	v_and_b32_e32 v25, 8, v2
	v_rcp_iflag_f32_e32 v1, v1
	s_add_i32 s35, s42, -1
	s_lshl_b64 s[2:3], s[26:27], 2
	s_add_u32 s2, s24, s2
	v_mul_f32_e32 v1, 0x4f7ffffe, v1
	v_cvt_u32_f32_e32 v1, v1
	v_and_b32_e32 v3, 60, v3
	s_addc_u32 s3, s25, s3
	v_add_co_u32_e32 v17, vcc, s2, v3
	v_mul_lo_u32 v5, s1, v1
	v_or_b32_e32 v4, 64, v22
	s_movk_i32 s0, 0x50
	v_cmp_gt_u32_e64 s[0:1], s0, v4
	v_mul_hi_u32 v2, v1, v5
	v_lshl_or_b32 v5, v22, 4, v25
	v_lshl_or_b32 v4, v4, 4, v25
	s_mov_b32 s31, s13
	v_add_u32_e32 v29, v1, v2
	v_mov_b32_e32 v1, s3
	v_addc_co_u32_e32 v18, vcc, 0, v1, vcc
	v_lshlrev_b32_e32 v1, 5, v23
	v_lshl_or_b32 v1, v19, 6, v1
	v_mov_b32_e32 v24, 0
	s_mov_b32 s34, s33
	v_add_u32_e32 v30, 0xb0, v1
	s_mov_b64 s[12:13], 0
	v_lshlrev_b32_e32 v31, 1, v5
	s_mov_b32 s24, 0x5040100
	s_movk_i32 s25, 0x7fff
	s_mov_b32 s26, 0x7060302
	v_lshlrev_b32_e32 v32, 1, v4
	v_mov_b32_e32 v28, 0
	v_mov_b32_e32 v27, 0
	;; [unrolled: 1-line block ×3, first 2 shown]
	s_branch .LBB128_43
.LBB128_40:                             ;   in Loop: Header=BB128_43 Depth=1
	s_or_b64 exec, exec, s[16:17]
	s_waitcnt vmcnt(0)
	v_lshlrev_b32_e32 v33, 16, v9
	v_lshlrev_b32_e32 v34, 16, v16
	v_mul_f32_e32 v33, v34, v33
	v_bfe_u32 v34, v33, 16, 1
	v_add3_u32 v34, v34, v33, s25
	v_or_b32_e32 v35, 0x400000, v33
	v_cmp_u_f32_e32 vcc, v33, v33
	v_cndmask_b32_e32 v33, v34, v35, vcc
	v_and_b32_e32 v9, 0xffff0000, v9
	v_and_b32_e32 v34, 0xffff0000, v16
	v_mul_f32_e32 v9, v34, v9
	v_bfe_u32 v34, v9, 16, 1
	v_add3_u32 v34, v34, v9, s25
	v_or_b32_e32 v35, 0x400000, v9
	v_cmp_u_f32_e32 vcc, v9, v9
	v_cndmask_b32_e32 v9, v34, v35, vcc
	v_lshlrev_b32_e32 v34, 16, v10
	v_lshlrev_b32_e32 v35, 16, v15
	v_mul_f32_e32 v34, v35, v34
	v_bfe_u32 v35, v34, 16, 1
	v_add3_u32 v35, v35, v34, s25
	v_or_b32_e32 v36, 0x400000, v34
	v_cmp_u_f32_e32 vcc, v34, v34
	v_cndmask_b32_e32 v34, v35, v36, vcc
	v_and_b32_e32 v10, 0xffff0000, v10
	v_and_b32_e32 v35, 0xffff0000, v15
	v_mul_f32_e32 v10, v35, v10
	v_bfe_u32 v35, v10, 16, 1
	v_add3_u32 v35, v35, v10, s25
	v_or_b32_e32 v36, 0x400000, v10
	v_cmp_u_f32_e32 vcc, v10, v10
	v_cndmask_b32_e32 v10, v35, v36, vcc
	;; [unrolled: 16-line block ×3, first 2 shown]
	v_lshlrev_b32_e32 v36, 16, v12
	v_lshlrev_b32_e32 v37, 16, v13
	v_mul_f32_e32 v36, v37, v36
	v_bfe_u32 v37, v36, 16, 1
	v_add3_u32 v37, v37, v36, s25
	v_or_b32_e32 v38, 0x400000, v36
	v_cmp_u_f32_e32 vcc, v36, v36
	v_cndmask_b32_e32 v36, v37, v38, vcc
	v_and_b32_e32 v12, 0xffff0000, v12
	v_and_b32_e32 v37, 0xffff0000, v13
	;; [unrolled: 1-line block ×4, first 2 shown]
	v_mul_f32_e32 v12, v37, v12
	v_add_f32_e32 v9, v33, v9
	v_and_b32_e32 v10, 0xffff0000, v10
	v_and_b32_e32 v33, 0xffff0000, v34
	v_bfe_u32 v37, v12, 16, 1
	v_add_f32_e32 v10, v33, v10
	v_add3_u32 v37, v37, v12, s25
	v_or_b32_e32 v38, 0x400000, v12
	v_cmp_u_f32_e32 vcc, v12, v12
	v_add_f32_e32 v9, v10, v9
	v_and_b32_e32 v10, 0xffff0000, v11
	v_and_b32_e32 v11, 0xffff0000, v35
	v_cndmask_b32_e32 v12, v37, v38, vcc
	v_add_f32_e32 v10, v11, v10
	v_add_f32_e32 v9, v10, v9
	v_and_b32_e32 v10, 0xffff0000, v12
	v_and_b32_e32 v11, 0xffff0000, v36
	v_add_f32_e32 v10, v11, v10
	v_add_f32_e32 v9, v10, v9
	;; [unrolled: 1-line block ×3, first 2 shown]
.LBB128_41:                             ;   in Loop: Header=BB128_43 Depth=1
	s_or_b64 exec, exec, s[4:5]
	s_waitcnt vmcnt(0)
	v_and_b32_e32 v9, 0xffff0000, v5
	v_and_b32_e32 v10, 0xffff0000, v16
	v_mul_f32_e32 v9, v10, v9
	v_bfe_u32 v11, v9, 16, 1
	v_add3_u32 v11, v11, v9, s25
	v_or_b32_e32 v12, 0x400000, v9
	v_cmp_u_f32_e32 vcc, v9, v9
	v_cndmask_b32_e32 v9, v11, v12, vcc
	v_lshlrev_b32_e32 v5, 16, v5
	v_lshlrev_b32_e32 v11, 16, v16
	v_mul_f32_e32 v5, v11, v5
	v_bfe_u32 v12, v5, 16, 1
	v_add3_u32 v12, v12, v5, s25
	v_or_b32_e32 v16, 0x400000, v5
	v_cmp_u_f32_e32 vcc, v5, v5
	v_cndmask_b32_e32 v5, v12, v16, vcc
	v_and_b32_e32 v12, 0xffff0000, v6
	v_and_b32_e32 v16, 0xffff0000, v15
	v_mul_f32_e32 v12, v16, v12
	v_bfe_u32 v33, v12, 16, 1
	v_lshlrev_b32_e32 v6, 16, v6
	v_lshlrev_b32_e32 v15, 16, v15
	v_add3_u32 v33, v33, v12, s25
	v_or_b32_e32 v34, 0x400000, v12
	v_cmp_u_f32_e32 vcc, v12, v12
	v_mul_f32_e32 v6, v15, v6
	v_cndmask_b32_e32 v12, v33, v34, vcc
	v_bfe_u32 v33, v6, 16, 1
	v_add3_u32 v33, v33, v6, s25
	v_or_b32_e32 v34, 0x400000, v6
	v_cmp_u_f32_e32 vcc, v6, v6
	v_cndmask_b32_e32 v6, v33, v34, vcc
	v_and_b32_e32 v33, 0xffff0000, v7
	v_and_b32_e32 v34, 0xffff0000, v14
	v_mul_f32_e32 v33, v34, v33
	v_bfe_u32 v35, v33, 16, 1
	v_lshlrev_b32_e32 v7, 16, v7
	v_lshlrev_b32_e32 v14, 16, v14
	v_add3_u32 v35, v35, v33, s25
	v_or_b32_e32 v36, 0x400000, v33
	v_cmp_u_f32_e32 vcc, v33, v33
	v_mul_f32_e32 v7, v14, v7
	v_cndmask_b32_e32 v33, v35, v36, vcc
	v_bfe_u32 v35, v7, 16, 1
	v_add3_u32 v35, v35, v7, s25
	v_or_b32_e32 v36, 0x400000, v7
	v_cmp_u_f32_e32 vcc, v7, v7
	v_cndmask_b32_e32 v7, v35, v36, vcc
	v_and_b32_e32 v35, 0xffff0000, v8
	v_and_b32_e32 v36, 0xffff0000, v13
	v_mul_f32_e32 v35, v36, v35
	v_bfe_u32 v37, v35, 16, 1
	v_lshlrev_b32_e32 v8, 16, v8
	v_lshlrev_b32_e32 v13, 16, v13
	v_and_b32_e32 v5, 0xffff0000, v5
	v_and_b32_e32 v9, 0xffff0000, v9
	v_add3_u32 v37, v37, v35, s25
	v_or_b32_e32 v38, 0x400000, v35
	v_cmp_u_f32_e32 vcc, v35, v35
	v_mul_f32_e32 v8, v13, v8
	v_add_f32_e32 v5, v5, v9
	v_and_b32_e32 v6, 0xffff0000, v6
	v_and_b32_e32 v9, 0xffff0000, v12
	v_cndmask_b32_e32 v35, v37, v38, vcc
	v_bfe_u32 v37, v8, 16, 1
	v_add_f32_e32 v6, v6, v9
	v_add3_u32 v37, v37, v8, s25
	v_or_b32_e32 v38, 0x400000, v8
	v_cmp_u_f32_e32 vcc, v8, v8
	v_add_f32_e32 v5, v6, v5
	v_and_b32_e32 v6, 0xffff0000, v7
	v_and_b32_e32 v7, 0xffff0000, v33
	v_cndmask_b32_e32 v8, v37, v38, vcc
	v_add_f32_e32 v6, v6, v7
	v_add_f32_e32 v5, v6, v5
	v_and_b32_e32 v6, 0xffff0000, v8
	v_and_b32_e32 v7, 0xffff0000, v35
	v_add_f32_e32 v6, v6, v7
	v_add_f32_e32 v5, v6, v5
	;; [unrolled: 1-line block ×3, first 2 shown]
	v_and_b32_e32 v5, 0xffff0000, v1
	v_mul_f32_e32 v5, v10, v5
	v_bfe_u32 v6, v5, 16, 1
	v_lshlrev_b32_e32 v1, 16, v1
	v_add3_u32 v6, v6, v5, s25
	v_or_b32_e32 v7, 0x400000, v5
	v_cmp_u_f32_e32 vcc, v5, v5
	v_mul_f32_e32 v1, v11, v1
	v_cndmask_b32_e32 v5, v6, v7, vcc
	v_bfe_u32 v6, v1, 16, 1
	v_add3_u32 v6, v6, v1, s25
	v_or_b32_e32 v7, 0x400000, v1
	v_cmp_u_f32_e32 vcc, v1, v1
	v_cndmask_b32_e32 v1, v6, v7, vcc
	v_and_b32_e32 v6, 0xffff0000, v2
	v_mul_f32_e32 v6, v16, v6
	v_bfe_u32 v7, v6, 16, 1
	v_lshlrev_b32_e32 v2, 16, v2
	v_add3_u32 v7, v7, v6, s25
	v_or_b32_e32 v8, 0x400000, v6
	v_cmp_u_f32_e32 vcc, v6, v6
	v_mul_f32_e32 v2, v15, v2
	v_cndmask_b32_e32 v6, v7, v8, vcc
	v_bfe_u32 v7, v2, 16, 1
	v_add3_u32 v7, v7, v2, s25
	v_or_b32_e32 v8, 0x400000, v2
	v_cmp_u_f32_e32 vcc, v2, v2
	v_cndmask_b32_e32 v2, v7, v8, vcc
	;; [unrolled: 14-line block ×3, first 2 shown]
	v_and_b32_e32 v8, 0xffff0000, v4
	v_mul_f32_e32 v8, v36, v8
	v_bfe_u32 v9, v8, 16, 1
	v_lshlrev_b32_e32 v4, 16, v4
	v_and_b32_e32 v1, 0xffff0000, v1
	v_and_b32_e32 v5, 0xffff0000, v5
	v_add3_u32 v9, v9, v8, s25
	v_or_b32_e32 v10, 0x400000, v8
	v_cmp_u_f32_e32 vcc, v8, v8
	v_mul_f32_e32 v4, v13, v4
	v_add_f32_e32 v1, v1, v5
	v_and_b32_e32 v2, 0xffff0000, v2
	v_and_b32_e32 v5, 0xffff0000, v6
	v_cndmask_b32_e32 v8, v9, v10, vcc
	v_bfe_u32 v9, v4, 16, 1
	v_add_f32_e32 v2, v2, v5
	v_add3_u32 v9, v9, v4, s25
	v_or_b32_e32 v10, 0x400000, v4
	v_cmp_u_f32_e32 vcc, v4, v4
	v_add_f32_e32 v1, v2, v1
	v_and_b32_e32 v2, 0xffff0000, v3
	v_and_b32_e32 v3, 0xffff0000, v7
	v_cndmask_b32_e32 v4, v9, v10, vcc
	v_add_f32_e32 v2, v2, v3
	v_add_f32_e32 v1, v2, v1
	v_and_b32_e32 v2, 0xffff0000, v4
	v_and_b32_e32 v3, 0xffff0000, v8
	v_add_f32_e32 v2, v2, v3
	v_add_f32_e32 v1, v2, v1
	v_add_f32_e32 v26, v26, v1
.LBB128_42:                             ;   in Loop: Header=BB128_43 Depth=1
	s_or_b64 exec, exec, s[14:15]
	v_add_co_u32_e32 v17, vcc, 8, v17
	v_add_u32_e32 v19, 2, v19
	v_addc_co_u32_e32 v18, vcc, 0, v18, vcc
	v_cmp_le_i32_e32 vcc, s42, v19
	v_add_u32_e32 v20, 32, v20
	s_or_b64 s[12:13], vcc, s[12:13]
	v_add_u32_e32 v30, 0x80, v30
	s_andn2_b64 exec, exec, s[12:13]
	s_cbranch_execz .LBB128_51
.LBB128_43:                             ; =>This Inner Loop Header: Depth=1
	v_mul_hi_u32 v1, v20, s40
	v_mul_lo_u32 v2, v1, s21
	v_add_u32_e32 v3, 1, v1
	v_sub_u32_e32 v2, v20, v2
	v_cmp_le_u32_e32 vcc, s21, v2
	v_cndmask_b32_e32 v1, v1, v3, vcc
	v_subrev_u32_e32 v3, s21, v2
	v_cndmask_b32_e32 v2, v2, v3, vcc
	v_add_u32_e32 v3, 1, v1
	v_cmp_le_u32_e32 vcc, s21, v2
	v_cndmask_b32_e32 v1, v1, v3, vcc
	v_xor_b32_e32 v1, s19, v1
	v_subrev_u32_e32 v1, s19, v1
	v_add_u32_e32 v2, s41, v1
	v_sub_u32_e32 v3, 0, v2
	v_max_i32_e32 v3, v2, v3
	v_mul_hi_u32 v4, v3, v29
	v_ashrrev_i32_e32 v2, 31, v2
	v_cmp_lt_i32_e64 s[2:3], s30, v1
	v_mul_lo_u32 v4, v4, s18
	v_sub_u32_e32 v3, v3, v4
	v_subrev_u32_e32 v4, s18, v3
	v_cmp_le_u32_e32 vcc, s18, v3
	v_cndmask_b32_e32 v3, v3, v4, vcc
	v_subrev_u32_e32 v4, s18, v3
	v_cmp_le_u32_e32 vcc, s18, v3
	v_cndmask_b32_e32 v3, v3, v4, vcc
	v_xor_b32_e32 v3, v3, v2
	v_sub_u32_e32 v2, v3, v2
	v_cmp_eq_u32_e32 vcc, 0, v2
	s_or_b64 s[2:3], vcc, s[2:3]
	s_and_saveexec_b64 s[14:15], s[2:3]
	s_cbranch_execz .LBB128_42
; %bb.44:                               ;   in Loop: Header=BB128_43 Depth=1
	global_load_dword v1, v[17:18], off
	v_mov_b32_e32 v3, s29
	v_add_u32_e32 v33, v25, v20
	s_waitcnt vmcnt(0)
	v_mad_i64_i32 v[1:2], s[2:3], v1, s31, 0
	v_cmp_eq_u32_e64 s[2:3], s35, v19
	v_lshlrev_b64 v[1:2], 1, v[1:2]
	v_add_co_u32_e32 v34, vcc, s28, v1
	v_addc_co_u32_e32 v35, vcc, v3, v2, vcc
	v_add_co_u32_e32 v5, vcc, v34, v31
	v_addc_co_u32_e32 v6, vcc, 0, v35, vcc
	global_load_dwordx4 v[1:4], v[5:6], off
	ds_read2_b64 v[13:16], v30 offset1:1
	ds_read2_b64 v[9:12], v30 offset0:2 offset1:3
	s_and_saveexec_b64 s[16:17], s[2:3]
	s_cbranch_execz .LBB128_46
; %bb.45:                               ;   in Loop: Header=BB128_43 Depth=1
	v_add_u32_e32 v7, 1, v33
	v_cmp_gt_i32_e32 vcc, s34, v7
	s_waitcnt vmcnt(0)
	v_cndmask_b32_sdwa v7, v24, v1, vcc dst_sel:DWORD dst_unused:UNUSED_PAD src0_sel:DWORD src1_sel:WORD_1
	v_cmp_gt_i32_e32 vcc, s33, v33
	v_cndmask_b32_e32 v1, 0, v1, vcc
	v_perm_b32 v1, v7, v1, s24
	v_or_b32_e32 v7, 3, v33
	v_or_b32_e32 v8, 2, v33
	v_cmp_gt_i32_e32 vcc, s34, v7
	v_cmp_gt_i32_e64 s[4:5], s33, v8
	v_cndmask_b32_e64 v7, 0, v2, s[4:5]
	v_cndmask_b32_sdwa v2, v24, v2, vcc dst_sel:DWORD dst_unused:UNUSED_PAD src0_sel:DWORD src1_sel:WORD_1
	v_perm_b32 v2, v2, v7, s24
	v_or_b32_e32 v7, 5, v33
	v_or_b32_e32 v8, 4, v33
	v_cmp_gt_i32_e32 vcc, s34, v7
	v_cmp_gt_i32_e64 s[4:5], s33, v8
	v_cndmask_b32_e64 v7, 0, v3, s[4:5]
	v_cndmask_b32_sdwa v3, v24, v3, vcc dst_sel:DWORD dst_unused:UNUSED_PAD src0_sel:DWORD src1_sel:WORD_1
	;; [unrolled: 7-line block ×3, first 2 shown]
	v_perm_b32 v4, v4, v7, s24
.LBB128_46:                             ;   in Loop: Header=BB128_43 Depth=1
	s_or_b64 exec, exec, s[16:17]
	global_load_dwordx4 v[5:8], v[5:6], off offset:1024
	s_and_saveexec_b64 s[16:17], s[2:3]
	s_cbranch_execz .LBB128_48
; %bb.47:                               ;   in Loop: Header=BB128_43 Depth=1
	v_add_u32_e32 v36, 1, v33
	v_cmp_gt_i32_e32 vcc, s34, v36
	s_waitcnt vmcnt(0)
	v_cndmask_b32_sdwa v36, v24, v5, vcc dst_sel:DWORD dst_unused:UNUSED_PAD src0_sel:DWORD src1_sel:WORD_1
	v_cmp_gt_i32_e32 vcc, s33, v33
	v_cndmask_b32_e32 v5, 0, v5, vcc
	v_perm_b32 v5, v36, v5, s24
	v_or_b32_e32 v36, 3, v33
	v_or_b32_e32 v37, 2, v33
	v_cmp_gt_i32_e32 vcc, s34, v36
	v_cmp_gt_i32_e64 s[4:5], s33, v37
	v_cndmask_b32_e64 v36, 0, v6, s[4:5]
	v_cndmask_b32_sdwa v6, v24, v6, vcc dst_sel:DWORD dst_unused:UNUSED_PAD src0_sel:DWORD src1_sel:WORD_1
	v_perm_b32 v6, v6, v36, s24
	v_or_b32_e32 v36, 5, v33
	v_or_b32_e32 v37, 4, v33
	v_cmp_gt_i32_e32 vcc, s34, v36
	v_cmp_gt_i32_e64 s[4:5], s33, v37
	v_cndmask_b32_e64 v36, 0, v7, s[4:5]
	v_cndmask_b32_sdwa v7, v24, v7, vcc dst_sel:DWORD dst_unused:UNUSED_PAD src0_sel:DWORD src1_sel:WORD_1
	;; [unrolled: 7-line block ×3, first 2 shown]
	v_perm_b32 v8, v8, v36, s24
.LBB128_48:                             ;   in Loop: Header=BB128_43 Depth=1
	s_or_b64 exec, exec, s[16:17]
	s_waitcnt lgkmcnt(1)
	v_bfe_u32 v36, v13, 16, 1
	v_add3_u32 v36, v36, v13, s25
	v_or_b32_e32 v37, 0x400000, v13
	v_cmp_u_f32_e32 vcc, v13, v13
	v_cndmask_b32_e32 v13, v36, v37, vcc
	v_bfe_u32 v36, v14, 16, 1
	v_add3_u32 v36, v36, v14, s25
	v_or_b32_e32 v37, 0x400000, v14
	v_cmp_u_f32_e32 vcc, v14, v14
	v_cndmask_b32_e32 v14, v36, v37, vcc
	;; [unrolled: 5-line block ×3, first 2 shown]
	v_bfe_u32 v36, v16, 16, 1
	v_add3_u32 v36, v36, v16, s25
	v_or_b32_e32 v37, 0x400000, v16
	v_cmp_u_f32_e32 vcc, v16, v16
	s_waitcnt lgkmcnt(0)
	v_bfe_u32 v16, v9, 16, 1
	v_cndmask_b32_e32 v36, v36, v37, vcc
	v_add3_u32 v16, v16, v9, s25
	v_or_b32_e32 v37, 0x400000, v9
	v_cmp_u_f32_e32 vcc, v9, v9
	v_cndmask_b32_e32 v9, v16, v37, vcc
	v_bfe_u32 v16, v10, 16, 1
	v_add3_u32 v16, v16, v10, s25
	v_or_b32_e32 v37, 0x400000, v10
	v_cmp_u_f32_e32 vcc, v10, v10
	v_cndmask_b32_e32 v10, v16, v37, vcc
	v_bfe_u32 v16, v11, 16, 1
	;; [unrolled: 5-line block ×3, first 2 shown]
	v_add3_u32 v16, v16, v12, s25
	v_or_b32_e32 v37, 0x400000, v12
	v_cmp_u_f32_e32 vcc, v12, v12
	v_cndmask_b32_e32 v12, v16, v37, vcc
	v_perm_b32 v16, v14, v13, s26
	v_perm_b32 v15, v36, v15, s26
	;; [unrolled: 1-line block ×4, first 2 shown]
	s_and_saveexec_b64 s[4:5], s[0:1]
	s_cbranch_execz .LBB128_41
; %bb.49:                               ;   in Loop: Header=BB128_43 Depth=1
	v_add_co_u32_e32 v9, vcc, v34, v32
	v_addc_co_u32_e32 v10, vcc, 0, v35, vcc
	global_load_dwordx4 v[9:12], v[9:10], off
	s_and_saveexec_b64 s[16:17], s[2:3]
	s_cbranch_execz .LBB128_40
; %bb.50:                               ;   in Loop: Header=BB128_43 Depth=1
	v_add_u32_e32 v34, 1, v33
	v_cmp_gt_i32_e32 vcc, s34, v34
	s_waitcnt vmcnt(0)
	v_cndmask_b32_sdwa v34, v24, v9, vcc dst_sel:DWORD dst_unused:UNUSED_PAD src0_sel:DWORD src1_sel:WORD_1
	v_cmp_gt_i32_e32 vcc, s33, v33
	v_cndmask_b32_e32 v9, 0, v9, vcc
	v_perm_b32 v9, v34, v9, s24
	v_or_b32_e32 v34, 3, v33
	v_or_b32_e32 v35, 2, v33
	v_cmp_gt_i32_e32 vcc, s34, v34
	v_cmp_gt_i32_e64 s[2:3], s33, v35
	v_cndmask_b32_e64 v34, 0, v10, s[2:3]
	v_cndmask_b32_sdwa v10, v24, v10, vcc dst_sel:DWORD dst_unused:UNUSED_PAD src0_sel:DWORD src1_sel:WORD_1
	v_perm_b32 v10, v10, v34, s24
	v_or_b32_e32 v34, 5, v33
	v_or_b32_e32 v35, 4, v33
	v_cmp_gt_i32_e32 vcc, s34, v34
	v_cmp_gt_i32_e64 s[2:3], s33, v35
	v_cndmask_b32_e64 v34, 0, v11, s[2:3]
	v_cndmask_b32_sdwa v11, v24, v11, vcc dst_sel:DWORD dst_unused:UNUSED_PAD src0_sel:DWORD src1_sel:WORD_1
	v_perm_b32 v11, v11, v34, s24
	v_or_b32_e32 v34, 7, v33
	v_or_b32_e32 v33, 6, v33
	v_cmp_gt_i32_e32 vcc, s34, v34
	v_cmp_gt_i32_e64 s[2:3], s33, v33
	v_cndmask_b32_e64 v33, 0, v12, s[2:3]
	v_cndmask_b32_sdwa v12, v24, v12, vcc dst_sel:DWORD dst_unused:UNUSED_PAD src0_sel:DWORD src1_sel:WORD_1
	v_perm_b32 v12, v12, v33, s24
	s_branch .LBB128_40
.LBB128_51:
	s_or_b64 exec, exec, s[12:13]
.LBB128_52:
	s_or_b64 exec, exec, s[6:7]
	ds_bpermute_b32 v1, v21, v26
	ds_bpermute_b32 v4, v21, v28
	;; [unrolled: 1-line block ×3, first 2 shown]
	v_cmp_eq_u32_e32 vcc, 0, v23
	s_waitcnt lgkmcnt(0)
	v_add_f32_e32 v3, v26, v1
	v_add_f32_e32 v1, v28, v4
	v_and_b32_e32 v4, 0x3c0, v0
	v_add_f32_e32 v2, v27, v2
	v_cmp_eq_u32_e64 s[0:1], 64, v4
	s_barrier
	s_and_saveexec_b64 s[2:3], s[0:1]
	s_cbranch_execz .LBB128_57
; %bb.53:
	s_and_saveexec_b64 s[0:1], vcc
; %bb.54:
	v_mov_b32_e32 v4, 0xb0
	v_lshl_add_u32 v4, v22, 2, v4
	ds_write2_b32 v4, v3, v2 offset1:32
; %bb.55:
	s_or_b64 exec, exec, s[0:1]
	v_or_b32_e32 v4, 64, v22
	s_movk_i32 s0, 0x50
	v_cmp_gt_u32_e64 s[0:1], s0, v4
	s_and_b64 s[0:1], vcc, s[0:1]
	s_and_b64 exec, exec, s[0:1]
; %bb.56:
	v_mov_b32_e32 v4, 0xb0
	v_lshl_add_u32 v4, v22, 2, v4
	ds_write_b32 v4, v1 offset:256
.LBB128_57:
	s_or_b64 exec, exec, s[2:3]
	v_cmp_gt_u32_e64 s[0:1], 64, v0
	v_lshrrev_b32_e32 v0, 1, v0
	s_waitcnt lgkmcnt(0)
	s_barrier
	s_and_saveexec_b64 s[4:5], s[0:1]
	s_cbranch_execz .LBB128_65
; %bb.58:
	s_and_saveexec_b64 s[2:3], vcc
	s_cbranch_execz .LBB128_60
; %bb.59:
	v_mov_b32_e32 v4, 0xb0
	v_lshl_add_u32 v4, v0, 2, v4
	ds_read_b32 v4, v4
	s_waitcnt lgkmcnt(0)
	v_add_f32_e32 v3, v3, v4
.LBB128_60:
	s_or_b64 exec, exec, s[2:3]
	v_or_b32_e32 v4, 32, v0
	s_movk_i32 s6, 0x50
	v_cmp_gt_u32_e64 s[2:3], s6, v4
	s_and_b64 s[12:13], vcc, s[2:3]
	s_and_saveexec_b64 s[2:3], s[12:13]
	s_cbranch_execz .LBB128_62
; %bb.61:
	v_mov_b32_e32 v4, 0xb0
	v_lshl_add_u32 v4, v0, 2, v4
	ds_read_b32 v4, v4 offset:128
	s_waitcnt lgkmcnt(0)
	v_add_f32_e32 v2, v2, v4
.LBB128_62:
	s_or_b64 exec, exec, s[2:3]
	v_or_b32_e32 v4, 64, v0
	v_cmp_gt_u32_e64 s[2:3], s6, v4
	s_and_b64 s[6:7], vcc, s[2:3]
	s_and_saveexec_b64 s[2:3], s[6:7]
	s_cbranch_execz .LBB128_64
; %bb.63:
	v_mov_b32_e32 v4, 0xb0
	v_lshl_add_u32 v4, v0, 2, v4
	ds_read_b32 v4, v4 offset:256
	s_waitcnt lgkmcnt(0)
	v_add_f32_e32 v1, v1, v4
.LBB128_64:
	s_or_b64 exec, exec, s[2:3]
.LBB128_65:
	s_or_b64 exec, exec, s[4:5]
	s_barrier
	s_and_saveexec_b64 s[2:3], s[0:1]
	s_cbranch_execz .LBB128_72
; %bb.66:
	s_mul_i32 s0, s10, s11
	s_mul_i32 s0, s0, s9
	s_mulk_i32 s0, 0x50
	s_ashr_i32 s1, s0, 31
	s_lshl_b64 s[0:1], s[0:1], 1
	s_add_u32 s2, s22, s0
	s_mul_i32 s0, s11, s20
	s_addc_u32 s3, s23, s1
	s_ashr_i32 s1, s0, 31
	s_lshl_b64 s[0:1], s[0:1], 1
	s_add_u32 s2, s2, s0
	s_mul_i32 s0, s8, 0x50
	s_addc_u32 s3, s3, s1
	s_ashr_i32 s1, s0, 31
	s_lshl_b64 s[0:1], s[0:1], 1
	s_add_u32 s2, s2, s0
	s_movk_i32 s6, 0x50
	s_addc_u32 s3, s3, s1
	v_lshlrev_b32_e32 v4, 1, v0
	s_and_saveexec_b64 s[4:5], vcc
	s_cbranch_execz .LBB128_68
; %bb.67:
	v_bfe_u32 v5, v3, 16, 1
	s_movk_i32 s0, 0x7fff
	v_add3_u32 v5, v5, v3, s0
	v_or_b32_e32 v6, 0x400000, v3
	v_cmp_u_f32_e64 s[0:1], v3, v3
	v_cndmask_b32_e64 v3, v5, v6, s[0:1]
	global_store_short_d16_hi v4, v3, s[2:3]
.LBB128_68:
	s_or_b64 exec, exec, s[4:5]
	v_or_b32_e32 v3, 32, v0
	v_cmp_gt_u32_e64 s[0:1], s6, v3
	s_and_b64 s[0:1], vcc, s[0:1]
	s_and_saveexec_b64 s[4:5], s[0:1]
	s_cbranch_execz .LBB128_70
; %bb.69:
	v_bfe_u32 v3, v2, 16, 1
	s_movk_i32 s0, 0x7fff
	v_add3_u32 v3, v3, v2, s0
	v_or_b32_e32 v5, 0x400000, v2
	v_cmp_u_f32_e64 s[0:1], v2, v2
	v_cndmask_b32_e64 v2, v3, v5, s[0:1]
	global_store_short_d16_hi v4, v2, s[2:3] offset:64
.LBB128_70:
	s_or_b64 exec, exec, s[4:5]
	v_or_b32_e32 v0, 64, v0
	s_movk_i32 s0, 0x50
	v_cmp_gt_u32_e64 s[0:1], s0, v0
	s_and_b64 s[0:1], vcc, s[0:1]
	s_and_b64 exec, exec, s[0:1]
	s_cbranch_execz .LBB128_72
; %bb.71:
	v_bfe_u32 v0, v1, 16, 1
	s_movk_i32 s0, 0x7fff
	v_add3_u32 v0, v0, v1, s0
	v_or_b32_e32 v2, 0x400000, v1
	v_cmp_u_f32_e32 vcc, v1, v1
	v_cndmask_b32_e32 v0, v0, v2, vcc
	global_store_short_d16_hi v4, v0, s[2:3] offset:128
.LBB128_72:
	s_endpgm
	.section	.rodata,"a",@progbits
	.p2align	6, 0x0
	.amdhsa_kernel _ZN4vllm25paged_attention_v1_kernelI14__hip_bfloat16S1_Li80ELi16ELi128ELNS_18Fp8KVCacheDataTypeE0ELb1EEEvPT_PKS3_PKT0_S9_ifPKiSB_iPKfiiiSD_SD_iiiii
		.amdhsa_group_segment_fixed_size 176
		.amdhsa_private_segment_fixed_size 0
		.amdhsa_kernarg_size 384
		.amdhsa_user_sgpr_count 6
		.amdhsa_user_sgpr_private_segment_buffer 1
		.amdhsa_user_sgpr_dispatch_ptr 0
		.amdhsa_user_sgpr_queue_ptr 0
		.amdhsa_user_sgpr_kernarg_segment_ptr 1
		.amdhsa_user_sgpr_dispatch_id 0
		.amdhsa_user_sgpr_flat_scratch_init 0
		.amdhsa_user_sgpr_private_segment_size 0
		.amdhsa_uses_dynamic_stack 0
		.amdhsa_system_sgpr_private_segment_wavefront_offset 0
		.amdhsa_system_sgpr_workgroup_id_x 1
		.amdhsa_system_sgpr_workgroup_id_y 1
		.amdhsa_system_sgpr_workgroup_id_z 1
		.amdhsa_system_sgpr_workgroup_info 0
		.amdhsa_system_vgpr_workitem_id 0
		.amdhsa_next_free_vgpr 63
		.amdhsa_next_free_sgpr 44
		.amdhsa_reserve_vcc 1
		.amdhsa_reserve_flat_scratch 0
		.amdhsa_float_round_mode_32 0
		.amdhsa_float_round_mode_16_64 0
		.amdhsa_float_denorm_mode_32 3
		.amdhsa_float_denorm_mode_16_64 3
		.amdhsa_dx10_clamp 1
		.amdhsa_ieee_mode 1
		.amdhsa_fp16_overflow 0
		.amdhsa_exception_fp_ieee_invalid_op 0
		.amdhsa_exception_fp_denorm_src 0
		.amdhsa_exception_fp_ieee_div_zero 0
		.amdhsa_exception_fp_ieee_overflow 0
		.amdhsa_exception_fp_ieee_underflow 0
		.amdhsa_exception_fp_ieee_inexact 0
		.amdhsa_exception_int_div_zero 0
	.end_amdhsa_kernel
	.section	.text._ZN4vllm25paged_attention_v1_kernelI14__hip_bfloat16S1_Li80ELi16ELi128ELNS_18Fp8KVCacheDataTypeE0ELb1EEEvPT_PKS3_PKT0_S9_ifPKiSB_iPKfiiiSD_SD_iiiii,"axG",@progbits,_ZN4vllm25paged_attention_v1_kernelI14__hip_bfloat16S1_Li80ELi16ELi128ELNS_18Fp8KVCacheDataTypeE0ELb1EEEvPT_PKS3_PKT0_S9_ifPKiSB_iPKfiiiSD_SD_iiiii,comdat
.Lfunc_end128:
	.size	_ZN4vllm25paged_attention_v1_kernelI14__hip_bfloat16S1_Li80ELi16ELi128ELNS_18Fp8KVCacheDataTypeE0ELb1EEEvPT_PKS3_PKT0_S9_ifPKiSB_iPKfiiiSD_SD_iiiii, .Lfunc_end128-_ZN4vllm25paged_attention_v1_kernelI14__hip_bfloat16S1_Li80ELi16ELi128ELNS_18Fp8KVCacheDataTypeE0ELb1EEEvPT_PKS3_PKT0_S9_ifPKiSB_iPKfiiiSD_SD_iiiii
                                        ; -- End function
	.set _ZN4vllm25paged_attention_v1_kernelI14__hip_bfloat16S1_Li80ELi16ELi128ELNS_18Fp8KVCacheDataTypeE0ELb1EEEvPT_PKS3_PKT0_S9_ifPKiSB_iPKfiiiSD_SD_iiiii.num_vgpr, 63
	.set _ZN4vllm25paged_attention_v1_kernelI14__hip_bfloat16S1_Li80ELi16ELi128ELNS_18Fp8KVCacheDataTypeE0ELb1EEEvPT_PKS3_PKT0_S9_ifPKiSB_iPKfiiiSD_SD_iiiii.num_agpr, 0
	.set _ZN4vllm25paged_attention_v1_kernelI14__hip_bfloat16S1_Li80ELi16ELi128ELNS_18Fp8KVCacheDataTypeE0ELb1EEEvPT_PKS3_PKT0_S9_ifPKiSB_iPKfiiiSD_SD_iiiii.numbered_sgpr, 44
	.set _ZN4vllm25paged_attention_v1_kernelI14__hip_bfloat16S1_Li80ELi16ELi128ELNS_18Fp8KVCacheDataTypeE0ELb1EEEvPT_PKS3_PKT0_S9_ifPKiSB_iPKfiiiSD_SD_iiiii.num_named_barrier, 0
	.set _ZN4vllm25paged_attention_v1_kernelI14__hip_bfloat16S1_Li80ELi16ELi128ELNS_18Fp8KVCacheDataTypeE0ELb1EEEvPT_PKS3_PKT0_S9_ifPKiSB_iPKfiiiSD_SD_iiiii.private_seg_size, 0
	.set _ZN4vllm25paged_attention_v1_kernelI14__hip_bfloat16S1_Li80ELi16ELi128ELNS_18Fp8KVCacheDataTypeE0ELb1EEEvPT_PKS3_PKT0_S9_ifPKiSB_iPKfiiiSD_SD_iiiii.uses_vcc, 1
	.set _ZN4vllm25paged_attention_v1_kernelI14__hip_bfloat16S1_Li80ELi16ELi128ELNS_18Fp8KVCacheDataTypeE0ELb1EEEvPT_PKS3_PKT0_S9_ifPKiSB_iPKfiiiSD_SD_iiiii.uses_flat_scratch, 0
	.set _ZN4vllm25paged_attention_v1_kernelI14__hip_bfloat16S1_Li80ELi16ELi128ELNS_18Fp8KVCacheDataTypeE0ELb1EEEvPT_PKS3_PKT0_S9_ifPKiSB_iPKfiiiSD_SD_iiiii.has_dyn_sized_stack, 0
	.set _ZN4vllm25paged_attention_v1_kernelI14__hip_bfloat16S1_Li80ELi16ELi128ELNS_18Fp8KVCacheDataTypeE0ELb1EEEvPT_PKS3_PKT0_S9_ifPKiSB_iPKfiiiSD_SD_iiiii.has_recursion, 0
	.set _ZN4vllm25paged_attention_v1_kernelI14__hip_bfloat16S1_Li80ELi16ELi128ELNS_18Fp8KVCacheDataTypeE0ELb1EEEvPT_PKS3_PKT0_S9_ifPKiSB_iPKfiiiSD_SD_iiiii.has_indirect_call, 0
	.section	.AMDGPU.csdata,"",@progbits
; Kernel info:
; codeLenInByte = 6324
; TotalNumSgprs: 48
; NumVgprs: 63
; ScratchSize: 0
; MemoryBound: 0
; FloatMode: 240
; IeeeMode: 1
; LDSByteSize: 176 bytes/workgroup (compile time only)
; SGPRBlocks: 5
; VGPRBlocks: 15
; NumSGPRsForWavesPerEU: 48
; NumVGPRsForWavesPerEU: 63
; Occupancy: 4
; WaveLimiterHint : 1
; COMPUTE_PGM_RSRC2:SCRATCH_EN: 0
; COMPUTE_PGM_RSRC2:USER_SGPR: 6
; COMPUTE_PGM_RSRC2:TRAP_HANDLER: 0
; COMPUTE_PGM_RSRC2:TGID_X_EN: 1
; COMPUTE_PGM_RSRC2:TGID_Y_EN: 1
; COMPUTE_PGM_RSRC2:TGID_Z_EN: 1
; COMPUTE_PGM_RSRC2:TIDIG_COMP_CNT: 0
	.section	.text._ZN4vllm25paged_attention_v1_kernelI14__hip_bfloat16S1_Li96ELi16ELi128ELNS_18Fp8KVCacheDataTypeE0ELb1EEEvPT_PKS3_PKT0_S9_ifPKiSB_iPKfiiiSD_SD_iiiii,"axG",@progbits,_ZN4vllm25paged_attention_v1_kernelI14__hip_bfloat16S1_Li96ELi16ELi128ELNS_18Fp8KVCacheDataTypeE0ELb1EEEvPT_PKS3_PKT0_S9_ifPKiSB_iPKfiiiSD_SD_iiiii,comdat
	.protected	_ZN4vllm25paged_attention_v1_kernelI14__hip_bfloat16S1_Li96ELi16ELi128ELNS_18Fp8KVCacheDataTypeE0ELb1EEEvPT_PKS3_PKT0_S9_ifPKiSB_iPKfiiiSD_SD_iiiii ; -- Begin function _ZN4vllm25paged_attention_v1_kernelI14__hip_bfloat16S1_Li96ELi16ELi128ELNS_18Fp8KVCacheDataTypeE0ELb1EEEvPT_PKS3_PKT0_S9_ifPKiSB_iPKfiiiSD_SD_iiiii
	.globl	_ZN4vllm25paged_attention_v1_kernelI14__hip_bfloat16S1_Li96ELi16ELi128ELNS_18Fp8KVCacheDataTypeE0ELb1EEEvPT_PKS3_PKT0_S9_ifPKiSB_iPKfiiiSD_SD_iiiii
	.p2align	8
	.type	_ZN4vllm25paged_attention_v1_kernelI14__hip_bfloat16S1_Li96ELi16ELi128ELNS_18Fp8KVCacheDataTypeE0ELb1EEEvPT_PKS3_PKT0_S9_ifPKiSB_iPKfiiiSD_SD_iiiii,@function
_ZN4vllm25paged_attention_v1_kernelI14__hip_bfloat16S1_Li96ELi16ELi128ELNS_18Fp8KVCacheDataTypeE0ELb1EEEvPT_PKS3_PKT0_S9_ifPKiSB_iPKfiiiSD_SD_iiiii: ; @_ZN4vllm25paged_attention_v1_kernelI14__hip_bfloat16S1_Li96ELi16ELi128ELNS_18Fp8KVCacheDataTypeE0ELb1EEEvPT_PKS3_PKT0_S9_ifPKiSB_iPKfiiiSD_SD_iiiii
; %bb.0:
	s_load_dword s9, s[4:5], 0x80
	s_load_dwordx2 s[0:1], s[4:5], 0x30
	s_load_dwordx2 s[30:31], s[4:5], 0x20
	s_mov_b32 s10, s7
	s_ashr_i32 s11, s7, 31
	s_lshl_b64 s[2:3], s[10:11], 2
	s_waitcnt lgkmcnt(0)
	s_add_u32 s0, s0, s2
	s_addc_u32 s1, s1, s3
	s_abs_i32 s2, s30
	v_cvt_f32_u32_e32 v1, s2
	s_sub_i32 s11, 0, s2
	s_abs_i32 s7, s9
	s_xor_b32 s3, s9, s30
	v_rcp_iflag_f32_e32 v1, v1
	s_ashr_i32 s3, s3, 31
	s_mov_b32 s42, 0
	v_mul_f32_e32 v1, 0x4f7ffffe, v1
	v_cvt_u32_f32_e32 v1, v1
	v_readfirstlane_b32 s12, v1
	s_mul_i32 s11, s11, s12
	s_mul_hi_u32 s11, s12, s11
	s_add_i32 s12, s12, s11
	s_mul_hi_u32 s11, s7, s12
	s_mul_i32 s12, s11, s2
	s_sub_i32 s7, s7, s12
	s_add_i32 s12, s11, 1
	s_sub_i32 s13, s7, s2
	s_cmp_ge_u32 s7, s2
	s_cselect_b32 s11, s12, s11
	s_cselect_b32 s7, s13, s7
	s_add_i32 s12, s11, 1
	s_cmp_ge_u32 s7, s2
	s_cselect_b32 s2, s12, s11
	s_xor_b32 s2, s2, s3
	s_sub_i32 s12, s2, s3
	s_abs_i32 s11, s12
	v_cvt_f32_u32_e32 v1, s11
	s_load_dwordx2 s[2:3], s[4:5], 0x40
	s_sub_i32 s7, 0, s11
	s_abs_i32 s22, s6
	v_rcp_iflag_f32_e32 v1, v1
	v_mul_f32_e32 v1, 0x4f7ffffe, v1
	v_cvt_u32_f32_e32 v1, v1
	v_readfirstlane_b32 s13, v1
	s_mul_i32 s7, s7, s13
	s_mul_hi_u32 s7, s13, s7
	s_add_i32 s13, s13, s7
	s_waitcnt lgkmcnt(0)
	s_cmp_eq_u64 s[2:3], 0
	s_mul_hi_u32 s23, s22, s13
	s_cbranch_scc1 .LBB129_2
; %bb.1:
	s_ashr_i32 s7, s6, 31
	s_lshl_b64 s[14:15], s[6:7], 2
	s_add_u32 s2, s2, s14
	s_addc_u32 s3, s3, s15
	s_load_dword s42, s[2:3], 0x0
.LBB129_2:
	s_load_dword s33, s[0:1], 0x0
	s_ashr_i32 s7, s12, 31
	s_load_dwordx4 s[12:15], s[4:5], 0x48
	s_ashr_i32 s2, s6, 31
	v_and_b32_e32 v1, 3, v0
	s_mul_i32 s20, s6, 0x60
	v_cmp_gt_u32_e32 vcc, 48, v0
	v_lshlrev_b32_e32 v2, 2, v0
	s_and_saveexec_b64 s[0:1], vcc
	s_cbranch_execz .LBB129_4
; %bb.3:
	s_load_dwordx2 s[16:17], s[4:5], 0x8
	s_waitcnt lgkmcnt(0)
	s_mul_i32 s18, s12, s10
	s_ashr_i32 s19, s18, 31
	s_lshl_b64 s[18:19], s[18:19], 1
	v_and_b32_e32 v4, 0x3fc, v0
	s_add_u32 s3, s16, s18
	s_addc_u32 s12, s17, s19
	s_ashr_i32 s21, s20, 31
	s_lshl_b64 s[16:17], s[20:21], 1
	s_add_u32 s16, s3, s16
	s_addc_u32 s17, s12, s17
	global_load_dword v3, v2, s[16:17]
	v_mad_u32_u24 v4, v1, 48, v4
	s_waitcnt vmcnt(0)
	ds_write_b32 v4, v3
.LBB129_4:
	s_or_b64 exec, exec, s[0:1]
	s_mul_i32 s1, s23, s11
	s_sub_i32 s1, s22, s1
	s_xor_b32 s0, s2, s7
	s_add_i32 s2, s23, 1
	s_sub_i32 s7, s1, s11
	s_load_dwordx4 s[16:19], s[4:5], 0x68
	s_load_dword s3, s[4:5], 0x78
	s_cmp_ge_u32 s1, s11
	s_cselect_b32 s2, s2, s23
	s_cselect_b32 s1, s7, s1
	s_add_i32 s7, s2, 1
	s_cmp_ge_u32 s1, s11
	s_cselect_b32 s1, s7, s2
	s_waitcnt lgkmcnt(0)
	s_abs_i32 s21, s19
	v_cvt_f32_u32_e32 v3, s21
	s_xor_b32 s1, s1, s0
	s_sub_i32 s2, s1, s0
	s_sub_i32 s0, 0, s21
	v_rcp_iflag_f32_e32 v3, v3
	s_add_i32 s11, s33, -1
	s_abs_i32 s7, s11
	v_mul_f32_e32 v3, 0x4f7ffffe, v3
	v_cvt_u32_f32_e32 v3, v3
	s_barrier
	v_readfirstlane_b32 s40, v3
	s_mul_i32 s0, s0, s40
	s_mul_hi_u32 s0, s40, s0
	s_add_i32 s40, s40, s0
	s_cmp_lt_i32 s3, 0
	s_mul_hi_u32 s12, s7, s40
	s_cbranch_scc0 .LBB129_6
; %bb.5:
	s_mul_i32 s0, s16, s30
	s_add_i32 s0, s2, s0
	s_mul_i32 s0, s0, s3
	s_sub_i32 s41, 1, s0
	s_mov_b64 s[0:1], 0
	s_branch .LBB129_7
.LBB129_6:
	s_mov_b64 s[0:1], -1
                                        ; implicit-def: $sgpr41
.LBB129_7:
	s_load_dwordx2 s[24:25], s[4:5], 0x28
	s_ashr_i32 s15, s11, 31
	s_andn2_b64 vcc, exec, s[0:1]
	s_ashr_i32 s19, s19, 31
	s_cbranch_vccnz .LBB129_9
; %bb.8:
	s_mul_i32 s0, s9, s16
	s_add_i32 s0, s0, s6
	s_mul_i32 s0, s0, s3
	s_add_i32 s41, s0, 1
.LBB129_9:
	s_load_dword s0, s[4:5], 0x38
	s_load_dwordx2 s[22:23], s[4:5], 0x0
	s_load_dwordx2 s[28:29], s[4:5], 0x18
	s_load_dword s11, s[4:5], 0x88
	s_xor_b32 s1, s15, s19
	s_waitcnt lgkmcnt(0)
	s_mul_i32 s26, s0, s10
	s_mul_i32 s0, s12, s21
	s_sub_i32 s0, s7, s0
	s_ashr_i32 s27, s26, 31
	s_add_i32 s3, s12, 1
	s_sub_i32 s6, s0, s21
	s_cmp_ge_u32 s0, s21
	s_cselect_b32 s3, s3, s12
	s_cselect_b32 s0, s6, s0
	s_add_i32 s6, s3, 1
	s_cmp_ge_u32 s0, s21
	s_cselect_b32 s0, s6, s3
	s_xor_b32 s0, s0, s1
	s_sub_i32 s12, s0, s1
	s_add_i32 s0, s33, 15
	s_ashr_i32 s1, s0, 31
	s_lshr_b32 s1, s1, 28
	s_add_i32 s0, s0, s1
	s_ashr_i32 s16, s0, 4
	v_lshrrev_b32_e32 v23, 6, v0
	v_cmp_gt_i32_e64 s[0:1], s16, v23
	v_mov_b32_e32 v8, 0xff7fffff
	s_mul_i32 s14, s2, s14
	v_lshrrev_b32_e32 v3, 4, v0
	v_lshlrev_b32_e32 v24, 4, v23
	v_mbcnt_lo_u32_b32 v4, -1, 0
	s_and_saveexec_b64 s[34:35], s[0:1]
	s_cbranch_execz .LBB129_21
; %bb.10:
	s_load_dwordx2 s[2:3], s[4:5], 0x10
	s_ashr_i32 s15, s14, 31
	s_sub_i32 s30, s12, s17
	s_lshl_b64 s[4:5], s[14:15], 1
	v_and_b32_e32 v2, 12, v2
	s_waitcnt lgkmcnt(0)
	s_add_u32 s2, s2, s4
	s_addc_u32 s3, s3, s5
	s_abs_i32 s15, s18
	v_cvt_f32_u32_e32 v5, s15
	v_mov_b32_e32 v7, s3
	s_sub_i32 s3, 0, s15
	s_lshl_b64 s[4:5], s[26:27], 2
	v_rcp_iflag_f32_e32 v6, v5
	v_bfe_u32 v5, v0, 2, 4
	s_add_u32 s4, s24, s4
	v_cmp_eq_u32_e32 vcc, 0, v1
	v_mul_f32_e32 v6, 0x4f7ffffe, v6
	v_cvt_u32_f32_e32 v8, v6
	v_lshlrev_b32_e32 v6, 4, v5
	s_addc_u32 s5, s25, s5
	v_mbcnt_hi_u32_b32 v15, -1, v4
	v_mul_lo_u32 v9, s3, v8
	v_add_co_u32_e64 v6, s[2:3], s2, v6
	v_addc_co_u32_e64 v7, s[2:3], 0, v7, s[2:3]
	v_mul_hi_u32 v10, v8, v9
	v_add_co_u32_e64 v6, s[2:3], v6, v2
	v_mul_u32_u24_e32 v9, 48, v1
	v_add_u32_e32 v10, v8, v10
	v_subrev_u32_e32 v8, s33, v5
	v_add_u32_e32 v12, 1, v8
	v_lshlrev_b32_e32 v8, 2, v5
	v_and_b32_e32 v1, 60, v3
	v_lshl_or_b32 v8, v23, 6, v8
	v_addc_co_u32_e64 v7, s[2:3], 0, v7, s[2:3]
	v_mov_b32_e32 v2, s5
	v_add_co_u32_e64 v1, s[4:5], s4, v1
	v_add_u32_e32 v13, 0xd0, v8
	v_and_b32_e32 v8, 64, v15
	s_mov_b32 s43, s13
	v_cmp_neq_f32_e64 s[2:3], s42, 0
	v_addc_co_u32_e64 v2, s[4:5], 0, v2, s[4:5]
	v_lshlrev_b32_e32 v11, 4, v23
	v_mov_b32_e32 v14, 0xff7fffff
	s_mov_b64 s[36:37], 0
	v_add_u32_e32 v16, 64, v8
	v_xor_b32_e32 v17, 2, v15
	v_xor_b32_e32 v18, 1, v15
	v_mov_b32_e32 v8, 0xff7fffff
	v_mov_b32_e32 v19, v23
	s_branch .LBB129_13
.LBB129_11:                             ;   in Loop: Header=BB129_13 Depth=1
	s_or_b64 exec, exec, s[38:39]
.LBB129_12:                             ;   in Loop: Header=BB129_13 Depth=1
	s_or_b64 exec, exec, s[6:7]
	v_add_co_u32_e64 v1, s[4:5], 8, v1
	v_add_u32_e32 v19, 2, v19
	v_addc_co_u32_e64 v2, s[4:5], 0, v2, s[4:5]
	v_cmp_le_i32_e64 s[4:5], s16, v19
	v_add_u32_e32 v11, 32, v11
	s_or_b64 s[36:37], s[4:5], s[36:37]
	v_add_u32_e32 v13, 0x80, v13
	s_andn2_b64 exec, exec, s[36:37]
	s_cbranch_execz .LBB129_20
.LBB129_13:                             ; =>This Inner Loop Header: Depth=1
	v_mul_hi_u32 v20, v11, s40
	s_waitcnt lgkmcnt(0)
	v_mul_lo_u32 v21, v20, s21
	v_add_u32_e32 v22, 1, v20
	v_sub_u32_e32 v21, v11, v21
	v_cmp_le_u32_e64 s[4:5], s21, v21
	v_cndmask_b32_e64 v20, v20, v22, s[4:5]
	v_subrev_u32_e32 v22, s21, v21
	v_cndmask_b32_e64 v21, v21, v22, s[4:5]
	v_add_u32_e32 v22, 1, v20
	v_cmp_le_u32_e64 s[4:5], s21, v21
	v_cndmask_b32_e64 v20, v20, v22, s[4:5]
	v_xor_b32_e32 v20, s19, v20
	v_subrev_u32_e32 v20, s19, v20
	v_add_u32_e32 v21, s41, v20
	v_sub_u32_e32 v22, 0, v21
	v_max_i32_e32 v22, v21, v22
	v_mul_hi_u32 v25, v22, v10
	v_ashrrev_i32_e32 v21, 31, v21
	v_cmp_ge_i32_e64 s[6:7], s30, v20
	v_mul_lo_u32 v25, v25, s15
	v_sub_u32_e32 v22, v22, v25
	v_subrev_u32_e32 v25, s15, v22
	v_cmp_le_u32_e64 s[4:5], s15, v22
	v_cndmask_b32_e64 v22, v22, v25, s[4:5]
	v_subrev_u32_e32 v25, s15, v22
	v_cmp_le_u32_e64 s[4:5], s15, v22
	v_cndmask_b32_e64 v22, v22, v25, s[4:5]
	v_xor_b32_e32 v22, v22, v21
	v_sub_u32_e32 v21, v22, v21
	v_cmp_ne_u32_e64 s[4:5], 0, v21
	s_and_b64 s[4:5], s[4:5], s[6:7]
	s_and_saveexec_b64 s[6:7], s[4:5]
	s_xor_b64 s[4:5], exec, s[6:7]
	s_cbranch_execz .LBB129_17
; %bb.14:                               ;   in Loop: Header=BB129_13 Depth=1
	s_and_saveexec_b64 s[6:7], vcc
; %bb.15:                               ;   in Loop: Header=BB129_13 Depth=1
	ds_write_b32 v13, v14
; %bb.16:                               ;   in Loop: Header=BB129_13 Depth=1
	s_or_b64 exec, exec, s[6:7]
.LBB129_17:                             ;   in Loop: Header=BB129_13 Depth=1
	s_andn2_saveexec_b64 s[6:7], s[4:5]
	s_cbranch_execz .LBB129_12
; %bb.18:                               ;   in Loop: Header=BB129_13 Depth=1
	global_load_dword v36, v[1:2], off
	ds_read_b128 v[25:28], v9
	ds_read_b128 v[29:32], v9 offset:16
	ds_read_b128 v[41:44], v9 offset:32
	s_waitcnt lgkmcnt(2)
	v_lshlrev_b32_e32 v46, 16, v27
	v_lshlrev_b32_e32 v47, 16, v28
	v_and_b32_e32 v50, 0xffff0000, v27
	v_and_b32_e32 v40, 0xffff0000, v28
	s_waitcnt lgkmcnt(1)
	v_lshlrev_b32_e32 v38, 16, v29
	v_lshlrev_b32_e32 v21, 16, v32
	v_and_b32_e32 v37, 0xffff0000, v29
	v_and_b32_e32 v29, 0xffff0000, v32
	;; [unrolled: 5-line block ×3, first 2 shown]
	v_lshlrev_b32_e32 v39, 16, v25
	v_and_b32_e32 v48, 0xffff0000, v25
	v_lshlrev_b32_e32 v35, 16, v30
	v_lshlrev_b32_e32 v22, 16, v31
	v_and_b32_e32 v34, 0xffff0000, v30
	v_and_b32_e32 v30, 0xffff0000, v31
	v_lshlrev_b32_e32 v25, 16, v43
	v_and_b32_e32 v31, 0xffff0000, v43
	v_lshlrev_b32_e32 v45, 16, v26
	;; [unrolled: 2-line block ×3, first 2 shown]
	v_and_b32_e32 v26, 0xffff0000, v44
	s_waitcnt vmcnt(0)
	v_mad_i64_i32 v[41:42], s[4:5], v36, s43, 0
	v_lshlrev_b64 v[41:42], 1, v[41:42]
	v_add_co_u32_e64 v41, s[4:5], v6, v41
	v_addc_co_u32_e64 v42, s[4:5], v7, v42, s[4:5]
	global_load_dword v43, v[41:42], off offset:256
	global_load_dword v44, v[41:42], off
	v_cmp_lt_i32_e64 s[4:5], v17, v16
	s_waitcnt vmcnt(1)
	v_lshlrev_b32_e32 v36, 16, v43
	v_mul_f32_e32 v36, v45, v36
	s_waitcnt vmcnt(0)
	v_lshlrev_b32_e32 v45, 16, v44
	v_fmac_f32_e32 v36, v39, v45
	global_load_dword v45, v[41:42], off offset:512
	v_and_b32_e32 v39, 0xffff0000, v43
	global_load_dword v43, v[41:42], off offset:768
	v_mul_f32_e32 v39, v49, v39
	v_and_b32_e32 v44, 0xffff0000, v44
	v_fmac_f32_e32 v39, v48, v44
	global_load_dword v44, v[41:42], off offset:1024
	s_waitcnt vmcnt(2)
	v_lshlrev_b32_e32 v48, 16, v45
	v_fmac_f32_e32 v36, v46, v48
	global_load_dword v46, v[41:42], off offset:1280
	global_load_dword v48, v[41:42], off offset:1536
	v_and_b32_e32 v45, 0xffff0000, v45
	v_fmac_f32_e32 v39, v50, v45
	global_load_dword v45, v[41:42], off offset:1792
	s_waitcnt vmcnt(4)
	v_lshlrev_b32_e32 v49, 16, v43
	v_fmac_f32_e32 v36, v47, v49
	global_load_dword v47, v[41:42], off offset:2048
	global_load_dword v49, v[41:42], off offset:2304
	;; [unrolled: 1-line block ×3, first 2 shown]
	s_nop 0
	global_load_dword v41, v[41:42], off offset:2816
	v_and_b32_e32 v42, 0xffff0000, v43
	v_fmac_f32_e32 v39, v40, v42
	s_waitcnt vmcnt(7)
	v_lshlrev_b32_e32 v42, 16, v44
	v_and_b32_e32 v43, 0xffff0000, v44
	v_fmac_f32_e32 v36, v38, v42
	v_fmac_f32_e32 v39, v37, v43
	v_cndmask_b32_e64 v40, v15, v17, s[4:5]
	v_lshlrev_b32_e32 v40, 2, v40
	v_cmp_lt_i32_e64 s[4:5], v18, v16
	s_waitcnt vmcnt(6)
	v_lshlrev_b32_e32 v38, 16, v46
	v_and_b32_e32 v42, 0xffff0000, v46
	s_waitcnt vmcnt(5)
	v_lshlrev_b32_e32 v44, 16, v48
	v_and_b32_e32 v46, 0xffff0000, v48
	v_fmac_f32_e32 v36, v35, v38
	v_fmac_f32_e32 v39, v34, v42
	s_waitcnt vmcnt(4)
	v_lshlrev_b32_e32 v37, 16, v45
	v_and_b32_e32 v43, 0xffff0000, v45
	v_fmac_f32_e32 v36, v22, v44
	v_fmac_f32_e32 v39, v30, v46
	;; [unrolled: 5-line block ×6, first 2 shown]
	v_fmac_f32_e32 v36, v20, v34
	v_fmac_f32_e32 v39, v26, v41
	v_add_f32_e32 v20, v36, v39
	ds_bpermute_b32 v21, v40, v20
	v_cndmask_b32_e64 v22, v15, v18, s[4:5]
	v_lshlrev_b32_e32 v22, 2, v22
	s_waitcnt lgkmcnt(0)
	v_add_f32_e32 v20, v20, v21
	ds_bpermute_b32 v21, v22, v20
	s_and_saveexec_b64 s[38:39], vcc
	s_cbranch_execz .LBB129_11
; %bb.19:                               ;   in Loop: Header=BB129_13 Depth=1
	v_add_u32_e32 v22, v12, v11
	v_cvt_f32_i32_e32 v22, v22
	s_waitcnt lgkmcnt(0)
	v_add_f32_e32 v20, v20, v21
	v_add_u32_e32 v25, v5, v11
	v_cmp_gt_i32_e64 s[4:5], s33, v25
	v_mul_f32_e32 v21, s42, v22
	v_cndmask_b32_e64 v21, 0, v21, s[2:3]
	v_fmac_f32_e32 v21, s31, v20
	v_cndmask_b32_e64 v20, 0, v21, s[4:5]
	ds_write_b32 v13, v20
	v_max_f32_e32 v20, v8, v8
	v_max_f32_e32 v20, v20, v21
	v_cndmask_b32_e64 v8, v8, v20, s[4:5]
	s_branch .LBB129_11
.LBB129_20:
	s_or_b64 exec, exec, s[36:37]
.LBB129_21:
	s_or_b64 exec, exec, s[34:35]
	v_mbcnt_hi_u32_b32 v1, -1, v4
	v_and_b32_e32 v10, 64, v1
	v_add_u32_e32 v2, 64, v10
	v_xor_b32_e32 v4, 32, v1
	v_cmp_lt_i32_e32 vcc, v4, v2
	v_cndmask_b32_e32 v4, v1, v4, vcc
	v_lshlrev_b32_e32 v4, 2, v4
	ds_bpermute_b32 v5, v4, v8
	v_xor_b32_e32 v7, 16, v1
	v_max_f32_e32 v6, v8, v8
	v_cmp_lt_i32_e32 vcc, v7, v2
	v_xor_b32_e32 v8, 8, v1
	s_waitcnt lgkmcnt(0)
	v_max_f32_e32 v5, v5, v5
	v_max_f32_e32 v6, v6, v5
	v_cndmask_b32_e32 v5, v1, v7, vcc
	v_lshlrev_b32_e32 v5, 2, v5
	ds_bpermute_b32 v7, v5, v6
	v_cmp_lt_i32_e32 vcc, v8, v2
	v_xor_b32_e32 v9, 4, v1
	v_and_b32_e32 v25, 63, v0
	s_waitcnt lgkmcnt(0)
	v_max_f32_e32 v7, v7, v7
	v_max_f32_e32 v6, v6, v7
	v_cndmask_b32_e32 v7, v1, v8, vcc
	v_lshlrev_b32_e32 v8, 2, v7
	ds_bpermute_b32 v7, v8, v6
	v_cmp_lt_i32_e32 vcc, v9, v2
	s_waitcnt lgkmcnt(0)
	v_max_f32_e32 v7, v7, v7
	v_max_f32_e32 v7, v6, v7
	v_cndmask_b32_e32 v6, v1, v9, vcc
	v_lshlrev_b32_e32 v9, 2, v6
	ds_bpermute_b32 v11, v9, v7
	v_cmp_eq_u32_e32 vcc, 0, v25
	v_lshlrev_b32_e32 v6, 2, v23
	s_and_saveexec_b64 s[2:3], vcc
	s_cbranch_execz .LBB129_23
; %bb.22:
	s_waitcnt lgkmcnt(0)
	v_max_f32_e32 v11, v11, v11
	v_max_f32_e32 v7, v7, v7
	;; [unrolled: 1-line block ×3, first 2 shown]
	ds_write_b32 v6, v7 offset:192
.LBB129_23:
	s_or_b64 exec, exec, s[2:3]
	v_cmp_gt_u32_e64 s[2:3], 2, v25
	s_waitcnt lgkmcnt(0)
	v_mov_b32_e32 v11, 0xff7fffff
	v_lshlrev_b32_e32 v7, 2, v25
	s_barrier
	s_and_saveexec_b64 s[4:5], s[2:3]
; %bb.24:
	ds_read_b32 v11, v7 offset:192
; %bb.25:
	s_or_b64 exec, exec, s[4:5]
	v_xor_b32_e32 v12, 1, v1
	v_cmp_lt_i32_e64 s[4:5], v12, v2
	v_cndmask_b32_e64 v12, v1, v12, s[4:5]
	v_lshlrev_b32_e32 v26, 2, v12
	s_waitcnt lgkmcnt(0)
	ds_bpermute_b32 v12, v26, v11
	v_max_f32_e32 v11, v11, v11
	v_lshlrev_b32_e32 v10, 2, v10
	s_lshl_b32 s4, s16, 4
	s_min_i32 s15, s4, s33
	s_waitcnt lgkmcnt(0)
	v_max_f32_e32 v12, v12, v12
	v_max_f32_e32 v11, v11, v12
	ds_bpermute_b32 v11, v10, v11
	v_cmp_gt_i32_e64 s[4:5], s15, v0
	v_mov_b32_e32 v10, 0
	s_and_saveexec_b64 s[30:31], s[4:5]
	s_cbranch_execz .LBB129_29
; %bb.26:
	v_mov_b32_e32 v10, 0xd0
	v_lshl_add_u32 v12, v0, 2, v10
	v_mov_b32_e32 v10, 0
	s_mov_b64 s[34:35], 0
	v_mov_b32_e32 v13, v0
.LBB129_27:                             ; =>This Inner Loop Header: Depth=1
	ds_read_b32 v14, v12
	v_add_u32_e32 v13, 0x80, v13
	v_cmp_le_i32_e64 s[6:7], s15, v13
	s_or_b64 s[34:35], s[6:7], s[34:35]
	s_waitcnt lgkmcnt(0)
	v_sub_f32_e32 v14, v14, v11
	v_mul_f32_e32 v14, 0x3fb8aa3b, v14
	v_exp_f32_e32 v14, v14
	ds_write_b32 v12, v14
	v_add_f32_e32 v10, v10, v14
	v_add_u32_e32 v12, 0x200, v12
	s_andn2_b64 exec, exec, s[34:35]
	s_cbranch_execnz .LBB129_27
; %bb.28:
	s_or_b64 exec, exec, s[34:35]
.LBB129_29:
	s_or_b64 exec, exec, s[30:31]
	ds_bpermute_b32 v4, v4, v10
	s_waitcnt lgkmcnt(0)
	v_add_f32_e32 v4, v10, v4
	ds_bpermute_b32 v5, v5, v4
	s_waitcnt lgkmcnt(0)
	v_add_f32_e32 v4, v4, v5
	ds_bpermute_b32 v5, v8, v4
	v_xor_b32_e32 v8, 2, v1
	v_cmp_lt_i32_e64 s[6:7], v8, v2
	v_cndmask_b32_e64 v2, v1, v8, s[6:7]
	v_lshlrev_b32_e32 v2, 2, v2
	s_waitcnt lgkmcnt(0)
	v_add_f32_e32 v4, v4, v5
	ds_bpermute_b32 v5, v9, v4
	s_waitcnt lgkmcnt(0)
	v_add_f32_e32 v4, v4, v5
	ds_bpermute_b32 v2, v2, v4
	;; [unrolled: 3-line block ×3, first 2 shown]
	s_waitcnt lgkmcnt(0)
	v_add_f32_e32 v2, v2, v4
	s_and_saveexec_b64 s[6:7], vcc
; %bb.30:
	ds_write_b32 v6, v2 offset:200
; %bb.31:
	s_or_b64 exec, exec, s[6:7]
	s_waitcnt lgkmcnt(0)
	s_barrier
	s_and_saveexec_b64 s[6:7], s[2:3]
; %bb.32:
	ds_read_b32 v2, v7 offset:200
; %bb.33:
	s_or_b64 exec, exec, s[6:7]
	s_waitcnt lgkmcnt(0)
	ds_bpermute_b32 v4, v26, v2
	v_lshlrev_b32_e32 v1, 2, v1
	v_and_b32_e32 v1, 0x100, v1
	s_waitcnt lgkmcnt(0)
	v_add_f32_e32 v2, v2, v4
	ds_bpermute_b32 v1, v1, v2
	s_and_saveexec_b64 s[2:3], s[4:5]
	s_cbranch_execz .LBB129_36
; %bb.34:
	s_waitcnt lgkmcnt(0)
	v_add_f32_e32 v2, 0x358637bd, v1
	v_div_scale_f32 v1, s[4:5], v2, v2, 1.0
	v_div_scale_f32 v4, vcc, 1.0, v2, 1.0
	s_mov_b64 s[4:5], 0
	v_rcp_f32_e32 v5, v1
	v_fma_f32 v6, -v1, v5, 1.0
	v_fmac_f32_e32 v5, v6, v5
	v_mul_f32_e32 v6, v4, v5
	v_fma_f32 v7, -v1, v6, v4
	v_fmac_f32_e32 v6, v7, v5
	v_fma_f32 v1, -v1, v6, v4
	v_div_fmas_f32 v4, v1, v5, v6
	v_mov_b32_e32 v1, 0xd0
	v_lshl_add_u32 v1, v0, 2, v1
	v_div_fixup_f32 v2, v4, v2, 1.0
	v_mov_b32_e32 v4, v0
.LBB129_35:                             ; =>This Inner Loop Header: Depth=1
	ds_read_b32 v5, v1
	v_add_u32_e32 v4, 0x80, v4
	v_cmp_le_i32_e32 vcc, s15, v4
	s_or_b64 s[4:5], vcc, s[4:5]
	s_waitcnt lgkmcnt(0)
	v_mul_f32_e32 v5, v2, v5
	ds_write_b32 v1, v5
	v_add_u32_e32 v1, 0x200, v1
	s_andn2_b64 exec, exec, s[4:5]
	s_cbranch_execnz .LBB129_35
.LBB129_36:
	s_or_b64 exec, exec, s[2:3]
	v_mov_b32_e32 v31, 0
	v_and_b32_e32 v27, 1, v0
	v_mov_b32_e32 v32, 0
	v_mov_b32_e32 v30, 0
	s_waitcnt lgkmcnt(0)
	s_barrier
	s_and_saveexec_b64 s[4:5], s[0:1]
	s_cbranch_execz .LBB129_48
; %bb.37:
	s_ashr_i32 s15, s14, 31
	s_sub_i32 s17, s12, s17
	s_lshl_b64 s[0:1], s[14:15], 1
	s_add_u32 s0, s28, s0
	s_addc_u32 s1, s29, s1
	s_abs_i32 s18, s18
	v_cvt_f32_u32_e32 v1, s18
	v_lshlrev_b32_e32 v2, 3, v0
	s_sub_i32 s2, 0, s18
	v_and_b32_e32 v29, 8, v2
	v_rcp_iflag_f32_e32 v1, v1
	v_lshlrev_b32_e32 v4, 4, v0
	v_and_b32_e32 v4, 0x3f0, v4
	s_add_i32 s29, s16, -1
	v_mul_f32_e32 v1, 0x4f7ffffe, v1
	v_cvt_u32_f32_e32 v1, v1
	v_mov_b32_e32 v5, s1
	v_add_co_u32_e32 v33, vcc, s0, v4
	v_mul_lo_u32 v2, s2, v1
	s_lshl_b64 s[0:1], s[26:27], 2
	v_addc_co_u32_e32 v34, vcc, 0, v5, vcc
	v_mul_hi_u32 v2, v1, v2
	s_add_u32 s0, s24, s0
	s_addc_u32 s1, s25, s1
	s_mov_b32 s28, s13
	v_add_u32_e32 v35, v1, v2
	v_and_b32_e32 v1, 60, v3
	v_add_co_u32_e32 v21, vcc, s0, v1
	v_lshlrev_b32_e32 v1, 5, v27
	v_mov_b32_e32 v2, s1
	v_lshl_or_b32 v1, v23, 6, v1
	v_mov_b32_e32 v28, 0
	s_mov_b32 s30, s33
	v_addc_co_u32_e32 v22, vcc, 0, v2, vcc
	v_add_u32_e32 v36, 0xd0, v1
	s_mov_b64 s[6:7], 0
	s_mov_b32 s24, 0x5040100
	s_movk_i32 s25, 0x7fff
	v_mov_b32_e32 v30, 0
	v_mov_b32_e32 v32, 0
	;; [unrolled: 1-line block ×3, first 2 shown]
	s_branch .LBB129_40
.LBB129_38:                             ;   in Loop: Header=BB129_40 Depth=1
	s_or_b64 exec, exec, s[2:3]
	s_waitcnt lgkmcnt(1)
	v_bfe_u32 v37, v17, 16, 1
	v_add3_u32 v37, v37, v17, s25
	v_or_b32_e32 v38, 0x400000, v17
	v_cmp_u_f32_e32 vcc, v17, v17
	v_cndmask_b32_e32 v17, v37, v38, vcc
	v_bfe_u32 v37, v18, 16, 1
	v_add3_u32 v37, v37, v18, s25
	v_or_b32_e32 v38, 0x400000, v18
	v_cmp_u_f32_e32 vcc, v18, v18
	v_cndmask_b32_e32 v18, v37, v38, vcc
	;; [unrolled: 5-line block ×4, first 2 shown]
	s_waitcnt lgkmcnt(0)
	v_bfe_u32 v37, v9, 16, 1
	v_add3_u32 v37, v37, v9, s25
	v_or_b32_e32 v38, 0x400000, v9
	v_cmp_u_f32_e32 vcc, v9, v9
	v_bfe_u32 v9, v10, 16, 1
	v_cndmask_b32_e32 v37, v37, v38, vcc
	v_add3_u32 v9, v9, v10, s25
	v_or_b32_e32 v38, 0x400000, v10
	v_cmp_u_f32_e32 vcc, v10, v10
	v_cndmask_b32_e32 v38, v9, v38, vcc
	v_bfe_u32 v9, v11, 16, 1
	v_add3_u32 v9, v9, v11, s25
	v_or_b32_e32 v10, 0x400000, v11
	v_cmp_u_f32_e32 vcc, v11, v11
	v_cndmask_b32_e32 v39, v9, v10, vcc
	v_bfe_u32 v9, v12, 16, 1
	v_add3_u32 v9, v9, v12, s25
	v_or_b32_e32 v10, 0x400000, v12
	v_cmp_u_f32_e32 vcc, v12, v12
	v_cndmask_b32_e32 v12, v9, v10, vcc
	v_and_b32_e32 v9, 0xffff0000, v18
	s_waitcnt vmcnt(1)
	v_and_b32_e32 v10, 0xffff0000, v13
	v_mul_f32_e32 v10, v9, v10
	v_bfe_u32 v11, v10, 16, 1
	v_add3_u32 v11, v11, v10, s25
	v_or_b32_e32 v18, 0x400000, v10
	v_cmp_u_f32_e32 vcc, v10, v10
	v_and_b32_e32 v17, 0xffff0000, v17
	v_lshlrev_b32_e32 v10, 16, v13
	v_mul_f32_e32 v10, v17, v10
	v_cndmask_b32_e32 v18, v11, v18, vcc
	v_bfe_u32 v11, v10, 16, 1
	v_add3_u32 v11, v11, v10, s25
	v_or_b32_e32 v13, 0x400000, v10
	v_cmp_u_f32_e32 vcc, v10, v10
	v_cndmask_b32_e32 v40, v11, v13, vcc
	v_and_b32_e32 v10, 0xffff0000, v20
	v_and_b32_e32 v11, 0xffff0000, v14
	v_mul_f32_e32 v11, v10, v11
	v_bfe_u32 v13, v11, 16, 1
	v_add3_u32 v13, v13, v11, s25
	v_or_b32_e32 v20, 0x400000, v11
	v_cmp_u_f32_e32 vcc, v11, v11
	v_cndmask_b32_e32 v20, v13, v20, vcc
	v_and_b32_e32 v13, 0xffff0000, v19
	v_lshlrev_b32_e32 v11, 16, v14
	v_mul_f32_e32 v11, v13, v11
	v_bfe_u32 v14, v11, 16, 1
	v_add3_u32 v14, v14, v11, s25
	v_or_b32_e32 v19, 0x400000, v11
	v_cmp_u_f32_e32 vcc, v11, v11
	v_cndmask_b32_e32 v19, v14, v19, vcc
	v_and_b32_e32 v11, 0xffff0000, v38
	v_and_b32_e32 v14, 0xffff0000, v15
	v_mul_f32_e32 v14, v11, v14
	v_bfe_u32 v38, v14, 16, 1
	v_add3_u32 v38, v38, v14, s25
	v_or_b32_e32 v41, 0x400000, v14
	v_cmp_u_f32_e32 vcc, v14, v14
	v_and_b32_e32 v14, 0xffff0000, v37
	v_lshlrev_b32_e32 v15, 16, v15
	v_mul_f32_e32 v15, v14, v15
	v_bfe_u32 v37, v15, 16, 1
	v_cndmask_b32_e32 v38, v38, v41, vcc
	v_add3_u32 v37, v37, v15, s25
	v_or_b32_e32 v41, 0x400000, v15
	v_cmp_u_f32_e32 vcc, v15, v15
	v_and_b32_e32 v12, 0xffff0000, v12
	v_and_b32_e32 v15, 0xffff0000, v16
	v_mul_f32_e32 v15, v12, v15
	v_cndmask_b32_e32 v37, v37, v41, vcc
	v_bfe_u32 v41, v15, 16, 1
	v_add3_u32 v41, v41, v15, s25
	v_or_b32_e32 v42, 0x400000, v15
	v_cmp_u_f32_e32 vcc, v15, v15
	v_and_b32_e32 v15, 0xffff0000, v39
	v_lshlrev_b32_e32 v16, 16, v16
	v_mul_f32_e32 v16, v15, v16
	v_bfe_u32 v39, v16, 16, 1
	v_cndmask_b32_e32 v41, v41, v42, vcc
	v_add3_u32 v39, v39, v16, s25
	v_or_b32_e32 v42, 0x400000, v16
	v_cmp_u_f32_e32 vcc, v16, v16
	v_cndmask_b32_e32 v16, v39, v42, vcc
	v_and_b32_e32 v39, 0xffff0000, v40
	v_and_b32_e32 v18, 0xffff0000, v18
	;; [unrolled: 1-line block ×4, first 2 shown]
	v_add_f32_e32 v18, v39, v18
	v_add_f32_e32 v19, v19, v20
	;; [unrolled: 1-line block ×3, first 2 shown]
	v_and_b32_e32 v19, 0xffff0000, v37
	v_and_b32_e32 v20, 0xffff0000, v38
	v_add_f32_e32 v19, v19, v20
	v_add_f32_e32 v18, v19, v18
	v_and_b32_e32 v16, 0xffff0000, v16
	v_and_b32_e32 v19, 0xffff0000, v41
	v_add_f32_e32 v16, v16, v19
	v_add_f32_e32 v16, v16, v18
	;; [unrolled: 1-line block ×3, first 2 shown]
	v_and_b32_e32 v16, 0xffff0000, v1
	v_mul_f32_e32 v16, v9, v16
	v_bfe_u32 v18, v16, 16, 1
	v_lshlrev_b32_e32 v1, 16, v1
	v_add3_u32 v18, v18, v16, s25
	v_or_b32_e32 v19, 0x400000, v16
	v_cmp_u_f32_e32 vcc, v16, v16
	v_mul_f32_e32 v1, v17, v1
	v_cndmask_b32_e32 v16, v18, v19, vcc
	v_bfe_u32 v18, v1, 16, 1
	v_add3_u32 v18, v18, v1, s25
	v_or_b32_e32 v19, 0x400000, v1
	v_cmp_u_f32_e32 vcc, v1, v1
	v_cndmask_b32_e32 v1, v18, v19, vcc
	v_and_b32_e32 v18, 0xffff0000, v2
	v_mul_f32_e32 v18, v10, v18
	v_bfe_u32 v19, v18, 16, 1
	v_lshlrev_b32_e32 v2, 16, v2
	v_add3_u32 v19, v19, v18, s25
	v_or_b32_e32 v20, 0x400000, v18
	v_cmp_u_f32_e32 vcc, v18, v18
	v_mul_f32_e32 v2, v13, v2
	v_cndmask_b32_e32 v18, v19, v20, vcc
	v_bfe_u32 v19, v2, 16, 1
	v_add3_u32 v19, v19, v2, s25
	v_or_b32_e32 v20, 0x400000, v2
	v_cmp_u_f32_e32 vcc, v2, v2
	v_cndmask_b32_e32 v2, v19, v20, vcc
	;; [unrolled: 14-line block ×3, first 2 shown]
	v_and_b32_e32 v20, 0xffff0000, v4
	v_mul_f32_e32 v20, v12, v20
	v_bfe_u32 v37, v20, 16, 1
	v_lshlrev_b32_e32 v4, 16, v4
	v_and_b32_e32 v1, 0xffff0000, v1
	v_and_b32_e32 v16, 0xffff0000, v16
	v_add3_u32 v37, v37, v20, s25
	v_or_b32_e32 v38, 0x400000, v20
	v_cmp_u_f32_e32 vcc, v20, v20
	v_mul_f32_e32 v4, v15, v4
	v_add_f32_e32 v1, v1, v16
	v_and_b32_e32 v2, 0xffff0000, v2
	v_and_b32_e32 v16, 0xffff0000, v18
	v_cndmask_b32_e32 v20, v37, v38, vcc
	v_bfe_u32 v37, v4, 16, 1
	v_add_f32_e32 v2, v2, v16
	v_add3_u32 v37, v37, v4, s25
	v_or_b32_e32 v38, 0x400000, v4
	v_cmp_u_f32_e32 vcc, v4, v4
	v_add_f32_e32 v1, v2, v1
	v_and_b32_e32 v2, 0xffff0000, v3
	v_and_b32_e32 v3, 0xffff0000, v19
	v_cndmask_b32_e32 v4, v37, v38, vcc
	v_add_f32_e32 v2, v2, v3
	v_add_f32_e32 v1, v2, v1
	v_and_b32_e32 v2, 0xffff0000, v4
	v_and_b32_e32 v3, 0xffff0000, v20
	v_add_f32_e32 v2, v2, v3
	v_add_f32_e32 v1, v2, v1
	;; [unrolled: 1-line block ×3, first 2 shown]
	s_waitcnt vmcnt(0)
	v_lshlrev_b32_e32 v1, 16, v5
	v_mul_f32_e32 v1, v17, v1
	v_bfe_u32 v2, v1, 16, 1
	v_add3_u32 v2, v2, v1, s25
	v_or_b32_e32 v3, 0x400000, v1
	v_cmp_u_f32_e32 vcc, v1, v1
	v_cndmask_b32_e32 v1, v2, v3, vcc
	v_and_b32_e32 v2, 0xffff0000, v5
	v_mul_f32_e32 v2, v9, v2
	v_bfe_u32 v3, v2, 16, 1
	v_add3_u32 v3, v3, v2, s25
	v_or_b32_e32 v4, 0x400000, v2
	v_cmp_u_f32_e32 vcc, v2, v2
	v_cndmask_b32_e32 v2, v3, v4, vcc
	v_lshlrev_b32_e32 v3, 16, v6
	v_mul_f32_e32 v3, v13, v3
	v_bfe_u32 v4, v3, 16, 1
	v_add3_u32 v4, v4, v3, s25
	v_or_b32_e32 v5, 0x400000, v3
	v_cmp_u_f32_e32 vcc, v3, v3
	v_cndmask_b32_e32 v3, v4, v5, vcc
	v_and_b32_e32 v4, 0xffff0000, v6
	v_mul_f32_e32 v4, v10, v4
	v_bfe_u32 v5, v4, 16, 1
	v_add3_u32 v5, v5, v4, s25
	v_or_b32_e32 v6, 0x400000, v4
	v_cmp_u_f32_e32 vcc, v4, v4
	v_cndmask_b32_e32 v4, v5, v6, vcc
	;; [unrolled: 14-line block ×3, first 2 shown]
	v_lshlrev_b32_e32 v7, 16, v8
	v_mul_f32_e32 v7, v15, v7
	v_bfe_u32 v9, v7, 16, 1
	v_and_b32_e32 v8, 0xffff0000, v8
	v_and_b32_e32 v2, 0xffff0000, v2
	;; [unrolled: 1-line block ×3, first 2 shown]
	v_add3_u32 v9, v9, v7, s25
	v_or_b32_e32 v10, 0x400000, v7
	v_cmp_u_f32_e32 vcc, v7, v7
	v_mul_f32_e32 v8, v12, v8
	v_add_f32_e32 v1, v1, v2
	v_and_b32_e32 v2, 0xffff0000, v4
	v_and_b32_e32 v3, 0xffff0000, v3
	v_cndmask_b32_e32 v7, v9, v10, vcc
	v_bfe_u32 v9, v8, 16, 1
	v_add_f32_e32 v2, v3, v2
	v_add3_u32 v9, v9, v8, s25
	v_or_b32_e32 v10, 0x400000, v8
	v_cmp_u_f32_e32 vcc, v8, v8
	v_add_f32_e32 v1, v2, v1
	v_and_b32_e32 v2, 0xffff0000, v6
	v_and_b32_e32 v3, 0xffff0000, v5
	v_cndmask_b32_e32 v8, v9, v10, vcc
	v_add_f32_e32 v2, v3, v2
	v_add_f32_e32 v1, v2, v1
	v_and_b32_e32 v2, 0xffff0000, v8
	v_and_b32_e32 v3, 0xffff0000, v7
	v_add_f32_e32 v2, v3, v2
	v_add_f32_e32 v1, v2, v1
	;; [unrolled: 1-line block ×3, first 2 shown]
.LBB129_39:                             ;   in Loop: Header=BB129_40 Depth=1
	s_or_b64 exec, exec, s[12:13]
	v_add_co_u32_e32 v21, vcc, 8, v21
	v_add_u32_e32 v23, 2, v23
	v_addc_co_u32_e32 v22, vcc, 0, v22, vcc
	v_cmp_le_i32_e32 vcc, s16, v23
	v_add_u32_e32 v24, 32, v24
	s_or_b64 s[6:7], vcc, s[6:7]
	v_add_u32_e32 v36, 0x80, v36
	s_andn2_b64 exec, exec, s[6:7]
	s_cbranch_execz .LBB129_47
.LBB129_40:                             ; =>This Inner Loop Header: Depth=1
	v_mul_hi_u32 v1, v24, s40
	v_mul_lo_u32 v2, v1, s21
	v_add_u32_e32 v3, 1, v1
	v_sub_u32_e32 v2, v24, v2
	v_cmp_le_u32_e32 vcc, s21, v2
	v_cndmask_b32_e32 v1, v1, v3, vcc
	v_subrev_u32_e32 v3, s21, v2
	v_cndmask_b32_e32 v2, v2, v3, vcc
	v_add_u32_e32 v3, 1, v1
	v_cmp_le_u32_e32 vcc, s21, v2
	v_cndmask_b32_e32 v1, v1, v3, vcc
	v_xor_b32_e32 v1, s19, v1
	v_subrev_u32_e32 v1, s19, v1
	v_add_u32_e32 v2, s41, v1
	v_sub_u32_e32 v3, 0, v2
	v_max_i32_e32 v3, v2, v3
	v_mul_hi_u32 v4, v3, v35
	v_ashrrev_i32_e32 v2, 31, v2
	v_cmp_lt_i32_e64 s[0:1], s17, v1
	v_mul_lo_u32 v4, v4, s18
	v_sub_u32_e32 v3, v3, v4
	v_subrev_u32_e32 v4, s18, v3
	v_cmp_le_u32_e32 vcc, s18, v3
	v_cndmask_b32_e32 v3, v3, v4, vcc
	v_subrev_u32_e32 v4, s18, v3
	v_cmp_le_u32_e32 vcc, s18, v3
	v_cndmask_b32_e32 v3, v3, v4, vcc
	v_xor_b32_e32 v3, v3, v2
	v_sub_u32_e32 v2, v3, v2
	v_cmp_eq_u32_e32 vcc, 0, v2
	s_or_b64 s[0:1], vcc, s[0:1]
	s_and_saveexec_b64 s[12:13], s[0:1]
	s_cbranch_execz .LBB129_39
; %bb.41:                               ;   in Loop: Header=BB129_40 Depth=1
	global_load_dword v1, v[21:22], off
	v_add_u32_e32 v39, v29, v24
	v_add_u32_e32 v44, 1, v39
	v_or_b32_e32 v42, 3, v39
	v_or_b32_e32 v43, 2, v39
	;; [unrolled: 1-line block ×6, first 2 shown]
	s_waitcnt vmcnt(0)
	v_mad_i64_i32 v[1:2], s[0:1], v1, s28, 0
	v_cmp_eq_u32_e64 s[0:1], s29, v23
	v_lshlrev_b64 v[1:2], 1, v[1:2]
	v_add_co_u32_e32 v5, vcc, v33, v1
	v_addc_co_u32_e32 v6, vcc, v34, v2, vcc
	global_load_dwordx4 v[1:4], v[5:6], off
	ds_read2_b64 v[17:20], v36 offset1:1
	ds_read2_b64 v[9:12], v36 offset0:2 offset1:3
	s_and_saveexec_b64 s[14:15], s[0:1]
	s_cbranch_execnz .LBB129_44
; %bb.42:                               ;   in Loop: Header=BB129_40 Depth=1
	s_or_b64 exec, exec, s[14:15]
	global_load_dwordx4 v[13:16], v[5:6], off offset:1024
	s_and_saveexec_b64 s[14:15], s[0:1]
	s_cbranch_execnz .LBB129_45
.LBB129_43:                             ;   in Loop: Header=BB129_40 Depth=1
	s_or_b64 exec, exec, s[14:15]
	global_load_dwordx4 v[5:8], v[5:6], off offset:2048
	s_and_saveexec_b64 s[2:3], s[0:1]
	s_cbranch_execz .LBB129_38
	s_branch .LBB129_46
.LBB129_44:                             ;   in Loop: Header=BB129_40 Depth=1
	v_cmp_gt_i32_e32 vcc, s30, v44
	s_waitcnt vmcnt(0)
	v_cndmask_b32_sdwa v7, v28, v1, vcc dst_sel:DWORD dst_unused:UNUSED_PAD src0_sel:DWORD src1_sel:WORD_1
	v_cmp_gt_i32_e32 vcc, s33, v39
	v_cndmask_b32_e32 v1, 0, v1, vcc
	v_cmp_gt_i32_e32 vcc, s30, v42
	v_cmp_gt_i32_e64 s[2:3], s33, v43
	v_perm_b32 v1, v7, v1, s24
	v_cndmask_b32_e64 v7, 0, v2, s[2:3]
	v_cndmask_b32_sdwa v2, v28, v2, vcc dst_sel:DWORD dst_unused:UNUSED_PAD src0_sel:DWORD src1_sel:WORD_1
	v_cmp_gt_i32_e32 vcc, s30, v40
	v_cmp_gt_i32_e64 s[2:3], s33, v41
	v_perm_b32 v2, v2, v7, s24
	v_cndmask_b32_e64 v7, 0, v3, s[2:3]
	v_cndmask_b32_sdwa v3, v28, v3, vcc dst_sel:DWORD dst_unused:UNUSED_PAD src0_sel:DWORD src1_sel:WORD_1
	;; [unrolled: 5-line block ×3, first 2 shown]
	v_perm_b32 v4, v4, v7, s24
	s_or_b64 exec, exec, s[14:15]
	global_load_dwordx4 v[13:16], v[5:6], off offset:1024
	s_and_saveexec_b64 s[14:15], s[0:1]
	s_cbranch_execz .LBB129_43
.LBB129_45:                             ;   in Loop: Header=BB129_40 Depth=1
	v_cmp_gt_i32_e32 vcc, s30, v44
	s_waitcnt vmcnt(0)
	v_cndmask_b32_sdwa v7, v28, v13, vcc dst_sel:DWORD dst_unused:UNUSED_PAD src0_sel:DWORD src1_sel:WORD_1
	v_cmp_gt_i32_e32 vcc, s33, v39
	v_cndmask_b32_e32 v8, 0, v13, vcc
	v_cmp_gt_i32_e32 vcc, s30, v42
	v_cmp_gt_i32_e64 s[2:3], s33, v43
	v_perm_b32 v13, v7, v8, s24
	v_cndmask_b32_e64 v7, 0, v14, s[2:3]
	v_cndmask_b32_sdwa v8, v28, v14, vcc dst_sel:DWORD dst_unused:UNUSED_PAD src0_sel:DWORD src1_sel:WORD_1
	v_cmp_gt_i32_e32 vcc, s30, v40
	v_cmp_gt_i32_e64 s[2:3], s33, v41
	v_perm_b32 v14, v8, v7, s24
	v_cndmask_b32_e64 v7, 0, v15, s[2:3]
	v_cndmask_b32_sdwa v8, v28, v15, vcc dst_sel:DWORD dst_unused:UNUSED_PAD src0_sel:DWORD src1_sel:WORD_1
	;; [unrolled: 5-line block ×3, first 2 shown]
	v_perm_b32 v16, v8, v7, s24
	s_or_b64 exec, exec, s[14:15]
	global_load_dwordx4 v[5:8], v[5:6], off offset:2048
	s_and_saveexec_b64 s[2:3], s[0:1]
	s_cbranch_execz .LBB129_38
.LBB129_46:                             ;   in Loop: Header=BB129_40 Depth=1
	v_cmp_gt_i32_e32 vcc, s30, v44
	s_waitcnt vmcnt(0)
	v_cndmask_b32_sdwa v44, v28, v5, vcc dst_sel:DWORD dst_unused:UNUSED_PAD src0_sel:DWORD src1_sel:WORD_1
	v_cmp_gt_i32_e32 vcc, s33, v39
	v_cndmask_b32_e32 v5, 0, v5, vcc
	v_cmp_gt_i32_e32 vcc, s30, v42
	v_cmp_gt_i32_e64 s[0:1], s33, v43
	v_cndmask_b32_e64 v39, 0, v6, s[0:1]
	v_cndmask_b32_sdwa v6, v28, v6, vcc dst_sel:DWORD dst_unused:UNUSED_PAD src0_sel:DWORD src1_sel:WORD_1
	v_cmp_gt_i32_e32 vcc, s30, v40
	v_cmp_gt_i32_e64 s[0:1], s33, v41
	v_perm_b32 v6, v6, v39, s24
	v_cndmask_b32_e64 v39, 0, v7, s[0:1]
	v_cndmask_b32_sdwa v7, v28, v7, vcc dst_sel:DWORD dst_unused:UNUSED_PAD src0_sel:DWORD src1_sel:WORD_1
	v_cmp_gt_i32_e32 vcc, s30, v37
	v_cmp_gt_i32_e64 s[0:1], s33, v38
	v_cndmask_b32_e64 v37, 0, v8, s[0:1]
	v_cndmask_b32_sdwa v8, v28, v8, vcc dst_sel:DWORD dst_unused:UNUSED_PAD src0_sel:DWORD src1_sel:WORD_1
	v_perm_b32 v5, v44, v5, s24
	v_perm_b32 v7, v7, v39, s24
	;; [unrolled: 1-line block ×3, first 2 shown]
	s_branch .LBB129_38
.LBB129_47:
	s_or_b64 exec, exec, s[6:7]
.LBB129_48:
	s_or_b64 exec, exec, s[4:5]
	ds_bpermute_b32 v1, v26, v31
	ds_bpermute_b32 v4, v26, v30
	;; [unrolled: 1-line block ×3, first 2 shown]
	s_waitcnt lgkmcnt(0)
	s_barrier
	v_add_f32_e32 v3, v31, v1
	v_add_f32_e32 v1, v30, v4
	v_and_b32_e32 v4, 0x3c1, v0
	v_add_f32_e32 v2, v32, v2
	v_cmp_eq_u32_e32 vcc, 64, v4
	s_and_saveexec_b64 s[0:1], vcc
	s_cbranch_execz .LBB129_50
; %bb.49:
	v_mov_b32_e32 v5, 0xd0
	v_lshl_add_u32 v5, v25, 1, v5
	ds_write2_b32 v5, v3, v2 offset1:32
	ds_write_b32 v5, v1 offset:256
.LBB129_50:
	s_or_b64 exec, exec, s[0:1]
	v_cmp_gt_u32_e32 vcc, 64, v0
	v_lshrrev_b32_e32 v0, 1, v0
	s_waitcnt lgkmcnt(0)
	s_barrier
	s_and_saveexec_b64 s[0:1], vcc
	s_cbranch_execz .LBB129_56
; %bb.51:
	v_mov_b32_e32 v5, 0xd0
	v_cmp_eq_u32_e32 vcc, 0, v27
	v_lshl_add_u32 v5, v0, 2, v5
	s_and_saveexec_b64 s[2:3], vcc
	s_cbranch_execnz .LBB129_59
; %bb.52:
	s_or_b64 exec, exec, s[2:3]
	s_and_saveexec_b64 s[2:3], vcc
	s_cbranch_execnz .LBB129_60
.LBB129_53:
	s_or_b64 exec, exec, s[2:3]
	s_and_saveexec_b64 s[2:3], vcc
	s_cbranch_execz .LBB129_55
.LBB129_54:
	ds_read_b32 v5, v5 offset:256
	s_waitcnt lgkmcnt(0)
	v_add_f32_e32 v1, v1, v5
.LBB129_55:
	s_or_b64 exec, exec, s[2:3]
.LBB129_56:
	s_or_b64 exec, exec, s[0:1]
	v_cmp_eq_u32_e32 vcc, 0, v4
	s_barrier
	s_and_saveexec_b64 s[0:1], vcc
	s_cbranch_execz .LBB129_58
; %bb.57:
	s_mul_i32 s0, s10, s11
	s_mul_i32 s0, s0, s9
	s_mulk_i32 s0, 0x60
	s_ashr_i32 s1, s0, 31
	s_lshl_b64 s[0:1], s[0:1], 1
	s_add_u32 s2, s22, s0
	s_mul_i32 s0, s11, s20
	s_addc_u32 s3, s23, s1
	s_ashr_i32 s1, s0, 31
	s_lshl_b64 s[0:1], s[0:1], 1
	s_add_u32 s2, s2, s0
	s_mul_i32 s0, s8, 0x60
	s_addc_u32 s3, s3, s1
	s_ashr_i32 s1, s0, 31
	s_lshl_b64 s[0:1], s[0:1], 1
	s_add_u32 s0, s2, s0
	v_bfe_u32 v4, v3, 16, 1
	s_movk_i32 s2, 0x7fff
	v_add3_u32 v4, v4, v3, s2
	v_or_b32_e32 v5, 0x400000, v3
	v_cmp_u_f32_e32 vcc, v3, v3
	s_addc_u32 s1, s3, s1
	v_lshlrev_b32_e32 v0, 1, v0
	v_cndmask_b32_e32 v3, v4, v5, vcc
	global_store_short_d16_hi v0, v3, s[0:1]
	v_bfe_u32 v3, v2, 16, 1
	v_add3_u32 v3, v3, v2, s2
	v_or_b32_e32 v4, 0x400000, v2
	v_cmp_u_f32_e32 vcc, v2, v2
	v_cndmask_b32_e32 v2, v3, v4, vcc
	global_store_short_d16_hi v0, v2, s[0:1] offset:64
	v_bfe_u32 v2, v1, 16, 1
	v_add3_u32 v2, v2, v1, s2
	v_or_b32_e32 v3, 0x400000, v1
	v_cmp_u_f32_e32 vcc, v1, v1
	v_cndmask_b32_e32 v1, v2, v3, vcc
	global_store_short_d16_hi v0, v1, s[0:1] offset:128
.LBB129_58:
	s_endpgm
.LBB129_59:
	ds_read_b32 v6, v5
	s_waitcnt lgkmcnt(0)
	v_add_f32_e32 v3, v3, v6
	s_or_b64 exec, exec, s[2:3]
	s_and_saveexec_b64 s[2:3], vcc
	s_cbranch_execz .LBB129_53
.LBB129_60:
	ds_read_b32 v6, v5 offset:128
	s_waitcnt lgkmcnt(0)
	v_add_f32_e32 v2, v2, v6
	s_or_b64 exec, exec, s[2:3]
	s_and_saveexec_b64 s[2:3], vcc
	s_cbranch_execnz .LBB129_54
	s_branch .LBB129_55
	.section	.rodata,"a",@progbits
	.p2align	6, 0x0
	.amdhsa_kernel _ZN4vllm25paged_attention_v1_kernelI14__hip_bfloat16S1_Li96ELi16ELi128ELNS_18Fp8KVCacheDataTypeE0ELb1EEEvPT_PKS3_PKT0_S9_ifPKiSB_iPKfiiiSD_SD_iiiii
		.amdhsa_group_segment_fixed_size 208
		.amdhsa_private_segment_fixed_size 0
		.amdhsa_kernarg_size 384
		.amdhsa_user_sgpr_count 6
		.amdhsa_user_sgpr_private_segment_buffer 1
		.amdhsa_user_sgpr_dispatch_ptr 0
		.amdhsa_user_sgpr_queue_ptr 0
		.amdhsa_user_sgpr_kernarg_segment_ptr 1
		.amdhsa_user_sgpr_dispatch_id 0
		.amdhsa_user_sgpr_flat_scratch_init 0
		.amdhsa_user_sgpr_private_segment_size 0
		.amdhsa_uses_dynamic_stack 0
		.amdhsa_system_sgpr_private_segment_wavefront_offset 0
		.amdhsa_system_sgpr_workgroup_id_x 1
		.amdhsa_system_sgpr_workgroup_id_y 1
		.amdhsa_system_sgpr_workgroup_id_z 1
		.amdhsa_system_sgpr_workgroup_info 0
		.amdhsa_system_vgpr_workitem_id 0
		.amdhsa_next_free_vgpr 51
		.amdhsa_next_free_sgpr 44
		.amdhsa_reserve_vcc 1
		.amdhsa_reserve_flat_scratch 0
		.amdhsa_float_round_mode_32 0
		.amdhsa_float_round_mode_16_64 0
		.amdhsa_float_denorm_mode_32 3
		.amdhsa_float_denorm_mode_16_64 3
		.amdhsa_dx10_clamp 1
		.amdhsa_ieee_mode 1
		.amdhsa_fp16_overflow 0
		.amdhsa_exception_fp_ieee_invalid_op 0
		.amdhsa_exception_fp_denorm_src 0
		.amdhsa_exception_fp_ieee_div_zero 0
		.amdhsa_exception_fp_ieee_overflow 0
		.amdhsa_exception_fp_ieee_underflow 0
		.amdhsa_exception_fp_ieee_inexact 0
		.amdhsa_exception_int_div_zero 0
	.end_amdhsa_kernel
	.section	.text._ZN4vllm25paged_attention_v1_kernelI14__hip_bfloat16S1_Li96ELi16ELi128ELNS_18Fp8KVCacheDataTypeE0ELb1EEEvPT_PKS3_PKT0_S9_ifPKiSB_iPKfiiiSD_SD_iiiii,"axG",@progbits,_ZN4vllm25paged_attention_v1_kernelI14__hip_bfloat16S1_Li96ELi16ELi128ELNS_18Fp8KVCacheDataTypeE0ELb1EEEvPT_PKS3_PKT0_S9_ifPKiSB_iPKfiiiSD_SD_iiiii,comdat
.Lfunc_end129:
	.size	_ZN4vllm25paged_attention_v1_kernelI14__hip_bfloat16S1_Li96ELi16ELi128ELNS_18Fp8KVCacheDataTypeE0ELb1EEEvPT_PKS3_PKT0_S9_ifPKiSB_iPKfiiiSD_SD_iiiii, .Lfunc_end129-_ZN4vllm25paged_attention_v1_kernelI14__hip_bfloat16S1_Li96ELi16ELi128ELNS_18Fp8KVCacheDataTypeE0ELb1EEEvPT_PKS3_PKT0_S9_ifPKiSB_iPKfiiiSD_SD_iiiii
                                        ; -- End function
	.set _ZN4vllm25paged_attention_v1_kernelI14__hip_bfloat16S1_Li96ELi16ELi128ELNS_18Fp8KVCacheDataTypeE0ELb1EEEvPT_PKS3_PKT0_S9_ifPKiSB_iPKfiiiSD_SD_iiiii.num_vgpr, 51
	.set _ZN4vllm25paged_attention_v1_kernelI14__hip_bfloat16S1_Li96ELi16ELi128ELNS_18Fp8KVCacheDataTypeE0ELb1EEEvPT_PKS3_PKT0_S9_ifPKiSB_iPKfiiiSD_SD_iiiii.num_agpr, 0
	.set _ZN4vllm25paged_attention_v1_kernelI14__hip_bfloat16S1_Li96ELi16ELi128ELNS_18Fp8KVCacheDataTypeE0ELb1EEEvPT_PKS3_PKT0_S9_ifPKiSB_iPKfiiiSD_SD_iiiii.numbered_sgpr, 44
	.set _ZN4vllm25paged_attention_v1_kernelI14__hip_bfloat16S1_Li96ELi16ELi128ELNS_18Fp8KVCacheDataTypeE0ELb1EEEvPT_PKS3_PKT0_S9_ifPKiSB_iPKfiiiSD_SD_iiiii.num_named_barrier, 0
	.set _ZN4vllm25paged_attention_v1_kernelI14__hip_bfloat16S1_Li96ELi16ELi128ELNS_18Fp8KVCacheDataTypeE0ELb1EEEvPT_PKS3_PKT0_S9_ifPKiSB_iPKfiiiSD_SD_iiiii.private_seg_size, 0
	.set _ZN4vllm25paged_attention_v1_kernelI14__hip_bfloat16S1_Li96ELi16ELi128ELNS_18Fp8KVCacheDataTypeE0ELb1EEEvPT_PKS3_PKT0_S9_ifPKiSB_iPKfiiiSD_SD_iiiii.uses_vcc, 1
	.set _ZN4vllm25paged_attention_v1_kernelI14__hip_bfloat16S1_Li96ELi16ELi128ELNS_18Fp8KVCacheDataTypeE0ELb1EEEvPT_PKS3_PKT0_S9_ifPKiSB_iPKfiiiSD_SD_iiiii.uses_flat_scratch, 0
	.set _ZN4vllm25paged_attention_v1_kernelI14__hip_bfloat16S1_Li96ELi16ELi128ELNS_18Fp8KVCacheDataTypeE0ELb1EEEvPT_PKS3_PKT0_S9_ifPKiSB_iPKfiiiSD_SD_iiiii.has_dyn_sized_stack, 0
	.set _ZN4vllm25paged_attention_v1_kernelI14__hip_bfloat16S1_Li96ELi16ELi128ELNS_18Fp8KVCacheDataTypeE0ELb1EEEvPT_PKS3_PKT0_S9_ifPKiSB_iPKfiiiSD_SD_iiiii.has_recursion, 0
	.set _ZN4vllm25paged_attention_v1_kernelI14__hip_bfloat16S1_Li96ELi16ELi128ELNS_18Fp8KVCacheDataTypeE0ELb1EEEvPT_PKS3_PKT0_S9_ifPKiSB_iPKfiiiSD_SD_iiiii.has_indirect_call, 0
	.section	.AMDGPU.csdata,"",@progbits
; Kernel info:
; codeLenInByte = 6088
; TotalNumSgprs: 48
; NumVgprs: 51
; ScratchSize: 0
; MemoryBound: 0
; FloatMode: 240
; IeeeMode: 1
; LDSByteSize: 208 bytes/workgroup (compile time only)
; SGPRBlocks: 5
; VGPRBlocks: 12
; NumSGPRsForWavesPerEU: 48
; NumVGPRsForWavesPerEU: 51
; Occupancy: 4
; WaveLimiterHint : 1
; COMPUTE_PGM_RSRC2:SCRATCH_EN: 0
; COMPUTE_PGM_RSRC2:USER_SGPR: 6
; COMPUTE_PGM_RSRC2:TRAP_HANDLER: 0
; COMPUTE_PGM_RSRC2:TGID_X_EN: 1
; COMPUTE_PGM_RSRC2:TGID_Y_EN: 1
; COMPUTE_PGM_RSRC2:TGID_Z_EN: 1
; COMPUTE_PGM_RSRC2:TIDIG_COMP_CNT: 0
	.section	.text._ZN4vllm25paged_attention_v1_kernelI14__hip_bfloat16S1_Li112ELi16ELi128ELNS_18Fp8KVCacheDataTypeE0ELb1EEEvPT_PKS3_PKT0_S9_ifPKiSB_iPKfiiiSD_SD_iiiii,"axG",@progbits,_ZN4vllm25paged_attention_v1_kernelI14__hip_bfloat16S1_Li112ELi16ELi128ELNS_18Fp8KVCacheDataTypeE0ELb1EEEvPT_PKS3_PKT0_S9_ifPKiSB_iPKfiiiSD_SD_iiiii,comdat
	.protected	_ZN4vllm25paged_attention_v1_kernelI14__hip_bfloat16S1_Li112ELi16ELi128ELNS_18Fp8KVCacheDataTypeE0ELb1EEEvPT_PKS3_PKT0_S9_ifPKiSB_iPKfiiiSD_SD_iiiii ; -- Begin function _ZN4vllm25paged_attention_v1_kernelI14__hip_bfloat16S1_Li112ELi16ELi128ELNS_18Fp8KVCacheDataTypeE0ELb1EEEvPT_PKS3_PKT0_S9_ifPKiSB_iPKfiiiSD_SD_iiiii
	.globl	_ZN4vllm25paged_attention_v1_kernelI14__hip_bfloat16S1_Li112ELi16ELi128ELNS_18Fp8KVCacheDataTypeE0ELb1EEEvPT_PKS3_PKT0_S9_ifPKiSB_iPKfiiiSD_SD_iiiii
	.p2align	8
	.type	_ZN4vllm25paged_attention_v1_kernelI14__hip_bfloat16S1_Li112ELi16ELi128ELNS_18Fp8KVCacheDataTypeE0ELb1EEEvPT_PKS3_PKT0_S9_ifPKiSB_iPKfiiiSD_SD_iiiii,@function
_ZN4vllm25paged_attention_v1_kernelI14__hip_bfloat16S1_Li112ELi16ELi128ELNS_18Fp8KVCacheDataTypeE0ELb1EEEvPT_PKS3_PKT0_S9_ifPKiSB_iPKfiiiSD_SD_iiiii: ; @_ZN4vllm25paged_attention_v1_kernelI14__hip_bfloat16S1_Li112ELi16ELi128ELNS_18Fp8KVCacheDataTypeE0ELb1EEEvPT_PKS3_PKT0_S9_ifPKiSB_iPKfiiiSD_SD_iiiii
; %bb.0:
	s_load_dword s9, s[4:5], 0x80
	s_load_dwordx2 s[0:1], s[4:5], 0x30
	s_load_dwordx2 s[30:31], s[4:5], 0x20
	s_mov_b32 s10, s7
	s_ashr_i32 s11, s7, 31
	s_lshl_b64 s[2:3], s[10:11], 2
	s_waitcnt lgkmcnt(0)
	s_add_u32 s0, s0, s2
	s_addc_u32 s1, s1, s3
	s_abs_i32 s2, s30
	v_cvt_f32_u32_e32 v1, s2
	s_sub_i32 s11, 0, s2
	s_abs_i32 s7, s9
	s_xor_b32 s3, s9, s30
	v_rcp_iflag_f32_e32 v1, v1
	s_ashr_i32 s3, s3, 31
	s_mov_b32 s43, 0
	v_mul_f32_e32 v1, 0x4f7ffffe, v1
	v_cvt_u32_f32_e32 v1, v1
	v_readfirstlane_b32 s12, v1
	s_mul_i32 s11, s11, s12
	s_mul_hi_u32 s11, s12, s11
	s_add_i32 s12, s12, s11
	s_mul_hi_u32 s11, s7, s12
	s_mul_i32 s12, s11, s2
	s_sub_i32 s7, s7, s12
	s_add_i32 s12, s11, 1
	s_sub_i32 s13, s7, s2
	s_cmp_ge_u32 s7, s2
	s_cselect_b32 s11, s12, s11
	s_cselect_b32 s7, s13, s7
	s_add_i32 s12, s11, 1
	s_cmp_ge_u32 s7, s2
	s_cselect_b32 s2, s12, s11
	s_xor_b32 s2, s2, s3
	s_sub_i32 s12, s2, s3
	s_abs_i32 s11, s12
	v_cvt_f32_u32_e32 v1, s11
	s_load_dwordx2 s[2:3], s[4:5], 0x40
	s_sub_i32 s7, 0, s11
	s_abs_i32 s22, s6
	v_rcp_iflag_f32_e32 v1, v1
	v_mul_f32_e32 v1, 0x4f7ffffe, v1
	v_cvt_u32_f32_e32 v1, v1
	v_readfirstlane_b32 s13, v1
	s_mul_i32 s7, s7, s13
	s_mul_hi_u32 s7, s13, s7
	s_add_i32 s13, s13, s7
	s_waitcnt lgkmcnt(0)
	s_cmp_eq_u64 s[2:3], 0
	s_mul_hi_u32 s23, s22, s13
	s_cbranch_scc1 .LBB130_2
; %bb.1:
	s_ashr_i32 s7, s6, 31
	s_lshl_b64 s[14:15], s[6:7], 2
	s_add_u32 s2, s2, s14
	s_addc_u32 s3, s3, s15
	s_load_dword s43, s[2:3], 0x0
.LBB130_2:
	s_load_dword s33, s[0:1], 0x0
	s_ashr_i32 s7, s12, 31
	s_load_dwordx4 s[12:15], s[4:5], 0x48
	s_ashr_i32 s2, s6, 31
	v_and_b32_e32 v1, 3, v0
	s_mul_i32 s20, s6, 0x70
	v_cmp_gt_u32_e32 vcc, 56, v0
	v_lshlrev_b32_e32 v2, 2, v0
	s_and_saveexec_b64 s[0:1], vcc
	s_cbranch_execz .LBB130_4
; %bb.3:
	s_load_dwordx2 s[16:17], s[4:5], 0x8
	s_waitcnt lgkmcnt(0)
	s_mul_i32 s18, s12, s10
	s_ashr_i32 s19, s18, 31
	s_lshl_b64 s[18:19], s[18:19], 1
	v_and_b32_e32 v4, 0x3fc, v0
	s_add_u32 s3, s16, s18
	s_addc_u32 s12, s17, s19
	s_ashr_i32 s21, s20, 31
	s_lshl_b64 s[16:17], s[20:21], 1
	s_add_u32 s16, s3, s16
	s_addc_u32 s17, s12, s17
	global_load_dword v3, v2, s[16:17]
	v_mad_u32_u24 v4, v1, 56, v4
	s_waitcnt vmcnt(0)
	ds_write_b32 v4, v3
.LBB130_4:
	s_or_b64 exec, exec, s[0:1]
	s_mul_i32 s1, s23, s11
	s_sub_i32 s1, s22, s1
	s_xor_b32 s0, s2, s7
	s_add_i32 s2, s23, 1
	s_sub_i32 s7, s1, s11
	s_load_dwordx4 s[16:19], s[4:5], 0x68
	s_load_dword s3, s[4:5], 0x78
	s_cmp_ge_u32 s1, s11
	s_cselect_b32 s2, s2, s23
	s_cselect_b32 s1, s7, s1
	s_add_i32 s7, s2, 1
	s_cmp_ge_u32 s1, s11
	s_cselect_b32 s1, s7, s2
	s_waitcnt lgkmcnt(0)
	s_abs_i32 s21, s19
	v_cvt_f32_u32_e32 v3, s21
	s_xor_b32 s1, s1, s0
	s_sub_i32 s2, s1, s0
	s_sub_i32 s0, 0, s21
	v_rcp_iflag_f32_e32 v3, v3
	s_add_i32 s11, s33, -1
	s_abs_i32 s7, s11
	v_mul_f32_e32 v3, 0x4f7ffffe, v3
	v_cvt_u32_f32_e32 v3, v3
	s_barrier
	v_readfirstlane_b32 s40, v3
	s_mul_i32 s0, s0, s40
	s_mul_hi_u32 s0, s40, s0
	s_add_i32 s40, s40, s0
	s_cmp_lt_i32 s3, 0
	s_mul_hi_u32 s12, s7, s40
	s_cbranch_scc0 .LBB130_6
; %bb.5:
	s_mul_i32 s0, s16, s30
	s_add_i32 s0, s2, s0
	s_mul_i32 s0, s0, s3
	s_sub_i32 s41, 1, s0
	s_mov_b64 s[0:1], 0
	s_branch .LBB130_7
.LBB130_6:
	s_mov_b64 s[0:1], -1
                                        ; implicit-def: $sgpr41
.LBB130_7:
	s_load_dwordx2 s[24:25], s[4:5], 0x28
	s_ashr_i32 s15, s11, 31
	s_andn2_b64 vcc, exec, s[0:1]
	s_ashr_i32 s19, s19, 31
	s_cbranch_vccnz .LBB130_9
; %bb.8:
	s_mul_i32 s0, s9, s16
	s_add_i32 s0, s0, s6
	s_mul_i32 s0, s0, s3
	s_add_i32 s41, s0, 1
.LBB130_9:
	s_load_dword s0, s[4:5], 0x38
	s_load_dwordx2 s[22:23], s[4:5], 0x0
	s_load_dwordx2 s[28:29], s[4:5], 0x18
	s_load_dword s11, s[4:5], 0x88
	s_xor_b32 s1, s15, s19
	s_waitcnt lgkmcnt(0)
	s_mul_i32 s26, s0, s10
	s_mul_i32 s0, s12, s21
	s_sub_i32 s0, s7, s0
	s_ashr_i32 s27, s26, 31
	s_add_i32 s3, s12, 1
	s_sub_i32 s6, s0, s21
	s_cmp_ge_u32 s0, s21
	s_cselect_b32 s3, s3, s12
	s_cselect_b32 s0, s6, s0
	s_add_i32 s6, s3, 1
	s_cmp_ge_u32 s0, s21
	s_cselect_b32 s0, s6, s3
	s_xor_b32 s0, s0, s1
	s_sub_i32 s12, s0, s1
	s_add_i32 s0, s33, 15
	s_ashr_i32 s1, s0, 31
	s_lshr_b32 s1, s1, 28
	s_add_i32 s0, s0, s1
	s_ashr_i32 s42, s0, 4
	v_lshrrev_b32_e32 v23, 6, v0
	v_cmp_le_i32_e64 s[0:1], s42, v23
	v_cmp_gt_i32_e32 vcc, s42, v23
	v_mov_b32_e32 v8, 0xff7fffff
	s_mul_i32 s14, s2, s14
	v_lshrrev_b32_e32 v3, 4, v0
	v_lshlrev_b32_e32 v24, 4, v23
	v_mbcnt_lo_u32_b32 v4, -1, 0
	s_and_saveexec_b64 s[34:35], vcc
	s_cbranch_execz .LBB130_21
; %bb.10:
	s_load_dwordx2 s[2:3], s[4:5], 0x10
	s_ashr_i32 s15, s14, 31
	s_sub_i32 s16, s12, s17
	s_lshl_b64 s[4:5], s[14:15], 1
	v_and_b32_e32 v2, 12, v2
	s_waitcnt lgkmcnt(0)
	s_add_u32 s2, s2, s4
	s_addc_u32 s3, s3, s5
	s_abs_i32 s15, s18
	v_cvt_f32_u32_e32 v5, s15
	v_mov_b32_e32 v7, s3
	s_sub_i32 s3, 0, s15
	s_lshl_b64 s[4:5], s[26:27], 2
	v_rcp_iflag_f32_e32 v6, v5
	v_bfe_u32 v5, v0, 2, 4
	s_add_u32 s4, s24, s4
	v_cmp_eq_u32_e32 vcc, 0, v1
	v_mul_f32_e32 v6, 0x4f7ffffe, v6
	v_cvt_u32_f32_e32 v8, v6
	v_lshlrev_b32_e32 v6, 4, v5
	s_addc_u32 s5, s25, s5
	v_mbcnt_hi_u32_b32 v15, -1, v4
	v_mul_lo_u32 v9, s3, v8
	v_add_co_u32_e64 v6, s[2:3], s2, v6
	v_addc_co_u32_e64 v7, s[2:3], 0, v7, s[2:3]
	v_mul_hi_u32 v10, v8, v9
	v_add_co_u32_e64 v6, s[2:3], v6, v2
	v_mul_u32_u24_e32 v9, 56, v1
	v_add_u32_e32 v10, v8, v10
	v_subrev_u32_e32 v8, s33, v5
	v_add_u32_e32 v12, 1, v8
	v_lshlrev_b32_e32 v8, 2, v5
	v_and_b32_e32 v1, 60, v3
	v_lshl_or_b32 v8, v23, 6, v8
	v_addc_co_u32_e64 v7, s[2:3], 0, v7, s[2:3]
	v_mov_b32_e32 v2, s5
	v_add_co_u32_e64 v1, s[4:5], s4, v1
	v_add_u32_e32 v13, 0xf0, v8
	v_and_b32_e32 v8, 64, v15
	s_mov_b32 s30, s13
	v_cmp_neq_f32_e64 s[2:3], s43, 0
	v_addc_co_u32_e64 v2, s[4:5], 0, v2, s[4:5]
	v_lshlrev_b32_e32 v11, 4, v23
	v_mov_b32_e32 v14, 0xff7fffff
	s_mov_b64 s[36:37], 0
	v_add_u32_e32 v16, 64, v8
	v_xor_b32_e32 v17, 2, v15
	v_xor_b32_e32 v18, 1, v15
	v_mov_b32_e32 v8, 0xff7fffff
	v_mov_b32_e32 v19, v23
	s_branch .LBB130_13
.LBB130_11:                             ;   in Loop: Header=BB130_13 Depth=1
	s_or_b64 exec, exec, s[38:39]
.LBB130_12:                             ;   in Loop: Header=BB130_13 Depth=1
	s_or_b64 exec, exec, s[6:7]
	v_add_co_u32_e64 v1, s[4:5], 8, v1
	v_add_u32_e32 v19, 2, v19
	v_addc_co_u32_e64 v2, s[4:5], 0, v2, s[4:5]
	v_cmp_le_i32_e64 s[4:5], s42, v19
	v_add_u32_e32 v11, 32, v11
	s_or_b64 s[36:37], s[4:5], s[36:37]
	v_add_u32_e32 v13, 0x80, v13
	s_andn2_b64 exec, exec, s[36:37]
	s_cbranch_execz .LBB130_20
.LBB130_13:                             ; =>This Inner Loop Header: Depth=1
	v_mul_hi_u32 v20, v11, s40
	s_waitcnt lgkmcnt(0)
	v_mul_lo_u32 v21, v20, s21
	v_add_u32_e32 v22, 1, v20
	v_sub_u32_e32 v21, v11, v21
	v_cmp_le_u32_e64 s[4:5], s21, v21
	v_cndmask_b32_e64 v20, v20, v22, s[4:5]
	v_subrev_u32_e32 v22, s21, v21
	v_cndmask_b32_e64 v21, v21, v22, s[4:5]
	v_add_u32_e32 v22, 1, v20
	v_cmp_le_u32_e64 s[4:5], s21, v21
	v_cndmask_b32_e64 v20, v20, v22, s[4:5]
	v_xor_b32_e32 v20, s19, v20
	v_subrev_u32_e32 v20, s19, v20
	v_add_u32_e32 v21, s41, v20
	v_sub_u32_e32 v22, 0, v21
	v_max_i32_e32 v22, v21, v22
	v_mul_hi_u32 v25, v22, v10
	v_ashrrev_i32_e32 v21, 31, v21
	v_cmp_ge_i32_e64 s[6:7], s16, v20
	v_mul_lo_u32 v25, v25, s15
	v_sub_u32_e32 v22, v22, v25
	v_subrev_u32_e32 v25, s15, v22
	v_cmp_le_u32_e64 s[4:5], s15, v22
	v_cndmask_b32_e64 v22, v22, v25, s[4:5]
	v_subrev_u32_e32 v25, s15, v22
	v_cmp_le_u32_e64 s[4:5], s15, v22
	v_cndmask_b32_e64 v22, v22, v25, s[4:5]
	v_xor_b32_e32 v22, v22, v21
	v_sub_u32_e32 v21, v22, v21
	v_cmp_ne_u32_e64 s[4:5], 0, v21
	s_and_b64 s[4:5], s[4:5], s[6:7]
	s_and_saveexec_b64 s[6:7], s[4:5]
	s_xor_b64 s[4:5], exec, s[6:7]
	s_cbranch_execz .LBB130_17
; %bb.14:                               ;   in Loop: Header=BB130_13 Depth=1
	s_and_saveexec_b64 s[6:7], vcc
; %bb.15:                               ;   in Loop: Header=BB130_13 Depth=1
	ds_write_b32 v13, v14
; %bb.16:                               ;   in Loop: Header=BB130_13 Depth=1
	s_or_b64 exec, exec, s[6:7]
.LBB130_17:                             ;   in Loop: Header=BB130_13 Depth=1
	s_andn2_saveexec_b64 s[6:7], s[4:5]
	s_cbranch_execz .LBB130_12
; %bb.18:                               ;   in Loop: Header=BB130_13 Depth=1
	global_load_dword v31, v[1:2], off
	ds_read2_b64 v[25:28], v9 offset1:1
	ds_read2_b64 v[41:44], v9 offset0:2 offset1:3
	ds_read2_b64 v[45:48], v9 offset0:4 offset1:5
	s_waitcnt lgkmcnt(2)
	v_lshlrev_b32_e32 v51, 16, v28
	s_waitcnt lgkmcnt(1)
	v_lshlrev_b32_e32 v39, 16, v41
	v_lshlrev_b32_e32 v37, 16, v42
	v_and_b32_e32 v38, 0xffff0000, v41
	v_and_b32_e32 v36, 0xffff0000, v42
	v_lshlrev_b32_e32 v34, 16, v43
	v_and_b32_e32 v33, 0xffff0000, v43
	v_lshlrev_b32_e32 v32, 16, v44
	v_and_b32_e32 v30, 0xffff0000, v44
	v_and_b32_e32 v40, 0xffff0000, v28
	s_waitcnt lgkmcnt(0)
	v_lshlrev_b32_e32 v22, 16, v46
	v_and_b32_e32 v28, 0xffff0000, v46
	v_lshlrev_b32_e32 v49, 16, v26
	v_lshlrev_b32_e32 v35, 16, v25
	v_and_b32_e32 v52, 0xffff0000, v25
	v_lshlrev_b32_e32 v25, 16, v45
	v_and_b32_e32 v29, 0xffff0000, v45
	;; [unrolled: 2-line block ×4, first 2 shown]
	v_and_b32_e32 v53, 0xffff0000, v26
	v_lshlrev_b32_e32 v20, 16, v48
	v_and_b32_e32 v26, 0xffff0000, v48
	s_waitcnt vmcnt(0)
	v_mad_i64_i32 v[41:42], s[4:5], v31, s30, 0
	v_lshlrev_b64 v[41:42], 1, v[41:42]
	v_add_co_u32_e64 v43, s[4:5], v6, v41
	v_addc_co_u32_e64 v44, s[4:5], v7, v42, s[4:5]
	global_load_dword v41, v[43:44], off offset:256
	global_load_dword v46, v[43:44], off offset:768
	global_load_dword v42, v[43:44], off
	v_cmp_lt_i32_e64 s[4:5], v17, v16
	global_load_dword v47, v[43:44], off offset:1024
	s_waitcnt vmcnt(3)
	v_lshlrev_b32_e32 v31, 16, v41
	v_mul_f32_e32 v31, v49, v31
	s_waitcnt vmcnt(1)
	v_lshlrev_b32_e32 v45, 16, v42
	v_fmac_f32_e32 v31, v35, v45
	global_load_dword v45, v[43:44], off offset:512
	v_and_b32_e32 v35, 0xffff0000, v41
	v_mul_f32_e32 v35, v53, v35
	v_and_b32_e32 v41, 0xffff0000, v42
	v_fmac_f32_e32 v35, v52, v41
	s_waitcnt vmcnt(0)
	v_lshlrev_b32_e32 v41, 16, v45
	v_fmac_f32_e32 v31, v50, v41
	global_load_dword v48, v[43:44], off offset:1280
	global_load_dword v41, v[43:44], off offset:1536
	v_and_b32_e32 v42, 0xffff0000, v45
	v_fmac_f32_e32 v35, v54, v42
	global_load_dword v42, v[43:44], off offset:1792
	v_lshlrev_b32_e32 v45, 16, v46
	v_fmac_f32_e32 v31, v51, v45
	global_load_dword v45, v[43:44], off offset:2048
	global_load_dword v49, v[43:44], off offset:2304
	v_and_b32_e32 v46, 0xffff0000, v46
	v_fmac_f32_e32 v35, v40, v46
	global_load_dword v40, v[43:44], off offset:2560
	v_lshlrev_b32_e32 v46, 16, v47
	v_fmac_f32_e32 v31, v39, v46
	global_load_dword v46, v[43:44], off offset:2816
	global_load_dword v50, v[43:44], off offset:3072
	s_nop 0
	global_load_dword v43, v[43:44], off offset:3328
	v_and_b32_e32 v39, 0xffff0000, v47
	v_fmac_f32_e32 v35, v38, v39
	ds_read_b64 v[38:39], v9 offset:48
	s_waitcnt vmcnt(8)
	v_lshlrev_b32_e32 v44, 16, v48
	v_and_b32_e32 v47, 0xffff0000, v48
	v_fmac_f32_e32 v31, v37, v44
	v_fmac_f32_e32 v35, v36, v47
	s_waitcnt vmcnt(7)
	v_lshlrev_b32_e32 v47, 16, v41
	v_and_b32_e32 v41, 0xffff0000, v41
	v_fmac_f32_e32 v31, v34, v47
	s_waitcnt vmcnt(6)
	v_lshlrev_b32_e32 v34, 16, v42
	v_and_b32_e32 v42, 0xffff0000, v42
	;; [unrolled: 4-line block ×3, first 2 shown]
	v_fmac_f32_e32 v31, v32, v34
	v_fmac_f32_e32 v35, v30, v42
	s_waitcnt vmcnt(4)
	v_lshlrev_b32_e32 v33, 16, v49
	v_and_b32_e32 v41, 0xffff0000, v49
	v_fmac_f32_e32 v31, v25, v47
	v_fmac_f32_e32 v35, v29, v45
	s_waitcnt vmcnt(3)
	v_lshlrev_b32_e32 v48, 16, v40
	v_and_b32_e32 v40, 0xffff0000, v40
	;; [unrolled: 5-line block ×3, first 2 shown]
	v_fmac_f32_e32 v31, v21, v48
	v_fmac_f32_e32 v35, v27, v40
	s_waitcnt lgkmcnt(0)
	v_lshlrev_b32_e32 v44, 16, v38
	v_and_b32_e32 v38, 0xffff0000, v38
	s_waitcnt vmcnt(1)
	v_lshlrev_b32_e32 v46, 16, v50
	v_and_b32_e32 v49, 0xffff0000, v50
	v_fmac_f32_e32 v31, v20, v32
	v_fmac_f32_e32 v35, v26, v34
	v_lshlrev_b32_e32 v36, 16, v39
	v_and_b32_e32 v39, 0xffff0000, v39
	s_waitcnt vmcnt(0)
	v_lshlrev_b32_e32 v30, 16, v43
	v_and_b32_e32 v42, 0xffff0000, v43
	v_fmac_f32_e32 v31, v44, v46
	v_fmac_f32_e32 v35, v38, v49
	v_cndmask_b32_e64 v37, v15, v17, s[4:5]
	v_fmac_f32_e32 v31, v36, v30
	v_fmac_f32_e32 v35, v39, v42
	v_lshlrev_b32_e32 v37, 2, v37
	v_add_f32_e32 v20, v31, v35
	ds_bpermute_b32 v21, v37, v20
	v_cmp_lt_i32_e64 s[4:5], v18, v16
	v_cndmask_b32_e64 v22, v15, v18, s[4:5]
	v_lshlrev_b32_e32 v22, 2, v22
	s_waitcnt lgkmcnt(0)
	v_add_f32_e32 v20, v20, v21
	ds_bpermute_b32 v21, v22, v20
	s_and_saveexec_b64 s[38:39], vcc
	s_cbranch_execz .LBB130_11
; %bb.19:                               ;   in Loop: Header=BB130_13 Depth=1
	v_add_u32_e32 v22, v12, v11
	v_cvt_f32_i32_e32 v22, v22
	s_waitcnt lgkmcnt(0)
	v_add_f32_e32 v20, v20, v21
	v_add_u32_e32 v25, v5, v11
	v_cmp_gt_i32_e64 s[4:5], s33, v25
	v_mul_f32_e32 v21, s43, v22
	v_cndmask_b32_e64 v21, 0, v21, s[2:3]
	v_fmac_f32_e32 v21, s31, v20
	v_cndmask_b32_e64 v20, 0, v21, s[4:5]
	ds_write_b32 v13, v20
	v_max_f32_e32 v20, v8, v8
	v_max_f32_e32 v20, v20, v21
	v_cndmask_b32_e64 v8, v8, v20, s[4:5]
	s_branch .LBB130_11
.LBB130_20:
	s_or_b64 exec, exec, s[36:37]
.LBB130_21:
	s_or_b64 exec, exec, s[34:35]
	v_mbcnt_hi_u32_b32 v2, -1, v4
	v_and_b32_e32 v11, 64, v2
	v_add_u32_e32 v4, 64, v11
	v_xor_b32_e32 v1, 32, v2
	v_cmp_lt_i32_e32 vcc, v1, v4
	v_cndmask_b32_e32 v1, v2, v1, vcc
	v_lshlrev_b32_e32 v5, 2, v1
	ds_bpermute_b32 v1, v5, v8
	v_xor_b32_e32 v7, 16, v2
	v_max_f32_e32 v6, v8, v8
	v_cmp_lt_i32_e32 vcc, v7, v4
	v_xor_b32_e32 v8, 8, v2
	s_waitcnt lgkmcnt(0)
	v_max_f32_e32 v1, v1, v1
	v_max_f32_e32 v1, v6, v1
	v_cndmask_b32_e32 v6, v2, v7, vcc
	v_lshlrev_b32_e32 v6, 2, v6
	ds_bpermute_b32 v7, v6, v1
	v_cmp_lt_i32_e32 vcc, v8, v4
	v_xor_b32_e32 v10, 4, v2
	s_waitcnt lgkmcnt(0)
	v_max_f32_e32 v7, v7, v7
	v_max_f32_e32 v1, v1, v7
	v_cndmask_b32_e32 v7, v2, v8, vcc
	v_lshlrev_b32_e32 v9, 2, v7
	ds_bpermute_b32 v7, v9, v1
	v_cmp_lt_i32_e32 vcc, v10, v4
	s_waitcnt lgkmcnt(0)
	v_max_f32_e32 v7, v7, v7
	v_max_f32_e32 v8, v1, v7
	v_cndmask_b32_e32 v1, v2, v10, vcc
	v_lshlrev_b32_e32 v10, 2, v1
	ds_bpermute_b32 v12, v10, v8
	v_and_b32_e32 v1, 63, v0
	v_cmp_eq_u32_e32 vcc, 0, v1
	v_lshlrev_b32_e32 v7, 2, v23
	s_and_saveexec_b64 s[2:3], vcc
	s_cbranch_execz .LBB130_23
; %bb.22:
	s_waitcnt lgkmcnt(0)
	v_max_f32_e32 v12, v12, v12
	v_max_f32_e32 v8, v8, v8
	;; [unrolled: 1-line block ×3, first 2 shown]
	ds_write_b32 v7, v8 offset:224
.LBB130_23:
	s_or_b64 exec, exec, s[2:3]
	v_cmp_gt_u32_e64 s[2:3], 2, v1
	s_waitcnt lgkmcnt(0)
	v_mov_b32_e32 v12, 0xff7fffff
	v_lshlrev_b32_e32 v8, 2, v1
	s_barrier
	s_and_saveexec_b64 s[4:5], s[2:3]
; %bb.24:
	ds_read_b32 v12, v8 offset:224
; %bb.25:
	s_or_b64 exec, exec, s[4:5]
	v_xor_b32_e32 v13, 1, v2
	v_cmp_lt_i32_e64 s[4:5], v13, v4
	v_cndmask_b32_e64 v13, v2, v13, s[4:5]
	v_lshlrev_b32_e32 v25, 2, v13
	s_waitcnt lgkmcnt(0)
	ds_bpermute_b32 v13, v25, v12
	v_max_f32_e32 v12, v12, v12
	v_lshlrev_b32_e32 v11, 2, v11
	s_lshl_b32 s4, s42, 4
	s_min_i32 s15, s4, s33
	s_waitcnt lgkmcnt(0)
	v_max_f32_e32 v13, v13, v13
	v_max_f32_e32 v12, v12, v13
	ds_bpermute_b32 v12, v11, v12
	v_cmp_gt_i32_e64 s[4:5], s15, v0
	v_mov_b32_e32 v11, 0
	s_and_saveexec_b64 s[30:31], s[4:5]
	s_cbranch_execz .LBB130_29
; %bb.26:
	v_mov_b32_e32 v11, 0xf0
	v_lshl_add_u32 v13, v0, 2, v11
	v_mov_b32_e32 v11, 0
	s_mov_b64 s[34:35], 0
	v_mov_b32_e32 v14, v0
.LBB130_27:                             ; =>This Inner Loop Header: Depth=1
	ds_read_b32 v15, v13
	v_add_u32_e32 v14, 0x80, v14
	v_cmp_le_i32_e64 s[6:7], s15, v14
	s_or_b64 s[34:35], s[6:7], s[34:35]
	s_waitcnt lgkmcnt(0)
	v_sub_f32_e32 v15, v15, v12
	v_mul_f32_e32 v15, 0x3fb8aa3b, v15
	v_exp_f32_e32 v15, v15
	ds_write_b32 v13, v15
	v_add_f32_e32 v11, v11, v15
	v_add_u32_e32 v13, 0x200, v13
	s_andn2_b64 exec, exec, s[34:35]
	s_cbranch_execnz .LBB130_27
; %bb.28:
	s_or_b64 exec, exec, s[34:35]
.LBB130_29:
	s_or_b64 exec, exec, s[30:31]
	ds_bpermute_b32 v5, v5, v11
	s_waitcnt lgkmcnt(0)
	v_add_f32_e32 v5, v11, v5
	ds_bpermute_b32 v6, v6, v5
	s_waitcnt lgkmcnt(0)
	v_add_f32_e32 v5, v5, v6
	ds_bpermute_b32 v6, v9, v5
	v_xor_b32_e32 v9, 2, v2
	v_cmp_lt_i32_e64 s[6:7], v9, v4
	v_cndmask_b32_e64 v4, v2, v9, s[6:7]
	v_lshlrev_b32_e32 v4, 2, v4
	s_waitcnt lgkmcnt(0)
	v_add_f32_e32 v5, v5, v6
	ds_bpermute_b32 v6, v10, v5
	s_waitcnt lgkmcnt(0)
	v_add_f32_e32 v5, v5, v6
	ds_bpermute_b32 v4, v4, v5
	;; [unrolled: 3-line block ×3, first 2 shown]
	s_waitcnt lgkmcnt(0)
	v_add_f32_e32 v4, v4, v5
	s_and_saveexec_b64 s[6:7], vcc
; %bb.30:
	ds_write_b32 v7, v4 offset:232
; %bb.31:
	s_or_b64 exec, exec, s[6:7]
	s_waitcnt lgkmcnt(0)
	s_barrier
	s_and_saveexec_b64 s[6:7], s[2:3]
; %bb.32:
	ds_read_b32 v4, v8 offset:232
; %bb.33:
	s_or_b64 exec, exec, s[6:7]
	s_waitcnt lgkmcnt(0)
	ds_bpermute_b32 v5, v25, v4
	v_lshlrev_b32_e32 v2, 2, v2
	v_and_b32_e32 v2, 0x100, v2
	s_waitcnt lgkmcnt(0)
	v_add_f32_e32 v4, v4, v5
	ds_bpermute_b32 v2, v2, v4
	s_and_saveexec_b64 s[2:3], s[4:5]
	s_cbranch_execz .LBB130_36
; %bb.34:
	s_waitcnt lgkmcnt(0)
	v_add_f32_e32 v4, 0x358637bd, v2
	v_div_scale_f32 v2, s[4:5], v4, v4, 1.0
	v_div_scale_f32 v5, vcc, 1.0, v4, 1.0
	s_mov_b64 s[4:5], 0
	v_rcp_f32_e32 v6, v2
	v_fma_f32 v7, -v2, v6, 1.0
	v_fmac_f32_e32 v6, v7, v6
	v_mul_f32_e32 v7, v5, v6
	v_fma_f32 v8, -v2, v7, v5
	v_fmac_f32_e32 v7, v8, v6
	v_fma_f32 v2, -v2, v7, v5
	v_div_fmas_f32 v5, v2, v6, v7
	v_mov_b32_e32 v2, 0xf0
	v_lshl_add_u32 v2, v0, 2, v2
	v_div_fixup_f32 v4, v5, v4, 1.0
	v_mov_b32_e32 v5, v0
.LBB130_35:                             ; =>This Inner Loop Header: Depth=1
	ds_read_b32 v6, v2
	v_add_u32_e32 v5, 0x80, v5
	v_cmp_le_i32_e32 vcc, s15, v5
	s_or_b64 s[4:5], vcc, s[4:5]
	s_waitcnt lgkmcnt(0)
	v_mul_f32_e32 v6, v4, v6
	ds_write_b32 v2, v6
	v_add_u32_e32 v2, 0x200, v2
	s_andn2_b64 exec, exec, s[4:5]
	s_cbranch_execnz .LBB130_35
.LBB130_36:
	s_or_b64 exec, exec, s[2:3]
	v_lshrrev_b32_e32 v26, 1, v1
	s_waitcnt lgkmcnt(0)
	s_barrier
	s_and_saveexec_b64 s[2:3], s[0:1]
	s_xor_b64 s[0:1], exec, s[2:3]
; %bb.37:
	v_lshrrev_b32_e32 v26, 1, v1
                                        ; implicit-def: $vgpr24
                                        ; implicit-def: $vgpr23
                                        ; implicit-def: $vgpr3
; %bb.38:
	s_or_saveexec_b64 s[6:7], s[0:1]
	v_mov_b32_e32 v30, 0
	v_and_b32_e32 v27, 1, v0
	v_mov_b32_e32 v31, 0
	v_mov_b32_e32 v29, 0
	;; [unrolled: 1-line block ×3, first 2 shown]
	s_xor_b64 exec, exec, s[6:7]
	s_cbranch_execz .LBB130_54
; %bb.39:
	s_ashr_i32 s15, s14, 31
	s_sub_i32 s30, s12, s17
	s_lshl_b64 s[0:1], s[14:15], 1
	s_add_u32 s28, s28, s0
	s_addc_u32 s29, s29, s1
	s_abs_i32 s18, s18
	v_cvt_f32_u32_e32 v1, s18
	s_sub_i32 s1, 0, s18
	v_lshlrev_b32_e32 v2, 3, v0
	v_and_b32_e32 v33, 8, v2
	v_rcp_iflag_f32_e32 v1, v1
	s_add_i32 s35, s42, -1
	s_lshl_b64 s[2:3], s[26:27], 2
	s_add_u32 s2, s24, s2
	v_mul_f32_e32 v1, 0x4f7ffffe, v1
	v_cvt_u32_f32_e32 v1, v1
	v_and_b32_e32 v3, 60, v3
	s_addc_u32 s3, s25, s3
	v_add_co_u32_e32 v21, vcc, s2, v3
	v_mul_lo_u32 v5, s1, v1
	v_or_b32_e32 v4, 0x60, v26
	s_movk_i32 s0, 0x70
	v_cmp_gt_u32_e64 s[0:1], s0, v4
	v_mul_hi_u32 v2, v1, v5
	v_lshl_or_b32 v5, v26, 4, v33
	v_lshl_or_b32 v4, v4, 4, v33
	s_mov_b32 s31, s13
	v_add_u32_e32 v34, v1, v2
	v_mov_b32_e32 v1, s3
	v_addc_co_u32_e32 v22, vcc, 0, v1, vcc
	v_lshlrev_b32_e32 v1, 5, v27
	v_lshl_or_b32 v1, v23, 6, v1
	v_mov_b32_e32 v28, 0
	s_mov_b32 s34, s33
	v_add_u32_e32 v35, 0xf0, v1
	s_mov_b64 s[12:13], 0
	v_lshlrev_b32_e32 v36, 1, v5
	s_mov_b32 s24, 0x5040100
	s_movk_i32 s25, 0x7fff
	s_mov_b32 s26, 0x7060302
	v_lshlrev_b32_e32 v37, 1, v4
	v_mov_b32_e32 v32, 0
	v_mov_b32_e32 v29, 0
	;; [unrolled: 1-line block ×4, first 2 shown]
	s_branch .LBB130_43
.LBB130_40:                             ;   in Loop: Header=BB130_43 Depth=1
	s_or_b64 exec, exec, s[16:17]
	s_waitcnt vmcnt(0)
	v_lshlrev_b32_e32 v38, 16, v13
	v_lshlrev_b32_e32 v39, 16, v20
	v_mul_f32_e32 v38, v39, v38
	v_bfe_u32 v39, v38, 16, 1
	v_add3_u32 v39, v39, v38, s25
	v_or_b32_e32 v40, 0x400000, v38
	v_cmp_u_f32_e32 vcc, v38, v38
	v_cndmask_b32_e32 v38, v39, v40, vcc
	v_and_b32_e32 v13, 0xffff0000, v13
	v_and_b32_e32 v39, 0xffff0000, v20
	v_mul_f32_e32 v13, v39, v13
	v_bfe_u32 v39, v13, 16, 1
	v_add3_u32 v39, v39, v13, s25
	v_or_b32_e32 v40, 0x400000, v13
	v_cmp_u_f32_e32 vcc, v13, v13
	v_cndmask_b32_e32 v13, v39, v40, vcc
	v_lshlrev_b32_e32 v39, 16, v14
	v_lshlrev_b32_e32 v40, 16, v19
	v_mul_f32_e32 v39, v40, v39
	v_bfe_u32 v40, v39, 16, 1
	v_add3_u32 v40, v40, v39, s25
	v_or_b32_e32 v41, 0x400000, v39
	v_cmp_u_f32_e32 vcc, v39, v39
	v_cndmask_b32_e32 v39, v40, v41, vcc
	v_and_b32_e32 v14, 0xffff0000, v14
	v_and_b32_e32 v40, 0xffff0000, v19
	v_mul_f32_e32 v14, v40, v14
	v_bfe_u32 v40, v14, 16, 1
	v_add3_u32 v40, v40, v14, s25
	v_or_b32_e32 v41, 0x400000, v14
	v_cmp_u_f32_e32 vcc, v14, v14
	v_cndmask_b32_e32 v14, v40, v41, vcc
	;; [unrolled: 16-line block ×3, first 2 shown]
	v_lshlrev_b32_e32 v41, 16, v16
	v_lshlrev_b32_e32 v42, 16, v17
	v_mul_f32_e32 v41, v42, v41
	v_bfe_u32 v42, v41, 16, 1
	v_add3_u32 v42, v42, v41, s25
	v_or_b32_e32 v43, 0x400000, v41
	v_cmp_u_f32_e32 vcc, v41, v41
	v_cndmask_b32_e32 v41, v42, v43, vcc
	v_and_b32_e32 v16, 0xffff0000, v16
	v_and_b32_e32 v42, 0xffff0000, v17
	;; [unrolled: 1-line block ×4, first 2 shown]
	v_mul_f32_e32 v16, v42, v16
	v_add_f32_e32 v13, v38, v13
	v_and_b32_e32 v14, 0xffff0000, v14
	v_and_b32_e32 v38, 0xffff0000, v39
	v_bfe_u32 v42, v16, 16, 1
	v_add_f32_e32 v14, v38, v14
	v_add3_u32 v42, v42, v16, s25
	v_or_b32_e32 v43, 0x400000, v16
	v_cmp_u_f32_e32 vcc, v16, v16
	v_add_f32_e32 v13, v14, v13
	v_and_b32_e32 v14, 0xffff0000, v15
	v_and_b32_e32 v15, 0xffff0000, v40
	v_cndmask_b32_e32 v16, v42, v43, vcc
	v_add_f32_e32 v14, v15, v14
	v_add_f32_e32 v13, v14, v13
	v_and_b32_e32 v14, 0xffff0000, v16
	v_and_b32_e32 v15, 0xffff0000, v41
	v_add_f32_e32 v14, v15, v14
	v_add_f32_e32 v13, v14, v13
	;; [unrolled: 1-line block ×3, first 2 shown]
.LBB130_41:                             ;   in Loop: Header=BB130_43 Depth=1
	s_or_b64 exec, exec, s[4:5]
	s_waitcnt vmcnt(0)
	v_and_b32_e32 v14, 0xffff0000, v9
	v_and_b32_e32 v13, 0xffff0000, v20
	v_mul_f32_e32 v14, v13, v14
	v_bfe_u32 v15, v14, 16, 1
	v_add3_u32 v15, v15, v14, s25
	v_or_b32_e32 v16, 0x400000, v14
	v_cmp_u_f32_e32 vcc, v14, v14
	v_lshlrev_b32_e32 v14, 16, v9
	v_lshlrev_b32_e32 v9, 16, v20
	v_mul_f32_e32 v14, v9, v14
	v_cndmask_b32_e32 v38, v15, v16, vcc
	v_bfe_u32 v15, v14, 16, 1
	v_add3_u32 v15, v15, v14, s25
	v_or_b32_e32 v16, 0x400000, v14
	v_cmp_u_f32_e32 vcc, v14, v14
	v_cndmask_b32_e32 v20, v15, v16, vcc
	v_and_b32_e32 v15, 0xffff0000, v10
	v_and_b32_e32 v14, 0xffff0000, v19
	v_mul_f32_e32 v15, v14, v15
	v_bfe_u32 v16, v15, 16, 1
	v_add3_u32 v16, v16, v15, s25
	v_or_b32_e32 v39, 0x400000, v15
	v_cmp_u_f32_e32 vcc, v15, v15
	v_lshlrev_b32_e32 v15, 16, v10
	v_lshlrev_b32_e32 v10, 16, v19
	v_mul_f32_e32 v15, v10, v15
	v_cndmask_b32_e32 v39, v16, v39, vcc
	v_bfe_u32 v16, v15, 16, 1
	v_add3_u32 v16, v16, v15, s25
	v_or_b32_e32 v19, 0x400000, v15
	v_cmp_u_f32_e32 vcc, v15, v15
	v_cndmask_b32_e32 v19, v16, v19, vcc
	v_and_b32_e32 v16, 0xffff0000, v11
	v_and_b32_e32 v15, 0xffff0000, v18
	v_mul_f32_e32 v16, v15, v16
	v_bfe_u32 v40, v16, 16, 1
	v_add3_u32 v40, v40, v16, s25
	v_or_b32_e32 v41, 0x400000, v16
	v_cmp_u_f32_e32 vcc, v16, v16
	v_lshlrev_b32_e32 v16, 16, v11
	v_lshlrev_b32_e32 v11, 16, v18
	v_mul_f32_e32 v16, v11, v16
	v_bfe_u32 v18, v16, 16, 1
	v_cndmask_b32_e32 v40, v40, v41, vcc
	v_add3_u32 v18, v18, v16, s25
	v_or_b32_e32 v41, 0x400000, v16
	v_cmp_u_f32_e32 vcc, v16, v16
	v_cndmask_b32_e32 v18, v18, v41, vcc
	v_and_b32_e32 v41, 0xffff0000, v12
	v_and_b32_e32 v16, 0xffff0000, v17
	v_mul_f32_e32 v41, v16, v41
	v_bfe_u32 v42, v41, 16, 1
	v_add3_u32 v42, v42, v41, s25
	v_or_b32_e32 v43, 0x400000, v41
	v_cmp_u_f32_e32 vcc, v41, v41
	v_cndmask_b32_e32 v41, v42, v43, vcc
	v_lshlrev_b32_e32 v42, 16, v12
	v_lshlrev_b32_e32 v12, 16, v17
	v_and_b32_e32 v20, 0xffff0000, v20
	v_and_b32_e32 v38, 0xffff0000, v38
	v_mul_f32_e32 v17, v12, v42
	v_add_f32_e32 v20, v20, v38
	v_and_b32_e32 v19, 0xffff0000, v19
	v_and_b32_e32 v38, 0xffff0000, v39
	v_bfe_u32 v42, v17, 16, 1
	v_add_f32_e32 v19, v19, v38
	v_add3_u32 v42, v42, v17, s25
	v_or_b32_e32 v43, 0x400000, v17
	v_cmp_u_f32_e32 vcc, v17, v17
	v_add_f32_e32 v19, v19, v20
	v_and_b32_e32 v18, 0xffff0000, v18
	v_and_b32_e32 v20, 0xffff0000, v40
	v_cndmask_b32_e32 v17, v42, v43, vcc
	v_add_f32_e32 v18, v18, v20
	v_add_f32_e32 v18, v18, v19
	v_and_b32_e32 v17, 0xffff0000, v17
	v_and_b32_e32 v19, 0xffff0000, v41
	v_add_f32_e32 v17, v17, v19
	v_add_f32_e32 v17, v17, v18
	;; [unrolled: 1-line block ×3, first 2 shown]
	v_and_b32_e32 v17, 0xffff0000, v5
	v_mul_f32_e32 v17, v13, v17
	v_bfe_u32 v18, v17, 16, 1
	v_lshlrev_b32_e32 v5, 16, v5
	v_add3_u32 v18, v18, v17, s25
	v_or_b32_e32 v19, 0x400000, v17
	v_cmp_u_f32_e32 vcc, v17, v17
	v_mul_f32_e32 v5, v9, v5
	v_cndmask_b32_e32 v17, v18, v19, vcc
	v_bfe_u32 v18, v5, 16, 1
	v_add3_u32 v18, v18, v5, s25
	v_or_b32_e32 v19, 0x400000, v5
	v_cmp_u_f32_e32 vcc, v5, v5
	v_cndmask_b32_e32 v5, v18, v19, vcc
	v_and_b32_e32 v18, 0xffff0000, v6
	v_mul_f32_e32 v18, v14, v18
	v_bfe_u32 v19, v18, 16, 1
	v_lshlrev_b32_e32 v6, 16, v6
	v_add3_u32 v19, v19, v18, s25
	v_or_b32_e32 v20, 0x400000, v18
	v_cmp_u_f32_e32 vcc, v18, v18
	v_mul_f32_e32 v6, v10, v6
	v_cndmask_b32_e32 v18, v19, v20, vcc
	v_bfe_u32 v19, v6, 16, 1
	v_add3_u32 v19, v19, v6, s25
	v_or_b32_e32 v20, 0x400000, v6
	v_cmp_u_f32_e32 vcc, v6, v6
	v_cndmask_b32_e32 v6, v19, v20, vcc
	;; [unrolled: 14-line block ×3, first 2 shown]
	v_and_b32_e32 v20, 0xffff0000, v8
	v_mul_f32_e32 v20, v16, v20
	v_bfe_u32 v38, v20, 16, 1
	v_lshlrev_b32_e32 v8, 16, v8
	v_and_b32_e32 v5, 0xffff0000, v5
	v_and_b32_e32 v17, 0xffff0000, v17
	v_add3_u32 v38, v38, v20, s25
	v_or_b32_e32 v39, 0x400000, v20
	v_cmp_u_f32_e32 vcc, v20, v20
	v_mul_f32_e32 v8, v12, v8
	v_add_f32_e32 v5, v5, v17
	v_and_b32_e32 v6, 0xffff0000, v6
	v_and_b32_e32 v17, 0xffff0000, v18
	v_cndmask_b32_e32 v20, v38, v39, vcc
	v_bfe_u32 v38, v8, 16, 1
	v_add_f32_e32 v6, v6, v17
	v_add3_u32 v38, v38, v8, s25
	v_or_b32_e32 v39, 0x400000, v8
	v_cmp_u_f32_e32 vcc, v8, v8
	v_add_f32_e32 v5, v6, v5
	v_and_b32_e32 v6, 0xffff0000, v7
	v_and_b32_e32 v7, 0xffff0000, v19
	v_cndmask_b32_e32 v8, v38, v39, vcc
	v_add_f32_e32 v6, v6, v7
	v_add_f32_e32 v5, v6, v5
	v_and_b32_e32 v6, 0xffff0000, v8
	v_and_b32_e32 v7, 0xffff0000, v20
	v_add_f32_e32 v6, v6, v7
	v_add_f32_e32 v5, v6, v5
	;; [unrolled: 1-line block ×3, first 2 shown]
	v_and_b32_e32 v5, 0xffff0000, v1
	v_mul_f32_e32 v5, v13, v5
	v_bfe_u32 v6, v5, 16, 1
	v_lshlrev_b32_e32 v1, 16, v1
	v_add3_u32 v6, v6, v5, s25
	v_or_b32_e32 v7, 0x400000, v5
	v_cmp_u_f32_e32 vcc, v5, v5
	v_mul_f32_e32 v1, v9, v1
	v_cndmask_b32_e32 v5, v6, v7, vcc
	v_bfe_u32 v6, v1, 16, 1
	v_add3_u32 v6, v6, v1, s25
	v_or_b32_e32 v7, 0x400000, v1
	v_cmp_u_f32_e32 vcc, v1, v1
	v_cndmask_b32_e32 v1, v6, v7, vcc
	v_and_b32_e32 v6, 0xffff0000, v2
	v_mul_f32_e32 v6, v14, v6
	v_bfe_u32 v7, v6, 16, 1
	v_lshlrev_b32_e32 v2, 16, v2
	v_add3_u32 v7, v7, v6, s25
	v_or_b32_e32 v8, 0x400000, v6
	v_cmp_u_f32_e32 vcc, v6, v6
	v_mul_f32_e32 v2, v10, v2
	v_cndmask_b32_e32 v6, v7, v8, vcc
	v_bfe_u32 v7, v2, 16, 1
	v_add3_u32 v7, v7, v2, s25
	v_or_b32_e32 v8, 0x400000, v2
	v_cmp_u_f32_e32 vcc, v2, v2
	v_cndmask_b32_e32 v2, v7, v8, vcc
	;; [unrolled: 14-line block ×3, first 2 shown]
	v_and_b32_e32 v8, 0xffff0000, v4
	v_mul_f32_e32 v8, v16, v8
	v_bfe_u32 v9, v8, 16, 1
	v_lshlrev_b32_e32 v4, 16, v4
	v_and_b32_e32 v1, 0xffff0000, v1
	v_and_b32_e32 v5, 0xffff0000, v5
	v_add3_u32 v9, v9, v8, s25
	v_or_b32_e32 v10, 0x400000, v8
	v_cmp_u_f32_e32 vcc, v8, v8
	v_mul_f32_e32 v4, v12, v4
	v_add_f32_e32 v1, v1, v5
	v_and_b32_e32 v2, 0xffff0000, v2
	v_and_b32_e32 v5, 0xffff0000, v6
	v_cndmask_b32_e32 v8, v9, v10, vcc
	v_bfe_u32 v9, v4, 16, 1
	v_add_f32_e32 v2, v2, v5
	v_add3_u32 v9, v9, v4, s25
	v_or_b32_e32 v10, 0x400000, v4
	v_cmp_u_f32_e32 vcc, v4, v4
	v_add_f32_e32 v1, v2, v1
	v_and_b32_e32 v2, 0xffff0000, v3
	v_and_b32_e32 v3, 0xffff0000, v7
	v_cndmask_b32_e32 v4, v9, v10, vcc
	v_add_f32_e32 v2, v2, v3
	v_add_f32_e32 v1, v2, v1
	v_and_b32_e32 v2, 0xffff0000, v4
	v_and_b32_e32 v3, 0xffff0000, v8
	v_add_f32_e32 v2, v2, v3
	v_add_f32_e32 v1, v2, v1
	;; [unrolled: 1-line block ×3, first 2 shown]
.LBB130_42:                             ;   in Loop: Header=BB130_43 Depth=1
	s_or_b64 exec, exec, s[14:15]
	v_add_co_u32_e32 v21, vcc, 8, v21
	v_add_u32_e32 v23, 2, v23
	v_addc_co_u32_e32 v22, vcc, 0, v22, vcc
	v_cmp_le_i32_e32 vcc, s42, v23
	v_add_u32_e32 v24, 32, v24
	s_or_b64 s[12:13], vcc, s[12:13]
	v_add_u32_e32 v35, 0x80, v35
	s_andn2_b64 exec, exec, s[12:13]
	s_cbranch_execz .LBB130_53
.LBB130_43:                             ; =>This Inner Loop Header: Depth=1
	v_mul_hi_u32 v1, v24, s40
	v_mul_lo_u32 v2, v1, s21
	v_add_u32_e32 v3, 1, v1
	v_sub_u32_e32 v2, v24, v2
	v_cmp_le_u32_e32 vcc, s21, v2
	v_cndmask_b32_e32 v1, v1, v3, vcc
	v_subrev_u32_e32 v3, s21, v2
	v_cndmask_b32_e32 v2, v2, v3, vcc
	v_add_u32_e32 v3, 1, v1
	v_cmp_le_u32_e32 vcc, s21, v2
	v_cndmask_b32_e32 v1, v1, v3, vcc
	v_xor_b32_e32 v1, s19, v1
	v_subrev_u32_e32 v1, s19, v1
	v_add_u32_e32 v2, s41, v1
	v_sub_u32_e32 v3, 0, v2
	v_max_i32_e32 v3, v2, v3
	v_mul_hi_u32 v4, v3, v34
	v_ashrrev_i32_e32 v2, 31, v2
	v_cmp_lt_i32_e64 s[2:3], s30, v1
	v_mul_lo_u32 v4, v4, s18
	v_sub_u32_e32 v3, v3, v4
	v_subrev_u32_e32 v4, s18, v3
	v_cmp_le_u32_e32 vcc, s18, v3
	v_cndmask_b32_e32 v3, v3, v4, vcc
	v_subrev_u32_e32 v4, s18, v3
	v_cmp_le_u32_e32 vcc, s18, v3
	v_cndmask_b32_e32 v3, v3, v4, vcc
	v_xor_b32_e32 v3, v3, v2
	v_sub_u32_e32 v2, v3, v2
	v_cmp_eq_u32_e32 vcc, 0, v2
	s_or_b64 s[2:3], vcc, s[2:3]
	s_and_saveexec_b64 s[14:15], s[2:3]
	s_cbranch_execz .LBB130_42
; %bb.44:                               ;   in Loop: Header=BB130_43 Depth=1
	global_load_dword v1, v[21:22], off
	v_mov_b32_e32 v3, s29
	v_add_u32_e32 v38, v33, v24
	s_waitcnt vmcnt(0)
	v_mad_i64_i32 v[1:2], s[2:3], v1, s31, 0
	v_cmp_eq_u32_e64 s[2:3], s35, v23
	v_lshlrev_b64 v[1:2], 1, v[1:2]
	v_add_co_u32_e32 v39, vcc, s28, v1
	v_addc_co_u32_e32 v40, vcc, v3, v2, vcc
	v_add_co_u32_e32 v9, vcc, v39, v36
	v_addc_co_u32_e32 v10, vcc, 0, v40, vcc
	global_load_dwordx4 v[1:4], v[9:10], off
	ds_read2_b64 v[17:20], v35 offset1:1
	ds_read2_b64 v[13:16], v35 offset0:2 offset1:3
	s_and_saveexec_b64 s[16:17], s[2:3]
	s_cbranch_execnz .LBB130_51
; %bb.45:                               ;   in Loop: Header=BB130_43 Depth=1
	s_or_b64 exec, exec, s[16:17]
	global_load_dwordx4 v[5:8], v[9:10], off offset:1024
	s_and_saveexec_b64 s[16:17], s[2:3]
	s_cbranch_execnz .LBB130_52
.LBB130_46:                             ;   in Loop: Header=BB130_43 Depth=1
	s_or_b64 exec, exec, s[16:17]
	global_load_dwordx4 v[9:12], v[9:10], off offset:2048
	s_and_saveexec_b64 s[16:17], s[2:3]
	s_cbranch_execz .LBB130_48
.LBB130_47:                             ;   in Loop: Header=BB130_43 Depth=1
	v_add_u32_e32 v41, 1, v38
	v_cmp_gt_i32_e32 vcc, s34, v41
	s_waitcnt vmcnt(0)
	v_cndmask_b32_sdwa v41, v28, v9, vcc dst_sel:DWORD dst_unused:UNUSED_PAD src0_sel:DWORD src1_sel:WORD_1
	v_cmp_gt_i32_e32 vcc, s33, v38
	v_cndmask_b32_e32 v9, 0, v9, vcc
	v_perm_b32 v9, v41, v9, s24
	v_or_b32_e32 v41, 3, v38
	v_or_b32_e32 v42, 2, v38
	v_cmp_gt_i32_e32 vcc, s34, v41
	v_cmp_gt_i32_e64 s[4:5], s33, v42
	v_cndmask_b32_e64 v41, 0, v10, s[4:5]
	v_cndmask_b32_sdwa v10, v28, v10, vcc dst_sel:DWORD dst_unused:UNUSED_PAD src0_sel:DWORD src1_sel:WORD_1
	v_perm_b32 v10, v10, v41, s24
	v_or_b32_e32 v41, 5, v38
	v_or_b32_e32 v42, 4, v38
	v_cmp_gt_i32_e32 vcc, s34, v41
	v_cmp_gt_i32_e64 s[4:5], s33, v42
	v_cndmask_b32_e64 v41, 0, v11, s[4:5]
	v_cndmask_b32_sdwa v11, v28, v11, vcc dst_sel:DWORD dst_unused:UNUSED_PAD src0_sel:DWORD src1_sel:WORD_1
	;; [unrolled: 7-line block ×3, first 2 shown]
	v_perm_b32 v12, v12, v41, s24
.LBB130_48:                             ;   in Loop: Header=BB130_43 Depth=1
	s_or_b64 exec, exec, s[16:17]
	s_waitcnt lgkmcnt(1)
	v_bfe_u32 v41, v17, 16, 1
	v_add3_u32 v41, v41, v17, s25
	v_or_b32_e32 v42, 0x400000, v17
	v_cmp_u_f32_e32 vcc, v17, v17
	v_cndmask_b32_e32 v17, v41, v42, vcc
	v_bfe_u32 v41, v18, 16, 1
	v_add3_u32 v41, v41, v18, s25
	v_or_b32_e32 v42, 0x400000, v18
	v_cmp_u_f32_e32 vcc, v18, v18
	v_cndmask_b32_e32 v18, v41, v42, vcc
	;; [unrolled: 5-line block ×3, first 2 shown]
	v_bfe_u32 v41, v20, 16, 1
	v_add3_u32 v41, v41, v20, s25
	v_or_b32_e32 v42, 0x400000, v20
	v_cmp_u_f32_e32 vcc, v20, v20
	s_waitcnt lgkmcnt(0)
	v_bfe_u32 v20, v13, 16, 1
	v_cndmask_b32_e32 v41, v41, v42, vcc
	v_add3_u32 v20, v20, v13, s25
	v_or_b32_e32 v42, 0x400000, v13
	v_cmp_u_f32_e32 vcc, v13, v13
	v_cndmask_b32_e32 v13, v20, v42, vcc
	v_bfe_u32 v20, v14, 16, 1
	v_add3_u32 v20, v20, v14, s25
	v_or_b32_e32 v42, 0x400000, v14
	v_cmp_u_f32_e32 vcc, v14, v14
	v_cndmask_b32_e32 v14, v20, v42, vcc
	v_bfe_u32 v20, v15, 16, 1
	;; [unrolled: 5-line block ×3, first 2 shown]
	v_add3_u32 v20, v20, v16, s25
	v_or_b32_e32 v42, 0x400000, v16
	v_cmp_u_f32_e32 vcc, v16, v16
	v_cndmask_b32_e32 v16, v20, v42, vcc
	v_perm_b32 v20, v18, v17, s26
	v_perm_b32 v19, v41, v19, s26
	;; [unrolled: 1-line block ×4, first 2 shown]
	s_and_saveexec_b64 s[4:5], s[0:1]
	s_cbranch_execz .LBB130_41
; %bb.49:                               ;   in Loop: Header=BB130_43 Depth=1
	v_add_co_u32_e32 v13, vcc, v39, v37
	v_addc_co_u32_e32 v14, vcc, 0, v40, vcc
	global_load_dwordx4 v[13:16], v[13:14], off
	s_and_saveexec_b64 s[16:17], s[2:3]
	s_cbranch_execz .LBB130_40
; %bb.50:                               ;   in Loop: Header=BB130_43 Depth=1
	v_add_u32_e32 v39, 1, v38
	v_cmp_gt_i32_e32 vcc, s34, v39
	s_waitcnt vmcnt(0)
	v_cndmask_b32_sdwa v39, v28, v13, vcc dst_sel:DWORD dst_unused:UNUSED_PAD src0_sel:DWORD src1_sel:WORD_1
	v_cmp_gt_i32_e32 vcc, s33, v38
	v_cndmask_b32_e32 v13, 0, v13, vcc
	v_perm_b32 v13, v39, v13, s24
	v_or_b32_e32 v39, 3, v38
	v_or_b32_e32 v40, 2, v38
	v_cmp_gt_i32_e32 vcc, s34, v39
	v_cmp_gt_i32_e64 s[2:3], s33, v40
	v_cndmask_b32_e64 v39, 0, v14, s[2:3]
	v_cndmask_b32_sdwa v14, v28, v14, vcc dst_sel:DWORD dst_unused:UNUSED_PAD src0_sel:DWORD src1_sel:WORD_1
	v_perm_b32 v14, v14, v39, s24
	v_or_b32_e32 v39, 5, v38
	v_or_b32_e32 v40, 4, v38
	v_cmp_gt_i32_e32 vcc, s34, v39
	v_cmp_gt_i32_e64 s[2:3], s33, v40
	v_cndmask_b32_e64 v39, 0, v15, s[2:3]
	v_cndmask_b32_sdwa v15, v28, v15, vcc dst_sel:DWORD dst_unused:UNUSED_PAD src0_sel:DWORD src1_sel:WORD_1
	;; [unrolled: 7-line block ×3, first 2 shown]
	v_perm_b32 v16, v16, v38, s24
	s_branch .LBB130_40
.LBB130_51:                             ;   in Loop: Header=BB130_43 Depth=1
	v_add_u32_e32 v5, 1, v38
	v_cmp_gt_i32_e32 vcc, s34, v5
	s_waitcnt vmcnt(0)
	v_cndmask_b32_sdwa v5, v28, v1, vcc dst_sel:DWORD dst_unused:UNUSED_PAD src0_sel:DWORD src1_sel:WORD_1
	v_cmp_gt_i32_e32 vcc, s33, v38
	v_cndmask_b32_e32 v1, 0, v1, vcc
	v_perm_b32 v1, v5, v1, s24
	v_or_b32_e32 v5, 3, v38
	v_or_b32_e32 v6, 2, v38
	v_cmp_gt_i32_e32 vcc, s34, v5
	v_cmp_gt_i32_e64 s[4:5], s33, v6
	v_cndmask_b32_e64 v5, 0, v2, s[4:5]
	v_cndmask_b32_sdwa v2, v28, v2, vcc dst_sel:DWORD dst_unused:UNUSED_PAD src0_sel:DWORD src1_sel:WORD_1
	v_perm_b32 v2, v2, v5, s24
	v_or_b32_e32 v5, 5, v38
	v_or_b32_e32 v6, 4, v38
	v_cmp_gt_i32_e32 vcc, s34, v5
	v_cmp_gt_i32_e64 s[4:5], s33, v6
	v_cndmask_b32_e64 v5, 0, v3, s[4:5]
	v_cndmask_b32_sdwa v3, v28, v3, vcc dst_sel:DWORD dst_unused:UNUSED_PAD src0_sel:DWORD src1_sel:WORD_1
	;; [unrolled: 7-line block ×3, first 2 shown]
	v_perm_b32 v4, v4, v5, s24
	s_or_b64 exec, exec, s[16:17]
	global_load_dwordx4 v[5:8], v[9:10], off offset:1024
	s_and_saveexec_b64 s[16:17], s[2:3]
	s_cbranch_execz .LBB130_46
.LBB130_52:                             ;   in Loop: Header=BB130_43 Depth=1
	v_add_u32_e32 v11, 1, v38
	v_cmp_gt_i32_e32 vcc, s34, v11
	s_waitcnt vmcnt(0)
	v_cndmask_b32_sdwa v11, v28, v5, vcc dst_sel:DWORD dst_unused:UNUSED_PAD src0_sel:DWORD src1_sel:WORD_1
	v_cmp_gt_i32_e32 vcc, s33, v38
	v_cndmask_b32_e32 v5, 0, v5, vcc
	v_perm_b32 v5, v11, v5, s24
	v_or_b32_e32 v11, 3, v38
	v_or_b32_e32 v12, 2, v38
	v_cmp_gt_i32_e32 vcc, s34, v11
	v_cmp_gt_i32_e64 s[4:5], s33, v12
	v_cndmask_b32_e64 v11, 0, v6, s[4:5]
	v_cndmask_b32_sdwa v6, v28, v6, vcc dst_sel:DWORD dst_unused:UNUSED_PAD src0_sel:DWORD src1_sel:WORD_1
	v_perm_b32 v6, v6, v11, s24
	v_or_b32_e32 v11, 5, v38
	v_or_b32_e32 v12, 4, v38
	v_cmp_gt_i32_e32 vcc, s34, v11
	v_cmp_gt_i32_e64 s[4:5], s33, v12
	v_cndmask_b32_e64 v11, 0, v7, s[4:5]
	v_cndmask_b32_sdwa v7, v28, v7, vcc dst_sel:DWORD dst_unused:UNUSED_PAD src0_sel:DWORD src1_sel:WORD_1
	;; [unrolled: 7-line block ×3, first 2 shown]
	v_perm_b32 v8, v8, v11, s24
	s_or_b64 exec, exec, s[16:17]
	global_load_dwordx4 v[9:12], v[9:10], off offset:2048
	s_and_saveexec_b64 s[16:17], s[2:3]
	s_cbranch_execnz .LBB130_47
	s_branch .LBB130_48
.LBB130_53:
	s_or_b64 exec, exec, s[12:13]
.LBB130_54:
	s_or_b64 exec, exec, s[6:7]
	ds_bpermute_b32 v2, v25, v31
	ds_bpermute_b32 v5, v25, v29
	;; [unrolled: 1-line block ×4, first 2 shown]
	v_cmp_eq_u32_e32 vcc, 0, v27
	s_waitcnt lgkmcnt(3)
	v_add_f32_e32 v3, v31, v2
	s_waitcnt lgkmcnt(2)
	v_add_f32_e32 v2, v29, v5
	v_and_b32_e32 v5, 0x3c0, v0
	s_waitcnt lgkmcnt(1)
	v_add_f32_e32 v4, v30, v1
	s_waitcnt lgkmcnt(0)
	v_add_f32_e32 v1, v32, v6
	v_cmp_eq_u32_e64 s[0:1], 64, v5
	s_barrier
	s_and_saveexec_b64 s[2:3], s[0:1]
	s_cbranch_execz .LBB130_59
; %bb.55:
	s_and_saveexec_b64 s[0:1], vcc
	s_cbranch_execz .LBB130_57
; %bb.56:
	v_mov_b32_e32 v5, 0xf0
	v_lshl_add_u32 v5, v26, 2, v5
	ds_write2_b32 v5, v4, v3 offset1:32
	ds_write_b32 v5, v2 offset:256
.LBB130_57:
	s_or_b64 exec, exec, s[0:1]
	v_or_b32_e32 v5, 0x60, v26
	s_movk_i32 s0, 0x70
	v_cmp_gt_u32_e64 s[0:1], s0, v5
	s_and_b64 s[0:1], vcc, s[0:1]
	s_and_b64 exec, exec, s[0:1]
; %bb.58:
	v_mov_b32_e32 v5, 0xf0
	v_lshl_add_u32 v5, v26, 2, v5
	ds_write_b32 v5, v1 offset:384
.LBB130_59:
	s_or_b64 exec, exec, s[2:3]
	v_cmp_gt_u32_e64 s[0:1], 64, v0
	v_lshrrev_b32_e32 v0, 1, v0
	s_waitcnt lgkmcnt(0)
	s_barrier
	s_and_saveexec_b64 s[4:5], s[0:1]
	s_cbranch_execz .LBB130_69
; %bb.60:
	s_and_saveexec_b64 s[2:3], vcc
	s_cbranch_execz .LBB130_62
; %bb.61:
	v_mov_b32_e32 v5, 0xf0
	v_lshl_add_u32 v5, v0, 2, v5
	ds_read_b32 v5, v5
	s_waitcnt lgkmcnt(0)
	v_add_f32_e32 v4, v4, v5
.LBB130_62:
	s_or_b64 exec, exec, s[2:3]
	v_or_b32_e32 v5, 32, v0
	s_movk_i32 s6, 0x70
	v_cmp_gt_u32_e64 s[2:3], s6, v5
	s_and_b64 s[12:13], vcc, s[2:3]
	s_and_saveexec_b64 s[2:3], s[12:13]
	s_cbranch_execz .LBB130_64
; %bb.63:
	v_mov_b32_e32 v5, 0xf0
	v_lshl_add_u32 v5, v0, 2, v5
	ds_read_b32 v5, v5 offset:128
	s_waitcnt lgkmcnt(0)
	v_add_f32_e32 v3, v3, v5
.LBB130_64:
	s_or_b64 exec, exec, s[2:3]
	v_or_b32_e32 v5, 64, v0
	v_cmp_gt_u32_e64 s[2:3], s6, v5
	s_and_b64 s[6:7], vcc, s[2:3]
	s_and_saveexec_b64 s[2:3], s[6:7]
	s_cbranch_execz .LBB130_66
; %bb.65:
	v_mov_b32_e32 v5, 0xf0
	v_lshl_add_u32 v5, v0, 2, v5
	ds_read_b32 v5, v5 offset:256
	s_waitcnt lgkmcnt(0)
	v_add_f32_e32 v2, v2, v5
.LBB130_66:
	s_or_b64 exec, exec, s[2:3]
	v_or_b32_e32 v5, 0x60, v0
	s_movk_i32 s2, 0x70
	v_cmp_gt_u32_e64 s[2:3], s2, v5
	s_and_b64 s[6:7], vcc, s[2:3]
	s_and_saveexec_b64 s[2:3], s[6:7]
	s_cbranch_execz .LBB130_68
; %bb.67:
	v_mov_b32_e32 v5, 0xf0
	v_lshl_add_u32 v5, v0, 2, v5
	ds_read_b32 v5, v5 offset:384
	s_waitcnt lgkmcnt(0)
	v_add_f32_e32 v1, v1, v5
.LBB130_68:
	s_or_b64 exec, exec, s[2:3]
.LBB130_69:
	s_or_b64 exec, exec, s[4:5]
	s_barrier
	s_and_saveexec_b64 s[2:3], s[0:1]
	s_cbranch_execz .LBB130_78
; %bb.70:
	s_mul_i32 s0, s10, s11
	s_mul_i32 s0, s0, s9
	s_mulk_i32 s0, 0x70
	s_ashr_i32 s1, s0, 31
	s_lshl_b64 s[0:1], s[0:1], 1
	s_add_u32 s2, s22, s0
	s_mul_i32 s0, s11, s20
	s_addc_u32 s3, s23, s1
	s_ashr_i32 s1, s0, 31
	s_lshl_b64 s[0:1], s[0:1], 1
	s_add_u32 s2, s2, s0
	s_mul_i32 s0, s8, 0x70
	s_addc_u32 s3, s3, s1
	s_ashr_i32 s1, s0, 31
	s_lshl_b64 s[0:1], s[0:1], 1
	s_add_u32 s2, s2, s0
	s_movk_i32 s6, 0x70
	s_addc_u32 s3, s3, s1
	v_lshlrev_b32_e32 v5, 1, v0
	s_and_saveexec_b64 s[4:5], vcc
	s_cbranch_execz .LBB130_72
; %bb.71:
	v_bfe_u32 v6, v4, 16, 1
	s_movk_i32 s0, 0x7fff
	v_add3_u32 v6, v6, v4, s0
	v_or_b32_e32 v7, 0x400000, v4
	v_cmp_u_f32_e64 s[0:1], v4, v4
	v_cndmask_b32_e64 v4, v6, v7, s[0:1]
	global_store_short_d16_hi v5, v4, s[2:3]
.LBB130_72:
	s_or_b64 exec, exec, s[4:5]
	v_or_b32_e32 v4, 32, v0
	v_cmp_gt_u32_e64 s[0:1], s6, v4
	s_and_b64 s[0:1], vcc, s[0:1]
	s_and_saveexec_b64 s[4:5], s[0:1]
	s_cbranch_execz .LBB130_74
; %bb.73:
	v_bfe_u32 v4, v3, 16, 1
	s_movk_i32 s0, 0x7fff
	v_add3_u32 v4, v4, v3, s0
	v_or_b32_e32 v6, 0x400000, v3
	v_cmp_u_f32_e64 s[0:1], v3, v3
	v_cndmask_b32_e64 v3, v4, v6, s[0:1]
	global_store_short_d16_hi v5, v3, s[2:3] offset:64
.LBB130_74:
	s_or_b64 exec, exec, s[4:5]
	v_or_b32_e32 v3, 64, v0
	v_cmp_gt_u32_e64 s[0:1], s6, v3
	s_and_b64 s[0:1], vcc, s[0:1]
	s_and_saveexec_b64 s[4:5], s[0:1]
	s_cbranch_execz .LBB130_76
; %bb.75:
	v_bfe_u32 v3, v2, 16, 1
	s_movk_i32 s0, 0x7fff
	v_add3_u32 v3, v3, v2, s0
	v_or_b32_e32 v4, 0x400000, v2
	v_cmp_u_f32_e64 s[0:1], v2, v2
	v_cndmask_b32_e64 v2, v3, v4, s[0:1]
	global_store_short_d16_hi v5, v2, s[2:3] offset:128
.LBB130_76:
	s_or_b64 exec, exec, s[4:5]
	v_or_b32_e32 v0, 0x60, v0
	v_cmp_gt_u32_e64 s[0:1], s6, v0
	s_and_b64 s[0:1], vcc, s[0:1]
	s_and_b64 exec, exec, s[0:1]
	s_cbranch_execz .LBB130_78
; %bb.77:
	v_bfe_u32 v0, v1, 16, 1
	s_movk_i32 s0, 0x7fff
	v_add3_u32 v0, v0, v1, s0
	v_or_b32_e32 v2, 0x400000, v1
	v_cmp_u_f32_e32 vcc, v1, v1
	v_cndmask_b32_e32 v0, v0, v2, vcc
	global_store_short_d16_hi v5, v0, s[2:3] offset:192
.LBB130_78:
	s_endpgm
	.section	.rodata,"a",@progbits
	.p2align	6, 0x0
	.amdhsa_kernel _ZN4vllm25paged_attention_v1_kernelI14__hip_bfloat16S1_Li112ELi16ELi128ELNS_18Fp8KVCacheDataTypeE0ELb1EEEvPT_PKS3_PKT0_S9_ifPKiSB_iPKfiiiSD_SD_iiiii
		.amdhsa_group_segment_fixed_size 240
		.amdhsa_private_segment_fixed_size 0
		.amdhsa_kernarg_size 384
		.amdhsa_user_sgpr_count 6
		.amdhsa_user_sgpr_private_segment_buffer 1
		.amdhsa_user_sgpr_dispatch_ptr 0
		.amdhsa_user_sgpr_queue_ptr 0
		.amdhsa_user_sgpr_kernarg_segment_ptr 1
		.amdhsa_user_sgpr_dispatch_id 0
		.amdhsa_user_sgpr_flat_scratch_init 0
		.amdhsa_user_sgpr_private_segment_size 0
		.amdhsa_uses_dynamic_stack 0
		.amdhsa_system_sgpr_private_segment_wavefront_offset 0
		.amdhsa_system_sgpr_workgroup_id_x 1
		.amdhsa_system_sgpr_workgroup_id_y 1
		.amdhsa_system_sgpr_workgroup_id_z 1
		.amdhsa_system_sgpr_workgroup_info 0
		.amdhsa_system_vgpr_workitem_id 0
		.amdhsa_next_free_vgpr 55
		.amdhsa_next_free_sgpr 44
		.amdhsa_reserve_vcc 1
		.amdhsa_reserve_flat_scratch 0
		.amdhsa_float_round_mode_32 0
		.amdhsa_float_round_mode_16_64 0
		.amdhsa_float_denorm_mode_32 3
		.amdhsa_float_denorm_mode_16_64 3
		.amdhsa_dx10_clamp 1
		.amdhsa_ieee_mode 1
		.amdhsa_fp16_overflow 0
		.amdhsa_exception_fp_ieee_invalid_op 0
		.amdhsa_exception_fp_denorm_src 0
		.amdhsa_exception_fp_ieee_div_zero 0
		.amdhsa_exception_fp_ieee_overflow 0
		.amdhsa_exception_fp_ieee_underflow 0
		.amdhsa_exception_fp_ieee_inexact 0
		.amdhsa_exception_int_div_zero 0
	.end_amdhsa_kernel
	.section	.text._ZN4vllm25paged_attention_v1_kernelI14__hip_bfloat16S1_Li112ELi16ELi128ELNS_18Fp8KVCacheDataTypeE0ELb1EEEvPT_PKS3_PKT0_S9_ifPKiSB_iPKfiiiSD_SD_iiiii,"axG",@progbits,_ZN4vllm25paged_attention_v1_kernelI14__hip_bfloat16S1_Li112ELi16ELi128ELNS_18Fp8KVCacheDataTypeE0ELb1EEEvPT_PKS3_PKT0_S9_ifPKiSB_iPKfiiiSD_SD_iiiii,comdat
.Lfunc_end130:
	.size	_ZN4vllm25paged_attention_v1_kernelI14__hip_bfloat16S1_Li112ELi16ELi128ELNS_18Fp8KVCacheDataTypeE0ELb1EEEvPT_PKS3_PKT0_S9_ifPKiSB_iPKfiiiSD_SD_iiiii, .Lfunc_end130-_ZN4vllm25paged_attention_v1_kernelI14__hip_bfloat16S1_Li112ELi16ELi128ELNS_18Fp8KVCacheDataTypeE0ELb1EEEvPT_PKS3_PKT0_S9_ifPKiSB_iPKfiiiSD_SD_iiiii
                                        ; -- End function
	.set _ZN4vllm25paged_attention_v1_kernelI14__hip_bfloat16S1_Li112ELi16ELi128ELNS_18Fp8KVCacheDataTypeE0ELb1EEEvPT_PKS3_PKT0_S9_ifPKiSB_iPKfiiiSD_SD_iiiii.num_vgpr, 55
	.set _ZN4vllm25paged_attention_v1_kernelI14__hip_bfloat16S1_Li112ELi16ELi128ELNS_18Fp8KVCacheDataTypeE0ELb1EEEvPT_PKS3_PKT0_S9_ifPKiSB_iPKfiiiSD_SD_iiiii.num_agpr, 0
	.set _ZN4vllm25paged_attention_v1_kernelI14__hip_bfloat16S1_Li112ELi16ELi128ELNS_18Fp8KVCacheDataTypeE0ELb1EEEvPT_PKS3_PKT0_S9_ifPKiSB_iPKfiiiSD_SD_iiiii.numbered_sgpr, 44
	.set _ZN4vllm25paged_attention_v1_kernelI14__hip_bfloat16S1_Li112ELi16ELi128ELNS_18Fp8KVCacheDataTypeE0ELb1EEEvPT_PKS3_PKT0_S9_ifPKiSB_iPKfiiiSD_SD_iiiii.num_named_barrier, 0
	.set _ZN4vllm25paged_attention_v1_kernelI14__hip_bfloat16S1_Li112ELi16ELi128ELNS_18Fp8KVCacheDataTypeE0ELb1EEEvPT_PKS3_PKT0_S9_ifPKiSB_iPKfiiiSD_SD_iiiii.private_seg_size, 0
	.set _ZN4vllm25paged_attention_v1_kernelI14__hip_bfloat16S1_Li112ELi16ELi128ELNS_18Fp8KVCacheDataTypeE0ELb1EEEvPT_PKS3_PKT0_S9_ifPKiSB_iPKfiiiSD_SD_iiiii.uses_vcc, 1
	.set _ZN4vllm25paged_attention_v1_kernelI14__hip_bfloat16S1_Li112ELi16ELi128ELNS_18Fp8KVCacheDataTypeE0ELb1EEEvPT_PKS3_PKT0_S9_ifPKiSB_iPKfiiiSD_SD_iiiii.uses_flat_scratch, 0
	.set _ZN4vllm25paged_attention_v1_kernelI14__hip_bfloat16S1_Li112ELi16ELi128ELNS_18Fp8KVCacheDataTypeE0ELb1EEEvPT_PKS3_PKT0_S9_ifPKiSB_iPKfiiiSD_SD_iiiii.has_dyn_sized_stack, 0
	.set _ZN4vllm25paged_attention_v1_kernelI14__hip_bfloat16S1_Li112ELi16ELi128ELNS_18Fp8KVCacheDataTypeE0ELb1EEEvPT_PKS3_PKT0_S9_ifPKiSB_iPKfiiiSD_SD_iiiii.has_recursion, 0
	.set _ZN4vllm25paged_attention_v1_kernelI14__hip_bfloat16S1_Li112ELi16ELi128ELNS_18Fp8KVCacheDataTypeE0ELb1EEEvPT_PKS3_PKT0_S9_ifPKiSB_iPKfiiiSD_SD_iiiii.has_indirect_call, 0
	.section	.AMDGPU.csdata,"",@progbits
; Kernel info:
; codeLenInByte = 7388
; TotalNumSgprs: 48
; NumVgprs: 55
; ScratchSize: 0
; MemoryBound: 0
; FloatMode: 240
; IeeeMode: 1
; LDSByteSize: 240 bytes/workgroup (compile time only)
; SGPRBlocks: 5
; VGPRBlocks: 13
; NumSGPRsForWavesPerEU: 48
; NumVGPRsForWavesPerEU: 55
; Occupancy: 4
; WaveLimiterHint : 1
; COMPUTE_PGM_RSRC2:SCRATCH_EN: 0
; COMPUTE_PGM_RSRC2:USER_SGPR: 6
; COMPUTE_PGM_RSRC2:TRAP_HANDLER: 0
; COMPUTE_PGM_RSRC2:TGID_X_EN: 1
; COMPUTE_PGM_RSRC2:TGID_Y_EN: 1
; COMPUTE_PGM_RSRC2:TGID_Z_EN: 1
; COMPUTE_PGM_RSRC2:TIDIG_COMP_CNT: 0
	.section	.text._ZN4vllm25paged_attention_v1_kernelI14__hip_bfloat16S1_Li120ELi16ELi128ELNS_18Fp8KVCacheDataTypeE0ELb1EEEvPT_PKS3_PKT0_S9_ifPKiSB_iPKfiiiSD_SD_iiiii,"axG",@progbits,_ZN4vllm25paged_attention_v1_kernelI14__hip_bfloat16S1_Li120ELi16ELi128ELNS_18Fp8KVCacheDataTypeE0ELb1EEEvPT_PKS3_PKT0_S9_ifPKiSB_iPKfiiiSD_SD_iiiii,comdat
	.protected	_ZN4vllm25paged_attention_v1_kernelI14__hip_bfloat16S1_Li120ELi16ELi128ELNS_18Fp8KVCacheDataTypeE0ELb1EEEvPT_PKS3_PKT0_S9_ifPKiSB_iPKfiiiSD_SD_iiiii ; -- Begin function _ZN4vllm25paged_attention_v1_kernelI14__hip_bfloat16S1_Li120ELi16ELi128ELNS_18Fp8KVCacheDataTypeE0ELb1EEEvPT_PKS3_PKT0_S9_ifPKiSB_iPKfiiiSD_SD_iiiii
	.globl	_ZN4vllm25paged_attention_v1_kernelI14__hip_bfloat16S1_Li120ELi16ELi128ELNS_18Fp8KVCacheDataTypeE0ELb1EEEvPT_PKS3_PKT0_S9_ifPKiSB_iPKfiiiSD_SD_iiiii
	.p2align	8
	.type	_ZN4vllm25paged_attention_v1_kernelI14__hip_bfloat16S1_Li120ELi16ELi128ELNS_18Fp8KVCacheDataTypeE0ELb1EEEvPT_PKS3_PKT0_S9_ifPKiSB_iPKfiiiSD_SD_iiiii,@function
_ZN4vllm25paged_attention_v1_kernelI14__hip_bfloat16S1_Li120ELi16ELi128ELNS_18Fp8KVCacheDataTypeE0ELb1EEEvPT_PKS3_PKT0_S9_ifPKiSB_iPKfiiiSD_SD_iiiii: ; @_ZN4vllm25paged_attention_v1_kernelI14__hip_bfloat16S1_Li120ELi16ELi128ELNS_18Fp8KVCacheDataTypeE0ELb1EEEvPT_PKS3_PKT0_S9_ifPKiSB_iPKfiiiSD_SD_iiiii
; %bb.0:
	s_load_dword s9, s[4:5], 0x80
	s_load_dwordx2 s[0:1], s[4:5], 0x30
	s_load_dwordx2 s[30:31], s[4:5], 0x20
	s_mov_b32 s10, s7
	s_ashr_i32 s11, s7, 31
	s_lshl_b64 s[2:3], s[10:11], 2
	s_waitcnt lgkmcnt(0)
	s_add_u32 s0, s0, s2
	s_addc_u32 s1, s1, s3
	s_abs_i32 s2, s30
	v_cvt_f32_u32_e32 v1, s2
	s_sub_i32 s11, 0, s2
	s_abs_i32 s7, s9
	s_xor_b32 s3, s9, s30
	v_rcp_iflag_f32_e32 v1, v1
	s_ashr_i32 s3, s3, 31
	s_mov_b32 s43, 0
	v_mul_f32_e32 v1, 0x4f7ffffe, v1
	v_cvt_u32_f32_e32 v1, v1
	v_readfirstlane_b32 s12, v1
	s_mul_i32 s11, s11, s12
	s_mul_hi_u32 s11, s12, s11
	s_add_i32 s12, s12, s11
	s_mul_hi_u32 s11, s7, s12
	s_mul_i32 s12, s11, s2
	s_sub_i32 s7, s7, s12
	s_add_i32 s12, s11, 1
	s_sub_i32 s13, s7, s2
	s_cmp_ge_u32 s7, s2
	s_cselect_b32 s11, s12, s11
	s_cselect_b32 s7, s13, s7
	s_add_i32 s12, s11, 1
	s_cmp_ge_u32 s7, s2
	s_cselect_b32 s2, s12, s11
	s_xor_b32 s2, s2, s3
	s_sub_i32 s12, s2, s3
	s_abs_i32 s11, s12
	v_cvt_f32_u32_e32 v1, s11
	s_load_dwordx2 s[2:3], s[4:5], 0x40
	s_sub_i32 s7, 0, s11
	s_abs_i32 s22, s6
	v_rcp_iflag_f32_e32 v1, v1
	v_mul_f32_e32 v1, 0x4f7ffffe, v1
	v_cvt_u32_f32_e32 v1, v1
	v_readfirstlane_b32 s13, v1
	s_mul_i32 s7, s7, s13
	s_mul_hi_u32 s7, s13, s7
	s_add_i32 s13, s13, s7
	s_waitcnt lgkmcnt(0)
	s_cmp_eq_u64 s[2:3], 0
	s_mul_hi_u32 s23, s22, s13
	s_cbranch_scc1 .LBB131_2
; %bb.1:
	s_ashr_i32 s7, s6, 31
	s_lshl_b64 s[14:15], s[6:7], 2
	s_add_u32 s2, s2, s14
	s_addc_u32 s3, s3, s15
	s_load_dword s43, s[2:3], 0x0
.LBB131_2:
	s_load_dword s33, s[0:1], 0x0
	s_ashr_i32 s7, s12, 31
	s_load_dwordx4 s[12:15], s[4:5], 0x48
	s_ashr_i32 s2, s6, 31
	v_and_b32_e32 v1, 3, v0
	s_mul_i32 s20, s6, 0x78
	v_cmp_gt_u32_e32 vcc, 60, v0
	v_lshlrev_b32_e32 v2, 2, v0
	s_and_saveexec_b64 s[0:1], vcc
	s_cbranch_execz .LBB131_4
; %bb.3:
	s_load_dwordx2 s[16:17], s[4:5], 0x8
	s_waitcnt lgkmcnt(0)
	s_mul_i32 s18, s12, s10
	s_ashr_i32 s19, s18, 31
	s_lshl_b64 s[18:19], s[18:19], 1
	v_and_b32_e32 v4, 0x3fc, v0
	s_add_u32 s3, s16, s18
	s_addc_u32 s12, s17, s19
	s_ashr_i32 s21, s20, 31
	s_lshl_b64 s[16:17], s[20:21], 1
	s_add_u32 s16, s3, s16
	s_addc_u32 s17, s12, s17
	global_load_dword v3, v2, s[16:17]
	v_mad_u32_u24 v4, v1, 60, v4
	s_waitcnt vmcnt(0)
	ds_write_b32 v4, v3
.LBB131_4:
	s_or_b64 exec, exec, s[0:1]
	s_mul_i32 s1, s23, s11
	s_sub_i32 s1, s22, s1
	s_xor_b32 s0, s2, s7
	s_add_i32 s2, s23, 1
	s_sub_i32 s7, s1, s11
	s_load_dwordx4 s[16:19], s[4:5], 0x68
	s_load_dword s3, s[4:5], 0x78
	s_cmp_ge_u32 s1, s11
	s_cselect_b32 s2, s2, s23
	s_cselect_b32 s1, s7, s1
	s_add_i32 s7, s2, 1
	s_cmp_ge_u32 s1, s11
	s_cselect_b32 s1, s7, s2
	s_waitcnt lgkmcnt(0)
	s_abs_i32 s21, s19
	v_cvt_f32_u32_e32 v3, s21
	s_xor_b32 s1, s1, s0
	s_sub_i32 s2, s1, s0
	s_sub_i32 s0, 0, s21
	v_rcp_iflag_f32_e32 v3, v3
	s_add_i32 s11, s33, -1
	s_abs_i32 s7, s11
	v_mul_f32_e32 v3, 0x4f7ffffe, v3
	v_cvt_u32_f32_e32 v3, v3
	s_barrier
	v_readfirstlane_b32 s40, v3
	s_mul_i32 s0, s0, s40
	s_mul_hi_u32 s0, s40, s0
	s_add_i32 s40, s40, s0
	s_cmp_lt_i32 s3, 0
	s_mul_hi_u32 s12, s7, s40
	s_cbranch_scc0 .LBB131_6
; %bb.5:
	s_mul_i32 s0, s16, s30
	s_add_i32 s0, s2, s0
	s_mul_i32 s0, s0, s3
	s_sub_i32 s41, 1, s0
	s_mov_b64 s[0:1], 0
	s_branch .LBB131_7
.LBB131_6:
	s_mov_b64 s[0:1], -1
                                        ; implicit-def: $sgpr41
.LBB131_7:
	s_load_dwordx2 s[24:25], s[4:5], 0x28
	s_ashr_i32 s15, s11, 31
	s_andn2_b64 vcc, exec, s[0:1]
	s_ashr_i32 s19, s19, 31
	s_cbranch_vccnz .LBB131_9
; %bb.8:
	s_mul_i32 s0, s9, s16
	s_add_i32 s0, s0, s6
	s_mul_i32 s0, s0, s3
	s_add_i32 s41, s0, 1
.LBB131_9:
	s_load_dword s0, s[4:5], 0x38
	s_load_dwordx2 s[22:23], s[4:5], 0x0
	s_load_dwordx2 s[28:29], s[4:5], 0x18
	s_load_dword s11, s[4:5], 0x88
	s_xor_b32 s1, s15, s19
	s_waitcnt lgkmcnt(0)
	s_mul_i32 s26, s0, s10
	s_mul_i32 s0, s12, s21
	s_sub_i32 s0, s7, s0
	s_ashr_i32 s27, s26, 31
	s_add_i32 s3, s12, 1
	s_sub_i32 s6, s0, s21
	s_cmp_ge_u32 s0, s21
	s_cselect_b32 s3, s3, s12
	s_cselect_b32 s0, s6, s0
	s_add_i32 s6, s3, 1
	s_cmp_ge_u32 s0, s21
	s_cselect_b32 s0, s6, s3
	s_xor_b32 s0, s0, s1
	s_sub_i32 s12, s0, s1
	s_add_i32 s0, s33, 15
	s_ashr_i32 s1, s0, 31
	s_lshr_b32 s1, s1, 28
	s_add_i32 s0, s0, s1
	s_ashr_i32 s42, s0, 4
	v_lshrrev_b32_e32 v23, 6, v0
	v_cmp_le_i32_e64 s[0:1], s42, v23
	v_cmp_gt_i32_e32 vcc, s42, v23
	v_mov_b32_e32 v10, 0xff7fffff
	s_mul_i32 s14, s2, s14
	v_lshrrev_b32_e32 v5, 4, v0
	v_lshlrev_b32_e32 v24, 4, v23
	v_mbcnt_lo_u32_b32 v6, -1, 0
	s_and_saveexec_b64 s[34:35], vcc
	s_cbranch_execz .LBB131_21
; %bb.10:
	s_load_dwordx2 s[2:3], s[4:5], 0x10
	s_ashr_i32 s15, s14, 31
	s_sub_i32 s16, s12, s17
	s_lshl_b64 s[4:5], s[14:15], 1
	v_bfe_u32 v7, v0, 2, 4
	s_waitcnt lgkmcnt(0)
	s_add_u32 s2, s2, s4
	s_addc_u32 s3, s3, s5
	s_abs_i32 s15, s18
	v_cvt_f32_u32_e32 v3, s15
	v_mov_b32_e32 v8, s3
	s_sub_i32 s3, 0, s15
	v_lshlrev_b32_e32 v4, 4, v7
	v_rcp_iflag_f32_e32 v3, v3
	s_lshl_b64 s[4:5], s[26:27], 2
	v_and_b32_e32 v2, 12, v2
	s_add_u32 s4, s24, s4
	v_mul_f32_e32 v3, 0x4f7ffffe, v3
	v_cvt_u32_f32_e32 v3, v3
	v_cmp_eq_u32_e32 vcc, 0, v1
	v_mul_u32_u24_e32 v11, 60, v1
	v_and_b32_e32 v1, 60, v5
	v_mul_lo_u32 v9, s3, v3
	v_add_co_u32_e64 v4, s[2:3], s2, v4
	v_addc_co_u32_e64 v10, s[2:3], 0, v8, s[2:3]
	v_mul_hi_u32 v12, v3, v9
	v_add_co_u32_e64 v8, s[2:3], v4, v2
	s_addc_u32 s5, s25, s5
	v_add_u32_e32 v12, v3, v12
	v_subrev_u32_e32 v3, s33, v7
	v_add_u32_e32 v14, 1, v3
	v_lshlrev_b32_e32 v3, 2, v7
	v_lshl_or_b32 v3, v23, 6, v3
	v_mbcnt_hi_u32_b32 v17, -1, v6
	v_addc_co_u32_e64 v9, s[2:3], 0, v10, s[2:3]
	v_mov_b32_e32 v2, s5
	v_add_co_u32_e64 v1, s[4:5], s4, v1
	v_add_u32_e32 v15, 0x100, v3
	v_and_b32_e32 v3, 64, v17
	s_mov_b32 s30, s13
	v_cmp_neq_f32_e64 s[2:3], s43, 0
	v_addc_co_u32_e64 v2, s[4:5], 0, v2, s[4:5]
	v_lshlrev_b32_e32 v13, 4, v23
	v_mov_b32_e32 v16, 0xff7fffff
	s_mov_b64 s[36:37], 0
	v_add_u32_e32 v18, 64, v3
	v_xor_b32_e32 v19, 2, v17
	v_xor_b32_e32 v20, 1, v17
	v_mov_b32_e32 v10, 0xff7fffff
	v_mov_b32_e32 v21, v23
	s_branch .LBB131_13
.LBB131_11:                             ;   in Loop: Header=BB131_13 Depth=1
	s_or_b64 exec, exec, s[38:39]
.LBB131_12:                             ;   in Loop: Header=BB131_13 Depth=1
	s_or_b64 exec, exec, s[6:7]
	v_add_co_u32_e64 v1, s[4:5], 8, v1
	v_add_u32_e32 v21, 2, v21
	v_addc_co_u32_e64 v2, s[4:5], 0, v2, s[4:5]
	v_cmp_le_i32_e64 s[4:5], s42, v21
	v_add_u32_e32 v13, 32, v13
	s_or_b64 s[36:37], s[4:5], s[36:37]
	v_add_u32_e32 v15, 0x80, v15
	s_andn2_b64 exec, exec, s[36:37]
	s_cbranch_execz .LBB131_20
.LBB131_13:                             ; =>This Inner Loop Header: Depth=1
	v_mul_hi_u32 v3, v13, s40
	s_waitcnt lgkmcnt(0)
	v_mul_lo_u32 v4, v3, s21
	v_add_u32_e32 v22, 1, v3
	v_sub_u32_e32 v4, v13, v4
	v_cmp_le_u32_e64 s[4:5], s21, v4
	v_cndmask_b32_e64 v3, v3, v22, s[4:5]
	v_subrev_u32_e32 v22, s21, v4
	v_cndmask_b32_e64 v4, v4, v22, s[4:5]
	v_add_u32_e32 v22, 1, v3
	v_cmp_le_u32_e64 s[4:5], s21, v4
	v_cndmask_b32_e64 v3, v3, v22, s[4:5]
	v_xor_b32_e32 v3, s19, v3
	v_subrev_u32_e32 v3, s19, v3
	v_add_u32_e32 v4, s41, v3
	v_sub_u32_e32 v22, 0, v4
	v_max_i32_e32 v22, v4, v22
	v_mul_hi_u32 v25, v22, v12
	v_ashrrev_i32_e32 v4, 31, v4
	v_cmp_ge_i32_e64 s[6:7], s16, v3
	v_mul_lo_u32 v25, v25, s15
	v_sub_u32_e32 v22, v22, v25
	v_subrev_u32_e32 v25, s15, v22
	v_cmp_le_u32_e64 s[4:5], s15, v22
	v_cndmask_b32_e64 v22, v22, v25, s[4:5]
	v_subrev_u32_e32 v25, s15, v22
	v_cmp_le_u32_e64 s[4:5], s15, v22
	v_cndmask_b32_e64 v22, v22, v25, s[4:5]
	v_xor_b32_e32 v22, v22, v4
	v_sub_u32_e32 v4, v22, v4
	v_cmp_ne_u32_e64 s[4:5], 0, v4
	s_and_b64 s[4:5], s[4:5], s[6:7]
	s_and_saveexec_b64 s[6:7], s[4:5]
	s_xor_b64 s[4:5], exec, s[6:7]
	s_cbranch_execz .LBB131_17
; %bb.14:                               ;   in Loop: Header=BB131_13 Depth=1
	s_and_saveexec_b64 s[6:7], vcc
; %bb.15:                               ;   in Loop: Header=BB131_13 Depth=1
	ds_write_b32 v15, v16
; %bb.16:                               ;   in Loop: Header=BB131_13 Depth=1
	s_or_b64 exec, exec, s[6:7]
.LBB131_17:                             ;   in Loop: Header=BB131_13 Depth=1
	s_andn2_saveexec_b64 s[6:7], s[4:5]
	s_cbranch_execz .LBB131_12
; %bb.18:                               ;   in Loop: Header=BB131_13 Depth=1
	global_load_dword v3, v[1:2], off
	s_waitcnt vmcnt(0)
	v_mad_i64_i32 v[3:4], s[4:5], v3, s30, 0
	v_lshlrev_b64 v[3:4], 1, v[3:4]
	v_add_co_u32_e64 v3, s[4:5], v8, v3
	v_addc_co_u32_e64 v4, s[4:5], v9, v4, s[4:5]
	global_load_dword v32, v[3:4], off offset:256
	global_load_dword v36, v[3:4], off offset:512
	;; [unrolled: 1-line block ×7, first 2 shown]
	global_load_dword v37, v[3:4], off
	global_load_dword v28, v[3:4], off offset:2048
	global_load_dword v31, v[3:4], off offset:2304
	;; [unrolled: 1-line block ×6, first 2 shown]
	ds_read2_b32 v[38:39], v11 offset1:1
	ds_read2_b32 v[40:41], v11 offset0:2 offset1:3
	ds_read2_b32 v[42:43], v11 offset0:4 offset1:5
	;; [unrolled: 1-line block ×3, first 2 shown]
	global_load_dword v3, v[3:4], off offset:3584
	s_waitcnt lgkmcnt(3)
	v_lshlrev_b32_e32 v4, 16, v39
	v_lshlrev_b32_e32 v46, 16, v38
	v_and_b32_e32 v47, 0xffff0000, v38
	v_and_b32_e32 v48, 0xffff0000, v39
	s_waitcnt lgkmcnt(2)
	v_lshlrev_b32_e32 v49, 16, v40
	v_and_b32_e32 v50, 0xffff0000, v40
	v_lshlrev_b32_e32 v51, 16, v41
	v_and_b32_e32 v52, 0xffff0000, v41
	s_waitcnt lgkmcnt(1)
	v_lshlrev_b32_e32 v53, 16, v42
	v_and_b32_e32 v54, 0xffff0000, v42
	v_lshlrev_b32_e32 v55, 16, v43
	v_and_b32_e32 v56, 0xffff0000, v43
	v_cmp_lt_i32_e64 s[4:5], v19, v18
	s_waitcnt vmcnt(14)
	v_lshlrev_b32_e32 v38, 16, v32
	v_mul_f32_e32 v4, v4, v38
	v_and_b32_e32 v32, 0xffff0000, v32
	v_mul_f32_e32 v32, v48, v32
	v_cndmask_b32_e64 v48, v17, v19, s[4:5]
	v_lshlrev_b32_e32 v48, 2, v48
	v_cmp_lt_i32_e64 s[4:5], v20, v18
	s_waitcnt vmcnt(7)
	v_lshlrev_b32_e32 v39, 16, v37
	v_fmac_f32_e32 v4, v46, v39
	ds_read2_b32 v[38:39], v11 offset0:8 offset1:9
	ds_read2_b32 v[40:41], v11 offset0:10 offset1:11
	;; [unrolled: 1-line block ×3, first 2 shown]
	ds_read_b32 v46, v11 offset:56
	v_and_b32_e32 v37, 0xffff0000, v37
	v_fmac_f32_e32 v32, v47, v37
	v_lshlrev_b32_e32 v47, 16, v36
	v_and_b32_e32 v36, 0xffff0000, v36
	v_fmac_f32_e32 v4, v49, v47
	v_fmac_f32_e32 v32, v50, v36
	v_lshlrev_b32_e32 v50, 16, v29
	v_and_b32_e32 v29, 0xffff0000, v29
	v_fmac_f32_e32 v4, v51, v50
	s_waitcnt lgkmcnt(2)
	v_lshlrev_b32_e32 v50, 16, v40
	v_fmac_f32_e32 v32, v52, v29
	v_and_b32_e32 v29, 0xffff0000, v40
	v_lshlrev_b32_e32 v40, 16, v27
	v_and_b32_e32 v27, 0xffff0000, v27
	v_fmac_f32_e32 v4, v53, v40
	v_fmac_f32_e32 v32, v54, v27
	v_lshlrev_b32_e32 v27, 16, v26
	v_and_b32_e32 v26, 0xffff0000, v26
	v_lshlrev_b32_e32 v37, 16, v44
	v_and_b32_e32 v44, 0xffff0000, v44
	;; [unrolled: 2-line block ×3, first 2 shown]
	v_fmac_f32_e32 v4, v55, v27
	v_fmac_f32_e32 v32, v56, v26
	v_lshlrev_b32_e32 v47, 16, v45
	v_and_b32_e32 v45, 0xffff0000, v45
	v_lshlrev_b32_e32 v27, 16, v22
	v_and_b32_e32 v22, 0xffff0000, v22
	v_fmac_f32_e32 v4, v37, v54
	v_fmac_f32_e32 v32, v44, v25
	v_lshlrev_b32_e32 v49, 16, v38
	v_and_b32_e32 v36, 0xffff0000, v38
	s_waitcnt vmcnt(6)
	v_lshlrev_b32_e32 v55, 16, v28
	v_and_b32_e32 v28, 0xffff0000, v28
	v_fmac_f32_e32 v4, v47, v27
	v_fmac_f32_e32 v32, v45, v22
	v_lshlrev_b32_e32 v38, 16, v39
	v_and_b32_e32 v39, 0xffff0000, v39
	s_waitcnt vmcnt(5)
	v_lshlrev_b32_e32 v26, 16, v31
	v_and_b32_e32 v31, 0xffff0000, v31
	v_fmac_f32_e32 v4, v49, v55
	v_fmac_f32_e32 v32, v36, v28
	s_waitcnt vmcnt(4)
	v_lshlrev_b32_e32 v56, 16, v35
	v_and_b32_e32 v35, 0xffff0000, v35
	v_fmac_f32_e32 v4, v38, v26
	v_fmac_f32_e32 v32, v39, v31
	v_lshlrev_b32_e32 v51, 16, v41
	v_and_b32_e32 v41, 0xffff0000, v41
	s_waitcnt vmcnt(3)
	v_lshlrev_b32_e32 v37, 16, v34
	v_and_b32_e32 v34, 0xffff0000, v34
	v_fmac_f32_e32 v4, v50, v56
	v_fmac_f32_e32 v32, v29, v35
	s_waitcnt lgkmcnt(1)
	v_lshlrev_b32_e32 v40, 16, v42
	v_and_b32_e32 v42, 0xffff0000, v42
	s_waitcnt vmcnt(2)
	v_lshlrev_b32_e32 v54, 16, v33
	v_and_b32_e32 v33, 0xffff0000, v33
	v_fmac_f32_e32 v4, v51, v37
	v_fmac_f32_e32 v32, v41, v34
	v_lshlrev_b32_e32 v52, 16, v43
	v_and_b32_e32 v43, 0xffff0000, v43
	s_waitcnt vmcnt(1)
	v_lshlrev_b32_e32 v25, 16, v30
	v_and_b32_e32 v30, 0xffff0000, v30
	v_fmac_f32_e32 v4, v40, v54
	v_fmac_f32_e32 v32, v42, v33
	s_waitcnt lgkmcnt(0)
	v_lshlrev_b32_e32 v53, 16, v46
	v_and_b32_e32 v46, 0xffff0000, v46
	s_waitcnt vmcnt(0)
	v_lshlrev_b32_e32 v44, 16, v3
	v_and_b32_e32 v3, 0xffff0000, v3
	v_fmac_f32_e32 v4, v52, v25
	v_fmac_f32_e32 v32, v43, v30
	;; [unrolled: 1-line block ×4, first 2 shown]
	v_add_f32_e32 v3, v4, v32
	ds_bpermute_b32 v4, v48, v3
	v_cndmask_b32_e64 v22, v17, v20, s[4:5]
	v_lshlrev_b32_e32 v22, 2, v22
	s_waitcnt lgkmcnt(0)
	v_add_f32_e32 v3, v3, v4
	ds_bpermute_b32 v4, v22, v3
	s_and_saveexec_b64 s[38:39], vcc
	s_cbranch_execz .LBB131_11
; %bb.19:                               ;   in Loop: Header=BB131_13 Depth=1
	v_add_u32_e32 v22, v14, v13
	v_cvt_f32_i32_e32 v22, v22
	s_waitcnt lgkmcnt(0)
	v_add_f32_e32 v3, v3, v4
	v_add_u32_e32 v25, v7, v13
	v_cmp_gt_i32_e64 s[4:5], s33, v25
	v_mul_f32_e32 v4, s43, v22
	v_cndmask_b32_e64 v4, 0, v4, s[2:3]
	v_fmac_f32_e32 v4, s31, v3
	v_cndmask_b32_e64 v3, 0, v4, s[4:5]
	ds_write_b32 v15, v3
	v_max_f32_e32 v3, v10, v10
	v_max_f32_e32 v3, v3, v4
	v_cndmask_b32_e64 v10, v10, v3, s[4:5]
	s_branch .LBB131_11
.LBB131_20:
	s_or_b64 exec, exec, s[36:37]
.LBB131_21:
	s_or_b64 exec, exec, s[34:35]
	v_mbcnt_hi_u32_b32 v2, -1, v6
	v_and_b32_e32 v11, 64, v2
	v_add_u32_e32 v3, 64, v11
	v_xor_b32_e32 v1, 32, v2
	v_cmp_lt_i32_e32 vcc, v1, v3
	v_cndmask_b32_e32 v1, v2, v1, vcc
	s_waitcnt lgkmcnt(0)
	v_lshlrev_b32_e32 v4, 2, v1
	ds_bpermute_b32 v1, v4, v10
	v_xor_b32_e32 v7, 16, v2
	v_max_f32_e32 v6, v10, v10
	v_cmp_lt_i32_e32 vcc, v7, v3
	v_xor_b32_e32 v8, 8, v2
	s_waitcnt lgkmcnt(0)
	v_max_f32_e32 v1, v1, v1
	v_max_f32_e32 v1, v6, v1
	v_cndmask_b32_e32 v6, v2, v7, vcc
	v_lshlrev_b32_e32 v6, 2, v6
	ds_bpermute_b32 v7, v6, v1
	v_cmp_lt_i32_e32 vcc, v8, v3
	v_xor_b32_e32 v10, 4, v2
	s_waitcnt lgkmcnt(0)
	v_max_f32_e32 v7, v7, v7
	v_max_f32_e32 v1, v1, v7
	v_cndmask_b32_e32 v7, v2, v8, vcc
	v_lshlrev_b32_e32 v9, 2, v7
	ds_bpermute_b32 v7, v9, v1
	v_cmp_lt_i32_e32 vcc, v10, v3
	s_waitcnt lgkmcnt(0)
	v_max_f32_e32 v7, v7, v7
	v_max_f32_e32 v8, v1, v7
	v_cndmask_b32_e32 v1, v2, v10, vcc
	v_lshlrev_b32_e32 v10, 2, v1
	ds_bpermute_b32 v12, v10, v8
	v_and_b32_e32 v1, 63, v0
	v_cmp_eq_u32_e32 vcc, 0, v1
	v_lshlrev_b32_e32 v7, 2, v23
	s_and_saveexec_b64 s[2:3], vcc
	s_cbranch_execz .LBB131_23
; %bb.22:
	s_waitcnt lgkmcnt(0)
	v_max_f32_e32 v12, v12, v12
	v_max_f32_e32 v8, v8, v8
	;; [unrolled: 1-line block ×3, first 2 shown]
	ds_write_b32 v7, v8 offset:240
.LBB131_23:
	s_or_b64 exec, exec, s[2:3]
	v_cmp_gt_u32_e64 s[2:3], 2, v1
	s_waitcnt lgkmcnt(0)
	v_mov_b32_e32 v12, 0xff7fffff
	v_lshlrev_b32_e32 v8, 2, v1
	s_barrier
	s_and_saveexec_b64 s[4:5], s[2:3]
; %bb.24:
	ds_read_b32 v12, v8 offset:240
; %bb.25:
	s_or_b64 exec, exec, s[4:5]
	v_xor_b32_e32 v13, 1, v2
	v_cmp_lt_i32_e64 s[4:5], v13, v3
	v_cndmask_b32_e64 v13, v2, v13, s[4:5]
	v_lshlrev_b32_e32 v25, 2, v13
	s_waitcnt lgkmcnt(0)
	ds_bpermute_b32 v13, v25, v12
	v_max_f32_e32 v12, v12, v12
	v_lshlrev_b32_e32 v11, 2, v11
	s_lshl_b32 s4, s42, 4
	s_min_i32 s15, s4, s33
	s_waitcnt lgkmcnt(0)
	v_max_f32_e32 v13, v13, v13
	v_max_f32_e32 v12, v12, v13
	ds_bpermute_b32 v12, v11, v12
	v_cmp_gt_i32_e64 s[4:5], s15, v0
	v_mov_b32_e32 v11, 0
	s_and_saveexec_b64 s[30:31], s[4:5]
	s_cbranch_execz .LBB131_29
; %bb.26:
	v_mov_b32_e32 v11, 0x100
	v_lshl_add_u32 v13, v0, 2, v11
	v_mov_b32_e32 v11, 0
	s_mov_b64 s[34:35], 0
	v_mov_b32_e32 v14, v0
.LBB131_27:                             ; =>This Inner Loop Header: Depth=1
	ds_read_b32 v15, v13
	v_add_u32_e32 v14, 0x80, v14
	v_cmp_le_i32_e64 s[6:7], s15, v14
	s_or_b64 s[34:35], s[6:7], s[34:35]
	s_waitcnt lgkmcnt(0)
	v_sub_f32_e32 v15, v15, v12
	v_mul_f32_e32 v15, 0x3fb8aa3b, v15
	v_exp_f32_e32 v15, v15
	ds_write_b32 v13, v15
	v_add_f32_e32 v11, v11, v15
	v_add_u32_e32 v13, 0x200, v13
	s_andn2_b64 exec, exec, s[34:35]
	s_cbranch_execnz .LBB131_27
; %bb.28:
	s_or_b64 exec, exec, s[34:35]
.LBB131_29:
	s_or_b64 exec, exec, s[30:31]
	ds_bpermute_b32 v4, v4, v11
	s_waitcnt lgkmcnt(0)
	v_add_f32_e32 v4, v11, v4
	ds_bpermute_b32 v6, v6, v4
	s_waitcnt lgkmcnt(0)
	v_add_f32_e32 v4, v4, v6
	ds_bpermute_b32 v6, v9, v4
	v_xor_b32_e32 v9, 2, v2
	v_cmp_lt_i32_e64 s[6:7], v9, v3
	v_cndmask_b32_e64 v3, v2, v9, s[6:7]
	v_lshlrev_b32_e32 v3, 2, v3
	s_waitcnt lgkmcnt(0)
	v_add_f32_e32 v4, v4, v6
	ds_bpermute_b32 v6, v10, v4
	s_waitcnt lgkmcnt(0)
	v_add_f32_e32 v4, v4, v6
	ds_bpermute_b32 v3, v3, v4
	;; [unrolled: 3-line block ×3, first 2 shown]
	s_waitcnt lgkmcnt(0)
	v_add_f32_e32 v3, v3, v4
	s_and_saveexec_b64 s[6:7], vcc
; %bb.30:
	ds_write_b32 v7, v3 offset:248
; %bb.31:
	s_or_b64 exec, exec, s[6:7]
	s_waitcnt lgkmcnt(0)
	s_barrier
	s_and_saveexec_b64 s[6:7], s[2:3]
; %bb.32:
	ds_read_b32 v3, v8 offset:248
; %bb.33:
	s_or_b64 exec, exec, s[6:7]
	s_waitcnt lgkmcnt(0)
	ds_bpermute_b32 v4, v25, v3
	v_lshlrev_b32_e32 v2, 2, v2
	v_and_b32_e32 v2, 0x100, v2
	s_waitcnt lgkmcnt(0)
	v_add_f32_e32 v3, v3, v4
	ds_bpermute_b32 v2, v2, v3
	s_and_saveexec_b64 s[2:3], s[4:5]
	s_cbranch_execz .LBB131_36
; %bb.34:
	s_waitcnt lgkmcnt(0)
	v_add_f32_e32 v3, 0x358637bd, v2
	v_div_scale_f32 v2, s[4:5], v3, v3, 1.0
	v_div_scale_f32 v4, vcc, 1.0, v3, 1.0
	s_mov_b64 s[4:5], 0
	v_rcp_f32_e32 v6, v2
	v_fma_f32 v7, -v2, v6, 1.0
	v_fmac_f32_e32 v6, v7, v6
	v_mul_f32_e32 v7, v4, v6
	v_fma_f32 v8, -v2, v7, v4
	v_fmac_f32_e32 v7, v8, v6
	v_fma_f32 v2, -v2, v7, v4
	v_div_fmas_f32 v4, v2, v6, v7
	v_mov_b32_e32 v2, 0x100
	v_lshl_add_u32 v2, v0, 2, v2
	v_div_fixup_f32 v3, v4, v3, 1.0
	v_mov_b32_e32 v4, v0
.LBB131_35:                             ; =>This Inner Loop Header: Depth=1
	ds_read_b32 v6, v2
	v_add_u32_e32 v4, 0x80, v4
	v_cmp_le_i32_e32 vcc, s15, v4
	s_or_b64 s[4:5], vcc, s[4:5]
	s_waitcnt lgkmcnt(0)
	v_mul_f32_e32 v6, v3, v6
	ds_write_b32 v2, v6
	v_add_u32_e32 v2, 0x200, v2
	s_andn2_b64 exec, exec, s[4:5]
	s_cbranch_execnz .LBB131_35
.LBB131_36:
	s_or_b64 exec, exec, s[2:3]
	v_lshrrev_b32_e32 v26, 1, v1
	s_waitcnt lgkmcnt(0)
	s_barrier
	s_and_saveexec_b64 s[2:3], s[0:1]
	s_xor_b64 s[0:1], exec, s[2:3]
; %bb.37:
	v_lshrrev_b32_e32 v26, 1, v1
                                        ; implicit-def: $vgpr24
                                        ; implicit-def: $vgpr23
                                        ; implicit-def: $vgpr5
; %bb.38:
	s_or_saveexec_b64 s[6:7], s[0:1]
	v_mov_b32_e32 v30, 0
	v_and_b32_e32 v27, 1, v0
	v_mov_b32_e32 v31, 0
	v_mov_b32_e32 v29, 0
	;; [unrolled: 1-line block ×3, first 2 shown]
	s_xor_b64 exec, exec, s[6:7]
	s_cbranch_execz .LBB131_54
; %bb.39:
	s_ashr_i32 s15, s14, 31
	s_sub_i32 s30, s12, s17
	s_lshl_b64 s[0:1], s[14:15], 1
	s_add_u32 s28, s28, s0
	s_addc_u32 s29, s29, s1
	s_abs_i32 s18, s18
	v_cvt_f32_u32_e32 v1, s18
	s_sub_i32 s1, 0, s18
	v_lshlrev_b32_e32 v2, 3, v0
	v_and_b32_e32 v33, 8, v2
	v_rcp_iflag_f32_e32 v1, v1
	s_add_i32 s35, s42, -1
	s_lshl_b64 s[2:3], s[26:27], 2
	s_add_u32 s2, s24, s2
	v_mul_f32_e32 v1, 0x4f7ffffe, v1
	v_cvt_u32_f32_e32 v1, v1
	v_and_b32_e32 v5, 60, v5
	s_addc_u32 s3, s25, s3
	v_add_co_u32_e32 v21, vcc, s2, v5
	v_mul_lo_u32 v4, s1, v1
	v_or_b32_e32 v3, 0x60, v26
	s_movk_i32 s0, 0x78
	v_cmp_gt_u32_e64 s[0:1], s0, v3
	v_mul_hi_u32 v2, v1, v4
	v_lshl_or_b32 v4, v26, 4, v33
	v_lshl_or_b32 v3, v3, 4, v33
	s_mov_b32 s31, s13
	v_add_u32_e32 v34, v1, v2
	v_mov_b32_e32 v1, s3
	v_addc_co_u32_e32 v22, vcc, 0, v1, vcc
	v_lshlrev_b32_e32 v1, 5, v27
	v_lshl_or_b32 v1, v23, 6, v1
	v_mov_b32_e32 v28, 0
	s_mov_b32 s34, s33
	v_add_u32_e32 v35, 0x100, v1
	s_mov_b64 s[12:13], 0
	v_lshlrev_b32_e32 v36, 1, v4
	s_mov_b32 s24, 0x5040100
	s_movk_i32 s25, 0x7fff
	s_mov_b32 s26, 0x7060302
	v_lshlrev_b32_e32 v37, 1, v3
	v_mov_b32_e32 v32, 0
	v_mov_b32_e32 v29, 0
	;; [unrolled: 1-line block ×4, first 2 shown]
	s_branch .LBB131_43
.LBB131_40:                             ;   in Loop: Header=BB131_43 Depth=1
	s_or_b64 exec, exec, s[16:17]
	s_waitcnt vmcnt(0)
	v_lshlrev_b32_e32 v38, 16, v13
	v_lshlrev_b32_e32 v39, 16, v20
	v_mul_f32_e32 v38, v39, v38
	v_bfe_u32 v39, v38, 16, 1
	v_add3_u32 v39, v39, v38, s25
	v_or_b32_e32 v40, 0x400000, v38
	v_cmp_u_f32_e32 vcc, v38, v38
	v_cndmask_b32_e32 v38, v39, v40, vcc
	v_and_b32_e32 v13, 0xffff0000, v13
	v_and_b32_e32 v39, 0xffff0000, v20
	v_mul_f32_e32 v13, v39, v13
	v_bfe_u32 v39, v13, 16, 1
	v_add3_u32 v39, v39, v13, s25
	v_or_b32_e32 v40, 0x400000, v13
	v_cmp_u_f32_e32 vcc, v13, v13
	v_cndmask_b32_e32 v13, v39, v40, vcc
	v_lshlrev_b32_e32 v39, 16, v14
	v_lshlrev_b32_e32 v40, 16, v19
	v_mul_f32_e32 v39, v40, v39
	v_bfe_u32 v40, v39, 16, 1
	v_add3_u32 v40, v40, v39, s25
	v_or_b32_e32 v41, 0x400000, v39
	v_cmp_u_f32_e32 vcc, v39, v39
	v_cndmask_b32_e32 v39, v40, v41, vcc
	v_and_b32_e32 v14, 0xffff0000, v14
	v_and_b32_e32 v40, 0xffff0000, v19
	v_mul_f32_e32 v14, v40, v14
	v_bfe_u32 v40, v14, 16, 1
	v_add3_u32 v40, v40, v14, s25
	v_or_b32_e32 v41, 0x400000, v14
	v_cmp_u_f32_e32 vcc, v14, v14
	v_cndmask_b32_e32 v14, v40, v41, vcc
	v_lshlrev_b32_e32 v40, 16, v15
	v_lshlrev_b32_e32 v41, 16, v18
	v_mul_f32_e32 v40, v41, v40
	v_bfe_u32 v41, v40, 16, 1
	v_add3_u32 v41, v41, v40, s25
	v_or_b32_e32 v42, 0x400000, v40
	v_cmp_u_f32_e32 vcc, v40, v40
	v_cndmask_b32_e32 v40, v41, v42, vcc
	v_and_b32_e32 v15, 0xffff0000, v15
	v_and_b32_e32 v41, 0xffff0000, v18
	v_mul_f32_e32 v15, v41, v15
	v_bfe_u32 v41, v15, 16, 1
	v_add3_u32 v41, v41, v15, s25
	v_or_b32_e32 v42, 0x400000, v15
	v_cmp_u_f32_e32 vcc, v15, v15
	v_cndmask_b32_e32 v15, v41, v42, vcc
	v_lshlrev_b32_e32 v41, 16, v16
	v_lshlrev_b32_e32 v42, 16, v17
	v_mul_f32_e32 v41, v42, v41
	v_bfe_u32 v42, v41, 16, 1
	v_add3_u32 v42, v42, v41, s25
	v_or_b32_e32 v43, 0x400000, v41
	v_cmp_u_f32_e32 vcc, v41, v41
	v_cndmask_b32_e32 v41, v42, v43, vcc
	v_and_b32_e32 v16, 0xffff0000, v16
	v_and_b32_e32 v42, 0xffff0000, v17
	;; [unrolled: 1-line block ×4, first 2 shown]
	v_mul_f32_e32 v16, v42, v16
	v_add_f32_e32 v13, v38, v13
	v_and_b32_e32 v14, 0xffff0000, v14
	v_and_b32_e32 v38, 0xffff0000, v39
	v_bfe_u32 v42, v16, 16, 1
	v_add_f32_e32 v14, v38, v14
	v_add3_u32 v42, v42, v16, s25
	v_or_b32_e32 v43, 0x400000, v16
	v_cmp_u_f32_e32 vcc, v16, v16
	v_add_f32_e32 v13, v14, v13
	v_and_b32_e32 v14, 0xffff0000, v15
	v_and_b32_e32 v15, 0xffff0000, v40
	v_cndmask_b32_e32 v16, v42, v43, vcc
	v_add_f32_e32 v14, v15, v14
	v_add_f32_e32 v13, v14, v13
	v_and_b32_e32 v14, 0xffff0000, v16
	v_and_b32_e32 v15, 0xffff0000, v41
	v_add_f32_e32 v14, v15, v14
	v_add_f32_e32 v13, v14, v13
	;; [unrolled: 1-line block ×3, first 2 shown]
.LBB131_41:                             ;   in Loop: Header=BB131_43 Depth=1
	s_or_b64 exec, exec, s[4:5]
	s_waitcnt vmcnt(0)
	v_and_b32_e32 v14, 0xffff0000, v9
	v_and_b32_e32 v13, 0xffff0000, v20
	v_mul_f32_e32 v14, v13, v14
	v_bfe_u32 v15, v14, 16, 1
	v_add3_u32 v15, v15, v14, s25
	v_or_b32_e32 v16, 0x400000, v14
	v_cmp_u_f32_e32 vcc, v14, v14
	v_lshlrev_b32_e32 v14, 16, v9
	v_lshlrev_b32_e32 v9, 16, v20
	v_mul_f32_e32 v14, v9, v14
	v_cndmask_b32_e32 v38, v15, v16, vcc
	v_bfe_u32 v15, v14, 16, 1
	v_add3_u32 v15, v15, v14, s25
	v_or_b32_e32 v16, 0x400000, v14
	v_cmp_u_f32_e32 vcc, v14, v14
	v_cndmask_b32_e32 v20, v15, v16, vcc
	v_and_b32_e32 v15, 0xffff0000, v10
	v_and_b32_e32 v14, 0xffff0000, v19
	v_mul_f32_e32 v15, v14, v15
	v_bfe_u32 v16, v15, 16, 1
	v_add3_u32 v16, v16, v15, s25
	v_or_b32_e32 v39, 0x400000, v15
	v_cmp_u_f32_e32 vcc, v15, v15
	v_lshlrev_b32_e32 v15, 16, v10
	v_lshlrev_b32_e32 v10, 16, v19
	v_mul_f32_e32 v15, v10, v15
	v_cndmask_b32_e32 v39, v16, v39, vcc
	v_bfe_u32 v16, v15, 16, 1
	v_add3_u32 v16, v16, v15, s25
	v_or_b32_e32 v19, 0x400000, v15
	v_cmp_u_f32_e32 vcc, v15, v15
	v_cndmask_b32_e32 v19, v16, v19, vcc
	v_and_b32_e32 v16, 0xffff0000, v11
	v_and_b32_e32 v15, 0xffff0000, v18
	v_mul_f32_e32 v16, v15, v16
	v_bfe_u32 v40, v16, 16, 1
	v_add3_u32 v40, v40, v16, s25
	v_or_b32_e32 v41, 0x400000, v16
	v_cmp_u_f32_e32 vcc, v16, v16
	v_lshlrev_b32_e32 v16, 16, v11
	v_lshlrev_b32_e32 v11, 16, v18
	v_mul_f32_e32 v16, v11, v16
	v_bfe_u32 v18, v16, 16, 1
	v_cndmask_b32_e32 v40, v40, v41, vcc
	v_add3_u32 v18, v18, v16, s25
	v_or_b32_e32 v41, 0x400000, v16
	v_cmp_u_f32_e32 vcc, v16, v16
	v_cndmask_b32_e32 v18, v18, v41, vcc
	v_and_b32_e32 v41, 0xffff0000, v12
	v_and_b32_e32 v16, 0xffff0000, v17
	v_mul_f32_e32 v41, v16, v41
	v_bfe_u32 v42, v41, 16, 1
	v_add3_u32 v42, v42, v41, s25
	v_or_b32_e32 v43, 0x400000, v41
	v_cmp_u_f32_e32 vcc, v41, v41
	v_cndmask_b32_e32 v41, v42, v43, vcc
	v_lshlrev_b32_e32 v42, 16, v12
	v_lshlrev_b32_e32 v12, 16, v17
	v_and_b32_e32 v20, 0xffff0000, v20
	v_and_b32_e32 v38, 0xffff0000, v38
	v_mul_f32_e32 v17, v12, v42
	v_add_f32_e32 v20, v20, v38
	v_and_b32_e32 v19, 0xffff0000, v19
	v_and_b32_e32 v38, 0xffff0000, v39
	v_bfe_u32 v42, v17, 16, 1
	v_add_f32_e32 v19, v19, v38
	v_add3_u32 v42, v42, v17, s25
	v_or_b32_e32 v43, 0x400000, v17
	v_cmp_u_f32_e32 vcc, v17, v17
	v_add_f32_e32 v19, v19, v20
	v_and_b32_e32 v18, 0xffff0000, v18
	v_and_b32_e32 v20, 0xffff0000, v40
	v_cndmask_b32_e32 v17, v42, v43, vcc
	v_add_f32_e32 v18, v18, v20
	v_add_f32_e32 v18, v18, v19
	v_and_b32_e32 v17, 0xffff0000, v17
	v_and_b32_e32 v19, 0xffff0000, v41
	v_add_f32_e32 v17, v17, v19
	v_add_f32_e32 v17, v17, v18
	;; [unrolled: 1-line block ×3, first 2 shown]
	v_and_b32_e32 v17, 0xffff0000, v5
	v_mul_f32_e32 v17, v13, v17
	v_bfe_u32 v18, v17, 16, 1
	v_lshlrev_b32_e32 v5, 16, v5
	v_add3_u32 v18, v18, v17, s25
	v_or_b32_e32 v19, 0x400000, v17
	v_cmp_u_f32_e32 vcc, v17, v17
	v_mul_f32_e32 v5, v9, v5
	v_cndmask_b32_e32 v17, v18, v19, vcc
	v_bfe_u32 v18, v5, 16, 1
	v_add3_u32 v18, v18, v5, s25
	v_or_b32_e32 v19, 0x400000, v5
	v_cmp_u_f32_e32 vcc, v5, v5
	v_cndmask_b32_e32 v5, v18, v19, vcc
	v_and_b32_e32 v18, 0xffff0000, v6
	v_mul_f32_e32 v18, v14, v18
	v_bfe_u32 v19, v18, 16, 1
	v_lshlrev_b32_e32 v6, 16, v6
	v_add3_u32 v19, v19, v18, s25
	v_or_b32_e32 v20, 0x400000, v18
	v_cmp_u_f32_e32 vcc, v18, v18
	v_mul_f32_e32 v6, v10, v6
	v_cndmask_b32_e32 v18, v19, v20, vcc
	v_bfe_u32 v19, v6, 16, 1
	v_add3_u32 v19, v19, v6, s25
	v_or_b32_e32 v20, 0x400000, v6
	v_cmp_u_f32_e32 vcc, v6, v6
	v_cndmask_b32_e32 v6, v19, v20, vcc
	;; [unrolled: 14-line block ×3, first 2 shown]
	v_and_b32_e32 v20, 0xffff0000, v8
	v_mul_f32_e32 v20, v16, v20
	v_bfe_u32 v38, v20, 16, 1
	v_lshlrev_b32_e32 v8, 16, v8
	v_and_b32_e32 v5, 0xffff0000, v5
	v_and_b32_e32 v17, 0xffff0000, v17
	v_add3_u32 v38, v38, v20, s25
	v_or_b32_e32 v39, 0x400000, v20
	v_cmp_u_f32_e32 vcc, v20, v20
	v_mul_f32_e32 v8, v12, v8
	v_add_f32_e32 v5, v5, v17
	v_and_b32_e32 v6, 0xffff0000, v6
	v_and_b32_e32 v17, 0xffff0000, v18
	v_cndmask_b32_e32 v20, v38, v39, vcc
	v_bfe_u32 v38, v8, 16, 1
	v_add_f32_e32 v6, v6, v17
	v_add3_u32 v38, v38, v8, s25
	v_or_b32_e32 v39, 0x400000, v8
	v_cmp_u_f32_e32 vcc, v8, v8
	v_add_f32_e32 v5, v6, v5
	v_and_b32_e32 v6, 0xffff0000, v7
	v_and_b32_e32 v7, 0xffff0000, v19
	v_cndmask_b32_e32 v8, v38, v39, vcc
	v_add_f32_e32 v6, v6, v7
	v_add_f32_e32 v5, v6, v5
	v_and_b32_e32 v6, 0xffff0000, v8
	v_and_b32_e32 v7, 0xffff0000, v20
	v_add_f32_e32 v6, v6, v7
	v_add_f32_e32 v5, v6, v5
	;; [unrolled: 1-line block ×3, first 2 shown]
	v_and_b32_e32 v5, 0xffff0000, v1
	v_mul_f32_e32 v5, v13, v5
	v_bfe_u32 v6, v5, 16, 1
	v_lshlrev_b32_e32 v1, 16, v1
	v_add3_u32 v6, v6, v5, s25
	v_or_b32_e32 v7, 0x400000, v5
	v_cmp_u_f32_e32 vcc, v5, v5
	v_mul_f32_e32 v1, v9, v1
	v_cndmask_b32_e32 v5, v6, v7, vcc
	v_bfe_u32 v6, v1, 16, 1
	v_add3_u32 v6, v6, v1, s25
	v_or_b32_e32 v7, 0x400000, v1
	v_cmp_u_f32_e32 vcc, v1, v1
	v_cndmask_b32_e32 v1, v6, v7, vcc
	v_and_b32_e32 v6, 0xffff0000, v2
	v_mul_f32_e32 v6, v14, v6
	v_bfe_u32 v7, v6, 16, 1
	v_lshlrev_b32_e32 v2, 16, v2
	v_add3_u32 v7, v7, v6, s25
	v_or_b32_e32 v8, 0x400000, v6
	v_cmp_u_f32_e32 vcc, v6, v6
	v_mul_f32_e32 v2, v10, v2
	v_cndmask_b32_e32 v6, v7, v8, vcc
	v_bfe_u32 v7, v2, 16, 1
	v_add3_u32 v7, v7, v2, s25
	v_or_b32_e32 v8, 0x400000, v2
	v_cmp_u_f32_e32 vcc, v2, v2
	v_cndmask_b32_e32 v2, v7, v8, vcc
	;; [unrolled: 14-line block ×3, first 2 shown]
	v_and_b32_e32 v8, 0xffff0000, v4
	v_mul_f32_e32 v8, v16, v8
	v_bfe_u32 v9, v8, 16, 1
	v_lshlrev_b32_e32 v4, 16, v4
	v_and_b32_e32 v1, 0xffff0000, v1
	v_and_b32_e32 v5, 0xffff0000, v5
	v_add3_u32 v9, v9, v8, s25
	v_or_b32_e32 v10, 0x400000, v8
	v_cmp_u_f32_e32 vcc, v8, v8
	v_mul_f32_e32 v4, v12, v4
	v_add_f32_e32 v1, v1, v5
	v_and_b32_e32 v2, 0xffff0000, v2
	v_and_b32_e32 v5, 0xffff0000, v6
	v_cndmask_b32_e32 v8, v9, v10, vcc
	v_bfe_u32 v9, v4, 16, 1
	v_add_f32_e32 v2, v2, v5
	v_add3_u32 v9, v9, v4, s25
	v_or_b32_e32 v10, 0x400000, v4
	v_cmp_u_f32_e32 vcc, v4, v4
	v_add_f32_e32 v1, v2, v1
	v_and_b32_e32 v2, 0xffff0000, v3
	v_and_b32_e32 v3, 0xffff0000, v7
	v_cndmask_b32_e32 v4, v9, v10, vcc
	v_add_f32_e32 v2, v2, v3
	v_add_f32_e32 v1, v2, v1
	v_and_b32_e32 v2, 0xffff0000, v4
	v_and_b32_e32 v3, 0xffff0000, v8
	v_add_f32_e32 v2, v2, v3
	v_add_f32_e32 v1, v2, v1
	;; [unrolled: 1-line block ×3, first 2 shown]
.LBB131_42:                             ;   in Loop: Header=BB131_43 Depth=1
	s_or_b64 exec, exec, s[14:15]
	v_add_co_u32_e32 v21, vcc, 8, v21
	v_add_u32_e32 v23, 2, v23
	v_addc_co_u32_e32 v22, vcc, 0, v22, vcc
	v_cmp_le_i32_e32 vcc, s42, v23
	v_add_u32_e32 v24, 32, v24
	s_or_b64 s[12:13], vcc, s[12:13]
	v_add_u32_e32 v35, 0x80, v35
	s_andn2_b64 exec, exec, s[12:13]
	s_cbranch_execz .LBB131_53
.LBB131_43:                             ; =>This Inner Loop Header: Depth=1
	v_mul_hi_u32 v1, v24, s40
	v_mul_lo_u32 v2, v1, s21
	v_add_u32_e32 v3, 1, v1
	v_sub_u32_e32 v2, v24, v2
	v_cmp_le_u32_e32 vcc, s21, v2
	v_cndmask_b32_e32 v1, v1, v3, vcc
	v_subrev_u32_e32 v3, s21, v2
	v_cndmask_b32_e32 v2, v2, v3, vcc
	v_add_u32_e32 v3, 1, v1
	v_cmp_le_u32_e32 vcc, s21, v2
	v_cndmask_b32_e32 v1, v1, v3, vcc
	v_xor_b32_e32 v1, s19, v1
	v_subrev_u32_e32 v1, s19, v1
	v_add_u32_e32 v2, s41, v1
	v_sub_u32_e32 v3, 0, v2
	v_max_i32_e32 v3, v2, v3
	v_mul_hi_u32 v4, v3, v34
	v_ashrrev_i32_e32 v2, 31, v2
	v_cmp_lt_i32_e64 s[2:3], s30, v1
	v_mul_lo_u32 v4, v4, s18
	v_sub_u32_e32 v3, v3, v4
	v_subrev_u32_e32 v4, s18, v3
	v_cmp_le_u32_e32 vcc, s18, v3
	v_cndmask_b32_e32 v3, v3, v4, vcc
	v_subrev_u32_e32 v4, s18, v3
	v_cmp_le_u32_e32 vcc, s18, v3
	v_cndmask_b32_e32 v3, v3, v4, vcc
	v_xor_b32_e32 v3, v3, v2
	v_sub_u32_e32 v2, v3, v2
	v_cmp_eq_u32_e32 vcc, 0, v2
	s_or_b64 s[2:3], vcc, s[2:3]
	s_and_saveexec_b64 s[14:15], s[2:3]
	s_cbranch_execz .LBB131_42
; %bb.44:                               ;   in Loop: Header=BB131_43 Depth=1
	global_load_dword v1, v[21:22], off
	v_mov_b32_e32 v3, s29
	v_add_u32_e32 v38, v33, v24
	s_waitcnt vmcnt(0)
	v_mad_i64_i32 v[1:2], s[2:3], v1, s31, 0
	v_cmp_eq_u32_e64 s[2:3], s35, v23
	v_lshlrev_b64 v[1:2], 1, v[1:2]
	v_add_co_u32_e32 v39, vcc, s28, v1
	v_addc_co_u32_e32 v40, vcc, v3, v2, vcc
	v_add_co_u32_e32 v9, vcc, v39, v36
	v_addc_co_u32_e32 v10, vcc, 0, v40, vcc
	global_load_dwordx4 v[1:4], v[9:10], off
	ds_read2_b64 v[17:20], v35 offset1:1
	ds_read2_b64 v[13:16], v35 offset0:2 offset1:3
	s_and_saveexec_b64 s[16:17], s[2:3]
	s_cbranch_execnz .LBB131_51
; %bb.45:                               ;   in Loop: Header=BB131_43 Depth=1
	s_or_b64 exec, exec, s[16:17]
	global_load_dwordx4 v[5:8], v[9:10], off offset:1024
	s_and_saveexec_b64 s[16:17], s[2:3]
	s_cbranch_execnz .LBB131_52
.LBB131_46:                             ;   in Loop: Header=BB131_43 Depth=1
	s_or_b64 exec, exec, s[16:17]
	global_load_dwordx4 v[9:12], v[9:10], off offset:2048
	s_and_saveexec_b64 s[16:17], s[2:3]
	s_cbranch_execz .LBB131_48
.LBB131_47:                             ;   in Loop: Header=BB131_43 Depth=1
	v_add_u32_e32 v41, 1, v38
	v_cmp_gt_i32_e32 vcc, s34, v41
	s_waitcnt vmcnt(0)
	v_cndmask_b32_sdwa v41, v28, v9, vcc dst_sel:DWORD dst_unused:UNUSED_PAD src0_sel:DWORD src1_sel:WORD_1
	v_cmp_gt_i32_e32 vcc, s33, v38
	v_cndmask_b32_e32 v9, 0, v9, vcc
	v_perm_b32 v9, v41, v9, s24
	v_or_b32_e32 v41, 3, v38
	v_or_b32_e32 v42, 2, v38
	v_cmp_gt_i32_e32 vcc, s34, v41
	v_cmp_gt_i32_e64 s[4:5], s33, v42
	v_cndmask_b32_e64 v41, 0, v10, s[4:5]
	v_cndmask_b32_sdwa v10, v28, v10, vcc dst_sel:DWORD dst_unused:UNUSED_PAD src0_sel:DWORD src1_sel:WORD_1
	v_perm_b32 v10, v10, v41, s24
	v_or_b32_e32 v41, 5, v38
	v_or_b32_e32 v42, 4, v38
	v_cmp_gt_i32_e32 vcc, s34, v41
	v_cmp_gt_i32_e64 s[4:5], s33, v42
	v_cndmask_b32_e64 v41, 0, v11, s[4:5]
	v_cndmask_b32_sdwa v11, v28, v11, vcc dst_sel:DWORD dst_unused:UNUSED_PAD src0_sel:DWORD src1_sel:WORD_1
	;; [unrolled: 7-line block ×3, first 2 shown]
	v_perm_b32 v12, v12, v41, s24
.LBB131_48:                             ;   in Loop: Header=BB131_43 Depth=1
	s_or_b64 exec, exec, s[16:17]
	s_waitcnt lgkmcnt(1)
	v_bfe_u32 v41, v17, 16, 1
	v_add3_u32 v41, v41, v17, s25
	v_or_b32_e32 v42, 0x400000, v17
	v_cmp_u_f32_e32 vcc, v17, v17
	v_cndmask_b32_e32 v17, v41, v42, vcc
	v_bfe_u32 v41, v18, 16, 1
	v_add3_u32 v41, v41, v18, s25
	v_or_b32_e32 v42, 0x400000, v18
	v_cmp_u_f32_e32 vcc, v18, v18
	v_cndmask_b32_e32 v18, v41, v42, vcc
	;; [unrolled: 5-line block ×3, first 2 shown]
	v_bfe_u32 v41, v20, 16, 1
	v_add3_u32 v41, v41, v20, s25
	v_or_b32_e32 v42, 0x400000, v20
	v_cmp_u_f32_e32 vcc, v20, v20
	s_waitcnt lgkmcnt(0)
	v_bfe_u32 v20, v13, 16, 1
	v_cndmask_b32_e32 v41, v41, v42, vcc
	v_add3_u32 v20, v20, v13, s25
	v_or_b32_e32 v42, 0x400000, v13
	v_cmp_u_f32_e32 vcc, v13, v13
	v_cndmask_b32_e32 v13, v20, v42, vcc
	v_bfe_u32 v20, v14, 16, 1
	v_add3_u32 v20, v20, v14, s25
	v_or_b32_e32 v42, 0x400000, v14
	v_cmp_u_f32_e32 vcc, v14, v14
	v_cndmask_b32_e32 v14, v20, v42, vcc
	v_bfe_u32 v20, v15, 16, 1
	;; [unrolled: 5-line block ×3, first 2 shown]
	v_add3_u32 v20, v20, v16, s25
	v_or_b32_e32 v42, 0x400000, v16
	v_cmp_u_f32_e32 vcc, v16, v16
	v_cndmask_b32_e32 v16, v20, v42, vcc
	v_perm_b32 v20, v18, v17, s26
	v_perm_b32 v19, v41, v19, s26
	;; [unrolled: 1-line block ×4, first 2 shown]
	s_and_saveexec_b64 s[4:5], s[0:1]
	s_cbranch_execz .LBB131_41
; %bb.49:                               ;   in Loop: Header=BB131_43 Depth=1
	v_add_co_u32_e32 v13, vcc, v39, v37
	v_addc_co_u32_e32 v14, vcc, 0, v40, vcc
	global_load_dwordx4 v[13:16], v[13:14], off
	s_and_saveexec_b64 s[16:17], s[2:3]
	s_cbranch_execz .LBB131_40
; %bb.50:                               ;   in Loop: Header=BB131_43 Depth=1
	v_add_u32_e32 v39, 1, v38
	v_cmp_gt_i32_e32 vcc, s34, v39
	s_waitcnt vmcnt(0)
	v_cndmask_b32_sdwa v39, v28, v13, vcc dst_sel:DWORD dst_unused:UNUSED_PAD src0_sel:DWORD src1_sel:WORD_1
	v_cmp_gt_i32_e32 vcc, s33, v38
	v_cndmask_b32_e32 v13, 0, v13, vcc
	v_perm_b32 v13, v39, v13, s24
	v_or_b32_e32 v39, 3, v38
	v_or_b32_e32 v40, 2, v38
	v_cmp_gt_i32_e32 vcc, s34, v39
	v_cmp_gt_i32_e64 s[2:3], s33, v40
	v_cndmask_b32_e64 v39, 0, v14, s[2:3]
	v_cndmask_b32_sdwa v14, v28, v14, vcc dst_sel:DWORD dst_unused:UNUSED_PAD src0_sel:DWORD src1_sel:WORD_1
	v_perm_b32 v14, v14, v39, s24
	v_or_b32_e32 v39, 5, v38
	v_or_b32_e32 v40, 4, v38
	v_cmp_gt_i32_e32 vcc, s34, v39
	v_cmp_gt_i32_e64 s[2:3], s33, v40
	v_cndmask_b32_e64 v39, 0, v15, s[2:3]
	v_cndmask_b32_sdwa v15, v28, v15, vcc dst_sel:DWORD dst_unused:UNUSED_PAD src0_sel:DWORD src1_sel:WORD_1
	v_perm_b32 v15, v15, v39, s24
	v_or_b32_e32 v39, 7, v38
	v_or_b32_e32 v38, 6, v38
	v_cmp_gt_i32_e32 vcc, s34, v39
	v_cmp_gt_i32_e64 s[2:3], s33, v38
	v_cndmask_b32_e64 v38, 0, v16, s[2:3]
	v_cndmask_b32_sdwa v16, v28, v16, vcc dst_sel:DWORD dst_unused:UNUSED_PAD src0_sel:DWORD src1_sel:WORD_1
	v_perm_b32 v16, v16, v38, s24
	s_branch .LBB131_40
.LBB131_51:                             ;   in Loop: Header=BB131_43 Depth=1
	v_add_u32_e32 v5, 1, v38
	v_cmp_gt_i32_e32 vcc, s34, v5
	s_waitcnt vmcnt(0)
	v_cndmask_b32_sdwa v5, v28, v1, vcc dst_sel:DWORD dst_unused:UNUSED_PAD src0_sel:DWORD src1_sel:WORD_1
	v_cmp_gt_i32_e32 vcc, s33, v38
	v_cndmask_b32_e32 v1, 0, v1, vcc
	v_perm_b32 v1, v5, v1, s24
	v_or_b32_e32 v5, 3, v38
	v_or_b32_e32 v6, 2, v38
	v_cmp_gt_i32_e32 vcc, s34, v5
	v_cmp_gt_i32_e64 s[4:5], s33, v6
	v_cndmask_b32_e64 v5, 0, v2, s[4:5]
	v_cndmask_b32_sdwa v2, v28, v2, vcc dst_sel:DWORD dst_unused:UNUSED_PAD src0_sel:DWORD src1_sel:WORD_1
	v_perm_b32 v2, v2, v5, s24
	v_or_b32_e32 v5, 5, v38
	v_or_b32_e32 v6, 4, v38
	v_cmp_gt_i32_e32 vcc, s34, v5
	v_cmp_gt_i32_e64 s[4:5], s33, v6
	v_cndmask_b32_e64 v5, 0, v3, s[4:5]
	v_cndmask_b32_sdwa v3, v28, v3, vcc dst_sel:DWORD dst_unused:UNUSED_PAD src0_sel:DWORD src1_sel:WORD_1
	;; [unrolled: 7-line block ×3, first 2 shown]
	v_perm_b32 v4, v4, v5, s24
	s_or_b64 exec, exec, s[16:17]
	global_load_dwordx4 v[5:8], v[9:10], off offset:1024
	s_and_saveexec_b64 s[16:17], s[2:3]
	s_cbranch_execz .LBB131_46
.LBB131_52:                             ;   in Loop: Header=BB131_43 Depth=1
	v_add_u32_e32 v11, 1, v38
	v_cmp_gt_i32_e32 vcc, s34, v11
	s_waitcnt vmcnt(0)
	v_cndmask_b32_sdwa v11, v28, v5, vcc dst_sel:DWORD dst_unused:UNUSED_PAD src0_sel:DWORD src1_sel:WORD_1
	v_cmp_gt_i32_e32 vcc, s33, v38
	v_cndmask_b32_e32 v5, 0, v5, vcc
	v_perm_b32 v5, v11, v5, s24
	v_or_b32_e32 v11, 3, v38
	v_or_b32_e32 v12, 2, v38
	v_cmp_gt_i32_e32 vcc, s34, v11
	v_cmp_gt_i32_e64 s[4:5], s33, v12
	v_cndmask_b32_e64 v11, 0, v6, s[4:5]
	v_cndmask_b32_sdwa v6, v28, v6, vcc dst_sel:DWORD dst_unused:UNUSED_PAD src0_sel:DWORD src1_sel:WORD_1
	v_perm_b32 v6, v6, v11, s24
	v_or_b32_e32 v11, 5, v38
	v_or_b32_e32 v12, 4, v38
	v_cmp_gt_i32_e32 vcc, s34, v11
	v_cmp_gt_i32_e64 s[4:5], s33, v12
	v_cndmask_b32_e64 v11, 0, v7, s[4:5]
	v_cndmask_b32_sdwa v7, v28, v7, vcc dst_sel:DWORD dst_unused:UNUSED_PAD src0_sel:DWORD src1_sel:WORD_1
	;; [unrolled: 7-line block ×3, first 2 shown]
	v_perm_b32 v8, v8, v11, s24
	s_or_b64 exec, exec, s[16:17]
	global_load_dwordx4 v[9:12], v[9:10], off offset:2048
	s_and_saveexec_b64 s[16:17], s[2:3]
	s_cbranch_execnz .LBB131_47
	s_branch .LBB131_48
.LBB131_53:
	s_or_b64 exec, exec, s[12:13]
.LBB131_54:
	s_or_b64 exec, exec, s[6:7]
	ds_bpermute_b32 v2, v25, v31
	ds_bpermute_b32 v5, v25, v29
	;; [unrolled: 1-line block ×4, first 2 shown]
	v_cmp_eq_u32_e32 vcc, 0, v27
	s_waitcnt lgkmcnt(3)
	v_add_f32_e32 v3, v31, v2
	s_waitcnt lgkmcnt(2)
	v_add_f32_e32 v2, v29, v5
	v_and_b32_e32 v5, 0x3c0, v0
	s_waitcnt lgkmcnt(1)
	v_add_f32_e32 v4, v30, v1
	s_waitcnt lgkmcnt(0)
	v_add_f32_e32 v1, v32, v6
	v_cmp_eq_u32_e64 s[0:1], 64, v5
	s_barrier
	s_and_saveexec_b64 s[2:3], s[0:1]
	s_cbranch_execz .LBB131_59
; %bb.55:
	s_and_saveexec_b64 s[0:1], vcc
	s_cbranch_execz .LBB131_57
; %bb.56:
	v_mov_b32_e32 v5, 0x100
	v_lshl_add_u32 v5, v26, 2, v5
	ds_write2_b32 v5, v4, v3 offset1:32
	ds_write_b32 v5, v2 offset:256
.LBB131_57:
	s_or_b64 exec, exec, s[0:1]
	v_or_b32_e32 v5, 0x60, v26
	s_movk_i32 s0, 0x78
	v_cmp_gt_u32_e64 s[0:1], s0, v5
	s_and_b64 s[0:1], vcc, s[0:1]
	s_and_b64 exec, exec, s[0:1]
; %bb.58:
	v_mov_b32_e32 v5, 0x100
	v_lshl_add_u32 v5, v26, 2, v5
	ds_write_b32 v5, v1 offset:384
.LBB131_59:
	s_or_b64 exec, exec, s[2:3]
	v_cmp_gt_u32_e64 s[0:1], 64, v0
	v_lshrrev_b32_e32 v0, 1, v0
	s_waitcnt lgkmcnt(0)
	s_barrier
	s_and_saveexec_b64 s[4:5], s[0:1]
	s_cbranch_execz .LBB131_69
; %bb.60:
	s_and_saveexec_b64 s[2:3], vcc
	s_cbranch_execz .LBB131_62
; %bb.61:
	v_mov_b32_e32 v5, 0x100
	v_lshl_add_u32 v5, v0, 2, v5
	ds_read_b32 v5, v5
	s_waitcnt lgkmcnt(0)
	v_add_f32_e32 v4, v4, v5
.LBB131_62:
	s_or_b64 exec, exec, s[2:3]
	v_or_b32_e32 v5, 32, v0
	s_movk_i32 s6, 0x78
	v_cmp_gt_u32_e64 s[2:3], s6, v5
	s_and_b64 s[12:13], vcc, s[2:3]
	s_and_saveexec_b64 s[2:3], s[12:13]
	s_cbranch_execz .LBB131_64
; %bb.63:
	v_mov_b32_e32 v5, 0x100
	v_lshl_add_u32 v5, v0, 2, v5
	ds_read_b32 v5, v5 offset:128
	s_waitcnt lgkmcnt(0)
	v_add_f32_e32 v3, v3, v5
.LBB131_64:
	s_or_b64 exec, exec, s[2:3]
	v_or_b32_e32 v5, 64, v0
	v_cmp_gt_u32_e64 s[2:3], s6, v5
	s_and_b64 s[6:7], vcc, s[2:3]
	s_and_saveexec_b64 s[2:3], s[6:7]
	s_cbranch_execz .LBB131_66
; %bb.65:
	v_mov_b32_e32 v5, 0x100
	v_lshl_add_u32 v5, v0, 2, v5
	ds_read_b32 v5, v5 offset:256
	s_waitcnt lgkmcnt(0)
	v_add_f32_e32 v2, v2, v5
.LBB131_66:
	s_or_b64 exec, exec, s[2:3]
	v_or_b32_e32 v5, 0x60, v0
	s_movk_i32 s2, 0x78
	v_cmp_gt_u32_e64 s[2:3], s2, v5
	s_and_b64 s[6:7], vcc, s[2:3]
	s_and_saveexec_b64 s[2:3], s[6:7]
	s_cbranch_execz .LBB131_68
; %bb.67:
	v_mov_b32_e32 v5, 0x100
	v_lshl_add_u32 v5, v0, 2, v5
	ds_read_b32 v5, v5 offset:384
	s_waitcnt lgkmcnt(0)
	v_add_f32_e32 v1, v1, v5
.LBB131_68:
	s_or_b64 exec, exec, s[2:3]
.LBB131_69:
	s_or_b64 exec, exec, s[4:5]
	s_barrier
	s_and_saveexec_b64 s[2:3], s[0:1]
	s_cbranch_execz .LBB131_78
; %bb.70:
	s_mul_i32 s0, s10, s11
	s_mul_i32 s0, s0, s9
	s_mulk_i32 s0, 0x78
	s_ashr_i32 s1, s0, 31
	s_lshl_b64 s[0:1], s[0:1], 1
	s_add_u32 s2, s22, s0
	s_mul_i32 s0, s11, s20
	s_addc_u32 s3, s23, s1
	s_ashr_i32 s1, s0, 31
	s_lshl_b64 s[0:1], s[0:1], 1
	s_add_u32 s2, s2, s0
	s_mul_i32 s0, s8, 0x78
	s_addc_u32 s3, s3, s1
	s_ashr_i32 s1, s0, 31
	s_lshl_b64 s[0:1], s[0:1], 1
	s_add_u32 s2, s2, s0
	s_movk_i32 s6, 0x78
	s_addc_u32 s3, s3, s1
	v_lshlrev_b32_e32 v5, 1, v0
	s_and_saveexec_b64 s[4:5], vcc
	s_cbranch_execz .LBB131_72
; %bb.71:
	v_bfe_u32 v6, v4, 16, 1
	s_movk_i32 s0, 0x7fff
	v_add3_u32 v6, v6, v4, s0
	v_or_b32_e32 v7, 0x400000, v4
	v_cmp_u_f32_e64 s[0:1], v4, v4
	v_cndmask_b32_e64 v4, v6, v7, s[0:1]
	global_store_short_d16_hi v5, v4, s[2:3]
.LBB131_72:
	s_or_b64 exec, exec, s[4:5]
	v_or_b32_e32 v4, 32, v0
	v_cmp_gt_u32_e64 s[0:1], s6, v4
	s_and_b64 s[0:1], vcc, s[0:1]
	s_and_saveexec_b64 s[4:5], s[0:1]
	s_cbranch_execz .LBB131_74
; %bb.73:
	v_bfe_u32 v4, v3, 16, 1
	s_movk_i32 s0, 0x7fff
	v_add3_u32 v4, v4, v3, s0
	v_or_b32_e32 v6, 0x400000, v3
	v_cmp_u_f32_e64 s[0:1], v3, v3
	v_cndmask_b32_e64 v3, v4, v6, s[0:1]
	global_store_short_d16_hi v5, v3, s[2:3] offset:64
.LBB131_74:
	s_or_b64 exec, exec, s[4:5]
	v_or_b32_e32 v3, 64, v0
	v_cmp_gt_u32_e64 s[0:1], s6, v3
	s_and_b64 s[0:1], vcc, s[0:1]
	s_and_saveexec_b64 s[4:5], s[0:1]
	s_cbranch_execz .LBB131_76
; %bb.75:
	v_bfe_u32 v3, v2, 16, 1
	s_movk_i32 s0, 0x7fff
	v_add3_u32 v3, v3, v2, s0
	v_or_b32_e32 v4, 0x400000, v2
	v_cmp_u_f32_e64 s[0:1], v2, v2
	v_cndmask_b32_e64 v2, v3, v4, s[0:1]
	global_store_short_d16_hi v5, v2, s[2:3] offset:128
.LBB131_76:
	s_or_b64 exec, exec, s[4:5]
	v_or_b32_e32 v0, 0x60, v0
	v_cmp_gt_u32_e64 s[0:1], s6, v0
	s_and_b64 s[0:1], vcc, s[0:1]
	s_and_b64 exec, exec, s[0:1]
	s_cbranch_execz .LBB131_78
; %bb.77:
	v_bfe_u32 v0, v1, 16, 1
	s_movk_i32 s0, 0x7fff
	v_add3_u32 v0, v0, v1, s0
	v_or_b32_e32 v2, 0x400000, v1
	v_cmp_u_f32_e32 vcc, v1, v1
	v_cndmask_b32_e32 v0, v0, v2, vcc
	global_store_short_d16_hi v5, v0, s[2:3] offset:192
.LBB131_78:
	s_endpgm
	.section	.rodata,"a",@progbits
	.p2align	6, 0x0
	.amdhsa_kernel _ZN4vllm25paged_attention_v1_kernelI14__hip_bfloat16S1_Li120ELi16ELi128ELNS_18Fp8KVCacheDataTypeE0ELb1EEEvPT_PKS3_PKT0_S9_ifPKiSB_iPKfiiiSD_SD_iiiii
		.amdhsa_group_segment_fixed_size 256
		.amdhsa_private_segment_fixed_size 0
		.amdhsa_kernarg_size 384
		.amdhsa_user_sgpr_count 6
		.amdhsa_user_sgpr_private_segment_buffer 1
		.amdhsa_user_sgpr_dispatch_ptr 0
		.amdhsa_user_sgpr_queue_ptr 0
		.amdhsa_user_sgpr_kernarg_segment_ptr 1
		.amdhsa_user_sgpr_dispatch_id 0
		.amdhsa_user_sgpr_flat_scratch_init 0
		.amdhsa_user_sgpr_private_segment_size 0
		.amdhsa_uses_dynamic_stack 0
		.amdhsa_system_sgpr_private_segment_wavefront_offset 0
		.amdhsa_system_sgpr_workgroup_id_x 1
		.amdhsa_system_sgpr_workgroup_id_y 1
		.amdhsa_system_sgpr_workgroup_id_z 1
		.amdhsa_system_sgpr_workgroup_info 0
		.amdhsa_system_vgpr_workitem_id 0
		.amdhsa_next_free_vgpr 57
		.amdhsa_next_free_sgpr 44
		.amdhsa_reserve_vcc 1
		.amdhsa_reserve_flat_scratch 0
		.amdhsa_float_round_mode_32 0
		.amdhsa_float_round_mode_16_64 0
		.amdhsa_float_denorm_mode_32 3
		.amdhsa_float_denorm_mode_16_64 3
		.amdhsa_dx10_clamp 1
		.amdhsa_ieee_mode 1
		.amdhsa_fp16_overflow 0
		.amdhsa_exception_fp_ieee_invalid_op 0
		.amdhsa_exception_fp_denorm_src 0
		.amdhsa_exception_fp_ieee_div_zero 0
		.amdhsa_exception_fp_ieee_overflow 0
		.amdhsa_exception_fp_ieee_underflow 0
		.amdhsa_exception_fp_ieee_inexact 0
		.amdhsa_exception_int_div_zero 0
	.end_amdhsa_kernel
	.section	.text._ZN4vllm25paged_attention_v1_kernelI14__hip_bfloat16S1_Li120ELi16ELi128ELNS_18Fp8KVCacheDataTypeE0ELb1EEEvPT_PKS3_PKT0_S9_ifPKiSB_iPKfiiiSD_SD_iiiii,"axG",@progbits,_ZN4vllm25paged_attention_v1_kernelI14__hip_bfloat16S1_Li120ELi16ELi128ELNS_18Fp8KVCacheDataTypeE0ELb1EEEvPT_PKS3_PKT0_S9_ifPKiSB_iPKfiiiSD_SD_iiiii,comdat
.Lfunc_end131:
	.size	_ZN4vllm25paged_attention_v1_kernelI14__hip_bfloat16S1_Li120ELi16ELi128ELNS_18Fp8KVCacheDataTypeE0ELb1EEEvPT_PKS3_PKT0_S9_ifPKiSB_iPKfiiiSD_SD_iiiii, .Lfunc_end131-_ZN4vllm25paged_attention_v1_kernelI14__hip_bfloat16S1_Li120ELi16ELi128ELNS_18Fp8KVCacheDataTypeE0ELb1EEEvPT_PKS3_PKT0_S9_ifPKiSB_iPKfiiiSD_SD_iiiii
                                        ; -- End function
	.set _ZN4vllm25paged_attention_v1_kernelI14__hip_bfloat16S1_Li120ELi16ELi128ELNS_18Fp8KVCacheDataTypeE0ELb1EEEvPT_PKS3_PKT0_S9_ifPKiSB_iPKfiiiSD_SD_iiiii.num_vgpr, 57
	.set _ZN4vllm25paged_attention_v1_kernelI14__hip_bfloat16S1_Li120ELi16ELi128ELNS_18Fp8KVCacheDataTypeE0ELb1EEEvPT_PKS3_PKT0_S9_ifPKiSB_iPKfiiiSD_SD_iiiii.num_agpr, 0
	.set _ZN4vllm25paged_attention_v1_kernelI14__hip_bfloat16S1_Li120ELi16ELi128ELNS_18Fp8KVCacheDataTypeE0ELb1EEEvPT_PKS3_PKT0_S9_ifPKiSB_iPKfiiiSD_SD_iiiii.numbered_sgpr, 44
	.set _ZN4vllm25paged_attention_v1_kernelI14__hip_bfloat16S1_Li120ELi16ELi128ELNS_18Fp8KVCacheDataTypeE0ELb1EEEvPT_PKS3_PKT0_S9_ifPKiSB_iPKfiiiSD_SD_iiiii.num_named_barrier, 0
	.set _ZN4vllm25paged_attention_v1_kernelI14__hip_bfloat16S1_Li120ELi16ELi128ELNS_18Fp8KVCacheDataTypeE0ELb1EEEvPT_PKS3_PKT0_S9_ifPKiSB_iPKfiiiSD_SD_iiiii.private_seg_size, 0
	.set _ZN4vllm25paged_attention_v1_kernelI14__hip_bfloat16S1_Li120ELi16ELi128ELNS_18Fp8KVCacheDataTypeE0ELb1EEEvPT_PKS3_PKT0_S9_ifPKiSB_iPKfiiiSD_SD_iiiii.uses_vcc, 1
	.set _ZN4vllm25paged_attention_v1_kernelI14__hip_bfloat16S1_Li120ELi16ELi128ELNS_18Fp8KVCacheDataTypeE0ELb1EEEvPT_PKS3_PKT0_S9_ifPKiSB_iPKfiiiSD_SD_iiiii.uses_flat_scratch, 0
	.set _ZN4vllm25paged_attention_v1_kernelI14__hip_bfloat16S1_Li120ELi16ELi128ELNS_18Fp8KVCacheDataTypeE0ELb1EEEvPT_PKS3_PKT0_S9_ifPKiSB_iPKfiiiSD_SD_iiiii.has_dyn_sized_stack, 0
	.set _ZN4vllm25paged_attention_v1_kernelI14__hip_bfloat16S1_Li120ELi16ELi128ELNS_18Fp8KVCacheDataTypeE0ELb1EEEvPT_PKS3_PKT0_S9_ifPKiSB_iPKfiiiSD_SD_iiiii.has_recursion, 0
	.set _ZN4vllm25paged_attention_v1_kernelI14__hip_bfloat16S1_Li120ELi16ELi128ELNS_18Fp8KVCacheDataTypeE0ELb1EEEvPT_PKS3_PKT0_S9_ifPKiSB_iPKfiiiSD_SD_iiiii.has_indirect_call, 0
	.section	.AMDGPU.csdata,"",@progbits
; Kernel info:
; codeLenInByte = 7456
; TotalNumSgprs: 48
; NumVgprs: 57
; ScratchSize: 0
; MemoryBound: 0
; FloatMode: 240
; IeeeMode: 1
; LDSByteSize: 256 bytes/workgroup (compile time only)
; SGPRBlocks: 5
; VGPRBlocks: 14
; NumSGPRsForWavesPerEU: 48
; NumVGPRsForWavesPerEU: 57
; Occupancy: 4
; WaveLimiterHint : 1
; COMPUTE_PGM_RSRC2:SCRATCH_EN: 0
; COMPUTE_PGM_RSRC2:USER_SGPR: 6
; COMPUTE_PGM_RSRC2:TRAP_HANDLER: 0
; COMPUTE_PGM_RSRC2:TGID_X_EN: 1
; COMPUTE_PGM_RSRC2:TGID_Y_EN: 1
; COMPUTE_PGM_RSRC2:TGID_Z_EN: 1
; COMPUTE_PGM_RSRC2:TIDIG_COMP_CNT: 0
	.section	.text._ZN4vllm25paged_attention_v1_kernelI14__hip_bfloat16S1_Li128ELi16ELi128ELNS_18Fp8KVCacheDataTypeE0ELb1EEEvPT_PKS3_PKT0_S9_ifPKiSB_iPKfiiiSD_SD_iiiii,"axG",@progbits,_ZN4vllm25paged_attention_v1_kernelI14__hip_bfloat16S1_Li128ELi16ELi128ELNS_18Fp8KVCacheDataTypeE0ELb1EEEvPT_PKS3_PKT0_S9_ifPKiSB_iPKfiiiSD_SD_iiiii,comdat
	.protected	_ZN4vllm25paged_attention_v1_kernelI14__hip_bfloat16S1_Li128ELi16ELi128ELNS_18Fp8KVCacheDataTypeE0ELb1EEEvPT_PKS3_PKT0_S9_ifPKiSB_iPKfiiiSD_SD_iiiii ; -- Begin function _ZN4vllm25paged_attention_v1_kernelI14__hip_bfloat16S1_Li128ELi16ELi128ELNS_18Fp8KVCacheDataTypeE0ELb1EEEvPT_PKS3_PKT0_S9_ifPKiSB_iPKfiiiSD_SD_iiiii
	.globl	_ZN4vllm25paged_attention_v1_kernelI14__hip_bfloat16S1_Li128ELi16ELi128ELNS_18Fp8KVCacheDataTypeE0ELb1EEEvPT_PKS3_PKT0_S9_ifPKiSB_iPKfiiiSD_SD_iiiii
	.p2align	8
	.type	_ZN4vllm25paged_attention_v1_kernelI14__hip_bfloat16S1_Li128ELi16ELi128ELNS_18Fp8KVCacheDataTypeE0ELb1EEEvPT_PKS3_PKT0_S9_ifPKiSB_iPKfiiiSD_SD_iiiii,@function
_ZN4vllm25paged_attention_v1_kernelI14__hip_bfloat16S1_Li128ELi16ELi128ELNS_18Fp8KVCacheDataTypeE0ELb1EEEvPT_PKS3_PKT0_S9_ifPKiSB_iPKfiiiSD_SD_iiiii: ; @_ZN4vllm25paged_attention_v1_kernelI14__hip_bfloat16S1_Li128ELi16ELi128ELNS_18Fp8KVCacheDataTypeE0ELb1EEEvPT_PKS3_PKT0_S9_ifPKiSB_iPKfiiiSD_SD_iiiii
; %bb.0:
	s_load_dword s9, s[4:5], 0x80
	s_load_dwordx2 s[0:1], s[4:5], 0x30
	s_load_dwordx2 s[34:35], s[4:5], 0x20
	s_mov_b32 s20, s7
	s_ashr_i32 s21, s7, 31
	s_lshl_b64 s[2:3], s[20:21], 2
	s_waitcnt lgkmcnt(0)
	s_add_u32 s0, s0, s2
	s_addc_u32 s1, s1, s3
	s_abs_i32 s2, s34
	v_cvt_f32_u32_e32 v1, s2
	s_sub_i32 s10, 0, s2
	s_abs_i32 s7, s9
	s_xor_b32 s3, s9, s34
	v_rcp_iflag_f32_e32 v1, v1
	s_ashr_i32 s3, s3, 31
	s_mov_b32 s44, 0
	v_mul_f32_e32 v1, 0x4f7ffffe, v1
	v_cvt_u32_f32_e32 v1, v1
	v_readfirstlane_b32 s11, v1
	s_mul_i32 s10, s10, s11
	s_mul_hi_u32 s10, s11, s10
	s_add_i32 s11, s11, s10
	s_mul_hi_u32 s10, s7, s11
	s_mul_i32 s11, s10, s2
	s_sub_i32 s7, s7, s11
	s_add_i32 s11, s10, 1
	s_sub_i32 s12, s7, s2
	s_cmp_ge_u32 s7, s2
	s_cselect_b32 s10, s11, s10
	s_cselect_b32 s7, s12, s7
	s_add_i32 s11, s10, 1
	s_cmp_ge_u32 s7, s2
	s_cselect_b32 s2, s11, s10
	s_xor_b32 s2, s2, s3
	s_sub_i32 s11, s2, s3
	s_abs_i32 s10, s11
	v_cvt_f32_u32_e32 v1, s10
	s_load_dwordx2 s[2:3], s[4:5], 0x40
	s_sub_i32 s7, 0, s10
	s_abs_i32 s24, s6
	v_rcp_iflag_f32_e32 v1, v1
	v_mul_f32_e32 v1, 0x4f7ffffe, v1
	v_cvt_u32_f32_e32 v1, v1
	v_readfirstlane_b32 s12, v1
	s_mul_i32 s7, s7, s12
	s_mul_hi_u32 s7, s12, s7
	s_add_i32 s12, s12, s7
	s_waitcnt lgkmcnt(0)
	s_cmp_eq_u64 s[2:3], 0
	s_mul_hi_u32 s25, s24, s12
	s_cbranch_scc1 .LBB132_2
; %bb.1:
	s_ashr_i32 s7, s6, 31
	s_lshl_b64 s[12:13], s[6:7], 2
	s_add_u32 s2, s2, s12
	s_addc_u32 s3, s3, s13
	s_load_dword s44, s[2:3], 0x0
.LBB132_2:
	s_load_dword s21, s[0:1], 0x0
	s_load_dwordx4 s[12:15], s[4:5], 0x48
	s_ashr_i32 s7, s6, 31
	s_ashr_i32 s26, s11, 31
	v_and_b32_e32 v1, 3, v0
	s_lshl_b32 s22, s6, 7
	v_cmp_gt_u32_e64 s[0:1], 64, v0
	v_lshlrev_b32_e32 v2, 2, v0
	s_and_saveexec_b64 s[2:3], s[0:1]
	s_cbranch_execz .LBB132_4
; %bb.3:
	s_load_dwordx2 s[16:17], s[4:5], 0x8
	s_waitcnt lgkmcnt(0)
	s_mul_i32 s18, s12, s20
	s_ashr_i32 s19, s18, 31
	s_lshl_b64 s[18:19], s[18:19], 1
	v_and_b32_e32 v4, 0x3fc, v0
	s_add_u32 s11, s16, s18
	s_addc_u32 s12, s17, s19
	s_ashr_i32 s23, s22, 31
	s_lshl_b64 s[16:17], s[22:23], 1
	s_add_u32 s16, s11, s16
	s_addc_u32 s17, s12, s17
	global_load_dword v3, v2, s[16:17]
	v_lshl_add_u32 v4, v1, 6, v4
	s_waitcnt vmcnt(0)
	ds_write_b32 v4, v3
.LBB132_4:
	s_or_b64 exec, exec, s[2:3]
	s_mul_i32 s3, s25, s10
	s_sub_i32 s3, s24, s3
	s_xor_b32 s2, s7, s26
	s_add_i32 s7, s25, 1
	s_waitcnt lgkmcnt(0)
	s_sub_i32 s12, s3, s10
	s_load_dwordx4 s[16:19], s[4:5], 0x68
	s_load_dword s11, s[4:5], 0x78
	s_cmp_ge_u32 s3, s10
	s_cselect_b32 s7, s7, s25
	s_cselect_b32 s3, s12, s3
	s_add_i32 s12, s7, 1
	s_cmp_ge_u32 s3, s10
	s_cselect_b32 s3, s12, s7
	s_waitcnt lgkmcnt(0)
	s_abs_i32 s23, s19
	v_cvt_f32_u32_e32 v3, s23
	s_xor_b32 s3, s3, s2
	s_sub_i32 s7, s3, s2
	s_sub_i32 s2, 0, s23
	v_rcp_iflag_f32_e32 v3, v3
	s_add_i32 s15, s21, -1
	s_abs_i32 s10, s15
	v_mul_f32_e32 v3, 0x4f7ffffe, v3
	v_cvt_u32_f32_e32 v3, v3
	s_barrier
	v_readfirstlane_b32 s33, v3
	s_mul_i32 s2, s2, s33
	s_mul_hi_u32 s2, s33, s2
	s_add_i32 s33, s33, s2
	s_cmp_lt_i32 s11, 0
	s_mul_hi_u32 s12, s10, s33
	s_cbranch_scc0 .LBB132_6
; %bb.5:
	s_mul_i32 s2, s16, s34
	s_add_i32 s2, s7, s2
	s_mul_i32 s2, s2, s11
	s_sub_i32 s42, 1, s2
	s_mov_b64 s[2:3], 0
	s_branch .LBB132_7
.LBB132_6:
	s_mov_b64 s[2:3], -1
                                        ; implicit-def: $sgpr42
.LBB132_7:
	s_load_dwordx2 s[26:27], s[4:5], 0x28
	s_ashr_i32 s15, s15, 31
	s_andn2_b64 vcc, exec, s[2:3]
	s_ashr_i32 s19, s19, 31
	s_cbranch_vccnz .LBB132_9
; %bb.8:
	s_mul_i32 s2, s9, s16
	s_add_i32 s2, s2, s6
	s_mul_i32 s2, s2, s11
	s_add_i32 s42, s2, 1
.LBB132_9:
	s_load_dword s2, s[4:5], 0x38
	s_load_dwordx2 s[24:25], s[4:5], 0x0
	s_load_dwordx2 s[30:31], s[4:5], 0x18
	s_load_dword s16, s[4:5], 0x88
	s_xor_b32 s3, s15, s19
	s_waitcnt lgkmcnt(0)
	s_mul_i32 s28, s2, s20
	s_mul_i32 s2, s12, s23
	s_sub_i32 s2, s10, s2
	s_ashr_i32 s29, s28, 31
	s_add_i32 s6, s12, 1
	s_sub_i32 s10, s2, s23
	s_cmp_ge_u32 s2, s23
	s_cselect_b32 s6, s6, s12
	s_cselect_b32 s2, s10, s2
	s_add_i32 s10, s6, 1
	s_cmp_ge_u32 s2, s23
	s_cselect_b32 s2, s10, s6
	s_xor_b32 s2, s2, s3
	s_sub_i32 s12, s2, s3
	s_add_i32 s2, s21, 15
	s_ashr_i32 s3, s2, 31
	s_lshr_b32 s3, s3, 28
	s_add_i32 s2, s2, s3
	s_ashr_i32 s43, s2, 4
	v_lshrrev_b32_e32 v27, 6, v0
	v_cmp_gt_i32_e64 s[2:3], s43, v27
	v_mov_b32_e32 v10, 0xff7fffff
	s_mul_i32 s14, s7, s14
	v_lshrrev_b32_e32 v5, 4, v0
	v_lshlrev_b32_e32 v28, 4, v27
	v_mbcnt_lo_u32_b32 v6, -1, 0
	s_and_saveexec_b64 s[36:37], s[2:3]
	s_cbranch_execz .LBB132_21
; %bb.10:
	s_load_dwordx2 s[4:5], s[4:5], 0x10
	s_ashr_i32 s15, s14, 31
	s_sub_i32 s34, s12, s17
	s_lshl_b64 s[6:7], s[14:15], 1
	v_bfe_u32 v7, v0, 2, 4
	s_waitcnt lgkmcnt(0)
	s_add_u32 s4, s4, s6
	s_addc_u32 s5, s5, s7
	s_abs_i32 s15, s18
	v_cvt_f32_u32_e32 v3, s15
	v_mov_b32_e32 v8, s5
	s_sub_i32 s5, 0, s15
	v_lshlrev_b32_e32 v4, 4, v7
	v_rcp_iflag_f32_e32 v3, v3
	s_lshl_b64 s[6:7], s[28:29], 2
	v_and_b32_e32 v2, 12, v2
	s_add_u32 s6, s26, s6
	v_mul_f32_e32 v3, 0x4f7ffffe, v3
	v_cvt_u32_f32_e32 v3, v3
	v_cmp_eq_u32_e32 vcc, 0, v1
	v_lshlrev_b32_e32 v11, 6, v1
	v_and_b32_e32 v1, 60, v5
	v_mul_lo_u32 v9, s5, v3
	v_add_co_u32_e64 v4, s[4:5], s4, v4
	v_addc_co_u32_e64 v10, s[4:5], 0, v8, s[4:5]
	v_mul_hi_u32 v12, v3, v9
	v_add_co_u32_e64 v8, s[4:5], v4, v2
	s_addc_u32 s7, s27, s7
	v_add_u32_e32 v12, v3, v12
	v_subrev_u32_e32 v3, s21, v7
	v_add_u32_e32 v14, 1, v3
	v_lshlrev_b32_e32 v3, 2, v7
	v_lshl_or_b32 v3, v27, 6, v3
	v_mbcnt_hi_u32_b32 v16, -1, v6
	v_addc_co_u32_e64 v9, s[4:5], 0, v10, s[4:5]
	v_mov_b32_e32 v2, s7
	v_add_co_u32_e64 v1, s[6:7], s6, v1
	v_add_u32_e32 v15, 0x110, v3
	v_and_b32_e32 v3, 64, v16
	s_mov_b32 s45, s13
	v_cmp_neq_f32_e64 s[4:5], s44, 0
	v_addc_co_u32_e64 v2, s[6:7], 0, v2, s[6:7]
	v_lshlrev_b32_e32 v13, 4, v27
	s_mov_b64 s[38:39], 0
	v_add_u32_e32 v17, 64, v3
	v_xor_b32_e32 v18, 2, v16
	v_xor_b32_e32 v19, 1, v16
	v_mov_b32_e32 v10, 0xff7fffff
	v_mov_b32_e32 v20, v27
	s_branch .LBB132_13
.LBB132_11:                             ;   in Loop: Header=BB132_13 Depth=1
	s_or_b64 exec, exec, s[40:41]
.LBB132_12:                             ;   in Loop: Header=BB132_13 Depth=1
	s_or_b64 exec, exec, s[10:11]
	v_add_co_u32_e64 v1, s[6:7], 8, v1
	v_add_u32_e32 v20, 2, v20
	v_addc_co_u32_e64 v2, s[6:7], 0, v2, s[6:7]
	v_cmp_le_i32_e64 s[6:7], s43, v20
	v_add_u32_e32 v13, 32, v13
	s_or_b64 s[38:39], s[6:7], s[38:39]
	v_add_u32_e32 v15, 0x80, v15
	s_andn2_b64 exec, exec, s[38:39]
	s_cbranch_execz .LBB132_20
.LBB132_13:                             ; =>This Inner Loop Header: Depth=1
	v_mul_hi_u32 v3, v13, s33
	s_waitcnt lgkmcnt(0)
	v_mul_lo_u32 v4, v3, s23
	v_add_u32_e32 v21, 1, v3
	v_sub_u32_e32 v4, v13, v4
	v_cmp_le_u32_e64 s[6:7], s23, v4
	v_cndmask_b32_e64 v3, v3, v21, s[6:7]
	v_subrev_u32_e32 v21, s23, v4
	v_cndmask_b32_e64 v4, v4, v21, s[6:7]
	v_add_u32_e32 v21, 1, v3
	v_cmp_le_u32_e64 s[6:7], s23, v4
	v_cndmask_b32_e64 v3, v3, v21, s[6:7]
	v_xor_b32_e32 v3, s19, v3
	v_subrev_u32_e32 v3, s19, v3
	v_add_u32_e32 v4, s42, v3
	v_sub_u32_e32 v21, 0, v4
	v_max_i32_e32 v21, v4, v21
	v_mul_hi_u32 v22, v21, v12
	v_ashrrev_i32_e32 v4, 31, v4
	v_cmp_ge_i32_e64 s[10:11], s34, v3
	v_mul_lo_u32 v22, v22, s15
	v_sub_u32_e32 v21, v21, v22
	v_subrev_u32_e32 v22, s15, v21
	v_cmp_le_u32_e64 s[6:7], s15, v21
	v_cndmask_b32_e64 v21, v21, v22, s[6:7]
	v_subrev_u32_e32 v22, s15, v21
	v_cmp_le_u32_e64 s[6:7], s15, v21
	v_cndmask_b32_e64 v21, v21, v22, s[6:7]
	v_xor_b32_e32 v21, v21, v4
	v_sub_u32_e32 v4, v21, v4
	v_cmp_ne_u32_e64 s[6:7], 0, v4
	s_and_b64 s[6:7], s[6:7], s[10:11]
	s_and_saveexec_b64 s[10:11], s[6:7]
	s_xor_b64 s[6:7], exec, s[10:11]
	s_cbranch_execz .LBB132_17
; %bb.14:                               ;   in Loop: Header=BB132_13 Depth=1
	s_and_saveexec_b64 s[10:11], vcc
; %bb.15:                               ;   in Loop: Header=BB132_13 Depth=1
	v_mov_b32_e32 v3, 0xff7fffff
	ds_write_b32 v15, v3
; %bb.16:                               ;   in Loop: Header=BB132_13 Depth=1
	s_or_b64 exec, exec, s[10:11]
.LBB132_17:                             ;   in Loop: Header=BB132_13 Depth=1
	s_andn2_saveexec_b64 s[10:11], s[6:7]
	s_cbranch_execz .LBB132_12
; %bb.18:                               ;   in Loop: Header=BB132_13 Depth=1
	ds_read_b128 v[21:24], v11
	ds_read_b128 v[32:35], v11 offset:16
	s_waitcnt lgkmcnt(1)
	v_lshlrev_b32_e32 v31, 16, v21
	v_lshlrev_b32_e32 v30, 16, v22
	;; [unrolled: 1-line block ×4, first 2 shown]
	v_and_b32_e32 v53, 0xffff0000, v21
	v_and_b32_e32 v54, 0xffff0000, v22
	;; [unrolled: 1-line block ×4, first 2 shown]
	ds_read_b128 v[21:24], v11 offset:32
	ds_read_b128 v[55:58], v11 offset:48
	global_load_dword v3, v[1:2], off
	s_waitcnt lgkmcnt(2)
	v_lshlrev_b32_e32 v48, 16, v32
	v_lshlrev_b32_e32 v45, 16, v33
	v_lshlrev_b32_e32 v43, 16, v34
	v_lshlrev_b32_e32 v41, 16, v35
	v_and_b32_e32 v51, 0xffff0000, v32
	v_and_b32_e32 v47, 0xffff0000, v33
	v_and_b32_e32 v44, 0xffff0000, v34
	v_and_b32_e32 v42, 0xffff0000, v35
	s_waitcnt lgkmcnt(1)
	v_lshlrev_b32_e32 v39, 16, v21
	v_lshlrev_b32_e32 v37, 16, v22
	v_lshlrev_b32_e32 v35, 16, v23
	v_lshlrev_b32_e32 v32, 16, v24
	v_and_b32_e32 v40, 0xffff0000, v21
	v_and_b32_e32 v38, 0xffff0000, v22
	v_and_b32_e32 v36, 0xffff0000, v23
	v_and_b32_e32 v34, 0xffff0000, v24
	;; [unrolled: 9-line block ×3, first 2 shown]
	s_waitcnt vmcnt(0)
	v_mad_i64_i32 v[3:4], s[6:7], v3, s45, 0
	v_lshlrev_b64 v[3:4], 1, v[3:4]
	v_add_co_u32_e64 v3, s[6:7], v8, v3
	v_addc_co_u32_e64 v4, s[6:7], v9, v4, s[6:7]
	global_load_dword v55, v[3:4], off offset:256
	global_load_dword v56, v[3:4], off offset:512
	;; [unrolled: 1-line block ×7, first 2 shown]
	v_cmp_lt_i32_e64 s[6:7], v18, v17
	s_waitcnt vmcnt(6)
	v_lshlrev_b32_e32 v62, 16, v55
	v_mul_f32_e32 v30, v30, v62
	global_load_dword v62, v[3:4], off
	s_waitcnt vmcnt(0)
	v_lshlrev_b32_e32 v63, 16, v62
	v_fmac_f32_e32 v30, v31, v63
	v_and_b32_e32 v31, 0xffff0000, v55
	v_mul_f32_e32 v31, v54, v31
	v_and_b32_e32 v54, 0xffff0000, v62
	v_fmac_f32_e32 v31, v53, v54
	v_lshlrev_b32_e32 v53, 16, v56
	v_fmac_f32_e32 v30, v50, v53
	v_and_b32_e32 v50, 0xffff0000, v56
	v_fmac_f32_e32 v31, v52, v50
	v_lshlrev_b32_e32 v50, 16, v57
	v_fmac_f32_e32 v30, v46, v50
	;; [unrolled: 4-line block ×6, first 2 shown]
	v_and_b32_e32 v41, 0xffff0000, v61
	v_fmac_f32_e32 v31, v42, v41
	global_load_dword v44, v[3:4], off offset:2048
	global_load_dword v45, v[3:4], off offset:2304
	;; [unrolled: 1-line block ×7, first 2 shown]
	s_nop 0
	global_load_dword v3, v[3:4], off offset:3840
	s_waitcnt vmcnt(7)
	v_lshlrev_b32_e32 v4, 16, v44
	v_fmac_f32_e32 v30, v39, v4
	v_and_b32_e32 v4, 0xffff0000, v44
	v_fmac_f32_e32 v31, v40, v4
	s_waitcnt vmcnt(6)
	v_lshlrev_b32_e32 v4, 16, v45
	v_fmac_f32_e32 v30, v37, v4
	v_and_b32_e32 v4, 0xffff0000, v45
	v_fmac_f32_e32 v31, v38, v4
	;; [unrolled: 5-line block ×4, first 2 shown]
	s_waitcnt vmcnt(3)
	v_lshlrev_b32_e32 v4, 16, v43
	v_and_b32_e32 v32, 0xffff0000, v43
	v_fmac_f32_e32 v30, v33, v4
	s_waitcnt vmcnt(2)
	v_lshlrev_b32_e32 v33, 16, v42
	v_and_b32_e32 v34, 0xffff0000, v42
	v_fmac_f32_e32 v31, v29, v32
	s_waitcnt vmcnt(1)
	v_lshlrev_b32_e32 v29, 16, v41
	v_and_b32_e32 v32, 0xffff0000, v41
	v_fmac_f32_e32 v30, v24, v33
	v_fmac_f32_e32 v31, v26, v34
	s_waitcnt vmcnt(0)
	v_lshlrev_b32_e32 v35, 16, v3
	v_and_b32_e32 v3, 0xffff0000, v3
	v_fmac_f32_e32 v30, v22, v29
	v_fmac_f32_e32 v31, v25, v32
	v_cndmask_b32_e64 v4, v16, v18, s[6:7]
	v_fmac_f32_e32 v30, v21, v35
	v_fmac_f32_e32 v31, v23, v3
	v_lshlrev_b32_e32 v4, 2, v4
	v_add_f32_e32 v3, v30, v31
	ds_bpermute_b32 v4, v4, v3
	v_cmp_lt_i32_e64 s[6:7], v19, v17
	v_cndmask_b32_e64 v21, v16, v19, s[6:7]
	v_lshlrev_b32_e32 v21, 2, v21
	s_waitcnt lgkmcnt(0)
	v_add_f32_e32 v3, v3, v4
	ds_bpermute_b32 v4, v21, v3
	s_and_saveexec_b64 s[40:41], vcc
	s_cbranch_execz .LBB132_11
; %bb.19:                               ;   in Loop: Header=BB132_13 Depth=1
	v_add_u32_e32 v21, v14, v13
	v_cvt_f32_i32_e32 v21, v21
	s_waitcnt lgkmcnt(0)
	v_add_f32_e32 v3, v3, v4
	v_add_u32_e32 v22, v7, v13
	v_cmp_gt_i32_e64 s[6:7], s21, v22
	v_mul_f32_e32 v4, s44, v21
	v_cndmask_b32_e64 v4, 0, v4, s[4:5]
	v_fmac_f32_e32 v4, s35, v3
	v_cndmask_b32_e64 v3, 0, v4, s[6:7]
	ds_write_b32 v15, v3
	v_max_f32_e32 v3, v10, v10
	v_max_f32_e32 v3, v3, v4
	v_cndmask_b32_e64 v10, v10, v3, s[6:7]
	s_branch .LBB132_11
.LBB132_20:
	s_or_b64 exec, exec, s[38:39]
.LBB132_21:
	s_or_b64 exec, exec, s[36:37]
	v_mbcnt_hi_u32_b32 v1, -1, v6
	v_and_b32_e32 v11, 64, v1
	v_add_u32_e32 v2, 64, v11
	v_xor_b32_e32 v3, 32, v1
	v_cmp_lt_i32_e32 vcc, v3, v2
	v_cndmask_b32_e32 v3, v1, v3, vcc
	v_lshlrev_b32_e32 v3, 2, v3
	s_waitcnt lgkmcnt(0)
	ds_bpermute_b32 v4, v3, v10
	v_xor_b32_e32 v7, 16, v1
	v_max_f32_e32 v6, v10, v10
	v_cmp_lt_i32_e32 vcc, v7, v2
	v_xor_b32_e32 v8, 8, v1
	s_waitcnt lgkmcnt(0)
	v_max_f32_e32 v4, v4, v4
	v_max_f32_e32 v6, v6, v4
	v_cndmask_b32_e32 v4, v1, v7, vcc
	v_lshlrev_b32_e32 v4, 2, v4
	ds_bpermute_b32 v7, v4, v6
	v_cmp_lt_i32_e32 vcc, v8, v2
	v_xor_b32_e32 v9, 4, v1
	v_and_b32_e32 v29, 63, v0
	s_waitcnt lgkmcnt(0)
	v_max_f32_e32 v7, v7, v7
	v_max_f32_e32 v6, v6, v7
	v_cndmask_b32_e32 v7, v1, v8, vcc
	v_lshlrev_b32_e32 v8, 2, v7
	ds_bpermute_b32 v7, v8, v6
	v_cmp_lt_i32_e32 vcc, v9, v2
	s_waitcnt lgkmcnt(0)
	v_max_f32_e32 v7, v7, v7
	v_max_f32_e32 v7, v6, v7
	v_cndmask_b32_e32 v6, v1, v9, vcc
	v_lshlrev_b32_e32 v9, 2, v6
	ds_bpermute_b32 v10, v9, v7
	v_cmp_eq_u32_e32 vcc, 0, v29
	v_lshlrev_b32_e32 v6, 2, v27
	s_and_saveexec_b64 s[4:5], vcc
	s_cbranch_execz .LBB132_23
; %bb.22:
	s_waitcnt lgkmcnt(0)
	v_max_f32_e32 v10, v10, v10
	v_max_f32_e32 v7, v7, v7
	;; [unrolled: 1-line block ×3, first 2 shown]
	ds_write_b32 v6, v7 offset:256
.LBB132_23:
	s_or_b64 exec, exec, s[4:5]
	v_cmp_gt_u32_e64 s[4:5], 2, v29
	s_waitcnt lgkmcnt(0)
	v_mov_b32_e32 v10, 0xff7fffff
	v_lshlrev_b32_e32 v7, 2, v29
	s_barrier
	s_and_saveexec_b64 s[6:7], s[4:5]
; %bb.24:
	ds_read_b32 v10, v7 offset:256
; %bb.25:
	s_or_b64 exec, exec, s[6:7]
	v_xor_b32_e32 v12, 1, v1
	v_cmp_lt_i32_e64 s[6:7], v12, v2
	v_cndmask_b32_e64 v12, v1, v12, s[6:7]
	v_lshlrev_b32_e32 v30, 2, v12
	s_waitcnt lgkmcnt(0)
	ds_bpermute_b32 v12, v30, v10
	v_max_f32_e32 v10, v10, v10
	v_lshlrev_b32_e32 v11, 2, v11
	s_lshl_b32 s6, s43, 4
	s_min_i32 s15, s6, s21
	s_waitcnt lgkmcnt(0)
	v_max_f32_e32 v12, v12, v12
	v_max_f32_e32 v10, v10, v12
	ds_bpermute_b32 v11, v11, v10
	v_cmp_gt_i32_e64 s[6:7], s15, v0
	v_mov_b32_e32 v10, 0
	s_and_saveexec_b64 s[34:35], s[6:7]
	s_cbranch_execz .LBB132_29
; %bb.26:
	v_mov_b32_e32 v10, 0x110
	v_lshl_add_u32 v12, v0, 2, v10
	v_mov_b32_e32 v10, 0
	s_mov_b64 s[36:37], 0
	v_mov_b32_e32 v13, v0
.LBB132_27:                             ; =>This Inner Loop Header: Depth=1
	ds_read_b32 v14, v12
	v_add_u32_e32 v13, 0x80, v13
	v_cmp_le_i32_e64 s[10:11], s15, v13
	s_or_b64 s[36:37], s[10:11], s[36:37]
	s_waitcnt lgkmcnt(0)
	v_sub_f32_e32 v14, v14, v11
	v_mul_f32_e32 v14, 0x3fb8aa3b, v14
	v_exp_f32_e32 v14, v14
	ds_write_b32 v12, v14
	v_add_f32_e32 v10, v10, v14
	v_add_u32_e32 v12, 0x200, v12
	s_andn2_b64 exec, exec, s[36:37]
	s_cbranch_execnz .LBB132_27
; %bb.28:
	s_or_b64 exec, exec, s[36:37]
.LBB132_29:
	s_or_b64 exec, exec, s[34:35]
	ds_bpermute_b32 v3, v3, v10
	s_waitcnt lgkmcnt(0)
	v_add_f32_e32 v3, v10, v3
	ds_bpermute_b32 v4, v4, v3
	s_waitcnt lgkmcnt(0)
	v_add_f32_e32 v3, v3, v4
	ds_bpermute_b32 v4, v8, v3
	v_xor_b32_e32 v8, 2, v1
	v_cmp_lt_i32_e64 s[10:11], v8, v2
	v_cndmask_b32_e64 v2, v1, v8, s[10:11]
	v_lshlrev_b32_e32 v2, 2, v2
	s_waitcnt lgkmcnt(0)
	v_add_f32_e32 v3, v3, v4
	ds_bpermute_b32 v4, v9, v3
	s_waitcnt lgkmcnt(0)
	v_add_f32_e32 v3, v3, v4
	ds_bpermute_b32 v2, v2, v3
	;; [unrolled: 3-line block ×3, first 2 shown]
	s_waitcnt lgkmcnt(0)
	v_add_f32_e32 v2, v2, v3
	s_and_saveexec_b64 s[10:11], vcc
; %bb.30:
	ds_write_b32 v6, v2 offset:264
; %bb.31:
	s_or_b64 exec, exec, s[10:11]
	s_waitcnt lgkmcnt(0)
	s_barrier
	s_and_saveexec_b64 s[10:11], s[4:5]
; %bb.32:
	ds_read_b32 v2, v7 offset:264
; %bb.33:
	s_or_b64 exec, exec, s[10:11]
	s_waitcnt lgkmcnt(0)
	ds_bpermute_b32 v3, v30, v2
	v_lshlrev_b32_e32 v1, 2, v1
	v_and_b32_e32 v1, 0x100, v1
	s_waitcnt lgkmcnt(0)
	v_add_f32_e32 v2, v2, v3
	ds_bpermute_b32 v1, v1, v2
	s_and_saveexec_b64 s[4:5], s[6:7]
	s_cbranch_execz .LBB132_36
; %bb.34:
	s_waitcnt lgkmcnt(0)
	v_add_f32_e32 v2, 0x358637bd, v1
	v_div_scale_f32 v1, s[6:7], v2, v2, 1.0
	v_div_scale_f32 v3, vcc, 1.0, v2, 1.0
	s_mov_b64 s[6:7], 0
	v_rcp_f32_e32 v4, v1
	v_fma_f32 v6, -v1, v4, 1.0
	v_fmac_f32_e32 v4, v6, v4
	v_mul_f32_e32 v6, v3, v4
	v_fma_f32 v7, -v1, v6, v3
	v_fmac_f32_e32 v6, v7, v4
	v_fma_f32 v1, -v1, v6, v3
	v_div_fmas_f32 v3, v1, v4, v6
	v_mov_b32_e32 v1, 0x110
	v_lshl_add_u32 v1, v0, 2, v1
	v_div_fixup_f32 v2, v3, v2, 1.0
	v_mov_b32_e32 v3, v0
.LBB132_35:                             ; =>This Inner Loop Header: Depth=1
	ds_read_b32 v4, v1
	v_add_u32_e32 v3, 0x80, v3
	v_cmp_le_i32_e32 vcc, s15, v3
	s_or_b64 s[6:7], vcc, s[6:7]
	s_waitcnt lgkmcnt(0)
	v_mul_f32_e32 v4, v2, v4
	ds_write_b32 v1, v4
	v_add_u32_e32 v1, 0x200, v1
	s_andn2_b64 exec, exec, s[6:7]
	s_cbranch_execnz .LBB132_35
.LBB132_36:
	s_or_b64 exec, exec, s[4:5]
	v_mov_b32_e32 v36, 0
	v_and_b32_e32 v31, 1, v0
	v_mov_b32_e32 v37, 0
	v_mov_b32_e32 v35, 0
	;; [unrolled: 1-line block ×3, first 2 shown]
	s_waitcnt lgkmcnt(0)
	s_barrier
	s_and_saveexec_b64 s[6:7], s[2:3]
	s_cbranch_execz .LBB132_50
; %bb.37:
	s_ashr_i32 s15, s14, 31
	s_sub_i32 s17, s12, s17
	s_lshl_b64 s[2:3], s[14:15], 1
	s_add_u32 s2, s30, s2
	s_addc_u32 s3, s31, s3
	s_abs_i32 s18, s18
	v_cvt_f32_u32_e32 v1, s18
	v_lshlrev_b32_e32 v2, 3, v0
	s_sub_i32 s4, 0, s18
	v_and_b32_e32 v33, 8, v2
	v_rcp_iflag_f32_e32 v1, v1
	v_lshlrev_b32_e32 v3, 4, v0
	v_and_b32_e32 v3, 0x3f0, v3
	s_add_i32 s31, s43, -1
	v_mul_f32_e32 v1, 0x4f7ffffe, v1
	v_cvt_u32_f32_e32 v1, v1
	v_mov_b32_e32 v4, s3
	v_add_co_u32_e32 v38, vcc, s2, v3
	v_mul_lo_u32 v2, s4, v1
	s_lshl_b64 s[2:3], s[28:29], 2
	v_addc_co_u32_e32 v39, vcc, 0, v4, vcc
	v_mul_hi_u32 v2, v1, v2
	s_add_u32 s2, s26, s2
	s_addc_u32 s3, s27, s3
	s_mov_b32 s30, s13
	v_add_u32_e32 v40, v1, v2
	v_and_b32_e32 v1, 60, v5
	v_add_co_u32_e32 v25, vcc, s2, v1
	v_lshlrev_b32_e32 v1, 5, v31
	v_mov_b32_e32 v2, s3
	v_lshl_or_b32 v1, v27, 6, v1
	v_mov_b32_e32 v32, 0
	s_mov_b32 s34, s21
	v_addc_co_u32_e32 v26, vcc, 0, v2, vcc
	v_add_u32_e32 v41, 0x110, v1
	s_mov_b64 s[10:11], 0
	s_mov_b32 s26, 0x5040100
	s_movk_i32 s27, 0x7fff
	v_mov_b32_e32 v34, 0
	v_mov_b32_e32 v35, 0
	;; [unrolled: 1-line block ×4, first 2 shown]
	s_branch .LBB132_40
.LBB132_38:                             ;   in Loop: Header=BB132_40 Depth=1
	s_or_b64 exec, exec, s[4:5]
	s_waitcnt lgkmcnt(1)
	v_bfe_u32 v42, v17, 16, 1
	v_add3_u32 v42, v42, v17, s27
	v_or_b32_e32 v43, 0x400000, v17
	v_cmp_u_f32_e32 vcc, v17, v17
	v_cndmask_b32_e32 v17, v42, v43, vcc
	v_bfe_u32 v42, v18, 16, 1
	v_add3_u32 v42, v42, v18, s27
	v_or_b32_e32 v43, 0x400000, v18
	v_cmp_u_f32_e32 vcc, v18, v18
	v_cndmask_b32_e32 v18, v42, v43, vcc
	;; [unrolled: 5-line block ×4, first 2 shown]
	s_waitcnt lgkmcnt(0)
	v_bfe_u32 v42, v13, 16, 1
	v_add3_u32 v42, v42, v13, s27
	v_or_b32_e32 v43, 0x400000, v13
	v_cmp_u_f32_e32 vcc, v13, v13
	v_bfe_u32 v13, v14, 16, 1
	v_cndmask_b32_e32 v42, v42, v43, vcc
	v_add3_u32 v13, v13, v14, s27
	v_or_b32_e32 v43, 0x400000, v14
	v_cmp_u_f32_e32 vcc, v14, v14
	v_cndmask_b32_e32 v43, v13, v43, vcc
	v_bfe_u32 v13, v15, 16, 1
	v_add3_u32 v13, v13, v15, s27
	v_or_b32_e32 v14, 0x400000, v15
	v_cmp_u_f32_e32 vcc, v15, v15
	v_cndmask_b32_e32 v44, v13, v14, vcc
	v_bfe_u32 v13, v16, 16, 1
	v_add3_u32 v13, v13, v16, s27
	v_or_b32_e32 v14, 0x400000, v16
	v_cmp_u_f32_e32 vcc, v16, v16
	v_cndmask_b32_e32 v16, v13, v14, vcc
	v_and_b32_e32 v13, 0xffff0000, v18
	s_waitcnt vmcnt(1)
	v_and_b32_e32 v14, 0xffff0000, v21
	v_mul_f32_e32 v14, v13, v14
	v_bfe_u32 v15, v14, 16, 1
	v_add3_u32 v15, v15, v14, s27
	v_or_b32_e32 v18, 0x400000, v14
	v_cmp_u_f32_e32 vcc, v14, v14
	v_and_b32_e32 v17, 0xffff0000, v17
	v_lshlrev_b32_e32 v14, 16, v21
	v_mul_f32_e32 v14, v17, v14
	v_cndmask_b32_e32 v45, v15, v18, vcc
	v_bfe_u32 v15, v14, 16, 1
	v_add3_u32 v15, v15, v14, s27
	v_or_b32_e32 v18, 0x400000, v14
	v_cmp_u_f32_e32 vcc, v14, v14
	v_cndmask_b32_e32 v21, v15, v18, vcc
	v_and_b32_e32 v14, 0xffff0000, v20
	v_and_b32_e32 v15, 0xffff0000, v22
	v_mul_f32_e32 v15, v14, v15
	v_bfe_u32 v18, v15, 16, 1
	v_add3_u32 v18, v18, v15, s27
	v_or_b32_e32 v20, 0x400000, v15
	v_cmp_u_f32_e32 vcc, v15, v15
	v_cndmask_b32_e32 v46, v18, v20, vcc
	v_and_b32_e32 v18, 0xffff0000, v19
	v_lshlrev_b32_e32 v15, 16, v22
	v_mul_f32_e32 v15, v18, v15
	v_bfe_u32 v19, v15, 16, 1
	v_add3_u32 v19, v19, v15, s27
	v_or_b32_e32 v20, 0x400000, v15
	v_cmp_u_f32_e32 vcc, v15, v15
	v_cndmask_b32_e32 v22, v19, v20, vcc
	v_and_b32_e32 v15, 0xffff0000, v43
	v_and_b32_e32 v19, 0xffff0000, v23
	v_mul_f32_e32 v19, v15, v19
	v_bfe_u32 v20, v19, 16, 1
	v_add3_u32 v20, v20, v19, s27
	v_or_b32_e32 v43, 0x400000, v19
	v_cmp_u_f32_e32 vcc, v19, v19
	v_cndmask_b32_e32 v43, v20, v43, vcc
	v_and_b32_e32 v19, 0xffff0000, v42
	v_lshlrev_b32_e32 v20, 16, v23
	v_mul_f32_e32 v20, v19, v20
	v_bfe_u32 v23, v20, 16, 1
	v_add3_u32 v23, v23, v20, s27
	v_or_b32_e32 v42, 0x400000, v20
	v_cmp_u_f32_e32 vcc, v20, v20
	v_and_b32_e32 v16, 0xffff0000, v16
	v_and_b32_e32 v20, 0xffff0000, v24
	v_mul_f32_e32 v20, v16, v20
	v_cndmask_b32_e32 v23, v23, v42, vcc
	v_bfe_u32 v42, v20, 16, 1
	v_add3_u32 v42, v42, v20, s27
	v_or_b32_e32 v47, 0x400000, v20
	v_cmp_u_f32_e32 vcc, v20, v20
	v_and_b32_e32 v20, 0xffff0000, v44
	v_lshlrev_b32_e32 v24, 16, v24
	v_mul_f32_e32 v24, v20, v24
	v_bfe_u32 v44, v24, 16, 1
	v_cndmask_b32_e32 v42, v42, v47, vcc
	v_add3_u32 v44, v44, v24, s27
	v_or_b32_e32 v47, 0x400000, v24
	v_cmp_u_f32_e32 vcc, v24, v24
	v_cndmask_b32_e32 v24, v44, v47, vcc
	v_and_b32_e32 v21, 0xffff0000, v21
	v_and_b32_e32 v44, 0xffff0000, v45
	v_add_f32_e32 v21, v21, v44
	v_and_b32_e32 v22, 0xffff0000, v22
	v_and_b32_e32 v44, 0xffff0000, v46
	v_add_f32_e32 v22, v22, v44
	v_add_f32_e32 v21, v22, v21
	v_and_b32_e32 v22, 0xffff0000, v23
	v_and_b32_e32 v23, 0xffff0000, v43
	v_add_f32_e32 v22, v22, v23
	;; [unrolled: 4-line block ×3, first 2 shown]
	v_add_f32_e32 v21, v22, v21
	v_add_f32_e32 v35, v35, v21
	v_and_b32_e32 v21, 0xffff0000, v9
	v_mul_f32_e32 v21, v13, v21
	v_bfe_u32 v22, v21, 16, 1
	v_lshlrev_b32_e32 v9, 16, v9
	v_add3_u32 v22, v22, v21, s27
	v_or_b32_e32 v23, 0x400000, v21
	v_cmp_u_f32_e32 vcc, v21, v21
	v_mul_f32_e32 v9, v17, v9
	v_cndmask_b32_e32 v21, v22, v23, vcc
	v_bfe_u32 v22, v9, 16, 1
	v_add3_u32 v22, v22, v9, s27
	v_or_b32_e32 v23, 0x400000, v9
	v_cmp_u_f32_e32 vcc, v9, v9
	v_cndmask_b32_e32 v9, v22, v23, vcc
	v_and_b32_e32 v22, 0xffff0000, v10
	v_mul_f32_e32 v22, v14, v22
	v_bfe_u32 v23, v22, 16, 1
	v_lshlrev_b32_e32 v10, 16, v10
	v_add3_u32 v23, v23, v22, s27
	v_or_b32_e32 v24, 0x400000, v22
	v_cmp_u_f32_e32 vcc, v22, v22
	v_mul_f32_e32 v10, v18, v10
	v_cndmask_b32_e32 v22, v23, v24, vcc
	v_bfe_u32 v23, v10, 16, 1
	v_add3_u32 v23, v23, v10, s27
	v_or_b32_e32 v24, 0x400000, v10
	v_cmp_u_f32_e32 vcc, v10, v10
	v_cndmask_b32_e32 v10, v23, v24, vcc
	;; [unrolled: 14-line block ×3, first 2 shown]
	v_and_b32_e32 v24, 0xffff0000, v12
	v_mul_f32_e32 v24, v16, v24
	v_bfe_u32 v42, v24, 16, 1
	v_lshlrev_b32_e32 v12, 16, v12
	v_and_b32_e32 v9, 0xffff0000, v9
	v_and_b32_e32 v21, 0xffff0000, v21
	v_add3_u32 v42, v42, v24, s27
	v_or_b32_e32 v43, 0x400000, v24
	v_cmp_u_f32_e32 vcc, v24, v24
	v_mul_f32_e32 v12, v20, v12
	v_add_f32_e32 v9, v9, v21
	v_and_b32_e32 v10, 0xffff0000, v10
	v_and_b32_e32 v21, 0xffff0000, v22
	v_cndmask_b32_e32 v24, v42, v43, vcc
	v_bfe_u32 v42, v12, 16, 1
	v_add_f32_e32 v10, v10, v21
	v_add3_u32 v42, v42, v12, s27
	v_or_b32_e32 v43, 0x400000, v12
	v_cmp_u_f32_e32 vcc, v12, v12
	v_add_f32_e32 v9, v10, v9
	v_and_b32_e32 v10, 0xffff0000, v11
	v_and_b32_e32 v11, 0xffff0000, v23
	v_cndmask_b32_e32 v12, v42, v43, vcc
	v_add_f32_e32 v10, v10, v11
	v_add_f32_e32 v9, v10, v9
	v_and_b32_e32 v10, 0xffff0000, v12
	v_and_b32_e32 v11, 0xffff0000, v24
	v_add_f32_e32 v10, v10, v11
	v_add_f32_e32 v9, v10, v9
	;; [unrolled: 1-line block ×3, first 2 shown]
	v_and_b32_e32 v9, 0xffff0000, v1
	v_mul_f32_e32 v9, v13, v9
	v_bfe_u32 v10, v9, 16, 1
	v_lshlrev_b32_e32 v1, 16, v1
	v_add3_u32 v10, v10, v9, s27
	v_or_b32_e32 v11, 0x400000, v9
	v_cmp_u_f32_e32 vcc, v9, v9
	v_mul_f32_e32 v1, v17, v1
	v_cndmask_b32_e32 v9, v10, v11, vcc
	v_bfe_u32 v10, v1, 16, 1
	v_add3_u32 v10, v10, v1, s27
	v_or_b32_e32 v11, 0x400000, v1
	v_cmp_u_f32_e32 vcc, v1, v1
	v_cndmask_b32_e32 v1, v10, v11, vcc
	v_and_b32_e32 v10, 0xffff0000, v2
	v_mul_f32_e32 v10, v14, v10
	v_bfe_u32 v11, v10, 16, 1
	v_lshlrev_b32_e32 v2, 16, v2
	v_add3_u32 v11, v11, v10, s27
	v_or_b32_e32 v12, 0x400000, v10
	v_cmp_u_f32_e32 vcc, v10, v10
	v_mul_f32_e32 v2, v18, v2
	v_cndmask_b32_e32 v10, v11, v12, vcc
	v_bfe_u32 v11, v2, 16, 1
	v_add3_u32 v11, v11, v2, s27
	v_or_b32_e32 v12, 0x400000, v2
	v_cmp_u_f32_e32 vcc, v2, v2
	v_cndmask_b32_e32 v2, v11, v12, vcc
	;; [unrolled: 14-line block ×3, first 2 shown]
	v_and_b32_e32 v12, 0xffff0000, v4
	v_mul_f32_e32 v12, v16, v12
	v_bfe_u32 v21, v12, 16, 1
	v_lshlrev_b32_e32 v4, 16, v4
	v_and_b32_e32 v1, 0xffff0000, v1
	v_and_b32_e32 v9, 0xffff0000, v9
	v_add3_u32 v21, v21, v12, s27
	v_or_b32_e32 v22, 0x400000, v12
	v_cmp_u_f32_e32 vcc, v12, v12
	v_mul_f32_e32 v4, v20, v4
	v_add_f32_e32 v1, v1, v9
	v_and_b32_e32 v2, 0xffff0000, v2
	v_and_b32_e32 v9, 0xffff0000, v10
	v_cndmask_b32_e32 v12, v21, v22, vcc
	v_bfe_u32 v21, v4, 16, 1
	v_add_f32_e32 v2, v2, v9
	v_add3_u32 v21, v21, v4, s27
	v_or_b32_e32 v22, 0x400000, v4
	v_cmp_u_f32_e32 vcc, v4, v4
	v_add_f32_e32 v1, v2, v1
	v_and_b32_e32 v2, 0xffff0000, v3
	v_and_b32_e32 v3, 0xffff0000, v11
	v_cndmask_b32_e32 v4, v21, v22, vcc
	v_add_f32_e32 v2, v2, v3
	v_add_f32_e32 v1, v2, v1
	v_and_b32_e32 v2, 0xffff0000, v4
	v_and_b32_e32 v3, 0xffff0000, v12
	v_add_f32_e32 v2, v2, v3
	v_add_f32_e32 v1, v2, v1
	;; [unrolled: 1-line block ×3, first 2 shown]
	s_waitcnt vmcnt(0)
	v_lshlrev_b32_e32 v1, 16, v5
	v_mul_f32_e32 v1, v17, v1
	v_bfe_u32 v2, v1, 16, 1
	v_add3_u32 v2, v2, v1, s27
	v_or_b32_e32 v3, 0x400000, v1
	v_cmp_u_f32_e32 vcc, v1, v1
	v_cndmask_b32_e32 v1, v2, v3, vcc
	v_and_b32_e32 v2, 0xffff0000, v5
	v_mul_f32_e32 v2, v13, v2
	v_bfe_u32 v3, v2, 16, 1
	v_add3_u32 v3, v3, v2, s27
	v_or_b32_e32 v4, 0x400000, v2
	v_cmp_u_f32_e32 vcc, v2, v2
	v_cndmask_b32_e32 v2, v3, v4, vcc
	v_lshlrev_b32_e32 v3, 16, v6
	v_mul_f32_e32 v3, v18, v3
	v_bfe_u32 v4, v3, 16, 1
	v_add3_u32 v4, v4, v3, s27
	v_or_b32_e32 v5, 0x400000, v3
	v_cmp_u_f32_e32 vcc, v3, v3
	v_cndmask_b32_e32 v3, v4, v5, vcc
	v_and_b32_e32 v4, 0xffff0000, v6
	v_mul_f32_e32 v4, v14, v4
	v_bfe_u32 v5, v4, 16, 1
	v_add3_u32 v5, v5, v4, s27
	v_or_b32_e32 v6, 0x400000, v4
	v_cmp_u_f32_e32 vcc, v4, v4
	v_cndmask_b32_e32 v4, v5, v6, vcc
	;; [unrolled: 14-line block ×3, first 2 shown]
	v_lshlrev_b32_e32 v7, 16, v8
	v_mul_f32_e32 v7, v20, v7
	v_bfe_u32 v9, v7, 16, 1
	v_and_b32_e32 v8, 0xffff0000, v8
	v_and_b32_e32 v2, 0xffff0000, v2
	;; [unrolled: 1-line block ×3, first 2 shown]
	v_add3_u32 v9, v9, v7, s27
	v_or_b32_e32 v10, 0x400000, v7
	v_cmp_u_f32_e32 vcc, v7, v7
	v_mul_f32_e32 v8, v16, v8
	v_add_f32_e32 v1, v1, v2
	v_and_b32_e32 v2, 0xffff0000, v4
	v_and_b32_e32 v3, 0xffff0000, v3
	v_cndmask_b32_e32 v7, v9, v10, vcc
	v_bfe_u32 v9, v8, 16, 1
	v_add_f32_e32 v2, v3, v2
	v_add3_u32 v9, v9, v8, s27
	v_or_b32_e32 v10, 0x400000, v8
	v_cmp_u_f32_e32 vcc, v8, v8
	v_add_f32_e32 v1, v2, v1
	v_and_b32_e32 v2, 0xffff0000, v6
	v_and_b32_e32 v3, 0xffff0000, v5
	v_cndmask_b32_e32 v8, v9, v10, vcc
	v_add_f32_e32 v2, v3, v2
	v_add_f32_e32 v1, v2, v1
	v_and_b32_e32 v2, 0xffff0000, v8
	v_and_b32_e32 v3, 0xffff0000, v7
	v_add_f32_e32 v2, v3, v2
	v_add_f32_e32 v1, v2, v1
	;; [unrolled: 1-line block ×3, first 2 shown]
.LBB132_39:                             ;   in Loop: Header=BB132_40 Depth=1
	s_or_b64 exec, exec, s[12:13]
	v_add_co_u32_e32 v25, vcc, 8, v25
	v_add_u32_e32 v27, 2, v27
	v_addc_co_u32_e32 v26, vcc, 0, v26, vcc
	v_cmp_le_i32_e32 vcc, s43, v27
	v_add_u32_e32 v28, 32, v28
	s_or_b64 s[10:11], vcc, s[10:11]
	v_add_u32_e32 v41, 0x80, v41
	s_andn2_b64 exec, exec, s[10:11]
	s_cbranch_execz .LBB132_49
.LBB132_40:                             ; =>This Inner Loop Header: Depth=1
	v_mul_hi_u32 v1, v28, s33
	v_mul_lo_u32 v2, v1, s23
	v_add_u32_e32 v3, 1, v1
	v_sub_u32_e32 v2, v28, v2
	v_cmp_le_u32_e32 vcc, s23, v2
	v_cndmask_b32_e32 v1, v1, v3, vcc
	v_subrev_u32_e32 v3, s23, v2
	v_cndmask_b32_e32 v2, v2, v3, vcc
	v_add_u32_e32 v3, 1, v1
	v_cmp_le_u32_e32 vcc, s23, v2
	v_cndmask_b32_e32 v1, v1, v3, vcc
	v_xor_b32_e32 v1, s19, v1
	v_subrev_u32_e32 v1, s19, v1
	v_add_u32_e32 v2, s42, v1
	v_sub_u32_e32 v3, 0, v2
	v_max_i32_e32 v3, v2, v3
	v_mul_hi_u32 v4, v3, v40
	v_ashrrev_i32_e32 v2, 31, v2
	v_cmp_lt_i32_e64 s[2:3], s17, v1
	v_mul_lo_u32 v4, v4, s18
	v_sub_u32_e32 v3, v3, v4
	v_subrev_u32_e32 v4, s18, v3
	v_cmp_le_u32_e32 vcc, s18, v3
	v_cndmask_b32_e32 v3, v3, v4, vcc
	v_subrev_u32_e32 v4, s18, v3
	v_cmp_le_u32_e32 vcc, s18, v3
	v_cndmask_b32_e32 v3, v3, v4, vcc
	v_xor_b32_e32 v3, v3, v2
	v_sub_u32_e32 v2, v3, v2
	v_cmp_eq_u32_e32 vcc, 0, v2
	s_or_b64 s[2:3], vcc, s[2:3]
	s_and_saveexec_b64 s[12:13], s[2:3]
	s_cbranch_execz .LBB132_39
; %bb.41:                               ;   in Loop: Header=BB132_40 Depth=1
	global_load_dword v1, v[25:26], off
	v_add_u32_e32 v44, v33, v28
	v_add_u32_e32 v49, 1, v44
	v_or_b32_e32 v47, 3, v44
	v_or_b32_e32 v48, 2, v44
	v_or_b32_e32 v45, 5, v44
	v_or_b32_e32 v46, 4, v44
	v_or_b32_e32 v42, 7, v44
	v_or_b32_e32 v43, 6, v44
	s_waitcnt vmcnt(0)
	v_mad_i64_i32 v[1:2], s[2:3], v1, s30, 0
	v_cmp_eq_u32_e64 s[2:3], s31, v27
	v_lshlrev_b64 v[1:2], 1, v[1:2]
	v_add_co_u32_e32 v5, vcc, v38, v1
	v_addc_co_u32_e32 v6, vcc, v39, v2, vcc
	global_load_dwordx4 v[1:4], v[5:6], off
	ds_read2_b64 v[17:20], v41 offset1:1
	ds_read2_b64 v[13:16], v41 offset0:2 offset1:3
	s_and_saveexec_b64 s[14:15], s[2:3]
	s_cbranch_execnz .LBB132_45
; %bb.42:                               ;   in Loop: Header=BB132_40 Depth=1
	s_or_b64 exec, exec, s[14:15]
	global_load_dwordx4 v[9:12], v[5:6], off offset:1024
	s_and_saveexec_b64 s[14:15], s[2:3]
	s_cbranch_execnz .LBB132_46
.LBB132_43:                             ;   in Loop: Header=BB132_40 Depth=1
	s_or_b64 exec, exec, s[14:15]
	global_load_dwordx4 v[21:24], v[5:6], off offset:2048
	s_and_saveexec_b64 s[14:15], s[2:3]
	s_cbranch_execnz .LBB132_47
.LBB132_44:                             ;   in Loop: Header=BB132_40 Depth=1
	s_or_b64 exec, exec, s[14:15]
	global_load_dwordx4 v[5:8], v[5:6], off offset:3072
	s_and_saveexec_b64 s[4:5], s[2:3]
	s_cbranch_execz .LBB132_38
	s_branch .LBB132_48
.LBB132_45:                             ;   in Loop: Header=BB132_40 Depth=1
	v_cmp_gt_i32_e32 vcc, s34, v49
	s_waitcnt vmcnt(0)
	v_cndmask_b32_sdwa v7, v32, v1, vcc dst_sel:DWORD dst_unused:UNUSED_PAD src0_sel:DWORD src1_sel:WORD_1
	v_cmp_gt_i32_e32 vcc, s21, v44
	v_cndmask_b32_e32 v1, 0, v1, vcc
	v_cmp_gt_i32_e32 vcc, s34, v47
	v_cmp_gt_i32_e64 s[4:5], s21, v48
	v_perm_b32 v1, v7, v1, s26
	v_cndmask_b32_e64 v7, 0, v2, s[4:5]
	v_cndmask_b32_sdwa v2, v32, v2, vcc dst_sel:DWORD dst_unused:UNUSED_PAD src0_sel:DWORD src1_sel:WORD_1
	v_cmp_gt_i32_e32 vcc, s34, v45
	v_cmp_gt_i32_e64 s[4:5], s21, v46
	v_perm_b32 v2, v2, v7, s26
	v_cndmask_b32_e64 v7, 0, v3, s[4:5]
	v_cndmask_b32_sdwa v3, v32, v3, vcc dst_sel:DWORD dst_unused:UNUSED_PAD src0_sel:DWORD src1_sel:WORD_1
	v_cmp_gt_i32_e32 vcc, s34, v42
	v_cmp_gt_i32_e64 s[4:5], s21, v43
	v_perm_b32 v3, v3, v7, s26
	v_cndmask_b32_e64 v7, 0, v4, s[4:5]
	v_cndmask_b32_sdwa v4, v32, v4, vcc dst_sel:DWORD dst_unused:UNUSED_PAD src0_sel:DWORD src1_sel:WORD_1
	v_perm_b32 v4, v4, v7, s26
	s_or_b64 exec, exec, s[14:15]
	global_load_dwordx4 v[9:12], v[5:6], off offset:1024
	s_and_saveexec_b64 s[14:15], s[2:3]
	s_cbranch_execz .LBB132_43
.LBB132_46:                             ;   in Loop: Header=BB132_40 Depth=1
	v_cmp_gt_i32_e32 vcc, s34, v49
	s_waitcnt vmcnt(0)
	v_cndmask_b32_sdwa v7, v32, v9, vcc dst_sel:DWORD dst_unused:UNUSED_PAD src0_sel:DWORD src1_sel:WORD_1
	v_cmp_gt_i32_e32 vcc, s21, v44
	v_cndmask_b32_e32 v8, 0, v9, vcc
	v_cmp_gt_i32_e32 vcc, s34, v47
	v_cmp_gt_i32_e64 s[4:5], s21, v48
	v_perm_b32 v9, v7, v8, s26
	v_cndmask_b32_e64 v7, 0, v10, s[4:5]
	v_cndmask_b32_sdwa v8, v32, v10, vcc dst_sel:DWORD dst_unused:UNUSED_PAD src0_sel:DWORD src1_sel:WORD_1
	v_cmp_gt_i32_e32 vcc, s34, v45
	v_cmp_gt_i32_e64 s[4:5], s21, v46
	v_perm_b32 v10, v8, v7, s26
	v_cndmask_b32_e64 v7, 0, v11, s[4:5]
	v_cndmask_b32_sdwa v8, v32, v11, vcc dst_sel:DWORD dst_unused:UNUSED_PAD src0_sel:DWORD src1_sel:WORD_1
	v_cmp_gt_i32_e32 vcc, s34, v42
	v_cmp_gt_i32_e64 s[4:5], s21, v43
	v_perm_b32 v11, v8, v7, s26
	v_cndmask_b32_e64 v7, 0, v12, s[4:5]
	v_cndmask_b32_sdwa v8, v32, v12, vcc dst_sel:DWORD dst_unused:UNUSED_PAD src0_sel:DWORD src1_sel:WORD_1
	v_perm_b32 v12, v8, v7, s26
	s_or_b64 exec, exec, s[14:15]
	global_load_dwordx4 v[21:24], v[5:6], off offset:2048
	s_and_saveexec_b64 s[14:15], s[2:3]
	s_cbranch_execz .LBB132_44
.LBB132_47:                             ;   in Loop: Header=BB132_40 Depth=1
	v_cmp_gt_i32_e32 vcc, s34, v49
	s_waitcnt vmcnt(0)
	v_cndmask_b32_sdwa v7, v32, v21, vcc dst_sel:DWORD dst_unused:UNUSED_PAD src0_sel:DWORD src1_sel:WORD_1
	v_cmp_gt_i32_e32 vcc, s21, v44
	v_cndmask_b32_e32 v8, 0, v21, vcc
	v_cmp_gt_i32_e32 vcc, s34, v47
	v_cmp_gt_i32_e64 s[4:5], s21, v48
	v_perm_b32 v21, v7, v8, s26
	v_cndmask_b32_e64 v7, 0, v22, s[4:5]
	v_cndmask_b32_sdwa v8, v32, v22, vcc dst_sel:DWORD dst_unused:UNUSED_PAD src0_sel:DWORD src1_sel:WORD_1
	v_cmp_gt_i32_e32 vcc, s34, v45
	v_cmp_gt_i32_e64 s[4:5], s21, v46
	v_perm_b32 v22, v8, v7, s26
	v_cndmask_b32_e64 v7, 0, v23, s[4:5]
	v_cndmask_b32_sdwa v8, v32, v23, vcc dst_sel:DWORD dst_unused:UNUSED_PAD src0_sel:DWORD src1_sel:WORD_1
	;; [unrolled: 5-line block ×3, first 2 shown]
	v_perm_b32 v24, v8, v7, s26
	s_or_b64 exec, exec, s[14:15]
	global_load_dwordx4 v[5:8], v[5:6], off offset:3072
	s_and_saveexec_b64 s[4:5], s[2:3]
	s_cbranch_execz .LBB132_38
.LBB132_48:                             ;   in Loop: Header=BB132_40 Depth=1
	v_cmp_gt_i32_e32 vcc, s34, v49
	s_waitcnt vmcnt(0)
	v_cndmask_b32_sdwa v49, v32, v5, vcc dst_sel:DWORD dst_unused:UNUSED_PAD src0_sel:DWORD src1_sel:WORD_1
	v_cmp_gt_i32_e32 vcc, s21, v44
	v_cndmask_b32_e32 v5, 0, v5, vcc
	v_cmp_gt_i32_e32 vcc, s34, v47
	v_cmp_gt_i32_e64 s[2:3], s21, v48
	v_cndmask_b32_e64 v44, 0, v6, s[2:3]
	v_cndmask_b32_sdwa v6, v32, v6, vcc dst_sel:DWORD dst_unused:UNUSED_PAD src0_sel:DWORD src1_sel:WORD_1
	v_cmp_gt_i32_e32 vcc, s34, v45
	v_cmp_gt_i32_e64 s[2:3], s21, v46
	v_perm_b32 v6, v6, v44, s26
	v_cndmask_b32_e64 v44, 0, v7, s[2:3]
	v_cndmask_b32_sdwa v7, v32, v7, vcc dst_sel:DWORD dst_unused:UNUSED_PAD src0_sel:DWORD src1_sel:WORD_1
	v_cmp_gt_i32_e32 vcc, s34, v42
	v_cmp_gt_i32_e64 s[2:3], s21, v43
	v_cndmask_b32_e64 v42, 0, v8, s[2:3]
	v_cndmask_b32_sdwa v8, v32, v8, vcc dst_sel:DWORD dst_unused:UNUSED_PAD src0_sel:DWORD src1_sel:WORD_1
	v_perm_b32 v5, v49, v5, s26
	v_perm_b32 v7, v7, v44, s26
	;; [unrolled: 1-line block ×3, first 2 shown]
	s_branch .LBB132_38
.LBB132_49:
	s_or_b64 exec, exec, s[10:11]
.LBB132_50:
	s_or_b64 exec, exec, s[6:7]
	ds_bpermute_b32 v2, v30, v37
	ds_bpermute_b32 v5, v30, v35
	;; [unrolled: 1-line block ×4, first 2 shown]
	s_waitcnt lgkmcnt(0)
	v_add_f32_e32 v3, v37, v2
	v_add_f32_e32 v2, v35, v5
	v_and_b32_e32 v5, 0x3c1, v0
	v_add_f32_e32 v4, v36, v1
	v_add_f32_e32 v1, v34, v6
	v_cmp_eq_u32_e32 vcc, 64, v5
	s_barrier
	s_and_saveexec_b64 s[2:3], vcc
	s_cbranch_execz .LBB132_52
; %bb.51:
	v_mov_b32_e32 v6, 0x110
	v_lshl_add_u32 v6, v29, 1, v6
	ds_write2_b32 v6, v4, v3 offset1:32
	ds_write2_b32 v6, v2, v1 offset0:64 offset1:96
.LBB132_52:
	s_or_b64 exec, exec, s[2:3]
	v_lshrrev_b32_e32 v0, 1, v0
	s_waitcnt lgkmcnt(0)
	s_barrier
	s_and_saveexec_b64 s[2:3], s[0:1]
	s_cbranch_execz .LBB132_59
; %bb.53:
	v_mov_b32_e32 v6, 0x110
	v_cmp_eq_u32_e32 vcc, 0, v31
	v_lshl_add_u32 v6, v0, 2, v6
	s_and_saveexec_b64 s[0:1], vcc
	s_cbranch_execnz .LBB132_62
; %bb.54:
	s_or_b64 exec, exec, s[0:1]
	s_and_saveexec_b64 s[0:1], vcc
	s_cbranch_execnz .LBB132_63
.LBB132_55:
	s_or_b64 exec, exec, s[0:1]
	s_and_saveexec_b64 s[0:1], vcc
	s_cbranch_execnz .LBB132_64
.LBB132_56:
	s_or_b64 exec, exec, s[0:1]
	s_and_saveexec_b64 s[0:1], vcc
	s_cbranch_execz .LBB132_58
.LBB132_57:
	ds_read_b32 v6, v6 offset:384
	s_waitcnt lgkmcnt(0)
	v_add_f32_e32 v1, v1, v6
.LBB132_58:
	s_or_b64 exec, exec, s[0:1]
.LBB132_59:
	s_or_b64 exec, exec, s[2:3]
	v_cmp_eq_u32_e32 vcc, 0, v5
	s_barrier
	s_and_saveexec_b64 s[0:1], vcc
	s_cbranch_execz .LBB132_61
; %bb.60:
	s_mul_i32 s0, s20, s16
	s_mul_i32 s0, s0, s9
	s_lshl_b32 s0, s0, 7
	s_ashr_i32 s1, s0, 31
	s_lshl_b64 s[0:1], s[0:1], 1
	s_add_u32 s2, s24, s0
	s_mul_i32 s0, s16, s22
	s_addc_u32 s3, s25, s1
	s_ashr_i32 s1, s0, 31
	s_lshl_b64 s[0:1], s[0:1], 1
	s_add_u32 s2, s2, s0
	s_addc_u32 s3, s3, s1
	s_lshl_b32 s0, s8, 7
	s_ashr_i32 s1, s0, 31
	s_lshl_b64 s[0:1], s[0:1], 1
	s_add_u32 s0, s2, s0
	v_bfe_u32 v5, v4, 16, 1
	s_movk_i32 s2, 0x7fff
	v_add3_u32 v5, v5, v4, s2
	v_or_b32_e32 v6, 0x400000, v4
	v_cmp_u_f32_e32 vcc, v4, v4
	s_addc_u32 s1, s3, s1
	v_lshlrev_b32_e32 v0, 1, v0
	v_cndmask_b32_e32 v4, v5, v6, vcc
	global_store_short_d16_hi v0, v4, s[0:1]
	v_bfe_u32 v4, v3, 16, 1
	v_add3_u32 v4, v4, v3, s2
	v_or_b32_e32 v5, 0x400000, v3
	v_cmp_u_f32_e32 vcc, v3, v3
	v_cndmask_b32_e32 v3, v4, v5, vcc
	global_store_short_d16_hi v0, v3, s[0:1] offset:64
	v_bfe_u32 v3, v2, 16, 1
	v_add3_u32 v3, v3, v2, s2
	v_or_b32_e32 v4, 0x400000, v2
	v_cmp_u_f32_e32 vcc, v2, v2
	v_cndmask_b32_e32 v2, v3, v4, vcc
	global_store_short_d16_hi v0, v2, s[0:1] offset:128
	;; [unrolled: 6-line block ×3, first 2 shown]
.LBB132_61:
	s_endpgm
.LBB132_62:
	ds_read_b32 v7, v6
	s_waitcnt lgkmcnt(0)
	v_add_f32_e32 v4, v4, v7
	s_or_b64 exec, exec, s[0:1]
	s_and_saveexec_b64 s[0:1], vcc
	s_cbranch_execz .LBB132_55
.LBB132_63:
	ds_read_b32 v7, v6 offset:128
	s_waitcnt lgkmcnt(0)
	v_add_f32_e32 v3, v3, v7
	s_or_b64 exec, exec, s[0:1]
	s_and_saveexec_b64 s[0:1], vcc
	s_cbranch_execz .LBB132_56
.LBB132_64:
	ds_read_b32 v7, v6 offset:256
	s_waitcnt lgkmcnt(0)
	v_add_f32_e32 v2, v2, v7
	s_or_b64 exec, exec, s[0:1]
	s_and_saveexec_b64 s[0:1], vcc
	s_cbranch_execnz .LBB132_57
	s_branch .LBB132_58
	.section	.rodata,"a",@progbits
	.p2align	6, 0x0
	.amdhsa_kernel _ZN4vllm25paged_attention_v1_kernelI14__hip_bfloat16S1_Li128ELi16ELi128ELNS_18Fp8KVCacheDataTypeE0ELb1EEEvPT_PKS3_PKT0_S9_ifPKiSB_iPKfiiiSD_SD_iiiii
		.amdhsa_group_segment_fixed_size 272
		.amdhsa_private_segment_fixed_size 0
		.amdhsa_kernarg_size 384
		.amdhsa_user_sgpr_count 6
		.amdhsa_user_sgpr_private_segment_buffer 1
		.amdhsa_user_sgpr_dispatch_ptr 0
		.amdhsa_user_sgpr_queue_ptr 0
		.amdhsa_user_sgpr_kernarg_segment_ptr 1
		.amdhsa_user_sgpr_dispatch_id 0
		.amdhsa_user_sgpr_flat_scratch_init 0
		.amdhsa_user_sgpr_private_segment_size 0
		.amdhsa_uses_dynamic_stack 0
		.amdhsa_system_sgpr_private_segment_wavefront_offset 0
		.amdhsa_system_sgpr_workgroup_id_x 1
		.amdhsa_system_sgpr_workgroup_id_y 1
		.amdhsa_system_sgpr_workgroup_id_z 1
		.amdhsa_system_sgpr_workgroup_info 0
		.amdhsa_system_vgpr_workitem_id 0
		.amdhsa_next_free_vgpr 64
		.amdhsa_next_free_sgpr 46
		.amdhsa_reserve_vcc 1
		.amdhsa_reserve_flat_scratch 0
		.amdhsa_float_round_mode_32 0
		.amdhsa_float_round_mode_16_64 0
		.amdhsa_float_denorm_mode_32 3
		.amdhsa_float_denorm_mode_16_64 3
		.amdhsa_dx10_clamp 1
		.amdhsa_ieee_mode 1
		.amdhsa_fp16_overflow 0
		.amdhsa_exception_fp_ieee_invalid_op 0
		.amdhsa_exception_fp_denorm_src 0
		.amdhsa_exception_fp_ieee_div_zero 0
		.amdhsa_exception_fp_ieee_overflow 0
		.amdhsa_exception_fp_ieee_underflow 0
		.amdhsa_exception_fp_ieee_inexact 0
		.amdhsa_exception_int_div_zero 0
	.end_amdhsa_kernel
	.section	.text._ZN4vllm25paged_attention_v1_kernelI14__hip_bfloat16S1_Li128ELi16ELi128ELNS_18Fp8KVCacheDataTypeE0ELb1EEEvPT_PKS3_PKT0_S9_ifPKiSB_iPKfiiiSD_SD_iiiii,"axG",@progbits,_ZN4vllm25paged_attention_v1_kernelI14__hip_bfloat16S1_Li128ELi16ELi128ELNS_18Fp8KVCacheDataTypeE0ELb1EEEvPT_PKS3_PKT0_S9_ifPKiSB_iPKfiiiSD_SD_iiiii,comdat
.Lfunc_end132:
	.size	_ZN4vllm25paged_attention_v1_kernelI14__hip_bfloat16S1_Li128ELi16ELi128ELNS_18Fp8KVCacheDataTypeE0ELb1EEEvPT_PKS3_PKT0_S9_ifPKiSB_iPKfiiiSD_SD_iiiii, .Lfunc_end132-_ZN4vllm25paged_attention_v1_kernelI14__hip_bfloat16S1_Li128ELi16ELi128ELNS_18Fp8KVCacheDataTypeE0ELb1EEEvPT_PKS3_PKT0_S9_ifPKiSB_iPKfiiiSD_SD_iiiii
                                        ; -- End function
	.set _ZN4vllm25paged_attention_v1_kernelI14__hip_bfloat16S1_Li128ELi16ELi128ELNS_18Fp8KVCacheDataTypeE0ELb1EEEvPT_PKS3_PKT0_S9_ifPKiSB_iPKfiiiSD_SD_iiiii.num_vgpr, 64
	.set _ZN4vllm25paged_attention_v1_kernelI14__hip_bfloat16S1_Li128ELi16ELi128ELNS_18Fp8KVCacheDataTypeE0ELb1EEEvPT_PKS3_PKT0_S9_ifPKiSB_iPKfiiiSD_SD_iiiii.num_agpr, 0
	.set _ZN4vllm25paged_attention_v1_kernelI14__hip_bfloat16S1_Li128ELi16ELi128ELNS_18Fp8KVCacheDataTypeE0ELb1EEEvPT_PKS3_PKT0_S9_ifPKiSB_iPKfiiiSD_SD_iiiii.numbered_sgpr, 46
	.set _ZN4vllm25paged_attention_v1_kernelI14__hip_bfloat16S1_Li128ELi16ELi128ELNS_18Fp8KVCacheDataTypeE0ELb1EEEvPT_PKS3_PKT0_S9_ifPKiSB_iPKfiiiSD_SD_iiiii.num_named_barrier, 0
	.set _ZN4vllm25paged_attention_v1_kernelI14__hip_bfloat16S1_Li128ELi16ELi128ELNS_18Fp8KVCacheDataTypeE0ELb1EEEvPT_PKS3_PKT0_S9_ifPKiSB_iPKfiiiSD_SD_iiiii.private_seg_size, 0
	.set _ZN4vllm25paged_attention_v1_kernelI14__hip_bfloat16S1_Li128ELi16ELi128ELNS_18Fp8KVCacheDataTypeE0ELb1EEEvPT_PKS3_PKT0_S9_ifPKiSB_iPKfiiiSD_SD_iiiii.uses_vcc, 1
	.set _ZN4vllm25paged_attention_v1_kernelI14__hip_bfloat16S1_Li128ELi16ELi128ELNS_18Fp8KVCacheDataTypeE0ELb1EEEvPT_PKS3_PKT0_S9_ifPKiSB_iPKfiiiSD_SD_iiiii.uses_flat_scratch, 0
	.set _ZN4vllm25paged_attention_v1_kernelI14__hip_bfloat16S1_Li128ELi16ELi128ELNS_18Fp8KVCacheDataTypeE0ELb1EEEvPT_PKS3_PKT0_S9_ifPKiSB_iPKfiiiSD_SD_iiiii.has_dyn_sized_stack, 0
	.set _ZN4vllm25paged_attention_v1_kernelI14__hip_bfloat16S1_Li128ELi16ELi128ELNS_18Fp8KVCacheDataTypeE0ELb1EEEvPT_PKS3_PKT0_S9_ifPKiSB_iPKfiiiSD_SD_iiiii.has_recursion, 0
	.set _ZN4vllm25paged_attention_v1_kernelI14__hip_bfloat16S1_Li128ELi16ELi128ELNS_18Fp8KVCacheDataTypeE0ELb1EEEvPT_PKS3_PKT0_S9_ifPKiSB_iPKfiiiSD_SD_iiiii.has_indirect_call, 0
	.section	.AMDGPU.csdata,"",@progbits
; Kernel info:
; codeLenInByte = 6964
; TotalNumSgprs: 50
; NumVgprs: 64
; ScratchSize: 0
; MemoryBound: 0
; FloatMode: 240
; IeeeMode: 1
; LDSByteSize: 272 bytes/workgroup (compile time only)
; SGPRBlocks: 6
; VGPRBlocks: 15
; NumSGPRsForWavesPerEU: 50
; NumVGPRsForWavesPerEU: 64
; Occupancy: 4
; WaveLimiterHint : 1
; COMPUTE_PGM_RSRC2:SCRATCH_EN: 0
; COMPUTE_PGM_RSRC2:USER_SGPR: 6
; COMPUTE_PGM_RSRC2:TRAP_HANDLER: 0
; COMPUTE_PGM_RSRC2:TGID_X_EN: 1
; COMPUTE_PGM_RSRC2:TGID_Y_EN: 1
; COMPUTE_PGM_RSRC2:TGID_Z_EN: 1
; COMPUTE_PGM_RSRC2:TIDIG_COMP_CNT: 0
	.section	.text._ZN4vllm25paged_attention_v1_kernelI14__hip_bfloat16S1_Li192ELi16ELi128ELNS_18Fp8KVCacheDataTypeE0ELb1EEEvPT_PKS3_PKT0_S9_ifPKiSB_iPKfiiiSD_SD_iiiii,"axG",@progbits,_ZN4vllm25paged_attention_v1_kernelI14__hip_bfloat16S1_Li192ELi16ELi128ELNS_18Fp8KVCacheDataTypeE0ELb1EEEvPT_PKS3_PKT0_S9_ifPKiSB_iPKfiiiSD_SD_iiiii,comdat
	.protected	_ZN4vllm25paged_attention_v1_kernelI14__hip_bfloat16S1_Li192ELi16ELi128ELNS_18Fp8KVCacheDataTypeE0ELb1EEEvPT_PKS3_PKT0_S9_ifPKiSB_iPKfiiiSD_SD_iiiii ; -- Begin function _ZN4vllm25paged_attention_v1_kernelI14__hip_bfloat16S1_Li192ELi16ELi128ELNS_18Fp8KVCacheDataTypeE0ELb1EEEvPT_PKS3_PKT0_S9_ifPKiSB_iPKfiiiSD_SD_iiiii
	.globl	_ZN4vllm25paged_attention_v1_kernelI14__hip_bfloat16S1_Li192ELi16ELi128ELNS_18Fp8KVCacheDataTypeE0ELb1EEEvPT_PKS3_PKT0_S9_ifPKiSB_iPKfiiiSD_SD_iiiii
	.p2align	8
	.type	_ZN4vllm25paged_attention_v1_kernelI14__hip_bfloat16S1_Li192ELi16ELi128ELNS_18Fp8KVCacheDataTypeE0ELb1EEEvPT_PKS3_PKT0_S9_ifPKiSB_iPKfiiiSD_SD_iiiii,@function
_ZN4vllm25paged_attention_v1_kernelI14__hip_bfloat16S1_Li192ELi16ELi128ELNS_18Fp8KVCacheDataTypeE0ELb1EEEvPT_PKS3_PKT0_S9_ifPKiSB_iPKfiiiSD_SD_iiiii: ; @_ZN4vllm25paged_attention_v1_kernelI14__hip_bfloat16S1_Li192ELi16ELi128ELNS_18Fp8KVCacheDataTypeE0ELb1EEEvPT_PKS3_PKT0_S9_ifPKiSB_iPKfiiiSD_SD_iiiii
; %bb.0:
	s_mov_b64 s[50:51], s[2:3]
	s_mov_b64 s[48:49], s[0:1]
	s_add_u32 s48, s48, s9
	s_addc_u32 s49, s49, 0
	buffer_store_dword v0, off, s[48:51], 0 ; 4-byte Folded Spill
	s_load_dword s9, s[4:5], 0x80
	s_load_dwordx2 s[0:1], s[4:5], 0x30
	s_load_dwordx2 s[30:31], s[4:5], 0x20
	s_mov_b32 s10, s7
	s_ashr_i32 s11, s7, 31
	s_lshl_b64 s[2:3], s[10:11], 2
	s_waitcnt lgkmcnt(0)
	s_add_u32 s0, s0, s2
	s_addc_u32 s1, s1, s3
	s_abs_i32 s2, s30
	v_cvt_f32_u32_e32 v0, s2
	s_sub_i32 s11, 0, s2
	s_abs_i32 s7, s9
	s_xor_b32 s3, s9, s30
	v_rcp_iflag_f32_e32 v0, v0
	s_ashr_i32 s3, s3, 31
	s_mov_b32 s42, 0
	v_mul_f32_e32 v0, 0x4f7ffffe, v0
	v_cvt_u32_f32_e32 v0, v0
	v_readfirstlane_b32 s12, v0
	s_mul_i32 s11, s11, s12
	s_mul_hi_u32 s11, s12, s11
	s_add_i32 s12, s12, s11
	s_mul_hi_u32 s11, s7, s12
	s_mul_i32 s12, s11, s2
	s_sub_i32 s7, s7, s12
	s_add_i32 s12, s11, 1
	s_sub_i32 s13, s7, s2
	s_cmp_ge_u32 s7, s2
	s_cselect_b32 s11, s12, s11
	s_cselect_b32 s7, s13, s7
	s_add_i32 s12, s11, 1
	s_cmp_ge_u32 s7, s2
	s_cselect_b32 s2, s12, s11
	s_xor_b32 s2, s2, s3
	s_sub_i32 s12, s2, s3
	s_abs_i32 s11, s12
	v_cvt_f32_u32_e32 v0, s11
	s_load_dwordx2 s[2:3], s[4:5], 0x40
	s_sub_i32 s7, 0, s11
	s_abs_i32 s22, s6
	v_rcp_iflag_f32_e32 v0, v0
	v_mul_f32_e32 v0, 0x4f7ffffe, v0
	v_cvt_u32_f32_e32 v0, v0
	v_readfirstlane_b32 s13, v0
	s_mul_i32 s7, s7, s13
	s_mul_hi_u32 s7, s13, s7
	s_add_i32 s13, s13, s7
	s_waitcnt lgkmcnt(0)
	s_cmp_eq_u64 s[2:3], 0
	s_mul_hi_u32 s23, s22, s13
	s_cbranch_scc1 .LBB133_2
; %bb.1:
	s_ashr_i32 s7, s6, 31
	s_lshl_b64 s[14:15], s[6:7], 2
	s_add_u32 s2, s2, s14
	s_addc_u32 s3, s3, s15
	s_load_dword s42, s[2:3], 0x0
.LBB133_2:
	buffer_load_dword v0, off, s[48:51], 0  ; 4-byte Folded Reload
	s_load_dword s33, s[0:1], 0x0
	s_ashr_i32 s7, s12, 31
	s_load_dwordx4 s[12:15], s[4:5], 0x48
	s_movk_i32 s3, 0x60
	s_ashr_i32 s2, s6, 31
	s_mul_i32 s20, s6, 0xc0
	s_waitcnt vmcnt(0)
	v_and_b32_e32 v1, 3, v0
	v_cmp_gt_u32_e32 vcc, s3, v0
	v_lshlrev_b32_e32 v2, 2, v0
	s_and_saveexec_b64 s[0:1], vcc
	s_cbranch_execz .LBB133_4
; %bb.3:
	s_load_dwordx2 s[16:17], s[4:5], 0x8
	s_waitcnt lgkmcnt(0)
	s_mul_i32 s18, s12, s10
	s_ashr_i32 s19, s18, 31
	s_lshl_b64 s[18:19], s[18:19], 1
	buffer_load_dword v3, off, s[48:51], 0  ; 4-byte Folded Reload
	s_add_u32 s12, s16, s18
	s_addc_u32 s15, s17, s19
	s_ashr_i32 s21, s20, 31
	s_lshl_b64 s[16:17], s[20:21], 1
	s_add_u32 s16, s12, s16
	s_addc_u32 s17, s15, s17
	global_load_dword v0, v2, s[16:17]
	s_waitcnt vmcnt(1)
	v_and_b32_e32 v3, 0x3fc, v3
	v_mad_u32_u24 v3, v1, s3, v3
	s_waitcnt vmcnt(0)
	ds_write_b32 v3, v0
.LBB133_4:
	s_or_b64 exec, exec, s[0:1]
	s_mul_i32 s1, s23, s11
	s_sub_i32 s1, s22, s1
	s_xor_b32 s0, s2, s7
	s_add_i32 s2, s23, 1
	s_sub_i32 s7, s1, s11
	s_load_dwordx4 s[16:19], s[4:5], 0x68
	s_load_dword s3, s[4:5], 0x78
	s_cmp_ge_u32 s1, s11
	s_cselect_b32 s2, s2, s23
	s_cselect_b32 s1, s7, s1
	s_add_i32 s7, s2, 1
	s_cmp_ge_u32 s1, s11
	s_cselect_b32 s1, s7, s2
	s_waitcnt lgkmcnt(0)
	s_abs_i32 s21, s19
	v_cvt_f32_u32_e32 v0, s21
	s_xor_b32 s1, s1, s0
	s_sub_i32 s2, s1, s0
	s_sub_i32 s0, 0, s21
	v_rcp_iflag_f32_e32 v0, v0
	s_add_i32 s11, s33, -1
	s_abs_i32 s7, s11
	v_mul_f32_e32 v0, 0x4f7ffffe, v0
	v_cvt_u32_f32_e32 v0, v0
	s_barrier
	v_readfirstlane_b32 s40, v0
	s_mul_i32 s0, s0, s40
	s_mul_hi_u32 s0, s40, s0
	s_add_i32 s40, s40, s0
	s_cmp_lt_i32 s3, 0
	s_mul_hi_u32 s12, s7, s40
	s_cbranch_scc0 .LBB133_6
; %bb.5:
	s_mul_i32 s0, s16, s30
	s_add_i32 s0, s2, s0
	s_mul_i32 s0, s0, s3
	s_sub_i32 s41, 1, s0
	s_mov_b64 s[0:1], 0
	s_branch .LBB133_7
.LBB133_6:
	s_mov_b64 s[0:1], -1
                                        ; implicit-def: $sgpr41
.LBB133_7:
	s_load_dwordx2 s[24:25], s[4:5], 0x28
	s_ashr_i32 s15, s11, 31
	s_andn2_b64 vcc, exec, s[0:1]
	s_ashr_i32 s19, s19, 31
	s_cbranch_vccnz .LBB133_9
; %bb.8:
	s_mul_i32 s0, s9, s16
	s_add_i32 s0, s0, s6
	s_mul_i32 s0, s0, s3
	s_add_i32 s41, s0, 1
.LBB133_9:
	s_load_dword s0, s[4:5], 0x38
	s_load_dwordx2 s[22:23], s[4:5], 0x0
	s_load_dwordx2 s[28:29], s[4:5], 0x18
	s_load_dword s11, s[4:5], 0x88
	buffer_load_dword v0, off, s[48:51], 0  ; 4-byte Folded Reload
	s_waitcnt lgkmcnt(0)
	s_mul_i32 s26, s0, s10
	s_mul_i32 s0, s12, s21
	s_sub_i32 s0, s7, s0
	s_xor_b32 s1, s15, s19
	s_ashr_i32 s27, s26, 31
	s_add_i32 s3, s12, 1
	s_sub_i32 s6, s0, s21
	s_cmp_ge_u32 s0, s21
	s_cselect_b32 s3, s3, s12
	s_cselect_b32 s0, s6, s0
	s_add_i32 s6, s3, 1
	s_cmp_ge_u32 s0, s21
	s_cselect_b32 s0, s6, s3
	s_xor_b32 s0, s0, s1
	s_sub_i32 s12, s0, s1
	s_add_i32 s0, s33, 15
	s_ashr_i32 s1, s0, 31
	s_lshr_b32 s1, s1, 28
	s_add_i32 s0, s0, s1
	s_ashr_i32 s16, s0, 4
	v_mov_b32_e32 v4, 0xff7fffff
	s_mul_i32 s14, s2, s14
	v_mbcnt_lo_u32_b32 v6, -1, 0
	s_waitcnt vmcnt(0)
	v_lshrrev_b32_e32 v35, 6, v0
	v_cmp_gt_i32_e64 s[0:1], s16, v35
	v_lshrrev_b32_e32 v13, 4, v0
	v_lshlrev_b32_e32 v36, 4, v35
	s_and_saveexec_b64 s[34:35], s[0:1]
	s_cbranch_execz .LBB133_21
; %bb.10:
	buffer_load_dword v3, off, s[48:51], 0  ; 4-byte Folded Reload
	s_load_dwordx2 s[2:3], s[4:5], 0x10
	s_ashr_i32 s15, s14, 31
	s_sub_i32 s30, s12, s17
	s_lshl_b64 s[4:5], s[14:15], 1
	v_and_b32_e32 v2, 12, v2
	s_waitcnt lgkmcnt(0)
	s_add_u32 s2, s2, s4
	s_addc_u32 s3, s3, s5
	s_abs_i32 s15, s18
	v_cvt_f32_u32_e32 v0, s15
	v_mov_b32_e32 v4, s3
	s_sub_i32 s3, 0, s15
	s_lshl_b64 s[4:5], s[26:27], 2
	v_rcp_iflag_f32_e32 v0, v0
	s_add_u32 s4, s24, s4
	s_addc_u32 s5, s25, s5
	v_cmp_eq_u32_e32 vcc, 0, v1
	v_mul_f32_e32 v0, 0x4f7ffffe, v0
	v_cvt_u32_f32_e32 v0, v0
	v_mul_u32_u24_e32 v10, 0x60, v1
	buffer_store_dword v13, off, s[48:51], 0 offset:36 ; 4-byte Folded Spill
	s_mov_b32 s43, s13
	v_mul_lo_u32 v5, s3, v0
	s_mov_b64 s[36:37], 0
	s_movk_i32 s44, 0x1000
	v_mov_b32_e32 v20, v35
	v_mul_hi_u32 v5, v0, v5
	v_add_u32_e32 v12, v0, v5
	v_and_b32_e32 v0, 60, v13
	v_lshlrev_b32_e32 v13, 4, v35
	s_waitcnt vmcnt(1)
	v_bfe_u32 v7, v3, 2, 4
	v_lshlrev_b32_e32 v3, 4, v7
	v_add_co_u32_e64 v3, s[2:3], s2, v3
	v_addc_co_u32_e64 v4, s[2:3], 0, v4, s[2:3]
	v_add_co_u32_e64 v2, s[2:3], v3, v2
	buffer_store_dword v2, off, s[48:51], 0 offset:8 ; 4-byte Folded Spill
	v_addc_co_u32_e64 v2, s[2:3], 0, v4, s[2:3]
	buffer_store_dword v2, off, s[48:51], 0 offset:12 ; 4-byte Folded Spill
	v_mov_b32_e32 v2, s5
	v_add_co_u32_e64 v1, s[4:5], s4, v0
	v_subrev_u32_e32 v0, s33, v7
	v_add_u32_e32 v0, 1, v0
	buffer_store_dword v0, off, s[48:51], 0 offset:32 ; 4-byte Folded Spill
	buffer_store_dword v7, off, s[48:51], 0 offset:28 ; 4-byte Folded Spill
	v_lshlrev_b32_e32 v0, 2, v7
	v_lshl_or_b32 v0, v35, 6, v0
	v_add_u32_e32 v15, 0x190, v0
	v_mbcnt_hi_u32_b32 v0, -1, v6
	v_and_b32_e32 v3, 64, v0
	v_add_u32_e32 v9, 64, v3
	v_xor_b32_e32 v3, 2, v0
	buffer_store_dword v3, off, s[48:51], 0 offset:20 ; 4-byte Folded Spill
	buffer_store_dword v0, off, s[48:51], 0 offset:16 ; 4-byte Folded Spill
	v_xor_b32_e32 v0, 1, v0
	v_cmp_neq_f32_e64 s[2:3], s42, 0
	v_addc_co_u32_e64 v2, s[4:5], 0, v2, s[4:5]
	buffer_store_dword v0, off, s[48:51], 0 offset:24 ; 4-byte Folded Spill
	v_mov_b32_e32 v0, 0xff7fffff
	buffer_store_dword v0, off, s[48:51], 0 offset:4 ; 4-byte Folded Spill
	s_branch .LBB133_13
.LBB133_11:                             ;   in Loop: Header=BB133_13 Depth=1
	s_or_b64 exec, exec, s[38:39]
.LBB133_12:                             ;   in Loop: Header=BB133_13 Depth=1
	s_or_b64 exec, exec, s[6:7]
	v_add_co_u32_e64 v1, s[4:5], 8, v1
	v_add_u32_e32 v20, 2, v20
	v_addc_co_u32_e64 v2, s[4:5], 0, v2, s[4:5]
	v_cmp_le_i32_e64 s[4:5], s16, v20
	v_add_u32_e32 v13, 32, v13
	s_or_b64 s[36:37], s[4:5], s[36:37]
	v_add_u32_e32 v15, 0x80, v15
	s_andn2_b64 exec, exec, s[36:37]
	s_cbranch_execz .LBB133_20
.LBB133_13:                             ; =>This Inner Loop Header: Depth=1
	v_mul_hi_u32 v3, v13, s40
	s_waitcnt lgkmcnt(0)
	v_mul_lo_u32 v4, v3, s21
	v_add_u32_e32 v5, 1, v3
	v_sub_u32_e32 v4, v13, v4
	v_cmp_le_u32_e64 s[4:5], s21, v4
	v_cndmask_b32_e64 v3, v3, v5, s[4:5]
	v_subrev_u32_e32 v5, s21, v4
	v_cndmask_b32_e64 v4, v4, v5, s[4:5]
	v_add_u32_e32 v5, 1, v3
	v_cmp_le_u32_e64 s[4:5], s21, v4
	v_cndmask_b32_e64 v3, v3, v5, s[4:5]
	v_xor_b32_e32 v3, s19, v3
	v_subrev_u32_e32 v3, s19, v3
	v_add_u32_e32 v4, s41, v3
	v_sub_u32_e32 v5, 0, v4
	v_max_i32_e32 v5, v4, v5
	v_mul_hi_u32 v6, v5, v12
	v_ashrrev_i32_e32 v4, 31, v4
	v_cmp_ge_i32_e64 s[6:7], s30, v3
	v_mul_lo_u32 v6, v6, s15
	v_sub_u32_e32 v5, v5, v6
	v_subrev_u32_e32 v6, s15, v5
	v_cmp_le_u32_e64 s[4:5], s15, v5
	v_cndmask_b32_e64 v5, v5, v6, s[4:5]
	v_subrev_u32_e32 v6, s15, v5
	v_cmp_le_u32_e64 s[4:5], s15, v5
	v_cndmask_b32_e64 v5, v5, v6, s[4:5]
	v_xor_b32_e32 v5, v5, v4
	v_sub_u32_e32 v4, v5, v4
	v_cmp_ne_u32_e64 s[4:5], 0, v4
	s_and_b64 s[4:5], s[4:5], s[6:7]
	s_and_saveexec_b64 s[6:7], s[4:5]
	s_xor_b64 s[4:5], exec, s[6:7]
	s_cbranch_execz .LBB133_17
; %bb.14:                               ;   in Loop: Header=BB133_13 Depth=1
	s_and_saveexec_b64 s[6:7], vcc
; %bb.15:                               ;   in Loop: Header=BB133_13 Depth=1
	v_mov_b32_e32 v3, 0xff7fffff
	ds_write_b32 v15, v3
; %bb.16:                               ;   in Loop: Header=BB133_13 Depth=1
	s_or_b64 exec, exec, s[6:7]
.LBB133_17:                             ;   in Loop: Header=BB133_13 Depth=1
	s_andn2_saveexec_b64 s[6:7], s[4:5]
	s_cbranch_execz .LBB133_12
; %bb.18:                               ;   in Loop: Header=BB133_13 Depth=1
	ds_read_b128 v[3:6], v10
	ds_read_b128 v[21:24], v10 offset:16
	ds_read_b128 v[37:40], v10 offset:64
	;; [unrolled: 1-line block ×4, first 2 shown]
	s_waitcnt lgkmcnt(4)
	v_lshlrev_b32_e32 v44, 16, v3
	v_and_b32_e32 v0, 0xffff0000, v3
	global_load_dword v3, v[1:2], off
	s_waitcnt lgkmcnt(1)
	v_lshlrev_b32_e32 v43, 16, v16
	v_and_b32_e32 v42, 0xffff0000, v16
	buffer_load_dword v16, off, s[48:51], 0 offset:8 ; 4-byte Folded Reload
	v_lshlrev_b32_e32 v41, 16, v4
	v_and_b32_e32 v11, 0xffff0000, v4
	v_lshlrev_b32_e32 v63, 16, v5
	v_lshlrev_b32_e32 v61, 16, v6
	v_and_b32_e32 v8, 0xffff0000, v5
	v_and_b32_e32 v14, 0xffff0000, v6
	v_lshlrev_b32_e32 v6, 16, v21
	v_lshlrev_b32_e32 v5, 16, v22
	;; [unrolled: 1-line block ×4, first 2 shown]
	v_and_b32_e32 v7, 0xffff0000, v21
	v_and_b32_e32 v62, 0xffff0000, v22
	;; [unrolled: 1-line block ×4, first 2 shown]
	ds_read_b128 v[21:24], v10 offset:48
	s_waitcnt lgkmcnt(1)
	v_lshlrev_b32_e32 v58, 16, v25
	v_lshlrev_b32_e32 v54, 16, v26
	v_and_b32_e32 v55, 0xffff0000, v25
	v_and_b32_e32 v53, 0xffff0000, v26
	s_waitcnt lgkmcnt(0)
	v_lshlrev_b32_e32 v48, 16, v21
	v_lshlrev_b32_e32 v46, 16, v22
	v_and_b32_e32 v47, 0xffff0000, v21
	v_and_b32_e32 v45, 0xffff0000, v22
	v_lshlrev_b32_e32 v25, 16, v38
	v_lshlrev_b32_e32 v21, 16, v40
	v_and_b32_e32 v26, 0xffff0000, v38
	v_and_b32_e32 v22, 0xffff0000, v40
	v_lshlrev_b32_e32 v38, 16, v17
	v_and_b32_e32 v40, 0xffff0000, v17
	v_lshlrev_b32_e32 v50, 16, v28
	;; [unrolled: 2-line block ×3, first 2 shown]
	v_lshlrev_b32_e32 v28, 16, v24
	v_and_b32_e32 v32, 0xffff0000, v23
	v_and_b32_e32 v31, 0xffff0000, v24
	v_lshlrev_b32_e32 v23, 16, v39
	v_and_b32_e32 v24, 0xffff0000, v39
	v_lshlrev_b32_e32 v34, 16, v18
	;; [unrolled: 2-line block ×5, first 2 shown]
	v_and_b32_e32 v37, 0xffff0000, v19
	s_waitcnt vmcnt(1)
	v_mad_i64_i32 v[3:4], s[4:5], v3, s43, 0
	v_lshlrev_b64 v[3:4], 1, v[3:4]
	s_waitcnt vmcnt(0)
	v_add_co_u32_e64 v3, s[4:5], v16, v3
	buffer_load_dword v16, off, s[48:51], 0 offset:12 ; 4-byte Folded Reload
	s_waitcnt vmcnt(0)
	v_addc_co_u32_e64 v4, s[4:5], v16, v4, s[4:5]
	global_load_dword v16, v[3:4], off offset:256
	s_waitcnt vmcnt(0)
	v_lshlrev_b32_e32 v17, 16, v16
	v_mul_f32_e32 v41, v41, v17
	global_load_dword v17, v[3:4], off
	v_and_b32_e32 v16, 0xffff0000, v16
	s_waitcnt vmcnt(0)
	v_lshlrev_b32_e32 v18, 16, v17
	v_fmac_f32_e32 v41, v44, v18
	v_mul_f32_e32 v44, v11, v16
	v_and_b32_e32 v11, 0xffff0000, v17
	v_fmac_f32_e32 v44, v0, v11
	global_load_dword v0, v[3:4], off offset:512
	v_add_co_u32_e64 v16, s[4:5], s44, v3
	v_addc_co_u32_e64 v17, s[4:5], 0, v4, s[4:5]
	s_waitcnt vmcnt(0)
	v_lshlrev_b32_e32 v11, 16, v0
	v_and_b32_e32 v0, 0xffff0000, v0
	v_fmac_f32_e32 v44, v8, v0
	global_load_dword v0, v[3:4], off offset:768
	v_fmac_f32_e32 v41, v63, v11
	s_waitcnt vmcnt(0)
	v_lshlrev_b32_e32 v8, 16, v0
	v_and_b32_e32 v0, 0xffff0000, v0
	v_fmac_f32_e32 v44, v14, v0
	global_load_dword v0, v[3:4], off offset:1024
	v_fmac_f32_e32 v41, v61, v8
	;; [unrolled: 6-line block ×3, first 2 shown]
	s_waitcnt vmcnt(0)
	v_lshlrev_b32_e32 v6, 16, v0
	v_fmac_f32_e32 v41, v5, v6
	global_load_dword v5, v[3:4], off offset:1536
	global_load_dword v6, v[3:4], off offset:1792
	v_and_b32_e32 v0, 0xffff0000, v0
	global_load_dword v7, v[3:4], off offset:2048
	v_fmac_f32_e32 v44, v62, v0
	s_waitcnt vmcnt(2)
	v_lshlrev_b32_e32 v0, 16, v5
	v_fmac_f32_e32 v41, v60, v0
	global_load_dword v8, v[3:4], off offset:2304
	global_load_dword v60, v[3:4], off offset:2560
	v_and_b32_e32 v0, 0xffff0000, v5
	v_fmac_f32_e32 v44, v59, v0
	global_load_dword v59, v[3:4], off offset:2816
	s_waitcnt vmcnt(4)
	v_lshlrev_b32_e32 v0, 16, v6
	v_fmac_f32_e32 v41, v56, v0
	global_load_dword v5, v[3:4], off offset:3072
	global_load_dword v56, v[3:4], off offset:3328
	v_and_b32_e32 v0, 0xffff0000, v6
	v_fmac_f32_e32 v44, v57, v0
	global_load_dword v57, v[3:4], off offset:3584
	global_load_dword v6, v[3:4], off offset:3840
	s_nop 0
	global_load_dword v4, v[16:17], off
	s_waitcnt vmcnt(8)
	v_lshlrev_b32_e32 v0, 16, v7
	v_fmac_f32_e32 v41, v58, v0
	v_and_b32_e32 v0, 0xffff0000, v7
	v_fmac_f32_e32 v44, v55, v0
	global_load_dword v0, v[16:17], off offset:256
	global_load_dword v11, v[16:17], off offset:512
	;; [unrolled: 1-line block ×3, first 2 shown]
	s_waitcnt vmcnt(10)
	v_lshlrev_b32_e32 v3, 16, v8
	v_fmac_f32_e32 v41, v54, v3
	v_and_b32_e32 v3, 0xffff0000, v8
	v_fmac_f32_e32 v44, v53, v3
	global_load_dword v8, v[16:17], off offset:1024
	global_load_dword v18, v[16:17], off offset:1280
	;; [unrolled: 1-line block ×4, first 2 shown]
	s_waitcnt vmcnt(13)
	v_and_b32_e32 v16, 0xffff0000, v60
	v_lshlrev_b32_e32 v3, 16, v60
	v_fmac_f32_e32 v44, v51, v16
	s_waitcnt vmcnt(12)
	v_and_b32_e32 v17, 0xffff0000, v59
	v_fmac_f32_e32 v41, v52, v3
	v_lshlrev_b32_e32 v16, 16, v59
	s_waitcnt vmcnt(11)
	v_lshlrev_b32_e32 v51, 16, v5
	v_and_b32_e32 v5, 0xffff0000, v5
	v_fmac_f32_e32 v44, v49, v17
	v_fmac_f32_e32 v41, v50, v16
	s_waitcnt vmcnt(10)
	v_and_b32_e32 v50, 0xffff0000, v56
	v_fmac_f32_e32 v44, v47, v5
	s_waitcnt vmcnt(9)
	v_and_b32_e32 v53, 0xffff0000, v57
	v_fmac_f32_e32 v44, v45, v50
	s_waitcnt vmcnt(8)
	v_lshlrev_b32_e32 v17, 16, v6
	v_and_b32_e32 v6, 0xffff0000, v6
	v_fmac_f32_e32 v44, v32, v53
	buffer_load_dword v3, off, s[48:51], 0 offset:20 ; 4-byte Folded Reload
	s_waitcnt vmcnt(8)
	v_lshlrev_b32_e32 v49, 16, v4
	v_and_b32_e32 v4, 0xffff0000, v4
	v_fmac_f32_e32 v44, v31, v6
	v_fmac_f32_e32 v44, v29, v4
	buffer_load_dword v4, off, s[48:51], 0 offset:24 ; 4-byte Folded Reload
	buffer_load_dword v54, off, s[48:51], 0 offset:16 ; 4-byte Folded Reload
	v_lshlrev_b32_e32 v16, 16, v56
	v_fmac_f32_e32 v41, v48, v51
	v_lshlrev_b32_e32 v52, 16, v57
	v_fmac_f32_e32 v41, v46, v16
	v_fmac_f32_e32 v41, v30, v52
	;; [unrolled: 1-line block ×3, first 2 shown]
	s_waitcnt vmcnt(9)
	v_lshlrev_b32_e32 v48, 16, v0
	v_and_b32_e32 v0, 0xffff0000, v0
	v_fmac_f32_e32 v41, v27, v49
	s_waitcnt vmcnt(8)
	v_lshlrev_b32_e32 v51, 16, v11
	v_and_b32_e32 v11, 0xffff0000, v11
	v_fmac_f32_e32 v41, v25, v48
	v_fmac_f32_e32 v44, v26, v0
	s_waitcnt vmcnt(7)
	v_lshlrev_b32_e32 v5, 16, v14
	v_and_b32_e32 v14, 0xffff0000, v14
	v_fmac_f32_e32 v41, v23, v51
	v_fmac_f32_e32 v44, v24, v11
	;; [unrolled: 1-line block ×4, first 2 shown]
	s_waitcnt vmcnt(5)
	v_lshlrev_b32_e32 v16, 16, v18
	v_lshlrev_b32_e32 v47, 16, v8
	v_and_b32_e32 v8, 0xffff0000, v8
	v_and_b32_e32 v18, 0xffff0000, v18
	v_fmac_f32_e32 v41, v43, v47
	v_fmac_f32_e32 v44, v42, v8
	s_waitcnt vmcnt(4)
	v_lshlrev_b32_e32 v46, 16, v19
	v_and_b32_e32 v19, 0xffff0000, v19
	v_fmac_f32_e32 v41, v38, v16
	v_fmac_f32_e32 v44, v40, v18
	s_waitcnt vmcnt(3)
	v_lshlrev_b32_e32 v45, 16, v7
	v_and_b32_e32 v7, 0xffff0000, v7
	v_fmac_f32_e32 v41, v34, v46
	v_fmac_f32_e32 v44, v39, v19
	;; [unrolled: 1-line block ×4, first 2 shown]
	v_add_f32_e32 v0, v41, v44
	s_waitcnt vmcnt(2)
	v_cmp_lt_i32_e64 s[4:5], v3, v9
	s_waitcnt vmcnt(0)
	v_cndmask_b32_e64 v3, v54, v3, s[4:5]
	v_lshlrev_b32_e32 v3, 2, v3
	ds_bpermute_b32 v3, v3, v0
	v_cmp_lt_i32_e64 s[4:5], v4, v9
	v_cndmask_b32_e64 v4, v54, v4, s[4:5]
	v_lshlrev_b32_e32 v4, 2, v4
	s_waitcnt lgkmcnt(0)
	v_add_f32_e32 v3, v0, v3
	ds_bpermute_b32 v4, v4, v3
	s_and_saveexec_b64 s[38:39], vcc
	s_cbranch_execz .LBB133_11
; %bb.19:                               ;   in Loop: Header=BB133_13 Depth=1
	buffer_load_dword v0, off, s[48:51], 0 offset:32 ; 4-byte Folded Reload
	buffer_load_dword v5, off, s[48:51], 0 offset:28 ; 4-byte Folded Reload
	s_waitcnt lgkmcnt(0)
	v_add_f32_e32 v3, v3, v4
	buffer_load_dword v4, off, s[48:51], 0 offset:4 ; 4-byte Folded Reload
	s_waitcnt vmcnt(2)
	v_add_u32_e32 v0, v0, v13
	v_cvt_f32_i32_e32 v0, v0
	s_waitcnt vmcnt(1)
	v_add_u32_e32 v5, v5, v13
	v_cmp_gt_i32_e64 s[4:5], s33, v5
	v_mul_f32_e32 v0, s42, v0
	v_cndmask_b32_e64 v0, 0, v0, s[2:3]
	v_fmac_f32_e32 v0, s31, v3
	v_cndmask_b32_e64 v3, 0, v0, s[4:5]
	ds_write_b32 v15, v3
	s_waitcnt vmcnt(0)
	v_max_f32_e32 v3, v4, v4
	v_max_f32_e32 v0, v3, v0
	v_cndmask_b32_e64 v4, v4, v0, s[4:5]
	buffer_store_dword v4, off, s[48:51], 0 offset:4 ; 4-byte Folded Spill
	s_branch .LBB133_11
.LBB133_20:
	s_or_b64 exec, exec, s[36:37]
	buffer_load_dword v13, off, s[48:51], 0 offset:36 ; 4-byte Folded Reload
	s_waitcnt lgkmcnt(0)
	buffer_load_dword v4, off, s[48:51], 0 offset:4 ; 4-byte Folded Reload
	v_mbcnt_lo_u32_b32 v6, -1, 0
.LBB133_21:
	s_or_b64 exec, exec, s[34:35]
	v_mbcnt_hi_u32_b32 v1, -1, v6
	v_and_b32_e32 v8, 64, v1
	v_add_u32_e32 v2, 64, v8
	v_xor_b32_e32 v0, 32, v1
	v_cmp_lt_i32_e32 vcc, v0, v2
	v_cndmask_b32_e32 v0, v1, v0, vcc
	v_lshlrev_b32_e32 v0, 2, v0
	s_waitcnt vmcnt(0)
	ds_bpermute_b32 v3, v0, v4
	v_xor_b32_e32 v5, 16, v1
	v_max_f32_e32 v4, v4, v4
	v_cmp_lt_i32_e32 vcc, v5, v2
	v_xor_b32_e32 v6, 8, v1
	s_waitcnt lgkmcnt(0)
	v_max_f32_e32 v3, v3, v3
	v_max_f32_e32 v4, v4, v3
	v_cndmask_b32_e32 v3, v1, v5, vcc
	v_lshlrev_b32_e32 v3, 2, v3
	ds_bpermute_b32 v5, v3, v4
	v_cmp_lt_i32_e32 vcc, v6, v2
	v_xor_b32_e32 v7, 4, v1
	s_waitcnt lgkmcnt(0)
	v_max_f32_e32 v5, v5, v5
	v_max_f32_e32 v4, v4, v5
	v_cndmask_b32_e32 v5, v1, v6, vcc
	v_lshlrev_b32_e32 v6, 2, v5
	ds_bpermute_b32 v5, v6, v4
	v_cmp_lt_i32_e32 vcc, v7, v2
	s_waitcnt lgkmcnt(0)
	v_max_f32_e32 v5, v5, v5
	v_max_f32_e32 v5, v4, v5
	v_cndmask_b32_e32 v4, v1, v7, vcc
	v_lshlrev_b32_e32 v7, 2, v4
	buffer_load_dword v4, off, s[48:51], 0  ; 4-byte Folded Reload
	ds_bpermute_b32 v9, v7, v5
	s_waitcnt vmcnt(0)
	v_and_b32_e32 v37, 63, v4
	v_cmp_eq_u32_e32 vcc, 0, v37
	v_lshlrev_b32_e32 v4, 2, v35
	s_and_saveexec_b64 s[2:3], vcc
	s_cbranch_execz .LBB133_23
; %bb.22:
	s_waitcnt lgkmcnt(0)
	v_max_f32_e32 v9, v9, v9
	v_max_f32_e32 v5, v5, v5
	;; [unrolled: 1-line block ×3, first 2 shown]
	ds_write_b32 v4, v5 offset:384
.LBB133_23:
	s_or_b64 exec, exec, s[2:3]
	v_cmp_gt_u32_e64 s[2:3], 2, v37
	s_waitcnt lgkmcnt(0)
	v_mov_b32_e32 v9, 0xff7fffff
	v_lshlrev_b32_e32 v5, 2, v37
	s_barrier
	s_and_saveexec_b64 s[4:5], s[2:3]
; %bb.24:
	ds_read_b32 v9, v5 offset:384
; %bb.25:
	s_or_b64 exec, exec, s[4:5]
	v_xor_b32_e32 v10, 1, v1
	v_cmp_lt_i32_e64 s[4:5], v10, v2
	v_cndmask_b32_e64 v10, v1, v10, s[4:5]
	v_lshlrev_b32_e32 v38, 2, v10
	s_waitcnt lgkmcnt(0)
	ds_bpermute_b32 v10, v38, v9
	v_max_f32_e32 v9, v9, v9
	v_lshlrev_b32_e32 v8, 2, v8
	s_lshl_b32 s4, s16, 4
	s_min_i32 s15, s4, s33
	s_waitcnt lgkmcnt(0)
	v_max_f32_e32 v10, v10, v10
	v_max_f32_e32 v9, v9, v10
	ds_bpermute_b32 v9, v8, v9
	buffer_load_dword v8, off, s[48:51], 0  ; 4-byte Folded Reload
	s_waitcnt vmcnt(0)
	v_cmp_gt_i32_e64 s[4:5], s15, v8
	v_mov_b32_e32 v8, 0
	s_and_saveexec_b64 s[30:31], s[4:5]
	s_cbranch_execz .LBB133_29
; %bb.26:
	buffer_load_dword v11, off, s[48:51], 0 ; 4-byte Folded Reload
	v_mov_b32_e32 v8, 0x190
	s_mov_b64 s[34:35], 0
	s_waitcnt vmcnt(0)
	v_lshl_add_u32 v10, v11, 2, v8
	v_mov_b32_e32 v8, 0
.LBB133_27:                             ; =>This Inner Loop Header: Depth=1
	ds_read_b32 v12, v10
	v_add_u32_e32 v11, 0x80, v11
	v_cmp_le_i32_e64 s[6:7], s15, v11
	s_or_b64 s[34:35], s[6:7], s[34:35]
	s_waitcnt lgkmcnt(0)
	v_sub_f32_e32 v12, v12, v9
	v_mul_f32_e32 v12, 0x3fb8aa3b, v12
	v_exp_f32_e32 v12, v12
	ds_write_b32 v10, v12
	v_add_f32_e32 v8, v8, v12
	v_add_u32_e32 v10, 0x200, v10
	s_andn2_b64 exec, exec, s[34:35]
	s_cbranch_execnz .LBB133_27
; %bb.28:
	s_or_b64 exec, exec, s[34:35]
.LBB133_29:
	s_or_b64 exec, exec, s[30:31]
	ds_bpermute_b32 v0, v0, v8
	s_waitcnt lgkmcnt(0)
	v_add_f32_e32 v0, v8, v0
	ds_bpermute_b32 v3, v3, v0
	s_waitcnt lgkmcnt(0)
	v_add_f32_e32 v0, v0, v3
	ds_bpermute_b32 v3, v6, v0
	v_xor_b32_e32 v6, 2, v1
	v_cmp_lt_i32_e64 s[6:7], v6, v2
	v_cndmask_b32_e64 v2, v1, v6, s[6:7]
	v_lshlrev_b32_e32 v2, 2, v2
	s_waitcnt lgkmcnt(0)
	v_add_f32_e32 v0, v0, v3
	ds_bpermute_b32 v3, v7, v0
	s_waitcnt lgkmcnt(0)
	v_add_f32_e32 v0, v0, v3
	ds_bpermute_b32 v2, v2, v0
	;; [unrolled: 3-line block ×3, first 2 shown]
	s_waitcnt lgkmcnt(0)
	v_add_f32_e32 v0, v0, v2
	s_and_saveexec_b64 s[6:7], vcc
; %bb.30:
	ds_write_b32 v4, v0 offset:392
; %bb.31:
	s_or_b64 exec, exec, s[6:7]
	s_waitcnt lgkmcnt(0)
	s_barrier
	s_and_saveexec_b64 s[6:7], s[2:3]
; %bb.32:
	ds_read_b32 v0, v5 offset:392
; %bb.33:
	s_or_b64 exec, exec, s[6:7]
	s_waitcnt lgkmcnt(0)
	ds_bpermute_b32 v2, v38, v0
	v_lshlrev_b32_e32 v1, 2, v1
	v_and_b32_e32 v1, 0x100, v1
	s_waitcnt lgkmcnt(0)
	v_add_f32_e32 v0, v0, v2
	ds_bpermute_b32 v0, v1, v0
	s_and_saveexec_b64 s[2:3], s[4:5]
	s_cbranch_execz .LBB133_36
; %bb.34:
	s_waitcnt lgkmcnt(0)
	v_add_f32_e32 v1, 0x358637bd, v0
	v_div_scale_f32 v0, s[4:5], v1, v1, 1.0
	v_div_scale_f32 v2, vcc, 1.0, v1, 1.0
	s_mov_b64 s[4:5], 0
	v_rcp_f32_e32 v3, v0
	v_fma_f32 v4, -v0, v3, 1.0
	v_fmac_f32_e32 v3, v4, v3
	v_mul_f32_e32 v4, v2, v3
	v_fma_f32 v5, -v0, v4, v2
	v_fmac_f32_e32 v4, v5, v3
	v_fma_f32 v0, -v0, v4, v2
	v_div_fmas_f32 v2, v0, v3, v4
	buffer_load_dword v3, off, s[48:51], 0  ; 4-byte Folded Reload
	v_mov_b32_e32 v0, 0x190
	v_div_fixup_f32 v1, v2, v1, 1.0
	s_waitcnt vmcnt(0)
	v_lshl_add_u32 v0, v3, 2, v0
	v_mov_b32_e32 v2, v3
.LBB133_35:                             ; =>This Inner Loop Header: Depth=1
	ds_read_b32 v3, v0
	v_add_u32_e32 v2, 0x80, v2
	v_cmp_le_i32_e32 vcc, s15, v2
	s_or_b64 s[4:5], vcc, s[4:5]
	s_waitcnt lgkmcnt(0)
	v_mul_f32_e32 v3, v1, v3
	ds_write_b32 v0, v3
	v_add_u32_e32 v0, 0x200, v0
	s_andn2_b64 exec, exec, s[4:5]
	s_cbranch_execnz .LBB133_35
.LBB133_36:
	s_or_b64 exec, exec, s[2:3]
	s_waitcnt lgkmcnt(0)
	s_barrier
	buffer_load_dword v0, off, s[48:51], 0  ; 4-byte Folded Reload
	v_mov_b32_e32 v45, 0
	v_mov_b32_e32 v44, 0
	;; [unrolled: 1-line block ×6, first 2 shown]
	s_waitcnt vmcnt(0)
	v_and_b32_e32 v39, 1, v0
	s_and_saveexec_b64 s[4:5], s[0:1]
	s_cbranch_execz .LBB133_54
; %bb.37:
	buffer_load_dword v2, off, s[48:51], 0  ; 4-byte Folded Reload
	s_ashr_i32 s15, s14, 31
	s_sub_i32 s17, s12, s17
	s_lshl_b64 s[0:1], s[14:15], 1
	s_add_u32 s0, s28, s0
	s_addc_u32 s1, s29, s1
	s_abs_i32 s18, s18
	v_cvt_f32_u32_e32 v0, s18
	s_sub_i32 s2, 0, s18
	s_add_i32 s29, s16, -1
	v_mov_b32_e32 v3, s1
	v_rcp_iflag_f32_e32 v0, v0
	s_mov_b32 s28, s13
	v_mov_b32_e32 v46, 0
	s_mov_b32 s30, s33
	v_mul_f32_e32 v0, 0x4f7ffffe, v0
	v_cvt_u32_f32_e32 v0, v0
	s_mov_b64 s[6:7], 0
	v_mov_b32_e32 v40, 0
	v_mov_b32_e32 v41, 0
	;; [unrolled: 1-line block ×6, first 2 shown]
	s_waitcnt vmcnt(0)
	v_lshlrev_b32_e32 v1, 3, v2
	v_and_b32_e32 v47, 8, v1
	v_mul_lo_u32 v1, s2, v0
	v_lshlrev_b32_e32 v2, 4, v2
	v_and_b32_e32 v2, 0x3f0, v2
	v_add_co_u32_e32 v48, vcc, s0, v2
	v_mul_hi_u32 v1, v0, v1
	s_lshl_b64 s[0:1], s[26:27], 2
	v_addc_co_u32_e32 v49, vcc, 0, v3, vcc
	v_add_u32_e32 v50, v0, v1
	v_and_b32_e32 v0, 60, v13
	s_add_u32 s0, s24, s0
	s_addc_u32 s1, s25, s1
	v_add_co_u32_e32 v33, vcc, s0, v0
	v_lshlrev_b32_e32 v0, 5, v39
	v_mov_b32_e32 v1, s1
	v_lshl_or_b32 v0, v35, 6, v0
	v_addc_co_u32_e32 v34, vcc, 0, v1, vcc
	v_add_u32_e32 v51, 0x190, v0
	s_mov_b32 s24, 0x5040100
	s_movk_i32 s25, 0x7fff
	s_branch .LBB133_40
.LBB133_38:                             ;   in Loop: Header=BB133_40 Depth=1
	s_or_b64 exec, exec, s[2:3]
	s_waitcnt lgkmcnt(1)
	v_bfe_u32 v0, v21, 16, 1
	v_add3_u32 v0, v0, v21, s25
	v_or_b32_e32 v52, 0x400000, v21
	v_cmp_u_f32_e32 vcc, v21, v21
	v_bfe_u32 v21, v22, 16, 1
	v_cndmask_b32_e32 v0, v0, v52, vcc
	v_add3_u32 v21, v21, v22, s25
	v_or_b32_e32 v52, 0x400000, v22
	v_cmp_u_f32_e32 vcc, v22, v22
	v_bfe_u32 v22, v23, 16, 1
	v_cndmask_b32_e32 v21, v21, v52, vcc
	;; [unrolled: 5-line block ×3, first 2 shown]
	v_add3_u32 v23, v23, v24, s25
	v_or_b32_e32 v52, 0x400000, v24
	v_cmp_u_f32_e32 vcc, v24, v24
	s_waitcnt lgkmcnt(0)
	v_bfe_u32 v24, v17, 16, 1
	v_cndmask_b32_e32 v23, v23, v52, vcc
	v_add3_u32 v24, v24, v17, s25
	v_or_b32_e32 v52, 0x400000, v17
	v_cmp_u_f32_e32 vcc, v17, v17
	v_bfe_u32 v17, v18, 16, 1
	v_cndmask_b32_e32 v24, v24, v52, vcc
	v_add3_u32 v17, v17, v18, s25
	v_or_b32_e32 v52, 0x400000, v18
	v_cmp_u_f32_e32 vcc, v18, v18
	v_cndmask_b32_e32 v52, v17, v52, vcc
	v_bfe_u32 v17, v19, 16, 1
	v_add3_u32 v17, v17, v19, s25
	v_or_b32_e32 v18, 0x400000, v19
	v_cmp_u_f32_e32 vcc, v19, v19
	v_cndmask_b32_e32 v53, v17, v18, vcc
	v_bfe_u32 v17, v20, 16, 1
	v_add3_u32 v17, v17, v20, s25
	v_or_b32_e32 v18, 0x400000, v20
	v_cmp_u_f32_e32 vcc, v20, v20
	v_cndmask_b32_e32 v20, v17, v18, vcc
	v_and_b32_e32 v17, 0xffff0000, v21
	s_waitcnt vmcnt(1)
	v_and_b32_e32 v18, 0xffff0000, v29
	v_mul_f32_e32 v18, v17, v18
	v_bfe_u32 v19, v18, 16, 1
	v_add3_u32 v19, v19, v18, s25
	v_or_b32_e32 v21, 0x400000, v18
	v_cmp_u_f32_e32 vcc, v18, v18
	v_cndmask_b32_e32 v54, v19, v21, vcc
	v_and_b32_e32 v21, 0xffff0000, v0
	v_lshlrev_b32_e32 v0, 16, v29
	v_mul_f32_e32 v0, v21, v0
	v_bfe_u32 v18, v0, 16, 1
	v_add3_u32 v18, v18, v0, s25
	v_or_b32_e32 v19, 0x400000, v0
	v_cmp_u_f32_e32 vcc, v0, v0
	v_cndmask_b32_e32 v0, v18, v19, vcc
	v_and_b32_e32 v18, 0xffff0000, v23
	v_and_b32_e32 v19, 0xffff0000, v30
	v_mul_f32_e32 v19, v18, v19
	v_bfe_u32 v23, v19, 16, 1
	v_add3_u32 v23, v23, v19, s25
	v_or_b32_e32 v29, 0x400000, v19
	v_cmp_u_f32_e32 vcc, v19, v19
	v_and_b32_e32 v22, 0xffff0000, v22
	v_lshlrev_b32_e32 v19, 16, v30
	v_mul_f32_e32 v19, v22, v19
	v_cndmask_b32_e32 v29, v23, v29, vcc
	v_bfe_u32 v23, v19, 16, 1
	v_add3_u32 v23, v23, v19, s25
	v_or_b32_e32 v30, 0x400000, v19
	v_cmp_u_f32_e32 vcc, v19, v19
	v_cndmask_b32_e32 v30, v23, v30, vcc
	v_and_b32_e32 v19, 0xffff0000, v52
	v_and_b32_e32 v23, 0xffff0000, v31
	v_mul_f32_e32 v23, v19, v23
	v_bfe_u32 v52, v23, 16, 1
	v_add3_u32 v52, v52, v23, s25
	v_or_b32_e32 v55, 0x400000, v23
	v_cmp_u_f32_e32 vcc, v23, v23
	v_and_b32_e32 v23, 0xffff0000, v24
	v_lshlrev_b32_e32 v24, 16, v31
	v_mul_f32_e32 v24, v23, v24
	v_bfe_u32 v31, v24, 16, 1
	v_cndmask_b32_e32 v52, v52, v55, vcc
	v_add3_u32 v31, v31, v24, s25
	v_or_b32_e32 v55, 0x400000, v24
	v_cmp_u_f32_e32 vcc, v24, v24
	v_and_b32_e32 v20, 0xffff0000, v20
	v_and_b32_e32 v24, 0xffff0000, v32
	v_mul_f32_e32 v24, v20, v24
	v_cndmask_b32_e32 v31, v31, v55, vcc
	v_bfe_u32 v55, v24, 16, 1
	v_add3_u32 v55, v55, v24, s25
	v_or_b32_e32 v56, 0x400000, v24
	v_cmp_u_f32_e32 vcc, v24, v24
	v_and_b32_e32 v24, 0xffff0000, v53
	v_lshlrev_b32_e32 v32, 16, v32
	v_mul_f32_e32 v32, v24, v32
	v_bfe_u32 v53, v32, 16, 1
	v_cndmask_b32_e32 v55, v55, v56, vcc
	v_add3_u32 v53, v53, v32, s25
	v_or_b32_e32 v56, 0x400000, v32
	v_cmp_u_f32_e32 vcc, v32, v32
	v_cndmask_b32_e32 v32, v53, v56, vcc
	v_and_b32_e32 v0, 0xffff0000, v0
	v_and_b32_e32 v53, 0xffff0000, v54
	;; [unrolled: 1-line block ×4, first 2 shown]
	v_add_f32_e32 v0, v0, v53
	v_add_f32_e32 v29, v30, v29
	;; [unrolled: 1-line block ×3, first 2 shown]
	v_and_b32_e32 v29, 0xffff0000, v31
	v_and_b32_e32 v30, 0xffff0000, v52
	v_add_f32_e32 v29, v29, v30
	v_add_f32_e32 v0, v29, v0
	v_and_b32_e32 v29, 0xffff0000, v32
	v_and_b32_e32 v30, 0xffff0000, v55
	v_add_f32_e32 v29, v29, v30
	v_add_f32_e32 v0, v29, v0
	;; [unrolled: 1-line block ×3, first 2 shown]
	v_and_b32_e32 v0, 0xffff0000, v25
	v_mul_f32_e32 v0, v17, v0
	v_bfe_u32 v29, v0, 16, 1
	v_lshlrev_b32_e32 v25, 16, v25
	v_add3_u32 v29, v29, v0, s25
	v_or_b32_e32 v30, 0x400000, v0
	v_cmp_u_f32_e32 vcc, v0, v0
	v_mul_f32_e32 v25, v21, v25
	v_cndmask_b32_e32 v0, v29, v30, vcc
	v_bfe_u32 v29, v25, 16, 1
	v_add3_u32 v29, v29, v25, s25
	v_or_b32_e32 v30, 0x400000, v25
	v_cmp_u_f32_e32 vcc, v25, v25
	v_cndmask_b32_e32 v25, v29, v30, vcc
	v_and_b32_e32 v29, 0xffff0000, v26
	v_mul_f32_e32 v29, v18, v29
	v_bfe_u32 v30, v29, 16, 1
	v_lshlrev_b32_e32 v26, 16, v26
	v_add3_u32 v30, v30, v29, s25
	v_or_b32_e32 v31, 0x400000, v29
	v_cmp_u_f32_e32 vcc, v29, v29
	v_mul_f32_e32 v26, v22, v26
	v_cndmask_b32_e32 v29, v30, v31, vcc
	v_bfe_u32 v30, v26, 16, 1
	v_add3_u32 v30, v30, v26, s25
	v_or_b32_e32 v31, 0x400000, v26
	v_cmp_u_f32_e32 vcc, v26, v26
	v_cndmask_b32_e32 v26, v30, v31, vcc
	;; [unrolled: 14-line block ×3, first 2 shown]
	v_and_b32_e32 v31, 0xffff0000, v28
	v_mul_f32_e32 v31, v20, v31
	v_bfe_u32 v32, v31, 16, 1
	v_lshlrev_b32_e32 v28, 16, v28
	v_and_b32_e32 v25, 0xffff0000, v25
	v_and_b32_e32 v0, 0xffff0000, v0
	v_add3_u32 v32, v32, v31, s25
	v_or_b32_e32 v52, 0x400000, v31
	v_cmp_u_f32_e32 vcc, v31, v31
	v_mul_f32_e32 v28, v24, v28
	v_add_f32_e32 v0, v25, v0
	v_and_b32_e32 v25, 0xffff0000, v26
	v_and_b32_e32 v26, 0xffff0000, v29
	v_cndmask_b32_e32 v31, v32, v52, vcc
	v_bfe_u32 v32, v28, 16, 1
	v_add_f32_e32 v25, v25, v26
	v_add3_u32 v32, v32, v28, s25
	v_or_b32_e32 v52, 0x400000, v28
	v_cmp_u_f32_e32 vcc, v28, v28
	v_add_f32_e32 v0, v25, v0
	v_and_b32_e32 v25, 0xffff0000, v27
	v_and_b32_e32 v26, 0xffff0000, v30
	v_cndmask_b32_e32 v28, v32, v52, vcc
	v_add_f32_e32 v25, v25, v26
	v_add_f32_e32 v0, v25, v0
	v_and_b32_e32 v25, 0xffff0000, v28
	v_and_b32_e32 v26, 0xffff0000, v31
	v_add_f32_e32 v25, v25, v26
	v_add_f32_e32 v0, v25, v0
	v_add_f32_e32 v42, v42, v0
	v_and_b32_e32 v0, 0xffff0000, v13
	v_mul_f32_e32 v0, v17, v0
	v_bfe_u32 v25, v0, 16, 1
	v_lshlrev_b32_e32 v13, 16, v13
	v_add3_u32 v25, v25, v0, s25
	v_or_b32_e32 v26, 0x400000, v0
	v_cmp_u_f32_e32 vcc, v0, v0
	v_mul_f32_e32 v13, v21, v13
	v_cndmask_b32_e32 v0, v25, v26, vcc
	v_bfe_u32 v25, v13, 16, 1
	v_add3_u32 v25, v25, v13, s25
	v_or_b32_e32 v26, 0x400000, v13
	v_cmp_u_f32_e32 vcc, v13, v13
	v_cndmask_b32_e32 v13, v25, v26, vcc
	v_and_b32_e32 v25, 0xffff0000, v14
	v_mul_f32_e32 v25, v18, v25
	v_bfe_u32 v26, v25, 16, 1
	v_lshlrev_b32_e32 v14, 16, v14
	v_add3_u32 v26, v26, v25, s25
	v_or_b32_e32 v27, 0x400000, v25
	v_cmp_u_f32_e32 vcc, v25, v25
	v_mul_f32_e32 v14, v22, v14
	v_cndmask_b32_e32 v25, v26, v27, vcc
	v_bfe_u32 v26, v14, 16, 1
	v_add3_u32 v26, v26, v14, s25
	v_or_b32_e32 v27, 0x400000, v14
	v_cmp_u_f32_e32 vcc, v14, v14
	v_cndmask_b32_e32 v14, v26, v27, vcc
	;; [unrolled: 14-line block ×3, first 2 shown]
	v_and_b32_e32 v27, 0xffff0000, v16
	v_mul_f32_e32 v27, v20, v27
	v_bfe_u32 v28, v27, 16, 1
	v_lshlrev_b32_e32 v16, 16, v16
	v_and_b32_e32 v13, 0xffff0000, v13
	v_and_b32_e32 v0, 0xffff0000, v0
	v_add3_u32 v28, v28, v27, s25
	v_or_b32_e32 v29, 0x400000, v27
	v_cmp_u_f32_e32 vcc, v27, v27
	v_mul_f32_e32 v16, v24, v16
	v_add_f32_e32 v0, v13, v0
	v_and_b32_e32 v13, 0xffff0000, v14
	v_and_b32_e32 v14, 0xffff0000, v25
	v_cndmask_b32_e32 v27, v28, v29, vcc
	v_bfe_u32 v28, v16, 16, 1
	v_add_f32_e32 v13, v13, v14
	v_add3_u32 v28, v28, v16, s25
	v_or_b32_e32 v29, 0x400000, v16
	v_cmp_u_f32_e32 vcc, v16, v16
	v_add_f32_e32 v0, v13, v0
	v_and_b32_e32 v13, 0xffff0000, v15
	v_and_b32_e32 v14, 0xffff0000, v26
	v_cndmask_b32_e32 v16, v28, v29, vcc
	v_add_f32_e32 v13, v13, v14
	v_add_f32_e32 v0, v13, v0
	v_and_b32_e32 v13, 0xffff0000, v16
	v_and_b32_e32 v14, 0xffff0000, v27
	v_add_f32_e32 v13, v13, v14
	v_add_f32_e32 v0, v13, v0
	;; [unrolled: 1-line block ×3, first 2 shown]
	v_and_b32_e32 v0, 0xffff0000, v5
	v_mul_f32_e32 v0, v17, v0
	v_bfe_u32 v13, v0, 16, 1
	v_lshlrev_b32_e32 v5, 16, v5
	v_add3_u32 v13, v13, v0, s25
	v_or_b32_e32 v14, 0x400000, v0
	v_cmp_u_f32_e32 vcc, v0, v0
	v_mul_f32_e32 v5, v21, v5
	v_cndmask_b32_e32 v0, v13, v14, vcc
	v_bfe_u32 v13, v5, 16, 1
	v_add3_u32 v13, v13, v5, s25
	v_or_b32_e32 v14, 0x400000, v5
	v_cmp_u_f32_e32 vcc, v5, v5
	v_cndmask_b32_e32 v5, v13, v14, vcc
	v_and_b32_e32 v13, 0xffff0000, v6
	v_mul_f32_e32 v13, v18, v13
	v_bfe_u32 v14, v13, 16, 1
	v_lshlrev_b32_e32 v6, 16, v6
	v_add3_u32 v14, v14, v13, s25
	v_or_b32_e32 v15, 0x400000, v13
	v_cmp_u_f32_e32 vcc, v13, v13
	v_mul_f32_e32 v6, v22, v6
	v_cndmask_b32_e32 v13, v14, v15, vcc
	v_bfe_u32 v14, v6, 16, 1
	v_add3_u32 v14, v14, v6, s25
	v_or_b32_e32 v15, 0x400000, v6
	v_cmp_u_f32_e32 vcc, v6, v6
	v_cndmask_b32_e32 v6, v14, v15, vcc
	;; [unrolled: 14-line block ×3, first 2 shown]
	v_and_b32_e32 v15, 0xffff0000, v8
	v_mul_f32_e32 v15, v20, v15
	v_bfe_u32 v16, v15, 16, 1
	v_lshlrev_b32_e32 v8, 16, v8
	v_and_b32_e32 v5, 0xffff0000, v5
	v_and_b32_e32 v0, 0xffff0000, v0
	v_add3_u32 v16, v16, v15, s25
	v_or_b32_e32 v25, 0x400000, v15
	v_cmp_u_f32_e32 vcc, v15, v15
	v_mul_f32_e32 v8, v24, v8
	v_add_f32_e32 v0, v5, v0
	v_and_b32_e32 v5, 0xffff0000, v6
	v_and_b32_e32 v6, 0xffff0000, v13
	v_cndmask_b32_e32 v15, v16, v25, vcc
	v_bfe_u32 v16, v8, 16, 1
	v_add_f32_e32 v5, v5, v6
	v_add3_u32 v16, v16, v8, s25
	v_or_b32_e32 v25, 0x400000, v8
	v_cmp_u_f32_e32 vcc, v8, v8
	v_add_f32_e32 v0, v5, v0
	v_and_b32_e32 v5, 0xffff0000, v7
	v_and_b32_e32 v6, 0xffff0000, v14
	v_cndmask_b32_e32 v8, v16, v25, vcc
	v_add_f32_e32 v5, v5, v6
	v_add_f32_e32 v0, v5, v0
	v_and_b32_e32 v5, 0xffff0000, v8
	v_and_b32_e32 v6, 0xffff0000, v15
	v_add_f32_e32 v5, v5, v6
	v_add_f32_e32 v0, v5, v0
	;; [unrolled: 1-line block ×3, first 2 shown]
	v_and_b32_e32 v0, 0xffff0000, v1
	v_mul_f32_e32 v0, v17, v0
	v_bfe_u32 v5, v0, 16, 1
	v_lshlrev_b32_e32 v1, 16, v1
	v_add3_u32 v5, v5, v0, s25
	v_or_b32_e32 v6, 0x400000, v0
	v_cmp_u_f32_e32 vcc, v0, v0
	v_mul_f32_e32 v1, v21, v1
	v_cndmask_b32_e32 v0, v5, v6, vcc
	v_bfe_u32 v5, v1, 16, 1
	v_add3_u32 v5, v5, v1, s25
	v_or_b32_e32 v6, 0x400000, v1
	v_cmp_u_f32_e32 vcc, v1, v1
	v_cndmask_b32_e32 v1, v5, v6, vcc
	v_and_b32_e32 v5, 0xffff0000, v2
	v_mul_f32_e32 v5, v18, v5
	v_bfe_u32 v6, v5, 16, 1
	v_lshlrev_b32_e32 v2, 16, v2
	v_add3_u32 v6, v6, v5, s25
	v_or_b32_e32 v7, 0x400000, v5
	v_cmp_u_f32_e32 vcc, v5, v5
	v_mul_f32_e32 v2, v22, v2
	v_cndmask_b32_e32 v5, v6, v7, vcc
	v_bfe_u32 v6, v2, 16, 1
	v_add3_u32 v6, v6, v2, s25
	v_or_b32_e32 v7, 0x400000, v2
	v_cmp_u_f32_e32 vcc, v2, v2
	v_cndmask_b32_e32 v2, v6, v7, vcc
	;; [unrolled: 14-line block ×3, first 2 shown]
	v_and_b32_e32 v7, 0xffff0000, v4
	v_mul_f32_e32 v7, v20, v7
	v_bfe_u32 v8, v7, 16, 1
	v_lshlrev_b32_e32 v4, 16, v4
	v_and_b32_e32 v1, 0xffff0000, v1
	v_and_b32_e32 v0, 0xffff0000, v0
	v_add3_u32 v8, v8, v7, s25
	v_or_b32_e32 v13, 0x400000, v7
	v_cmp_u_f32_e32 vcc, v7, v7
	v_mul_f32_e32 v4, v24, v4
	v_add_f32_e32 v0, v1, v0
	v_and_b32_e32 v1, 0xffff0000, v2
	v_and_b32_e32 v2, 0xffff0000, v5
	v_cndmask_b32_e32 v7, v8, v13, vcc
	v_bfe_u32 v8, v4, 16, 1
	v_add_f32_e32 v1, v1, v2
	v_add3_u32 v8, v8, v4, s25
	v_or_b32_e32 v13, 0x400000, v4
	v_cmp_u_f32_e32 vcc, v4, v4
	v_add_f32_e32 v0, v1, v0
	v_and_b32_e32 v1, 0xffff0000, v3
	v_and_b32_e32 v2, 0xffff0000, v6
	v_cndmask_b32_e32 v4, v8, v13, vcc
	v_add_f32_e32 v1, v1, v2
	v_add_f32_e32 v0, v1, v0
	v_and_b32_e32 v1, 0xffff0000, v4
	v_and_b32_e32 v2, 0xffff0000, v7
	v_add_f32_e32 v1, v1, v2
	v_add_f32_e32 v0, v1, v0
	;; [unrolled: 1-line block ×3, first 2 shown]
	s_waitcnt vmcnt(0)
	v_lshlrev_b32_e32 v0, 16, v9
	v_mul_f32_e32 v0, v21, v0
	v_bfe_u32 v1, v0, 16, 1
	v_add3_u32 v1, v1, v0, s25
	v_or_b32_e32 v2, 0x400000, v0
	v_cmp_u_f32_e32 vcc, v0, v0
	v_cndmask_b32_e32 v0, v1, v2, vcc
	v_and_b32_e32 v1, 0xffff0000, v9
	v_mul_f32_e32 v1, v17, v1
	v_bfe_u32 v2, v1, 16, 1
	v_add3_u32 v2, v2, v1, s25
	v_or_b32_e32 v3, 0x400000, v1
	v_cmp_u_f32_e32 vcc, v1, v1
	v_cndmask_b32_e32 v1, v2, v3, vcc
	v_lshlrev_b32_e32 v2, 16, v10
	v_mul_f32_e32 v2, v22, v2
	v_bfe_u32 v3, v2, 16, 1
	v_add3_u32 v3, v3, v2, s25
	v_or_b32_e32 v4, 0x400000, v2
	v_cmp_u_f32_e32 vcc, v2, v2
	v_cndmask_b32_e32 v2, v3, v4, vcc
	v_and_b32_e32 v3, 0xffff0000, v10
	v_mul_f32_e32 v3, v18, v3
	v_bfe_u32 v4, v3, 16, 1
	v_add3_u32 v4, v4, v3, s25
	v_or_b32_e32 v5, 0x400000, v3
	v_cmp_u_f32_e32 vcc, v3, v3
	v_cndmask_b32_e32 v3, v4, v5, vcc
	;; [unrolled: 14-line block ×3, first 2 shown]
	v_lshlrev_b32_e32 v6, 16, v12
	v_mul_f32_e32 v6, v24, v6
	v_bfe_u32 v7, v6, 16, 1
	v_add3_u32 v7, v7, v6, s25
	v_or_b32_e32 v8, 0x400000, v6
	v_cmp_u_f32_e32 vcc, v6, v6
	v_cndmask_b32_e32 v6, v7, v8, vcc
	v_and_b32_e32 v7, 0xffff0000, v12
	v_and_b32_e32 v1, 0xffff0000, v1
	;; [unrolled: 1-line block ×3, first 2 shown]
	v_mul_f32_e32 v7, v20, v7
	v_add_f32_e32 v0, v0, v1
	v_and_b32_e32 v1, 0xffff0000, v3
	v_and_b32_e32 v2, 0xffff0000, v2
	v_bfe_u32 v8, v7, 16, 1
	v_add_f32_e32 v1, v2, v1
	v_add3_u32 v8, v8, v7, s25
	v_or_b32_e32 v9, 0x400000, v7
	v_cmp_u_f32_e32 vcc, v7, v7
	v_add_f32_e32 v0, v1, v0
	v_and_b32_e32 v1, 0xffff0000, v5
	v_and_b32_e32 v2, 0xffff0000, v4
	v_cndmask_b32_e32 v7, v8, v9, vcc
	v_add_f32_e32 v1, v2, v1
	v_add_f32_e32 v0, v1, v0
	v_and_b32_e32 v1, 0xffff0000, v7
	v_and_b32_e32 v2, 0xffff0000, v6
	v_add_f32_e32 v1, v2, v1
	v_add_f32_e32 v0, v1, v0
	;; [unrolled: 1-line block ×3, first 2 shown]
.LBB133_39:                             ;   in Loop: Header=BB133_40 Depth=1
	s_or_b64 exec, exec, s[12:13]
	v_add_co_u32_e32 v33, vcc, 8, v33
	v_add_u32_e32 v35, 2, v35
	v_addc_co_u32_e32 v34, vcc, 0, v34, vcc
	v_cmp_le_i32_e32 vcc, s16, v35
	v_add_u32_e32 v36, 32, v36
	s_or_b64 s[6:7], vcc, s[6:7]
	v_add_u32_e32 v51, 0x80, v51
	s_andn2_b64 exec, exec, s[6:7]
	s_cbranch_execz .LBB133_53
.LBB133_40:                             ; =>This Inner Loop Header: Depth=1
	v_mul_hi_u32 v0, v36, s40
	v_mul_lo_u32 v1, v0, s21
	v_add_u32_e32 v2, 1, v0
	v_sub_u32_e32 v1, v36, v1
	v_cmp_le_u32_e32 vcc, s21, v1
	v_cndmask_b32_e32 v0, v0, v2, vcc
	v_subrev_u32_e32 v2, s21, v1
	v_cndmask_b32_e32 v1, v1, v2, vcc
	v_add_u32_e32 v2, 1, v0
	v_cmp_le_u32_e32 vcc, s21, v1
	v_cndmask_b32_e32 v0, v0, v2, vcc
	v_xor_b32_e32 v0, s19, v0
	v_subrev_u32_e32 v0, s19, v0
	v_add_u32_e32 v1, s41, v0
	v_sub_u32_e32 v2, 0, v1
	v_max_i32_e32 v2, v1, v2
	v_mul_hi_u32 v3, v2, v50
	v_ashrrev_i32_e32 v1, 31, v1
	v_cmp_lt_i32_e64 s[0:1], s17, v0
	v_mul_lo_u32 v3, v3, s18
	v_sub_u32_e32 v2, v2, v3
	v_subrev_u32_e32 v3, s18, v2
	v_cmp_le_u32_e32 vcc, s18, v2
	v_cndmask_b32_e32 v2, v2, v3, vcc
	v_subrev_u32_e32 v3, s18, v2
	v_cmp_le_u32_e32 vcc, s18, v2
	v_cndmask_b32_e32 v2, v2, v3, vcc
	v_xor_b32_e32 v2, v2, v1
	v_sub_u32_e32 v1, v2, v1
	v_cmp_eq_u32_e32 vcc, 0, v1
	s_or_b64 s[0:1], vcc, s[0:1]
	s_and_saveexec_b64 s[12:13], s[0:1]
	s_cbranch_execz .LBB133_39
; %bb.41:                               ;   in Loop: Header=BB133_40 Depth=1
	global_load_dword v0, v[33:34], off
	v_add_u32_e32 v54, v47, v36
	v_add_u32_e32 v59, 1, v54
	v_or_b32_e32 v57, 3, v54
	v_or_b32_e32 v58, 2, v54
	;; [unrolled: 1-line block ×6, first 2 shown]
	s_waitcnt vmcnt(0)
	v_mad_i64_i32 v[0:1], s[0:1], v0, s28, 0
	v_cmp_eq_u32_e64 s[0:1], s29, v35
	v_lshlrev_b64 v[0:1], 1, v[0:1]
	v_add_co_u32_e32 v9, vcc, v48, v0
	v_addc_co_u32_e32 v10, vcc, v49, v1, vcc
	global_load_dwordx4 v[1:4], v[9:10], off
	ds_read2_b64 v[21:24], v51 offset1:1
	ds_read2_b64 v[17:20], v51 offset0:2 offset1:3
	s_and_saveexec_b64 s[14:15], s[0:1]
	s_cbranch_execnz .LBB133_50
; %bb.42:                               ;   in Loop: Header=BB133_40 Depth=1
	s_or_b64 exec, exec, s[14:15]
	global_load_dwordx4 v[5:8], v[9:10], off offset:1024
	s_and_saveexec_b64 s[14:15], s[0:1]
	s_cbranch_execnz .LBB133_51
.LBB133_43:                             ;   in Loop: Header=BB133_40 Depth=1
	s_or_b64 exec, exec, s[14:15]
	global_load_dwordx4 v[13:16], v[9:10], off offset:2048
	s_and_saveexec_b64 s[14:15], s[0:1]
	s_cbranch_execnz .LBB133_52
.LBB133_44:                             ;   in Loop: Header=BB133_40 Depth=1
	s_or_b64 exec, exec, s[14:15]
	global_load_dwordx4 v[25:28], v[9:10], off offset:3072
	s_and_saveexec_b64 s[14:15], s[0:1]
	s_cbranch_execz .LBB133_46
.LBB133_45:                             ;   in Loop: Header=BB133_40 Depth=1
	v_cmp_gt_i32_e32 vcc, s30, v59
	s_waitcnt vmcnt(0)
	v_cndmask_b32_sdwa v0, v46, v25, vcc dst_sel:DWORD dst_unused:UNUSED_PAD src0_sel:DWORD src1_sel:WORD_1
	v_cmp_gt_i32_e32 vcc, s33, v54
	v_cndmask_b32_e32 v11, 0, v25, vcc
	v_cmp_gt_i32_e32 vcc, s30, v57
	v_cmp_gt_i32_e64 s[2:3], s33, v58
	v_perm_b32 v25, v0, v11, s24
	v_cndmask_b32_e64 v0, 0, v26, s[2:3]
	v_cndmask_b32_sdwa v11, v46, v26, vcc dst_sel:DWORD dst_unused:UNUSED_PAD src0_sel:DWORD src1_sel:WORD_1
	v_cmp_gt_i32_e32 vcc, s30, v55
	v_cmp_gt_i32_e64 s[2:3], s33, v56
	v_perm_b32 v26, v11, v0, s24
	v_cndmask_b32_e64 v0, 0, v27, s[2:3]
	v_cndmask_b32_sdwa v11, v46, v27, vcc dst_sel:DWORD dst_unused:UNUSED_PAD src0_sel:DWORD src1_sel:WORD_1
	;; [unrolled: 5-line block ×3, first 2 shown]
	v_perm_b32 v28, v11, v0, s24
.LBB133_46:                             ;   in Loop: Header=BB133_40 Depth=1
	s_or_b64 exec, exec, s[14:15]
	v_add_co_u32_e32 v11, vcc, 0x1000, v9
	v_addc_co_u32_e32 v12, vcc, 0, v10, vcc
	global_load_dwordx4 v[29:32], v[11:12], off
	s_and_saveexec_b64 s[14:15], s[0:1]
	s_cbranch_execz .LBB133_48
; %bb.47:                               ;   in Loop: Header=BB133_40 Depth=1
	v_cmp_gt_i32_e32 vcc, s30, v59
	s_waitcnt vmcnt(0)
	v_cndmask_b32_sdwa v0, v46, v29, vcc dst_sel:DWORD dst_unused:UNUSED_PAD src0_sel:DWORD src1_sel:WORD_1
	v_cmp_gt_i32_e32 vcc, s33, v54
	v_cndmask_b32_e32 v11, 0, v29, vcc
	v_cmp_gt_i32_e32 vcc, s30, v57
	v_cmp_gt_i32_e64 s[2:3], s33, v58
	v_perm_b32 v29, v0, v11, s24
	v_cndmask_b32_e64 v0, 0, v30, s[2:3]
	v_cndmask_b32_sdwa v11, v46, v30, vcc dst_sel:DWORD dst_unused:UNUSED_PAD src0_sel:DWORD src1_sel:WORD_1
	v_cmp_gt_i32_e32 vcc, s30, v55
	v_cmp_gt_i32_e64 s[2:3], s33, v56
	v_perm_b32 v30, v11, v0, s24
	v_cndmask_b32_e64 v0, 0, v31, s[2:3]
	v_cndmask_b32_sdwa v11, v46, v31, vcc dst_sel:DWORD dst_unused:UNUSED_PAD src0_sel:DWORD src1_sel:WORD_1
	;; [unrolled: 5-line block ×3, first 2 shown]
	v_perm_b32 v32, v11, v0, s24
.LBB133_48:                             ;   in Loop: Header=BB133_40 Depth=1
	s_or_b64 exec, exec, s[14:15]
	v_add_co_u32_e32 v9, vcc, 0x1000, v9
	v_addc_co_u32_e32 v10, vcc, 0, v10, vcc
	global_load_dwordx4 v[9:12], v[9:10], off offset:1024
	s_and_saveexec_b64 s[2:3], s[0:1]
	s_cbranch_execz .LBB133_38
; %bb.49:                               ;   in Loop: Header=BB133_40 Depth=1
	v_cmp_gt_i32_e32 vcc, s30, v59
	s_waitcnt vmcnt(0)
	v_cndmask_b32_sdwa v0, v46, v9, vcc dst_sel:DWORD dst_unused:UNUSED_PAD src0_sel:DWORD src1_sel:WORD_1
	v_cmp_gt_i32_e32 vcc, s33, v54
	v_cndmask_b32_e32 v9, 0, v9, vcc
	v_cmp_gt_i32_e32 vcc, s30, v57
	v_cmp_gt_i32_e64 s[0:1], s33, v58
	v_perm_b32 v9, v0, v9, s24
	v_cndmask_b32_e64 v0, 0, v10, s[0:1]
	v_cndmask_b32_sdwa v10, v46, v10, vcc dst_sel:DWORD dst_unused:UNUSED_PAD src0_sel:DWORD src1_sel:WORD_1
	v_cmp_gt_i32_e32 vcc, s30, v55
	v_cmp_gt_i32_e64 s[0:1], s33, v56
	v_perm_b32 v10, v10, v0, s24
	v_cndmask_b32_e64 v0, 0, v11, s[0:1]
	v_cndmask_b32_sdwa v11, v46, v11, vcc dst_sel:DWORD dst_unused:UNUSED_PAD src0_sel:DWORD src1_sel:WORD_1
	v_cmp_gt_i32_e32 vcc, s30, v52
	v_cmp_gt_i32_e64 s[0:1], s33, v53
	v_perm_b32 v11, v11, v0, s24
	v_cndmask_b32_e64 v0, 0, v12, s[0:1]
	v_cndmask_b32_sdwa v12, v46, v12, vcc dst_sel:DWORD dst_unused:UNUSED_PAD src0_sel:DWORD src1_sel:WORD_1
	v_perm_b32 v12, v12, v0, s24
	s_branch .LBB133_38
.LBB133_50:                             ;   in Loop: Header=BB133_40 Depth=1
	v_cmp_gt_i32_e32 vcc, s30, v59
	s_waitcnt vmcnt(0)
	v_cndmask_b32_sdwa v0, v46, v1, vcc dst_sel:DWORD dst_unused:UNUSED_PAD src0_sel:DWORD src1_sel:WORD_1
	v_cmp_gt_i32_e32 vcc, s33, v54
	v_cndmask_b32_e32 v1, 0, v1, vcc
	v_cmp_gt_i32_e32 vcc, s30, v57
	v_cmp_gt_i32_e64 s[2:3], s33, v58
	v_perm_b32 v1, v0, v1, s24
	v_cndmask_b32_e64 v0, 0, v2, s[2:3]
	v_cndmask_b32_sdwa v2, v46, v2, vcc dst_sel:DWORD dst_unused:UNUSED_PAD src0_sel:DWORD src1_sel:WORD_1
	v_cmp_gt_i32_e32 vcc, s30, v55
	v_cmp_gt_i32_e64 s[2:3], s33, v56
	v_perm_b32 v2, v2, v0, s24
	v_cndmask_b32_e64 v0, 0, v3, s[2:3]
	v_cndmask_b32_sdwa v3, v46, v3, vcc dst_sel:DWORD dst_unused:UNUSED_PAD src0_sel:DWORD src1_sel:WORD_1
	;; [unrolled: 5-line block ×3, first 2 shown]
	v_perm_b32 v4, v4, v0, s24
	s_or_b64 exec, exec, s[14:15]
	global_load_dwordx4 v[5:8], v[9:10], off offset:1024
	s_and_saveexec_b64 s[14:15], s[0:1]
	s_cbranch_execz .LBB133_43
.LBB133_51:                             ;   in Loop: Header=BB133_40 Depth=1
	v_cmp_gt_i32_e32 vcc, s30, v59
	s_waitcnt vmcnt(0)
	v_cndmask_b32_sdwa v0, v46, v5, vcc dst_sel:DWORD dst_unused:UNUSED_PAD src0_sel:DWORD src1_sel:WORD_1
	v_cmp_gt_i32_e32 vcc, s33, v54
	v_cndmask_b32_e32 v5, 0, v5, vcc
	v_cmp_gt_i32_e32 vcc, s30, v57
	v_cmp_gt_i32_e64 s[2:3], s33, v58
	v_perm_b32 v5, v0, v5, s24
	v_cndmask_b32_e64 v0, 0, v6, s[2:3]
	v_cndmask_b32_sdwa v6, v46, v6, vcc dst_sel:DWORD dst_unused:UNUSED_PAD src0_sel:DWORD src1_sel:WORD_1
	v_cmp_gt_i32_e32 vcc, s30, v55
	v_cmp_gt_i32_e64 s[2:3], s33, v56
	v_perm_b32 v6, v6, v0, s24
	v_cndmask_b32_e64 v0, 0, v7, s[2:3]
	v_cndmask_b32_sdwa v7, v46, v7, vcc dst_sel:DWORD dst_unused:UNUSED_PAD src0_sel:DWORD src1_sel:WORD_1
	;; [unrolled: 5-line block ×3, first 2 shown]
	v_perm_b32 v8, v8, v0, s24
	s_or_b64 exec, exec, s[14:15]
	global_load_dwordx4 v[13:16], v[9:10], off offset:2048
	s_and_saveexec_b64 s[14:15], s[0:1]
	s_cbranch_execz .LBB133_44
.LBB133_52:                             ;   in Loop: Header=BB133_40 Depth=1
	v_cmp_gt_i32_e32 vcc, s30, v59
	s_waitcnt vmcnt(0)
	v_cndmask_b32_sdwa v0, v46, v13, vcc dst_sel:DWORD dst_unused:UNUSED_PAD src0_sel:DWORD src1_sel:WORD_1
	v_cmp_gt_i32_e32 vcc, s33, v54
	v_cndmask_b32_e32 v11, 0, v13, vcc
	v_cmp_gt_i32_e32 vcc, s30, v57
	v_cmp_gt_i32_e64 s[2:3], s33, v58
	v_perm_b32 v13, v0, v11, s24
	v_cndmask_b32_e64 v0, 0, v14, s[2:3]
	v_cndmask_b32_sdwa v11, v46, v14, vcc dst_sel:DWORD dst_unused:UNUSED_PAD src0_sel:DWORD src1_sel:WORD_1
	v_cmp_gt_i32_e32 vcc, s30, v55
	v_cmp_gt_i32_e64 s[2:3], s33, v56
	v_perm_b32 v14, v11, v0, s24
	v_cndmask_b32_e64 v0, 0, v15, s[2:3]
	v_cndmask_b32_sdwa v11, v46, v15, vcc dst_sel:DWORD dst_unused:UNUSED_PAD src0_sel:DWORD src1_sel:WORD_1
	;; [unrolled: 5-line block ×3, first 2 shown]
	v_perm_b32 v16, v11, v0, s24
	s_or_b64 exec, exec, s[14:15]
	global_load_dwordx4 v[25:28], v[9:10], off offset:3072
	s_and_saveexec_b64 s[14:15], s[0:1]
	s_cbranch_execnz .LBB133_45
	s_branch .LBB133_46
.LBB133_53:
	s_or_b64 exec, exec, s[6:7]
.LBB133_54:
	s_or_b64 exec, exec, s[4:5]
	ds_bpermute_b32 v0, v38, v45
	ds_bpermute_b32 v1, v38, v44
	s_waitcnt lgkmcnt(0)
	s_barrier
	v_add_f32_e32 v6, v45, v0
	ds_bpermute_b32 v0, v38, v40
	v_add_f32_e32 v5, v44, v1
	ds_bpermute_b32 v2, v38, v43
	ds_bpermute_b32 v7, v38, v41
	;; [unrolled: 1-line block ×3, first 2 shown]
	s_waitcnt lgkmcnt(3)
	v_add_f32_e32 v1, v40, v0
	buffer_load_dword v0, off, s[48:51], 0  ; 4-byte Folded Reload
	s_waitcnt lgkmcnt(2)
	v_add_f32_e32 v4, v43, v2
	s_waitcnt lgkmcnt(1)
	v_add_f32_e32 v2, v41, v7
	;; [unrolled: 2-line block ×3, first 2 shown]
	s_waitcnt vmcnt(0)
	v_and_b32_e32 v7, 0x3c1, v0
	v_cmp_eq_u32_e32 vcc, 64, v7
	s_and_saveexec_b64 s[0:1], vcc
	s_cbranch_execz .LBB133_56
; %bb.55:
	v_mov_b32_e32 v0, 0x190
	v_lshl_add_u32 v0, v37, 1, v0
	ds_write2_b32 v0, v6, v5 offset1:32
	ds_write2_b32 v0, v4, v3 offset0:64 offset1:96
	ds_write2_b32 v0, v2, v1 offset0:128 offset1:160
.LBB133_56:
	s_or_b64 exec, exec, s[0:1]
	buffer_load_dword v0, off, s[48:51], 0  ; 4-byte Folded Reload
	s_waitcnt vmcnt(0) lgkmcnt(0)
	s_barrier
	v_cmp_gt_u32_e32 vcc, 64, v0
	v_lshrrev_b32_e32 v0, 1, v0
	s_and_saveexec_b64 s[0:1], vcc
	s_cbranch_execz .LBB133_65
; %bb.57:
	v_mov_b32_e32 v8, 0x190
	v_cmp_eq_u32_e32 vcc, 0, v39
	v_lshl_add_u32 v8, v0, 2, v8
	s_and_saveexec_b64 s[2:3], vcc
	s_cbranch_execnz .LBB133_68
; %bb.58:
	s_or_b64 exec, exec, s[2:3]
	s_and_saveexec_b64 s[2:3], vcc
	s_cbranch_execnz .LBB133_69
.LBB133_59:
	s_or_b64 exec, exec, s[2:3]
	s_and_saveexec_b64 s[2:3], vcc
	s_cbranch_execnz .LBB133_70
.LBB133_60:
	s_or_b64 exec, exec, s[2:3]
	s_and_saveexec_b64 s[2:3], vcc
	s_cbranch_execnz .LBB133_71
.LBB133_61:
	s_or_b64 exec, exec, s[2:3]
	s_and_saveexec_b64 s[2:3], vcc
	s_cbranch_execnz .LBB133_72
.LBB133_62:
	s_or_b64 exec, exec, s[2:3]
	s_and_saveexec_b64 s[2:3], vcc
	s_cbranch_execz .LBB133_64
.LBB133_63:
	ds_read_b32 v8, v8 offset:640
	s_waitcnt lgkmcnt(0)
	v_add_f32_e32 v1, v1, v8
.LBB133_64:
	s_or_b64 exec, exec, s[2:3]
.LBB133_65:
	s_or_b64 exec, exec, s[0:1]
	v_cmp_eq_u32_e32 vcc, 0, v7
	s_barrier
	s_and_saveexec_b64 s[0:1], vcc
	s_cbranch_execz .LBB133_67
; %bb.66:
	s_mul_i32 s0, s10, s11
	s_mul_i32 s0, s0, s9
	s_mulk_i32 s0, 0xc0
	s_ashr_i32 s1, s0, 31
	s_lshl_b64 s[0:1], s[0:1], 1
	s_add_u32 s2, s22, s0
	s_mul_i32 s0, s11, s20
	s_addc_u32 s3, s23, s1
	s_ashr_i32 s1, s0, 31
	s_lshl_b64 s[0:1], s[0:1], 1
	s_add_u32 s2, s2, s0
	s_mul_i32 s0, s8, 0xc0
	s_addc_u32 s3, s3, s1
	s_ashr_i32 s1, s0, 31
	s_lshl_b64 s[0:1], s[0:1], 1
	s_add_u32 s0, s2, s0
	v_bfe_u32 v7, v6, 16, 1
	s_movk_i32 s2, 0x7fff
	v_add3_u32 v7, v7, v6, s2
	v_or_b32_e32 v8, 0x400000, v6
	v_cmp_u_f32_e32 vcc, v6, v6
	s_addc_u32 s1, s3, s1
	v_lshlrev_b32_e32 v0, 1, v0
	v_cndmask_b32_e32 v6, v7, v8, vcc
	global_store_short_d16_hi v0, v6, s[0:1]
	v_bfe_u32 v6, v5, 16, 1
	v_add3_u32 v6, v6, v5, s2
	v_or_b32_e32 v7, 0x400000, v5
	v_cmp_u_f32_e32 vcc, v5, v5
	v_cndmask_b32_e32 v5, v6, v7, vcc
	global_store_short_d16_hi v0, v5, s[0:1] offset:64
	v_bfe_u32 v5, v4, 16, 1
	v_add3_u32 v5, v5, v4, s2
	v_or_b32_e32 v6, 0x400000, v4
	v_cmp_u_f32_e32 vcc, v4, v4
	v_cndmask_b32_e32 v4, v5, v6, vcc
	global_store_short_d16_hi v0, v4, s[0:1] offset:128
	v_bfe_u32 v4, v3, 16, 1
	v_add3_u32 v4, v4, v3, s2
	v_or_b32_e32 v5, 0x400000, v3
	v_cmp_u_f32_e32 vcc, v3, v3
	v_cndmask_b32_e32 v3, v4, v5, vcc
	global_store_short_d16_hi v0, v3, s[0:1] offset:192
	v_bfe_u32 v3, v2, 16, 1
	v_add3_u32 v3, v3, v2, s2
	v_or_b32_e32 v4, 0x400000, v2
	v_cmp_u_f32_e32 vcc, v2, v2
	v_cndmask_b32_e32 v2, v3, v4, vcc
	global_store_short_d16_hi v0, v2, s[0:1] offset:256
	v_bfe_u32 v2, v1, 16, 1
	v_add3_u32 v2, v2, v1, s2
	v_or_b32_e32 v3, 0x400000, v1
	v_cmp_u_f32_e32 vcc, v1, v1
	v_cndmask_b32_e32 v1, v2, v3, vcc
	global_store_short_d16_hi v0, v1, s[0:1] offset:320
.LBB133_67:
	s_endpgm
.LBB133_68:
	ds_read_b32 v9, v8
	s_waitcnt lgkmcnt(0)
	v_add_f32_e32 v6, v6, v9
	s_or_b64 exec, exec, s[2:3]
	s_and_saveexec_b64 s[2:3], vcc
	s_cbranch_execz .LBB133_59
.LBB133_69:
	ds_read_b32 v9, v8 offset:128
	s_waitcnt lgkmcnt(0)
	v_add_f32_e32 v5, v5, v9
	s_or_b64 exec, exec, s[2:3]
	s_and_saveexec_b64 s[2:3], vcc
	s_cbranch_execz .LBB133_60
.LBB133_70:
	ds_read_b32 v9, v8 offset:256
	s_waitcnt lgkmcnt(0)
	v_add_f32_e32 v4, v4, v9
	s_or_b64 exec, exec, s[2:3]
	s_and_saveexec_b64 s[2:3], vcc
	s_cbranch_execz .LBB133_61
.LBB133_71:
	ds_read_b32 v9, v8 offset:384
	s_waitcnt lgkmcnt(0)
	v_add_f32_e32 v3, v3, v9
	s_or_b64 exec, exec, s[2:3]
	s_and_saveexec_b64 s[2:3], vcc
	s_cbranch_execz .LBB133_62
.LBB133_72:
	ds_read_b32 v9, v8 offset:512
	s_waitcnt lgkmcnt(0)
	v_add_f32_e32 v2, v2, v9
	s_or_b64 exec, exec, s[2:3]
	s_and_saveexec_b64 s[2:3], vcc
	s_cbranch_execnz .LBB133_63
	s_branch .LBB133_64
	.section	.rodata,"a",@progbits
	.p2align	6, 0x0
	.amdhsa_kernel _ZN4vllm25paged_attention_v1_kernelI14__hip_bfloat16S1_Li192ELi16ELi128ELNS_18Fp8KVCacheDataTypeE0ELb1EEEvPT_PKS3_PKT0_S9_ifPKiSB_iPKfiiiSD_SD_iiiii
		.amdhsa_group_segment_fixed_size 400
		.amdhsa_private_segment_fixed_size 44
		.amdhsa_kernarg_size 384
		.amdhsa_user_sgpr_count 6
		.amdhsa_user_sgpr_private_segment_buffer 1
		.amdhsa_user_sgpr_dispatch_ptr 0
		.amdhsa_user_sgpr_queue_ptr 0
		.amdhsa_user_sgpr_kernarg_segment_ptr 1
		.amdhsa_user_sgpr_dispatch_id 0
		.amdhsa_user_sgpr_flat_scratch_init 0
		.amdhsa_user_sgpr_private_segment_size 0
		.amdhsa_uses_dynamic_stack 0
		.amdhsa_system_sgpr_private_segment_wavefront_offset 1
		.amdhsa_system_sgpr_workgroup_id_x 1
		.amdhsa_system_sgpr_workgroup_id_y 1
		.amdhsa_system_sgpr_workgroup_id_z 1
		.amdhsa_system_sgpr_workgroup_info 0
		.amdhsa_system_vgpr_workitem_id 0
		.amdhsa_next_free_vgpr 64
		.amdhsa_next_free_sgpr 52
		.amdhsa_reserve_vcc 1
		.amdhsa_reserve_flat_scratch 0
		.amdhsa_float_round_mode_32 0
		.amdhsa_float_round_mode_16_64 0
		.amdhsa_float_denorm_mode_32 3
		.amdhsa_float_denorm_mode_16_64 3
		.amdhsa_dx10_clamp 1
		.amdhsa_ieee_mode 1
		.amdhsa_fp16_overflow 0
		.amdhsa_exception_fp_ieee_invalid_op 0
		.amdhsa_exception_fp_denorm_src 0
		.amdhsa_exception_fp_ieee_div_zero 0
		.amdhsa_exception_fp_ieee_overflow 0
		.amdhsa_exception_fp_ieee_underflow 0
		.amdhsa_exception_fp_ieee_inexact 0
		.amdhsa_exception_int_div_zero 0
	.end_amdhsa_kernel
	.section	.text._ZN4vllm25paged_attention_v1_kernelI14__hip_bfloat16S1_Li192ELi16ELi128ELNS_18Fp8KVCacheDataTypeE0ELb1EEEvPT_PKS3_PKT0_S9_ifPKiSB_iPKfiiiSD_SD_iiiii,"axG",@progbits,_ZN4vllm25paged_attention_v1_kernelI14__hip_bfloat16S1_Li192ELi16ELi128ELNS_18Fp8KVCacheDataTypeE0ELb1EEEvPT_PKS3_PKT0_S9_ifPKiSB_iPKfiiiSD_SD_iiiii,comdat
.Lfunc_end133:
	.size	_ZN4vllm25paged_attention_v1_kernelI14__hip_bfloat16S1_Li192ELi16ELi128ELNS_18Fp8KVCacheDataTypeE0ELb1EEEvPT_PKS3_PKT0_S9_ifPKiSB_iPKfiiiSD_SD_iiiii, .Lfunc_end133-_ZN4vllm25paged_attention_v1_kernelI14__hip_bfloat16S1_Li192ELi16ELi128ELNS_18Fp8KVCacheDataTypeE0ELb1EEEvPT_PKS3_PKT0_S9_ifPKiSB_iPKfiiiSD_SD_iiiii
                                        ; -- End function
	.set _ZN4vllm25paged_attention_v1_kernelI14__hip_bfloat16S1_Li192ELi16ELi128ELNS_18Fp8KVCacheDataTypeE0ELb1EEEvPT_PKS3_PKT0_S9_ifPKiSB_iPKfiiiSD_SD_iiiii.num_vgpr, 64
	.set _ZN4vllm25paged_attention_v1_kernelI14__hip_bfloat16S1_Li192ELi16ELi128ELNS_18Fp8KVCacheDataTypeE0ELb1EEEvPT_PKS3_PKT0_S9_ifPKiSB_iPKfiiiSD_SD_iiiii.num_agpr, 0
	.set _ZN4vllm25paged_attention_v1_kernelI14__hip_bfloat16S1_Li192ELi16ELi128ELNS_18Fp8KVCacheDataTypeE0ELb1EEEvPT_PKS3_PKT0_S9_ifPKiSB_iPKfiiiSD_SD_iiiii.numbered_sgpr, 52
	.set _ZN4vllm25paged_attention_v1_kernelI14__hip_bfloat16S1_Li192ELi16ELi128ELNS_18Fp8KVCacheDataTypeE0ELb1EEEvPT_PKS3_PKT0_S9_ifPKiSB_iPKfiiiSD_SD_iiiii.num_named_barrier, 0
	.set _ZN4vllm25paged_attention_v1_kernelI14__hip_bfloat16S1_Li192ELi16ELi128ELNS_18Fp8KVCacheDataTypeE0ELb1EEEvPT_PKS3_PKT0_S9_ifPKiSB_iPKfiiiSD_SD_iiiii.private_seg_size, 44
	.set _ZN4vllm25paged_attention_v1_kernelI14__hip_bfloat16S1_Li192ELi16ELi128ELNS_18Fp8KVCacheDataTypeE0ELb1EEEvPT_PKS3_PKT0_S9_ifPKiSB_iPKfiiiSD_SD_iiiii.uses_vcc, 1
	.set _ZN4vllm25paged_attention_v1_kernelI14__hip_bfloat16S1_Li192ELi16ELi128ELNS_18Fp8KVCacheDataTypeE0ELb1EEEvPT_PKS3_PKT0_S9_ifPKiSB_iPKfiiiSD_SD_iiiii.uses_flat_scratch, 0
	.set _ZN4vllm25paged_attention_v1_kernelI14__hip_bfloat16S1_Li192ELi16ELi128ELNS_18Fp8KVCacheDataTypeE0ELb1EEEvPT_PKS3_PKT0_S9_ifPKiSB_iPKfiiiSD_SD_iiiii.has_dyn_sized_stack, 0
	.set _ZN4vllm25paged_attention_v1_kernelI14__hip_bfloat16S1_Li192ELi16ELi128ELNS_18Fp8KVCacheDataTypeE0ELb1EEEvPT_PKS3_PKT0_S9_ifPKiSB_iPKfiiiSD_SD_iiiii.has_recursion, 0
	.set _ZN4vllm25paged_attention_v1_kernelI14__hip_bfloat16S1_Li192ELi16ELi128ELNS_18Fp8KVCacheDataTypeE0ELb1EEEvPT_PKS3_PKT0_S9_ifPKiSB_iPKfiiiSD_SD_iiiii.has_indirect_call, 0
	.section	.AMDGPU.csdata,"",@progbits
; Kernel info:
; codeLenInByte = 9176
; TotalNumSgprs: 56
; NumVgprs: 64
; ScratchSize: 44
; MemoryBound: 0
; FloatMode: 240
; IeeeMode: 1
; LDSByteSize: 400 bytes/workgroup (compile time only)
; SGPRBlocks: 6
; VGPRBlocks: 15
; NumSGPRsForWavesPerEU: 56
; NumVGPRsForWavesPerEU: 64
; Occupancy: 4
; WaveLimiterHint : 1
; COMPUTE_PGM_RSRC2:SCRATCH_EN: 1
; COMPUTE_PGM_RSRC2:USER_SGPR: 6
; COMPUTE_PGM_RSRC2:TRAP_HANDLER: 0
; COMPUTE_PGM_RSRC2:TGID_X_EN: 1
; COMPUTE_PGM_RSRC2:TGID_Y_EN: 1
; COMPUTE_PGM_RSRC2:TGID_Z_EN: 1
; COMPUTE_PGM_RSRC2:TIDIG_COMP_CNT: 0
	.section	.text._ZN4vllm25paged_attention_v1_kernelI14__hip_bfloat16S1_Li256ELi16ELi128ELNS_18Fp8KVCacheDataTypeE0ELb1EEEvPT_PKS3_PKT0_S9_ifPKiSB_iPKfiiiSD_SD_iiiii,"axG",@progbits,_ZN4vllm25paged_attention_v1_kernelI14__hip_bfloat16S1_Li256ELi16ELi128ELNS_18Fp8KVCacheDataTypeE0ELb1EEEvPT_PKS3_PKT0_S9_ifPKiSB_iPKfiiiSD_SD_iiiii,comdat
	.protected	_ZN4vllm25paged_attention_v1_kernelI14__hip_bfloat16S1_Li256ELi16ELi128ELNS_18Fp8KVCacheDataTypeE0ELb1EEEvPT_PKS3_PKT0_S9_ifPKiSB_iPKfiiiSD_SD_iiiii ; -- Begin function _ZN4vllm25paged_attention_v1_kernelI14__hip_bfloat16S1_Li256ELi16ELi128ELNS_18Fp8KVCacheDataTypeE0ELb1EEEvPT_PKS3_PKT0_S9_ifPKiSB_iPKfiiiSD_SD_iiiii
	.globl	_ZN4vllm25paged_attention_v1_kernelI14__hip_bfloat16S1_Li256ELi16ELi128ELNS_18Fp8KVCacheDataTypeE0ELb1EEEvPT_PKS3_PKT0_S9_ifPKiSB_iPKfiiiSD_SD_iiiii
	.p2align	8
	.type	_ZN4vllm25paged_attention_v1_kernelI14__hip_bfloat16S1_Li256ELi16ELi128ELNS_18Fp8KVCacheDataTypeE0ELb1EEEvPT_PKS3_PKT0_S9_ifPKiSB_iPKfiiiSD_SD_iiiii,@function
_ZN4vllm25paged_attention_v1_kernelI14__hip_bfloat16S1_Li256ELi16ELi128ELNS_18Fp8KVCacheDataTypeE0ELb1EEEvPT_PKS3_PKT0_S9_ifPKiSB_iPKfiiiSD_SD_iiiii: ; @_ZN4vllm25paged_attention_v1_kernelI14__hip_bfloat16S1_Li256ELi16ELi128ELNS_18Fp8KVCacheDataTypeE0ELb1EEEvPT_PKS3_PKT0_S9_ifPKiSB_iPKfiiiSD_SD_iiiii
; %bb.0:
	s_mov_b64 s[50:51], s[2:3]
	s_mov_b64 s[48:49], s[0:1]
	s_add_u32 s48, s48, s9
	s_addc_u32 s49, s49, 0
	buffer_store_dword v0, off, s[48:51], 0 offset:16 ; 4-byte Folded Spill
	s_load_dword s9, s[4:5], 0x80
	s_load_dwordx2 s[0:1], s[4:5], 0x30
	s_load_dwordx2 s[30:31], s[4:5], 0x20
	s_mov_b32 s10, s7
	s_ashr_i32 s11, s7, 31
	s_lshl_b64 s[2:3], s[10:11], 2
	s_waitcnt lgkmcnt(0)
	s_add_u32 s0, s0, s2
	s_addc_u32 s1, s1, s3
	s_abs_i32 s2, s30
	v_cvt_f32_u32_e32 v0, s2
	s_sub_i32 s11, 0, s2
	s_abs_i32 s7, s9
	s_xor_b32 s3, s9, s30
	v_rcp_iflag_f32_e32 v0, v0
	s_ashr_i32 s3, s3, 31
	s_mov_b32 s42, 0
	v_mul_f32_e32 v0, 0x4f7ffffe, v0
	v_cvt_u32_f32_e32 v0, v0
	v_readfirstlane_b32 s12, v0
	s_mul_i32 s11, s11, s12
	s_mul_hi_u32 s11, s12, s11
	s_add_i32 s12, s12, s11
	s_mul_hi_u32 s11, s7, s12
	s_mul_i32 s12, s11, s2
	s_sub_i32 s7, s7, s12
	s_add_i32 s12, s11, 1
	s_sub_i32 s13, s7, s2
	s_cmp_ge_u32 s7, s2
	s_cselect_b32 s11, s12, s11
	s_cselect_b32 s7, s13, s7
	s_add_i32 s12, s11, 1
	s_cmp_ge_u32 s7, s2
	s_cselect_b32 s2, s12, s11
	s_xor_b32 s2, s2, s3
	s_sub_i32 s12, s2, s3
	s_abs_i32 s11, s12
	v_cvt_f32_u32_e32 v0, s11
	s_load_dwordx2 s[2:3], s[4:5], 0x40
	s_sub_i32 s7, 0, s11
	s_abs_i32 s22, s6
	v_rcp_iflag_f32_e32 v0, v0
	v_mul_f32_e32 v0, 0x4f7ffffe, v0
	v_cvt_u32_f32_e32 v0, v0
	v_readfirstlane_b32 s13, v0
	s_mul_i32 s7, s7, s13
	s_mul_hi_u32 s7, s13, s7
	s_add_i32 s13, s13, s7
	s_waitcnt lgkmcnt(0)
	s_cmp_eq_u64 s[2:3], 0
	s_mul_hi_u32 s23, s22, s13
	s_cbranch_scc1 .LBB134_2
; %bb.1:
	s_ashr_i32 s7, s6, 31
	s_lshl_b64 s[14:15], s[6:7], 2
	s_add_u32 s2, s2, s14
	s_addc_u32 s3, s3, s15
	s_load_dword s42, s[2:3], 0x0
.LBB134_2:
	buffer_load_dword v1, off, s[48:51], 0 offset:16 ; 4-byte Folded Reload
	s_load_dword s33, s[0:1], 0x0
	s_ashr_i32 s7, s12, 31
	s_load_dwordx4 s[12:15], s[4:5], 0x48
	s_movk_i32 s0, 0x80
	s_ashr_i32 s2, s6, 31
	s_lshl_b32 s20, s6, 8
	s_waitcnt vmcnt(0)
	v_and_b32_e32 v0, 3, v1
	v_cmp_gt_u32_e32 vcc, s0, v1
	v_lshlrev_b32_e32 v1, 2, v1
	s_and_saveexec_b64 s[0:1], vcc
	s_cbranch_execz .LBB134_4
; %bb.3:
	s_load_dwordx2 s[16:17], s[4:5], 0x8
	s_waitcnt lgkmcnt(0)
	s_mul_i32 s18, s12, s10
	s_ashr_i32 s19, s18, 31
	s_lshl_b64 s[18:19], s[18:19], 1
	buffer_load_dword v3, off, s[48:51], 0 offset:16 ; 4-byte Folded Reload
	s_add_u32 s3, s16, s18
	s_addc_u32 s12, s17, s19
	s_ashr_i32 s21, s20, 31
	s_lshl_b64 s[16:17], s[20:21], 1
	s_add_u32 s16, s3, s16
	s_addc_u32 s17, s12, s17
	global_load_dword v2, v1, s[16:17]
	s_waitcnt vmcnt(1)
	v_and_b32_e32 v3, 0x3fc, v3
	v_lshl_add_u32 v3, v0, 7, v3
	s_waitcnt vmcnt(0)
	ds_write_b32 v3, v2
.LBB134_4:
	s_or_b64 exec, exec, s[0:1]
	s_mul_i32 s1, s23, s11
	s_sub_i32 s1, s22, s1
	s_xor_b32 s0, s2, s7
	s_add_i32 s2, s23, 1
	s_sub_i32 s7, s1, s11
	s_load_dwordx4 s[16:19], s[4:5], 0x68
	s_load_dword s3, s[4:5], 0x78
	s_cmp_ge_u32 s1, s11
	s_cselect_b32 s2, s2, s23
	s_cselect_b32 s1, s7, s1
	s_add_i32 s7, s2, 1
	s_cmp_ge_u32 s1, s11
	s_cselect_b32 s1, s7, s2
	s_waitcnt lgkmcnt(0)
	s_abs_i32 s21, s19
	v_cvt_f32_u32_e32 v2, s21
	s_xor_b32 s1, s1, s0
	s_sub_i32 s2, s1, s0
	s_sub_i32 s0, 0, s21
	v_rcp_iflag_f32_e32 v2, v2
	s_add_i32 s11, s33, -1
	s_abs_i32 s7, s11
	v_mul_f32_e32 v2, 0x4f7ffffe, v2
	v_cvt_u32_f32_e32 v2, v2
	s_barrier
	v_readfirstlane_b32 s40, v2
	s_mul_i32 s0, s0, s40
	s_mul_hi_u32 s0, s40, s0
	s_add_i32 s40, s40, s0
	s_cmp_lt_i32 s3, 0
	s_mul_hi_u32 s12, s7, s40
	s_cbranch_scc0 .LBB134_6
; %bb.5:
	s_mul_i32 s0, s16, s30
	s_add_i32 s0, s2, s0
	s_mul_i32 s0, s0, s3
	s_sub_i32 s41, 1, s0
	s_mov_b64 s[0:1], 0
	s_branch .LBB134_7
.LBB134_6:
	s_mov_b64 s[0:1], -1
                                        ; implicit-def: $sgpr41
.LBB134_7:
	s_load_dwordx2 s[24:25], s[4:5], 0x28
	s_ashr_i32 s15, s11, 31
	s_andn2_b64 vcc, exec, s[0:1]
	s_ashr_i32 s19, s19, 31
	s_cbranch_vccnz .LBB134_9
; %bb.8:
	s_mul_i32 s0, s9, s16
	s_add_i32 s0, s0, s6
	s_mul_i32 s0, s0, s3
	s_add_i32 s41, s0, 1
.LBB134_9:
	s_load_dword s0, s[4:5], 0x38
	s_load_dwordx2 s[22:23], s[4:5], 0x0
	s_load_dwordx2 s[28:29], s[4:5], 0x18
	s_load_dword s11, s[4:5], 0x88
	buffer_load_dword v2, off, s[48:51], 0 offset:16 ; 4-byte Folded Reload
	s_waitcnt lgkmcnt(0)
	s_mul_i32 s26, s0, s10
	s_mul_i32 s0, s12, s21
	s_sub_i32 s0, s7, s0
	s_xor_b32 s1, s15, s19
	s_ashr_i32 s27, s26, 31
	s_add_i32 s3, s12, 1
	s_sub_i32 s6, s0, s21
	s_cmp_ge_u32 s0, s21
	s_cselect_b32 s3, s3, s12
	s_cselect_b32 s0, s6, s0
	s_add_i32 s6, s3, 1
	s_cmp_ge_u32 s0, s21
	s_cselect_b32 s0, s6, s3
	s_xor_b32 s0, s0, s1
	s_sub_i32 s12, s0, s1
	s_add_i32 s0, s33, 15
	s_ashr_i32 s1, s0, 31
	s_lshr_b32 s1, s1, 28
	s_add_i32 s0, s0, s1
	s_ashr_i32 s16, s0, 4
	v_mov_b32_e32 v4, 0xff7fffff
	s_mul_i32 s14, s2, s14
	v_mbcnt_lo_u32_b32 v5, -1, 0
	s_waitcnt vmcnt(0)
	v_lshrrev_b32_e32 v3, 6, v2
	v_cmp_gt_i32_e64 s[0:1], s16, v3
	v_lshrrev_b32_e32 v15, 4, v2
	v_lshlrev_b32_e32 v2, 4, v3
	buffer_store_dword v3, off, s[48:51], 0 ; 4-byte Folded Spill
	buffer_store_dword v2, off, s[48:51], 0 offset:60 ; 4-byte Folded Spill
	s_and_saveexec_b64 s[34:35], s[0:1]
	s_cbranch_execz .LBB134_21
; %bb.10:
	buffer_load_dword v3, off, s[48:51], 0 offset:16 ; 4-byte Folded Reload
	buffer_load_dword v22, off, s[48:51], 0 ; 4-byte Folded Reload
	s_load_dwordx2 s[2:3], s[4:5], 0x10
	s_ashr_i32 s15, s14, 31
	s_sub_i32 s30, s12, s17
	s_lshl_b64 s[4:5], s[14:15], 1
	v_mov_b32_e32 v7, v5
	s_waitcnt lgkmcnt(0)
	s_add_u32 s2, s2, s4
	s_addc_u32 s3, s3, s5
	s_abs_i32 s15, s18
	v_cvt_f32_u32_e32 v2, s15
	v_mov_b32_e32 v4, s3
	s_sub_i32 s3, 0, s15
	v_and_b32_e32 v1, 12, v1
	v_rcp_iflag_f32_e32 v2, v2
	s_lshl_b64 s[4:5], s[26:27], 2
	s_add_u32 s4, s24, s4
	v_cmp_eq_u32_e32 vcc, 0, v0
	v_mul_f32_e32 v2, 0x4f7ffffe, v2
	v_cvt_u32_f32_e32 v2, v2
	v_lshlrev_b32_e32 v37, 7, v0
	v_and_b32_e32 v0, 60, v15
	s_addc_u32 s5, s25, s5
	v_mul_lo_u32 v5, s3, v2
	buffer_store_dword v15, off, s[48:51], 0 offset:64 ; 4-byte Folded Spill
	s_mov_b32 s43, s13
	s_mov_b64 s[36:37], 0
	v_mul_hi_u32 v5, v2, v5
	s_movk_i32 s44, 0x1000
	s_waitcnt vmcnt(2)
	v_bfe_u32 v8, v3, 2, 4
	v_lshlrev_b32_e32 v3, 4, v8
	v_add_co_u32_e64 v3, s[2:3], s2, v3
	v_addc_co_u32_e64 v4, s[2:3], 0, v4, s[2:3]
	v_add_co_u32_e64 v1, s[2:3], v3, v1
	buffer_store_dword v1, off, s[48:51], 0 offset:24 ; 4-byte Folded Spill
	v_addc_co_u32_e64 v1, s[2:3], 0, v4, s[2:3]
	buffer_store_dword v1, off, s[48:51], 0 offset:28 ; 4-byte Folded Spill
	v_add_u32_e32 v4, v2, v5
	v_mov_b32_e32 v1, s5
	v_add_co_u32_e64 v5, s[4:5], s4, v0
	v_subrev_u32_e32 v0, s33, v8
	v_add_u32_e32 v0, 1, v0
	buffer_store_dword v0, off, s[48:51], 0 offset:56 ; 4-byte Folded Spill
	buffer_store_dword v8, off, s[48:51], 0 offset:52 ; 4-byte Folded Spill
	v_lshlrev_b32_e32 v0, 2, v8
	v_addc_co_u32_e64 v6, s[4:5], 0, v1, s[4:5]
	s_waitcnt vmcnt(5)
	v_lshl_or_b32 v0, v22, 6, v0
	v_mbcnt_hi_u32_b32 v1, -1, v7
	v_add_u32_e32 v17, 0x210, v0
	v_and_b32_e32 v0, 64, v1
	v_add_u32_e32 v0, 64, v0
	buffer_store_dword v0, off, s[48:51], 0 offset:40 ; 4-byte Folded Spill
	v_xor_b32_e32 v0, 2, v1
	buffer_store_dword v0, off, s[48:51], 0 offset:44 ; 4-byte Folded Spill
	buffer_store_dword v1, off, s[48:51], 0 offset:36 ; 4-byte Folded Spill
	v_xor_b32_e32 v0, 1, v1
	v_cmp_neq_f32_e64 s[2:3], s42, 0
	v_lshlrev_b32_e32 v15, 4, v22
	buffer_store_dword v0, off, s[48:51], 0 offset:48 ; 4-byte Folded Spill
	v_mov_b32_e32 v0, 0xff7fffff
	buffer_store_dword v0, off, s[48:51], 0 offset:20 ; 4-byte Folded Spill
	buffer_store_dword v4, off, s[48:51], 0 offset:32 ; 4-byte Folded Spill
	s_branch .LBB134_13
.LBB134_11:                             ;   in Loop: Header=BB134_13 Depth=1
	s_or_b64 exec, exec, s[38:39]
	buffer_load_dword v4, off, s[48:51], 0 offset:32 ; 4-byte Folded Reload
.LBB134_12:                             ;   in Loop: Header=BB134_13 Depth=1
	s_or_b64 exec, exec, s[6:7]
	v_add_co_u32_e64 v5, s[4:5], 8, v5
	v_add_u32_e32 v22, 2, v22
	v_addc_co_u32_e64 v6, s[4:5], 0, v6, s[4:5]
	v_cmp_le_i32_e64 s[4:5], s16, v22
	v_add_u32_e32 v15, 32, v15
	s_or_b64 s[36:37], s[4:5], s[36:37]
	v_add_u32_e32 v17, 0x80, v17
	s_andn2_b64 exec, exec, s[36:37]
	s_cbranch_execz .LBB134_20
.LBB134_13:                             ; =>This Inner Loop Header: Depth=1
	v_mul_hi_u32 v0, v15, s40
	s_waitcnt lgkmcnt(0)
	v_mul_lo_u32 v1, v0, s21
	v_add_u32_e32 v2, 1, v0
	v_sub_u32_e32 v1, v15, v1
	v_cmp_le_u32_e64 s[4:5], s21, v1
	v_cndmask_b32_e64 v0, v0, v2, s[4:5]
	v_subrev_u32_e32 v2, s21, v1
	v_cndmask_b32_e64 v1, v1, v2, s[4:5]
	v_add_u32_e32 v2, 1, v0
	v_cmp_le_u32_e64 s[4:5], s21, v1
	v_cndmask_b32_e64 v0, v0, v2, s[4:5]
	v_xor_b32_e32 v0, s19, v0
	v_subrev_u32_e32 v0, s19, v0
	v_add_u32_e32 v1, s41, v0
	v_sub_u32_e32 v2, 0, v1
	v_max_i32_e32 v2, v1, v2
	s_waitcnt vmcnt(0)
	v_mul_hi_u32 v3, v2, v4
	v_ashrrev_i32_e32 v1, 31, v1
	v_cmp_ge_i32_e64 s[6:7], s30, v0
	v_mul_lo_u32 v3, v3, s15
	v_sub_u32_e32 v2, v2, v3
	v_subrev_u32_e32 v3, s15, v2
	v_cmp_le_u32_e64 s[4:5], s15, v2
	v_cndmask_b32_e64 v2, v2, v3, s[4:5]
	v_subrev_u32_e32 v3, s15, v2
	v_cmp_le_u32_e64 s[4:5], s15, v2
	v_cndmask_b32_e64 v2, v2, v3, s[4:5]
	v_xor_b32_e32 v2, v2, v1
	v_sub_u32_e32 v1, v2, v1
	v_cmp_ne_u32_e64 s[4:5], 0, v1
	s_and_b64 s[4:5], s[4:5], s[6:7]
	s_and_saveexec_b64 s[6:7], s[4:5]
	s_xor_b64 s[4:5], exec, s[6:7]
	s_cbranch_execz .LBB134_17
; %bb.14:                               ;   in Loop: Header=BB134_13 Depth=1
	s_and_saveexec_b64 s[6:7], vcc
; %bb.15:                               ;   in Loop: Header=BB134_13 Depth=1
	v_mov_b32_e32 v0, 0xff7fffff
	ds_write_b32 v17, v0
; %bb.16:                               ;   in Loop: Header=BB134_13 Depth=1
	s_or_b64 exec, exec, s[6:7]
.LBB134_17:                             ;   in Loop: Header=BB134_13 Depth=1
	s_andn2_saveexec_b64 s[6:7], s[4:5]
	s_cbranch_execz .LBB134_12
; %bb.18:                               ;   in Loop: Header=BB134_13 Depth=1
	ds_read_b128 v[23:26], v37
	ds_read_b128 v[27:30], v37 offset:16
	ds_read_b128 v[31:34], v37 offset:64
	s_waitcnt lgkmcnt(2)
	v_lshlrev_b32_e32 v2, 16, v23
	v_lshlrev_b32_e32 v3, 16, v24
	;; [unrolled: 1-line block ×4, first 2 shown]
	v_and_b32_e32 v10, 0xffff0000, v23
	v_and_b32_e32 v13, 0xffff0000, v24
	;; [unrolled: 1-line block ×4, first 2 shown]
	s_waitcnt lgkmcnt(1)
	v_lshlrev_b32_e32 v43, 16, v27
	v_lshlrev_b32_e32 v46, 16, v28
	;; [unrolled: 1-line block ×4, first 2 shown]
	v_and_b32_e32 v48, 0xffff0000, v27
	ds_read_b128 v[23:26], v37 offset:32
	v_and_b32_e32 v44, 0xffff0000, v28
	v_and_b32_e32 v12, 0xffff0000, v29
	v_and_b32_e32 v16, 0xffff0000, v30
	ds_read_b128 v[27:30], v37 offset:48
	s_waitcnt lgkmcnt(2)
	v_lshlrev_b32_e32 v9, 16, v33
	buffer_store_dword v9, off, s[48:51], 0 offset:12 ; 4-byte Folded Spill
	v_lshlrev_b32_e32 v9, 16, v34
	v_and_b32_e32 v18, 0xffff0000, v34
	s_waitcnt lgkmcnt(0)
	v_lshlrev_b32_e32 v50, 16, v28
	v_and_b32_e32 v53, 0xffff0000, v28
	v_lshlrev_b32_e32 v7, 16, v31
	v_lshlrev_b32_e32 v38, 16, v32
	buffer_store_dword v9, off, s[48:51], 0 offset:4 ; 4-byte Folded Spill
	v_and_b32_e32 v9, 0xffff0000, v31
	v_and_b32_e32 v31, 0xffff0000, v32
	v_and_b32_e32 v28, 0xffff0000, v33
	buffer_store_dword v18, off, s[48:51], 0 offset:8 ; 4-byte Folded Spill
	ds_read_b128 v[32:35], v37 offset:80
	ds_read_b128 v[18:21], v37 offset:96
	v_lshlrev_b32_e32 v54, 16, v26
	v_and_b32_e32 v55, 0xffff0000, v26
	v_lshlrev_b32_e32 v4, 16, v30
	v_and_b32_e32 v8, 0xffff0000, v30
	s_waitcnt lgkmcnt(0)
	v_lshlrev_b32_e32 v30, 16, v18
	v_and_b32_e32 v26, 0xffff0000, v18
	global_load_dword v18, v[5:6], off
	v_lshlrev_b32_e32 v63, 16, v23
	v_and_b32_e32 v36, 0xffff0000, v23
	buffer_load_dword v23, off, s[48:51], 0 offset:24 ; 4-byte Folded Reload
	v_lshlrev_b32_e32 v41, 16, v34
	v_lshlrev_b32_e32 v39, 16, v35
	v_and_b32_e32 v42, 0xffff0000, v34
	v_and_b32_e32 v40, 0xffff0000, v35
	v_lshlrev_b32_e32 v35, 16, v19
	v_and_b32_e32 v34, 0xffff0000, v19
	v_lshlrev_b32_e32 v60, 16, v24
	;; [unrolled: 2-line block ×9, first 2 shown]
	v_and_b32_e32 v21, 0xffff0000, v21
	s_waitcnt vmcnt(1)
	v_mad_i64_i32 v[18:19], s[4:5], v18, s43, 0
	v_lshlrev_b64 v[18:19], 1, v[18:19]
	s_waitcnt vmcnt(0)
	v_add_co_u32_e64 v18, s[4:5], v23, v18
	buffer_load_dword v23, off, s[48:51], 0 offset:28 ; 4-byte Folded Reload
	s_waitcnt vmcnt(0)
	v_addc_co_u32_e64 v19, s[4:5], v23, v19, s[4:5]
	global_load_dword v24, v[18:19], off offset:256
	s_waitcnt vmcnt(0)
	v_lshlrev_b32_e32 v23, 16, v24
	v_mul_f32_e32 v23, v3, v23
	global_load_dword v3, v[18:19], off
	s_waitcnt vmcnt(0)
	v_lshlrev_b32_e32 v27, 16, v3
	v_fmac_f32_e32 v23, v2, v27
	v_and_b32_e32 v2, 0xffff0000, v24
	v_mul_f32_e32 v24, v13, v2
	v_and_b32_e32 v2, 0xffff0000, v3
	v_fmac_f32_e32 v24, v10, v2
	global_load_dword v2, v[18:19], off offset:512
	s_waitcnt vmcnt(0)
	v_lshlrev_b32_e32 v3, 16, v2
	v_fmac_f32_e32 v23, v1, v3
	v_and_b32_e32 v1, 0xffff0000, v2
	v_fmac_f32_e32 v24, v14, v1
	global_load_dword v1, v[18:19], off offset:768
	s_waitcnt vmcnt(0)
	v_lshlrev_b32_e32 v2, 16, v1
	v_fmac_f32_e32 v23, v0, v2
	v_and_b32_e32 v0, 0xffff0000, v1
	v_fmac_f32_e32 v24, v11, v0
	global_load_dword v0, v[18:19], off offset:1024
	s_waitcnt vmcnt(0)
	v_lshlrev_b32_e32 v1, 16, v0
	v_and_b32_e32 v0, 0xffff0000, v0
	v_fmac_f32_e32 v24, v48, v0
	global_load_dword v0, v[18:19], off offset:1280
	v_fmac_f32_e32 v23, v43, v1
	s_waitcnt vmcnt(0)
	v_lshlrev_b32_e32 v1, 16, v0
	v_and_b32_e32 v0, 0xffff0000, v0
	v_fmac_f32_e32 v24, v44, v0
	global_load_dword v0, v[18:19], off offset:1536
	v_fmac_f32_e32 v23, v46, v1
	s_waitcnt vmcnt(0)
	v_lshlrev_b32_e32 v1, 16, v0
	v_and_b32_e32 v0, 0xffff0000, v0
	v_fmac_f32_e32 v24, v12, v0
	global_load_dword v0, v[18:19], off offset:1792
	v_fmac_f32_e32 v23, v62, v1
	s_waitcnt vmcnt(0)
	v_lshlrev_b32_e32 v1, 16, v0
	v_and_b32_e32 v0, 0xffff0000, v0
	v_fmac_f32_e32 v24, v16, v0
	global_load_dword v0, v[18:19], off offset:2048
	v_fmac_f32_e32 v23, v59, v1
	s_waitcnt vmcnt(0)
	v_lshlrev_b32_e32 v1, 16, v0
	v_and_b32_e32 v0, 0xffff0000, v0
	v_fmac_f32_e32 v24, v36, v0
	global_load_dword v0, v[18:19], off offset:2304
	v_fmac_f32_e32 v23, v63, v1
	s_waitcnt vmcnt(0)
	v_lshlrev_b32_e32 v1, 16, v0
	v_fmac_f32_e32 v23, v60, v1
	global_load_dword v1, v[18:19], off offset:2560
	global_load_dword v2, v[18:19], off offset:2816
	;; [unrolled: 1-line block ×5, first 2 shown]
	v_and_b32_e32 v0, 0xffff0000, v0
	v_fmac_f32_e32 v24, v61, v0
	global_load_dword v12, v[18:19], off offset:3840
	s_waitcnt vmcnt(5)
	v_lshlrev_b32_e32 v0, 16, v1
	v_fmac_f32_e32 v23, v57, v0
	v_and_b32_e32 v0, 0xffff0000, v1
	v_fmac_f32_e32 v24, v58, v0
	s_waitcnt vmcnt(4)
	v_lshlrev_b32_e32 v13, 16, v2
	v_and_b32_e32 v2, 0xffff0000, v2
	v_fmac_f32_e32 v23, v54, v13
	v_fmac_f32_e32 v24, v55, v2
	s_waitcnt vmcnt(3)
	v_lshlrev_b32_e32 v2, 16, v3
	v_fmac_f32_e32 v23, v52, v2
	v_and_b32_e32 v2, 0xffff0000, v3
	v_add_co_u32_e64 v0, s[4:5], s44, v18
	v_fmac_f32_e32 v24, v56, v2
	s_waitcnt vmcnt(2)
	v_lshlrev_b32_e32 v2, 16, v10
	v_addc_co_u32_e64 v1, s[4:5], 0, v19, s[4:5]
	v_fmac_f32_e32 v23, v50, v2
	v_and_b32_e32 v2, 0xffff0000, v10
	global_load_dword v13, v[0:1], off
	global_load_dword v62, v[0:1], off offset:256
	v_fmac_f32_e32 v24, v53, v2
	s_waitcnt vmcnt(3)
	v_lshlrev_b32_e32 v2, 16, v11
	global_load_dword v61, v[0:1], off offset:512
	v_fmac_f32_e32 v23, v49, v2
	v_and_b32_e32 v2, 0xffff0000, v11
	global_load_dword v63, v[0:1], off offset:768
	global_load_dword v60, v[0:1], off offset:1024
	;; [unrolled: 1-line block ×8, first 2 shown]
	v_fmac_f32_e32 v24, v51, v2
	global_load_dword v53, v[0:1], off offset:2816
	global_load_dword v52, v[0:1], off offset:3072
	global_load_dword v51, v[0:1], off offset:3328
	global_load_dword v50, v[0:1], off offset:3584
	global_load_dword v49, v[0:1], off offset:3840
	buffer_load_dword v11, off, s[48:51], 0 offset:12 ; 4-byte Folded Reload
	s_waitcnt vmcnt(17)
	v_lshlrev_b32_e32 v2, 16, v12
	v_and_b32_e32 v0, 0xffff0000, v12
	v_fmac_f32_e32 v23, v4, v2
	v_fmac_f32_e32 v24, v8, v0
	s_waitcnt vmcnt(16)
	v_lshlrev_b32_e32 v0, 16, v13
	v_fmac_f32_e32 v23, v7, v0
	s_waitcnt vmcnt(15)
	v_lshlrev_b32_e32 v0, 16, v62
	;; [unrolled: 3-line block ×3, first 2 shown]
	v_and_b32_e32 v1, 0xffff0000, v13
	v_fmac_f32_e32 v24, v9, v1
	s_waitcnt vmcnt(13)
	v_lshlrev_b32_e32 v9, 16, v63
	v_and_b32_e32 v7, 0xffff0000, v62
	v_and_b32_e32 v8, 0xffff0000, v61
	v_fmac_f32_e32 v24, v31, v7
	v_and_b32_e32 v10, 0xffff0000, v63
	v_fmac_f32_e32 v24, v28, v8
	s_waitcnt vmcnt(12)
	v_lshlrev_b32_e32 v7, 16, v60
	ds_read_b128 v[1:4], v37 offset:112
	s_waitcnt vmcnt(0)
	v_fmac_f32_e32 v23, v11, v0
	buffer_load_dword v0, off, s[48:51], 0 offset:4 ; 4-byte Folded Reload
	v_and_b32_e32 v8, 0xffff0000, v53
	s_waitcnt vmcnt(0)
	v_fmac_f32_e32 v23, v0, v9
	buffer_load_dword v0, off, s[48:51], 0 offset:8 ; 4-byte Folded Reload
	v_fmac_f32_e32 v23, v47, v7
	v_lshlrev_b32_e32 v7, 16, v53
	v_and_b32_e32 v9, 0xffff0000, v52
	s_waitcnt vmcnt(0)
	v_fmac_f32_e32 v24, v0, v10
	v_and_b32_e32 v0, 0xffff0000, v60
	v_fmac_f32_e32 v24, v29, v0
	v_lshlrev_b32_e32 v0, 16, v59
	v_fmac_f32_e32 v23, v45, v0
	v_and_b32_e32 v0, 0xffff0000, v59
	v_fmac_f32_e32 v24, v25, v0
	v_lshlrev_b32_e32 v0, 16, v58
	;; [unrolled: 4-line block ×6, first 2 shown]
	v_fmac_f32_e32 v23, v0, v33
	v_and_b32_e32 v0, 0xffff0000, v54
	v_fmac_f32_e32 v24, v0, v32
	buffer_load_dword v11, off, s[48:51], 0 offset:40 ; 4-byte Folded Reload
	buffer_load_dword v0, off, s[48:51], 0 offset:44 ; 4-byte Folded Reload
	;; [unrolled: 1-line block ×3, first 2 shown]
	v_fmac_f32_e32 v23, v7, v20
	v_fmac_f32_e32 v24, v8, v21
	s_waitcnt lgkmcnt(0)
	v_lshlrev_b32_e32 v7, 16, v1
	v_and_b32_e32 v1, 0xffff0000, v1
	v_lshlrev_b32_e32 v8, 16, v52
	v_fmac_f32_e32 v23, v8, v7
	v_fmac_f32_e32 v24, v9, v1
	v_lshlrev_b32_e32 v1, 16, v2
	v_and_b32_e32 v2, 0xffff0000, v2
	v_lshlrev_b32_e32 v7, 16, v51
	v_and_b32_e32 v8, 0xffff0000, v51
	v_fmac_f32_e32 v23, v7, v1
	v_fmac_f32_e32 v24, v8, v2
	v_lshlrev_b32_e32 v1, 16, v3
	v_and_b32_e32 v2, 0xffff0000, v3
	v_lshlrev_b32_e32 v3, 16, v50
	v_and_b32_e32 v7, 0xffff0000, v50
	v_fmac_f32_e32 v23, v3, v1
	v_fmac_f32_e32 v24, v7, v2
	v_lshlrev_b32_e32 v1, 16, v4
	v_and_b32_e32 v2, 0xffff0000, v4
	v_and_b32_e32 v4, 0xffff0000, v49
	v_fmac_f32_e32 v24, v4, v2
	buffer_load_dword v2, off, s[48:51], 0 offset:48 ; 4-byte Folded Reload
	v_lshlrev_b32_e32 v3, 16, v49
	v_fmac_f32_e32 v23, v3, v1
	v_add_f32_e32 v1, v23, v24
	s_waitcnt vmcnt(2)
	v_cmp_lt_i32_e64 s[4:5], v0, v11
	s_waitcnt vmcnt(1)
	v_cndmask_b32_e64 v0, v10, v0, s[4:5]
	v_lshlrev_b32_e32 v0, 2, v0
	ds_bpermute_b32 v0, v0, v1
	s_waitcnt lgkmcnt(0)
	v_add_f32_e32 v0, v1, v0
	s_waitcnt vmcnt(0)
	v_cmp_lt_i32_e64 s[4:5], v2, v11
	v_cndmask_b32_e64 v2, v10, v2, s[4:5]
	v_lshlrev_b32_e32 v2, 2, v2
	ds_bpermute_b32 v1, v2, v0
	s_and_saveexec_b64 s[38:39], vcc
	s_cbranch_execz .LBB134_11
; %bb.19:                               ;   in Loop: Header=BB134_13 Depth=1
	buffer_load_dword v2, off, s[48:51], 0 offset:56 ; 4-byte Folded Reload
	buffer_load_dword v3, off, s[48:51], 0 offset:52 ; 4-byte Folded Reload
	s_waitcnt lgkmcnt(0)
	v_add_f32_e32 v0, v0, v1
	s_waitcnt vmcnt(1)
	v_add_u32_e32 v2, v2, v15
	v_cvt_f32_i32_e32 v2, v2
	v_mul_f32_e32 v1, s42, v2
	buffer_load_dword v2, off, s[48:51], 0 offset:20 ; 4-byte Folded Reload
	s_waitcnt vmcnt(1)
	v_add_u32_e32 v3, v3, v15
	v_cndmask_b32_e64 v1, 0, v1, s[2:3]
	v_fmac_f32_e32 v1, s31, v0
	v_cmp_gt_i32_e64 s[4:5], s33, v3
	v_cndmask_b32_e64 v0, 0, v1, s[4:5]
	ds_write_b32 v17, v0
	s_waitcnt vmcnt(0)
	v_max_f32_e32 v0, v2, v2
	v_max_f32_e32 v0, v0, v1
	v_cndmask_b32_e64 v2, v2, v0, s[4:5]
	buffer_store_dword v2, off, s[48:51], 0 offset:20 ; 4-byte Folded Spill
	s_branch .LBB134_11
.LBB134_20:
	s_or_b64 exec, exec, s[36:37]
	buffer_load_dword v15, off, s[48:51], 0 offset:64 ; 4-byte Folded Reload
	buffer_load_dword v4, off, s[48:51], 0 offset:20 ; 4-byte Folded Reload
	v_mbcnt_lo_u32_b32 v5, -1, 0
.LBB134_21:
	s_or_b64 exec, exec, s[34:35]
	v_mbcnt_hi_u32_b32 v0, -1, v5
	v_and_b32_e32 v8, 64, v0
	s_waitcnt lgkmcnt(0)
	v_add_u32_e32 v1, 64, v8
	v_xor_b32_e32 v2, 32, v0
	v_cmp_lt_i32_e32 vcc, v2, v1
	v_cndmask_b32_e32 v2, v0, v2, vcc
	v_lshlrev_b32_e32 v2, 2, v2
	s_waitcnt vmcnt(0)
	ds_bpermute_b32 v3, v2, v4
	v_xor_b32_e32 v5, 16, v0
	v_max_f32_e32 v4, v4, v4
	v_cmp_lt_i32_e32 vcc, v5, v1
	v_xor_b32_e32 v6, 8, v0
	s_waitcnt lgkmcnt(0)
	v_max_f32_e32 v3, v3, v3
	v_max_f32_e32 v4, v4, v3
	v_cndmask_b32_e32 v3, v0, v5, vcc
	v_lshlrev_b32_e32 v3, 2, v3
	ds_bpermute_b32 v5, v3, v4
	v_cmp_lt_i32_e32 vcc, v6, v1
	v_xor_b32_e32 v7, 4, v0
	s_waitcnt lgkmcnt(0)
	v_max_f32_e32 v5, v5, v5
	v_max_f32_e32 v4, v4, v5
	v_cndmask_b32_e32 v5, v0, v6, vcc
	v_lshlrev_b32_e32 v6, 2, v5
	ds_bpermute_b32 v5, v6, v4
	v_cmp_lt_i32_e32 vcc, v7, v1
	s_waitcnt lgkmcnt(0)
	v_max_f32_e32 v5, v5, v5
	v_max_f32_e32 v5, v4, v5
	v_cndmask_b32_e32 v4, v0, v7, vcc
	v_lshlrev_b32_e32 v7, 2, v4
	buffer_load_dword v4, off, s[48:51], 0 offset:16 ; 4-byte Folded Reload
	ds_bpermute_b32 v9, v7, v5
	s_waitcnt vmcnt(0)
	v_and_b32_e32 v13, 63, v4
	buffer_load_dword v4, off, s[48:51], 0  ; 4-byte Folded Reload
	v_cmp_eq_u32_e32 vcc, 0, v13
	s_waitcnt vmcnt(0)
	v_lshlrev_b32_e32 v4, 2, v4
	s_and_saveexec_b64 s[2:3], vcc
	s_cbranch_execz .LBB134_23
; %bb.22:
	s_waitcnt lgkmcnt(0)
	v_max_f32_e32 v9, v9, v9
	v_max_f32_e32 v5, v5, v5
	;; [unrolled: 1-line block ×3, first 2 shown]
	ds_write_b32 v4, v5 offset:512
.LBB134_23:
	s_or_b64 exec, exec, s[2:3]
	v_cmp_gt_u32_e64 s[2:3], 2, v13
	s_waitcnt lgkmcnt(0)
	v_mov_b32_e32 v9, 0xff7fffff
	v_lshlrev_b32_e32 v5, 2, v13
	s_barrier
	s_and_saveexec_b64 s[4:5], s[2:3]
; %bb.24:
	ds_read_b32 v9, v5 offset:512
; %bb.25:
	s_or_b64 exec, exec, s[4:5]
	v_xor_b32_e32 v10, 1, v0
	v_cmp_lt_i32_e64 s[4:5], v10, v1
	v_cndmask_b32_e64 v10, v0, v10, s[4:5]
	v_lshlrev_b32_e32 v14, 2, v10
	s_waitcnt lgkmcnt(0)
	ds_bpermute_b32 v10, v14, v9
	v_max_f32_e32 v9, v9, v9
	v_lshlrev_b32_e32 v8, 2, v8
	s_lshl_b32 s4, s16, 4
	s_min_i32 s15, s4, s33
	s_waitcnt lgkmcnt(0)
	v_max_f32_e32 v10, v10, v10
	v_max_f32_e32 v9, v9, v10
	ds_bpermute_b32 v9, v8, v9
	buffer_load_dword v8, off, s[48:51], 0 offset:16 ; 4-byte Folded Reload
	s_waitcnt vmcnt(0)
	v_cmp_gt_i32_e64 s[4:5], s15, v8
	v_mov_b32_e32 v8, 0
	s_and_saveexec_b64 s[30:31], s[4:5]
	s_cbranch_execz .LBB134_29
; %bb.26:
	buffer_load_dword v11, off, s[48:51], 0 offset:16 ; 4-byte Folded Reload
	v_mov_b32_e32 v8, 0x210
	s_mov_b64 s[34:35], 0
	s_waitcnt vmcnt(0)
	v_lshl_add_u32 v10, v11, 2, v8
	v_mov_b32_e32 v8, 0
.LBB134_27:                             ; =>This Inner Loop Header: Depth=1
	ds_read_b32 v12, v10
	v_add_u32_e32 v11, 0x80, v11
	v_cmp_le_i32_e64 s[6:7], s15, v11
	s_or_b64 s[34:35], s[6:7], s[34:35]
	s_waitcnt lgkmcnt(0)
	v_sub_f32_e32 v12, v12, v9
	v_mul_f32_e32 v12, 0x3fb8aa3b, v12
	v_exp_f32_e32 v12, v12
	ds_write_b32 v10, v12
	v_add_f32_e32 v8, v8, v12
	v_add_u32_e32 v10, 0x200, v10
	s_andn2_b64 exec, exec, s[34:35]
	s_cbranch_execnz .LBB134_27
; %bb.28:
	s_or_b64 exec, exec, s[34:35]
.LBB134_29:
	s_or_b64 exec, exec, s[30:31]
	ds_bpermute_b32 v2, v2, v8
	s_waitcnt lgkmcnt(0)
	v_add_f32_e32 v2, v8, v2
	ds_bpermute_b32 v3, v3, v2
	s_waitcnt lgkmcnt(0)
	v_add_f32_e32 v2, v2, v3
	ds_bpermute_b32 v3, v6, v2
	v_xor_b32_e32 v6, 2, v0
	v_cmp_lt_i32_e64 s[6:7], v6, v1
	v_cndmask_b32_e64 v1, v0, v6, s[6:7]
	v_lshlrev_b32_e32 v1, 2, v1
	s_waitcnt lgkmcnt(0)
	v_add_f32_e32 v2, v2, v3
	ds_bpermute_b32 v3, v7, v2
	s_waitcnt lgkmcnt(0)
	v_add_f32_e32 v2, v2, v3
	ds_bpermute_b32 v1, v1, v2
	;; [unrolled: 3-line block ×3, first 2 shown]
	s_waitcnt lgkmcnt(0)
	v_add_f32_e32 v1, v1, v2
	s_and_saveexec_b64 s[6:7], vcc
; %bb.30:
	ds_write_b32 v4, v1 offset:520
; %bb.31:
	s_or_b64 exec, exec, s[6:7]
	s_waitcnt lgkmcnt(0)
	s_barrier
	s_and_saveexec_b64 s[6:7], s[2:3]
; %bb.32:
	ds_read_b32 v1, v5 offset:520
; %bb.33:
	s_or_b64 exec, exec, s[6:7]
	s_waitcnt lgkmcnt(0)
	ds_bpermute_b32 v2, v14, v1
	v_lshlrev_b32_e32 v0, 2, v0
	v_and_b32_e32 v0, 0x100, v0
	s_waitcnt lgkmcnt(0)
	v_add_f32_e32 v1, v1, v2
	ds_bpermute_b32 v0, v0, v1
	s_and_saveexec_b64 s[2:3], s[4:5]
	s_cbranch_execz .LBB134_36
; %bb.34:
	s_waitcnt lgkmcnt(0)
	v_add_f32_e32 v1, 0x358637bd, v0
	v_div_scale_f32 v0, s[4:5], v1, v1, 1.0
	v_div_scale_f32 v2, vcc, 1.0, v1, 1.0
	s_mov_b64 s[4:5], 0
	v_rcp_f32_e32 v3, v0
	v_fma_f32 v4, -v0, v3, 1.0
	v_fmac_f32_e32 v3, v4, v3
	v_mul_f32_e32 v4, v2, v3
	v_fma_f32 v5, -v0, v4, v2
	v_fmac_f32_e32 v4, v5, v3
	v_fma_f32 v0, -v0, v4, v2
	v_div_fmas_f32 v2, v0, v3, v4
	buffer_load_dword v3, off, s[48:51], 0 offset:16 ; 4-byte Folded Reload
	v_mov_b32_e32 v0, 0x210
	v_div_fixup_f32 v1, v2, v1, 1.0
	s_waitcnt vmcnt(0)
	v_lshl_add_u32 v0, v3, 2, v0
	v_mov_b32_e32 v2, v3
.LBB134_35:                             ; =>This Inner Loop Header: Depth=1
	ds_read_b32 v3, v0
	v_add_u32_e32 v2, 0x80, v2
	v_cmp_le_i32_e32 vcc, s15, v2
	s_or_b64 s[4:5], vcc, s[4:5]
	s_waitcnt lgkmcnt(0)
	v_mul_f32_e32 v3, v1, v3
	ds_write_b32 v0, v3
	v_add_u32_e32 v0, 0x200, v0
	s_andn2_b64 exec, exec, s[4:5]
	s_cbranch_execnz .LBB134_35
.LBB134_36:
	s_or_b64 exec, exec, s[2:3]
	s_waitcnt lgkmcnt(0)
	s_barrier
	buffer_load_dword v0, off, s[48:51], 0 offset:16 ; 4-byte Folded Reload
	v_mov_b32_e32 v54, 0
	v_mov_b32_e32 v55, 0
	;; [unrolled: 1-line block ×8, first 2 shown]
	s_waitcnt vmcnt(0)
	v_and_b32_e32 v10, 1, v0
	s_and_saveexec_b64 s[4:5], s[0:1]
	s_cbranch_execz .LBB134_58
; %bb.37:
	buffer_store_dword v14, off, s[48:51], 0 offset:24 ; 4-byte Folded Spill
	buffer_store_dword v13, off, s[48:51], 0 offset:20 ; 4-byte Folded Spill
	buffer_load_dword v2, off, s[48:51], 0 offset:16 ; 4-byte Folded Reload
	s_ashr_i32 s15, s14, 31
	s_sub_i32 s17, s12, s17
	s_lshl_b64 s[0:1], s[14:15], 1
	s_add_u32 s0, s28, s0
	s_addc_u32 s1, s29, s1
	s_abs_i32 s18, s18
	v_cvt_f32_u32_e32 v0, s18
	s_sub_i32 s2, 0, s18
	s_add_i32 s29, s16, -1
	v_mov_b32_e32 v3, s1
	v_rcp_iflag_f32_e32 v0, v0
	s_mov_b32 s28, s13
	v_mov_b32_e32 v56, 0
	s_mov_b32 s30, s33
	v_mul_f32_e32 v0, 0x4f7ffffe, v0
	v_cvt_u32_f32_e32 v0, v0
	s_mov_b64 s[6:7], 0
	v_mov_b32_e32 v46, 0
	v_mov_b32_e32 v49, 0
	;; [unrolled: 1-line block ×8, first 2 shown]
	buffer_store_dword v10, off, s[48:51], 0 offset:28 ; 4-byte Folded Spill
	s_waitcnt vmcnt(1)
	v_lshlrev_b32_e32 v1, 3, v2
	v_and_b32_e32 v1, 8, v1
	buffer_store_dword v1, off, s[48:51], 0 offset:4 ; 4-byte Folded Spill
	v_mul_lo_u32 v1, s2, v0
	v_lshlrev_b32_e32 v2, 4, v2
	v_and_b32_e32 v2, 0x3f0, v2
	v_add_co_u32_e32 v2, vcc, s0, v2
	v_mul_hi_u32 v1, v0, v1
	s_lshl_b64 s[0:1], s[26:27], 2
	s_add_u32 s0, s24, s0
	buffer_store_dword v2, off, s[48:51], 0 offset:8 ; 4-byte Folded Spill
	v_addc_co_u32_e32 v2, vcc, 0, v3, vcc
	v_add_u32_e32 v60, v0, v1
	v_and_b32_e32 v0, 60, v15
	s_addc_u32 s1, s25, s1
	v_mov_b32_e32 v1, s1
	v_add_co_u32_e32 v41, vcc, s0, v0
	v_addc_co_u32_e32 v42, vcc, 0, v1, vcc
	buffer_load_dword v1, off, s[48:51], 0  ; 4-byte Folded Reload
	buffer_load_dword v3, off, s[48:51], 0 offset:60 ; 4-byte Folded Reload
	v_lshlrev_b32_e32 v0, 5, v10
	s_mov_b32 s24, 0x5040100
	s_movk_i32 s25, 0x7fff
	buffer_store_dword v2, off, s[48:51], 0 offset:12 ; 4-byte Folded Spill
	s_waitcnt vmcnt(2)
	v_lshl_or_b32 v0, v1, 6, v0
	v_add_u32_e32 v61, 0x210, v0
	s_branch .LBB134_40
.LBB134_38:                             ;   in Loop: Header=BB134_40 Depth=1
	s_or_b64 exec, exec, s[2:3]
	s_waitcnt lgkmcnt(1)
	v_bfe_u32 v0, v33, 16, 1
	v_add3_u32 v0, v0, v33, s25
	v_or_b32_e32 v44, 0x400000, v33
	v_cmp_u_f32_e32 vcc, v33, v33
	v_cndmask_b32_e32 v33, v0, v44, vcc
	v_bfe_u32 v0, v34, 16, 1
	v_add3_u32 v0, v0, v34, s25
	v_or_b32_e32 v44, 0x400000, v34
	v_cmp_u_f32_e32 vcc, v34, v34
	v_bfe_u32 v34, v35, 16, 1
	v_cndmask_b32_e32 v0, v0, v44, vcc
	v_add3_u32 v34, v34, v35, s25
	v_or_b32_e32 v44, 0x400000, v35
	v_cmp_u_f32_e32 vcc, v35, v35
	v_bfe_u32 v35, v36, 16, 1
	v_cndmask_b32_e32 v34, v34, v44, vcc
	v_add3_u32 v35, v35, v36, s25
	v_or_b32_e32 v44, 0x400000, v36
	v_cmp_u_f32_e32 vcc, v36, v36
	s_waitcnt lgkmcnt(0)
	v_bfe_u32 v36, v25, 16, 1
	v_cndmask_b32_e32 v35, v35, v44, vcc
	v_add3_u32 v36, v36, v25, s25
	v_or_b32_e32 v44, 0x400000, v25
	v_cmp_u_f32_e32 vcc, v25, v25
	v_bfe_u32 v25, v26, 16, 1
	v_cndmask_b32_e32 v36, v36, v44, vcc
	v_add3_u32 v25, v25, v26, s25
	v_or_b32_e32 v44, 0x400000, v26
	v_cmp_u_f32_e32 vcc, v26, v26
	v_cndmask_b32_e32 v44, v25, v44, vcc
	v_bfe_u32 v25, v27, 16, 1
	v_add3_u32 v25, v25, v27, s25
	v_or_b32_e32 v26, 0x400000, v27
	v_cmp_u_f32_e32 vcc, v27, v27
	v_cndmask_b32_e32 v47, v25, v26, vcc
	v_bfe_u32 v25, v28, 16, 1
	v_add3_u32 v25, v25, v28, s25
	v_or_b32_e32 v26, 0x400000, v28
	v_cmp_u_f32_e32 vcc, v28, v28
	v_cndmask_b32_e32 v48, v25, v26, vcc
	v_and_b32_e32 v25, 0xffff0000, v0
	s_waitcnt vmcnt(1)
	v_and_b32_e32 v0, 0xffff0000, v37
	v_mul_f32_e32 v0, v25, v0
	v_bfe_u32 v26, v0, 16, 1
	v_add3_u32 v26, v26, v0, s25
	v_or_b32_e32 v27, 0x400000, v0
	v_cmp_u_f32_e32 vcc, v0, v0
	v_cndmask_b32_e32 v0, v26, v27, vcc
	v_and_b32_e32 v27, 0xffff0000, v33
	v_lshlrev_b32_e32 v26, 16, v37
	v_mul_f32_e32 v26, v27, v26
	v_bfe_u32 v28, v26, 16, 1
	v_add3_u32 v28, v28, v26, s25
	v_or_b32_e32 v33, 0x400000, v26
	v_cmp_u_f32_e32 vcc, v26, v26
	v_cndmask_b32_e32 v37, v28, v33, vcc
	v_and_b32_e32 v26, 0xffff0000, v35
	v_and_b32_e32 v28, 0xffff0000, v38
	v_mul_f32_e32 v28, v26, v28
	v_bfe_u32 v33, v28, 16, 1
	v_add3_u32 v33, v33, v28, s25
	v_or_b32_e32 v35, 0x400000, v28
	v_cmp_u_f32_e32 vcc, v28, v28
	v_cndmask_b32_e32 v45, v33, v35, vcc
	v_and_b32_e32 v33, 0xffff0000, v34
	v_lshlrev_b32_e32 v28, 16, v38
	v_mul_f32_e32 v28, v33, v28
	v_bfe_u32 v34, v28, 16, 1
	v_add3_u32 v34, v34, v28, s25
	v_or_b32_e32 v35, 0x400000, v28
	v_cmp_u_f32_e32 vcc, v28, v28
	v_cndmask_b32_e32 v38, v34, v35, vcc
	v_and_b32_e32 v28, 0xffff0000, v44
	;; [unrolled: 16-line block ×3, first 2 shown]
	v_and_b32_e32 v36, 0xffff0000, v40
	v_mul_f32_e32 v36, v34, v36
	v_bfe_u32 v48, v36, 16, 1
	v_add3_u32 v48, v48, v36, s25
	v_or_b32_e32 v57, 0x400000, v36
	v_cmp_u_f32_e32 vcc, v36, v36
	v_and_b32_e32 v36, 0xffff0000, v47
	v_lshlrev_b32_e32 v40, 16, v40
	v_and_b32_e32 v37, 0xffff0000, v37
	v_and_b32_e32 v0, 0xffff0000, v0
	v_mul_f32_e32 v40, v36, v40
	v_add_f32_e32 v0, v37, v0
	v_and_b32_e32 v37, 0xffff0000, v38
	v_and_b32_e32 v38, 0xffff0000, v45
	v_bfe_u32 v47, v40, 16, 1
	v_add_f32_e32 v37, v37, v38
	v_cndmask_b32_e32 v48, v48, v57, vcc
	v_add3_u32 v47, v47, v40, s25
	v_or_b32_e32 v57, 0x400000, v40
	v_cmp_u_f32_e32 vcc, v40, v40
	v_add_f32_e32 v0, v37, v0
	v_and_b32_e32 v37, 0xffff0000, v39
	v_and_b32_e32 v38, 0xffff0000, v44
	v_cndmask_b32_e32 v40, v47, v57, vcc
	v_add_f32_e32 v37, v37, v38
	v_add_f32_e32 v0, v37, v0
	v_and_b32_e32 v37, 0xffff0000, v40
	v_and_b32_e32 v38, 0xffff0000, v48
	v_add_f32_e32 v37, v37, v38
	v_add_f32_e32 v0, v37, v0
	;; [unrolled: 1-line block ×3, first 2 shown]
	v_and_b32_e32 v0, 0xffff0000, v29
	v_mul_f32_e32 v0, v25, v0
	v_bfe_u32 v37, v0, 16, 1
	v_lshlrev_b32_e32 v29, 16, v29
	v_add3_u32 v37, v37, v0, s25
	v_or_b32_e32 v38, 0x400000, v0
	v_cmp_u_f32_e32 vcc, v0, v0
	v_mul_f32_e32 v29, v27, v29
	v_cndmask_b32_e32 v0, v37, v38, vcc
	v_bfe_u32 v37, v29, 16, 1
	v_add3_u32 v37, v37, v29, s25
	v_or_b32_e32 v38, 0x400000, v29
	v_cmp_u_f32_e32 vcc, v29, v29
	v_cndmask_b32_e32 v29, v37, v38, vcc
	v_and_b32_e32 v37, 0xffff0000, v30
	v_mul_f32_e32 v37, v26, v37
	v_bfe_u32 v38, v37, 16, 1
	v_lshlrev_b32_e32 v30, 16, v30
	v_add3_u32 v38, v38, v37, s25
	v_or_b32_e32 v39, 0x400000, v37
	v_cmp_u_f32_e32 vcc, v37, v37
	v_mul_f32_e32 v30, v33, v30
	v_cndmask_b32_e32 v37, v38, v39, vcc
	v_bfe_u32 v38, v30, 16, 1
	v_add3_u32 v38, v38, v30, s25
	v_or_b32_e32 v39, 0x400000, v30
	v_cmp_u_f32_e32 vcc, v30, v30
	v_cndmask_b32_e32 v30, v38, v39, vcc
	;; [unrolled: 14-line block ×3, first 2 shown]
	v_and_b32_e32 v39, 0xffff0000, v32
	v_mul_f32_e32 v39, v34, v39
	v_bfe_u32 v40, v39, 16, 1
	v_lshlrev_b32_e32 v32, 16, v32
	v_and_b32_e32 v29, 0xffff0000, v29
	v_and_b32_e32 v0, 0xffff0000, v0
	v_add3_u32 v40, v40, v39, s25
	v_or_b32_e32 v44, 0x400000, v39
	v_cmp_u_f32_e32 vcc, v39, v39
	v_mul_f32_e32 v32, v36, v32
	v_add_f32_e32 v0, v29, v0
	v_and_b32_e32 v29, 0xffff0000, v30
	v_and_b32_e32 v30, 0xffff0000, v37
	v_cndmask_b32_e32 v39, v40, v44, vcc
	v_bfe_u32 v40, v32, 16, 1
	v_add_f32_e32 v29, v29, v30
	v_add3_u32 v40, v40, v32, s25
	v_or_b32_e32 v44, 0x400000, v32
	v_cmp_u_f32_e32 vcc, v32, v32
	v_add_f32_e32 v0, v29, v0
	v_and_b32_e32 v29, 0xffff0000, v31
	v_and_b32_e32 v30, 0xffff0000, v38
	v_cndmask_b32_e32 v32, v40, v44, vcc
	v_add_f32_e32 v29, v29, v30
	v_add_f32_e32 v0, v29, v0
	v_and_b32_e32 v29, 0xffff0000, v32
	v_and_b32_e32 v30, 0xffff0000, v39
	v_add_f32_e32 v29, v29, v30
	v_add_f32_e32 v0, v29, v0
	;; [unrolled: 1-line block ×3, first 2 shown]
	v_and_b32_e32 v0, 0xffff0000, v21
	v_mul_f32_e32 v0, v25, v0
	v_bfe_u32 v29, v0, 16, 1
	v_lshlrev_b32_e32 v21, 16, v21
	v_add3_u32 v29, v29, v0, s25
	v_or_b32_e32 v30, 0x400000, v0
	v_cmp_u_f32_e32 vcc, v0, v0
	v_mul_f32_e32 v21, v27, v21
	v_cndmask_b32_e32 v0, v29, v30, vcc
	v_bfe_u32 v29, v21, 16, 1
	v_add3_u32 v29, v29, v21, s25
	v_or_b32_e32 v30, 0x400000, v21
	v_cmp_u_f32_e32 vcc, v21, v21
	v_cndmask_b32_e32 v21, v29, v30, vcc
	v_and_b32_e32 v29, 0xffff0000, v22
	v_mul_f32_e32 v29, v26, v29
	v_bfe_u32 v30, v29, 16, 1
	v_lshlrev_b32_e32 v22, 16, v22
	v_add3_u32 v30, v30, v29, s25
	v_or_b32_e32 v31, 0x400000, v29
	v_cmp_u_f32_e32 vcc, v29, v29
	v_mul_f32_e32 v22, v33, v22
	v_cndmask_b32_e32 v29, v30, v31, vcc
	v_bfe_u32 v30, v22, 16, 1
	v_add3_u32 v30, v30, v22, s25
	v_or_b32_e32 v31, 0x400000, v22
	v_cmp_u_f32_e32 vcc, v22, v22
	v_cndmask_b32_e32 v22, v30, v31, vcc
	;; [unrolled: 14-line block ×3, first 2 shown]
	v_and_b32_e32 v31, 0xffff0000, v24
	v_mul_f32_e32 v31, v34, v31
	v_bfe_u32 v32, v31, 16, 1
	v_lshlrev_b32_e32 v24, 16, v24
	v_and_b32_e32 v21, 0xffff0000, v21
	v_and_b32_e32 v0, 0xffff0000, v0
	v_add3_u32 v32, v32, v31, s25
	v_or_b32_e32 v37, 0x400000, v31
	v_cmp_u_f32_e32 vcc, v31, v31
	v_mul_f32_e32 v24, v36, v24
	v_add_f32_e32 v0, v21, v0
	v_and_b32_e32 v21, 0xffff0000, v22
	v_and_b32_e32 v22, 0xffff0000, v29
	v_cndmask_b32_e32 v31, v32, v37, vcc
	v_bfe_u32 v32, v24, 16, 1
	v_add_f32_e32 v21, v21, v22
	v_add3_u32 v32, v32, v24, s25
	v_or_b32_e32 v37, 0x400000, v24
	v_cmp_u_f32_e32 vcc, v24, v24
	v_add_f32_e32 v0, v21, v0
	v_and_b32_e32 v21, 0xffff0000, v23
	v_and_b32_e32 v22, 0xffff0000, v30
	v_cndmask_b32_e32 v24, v32, v37, vcc
	v_add_f32_e32 v21, v21, v22
	v_add_f32_e32 v0, v21, v0
	v_and_b32_e32 v21, 0xffff0000, v24
	v_and_b32_e32 v22, 0xffff0000, v31
	v_add_f32_e32 v21, v21, v22
	v_add_f32_e32 v0, v21, v0
	;; [unrolled: 1-line block ×3, first 2 shown]
	v_and_b32_e32 v0, 0xffff0000, v17
	v_mul_f32_e32 v0, v25, v0
	v_bfe_u32 v21, v0, 16, 1
	v_lshlrev_b32_e32 v17, 16, v17
	v_add3_u32 v21, v21, v0, s25
	v_or_b32_e32 v22, 0x400000, v0
	v_cmp_u_f32_e32 vcc, v0, v0
	v_mul_f32_e32 v17, v27, v17
	v_cndmask_b32_e32 v0, v21, v22, vcc
	v_bfe_u32 v21, v17, 16, 1
	v_add3_u32 v21, v21, v17, s25
	v_or_b32_e32 v22, 0x400000, v17
	v_cmp_u_f32_e32 vcc, v17, v17
	v_cndmask_b32_e32 v17, v21, v22, vcc
	v_and_b32_e32 v21, 0xffff0000, v18
	v_mul_f32_e32 v21, v26, v21
	v_bfe_u32 v22, v21, 16, 1
	v_lshlrev_b32_e32 v18, 16, v18
	v_add3_u32 v22, v22, v21, s25
	v_or_b32_e32 v23, 0x400000, v21
	v_cmp_u_f32_e32 vcc, v21, v21
	v_mul_f32_e32 v18, v33, v18
	v_cndmask_b32_e32 v21, v22, v23, vcc
	v_bfe_u32 v22, v18, 16, 1
	v_add3_u32 v22, v22, v18, s25
	v_or_b32_e32 v23, 0x400000, v18
	v_cmp_u_f32_e32 vcc, v18, v18
	v_cndmask_b32_e32 v18, v22, v23, vcc
	v_and_b32_e32 v22, 0xffff0000, v19
	v_mul_f32_e32 v22, v28, v22
	v_bfe_u32 v23, v22, 16, 1
	v_lshlrev_b32_e32 v19, 16, v19
	v_add3_u32 v23, v23, v22, s25
	v_or_b32_e32 v24, 0x400000, v22
	v_cmp_u_f32_e32 vcc, v22, v22
	v_mul_f32_e32 v19, v35, v19
	v_cndmask_b32_e32 v22, v23, v24, vcc
	v_bfe_u32 v23, v19, 16, 1
	v_add3_u32 v23, v23, v19, s25
	v_or_b32_e32 v24, 0x400000, v19
	v_cmp_u_f32_e32 vcc, v19, v19
	v_cndmask_b32_e32 v19, v23, v24, vcc
	v_and_b32_e32 v23, 0xffff0000, v20
	v_mul_f32_e32 v23, v34, v23
	v_bfe_u32 v24, v23, 16, 1
	v_lshlrev_b32_e32 v20, 16, v20
	v_and_b32_e32 v17, 0xffff0000, v17
	v_and_b32_e32 v0, 0xffff0000, v0
	v_add3_u32 v24, v24, v23, s25
	v_or_b32_e32 v29, 0x400000, v23
	v_cmp_u_f32_e32 vcc, v23, v23
	v_mul_f32_e32 v20, v36, v20
	v_add_f32_e32 v0, v17, v0
	v_and_b32_e32 v17, 0xffff0000, v18
	v_and_b32_e32 v18, 0xffff0000, v21
	v_cndmask_b32_e32 v23, v24, v29, vcc
	v_bfe_u32 v24, v20, 16, 1
	v_add_f32_e32 v17, v17, v18
	v_add3_u32 v24, v24, v20, s25
	v_or_b32_e32 v29, 0x400000, v20
	v_cmp_u_f32_e32 vcc, v20, v20
	v_add_f32_e32 v0, v17, v0
	v_and_b32_e32 v17, 0xffff0000, v19
	v_and_b32_e32 v18, 0xffff0000, v22
	v_cndmask_b32_e32 v20, v24, v29, vcc
	v_add_f32_e32 v17, v17, v18
	v_add_f32_e32 v0, v17, v0
	v_and_b32_e32 v17, 0xffff0000, v20
	v_and_b32_e32 v18, 0xffff0000, v23
	v_add_f32_e32 v17, v17, v18
	v_add_f32_e32 v0, v17, v0
	;; [unrolled: 1-line block ×3, first 2 shown]
	v_and_b32_e32 v0, 0xffff0000, v9
	v_mul_f32_e32 v0, v25, v0
	v_bfe_u32 v17, v0, 16, 1
	v_lshlrev_b32_e32 v9, 16, v9
	v_add3_u32 v17, v17, v0, s25
	v_or_b32_e32 v18, 0x400000, v0
	v_cmp_u_f32_e32 vcc, v0, v0
	v_mul_f32_e32 v9, v27, v9
	v_cndmask_b32_e32 v0, v17, v18, vcc
	v_bfe_u32 v17, v9, 16, 1
	v_add3_u32 v17, v17, v9, s25
	v_or_b32_e32 v18, 0x400000, v9
	v_cmp_u_f32_e32 vcc, v9, v9
	v_cndmask_b32_e32 v9, v17, v18, vcc
	v_and_b32_e32 v17, 0xffff0000, v10
	v_mul_f32_e32 v17, v26, v17
	v_bfe_u32 v18, v17, 16, 1
	v_lshlrev_b32_e32 v10, 16, v10
	v_add3_u32 v18, v18, v17, s25
	v_or_b32_e32 v19, 0x400000, v17
	v_cmp_u_f32_e32 vcc, v17, v17
	v_mul_f32_e32 v10, v33, v10
	v_cndmask_b32_e32 v17, v18, v19, vcc
	v_bfe_u32 v18, v10, 16, 1
	v_add3_u32 v18, v18, v10, s25
	v_or_b32_e32 v19, 0x400000, v10
	v_cmp_u_f32_e32 vcc, v10, v10
	v_cndmask_b32_e32 v10, v18, v19, vcc
	;; [unrolled: 14-line block ×3, first 2 shown]
	v_and_b32_e32 v19, 0xffff0000, v12
	v_mul_f32_e32 v19, v34, v19
	v_bfe_u32 v20, v19, 16, 1
	v_lshlrev_b32_e32 v12, 16, v12
	v_and_b32_e32 v9, 0xffff0000, v9
	v_and_b32_e32 v0, 0xffff0000, v0
	v_add3_u32 v20, v20, v19, s25
	v_or_b32_e32 v21, 0x400000, v19
	v_cmp_u_f32_e32 vcc, v19, v19
	v_mul_f32_e32 v12, v36, v12
	v_add_f32_e32 v0, v9, v0
	v_and_b32_e32 v9, 0xffff0000, v10
	v_and_b32_e32 v10, 0xffff0000, v17
	v_cndmask_b32_e32 v19, v20, v21, vcc
	v_bfe_u32 v20, v12, 16, 1
	v_add_f32_e32 v9, v9, v10
	v_add3_u32 v20, v20, v12, s25
	v_or_b32_e32 v21, 0x400000, v12
	v_cmp_u_f32_e32 vcc, v12, v12
	v_add_f32_e32 v0, v9, v0
	v_and_b32_e32 v9, 0xffff0000, v11
	v_and_b32_e32 v10, 0xffff0000, v18
	v_cndmask_b32_e32 v12, v20, v21, vcc
	v_add_f32_e32 v9, v9, v10
	v_add_f32_e32 v0, v9, v0
	v_and_b32_e32 v9, 0xffff0000, v12
	v_and_b32_e32 v10, 0xffff0000, v19
	v_add_f32_e32 v9, v9, v10
	v_add_f32_e32 v0, v9, v0
	;; [unrolled: 1-line block ×3, first 2 shown]
	v_and_b32_e32 v0, 0xffff0000, v5
	v_mul_f32_e32 v0, v25, v0
	v_bfe_u32 v9, v0, 16, 1
	v_lshlrev_b32_e32 v5, 16, v5
	v_add3_u32 v9, v9, v0, s25
	v_or_b32_e32 v10, 0x400000, v0
	v_cmp_u_f32_e32 vcc, v0, v0
	v_mul_f32_e32 v5, v27, v5
	v_cndmask_b32_e32 v0, v9, v10, vcc
	v_bfe_u32 v9, v5, 16, 1
	v_add3_u32 v9, v9, v5, s25
	v_or_b32_e32 v10, 0x400000, v5
	v_cmp_u_f32_e32 vcc, v5, v5
	v_cndmask_b32_e32 v5, v9, v10, vcc
	v_and_b32_e32 v9, 0xffff0000, v6
	v_mul_f32_e32 v9, v26, v9
	v_bfe_u32 v10, v9, 16, 1
	v_lshlrev_b32_e32 v6, 16, v6
	v_add3_u32 v10, v10, v9, s25
	v_or_b32_e32 v11, 0x400000, v9
	v_cmp_u_f32_e32 vcc, v9, v9
	v_mul_f32_e32 v6, v33, v6
	v_cndmask_b32_e32 v9, v10, v11, vcc
	v_bfe_u32 v10, v6, 16, 1
	v_add3_u32 v10, v10, v6, s25
	v_or_b32_e32 v11, 0x400000, v6
	v_cmp_u_f32_e32 vcc, v6, v6
	v_cndmask_b32_e32 v6, v10, v11, vcc
	;; [unrolled: 14-line block ×3, first 2 shown]
	v_and_b32_e32 v11, 0xffff0000, v8
	v_mul_f32_e32 v11, v34, v11
	v_bfe_u32 v12, v11, 16, 1
	v_lshlrev_b32_e32 v8, 16, v8
	v_and_b32_e32 v5, 0xffff0000, v5
	v_and_b32_e32 v0, 0xffff0000, v0
	v_add3_u32 v12, v12, v11, s25
	v_or_b32_e32 v17, 0x400000, v11
	v_cmp_u_f32_e32 vcc, v11, v11
	v_mul_f32_e32 v8, v36, v8
	v_add_f32_e32 v0, v5, v0
	v_and_b32_e32 v5, 0xffff0000, v6
	v_and_b32_e32 v6, 0xffff0000, v9
	v_cndmask_b32_e32 v11, v12, v17, vcc
	v_bfe_u32 v12, v8, 16, 1
	v_add_f32_e32 v5, v5, v6
	v_add3_u32 v12, v12, v8, s25
	v_or_b32_e32 v17, 0x400000, v8
	v_cmp_u_f32_e32 vcc, v8, v8
	v_add_f32_e32 v0, v5, v0
	v_and_b32_e32 v5, 0xffff0000, v7
	v_and_b32_e32 v6, 0xffff0000, v10
	v_cndmask_b32_e32 v8, v12, v17, vcc
	v_add_f32_e32 v5, v5, v6
	v_add_f32_e32 v0, v5, v0
	v_and_b32_e32 v5, 0xffff0000, v8
	v_and_b32_e32 v6, 0xffff0000, v11
	v_add_f32_e32 v5, v5, v6
	v_add_f32_e32 v0, v5, v0
	;; [unrolled: 1-line block ×3, first 2 shown]
	v_and_b32_e32 v0, 0xffff0000, v1
	v_mul_f32_e32 v0, v25, v0
	v_bfe_u32 v5, v0, 16, 1
	v_lshlrev_b32_e32 v1, 16, v1
	v_add3_u32 v5, v5, v0, s25
	v_or_b32_e32 v6, 0x400000, v0
	v_cmp_u_f32_e32 vcc, v0, v0
	v_mul_f32_e32 v1, v27, v1
	v_cndmask_b32_e32 v0, v5, v6, vcc
	v_bfe_u32 v5, v1, 16, 1
	v_add3_u32 v5, v5, v1, s25
	v_or_b32_e32 v6, 0x400000, v1
	v_cmp_u_f32_e32 vcc, v1, v1
	v_cndmask_b32_e32 v1, v5, v6, vcc
	v_and_b32_e32 v5, 0xffff0000, v2
	v_mul_f32_e32 v5, v26, v5
	v_bfe_u32 v6, v5, 16, 1
	v_lshlrev_b32_e32 v2, 16, v2
	v_add3_u32 v6, v6, v5, s25
	v_or_b32_e32 v7, 0x400000, v5
	v_cmp_u_f32_e32 vcc, v5, v5
	v_mul_f32_e32 v2, v33, v2
	v_cndmask_b32_e32 v5, v6, v7, vcc
	v_bfe_u32 v6, v2, 16, 1
	v_add3_u32 v6, v6, v2, s25
	v_or_b32_e32 v7, 0x400000, v2
	v_cmp_u_f32_e32 vcc, v2, v2
	v_cndmask_b32_e32 v2, v6, v7, vcc
	;; [unrolled: 14-line block ×3, first 2 shown]
	v_and_b32_e32 v7, 0xffff0000, v4
	v_mul_f32_e32 v7, v34, v7
	v_bfe_u32 v8, v7, 16, 1
	v_lshlrev_b32_e32 v4, 16, v4
	v_and_b32_e32 v1, 0xffff0000, v1
	v_and_b32_e32 v0, 0xffff0000, v0
	v_add3_u32 v8, v8, v7, s25
	v_or_b32_e32 v9, 0x400000, v7
	v_cmp_u_f32_e32 vcc, v7, v7
	v_mul_f32_e32 v4, v36, v4
	v_add_f32_e32 v0, v1, v0
	v_and_b32_e32 v1, 0xffff0000, v2
	v_and_b32_e32 v2, 0xffff0000, v5
	v_cndmask_b32_e32 v7, v8, v9, vcc
	v_bfe_u32 v8, v4, 16, 1
	v_add_f32_e32 v1, v1, v2
	v_add3_u32 v8, v8, v4, s25
	v_or_b32_e32 v9, 0x400000, v4
	v_cmp_u_f32_e32 vcc, v4, v4
	v_add_f32_e32 v0, v1, v0
	v_and_b32_e32 v1, 0xffff0000, v3
	v_and_b32_e32 v2, 0xffff0000, v6
	v_cndmask_b32_e32 v4, v8, v9, vcc
	v_add_f32_e32 v1, v1, v2
	v_add_f32_e32 v0, v1, v0
	v_and_b32_e32 v1, 0xffff0000, v4
	v_and_b32_e32 v2, 0xffff0000, v7
	v_add_f32_e32 v1, v1, v2
	v_add_f32_e32 v0, v1, v0
	;; [unrolled: 1-line block ×3, first 2 shown]
	s_waitcnt vmcnt(0)
	v_lshlrev_b32_e32 v0, 16, v13
	v_mul_f32_e32 v0, v27, v0
	v_bfe_u32 v1, v0, 16, 1
	v_add3_u32 v1, v1, v0, s25
	v_or_b32_e32 v2, 0x400000, v0
	v_cmp_u_f32_e32 vcc, v0, v0
	v_cndmask_b32_e32 v0, v1, v2, vcc
	v_and_b32_e32 v1, 0xffff0000, v13
	v_mul_f32_e32 v1, v25, v1
	v_bfe_u32 v2, v1, 16, 1
	v_add3_u32 v2, v2, v1, s25
	v_or_b32_e32 v3, 0x400000, v1
	v_cmp_u_f32_e32 vcc, v1, v1
	v_cndmask_b32_e32 v1, v2, v3, vcc
	v_lshlrev_b32_e32 v2, 16, v14
	v_mul_f32_e32 v2, v33, v2
	v_bfe_u32 v3, v2, 16, 1
	v_add3_u32 v3, v3, v2, s25
	v_or_b32_e32 v4, 0x400000, v2
	v_cmp_u_f32_e32 vcc, v2, v2
	v_cndmask_b32_e32 v2, v3, v4, vcc
	v_and_b32_e32 v3, 0xffff0000, v14
	v_mul_f32_e32 v3, v26, v3
	v_bfe_u32 v4, v3, 16, 1
	v_add3_u32 v4, v4, v3, s25
	v_or_b32_e32 v5, 0x400000, v3
	v_cmp_u_f32_e32 vcc, v3, v3
	v_cndmask_b32_e32 v3, v4, v5, vcc
	;; [unrolled: 14-line block ×3, first 2 shown]
	v_lshlrev_b32_e32 v6, 16, v16
	v_mul_f32_e32 v6, v36, v6
	v_bfe_u32 v7, v6, 16, 1
	v_add3_u32 v7, v7, v6, s25
	v_or_b32_e32 v8, 0x400000, v6
	v_cmp_u_f32_e32 vcc, v6, v6
	v_cndmask_b32_e32 v6, v7, v8, vcc
	v_and_b32_e32 v7, 0xffff0000, v16
	v_and_b32_e32 v1, 0xffff0000, v1
	;; [unrolled: 1-line block ×3, first 2 shown]
	v_mul_f32_e32 v7, v34, v7
	v_add_f32_e32 v0, v0, v1
	v_and_b32_e32 v1, 0xffff0000, v3
	v_and_b32_e32 v2, 0xffff0000, v2
	v_bfe_u32 v8, v7, 16, 1
	v_add_f32_e32 v1, v2, v1
	v_add3_u32 v8, v8, v7, s25
	v_or_b32_e32 v9, 0x400000, v7
	v_cmp_u_f32_e32 vcc, v7, v7
	v_add_f32_e32 v0, v1, v0
	v_and_b32_e32 v1, 0xffff0000, v5
	v_and_b32_e32 v2, 0xffff0000, v4
	v_cndmask_b32_e32 v7, v8, v9, vcc
	v_add_f32_e32 v1, v2, v1
	v_add_f32_e32 v0, v1, v0
	v_and_b32_e32 v1, 0xffff0000, v7
	v_and_b32_e32 v2, 0xffff0000, v6
	v_add_f32_e32 v1, v2, v1
	v_add_f32_e32 v0, v1, v0
	;; [unrolled: 1-line block ×3, first 2 shown]
.LBB134_39:                             ;   in Loop: Header=BB134_40 Depth=1
	s_or_b64 exec, exec, s[12:13]
	buffer_load_dword v0, off, s[48:51], 0  ; 4-byte Folded Reload
	v_add_co_u32_e32 v41, vcc, 8, v41
	v_addc_co_u32_e32 v42, vcc, 0, v42, vcc
	v_mov_b32_e32 v3, v43
	v_add_u32_e32 v3, 32, v3
	v_add_u32_e32 v61, 0x80, v61
	s_waitcnt vmcnt(0)
	v_add_u32_e32 v0, 2, v0
	v_cmp_le_i32_e32 vcc, s16, v0
	s_or_b64 s[6:7], vcc, s[6:7]
	buffer_store_dword v0, off, s[48:51], 0 ; 4-byte Folded Spill
	s_andn2_b64 exec, exec, s[6:7]
	s_cbranch_execz .LBB134_57
.LBB134_40:                             ; =>This Inner Loop Header: Depth=1
	s_waitcnt vmcnt(1)
	v_mul_hi_u32 v0, v3, s40
	v_mov_b32_e32 v43, v3
	v_mul_lo_u32 v1, v0, s21
	v_add_u32_e32 v2, 1, v0
	v_sub_u32_e32 v1, v3, v1
	v_cmp_le_u32_e32 vcc, s21, v1
	v_cndmask_b32_e32 v0, v0, v2, vcc
	v_subrev_u32_e32 v2, s21, v1
	v_cndmask_b32_e32 v1, v1, v2, vcc
	v_add_u32_e32 v2, 1, v0
	v_cmp_le_u32_e32 vcc, s21, v1
	v_cndmask_b32_e32 v0, v0, v2, vcc
	v_xor_b32_e32 v0, s19, v0
	v_subrev_u32_e32 v0, s19, v0
	v_add_u32_e32 v1, s41, v0
	v_sub_u32_e32 v2, 0, v1
	v_max_i32_e32 v2, v1, v2
	v_mul_hi_u32 v3, v2, v60
	v_ashrrev_i32_e32 v1, 31, v1
	v_cmp_lt_i32_e64 s[0:1], s17, v0
	v_mul_lo_u32 v3, v3, s18
	v_sub_u32_e32 v2, v2, v3
	v_subrev_u32_e32 v3, s18, v2
	v_cmp_le_u32_e32 vcc, s18, v2
	v_cndmask_b32_e32 v2, v2, v3, vcc
	v_subrev_u32_e32 v3, s18, v2
	v_cmp_le_u32_e32 vcc, s18, v2
	v_cndmask_b32_e32 v2, v2, v3, vcc
	v_xor_b32_e32 v2, v2, v1
	v_sub_u32_e32 v1, v2, v1
	v_cmp_eq_u32_e32 vcc, 0, v1
	s_or_b64 s[0:1], vcc, s[0:1]
	s_and_saveexec_b64 s[12:13], s[0:1]
	s_cbranch_execz .LBB134_39
; %bb.41:                               ;   in Loop: Header=BB134_40 Depth=1
	global_load_dword v0, v[41:42], off
	buffer_load_dword v2, off, s[48:51], 0 offset:8 ; 4-byte Folded Reload
	s_waitcnt vmcnt(1)
	v_mad_i64_i32 v[0:1], s[0:1], v0, s28, 0
	v_lshlrev_b64 v[0:1], 1, v[0:1]
	s_waitcnt vmcnt(0)
	v_add_co_u32_e32 v13, vcc, v2, v0
	buffer_load_dword v0, off, s[48:51], 0 offset:12 ; 4-byte Folded Reload
	s_waitcnt vmcnt(0)
	v_addc_co_u32_e32 v14, vcc, v0, v1, vcc
	buffer_load_dword v0, off, s[48:51], 0 offset:4 ; 4-byte Folded Reload
	global_load_dwordx4 v[1:4], v[13:14], off
	ds_read2_b64 v[33:36], v61 offset1:1
	ds_read2_b64 v[25:28], v61 offset0:2 offset1:3
	s_waitcnt vmcnt(1)
	v_add_u32_e32 v47, v0, v43
	buffer_load_dword v0, off, s[48:51], 0  ; 4-byte Folded Reload
	v_add_u32_e32 v59, 1, v47
	v_or_b32_e32 v58, 2, v47
	v_or_b32_e32 v45, 5, v47
	;; [unrolled: 1-line block ×5, first 2 shown]
	s_waitcnt vmcnt(0)
	v_cmp_eq_u32_e64 s[0:1], s29, v0
	v_or_b32_e32 v0, 3, v47
	s_and_saveexec_b64 s[14:15], s[0:1]
	s_cbranch_execnz .LBB134_54
; %bb.42:                               ;   in Loop: Header=BB134_40 Depth=1
	s_or_b64 exec, exec, s[14:15]
	global_load_dwordx4 v[5:8], v[13:14], off offset:1024
	s_and_saveexec_b64 s[14:15], s[0:1]
	s_cbranch_execnz .LBB134_55
.LBB134_43:                             ;   in Loop: Header=BB134_40 Depth=1
	s_or_b64 exec, exec, s[14:15]
	global_load_dwordx4 v[9:12], v[13:14], off offset:2048
	s_and_saveexec_b64 s[14:15], s[0:1]
	s_cbranch_execnz .LBB134_56
.LBB134_44:                             ;   in Loop: Header=BB134_40 Depth=1
	s_or_b64 exec, exec, s[14:15]
	global_load_dwordx4 v[17:20], v[13:14], off offset:3072
	s_and_saveexec_b64 s[14:15], s[0:1]
	s_cbranch_execz .LBB134_46
.LBB134_45:                             ;   in Loop: Header=BB134_40 Depth=1
	v_cmp_gt_i32_e32 vcc, s30, v59
	s_waitcnt vmcnt(0)
	v_cndmask_b32_sdwa v15, v56, v17, vcc dst_sel:DWORD dst_unused:UNUSED_PAD src0_sel:DWORD src1_sel:WORD_1
	v_cmp_gt_i32_e32 vcc, s33, v47
	v_cndmask_b32_e32 v16, 0, v17, vcc
	v_cmp_gt_i32_e32 vcc, s30, v0
	v_cmp_gt_i32_e64 s[2:3], s33, v58
	v_perm_b32 v17, v15, v16, s24
	v_cndmask_b32_e64 v15, 0, v18, s[2:3]
	v_cndmask_b32_sdwa v16, v56, v18, vcc dst_sel:DWORD dst_unused:UNUSED_PAD src0_sel:DWORD src1_sel:WORD_1
	v_cmp_gt_i32_e32 vcc, s30, v45
	v_cmp_gt_i32_e64 s[2:3], s33, v57
	v_perm_b32 v18, v16, v15, s24
	v_cndmask_b32_e64 v15, 0, v19, s[2:3]
	v_cndmask_b32_sdwa v16, v56, v19, vcc dst_sel:DWORD dst_unused:UNUSED_PAD src0_sel:DWORD src1_sel:WORD_1
	;; [unrolled: 5-line block ×3, first 2 shown]
	v_perm_b32 v20, v16, v15, s24
.LBB134_46:                             ;   in Loop: Header=BB134_40 Depth=1
	s_or_b64 exec, exec, s[14:15]
	v_add_co_u32_e32 v15, vcc, 0x1000, v13
	v_addc_co_u32_e32 v16, vcc, 0, v14, vcc
	global_load_dwordx4 v[21:24], v[15:16], off
	s_and_saveexec_b64 s[14:15], s[0:1]
	s_cbranch_execz .LBB134_48
; %bb.47:                               ;   in Loop: Header=BB134_40 Depth=1
	v_cmp_gt_i32_e32 vcc, s30, v59
	s_waitcnt vmcnt(0)
	v_cndmask_b32_sdwa v15, v56, v21, vcc dst_sel:DWORD dst_unused:UNUSED_PAD src0_sel:DWORD src1_sel:WORD_1
	v_cmp_gt_i32_e32 vcc, s33, v47
	v_cndmask_b32_e32 v16, 0, v21, vcc
	v_cmp_gt_i32_e32 vcc, s30, v0
	v_cmp_gt_i32_e64 s[2:3], s33, v58
	v_perm_b32 v21, v15, v16, s24
	v_cndmask_b32_e64 v15, 0, v22, s[2:3]
	v_cndmask_b32_sdwa v16, v56, v22, vcc dst_sel:DWORD dst_unused:UNUSED_PAD src0_sel:DWORD src1_sel:WORD_1
	v_cmp_gt_i32_e32 vcc, s30, v45
	v_cmp_gt_i32_e64 s[2:3], s33, v57
	v_perm_b32 v22, v16, v15, s24
	v_cndmask_b32_e64 v15, 0, v23, s[2:3]
	v_cndmask_b32_sdwa v16, v56, v23, vcc dst_sel:DWORD dst_unused:UNUSED_PAD src0_sel:DWORD src1_sel:WORD_1
	v_cmp_gt_i32_e32 vcc, s30, v62
	v_cmp_gt_i32_e64 s[2:3], s33, v63
	v_perm_b32 v23, v16, v15, s24
	v_cndmask_b32_e64 v15, 0, v24, s[2:3]
	v_cndmask_b32_sdwa v16, v56, v24, vcc dst_sel:DWORD dst_unused:UNUSED_PAD src0_sel:DWORD src1_sel:WORD_1
	v_perm_b32 v24, v16, v15, s24
.LBB134_48:                             ;   in Loop: Header=BB134_40 Depth=1
	s_or_b64 exec, exec, s[14:15]
	v_add_co_u32_e32 v15, vcc, 0x1000, v13
	v_addc_co_u32_e32 v16, vcc, 0, v14, vcc
	global_load_dwordx4 v[29:32], v[15:16], off offset:1024
	s_and_saveexec_b64 s[14:15], s[0:1]
	s_cbranch_execz .LBB134_50
; %bb.49:                               ;   in Loop: Header=BB134_40 Depth=1
	v_cmp_gt_i32_e32 vcc, s30, v59
	s_waitcnt vmcnt(0)
	v_cndmask_b32_sdwa v15, v56, v29, vcc dst_sel:DWORD dst_unused:UNUSED_PAD src0_sel:DWORD src1_sel:WORD_1
	v_cmp_gt_i32_e32 vcc, s33, v47
	v_cndmask_b32_e32 v16, 0, v29, vcc
	v_cmp_gt_i32_e32 vcc, s30, v0
	v_cmp_gt_i32_e64 s[2:3], s33, v58
	v_perm_b32 v29, v15, v16, s24
	v_cndmask_b32_e64 v15, 0, v30, s[2:3]
	v_cndmask_b32_sdwa v16, v56, v30, vcc dst_sel:DWORD dst_unused:UNUSED_PAD src0_sel:DWORD src1_sel:WORD_1
	v_cmp_gt_i32_e32 vcc, s30, v45
	v_cmp_gt_i32_e64 s[2:3], s33, v57
	v_perm_b32 v30, v16, v15, s24
	v_cndmask_b32_e64 v15, 0, v31, s[2:3]
	v_cndmask_b32_sdwa v16, v56, v31, vcc dst_sel:DWORD dst_unused:UNUSED_PAD src0_sel:DWORD src1_sel:WORD_1
	v_cmp_gt_i32_e32 vcc, s30, v62
	v_cmp_gt_i32_e64 s[2:3], s33, v63
	v_perm_b32 v31, v16, v15, s24
	v_cndmask_b32_e64 v15, 0, v32, s[2:3]
	v_cndmask_b32_sdwa v16, v56, v32, vcc dst_sel:DWORD dst_unused:UNUSED_PAD src0_sel:DWORD src1_sel:WORD_1
	v_perm_b32 v32, v16, v15, s24
.LBB134_50:                             ;   in Loop: Header=BB134_40 Depth=1
	s_or_b64 exec, exec, s[14:15]
	v_add_co_u32_e32 v15, vcc, 0x1000, v13
	v_addc_co_u32_e32 v16, vcc, 0, v14, vcc
	global_load_dwordx4 v[37:40], v[15:16], off offset:2048
	;; [unrolled: 29-line block ×3, first 2 shown]
	s_and_saveexec_b64 s[2:3], s[0:1]
	s_cbranch_execz .LBB134_38
; %bb.53:                               ;   in Loop: Header=BB134_40 Depth=1
	v_cmp_gt_i32_e32 vcc, s30, v59
	s_waitcnt vmcnt(0)
	v_cndmask_b32_sdwa v44, v56, v13, vcc dst_sel:DWORD dst_unused:UNUSED_PAD src0_sel:DWORD src1_sel:WORD_1
	v_cmp_gt_i32_e32 vcc, s33, v47
	v_cndmask_b32_e32 v13, 0, v13, vcc
	v_cmp_gt_i32_e32 vcc, s30, v0
	v_cmp_gt_i32_e64 s[0:1], s33, v58
	v_cndmask_b32_e64 v0, 0, v14, s[0:1]
	v_cndmask_b32_sdwa v14, v56, v14, vcc dst_sel:DWORD dst_unused:UNUSED_PAD src0_sel:DWORD src1_sel:WORD_1
	v_cmp_gt_i32_e32 vcc, s30, v45
	v_cmp_gt_i32_e64 s[0:1], s33, v57
	v_perm_b32 v14, v14, v0, s24
	v_cndmask_b32_e64 v0, 0, v15, s[0:1]
	v_cndmask_b32_sdwa v15, v56, v15, vcc dst_sel:DWORD dst_unused:UNUSED_PAD src0_sel:DWORD src1_sel:WORD_1
	v_cmp_gt_i32_e32 vcc, s30, v62
	v_cmp_gt_i32_e64 s[0:1], s33, v63
	v_perm_b32 v15, v15, v0, s24
	v_cndmask_b32_e64 v0, 0, v16, s[0:1]
	v_cndmask_b32_sdwa v16, v56, v16, vcc dst_sel:DWORD dst_unused:UNUSED_PAD src0_sel:DWORD src1_sel:WORD_1
	v_perm_b32 v13, v44, v13, s24
	v_perm_b32 v16, v16, v0, s24
	s_branch .LBB134_38
.LBB134_54:                             ;   in Loop: Header=BB134_40 Depth=1
	v_cmp_gt_i32_e32 vcc, s30, v59
	v_cndmask_b32_sdwa v5, v56, v1, vcc dst_sel:DWORD dst_unused:UNUSED_PAD src0_sel:DWORD src1_sel:WORD_1
	v_cmp_gt_i32_e32 vcc, s33, v47
	v_cndmask_b32_e32 v1, 0, v1, vcc
	v_cmp_gt_i32_e32 vcc, s30, v0
	v_cmp_gt_i32_e64 s[2:3], s33, v58
	v_perm_b32 v1, v5, v1, s24
	v_cndmask_b32_e64 v5, 0, v2, s[2:3]
	v_cndmask_b32_sdwa v2, v56, v2, vcc dst_sel:DWORD dst_unused:UNUSED_PAD src0_sel:DWORD src1_sel:WORD_1
	v_cmp_gt_i32_e32 vcc, s30, v45
	v_cmp_gt_i32_e64 s[2:3], s33, v57
	v_perm_b32 v2, v2, v5, s24
	v_cndmask_b32_e64 v5, 0, v3, s[2:3]
	v_cndmask_b32_sdwa v3, v56, v3, vcc dst_sel:DWORD dst_unused:UNUSED_PAD src0_sel:DWORD src1_sel:WORD_1
	;; [unrolled: 5-line block ×3, first 2 shown]
	v_perm_b32 v4, v4, v5, s24
	s_or_b64 exec, exec, s[14:15]
	global_load_dwordx4 v[5:8], v[13:14], off offset:1024
	s_and_saveexec_b64 s[14:15], s[0:1]
	s_cbranch_execz .LBB134_43
.LBB134_55:                             ;   in Loop: Header=BB134_40 Depth=1
	v_cmp_gt_i32_e32 vcc, s30, v59
	s_waitcnt vmcnt(0)
	v_cndmask_b32_sdwa v9, v56, v5, vcc dst_sel:DWORD dst_unused:UNUSED_PAD src0_sel:DWORD src1_sel:WORD_1
	v_cmp_gt_i32_e32 vcc, s33, v47
	v_cndmask_b32_e32 v5, 0, v5, vcc
	v_cmp_gt_i32_e32 vcc, s30, v0
	v_cmp_gt_i32_e64 s[2:3], s33, v58
	v_perm_b32 v5, v9, v5, s24
	v_cndmask_b32_e64 v9, 0, v6, s[2:3]
	v_cndmask_b32_sdwa v6, v56, v6, vcc dst_sel:DWORD dst_unused:UNUSED_PAD src0_sel:DWORD src1_sel:WORD_1
	v_cmp_gt_i32_e32 vcc, s30, v45
	v_cmp_gt_i32_e64 s[2:3], s33, v57
	v_perm_b32 v6, v6, v9, s24
	v_cndmask_b32_e64 v9, 0, v7, s[2:3]
	v_cndmask_b32_sdwa v7, v56, v7, vcc dst_sel:DWORD dst_unused:UNUSED_PAD src0_sel:DWORD src1_sel:WORD_1
	;; [unrolled: 5-line block ×3, first 2 shown]
	v_perm_b32 v8, v8, v9, s24
	s_or_b64 exec, exec, s[14:15]
	global_load_dwordx4 v[9:12], v[13:14], off offset:2048
	s_and_saveexec_b64 s[14:15], s[0:1]
	s_cbranch_execz .LBB134_44
.LBB134_56:                             ;   in Loop: Header=BB134_40 Depth=1
	v_cmp_gt_i32_e32 vcc, s30, v59
	s_waitcnt vmcnt(0)
	v_cndmask_b32_sdwa v15, v56, v9, vcc dst_sel:DWORD dst_unused:UNUSED_PAD src0_sel:DWORD src1_sel:WORD_1
	v_cmp_gt_i32_e32 vcc, s33, v47
	v_cndmask_b32_e32 v9, 0, v9, vcc
	v_cmp_gt_i32_e32 vcc, s30, v0
	v_cmp_gt_i32_e64 s[2:3], s33, v58
	v_perm_b32 v9, v15, v9, s24
	v_cndmask_b32_e64 v15, 0, v10, s[2:3]
	v_cndmask_b32_sdwa v10, v56, v10, vcc dst_sel:DWORD dst_unused:UNUSED_PAD src0_sel:DWORD src1_sel:WORD_1
	v_cmp_gt_i32_e32 vcc, s30, v45
	v_cmp_gt_i32_e64 s[2:3], s33, v57
	v_perm_b32 v10, v10, v15, s24
	v_cndmask_b32_e64 v15, 0, v11, s[2:3]
	v_cndmask_b32_sdwa v11, v56, v11, vcc dst_sel:DWORD dst_unused:UNUSED_PAD src0_sel:DWORD src1_sel:WORD_1
	;; [unrolled: 5-line block ×3, first 2 shown]
	v_perm_b32 v12, v12, v15, s24
	s_or_b64 exec, exec, s[14:15]
	global_load_dwordx4 v[17:20], v[13:14], off offset:3072
	s_and_saveexec_b64 s[14:15], s[0:1]
	s_cbranch_execnz .LBB134_45
	s_branch .LBB134_46
.LBB134_57:
	s_or_b64 exec, exec, s[6:7]
	buffer_load_dword v13, off, s[48:51], 0 offset:20 ; 4-byte Folded Reload
	buffer_load_dword v14, off, s[48:51], 0 offset:24 ; 4-byte Folded Reload
	;; [unrolled: 1-line block ×3, first 2 shown]
.LBB134_58:
	s_or_b64 exec, exec, s[4:5]
	s_waitcnt vmcnt(1)
	ds_bpermute_b32 v1, v14, v55
	ds_bpermute_b32 v8, v14, v49
	s_waitcnt vmcnt(0) lgkmcnt(0)
	s_barrier
	v_add_f32_e32 v6, v55, v1
	ds_bpermute_b32 v1, v14, v51
	ds_bpermute_b32 v0, v14, v54
	;; [unrolled: 1-line block ×4, first 2 shown]
	s_waitcnt lgkmcnt(3)
	v_add_f32_e32 v3, v51, v1
	v_add_f32_e32 v1, v49, v8
	buffer_load_dword v8, off, s[48:51], 0 offset:16 ; 4-byte Folded Reload
	s_waitcnt lgkmcnt(2)
	v_add_f32_e32 v7, v54, v0
	ds_bpermute_b32 v0, v14, v52
	s_waitcnt lgkmcnt(2)
	v_add_f32_e32 v4, v53, v2
	ds_bpermute_b32 v2, v14, v50
	s_waitcnt lgkmcnt(1)
	v_add_f32_e32 v5, v52, v0
	v_add_f32_e32 v0, v46, v9
	s_waitcnt lgkmcnt(0)
	v_add_f32_e32 v2, v50, v2
	s_waitcnt vmcnt(0)
	v_and_b32_e32 v9, 0x3c1, v8
	v_cmp_eq_u32_e32 vcc, 64, v9
	s_and_saveexec_b64 s[0:1], vcc
	s_cbranch_execz .LBB134_60
; %bb.59:
	v_mov_b32_e32 v8, 0x210
	v_lshl_add_u32 v8, v13, 1, v8
	ds_write2_b32 v8, v7, v6 offset1:32
	ds_write2_b32 v8, v4, v5 offset0:64 offset1:96
	ds_write2_b32 v8, v3, v2 offset0:128 offset1:160
	;; [unrolled: 1-line block ×3, first 2 shown]
.LBB134_60:
	s_or_b64 exec, exec, s[0:1]
	buffer_load_dword v8, off, s[48:51], 0 offset:16 ; 4-byte Folded Reload
	s_waitcnt vmcnt(0) lgkmcnt(0)
	s_barrier
	v_cmp_gt_u32_e32 vcc, 64, v8
	v_lshrrev_b32_e32 v8, 1, v8
	s_and_saveexec_b64 s[0:1], vcc
	s_cbranch_execz .LBB134_71
; %bb.61:
	v_cmp_eq_u32_e32 vcc, 0, v10
	v_mov_b32_e32 v10, 0x210
	v_lshl_add_u32 v10, v8, 2, v10
	s_and_saveexec_b64 s[2:3], vcc
	s_cbranch_execnz .LBB134_74
; %bb.62:
	s_or_b64 exec, exec, s[2:3]
	s_and_saveexec_b64 s[2:3], vcc
	s_cbranch_execnz .LBB134_75
.LBB134_63:
	s_or_b64 exec, exec, s[2:3]
	s_and_saveexec_b64 s[2:3], vcc
	s_cbranch_execnz .LBB134_76
.LBB134_64:
	s_or_b64 exec, exec, s[2:3]
	s_and_saveexec_b64 s[2:3], vcc
	s_cbranch_execnz .LBB134_77
.LBB134_65:
	s_or_b64 exec, exec, s[2:3]
	s_and_saveexec_b64 s[2:3], vcc
	s_cbranch_execnz .LBB134_78
.LBB134_66:
	s_or_b64 exec, exec, s[2:3]
	s_and_saveexec_b64 s[2:3], vcc
	s_cbranch_execnz .LBB134_79
.LBB134_67:
	s_or_b64 exec, exec, s[2:3]
	s_and_saveexec_b64 s[2:3], vcc
	s_cbranch_execnz .LBB134_80
.LBB134_68:
	s_or_b64 exec, exec, s[2:3]
	s_and_saveexec_b64 s[2:3], vcc
	s_cbranch_execz .LBB134_70
.LBB134_69:
	ds_read_b32 v10, v10 offset:896
	s_waitcnt lgkmcnt(0)
	v_add_f32_e32 v0, v0, v10
.LBB134_70:
	s_or_b64 exec, exec, s[2:3]
.LBB134_71:
	s_or_b64 exec, exec, s[0:1]
	v_cmp_eq_u32_e32 vcc, 0, v9
	s_barrier
	s_and_saveexec_b64 s[0:1], vcc
	s_cbranch_execz .LBB134_73
; %bb.72:
	s_mul_i32 s0, s10, s11
	s_mul_i32 s0, s0, s9
	s_lshl_b32 s0, s0, 8
	s_ashr_i32 s1, s0, 31
	s_lshl_b64 s[0:1], s[0:1], 1
	s_add_u32 s2, s22, s0
	s_mul_i32 s0, s11, s20
	s_addc_u32 s3, s23, s1
	s_ashr_i32 s1, s0, 31
	s_lshl_b64 s[0:1], s[0:1], 1
	s_add_u32 s2, s2, s0
	s_addc_u32 s3, s3, s1
	s_lshl_b32 s0, s8, 8
	s_ashr_i32 s1, s0, 31
	s_lshl_b64 s[0:1], s[0:1], 1
	s_add_u32 s0, s2, s0
	v_bfe_u32 v9, v7, 16, 1
	s_movk_i32 s2, 0x7fff
	v_add3_u32 v9, v9, v7, s2
	v_or_b32_e32 v10, 0x400000, v7
	v_cmp_u_f32_e32 vcc, v7, v7
	s_addc_u32 s1, s3, s1
	v_lshlrev_b32_e32 v8, 1, v8
	v_cndmask_b32_e32 v7, v9, v10, vcc
	global_store_short_d16_hi v8, v7, s[0:1]
	v_bfe_u32 v7, v6, 16, 1
	v_add3_u32 v7, v7, v6, s2
	v_or_b32_e32 v9, 0x400000, v6
	v_cmp_u_f32_e32 vcc, v6, v6
	v_cndmask_b32_e32 v6, v7, v9, vcc
	global_store_short_d16_hi v8, v6, s[0:1] offset:64
	v_bfe_u32 v6, v4, 16, 1
	v_add3_u32 v6, v6, v4, s2
	v_or_b32_e32 v7, 0x400000, v4
	v_cmp_u_f32_e32 vcc, v4, v4
	v_cndmask_b32_e32 v4, v6, v7, vcc
	global_store_short_d16_hi v8, v4, s[0:1] offset:128
	;; [unrolled: 6-line block ×7, first 2 shown]
.LBB134_73:
	s_endpgm
.LBB134_74:
	ds_read_b32 v11, v10
	s_waitcnt lgkmcnt(0)
	v_add_f32_e32 v7, v7, v11
	s_or_b64 exec, exec, s[2:3]
	s_and_saveexec_b64 s[2:3], vcc
	s_cbranch_execz .LBB134_63
.LBB134_75:
	ds_read_b32 v11, v10 offset:128
	s_waitcnt lgkmcnt(0)
	v_add_f32_e32 v6, v6, v11
	s_or_b64 exec, exec, s[2:3]
	s_and_saveexec_b64 s[2:3], vcc
	s_cbranch_execz .LBB134_64
.LBB134_76:
	ds_read_b32 v11, v10 offset:256
	s_waitcnt lgkmcnt(0)
	v_add_f32_e32 v4, v4, v11
	s_or_b64 exec, exec, s[2:3]
	s_and_saveexec_b64 s[2:3], vcc
	s_cbranch_execz .LBB134_65
.LBB134_77:
	ds_read_b32 v11, v10 offset:384
	s_waitcnt lgkmcnt(0)
	v_add_f32_e32 v5, v5, v11
	s_or_b64 exec, exec, s[2:3]
	s_and_saveexec_b64 s[2:3], vcc
	s_cbranch_execz .LBB134_66
.LBB134_78:
	ds_read_b32 v11, v10 offset:512
	s_waitcnt lgkmcnt(0)
	v_add_f32_e32 v3, v3, v11
	s_or_b64 exec, exec, s[2:3]
	s_and_saveexec_b64 s[2:3], vcc
	s_cbranch_execz .LBB134_67
.LBB134_79:
	ds_read_b32 v11, v10 offset:640
	s_waitcnt lgkmcnt(0)
	v_add_f32_e32 v2, v2, v11
	s_or_b64 exec, exec, s[2:3]
	s_and_saveexec_b64 s[2:3], vcc
	s_cbranch_execz .LBB134_68
.LBB134_80:
	ds_read_b32 v11, v10 offset:768
	s_waitcnt lgkmcnt(0)
	v_add_f32_e32 v1, v1, v11
	s_or_b64 exec, exec, s[2:3]
	s_and_saveexec_b64 s[2:3], vcc
	s_cbranch_execnz .LBB134_69
	s_branch .LBB134_70
	.section	.rodata,"a",@progbits
	.p2align	6, 0x0
	.amdhsa_kernel _ZN4vllm25paged_attention_v1_kernelI14__hip_bfloat16S1_Li256ELi16ELi128ELNS_18Fp8KVCacheDataTypeE0ELb1EEEvPT_PKS3_PKT0_S9_ifPKiSB_iPKfiiiSD_SD_iiiii
		.amdhsa_group_segment_fixed_size 528
		.amdhsa_private_segment_fixed_size 72
		.amdhsa_kernarg_size 384
		.amdhsa_user_sgpr_count 6
		.amdhsa_user_sgpr_private_segment_buffer 1
		.amdhsa_user_sgpr_dispatch_ptr 0
		.amdhsa_user_sgpr_queue_ptr 0
		.amdhsa_user_sgpr_kernarg_segment_ptr 1
		.amdhsa_user_sgpr_dispatch_id 0
		.amdhsa_user_sgpr_flat_scratch_init 0
		.amdhsa_user_sgpr_private_segment_size 0
		.amdhsa_uses_dynamic_stack 0
		.amdhsa_system_sgpr_private_segment_wavefront_offset 1
		.amdhsa_system_sgpr_workgroup_id_x 1
		.amdhsa_system_sgpr_workgroup_id_y 1
		.amdhsa_system_sgpr_workgroup_id_z 1
		.amdhsa_system_sgpr_workgroup_info 0
		.amdhsa_system_vgpr_workitem_id 0
		.amdhsa_next_free_vgpr 64
		.amdhsa_next_free_sgpr 52
		.amdhsa_reserve_vcc 1
		.amdhsa_reserve_flat_scratch 0
		.amdhsa_float_round_mode_32 0
		.amdhsa_float_round_mode_16_64 0
		.amdhsa_float_denorm_mode_32 3
		.amdhsa_float_denorm_mode_16_64 3
		.amdhsa_dx10_clamp 1
		.amdhsa_ieee_mode 1
		.amdhsa_fp16_overflow 0
		.amdhsa_exception_fp_ieee_invalid_op 0
		.amdhsa_exception_fp_denorm_src 0
		.amdhsa_exception_fp_ieee_div_zero 0
		.amdhsa_exception_fp_ieee_overflow 0
		.amdhsa_exception_fp_ieee_underflow 0
		.amdhsa_exception_fp_ieee_inexact 0
		.amdhsa_exception_int_div_zero 0
	.end_amdhsa_kernel
	.section	.text._ZN4vllm25paged_attention_v1_kernelI14__hip_bfloat16S1_Li256ELi16ELi128ELNS_18Fp8KVCacheDataTypeE0ELb1EEEvPT_PKS3_PKT0_S9_ifPKiSB_iPKfiiiSD_SD_iiiii,"axG",@progbits,_ZN4vllm25paged_attention_v1_kernelI14__hip_bfloat16S1_Li256ELi16ELi128ELNS_18Fp8KVCacheDataTypeE0ELb1EEEvPT_PKS3_PKT0_S9_ifPKiSB_iPKfiiiSD_SD_iiiii,comdat
.Lfunc_end134:
	.size	_ZN4vllm25paged_attention_v1_kernelI14__hip_bfloat16S1_Li256ELi16ELi128ELNS_18Fp8KVCacheDataTypeE0ELb1EEEvPT_PKS3_PKT0_S9_ifPKiSB_iPKfiiiSD_SD_iiiii, .Lfunc_end134-_ZN4vllm25paged_attention_v1_kernelI14__hip_bfloat16S1_Li256ELi16ELi128ELNS_18Fp8KVCacheDataTypeE0ELb1EEEvPT_PKS3_PKT0_S9_ifPKiSB_iPKfiiiSD_SD_iiiii
                                        ; -- End function
	.set _ZN4vllm25paged_attention_v1_kernelI14__hip_bfloat16S1_Li256ELi16ELi128ELNS_18Fp8KVCacheDataTypeE0ELb1EEEvPT_PKS3_PKT0_S9_ifPKiSB_iPKfiiiSD_SD_iiiii.num_vgpr, 64
	.set _ZN4vllm25paged_attention_v1_kernelI14__hip_bfloat16S1_Li256ELi16ELi128ELNS_18Fp8KVCacheDataTypeE0ELb1EEEvPT_PKS3_PKT0_S9_ifPKiSB_iPKfiiiSD_SD_iiiii.num_agpr, 0
	.set _ZN4vllm25paged_attention_v1_kernelI14__hip_bfloat16S1_Li256ELi16ELi128ELNS_18Fp8KVCacheDataTypeE0ELb1EEEvPT_PKS3_PKT0_S9_ifPKiSB_iPKfiiiSD_SD_iiiii.numbered_sgpr, 52
	.set _ZN4vllm25paged_attention_v1_kernelI14__hip_bfloat16S1_Li256ELi16ELi128ELNS_18Fp8KVCacheDataTypeE0ELb1EEEvPT_PKS3_PKT0_S9_ifPKiSB_iPKfiiiSD_SD_iiiii.num_named_barrier, 0
	.set _ZN4vllm25paged_attention_v1_kernelI14__hip_bfloat16S1_Li256ELi16ELi128ELNS_18Fp8KVCacheDataTypeE0ELb1EEEvPT_PKS3_PKT0_S9_ifPKiSB_iPKfiiiSD_SD_iiiii.private_seg_size, 72
	.set _ZN4vllm25paged_attention_v1_kernelI14__hip_bfloat16S1_Li256ELi16ELi128ELNS_18Fp8KVCacheDataTypeE0ELb1EEEvPT_PKS3_PKT0_S9_ifPKiSB_iPKfiiiSD_SD_iiiii.uses_vcc, 1
	.set _ZN4vllm25paged_attention_v1_kernelI14__hip_bfloat16S1_Li256ELi16ELi128ELNS_18Fp8KVCacheDataTypeE0ELb1EEEvPT_PKS3_PKT0_S9_ifPKiSB_iPKfiiiSD_SD_iiiii.uses_flat_scratch, 0
	.set _ZN4vllm25paged_attention_v1_kernelI14__hip_bfloat16S1_Li256ELi16ELi128ELNS_18Fp8KVCacheDataTypeE0ELb1EEEvPT_PKS3_PKT0_S9_ifPKiSB_iPKfiiiSD_SD_iiiii.has_dyn_sized_stack, 0
	.set _ZN4vllm25paged_attention_v1_kernelI14__hip_bfloat16S1_Li256ELi16ELi128ELNS_18Fp8KVCacheDataTypeE0ELb1EEEvPT_PKS3_PKT0_S9_ifPKiSB_iPKfiiiSD_SD_iiiii.has_recursion, 0
	.set _ZN4vllm25paged_attention_v1_kernelI14__hip_bfloat16S1_Li256ELi16ELi128ELNS_18Fp8KVCacheDataTypeE0ELb1EEEvPT_PKS3_PKT0_S9_ifPKiSB_iPKfiiiSD_SD_iiiii.has_indirect_call, 0
	.section	.AMDGPU.csdata,"",@progbits
; Kernel info:
; codeLenInByte = 11228
; TotalNumSgprs: 56
; NumVgprs: 64
; ScratchSize: 72
; MemoryBound: 0
; FloatMode: 240
; IeeeMode: 1
; LDSByteSize: 528 bytes/workgroup (compile time only)
; SGPRBlocks: 6
; VGPRBlocks: 15
; NumSGPRsForWavesPerEU: 56
; NumVGPRsForWavesPerEU: 64
; Occupancy: 4
; WaveLimiterHint : 1
; COMPUTE_PGM_RSRC2:SCRATCH_EN: 1
; COMPUTE_PGM_RSRC2:USER_SGPR: 6
; COMPUTE_PGM_RSRC2:TRAP_HANDLER: 0
; COMPUTE_PGM_RSRC2:TGID_X_EN: 1
; COMPUTE_PGM_RSRC2:TGID_Y_EN: 1
; COMPUTE_PGM_RSRC2:TGID_Z_EN: 1
; COMPUTE_PGM_RSRC2:TIDIG_COMP_CNT: 0
	.section	.text._ZN4vllm25paged_attention_v1_kernelI14__hip_bfloat16S1_Li32ELi16ELi128ELNS_18Fp8KVCacheDataTypeE0ELb0EEEvPT_PKS3_PKT0_S9_ifPKiSB_iPKfiiiSD_SD_iiiii,"axG",@progbits,_ZN4vllm25paged_attention_v1_kernelI14__hip_bfloat16S1_Li32ELi16ELi128ELNS_18Fp8KVCacheDataTypeE0ELb0EEEvPT_PKS3_PKT0_S9_ifPKiSB_iPKfiiiSD_SD_iiiii,comdat
	.protected	_ZN4vllm25paged_attention_v1_kernelI14__hip_bfloat16S1_Li32ELi16ELi128ELNS_18Fp8KVCacheDataTypeE0ELb0EEEvPT_PKS3_PKT0_S9_ifPKiSB_iPKfiiiSD_SD_iiiii ; -- Begin function _ZN4vllm25paged_attention_v1_kernelI14__hip_bfloat16S1_Li32ELi16ELi128ELNS_18Fp8KVCacheDataTypeE0ELb0EEEvPT_PKS3_PKT0_S9_ifPKiSB_iPKfiiiSD_SD_iiiii
	.globl	_ZN4vllm25paged_attention_v1_kernelI14__hip_bfloat16S1_Li32ELi16ELi128ELNS_18Fp8KVCacheDataTypeE0ELb0EEEvPT_PKS3_PKT0_S9_ifPKiSB_iPKfiiiSD_SD_iiiii
	.p2align	8
	.type	_ZN4vllm25paged_attention_v1_kernelI14__hip_bfloat16S1_Li32ELi16ELi128ELNS_18Fp8KVCacheDataTypeE0ELb0EEEvPT_PKS3_PKT0_S9_ifPKiSB_iPKfiiiSD_SD_iiiii,@function
_ZN4vllm25paged_attention_v1_kernelI14__hip_bfloat16S1_Li32ELi16ELi128ELNS_18Fp8KVCacheDataTypeE0ELb0EEEvPT_PKS3_PKT0_S9_ifPKiSB_iPKfiiiSD_SD_iiiii: ; @_ZN4vllm25paged_attention_v1_kernelI14__hip_bfloat16S1_Li32ELi16ELi128ELNS_18Fp8KVCacheDataTypeE0ELb0EEEvPT_PKS3_PKT0_S9_ifPKiSB_iPKfiiiSD_SD_iiiii
; %bb.0:
	s_load_dword s9, s[4:5], 0x80
	s_load_dwordx2 s[0:1], s[4:5], 0x30
	s_load_dwordx2 s[26:27], s[4:5], 0x20
	s_mov_b32 s10, s7
	s_ashr_i32 s11, s7, 31
	s_lshl_b64 s[2:3], s[10:11], 2
	s_waitcnt lgkmcnt(0)
	s_add_u32 s0, s0, s2
	s_addc_u32 s1, s1, s3
	s_abs_i32 s2, s26
	v_cvt_f32_u32_e32 v1, s2
	s_sub_i32 s11, 0, s2
	s_abs_i32 s7, s9
	s_xor_b32 s3, s9, s26
	v_rcp_iflag_f32_e32 v1, v1
	s_ashr_i32 s3, s3, 31
	s_mov_b32 s26, 0
	v_mul_f32_e32 v1, 0x4f7ffffe, v1
	v_cvt_u32_f32_e32 v1, v1
	v_readfirstlane_b32 s12, v1
	s_mul_i32 s11, s11, s12
	s_mul_hi_u32 s11, s12, s11
	s_add_i32 s12, s12, s11
	s_mul_hi_u32 s11, s7, s12
	s_mul_i32 s12, s11, s2
	s_sub_i32 s7, s7, s12
	s_add_i32 s12, s11, 1
	s_sub_i32 s13, s7, s2
	s_cmp_ge_u32 s7, s2
	s_cselect_b32 s11, s12, s11
	s_cselect_b32 s7, s13, s7
	s_add_i32 s12, s11, 1
	s_cmp_ge_u32 s7, s2
	s_cselect_b32 s2, s12, s11
	s_xor_b32 s2, s2, s3
	s_sub_i32 s12, s2, s3
	s_abs_i32 s18, s12
	v_cvt_f32_u32_e32 v1, s18
	s_load_dwordx2 s[2:3], s[4:5], 0x40
	s_sub_i32 s7, 0, s18
	s_abs_i32 s19, s6
	v_rcp_iflag_f32_e32 v1, v1
	v_mul_f32_e32 v1, 0x4f7ffffe, v1
	v_cvt_u32_f32_e32 v1, v1
	v_readfirstlane_b32 s11, v1
	s_mul_i32 s7, s7, s11
	s_mul_hi_u32 s7, s11, s7
	s_add_i32 s11, s11, s7
	s_waitcnt lgkmcnt(0)
	s_cmp_eq_u64 s[2:3], 0
	s_mul_hi_u32 s22, s19, s11
	s_cbranch_scc1 .LBB135_2
; %bb.1:
	s_ashr_i32 s7, s6, 31
	s_lshl_b64 s[14:15], s[6:7], 2
	s_add_u32 s2, s2, s14
	s_addc_u32 s3, s3, s15
	s_load_dword s26, s[2:3], 0x0
.LBB135_2:
	s_load_dword s11, s[0:1], 0x0
	s_ashr_i32 s3, s12, 31
	s_load_dwordx4 s[12:15], s[4:5], 0x48
	s_ashr_i32 s2, s6, 31
	v_and_b32_e32 v1, 3, v0
	s_lshl_b32 s16, s6, 5
	v_cmp_gt_u32_e32 vcc, 16, v0
	v_lshlrev_b32_e32 v2, 2, v0
	s_and_saveexec_b64 s[0:1], vcc
	s_cbranch_execz .LBB135_4
; %bb.3:
	s_load_dwordx2 s[6:7], s[4:5], 0x8
	s_waitcnt lgkmcnt(0)
	s_mul_i32 s20, s12, s10
	s_ashr_i32 s21, s20, 31
	s_lshl_b64 s[20:21], s[20:21], 1
	v_and_b32_e32 v4, 0x3fc, v0
	s_add_u32 s12, s6, s20
	s_addc_u32 s15, s7, s21
	s_ashr_i32 s17, s16, 31
	s_lshl_b64 s[6:7], s[16:17], 1
	s_add_u32 s6, s12, s6
	s_addc_u32 s7, s15, s7
	global_load_dword v3, v2, s[6:7]
	v_lshl_add_u32 v4, v1, 4, v4
	s_waitcnt vmcnt(0)
	ds_write_b32 v4, v3
.LBB135_4:
	s_or_b64 exec, exec, s[0:1]
	s_waitcnt lgkmcnt(0)
	s_add_i32 s1, s11, 15
	s_ashr_i32 s6, s1, 31
	s_lshr_b32 s6, s6, 28
	s_add_i32 s1, s1, s6
	s_ashr_i32 s17, s1, 4
	s_xor_b32 s1, s2, s3
	s_mul_i32 s2, s22, s18
	s_sub_i32 s2, s19, s2
	s_add_i32 s3, s22, 1
	s_sub_i32 s6, s2, s18
	s_load_dwordx2 s[20:21], s[4:5], 0x28
	s_load_dword s0, s[4:5], 0x38
	s_cmp_ge_u32 s2, s18
	s_cselect_b32 s3, s3, s22
	s_cselect_b32 s2, s6, s2
	s_add_i32 s6, s3, 1
	s_cmp_ge_u32 s2, s18
	s_cselect_b32 s2, s6, s3
	v_lshrrev_b32_e32 v15, 6, v0
	s_xor_b32 s2, s2, s1
	s_waitcnt lgkmcnt(0)
	s_mul_i32 s22, s0, s10
	s_sub_i32 s15, s2, s1
	s_ashr_i32 s23, s22, 31
	v_cmp_gt_i32_e64 s[0:1], s17, v15
	v_cmp_le_i32_e32 vcc, s17, v15
	v_mbcnt_lo_u32_b32 v19, -1, 0
	s_barrier
                                        ; implicit-def: $vgpr4
                                        ; implicit-def: $vgpr6
                                        ; implicit-def: $vgpr5
	s_and_saveexec_b64 s[2:3], vcc
	s_xor_b64 s[2:3], exec, s[2:3]
; %bb.5:
	v_mbcnt_hi_u32_b32 v4, -1, v19
	v_and_b32_e32 v6, 64, v4
	v_add_u32_e32 v5, 64, v6
                                        ; implicit-def: $vgpr2
                                        ; implicit-def: $vgpr1
                                        ; implicit-def: $vgpr19
; %bb.6:
	s_or_saveexec_b64 s[6:7], s[2:3]
	s_load_dwordx2 s[18:19], s[4:5], 0x0
	s_load_dwordx2 s[24:25], s[4:5], 0x18
	s_load_dword s12, s[4:5], 0x88
	v_mov_b32_e32 v18, 0xff7fffff
	s_mul_i32 s14, s15, s14
	v_lshrrev_b32_e32 v3, 4, v0
	s_xor_b64 exec, exec, s[6:7]
	s_cbranch_execz .LBB135_12
; %bb.7:
	s_load_dwordx2 s[2:3], s[4:5], 0x10
	s_ashr_i32 s15, s14, 31
	s_lshl_b64 s[4:5], s[14:15], 1
	v_bfe_u32 v18, v0, 2, 4
	v_lshlrev_b32_e32 v4, 4, v18
	s_waitcnt lgkmcnt(0)
	s_add_u32 s2, s2, s4
	s_addc_u32 s3, s3, s5
	v_mov_b32_e32 v5, s3
	v_add_co_u32_e32 v4, vcc, s2, v4
	v_addc_co_u32_e32 v5, vcc, 0, v5, vcc
	v_and_b32_e32 v2, 12, v2
	v_lshlrev_b32_e32 v6, 4, v1
	ds_read_b128 v[20:23], v6
	v_add_co_u32_e32 v7, vcc, v4, v2
	s_sub_i32 s15, 1, s11
	s_lshl_b64 s[2:3], s[22:23], 2
	v_addc_co_u32_e32 v8, vcc, 0, v5, vcc
	s_add_u32 s2, s20, s2
	v_mbcnt_hi_u32_b32 v4, -1, v19
	v_cmp_eq_u32_e32 vcc, 0, v1
	v_and_b32_e32 v1, 60, v3
	s_addc_u32 s3, s21, s3
	v_and_b32_e32 v6, 64, v4
	v_mov_b32_e32 v2, s3
	v_add_co_u32_e64 v1, s[2:3], s2, v1
	v_add_u32_e32 v5, 64, v6
	v_addc_co_u32_e64 v2, s[2:3], 0, v2, s[2:3]
	v_xor_b32_e32 v19, 2, v4
	s_waitcnt lgkmcnt(0)
	v_lshlrev_b32_e32 v9, 16, v20
	v_and_b32_e32 v10, 0xffff0000, v20
	v_cmp_lt_i32_e64 s[2:3], v19, v5
	v_xor_b32_e32 v20, 1, v4
	v_lshlrev_b32_e32 v11, 16, v21
	v_and_b32_e32 v12, 0xffff0000, v21
	v_cndmask_b32_e64 v19, v4, v19, s[2:3]
	v_cmp_lt_i32_e64 s[2:3], v20, v5
	v_lshl_or_b32 v21, v15, 4, v18
	v_lshlrev_b32_e32 v18, 2, v18
	v_cndmask_b32_e64 v20, v4, v20, s[2:3]
	v_lshl_or_b32 v18, v15, 6, v18
	s_mov_b32 s33, s13
	v_lshlrev_b32_e32 v13, 16, v22
	v_and_b32_e32 v14, 0xffff0000, v22
	v_lshlrev_b32_e32 v16, 16, v23
	v_and_b32_e32 v17, 0xffff0000, v23
	v_lshlrev_b32_e32 v19, 2, v19
	v_lshlrev_b32_e32 v20, 2, v20
	v_cmp_neq_f32_e64 s[2:3], s26, 0
	v_add_u32_e32 v22, 0x50, v18
	s_mov_b64 s[28:29], 0
	v_mov_b32_e32 v18, 0xff7fffff
	v_mov_b32_e32 v23, v15
	s_branch .LBB135_9
.LBB135_8:                              ;   in Loop: Header=BB135_9 Depth=1
	s_or_b64 exec, exec, s[30:31]
	v_add_u32_e32 v23, 2, v23
	v_cmp_le_i32_e64 s[4:5], s17, v23
	s_or_b64 s[28:29], s[4:5], s[28:29]
	v_add_co_u32_e64 v1, s[4:5], 8, v1
	v_add_u32_e32 v21, 32, v21
	v_add_u32_e32 v22, 0x80, v22
	v_addc_co_u32_e64 v2, s[4:5], 0, v2, s[4:5]
	s_andn2_b64 exec, exec, s[28:29]
	s_cbranch_execz .LBB135_11
.LBB135_9:                              ; =>This Inner Loop Header: Depth=1
	global_load_dword v24, v[1:2], off
	s_waitcnt vmcnt(0) lgkmcnt(0)
	v_mad_i64_i32 v[24:25], s[4:5], v24, s33, 0
	v_lshlrev_b64 v[24:25], 1, v[24:25]
	v_add_co_u32_e64 v24, s[4:5], v7, v24
	v_addc_co_u32_e64 v25, s[4:5], v8, v25, s[4:5]
	global_load_dword v26, v[24:25], off offset:256
	global_load_dword v27, v[24:25], off offset:512
	;; [unrolled: 1-line block ×3, first 2 shown]
	global_load_dword v29, v[24:25], off
	s_waitcnt vmcnt(3)
	v_lshlrev_b32_e32 v24, 16, v26
	v_and_b32_e32 v26, 0xffff0000, v26
	v_mul_f32_e32 v24, v11, v24
	s_waitcnt vmcnt(0)
	v_lshlrev_b32_e32 v25, 16, v29
	v_and_b32_e32 v29, 0xffff0000, v29
	v_mul_f32_e32 v26, v12, v26
	v_lshlrev_b32_e32 v30, 16, v27
	v_and_b32_e32 v27, 0xffff0000, v27
	v_fmac_f32_e32 v24, v9, v25
	v_fmac_f32_e32 v26, v10, v29
	v_lshlrev_b32_e32 v31, 16, v28
	v_and_b32_e32 v28, 0xffff0000, v28
	v_fmac_f32_e32 v24, v13, v30
	v_fmac_f32_e32 v26, v14, v27
	;; [unrolled: 1-line block ×4, first 2 shown]
	v_add_f32_e32 v24, v24, v26
	ds_bpermute_b32 v25, v19, v24
	s_waitcnt lgkmcnt(0)
	v_add_f32_e32 v24, v24, v25
	ds_bpermute_b32 v25, v20, v24
	s_and_saveexec_b64 s[30:31], vcc
	s_cbranch_execz .LBB135_8
; %bb.10:                               ;   in Loop: Header=BB135_9 Depth=1
	v_add_u32_e32 v26, s15, v21
	v_cvt_f32_i32_e32 v26, v26
	s_waitcnt lgkmcnt(0)
	v_add_f32_e32 v24, v24, v25
	v_cmp_gt_i32_e64 s[4:5], s11, v21
	v_max_f32_e32 v25, v18, v18
	v_mul_f32_e32 v26, s26, v26
	v_cndmask_b32_e64 v26, 0, v26, s[2:3]
	v_fmac_f32_e32 v26, s27, v24
	v_cndmask_b32_e64 v24, 0, v26, s[4:5]
	ds_write_b32 v22, v24
	v_max_f32_e32 v24, v25, v26
	v_cndmask_b32_e64 v18, v18, v24, s[4:5]
	s_branch .LBB135_8
.LBB135_11:
	s_or_b64 exec, exec, s[28:29]
.LBB135_12:
	s_or_b64 exec, exec, s[6:7]
	v_xor_b32_e32 v1, 32, v4
	v_cmp_lt_i32_e32 vcc, v1, v5
	v_cndmask_b32_e32 v1, v4, v1, vcc
	v_lshlrev_b32_e32 v1, 2, v1
	ds_bpermute_b32 v2, v1, v18
	v_xor_b32_e32 v8, 16, v4
	v_max_f32_e32 v7, v18, v18
	v_cmp_lt_i32_e32 vcc, v8, v5
	v_xor_b32_e32 v9, 8, v4
	s_waitcnt lgkmcnt(0)
	v_max_f32_e32 v2, v2, v2
	v_max_f32_e32 v7, v7, v2
	v_cndmask_b32_e32 v2, v4, v8, vcc
	v_lshlrev_b32_e32 v2, 2, v2
	ds_bpermute_b32 v8, v2, v7
	v_cmp_lt_i32_e32 vcc, v9, v5
	v_xor_b32_e32 v10, 4, v4
	v_and_b32_e32 v16, 63, v0
	s_waitcnt lgkmcnt(0)
	v_max_f32_e32 v8, v8, v8
	v_max_f32_e32 v7, v7, v8
	v_cndmask_b32_e32 v8, v4, v9, vcc
	v_lshlrev_b32_e32 v9, 2, v8
	ds_bpermute_b32 v8, v9, v7
	v_cmp_lt_i32_e32 vcc, v10, v5
	s_waitcnt lgkmcnt(0)
	v_max_f32_e32 v8, v8, v8
	v_max_f32_e32 v8, v7, v8
	v_cndmask_b32_e32 v7, v4, v10, vcc
	v_lshlrev_b32_e32 v10, 2, v7
	ds_bpermute_b32 v11, v10, v8
	v_cmp_eq_u32_e32 vcc, 0, v16
	v_lshlrev_b32_e32 v7, 2, v15
	s_and_saveexec_b64 s[2:3], vcc
	s_cbranch_execz .LBB135_14
; %bb.13:
	s_waitcnt lgkmcnt(0)
	v_max_f32_e32 v11, v11, v11
	v_max_f32_e32 v8, v8, v8
	;; [unrolled: 1-line block ×3, first 2 shown]
	ds_write_b32 v7, v8 offset:64
.LBB135_14:
	s_or_b64 exec, exec, s[2:3]
	v_cmp_gt_u32_e64 s[2:3], 2, v16
	s_waitcnt lgkmcnt(0)
	v_mov_b32_e32 v11, 0xff7fffff
	v_lshlrev_b32_e32 v8, 2, v16
	s_barrier
	s_and_saveexec_b64 s[4:5], s[2:3]
; %bb.15:
	ds_read_b32 v11, v8 offset:64
; %bb.16:
	s_or_b64 exec, exec, s[4:5]
	v_xor_b32_e32 v12, 1, v4
	v_cmp_lt_i32_e64 s[4:5], v12, v5
	v_cndmask_b32_e64 v12, v4, v12, s[4:5]
	v_lshlrev_b32_e32 v17, 2, v12
	s_waitcnt lgkmcnt(0)
	ds_bpermute_b32 v12, v17, v11
	v_max_f32_e32 v11, v11, v11
	v_lshlrev_b32_e32 v6, 2, v6
	s_lshl_b32 s4, s17, 4
	s_min_i32 s15, s4, s11
	s_waitcnt lgkmcnt(0)
	v_max_f32_e32 v12, v12, v12
	v_max_f32_e32 v11, v11, v12
	ds_bpermute_b32 v11, v6, v11
	v_cmp_gt_i32_e64 s[4:5], s15, v0
	v_mov_b32_e32 v6, 0
	s_and_saveexec_b64 s[26:27], s[4:5]
	s_cbranch_execz .LBB135_20
; %bb.17:
	v_mov_b32_e32 v6, 0x50
	v_lshl_add_u32 v12, v0, 2, v6
	v_mov_b32_e32 v6, 0
	s_mov_b64 s[28:29], 0
	v_mov_b32_e32 v13, v0
.LBB135_18:                             ; =>This Inner Loop Header: Depth=1
	ds_read_b32 v14, v12
	v_add_u32_e32 v13, 0x80, v13
	v_cmp_le_i32_e64 s[6:7], s15, v13
	s_or_b64 s[28:29], s[6:7], s[28:29]
	s_waitcnt lgkmcnt(0)
	v_sub_f32_e32 v14, v14, v11
	v_mul_f32_e32 v14, 0x3fb8aa3b, v14
	v_exp_f32_e32 v14, v14
	ds_write_b32 v12, v14
	v_add_f32_e32 v6, v6, v14
	v_add_u32_e32 v12, 0x200, v12
	s_andn2_b64 exec, exec, s[28:29]
	s_cbranch_execnz .LBB135_18
; %bb.19:
	s_or_b64 exec, exec, s[28:29]
.LBB135_20:
	s_or_b64 exec, exec, s[26:27]
	ds_bpermute_b32 v1, v1, v6
	s_waitcnt lgkmcnt(0)
	v_add_f32_e32 v1, v6, v1
	ds_bpermute_b32 v2, v2, v1
	v_xor_b32_e32 v6, 2, v4
	v_cmp_lt_i32_e64 s[6:7], v6, v5
	v_cndmask_b32_e64 v5, v4, v6, s[6:7]
	s_waitcnt lgkmcnt(0)
	v_add_f32_e32 v1, v1, v2
	ds_bpermute_b32 v2, v9, v1
	s_waitcnt lgkmcnt(0)
	v_add_f32_e32 v1, v1, v2
	ds_bpermute_b32 v2, v10, v1
	s_waitcnt lgkmcnt(0)
	v_add_f32_e32 v1, v1, v2
	v_lshlrev_b32_e32 v2, 2, v5
	ds_bpermute_b32 v2, v2, v1
	s_waitcnt lgkmcnt(0)
	v_add_f32_e32 v1, v1, v2
	ds_bpermute_b32 v2, v17, v1
	s_waitcnt lgkmcnt(0)
	v_add_f32_e32 v1, v1, v2
	s_and_saveexec_b64 s[6:7], vcc
; %bb.21:
	ds_write_b32 v7, v1 offset:72
; %bb.22:
	s_or_b64 exec, exec, s[6:7]
	s_waitcnt lgkmcnt(0)
	s_barrier
	s_and_saveexec_b64 s[6:7], s[2:3]
; %bb.23:
	ds_read_b32 v1, v8 offset:72
; %bb.24:
	s_or_b64 exec, exec, s[6:7]
	s_waitcnt lgkmcnt(0)
	ds_bpermute_b32 v2, v17, v1
	v_lshlrev_b32_e32 v4, 2, v4
	s_waitcnt lgkmcnt(0)
	v_add_f32_e32 v1, v1, v2
	v_and_b32_e32 v2, 0xffffff00, v4
	ds_bpermute_b32 v1, v2, v1
	s_and_saveexec_b64 s[2:3], s[4:5]
	s_cbranch_execz .LBB135_27
; %bb.25:
	s_waitcnt lgkmcnt(0)
	v_add_f32_e32 v2, 0x358637bd, v1
	v_div_scale_f32 v1, s[4:5], v2, v2, 1.0
	v_div_scale_f32 v4, vcc, 1.0, v2, 1.0
	s_mov_b64 s[4:5], 0
	v_rcp_f32_e32 v5, v1
	v_fma_f32 v6, -v1, v5, 1.0
	v_fmac_f32_e32 v5, v6, v5
	v_mul_f32_e32 v6, v4, v5
	v_fma_f32 v7, -v1, v6, v4
	v_fmac_f32_e32 v6, v7, v5
	v_fma_f32 v1, -v1, v6, v4
	v_div_fmas_f32 v4, v1, v5, v6
	v_mov_b32_e32 v1, 0x50
	v_lshl_add_u32 v1, v0, 2, v1
	v_div_fixup_f32 v2, v4, v2, 1.0
	v_mov_b32_e32 v4, v0
.LBB135_26:                             ; =>This Inner Loop Header: Depth=1
	ds_read_b32 v5, v1
	v_add_u32_e32 v4, 0x80, v4
	v_cmp_le_i32_e32 vcc, s15, v4
	s_or_b64 s[4:5], vcc, s[4:5]
	s_waitcnt lgkmcnt(0)
	v_mul_f32_e32 v5, v2, v5
	ds_write_b32 v1, v5
	v_add_u32_e32 v1, 0x200, v1
	s_andn2_b64 exec, exec, s[4:5]
	s_cbranch_execnz .LBB135_26
.LBB135_27:
	s_or_b64 exec, exec, s[2:3]
	v_mov_b32_e32 v21, 0
	s_waitcnt lgkmcnt(0)
	s_barrier
	s_and_saveexec_b64 s[2:3], s[0:1]
	s_cbranch_execz .LBB135_33
; %bb.28:
	s_ashr_i32 s15, s14, 31
	v_lshlrev_b32_e32 v1, 3, v0
	s_lshl_b64 s[0:1], s[14:15], 1
	v_and_b32_e32 v1, 8, v1
	s_add_u32 s0, s24, s0
	v_lshlrev_b32_e32 v2, 4, v0
	s_addc_u32 s1, s25, s1
	v_and_b32_e32 v2, 0x3f0, v2
	v_lshl_or_b32 v22, v15, 4, v1
	v_and_b32_e32 v1, 1, v0
	v_mov_b32_e32 v4, s1
	v_add_co_u32_e32 v19, vcc, s0, v2
	s_add_i32 s14, s17, -1
	v_lshlrev_b32_e32 v1, 5, v1
	s_lshl_b64 s[0:1], s[22:23], 2
	v_lshl_or_b32 v1, v15, 6, v1
	s_add_u32 s0, s20, s0
	v_addc_co_u32_e32 v20, vcc, 0, v4, vcc
	v_add_u32_e32 v23, 0x50, v1
	v_and_b32_e32 v1, 60, v3
	s_addc_u32 s1, s21, s1
	v_mov_b32_e32 v2, s1
	v_add_co_u32_e32 v13, vcc, s0, v1
	v_mov_b32_e32 v18, 0
	s_mov_b32 s15, s11
	v_addc_co_u32_e32 v14, vcc, 0, v2, vcc
	s_mov_b64 s[4:5], 0
	s_mov_b32 s20, 0x5040100
	s_movk_i32 s21, 0x7fff
	v_mov_b32_e32 v21, 0
	s_branch .LBB135_30
.LBB135_29:                             ;   in Loop: Header=BB135_30 Depth=1
	s_or_b64 exec, exec, s[6:7]
	s_waitcnt lgkmcnt(1)
	v_bfe_u32 v24, v9, 16, 1
	v_add3_u32 v24, v24, v9, s21
	v_or_b32_e32 v25, 0x400000, v9
	v_cmp_u_f32_e32 vcc, v9, v9
	v_cndmask_b32_e32 v9, v24, v25, vcc
	v_bfe_u32 v24, v10, 16, 1
	v_add3_u32 v24, v24, v10, s21
	v_or_b32_e32 v25, 0x400000, v10
	v_cmp_u_f32_e32 vcc, v10, v10
	v_cndmask_b32_e32 v10, v24, v25, vcc
	;; [unrolled: 5-line block ×4, first 2 shown]
	s_waitcnt lgkmcnt(0)
	v_bfe_u32 v24, v5, 16, 1
	v_add3_u32 v24, v24, v5, s21
	v_or_b32_e32 v25, 0x400000, v5
	v_cmp_u_f32_e32 vcc, v5, v5
	v_cndmask_b32_e32 v5, v24, v25, vcc
	v_bfe_u32 v24, v6, 16, 1
	v_add3_u32 v24, v24, v6, s21
	v_or_b32_e32 v25, 0x400000, v6
	v_cmp_u_f32_e32 vcc, v6, v6
	v_cndmask_b32_e32 v6, v24, v25, vcc
	;; [unrolled: 5-line block ×4, first 2 shown]
	v_and_b32_e32 v9, 0xffff0000, v9
	s_waitcnt vmcnt(0)
	v_lshlrev_b32_e32 v24, 16, v1
	v_mul_f32_e32 v9, v9, v24
	v_and_b32_e32 v10, 0xffff0000, v10
	v_and_b32_e32 v1, 0xffff0000, v1
	v_bfe_u32 v24, v9, 16, 1
	v_mul_f32_e32 v1, v10, v1
	v_add3_u32 v24, v24, v9, s21
	v_or_b32_e32 v25, 0x400000, v9
	v_cmp_u_f32_e32 vcc, v9, v9
	v_bfe_u32 v10, v1, 16, 1
	v_cndmask_b32_e32 v9, v24, v25, vcc
	v_add3_u32 v10, v10, v1, s21
	v_or_b32_e32 v24, 0x400000, v1
	v_cmp_u_f32_e32 vcc, v1, v1
	v_cndmask_b32_e32 v1, v10, v24, vcc
	v_and_b32_e32 v10, 0xffff0000, v11
	v_lshlrev_b32_e32 v11, 16, v2
	v_mul_f32_e32 v10, v10, v11
	v_bfe_u32 v11, v10, 16, 1
	v_add3_u32 v11, v11, v10, s21
	v_or_b32_e32 v24, 0x400000, v10
	v_cmp_u_f32_e32 vcc, v10, v10
	v_cndmask_b32_e32 v10, v11, v24, vcc
	v_and_b32_e32 v11, 0xffff0000, v12
	v_and_b32_e32 v2, 0xffff0000, v2
	v_mul_f32_e32 v2, v11, v2
	v_bfe_u32 v11, v2, 16, 1
	v_add3_u32 v11, v11, v2, s21
	v_or_b32_e32 v12, 0x400000, v2
	v_cmp_u_f32_e32 vcc, v2, v2
	v_cndmask_b32_e32 v2, v11, v12, vcc
	v_and_b32_e32 v5, 0xffff0000, v5
	v_lshlrev_b32_e32 v11, 16, v3
	v_mul_f32_e32 v5, v5, v11
	v_and_b32_e32 v6, 0xffff0000, v6
	v_and_b32_e32 v3, 0xffff0000, v3
	v_bfe_u32 v11, v5, 16, 1
	v_mul_f32_e32 v3, v6, v3
	v_add3_u32 v11, v11, v5, s21
	v_or_b32_e32 v12, 0x400000, v5
	v_cmp_u_f32_e32 vcc, v5, v5
	v_bfe_u32 v6, v3, 16, 1
	v_cndmask_b32_e32 v5, v11, v12, vcc
	v_add3_u32 v6, v6, v3, s21
	v_or_b32_e32 v11, 0x400000, v3
	v_cmp_u_f32_e32 vcc, v3, v3
	v_cndmask_b32_e32 v3, v6, v11, vcc
	v_and_b32_e32 v6, 0xffff0000, v7
	v_lshlrev_b32_e32 v7, 16, v4
	v_mul_f32_e32 v6, v6, v7
	v_bfe_u32 v7, v6, 16, 1
	v_add3_u32 v7, v7, v6, s21
	v_or_b32_e32 v11, 0x400000, v6
	v_cmp_u_f32_e32 vcc, v6, v6
	v_cndmask_b32_e32 v6, v7, v11, vcc
	v_and_b32_e32 v7, 0xffff0000, v8
	v_and_b32_e32 v4, 0xffff0000, v4
	v_mul_f32_e32 v4, v7, v4
	v_bfe_u32 v7, v4, 16, 1
	v_add3_u32 v7, v7, v4, s21
	v_or_b32_e32 v8, 0x400000, v4
	v_cmp_u_f32_e32 vcc, v4, v4
	v_cndmask_b32_e32 v4, v7, v8, vcc
	v_and_b32_e32 v1, 0xffff0000, v1
	v_and_b32_e32 v7, 0xffff0000, v9
	v_add_f32_e32 v1, v7, v1
	v_and_b32_e32 v2, 0xffff0000, v2
	v_and_b32_e32 v7, 0xffff0000, v10
	v_add_f32_e32 v2, v7, v2
	v_add_f32_e32 v1, v2, v1
	v_and_b32_e32 v2, 0xffff0000, v3
	v_and_b32_e32 v3, 0xffff0000, v5
	v_add_f32_e32 v2, v3, v2
	v_add_f32_e32 v1, v2, v1
	v_and_b32_e32 v2, 0xffff0000, v4
	v_and_b32_e32 v3, 0xffff0000, v6
	v_add_u32_e32 v15, 2, v15
	v_add_f32_e32 v2, v3, v2
	v_cmp_le_i32_e32 vcc, s17, v15
	v_add_f32_e32 v1, v2, v1
	s_or_b64 s[4:5], vcc, s[4:5]
	v_add_co_u32_e32 v13, vcc, 8, v13
	v_add_f32_e32 v21, v21, v1
	v_add_u32_e32 v22, 32, v22
	v_add_u32_e32 v23, 0x80, v23
	v_addc_co_u32_e32 v14, vcc, 0, v14, vcc
	s_andn2_b64 exec, exec, s[4:5]
	s_cbranch_execz .LBB135_32
.LBB135_30:                             ; =>This Inner Loop Header: Depth=1
	global_load_dword v1, v[13:14], off
	s_waitcnt vmcnt(0)
	v_mad_i64_i32 v[1:2], s[0:1], v1, s13, 0
	v_lshlrev_b64 v[1:2], 1, v[1:2]
	v_add_co_u32_e32 v1, vcc, v19, v1
	v_addc_co_u32_e32 v2, vcc, v20, v2, vcc
	global_load_dwordx4 v[1:4], v[1:2], off
	ds_read2_b64 v[9:12], v23 offset1:1
	ds_read2_b64 v[5:8], v23 offset0:2 offset1:3
	v_cmp_eq_u32_e32 vcc, s14, v15
	s_and_saveexec_b64 s[6:7], vcc
	s_cbranch_execz .LBB135_29
; %bb.31:                               ;   in Loop: Header=BB135_30 Depth=1
	v_add_u32_e32 v24, 1, v22
	v_cmp_gt_i32_e32 vcc, s15, v24
	s_waitcnt vmcnt(0)
	v_cndmask_b32_sdwa v24, v18, v1, vcc dst_sel:DWORD dst_unused:UNUSED_PAD src0_sel:DWORD src1_sel:WORD_1
	v_cmp_gt_i32_e32 vcc, s11, v22
	v_cndmask_b32_e32 v1, 0, v1, vcc
	v_perm_b32 v1, v24, v1, s20
	v_or_b32_e32 v24, 3, v22
	v_or_b32_e32 v25, 2, v22
	v_cmp_gt_i32_e32 vcc, s15, v24
	v_cmp_gt_i32_e64 s[0:1], s11, v25
	v_cndmask_b32_e64 v24, 0, v2, s[0:1]
	v_cndmask_b32_sdwa v2, v18, v2, vcc dst_sel:DWORD dst_unused:UNUSED_PAD src0_sel:DWORD src1_sel:WORD_1
	v_perm_b32 v2, v2, v24, s20
	v_or_b32_e32 v24, 5, v22
	v_or_b32_e32 v25, 4, v22
	v_cmp_gt_i32_e32 vcc, s15, v24
	v_cmp_gt_i32_e64 s[0:1], s11, v25
	v_cndmask_b32_e64 v24, 0, v3, s[0:1]
	v_cndmask_b32_sdwa v3, v18, v3, vcc dst_sel:DWORD dst_unused:UNUSED_PAD src0_sel:DWORD src1_sel:WORD_1
	;; [unrolled: 7-line block ×3, first 2 shown]
	v_perm_b32 v4, v4, v24, s20
	s_branch .LBB135_29
.LBB135_32:
	s_or_b64 exec, exec, s[4:5]
.LBB135_33:
	s_or_b64 exec, exec, s[2:3]
	ds_bpermute_b32 v1, v17, v21
	v_and_b32_e32 v2, 0x3c1, v0
	v_cmp_eq_u32_e32 vcc, 64, v2
	s_waitcnt lgkmcnt(0)
	s_barrier
	v_add_f32_e32 v1, v21, v1
	s_and_saveexec_b64 s[0:1], vcc
; %bb.34:
	v_mov_b32_e32 v3, 0x50
	v_lshl_add_u32 v3, v16, 1, v3
	ds_write_b32 v3, v1
; %bb.35:
	s_or_b64 exec, exec, s[0:1]
	v_lshrrev_b32_e32 v0, 1, v0
	v_cmp_eq_u32_e32 vcc, 0, v2
	s_waitcnt lgkmcnt(0)
	s_barrier
	s_and_saveexec_b64 s[0:1], vcc
	s_cbranch_execz .LBB135_37
; %bb.36:
	v_mov_b32_e32 v2, 0x50
	v_lshl_add_u32 v2, v0, 2, v2
	ds_read_b32 v2, v2
	s_waitcnt lgkmcnt(0)
	v_add_f32_e32 v1, v1, v2
.LBB135_37:
	s_or_b64 exec, exec, s[0:1]
	s_barrier
	s_and_saveexec_b64 s[0:1], vcc
	s_cbranch_execz .LBB135_39
; %bb.38:
	s_mul_i32 s0, s10, s12
	s_mul_i32 s0, s0, s9
	s_lshl_b32 s0, s0, 5
	s_ashr_i32 s1, s0, 31
	s_lshl_b64 s[0:1], s[0:1], 1
	s_add_u32 s2, s18, s0
	s_mul_i32 s0, s12, s16
	s_addc_u32 s3, s19, s1
	s_ashr_i32 s1, s0, 31
	s_lshl_b64 s[0:1], s[0:1], 1
	s_add_u32 s2, s2, s0
	s_addc_u32 s3, s3, s1
	s_lshl_b32 s0, s8, 5
	s_ashr_i32 s1, s0, 31
	s_lshl_b64 s[0:1], s[0:1], 1
	s_add_u32 s0, s2, s0
	v_bfe_u32 v2, v1, 16, 1
	s_movk_i32 s2, 0x7fff
	v_add3_u32 v2, v2, v1, s2
	v_or_b32_e32 v3, 0x400000, v1
	v_cmp_u_f32_e32 vcc, v1, v1
	s_addc_u32 s1, s3, s1
	v_lshlrev_b32_e32 v0, 1, v0
	v_cndmask_b32_e32 v1, v2, v3, vcc
	global_store_short_d16_hi v0, v1, s[0:1]
.LBB135_39:
	s_endpgm
	.section	.rodata,"a",@progbits
	.p2align	6, 0x0
	.amdhsa_kernel _ZN4vllm25paged_attention_v1_kernelI14__hip_bfloat16S1_Li32ELi16ELi128ELNS_18Fp8KVCacheDataTypeE0ELb0EEEvPT_PKS3_PKT0_S9_ifPKiSB_iPKfiiiSD_SD_iiiii
		.amdhsa_group_segment_fixed_size 80
		.amdhsa_private_segment_fixed_size 0
		.amdhsa_kernarg_size 384
		.amdhsa_user_sgpr_count 6
		.amdhsa_user_sgpr_private_segment_buffer 1
		.amdhsa_user_sgpr_dispatch_ptr 0
		.amdhsa_user_sgpr_queue_ptr 0
		.amdhsa_user_sgpr_kernarg_segment_ptr 1
		.amdhsa_user_sgpr_dispatch_id 0
		.amdhsa_user_sgpr_flat_scratch_init 0
		.amdhsa_user_sgpr_private_segment_size 0
		.amdhsa_uses_dynamic_stack 0
		.amdhsa_system_sgpr_private_segment_wavefront_offset 0
		.amdhsa_system_sgpr_workgroup_id_x 1
		.amdhsa_system_sgpr_workgroup_id_y 1
		.amdhsa_system_sgpr_workgroup_id_z 1
		.amdhsa_system_sgpr_workgroup_info 0
		.amdhsa_system_vgpr_workitem_id 0
		.amdhsa_next_free_vgpr 32
		.amdhsa_next_free_sgpr 34
		.amdhsa_reserve_vcc 1
		.amdhsa_reserve_flat_scratch 0
		.amdhsa_float_round_mode_32 0
		.amdhsa_float_round_mode_16_64 0
		.amdhsa_float_denorm_mode_32 3
		.amdhsa_float_denorm_mode_16_64 3
		.amdhsa_dx10_clamp 1
		.amdhsa_ieee_mode 1
		.amdhsa_fp16_overflow 0
		.amdhsa_exception_fp_ieee_invalid_op 0
		.amdhsa_exception_fp_denorm_src 0
		.amdhsa_exception_fp_ieee_div_zero 0
		.amdhsa_exception_fp_ieee_overflow 0
		.amdhsa_exception_fp_ieee_underflow 0
		.amdhsa_exception_fp_ieee_inexact 0
		.amdhsa_exception_int_div_zero 0
	.end_amdhsa_kernel
	.section	.text._ZN4vllm25paged_attention_v1_kernelI14__hip_bfloat16S1_Li32ELi16ELi128ELNS_18Fp8KVCacheDataTypeE0ELb0EEEvPT_PKS3_PKT0_S9_ifPKiSB_iPKfiiiSD_SD_iiiii,"axG",@progbits,_ZN4vllm25paged_attention_v1_kernelI14__hip_bfloat16S1_Li32ELi16ELi128ELNS_18Fp8KVCacheDataTypeE0ELb0EEEvPT_PKS3_PKT0_S9_ifPKiSB_iPKfiiiSD_SD_iiiii,comdat
.Lfunc_end135:
	.size	_ZN4vllm25paged_attention_v1_kernelI14__hip_bfloat16S1_Li32ELi16ELi128ELNS_18Fp8KVCacheDataTypeE0ELb0EEEvPT_PKS3_PKT0_S9_ifPKiSB_iPKfiiiSD_SD_iiiii, .Lfunc_end135-_ZN4vllm25paged_attention_v1_kernelI14__hip_bfloat16S1_Li32ELi16ELi128ELNS_18Fp8KVCacheDataTypeE0ELb0EEEvPT_PKS3_PKT0_S9_ifPKiSB_iPKfiiiSD_SD_iiiii
                                        ; -- End function
	.set _ZN4vllm25paged_attention_v1_kernelI14__hip_bfloat16S1_Li32ELi16ELi128ELNS_18Fp8KVCacheDataTypeE0ELb0EEEvPT_PKS3_PKT0_S9_ifPKiSB_iPKfiiiSD_SD_iiiii.num_vgpr, 32
	.set _ZN4vllm25paged_attention_v1_kernelI14__hip_bfloat16S1_Li32ELi16ELi128ELNS_18Fp8KVCacheDataTypeE0ELb0EEEvPT_PKS3_PKT0_S9_ifPKiSB_iPKfiiiSD_SD_iiiii.num_agpr, 0
	.set _ZN4vllm25paged_attention_v1_kernelI14__hip_bfloat16S1_Li32ELi16ELi128ELNS_18Fp8KVCacheDataTypeE0ELb0EEEvPT_PKS3_PKT0_S9_ifPKiSB_iPKfiiiSD_SD_iiiii.numbered_sgpr, 34
	.set _ZN4vllm25paged_attention_v1_kernelI14__hip_bfloat16S1_Li32ELi16ELi128ELNS_18Fp8KVCacheDataTypeE0ELb0EEEvPT_PKS3_PKT0_S9_ifPKiSB_iPKfiiiSD_SD_iiiii.num_named_barrier, 0
	.set _ZN4vllm25paged_attention_v1_kernelI14__hip_bfloat16S1_Li32ELi16ELi128ELNS_18Fp8KVCacheDataTypeE0ELb0EEEvPT_PKS3_PKT0_S9_ifPKiSB_iPKfiiiSD_SD_iiiii.private_seg_size, 0
	.set _ZN4vllm25paged_attention_v1_kernelI14__hip_bfloat16S1_Li32ELi16ELi128ELNS_18Fp8KVCacheDataTypeE0ELb0EEEvPT_PKS3_PKT0_S9_ifPKiSB_iPKfiiiSD_SD_iiiii.uses_vcc, 1
	.set _ZN4vllm25paged_attention_v1_kernelI14__hip_bfloat16S1_Li32ELi16ELi128ELNS_18Fp8KVCacheDataTypeE0ELb0EEEvPT_PKS3_PKT0_S9_ifPKiSB_iPKfiiiSD_SD_iiiii.uses_flat_scratch, 0
	.set _ZN4vllm25paged_attention_v1_kernelI14__hip_bfloat16S1_Li32ELi16ELi128ELNS_18Fp8KVCacheDataTypeE0ELb0EEEvPT_PKS3_PKT0_S9_ifPKiSB_iPKfiiiSD_SD_iiiii.has_dyn_sized_stack, 0
	.set _ZN4vllm25paged_attention_v1_kernelI14__hip_bfloat16S1_Li32ELi16ELi128ELNS_18Fp8KVCacheDataTypeE0ELb0EEEvPT_PKS3_PKT0_S9_ifPKiSB_iPKfiiiSD_SD_iiiii.has_recursion, 0
	.set _ZN4vllm25paged_attention_v1_kernelI14__hip_bfloat16S1_Li32ELi16ELi128ELNS_18Fp8KVCacheDataTypeE0ELb0EEEvPT_PKS3_PKT0_S9_ifPKiSB_iPKfiiiSD_SD_iiiii.has_indirect_call, 0
	.section	.AMDGPU.csdata,"",@progbits
; Kernel info:
; codeLenInByte = 3524
; TotalNumSgprs: 38
; NumVgprs: 32
; ScratchSize: 0
; MemoryBound: 0
; FloatMode: 240
; IeeeMode: 1
; LDSByteSize: 80 bytes/workgroup (compile time only)
; SGPRBlocks: 4
; VGPRBlocks: 7
; NumSGPRsForWavesPerEU: 38
; NumVGPRsForWavesPerEU: 32
; Occupancy: 8
; WaveLimiterHint : 1
; COMPUTE_PGM_RSRC2:SCRATCH_EN: 0
; COMPUTE_PGM_RSRC2:USER_SGPR: 6
; COMPUTE_PGM_RSRC2:TRAP_HANDLER: 0
; COMPUTE_PGM_RSRC2:TGID_X_EN: 1
; COMPUTE_PGM_RSRC2:TGID_Y_EN: 1
; COMPUTE_PGM_RSRC2:TGID_Z_EN: 1
; COMPUTE_PGM_RSRC2:TIDIG_COMP_CNT: 0
	.section	.text._ZN4vllm25paged_attention_v1_kernelI14__hip_bfloat16S1_Li64ELi16ELi128ELNS_18Fp8KVCacheDataTypeE0ELb0EEEvPT_PKS3_PKT0_S9_ifPKiSB_iPKfiiiSD_SD_iiiii,"axG",@progbits,_ZN4vllm25paged_attention_v1_kernelI14__hip_bfloat16S1_Li64ELi16ELi128ELNS_18Fp8KVCacheDataTypeE0ELb0EEEvPT_PKS3_PKT0_S9_ifPKiSB_iPKfiiiSD_SD_iiiii,comdat
	.protected	_ZN4vllm25paged_attention_v1_kernelI14__hip_bfloat16S1_Li64ELi16ELi128ELNS_18Fp8KVCacheDataTypeE0ELb0EEEvPT_PKS3_PKT0_S9_ifPKiSB_iPKfiiiSD_SD_iiiii ; -- Begin function _ZN4vllm25paged_attention_v1_kernelI14__hip_bfloat16S1_Li64ELi16ELi128ELNS_18Fp8KVCacheDataTypeE0ELb0EEEvPT_PKS3_PKT0_S9_ifPKiSB_iPKfiiiSD_SD_iiiii
	.globl	_ZN4vllm25paged_attention_v1_kernelI14__hip_bfloat16S1_Li64ELi16ELi128ELNS_18Fp8KVCacheDataTypeE0ELb0EEEvPT_PKS3_PKT0_S9_ifPKiSB_iPKfiiiSD_SD_iiiii
	.p2align	8
	.type	_ZN4vllm25paged_attention_v1_kernelI14__hip_bfloat16S1_Li64ELi16ELi128ELNS_18Fp8KVCacheDataTypeE0ELb0EEEvPT_PKS3_PKT0_S9_ifPKiSB_iPKfiiiSD_SD_iiiii,@function
_ZN4vllm25paged_attention_v1_kernelI14__hip_bfloat16S1_Li64ELi16ELi128ELNS_18Fp8KVCacheDataTypeE0ELb0EEEvPT_PKS3_PKT0_S9_ifPKiSB_iPKfiiiSD_SD_iiiii: ; @_ZN4vllm25paged_attention_v1_kernelI14__hip_bfloat16S1_Li64ELi16ELi128ELNS_18Fp8KVCacheDataTypeE0ELb0EEEvPT_PKS3_PKT0_S9_ifPKiSB_iPKfiiiSD_SD_iiiii
; %bb.0:
	s_load_dword s9, s[4:5], 0x80
	s_load_dwordx2 s[0:1], s[4:5], 0x30
	s_load_dwordx2 s[26:27], s[4:5], 0x20
	s_mov_b32 s10, s7
	s_ashr_i32 s11, s7, 31
	s_lshl_b64 s[2:3], s[10:11], 2
	s_waitcnt lgkmcnt(0)
	s_add_u32 s0, s0, s2
	s_addc_u32 s1, s1, s3
	s_abs_i32 s2, s26
	v_cvt_f32_u32_e32 v1, s2
	s_sub_i32 s11, 0, s2
	s_abs_i32 s7, s9
	s_xor_b32 s3, s9, s26
	v_rcp_iflag_f32_e32 v1, v1
	s_ashr_i32 s3, s3, 31
	s_mov_b32 s26, 0
	v_mul_f32_e32 v1, 0x4f7ffffe, v1
	v_cvt_u32_f32_e32 v1, v1
	v_readfirstlane_b32 s12, v1
	s_mul_i32 s11, s11, s12
	s_mul_hi_u32 s11, s12, s11
	s_add_i32 s12, s12, s11
	s_mul_hi_u32 s11, s7, s12
	s_mul_i32 s12, s11, s2
	s_sub_i32 s7, s7, s12
	s_add_i32 s12, s11, 1
	s_sub_i32 s13, s7, s2
	s_cmp_ge_u32 s7, s2
	s_cselect_b32 s11, s12, s11
	s_cselect_b32 s7, s13, s7
	s_add_i32 s12, s11, 1
	s_cmp_ge_u32 s7, s2
	s_cselect_b32 s2, s12, s11
	s_xor_b32 s2, s2, s3
	s_sub_i32 s12, s2, s3
	s_abs_i32 s11, s12
	v_cvt_f32_u32_e32 v1, s11
	s_load_dwordx2 s[2:3], s[4:5], 0x40
	s_sub_i32 s7, 0, s11
	s_abs_i32 s18, s6
	v_rcp_iflag_f32_e32 v1, v1
	v_mul_f32_e32 v1, 0x4f7ffffe, v1
	v_cvt_u32_f32_e32 v1, v1
	v_readfirstlane_b32 s13, v1
	s_mul_i32 s7, s7, s13
	s_mul_hi_u32 s7, s13, s7
	s_add_i32 s13, s13, s7
	s_waitcnt lgkmcnt(0)
	s_cmp_eq_u64 s[2:3], 0
	s_mul_hi_u32 s19, s18, s13
	s_cbranch_scc1 .LBB136_2
; %bb.1:
	s_ashr_i32 s7, s6, 31
	s_lshl_b64 s[14:15], s[6:7], 2
	s_add_u32 s2, s2, s14
	s_addc_u32 s3, s3, s15
	s_load_dword s26, s[2:3], 0x0
.LBB136_2:
	s_load_dword s33, s[0:1], 0x0
	s_ashr_i32 s3, s12, 31
	s_load_dwordx4 s[12:15], s[4:5], 0x48
	s_ashr_i32 s2, s6, 31
	v_and_b32_e32 v1, 3, v0
	s_lshl_b32 s16, s6, 6
	v_cmp_gt_u32_e32 vcc, 32, v0
	v_lshlrev_b32_e32 v2, 2, v0
	s_and_saveexec_b64 s[0:1], vcc
	s_cbranch_execz .LBB136_4
; %bb.3:
	s_load_dwordx2 s[6:7], s[4:5], 0x8
	s_waitcnt lgkmcnt(0)
	s_mul_i32 s20, s12, s10
	s_ashr_i32 s21, s20, 31
	s_lshl_b64 s[20:21], s[20:21], 1
	v_and_b32_e32 v4, 0x3fc, v0
	s_add_u32 s12, s6, s20
	s_addc_u32 s15, s7, s21
	s_ashr_i32 s17, s16, 31
	s_lshl_b64 s[6:7], s[16:17], 1
	s_add_u32 s6, s12, s6
	s_addc_u32 s7, s15, s7
	global_load_dword v3, v2, s[6:7]
	v_lshl_add_u32 v4, v1, 5, v4
	s_waitcnt vmcnt(0)
	ds_write_b32 v4, v3
.LBB136_4:
	s_or_b64 exec, exec, s[0:1]
	s_waitcnt lgkmcnt(0)
	s_add_i32 s1, s33, 15
	s_ashr_i32 s6, s1, 31
	s_lshr_b32 s6, s6, 28
	s_add_i32 s1, s1, s6
	s_ashr_i32 s17, s1, 4
	s_xor_b32 s1, s2, s3
	s_mul_i32 s2, s19, s11
	s_sub_i32 s2, s18, s2
	s_add_i32 s3, s19, 1
	s_sub_i32 s6, s2, s11
	s_load_dwordx2 s[20:21], s[4:5], 0x28
	s_load_dword s0, s[4:5], 0x38
	s_cmp_ge_u32 s2, s11
	s_cselect_b32 s3, s3, s19
	s_cselect_b32 s2, s6, s2
	s_add_i32 s6, s3, 1
	s_cmp_ge_u32 s2, s11
	s_cselect_b32 s2, s6, s3
	v_lshrrev_b32_e32 v19, 6, v0
	s_xor_b32 s2, s2, s1
	s_waitcnt lgkmcnt(0)
	s_mul_i32 s22, s0, s10
	s_sub_i32 s12, s2, s1
	s_ashr_i32 s23, s22, 31
	v_cmp_gt_i32_e64 s[0:1], s17, v19
	v_cmp_le_i32_e32 vcc, s17, v19
	v_mbcnt_lo_u32_b32 v27, -1, 0
	s_barrier
                                        ; implicit-def: $vgpr4
                                        ; implicit-def: $vgpr6
                                        ; implicit-def: $vgpr5
	s_and_saveexec_b64 s[2:3], vcc
	s_xor_b64 s[2:3], exec, s[2:3]
; %bb.5:
	v_mbcnt_hi_u32_b32 v4, -1, v27
	v_and_b32_e32 v6, 64, v4
	v_add_u32_e32 v5, 64, v6
                                        ; implicit-def: $vgpr2
                                        ; implicit-def: $vgpr1
                                        ; implicit-def: $vgpr27
; %bb.6:
	s_or_saveexec_b64 s[6:7], s[2:3]
	s_load_dwordx2 s[18:19], s[4:5], 0x0
	s_load_dwordx2 s[24:25], s[4:5], 0x18
	s_load_dword s11, s[4:5], 0x88
	v_mov_b32_e32 v24, 0xff7fffff
	s_mul_i32 s14, s12, s14
	v_lshrrev_b32_e32 v3, 4, v0
	s_xor_b64 exec, exec, s[6:7]
	s_cbranch_execz .LBB136_12
; %bb.7:
	s_load_dwordx2 s[2:3], s[4:5], 0x10
	s_ashr_i32 s15, s14, 31
	s_lshl_b64 s[4:5], s[14:15], 1
	v_lshlrev_b32_e32 v4, 5, v1
	v_bfe_u32 v24, v0, 2, 4
	s_waitcnt lgkmcnt(0)
	s_add_u32 s2, s2, s4
	ds_read_b128 v[11:14], v4
	ds_read_b128 v[20:23], v4 offset:16
	s_addc_u32 s3, s3, s5
	v_lshlrev_b32_e32 v4, 4, v24
	v_mov_b32_e32 v5, s3
	v_add_co_u32_e32 v4, vcc, s2, v4
	s_sub_i32 s12, 1, s33
	s_lshl_b64 s[2:3], s[22:23], 2
	v_addc_co_u32_e32 v5, vcc, 0, v5, vcc
	s_add_u32 s2, s20, s2
	v_cmp_eq_u32_e32 vcc, 0, v1
	s_addc_u32 s3, s21, s3
	v_and_b32_e32 v1, 60, v3
	v_and_b32_e32 v6, 12, v2
	v_mov_b32_e32 v2, s3
	v_add_co_u32_e64 v1, s[2:3], s2, v1
	v_addc_co_u32_e64 v2, s[2:3], 0, v2, s[2:3]
	v_add_co_u32_e64 v25, s[2:3], v4, v6
	v_mbcnt_hi_u32_b32 v4, -1, v27
	v_and_b32_e32 v6, 64, v4
	v_addc_co_u32_e64 v26, s[2:3], 0, v5, s[2:3]
	v_add_u32_e32 v5, 64, v6
	v_xor_b32_e32 v27, 2, v4
	v_cmp_lt_i32_e64 s[2:3], v27, v5
	v_xor_b32_e32 v28, 1, v4
	v_cndmask_b32_e64 v27, v4, v27, s[2:3]
	v_cmp_lt_i32_e64 s[2:3], v28, v5
	v_lshl_or_b32 v29, v19, 4, v24
	v_lshlrev_b32_e32 v24, 2, v24
	v_cndmask_b32_e64 v28, v4, v28, s[2:3]
	v_lshl_or_b32 v24, v19, 6, v24
	s_waitcnt lgkmcnt(1)
	v_lshlrev_b32_e32 v7, 16, v11
	v_and_b32_e32 v8, 0xffff0000, v11
	v_lshlrev_b32_e32 v9, 16, v12
	v_and_b32_e32 v10, 0xffff0000, v12
	;; [unrolled: 2-line block ×4, first 2 shown]
	s_waitcnt lgkmcnt(0)
	v_lshlrev_b32_e32 v15, 16, v20
	v_and_b32_e32 v16, 0xffff0000, v20
	v_lshlrev_b32_e32 v17, 16, v21
	v_and_b32_e32 v18, 0xffff0000, v21
	v_lshlrev_b32_e32 v20, 16, v22
	v_and_b32_e32 v21, 0xffff0000, v22
	v_lshlrev_b32_e32 v22, 16, v23
	v_and_b32_e32 v23, 0xffff0000, v23
	s_mov_b32 s15, s13
	v_lshlrev_b32_e32 v27, 2, v27
	v_lshlrev_b32_e32 v28, 2, v28
	v_cmp_neq_f32_e64 s[2:3], s26, 0
	v_add_u32_e32 v30, 0x90, v24
	s_mov_b64 s[28:29], 0
	v_mov_b32_e32 v24, 0xff7fffff
	v_mov_b32_e32 v31, v19
	s_branch .LBB136_9
.LBB136_8:                              ;   in Loop: Header=BB136_9 Depth=1
	s_or_b64 exec, exec, s[30:31]
	v_add_u32_e32 v31, 2, v31
	v_cmp_le_i32_e64 s[4:5], s17, v31
	s_or_b64 s[28:29], s[4:5], s[28:29]
	v_add_co_u32_e64 v1, s[4:5], 8, v1
	v_add_u32_e32 v29, 32, v29
	v_add_u32_e32 v30, 0x80, v30
	v_addc_co_u32_e64 v2, s[4:5], 0, v2, s[4:5]
	s_andn2_b64 exec, exec, s[28:29]
	s_cbranch_execz .LBB136_11
.LBB136_9:                              ; =>This Inner Loop Header: Depth=1
	global_load_dword v32, v[1:2], off
	s_waitcnt vmcnt(0) lgkmcnt(0)
	v_mad_i64_i32 v[32:33], s[4:5], v32, s15, 0
	v_lshlrev_b64 v[32:33], 1, v[32:33]
	v_add_co_u32_e64 v32, s[4:5], v25, v32
	v_addc_co_u32_e64 v33, s[4:5], v26, v33, s[4:5]
	global_load_dword v34, v[32:33], off offset:256
	global_load_dword v35, v[32:33], off offset:512
	;; [unrolled: 1-line block ×7, first 2 shown]
	s_nop 0
	global_load_dword v32, v[32:33], off
	s_waitcnt vmcnt(7)
	v_lshlrev_b32_e32 v33, 16, v34
	v_and_b32_e32 v34, 0xffff0000, v34
	v_mul_f32_e32 v33, v9, v33
	v_mul_f32_e32 v34, v10, v34
	s_waitcnt vmcnt(6)
	v_lshlrev_b32_e32 v42, 16, v35
	v_and_b32_e32 v35, 0xffff0000, v35
	s_waitcnt vmcnt(5)
	v_lshlrev_b32_e32 v43, 16, v36
	s_waitcnt vmcnt(0)
	v_lshlrev_b32_e32 v41, 16, v32
	v_and_b32_e32 v32, 0xffff0000, v32
	v_fmac_f32_e32 v33, v7, v41
	v_fmac_f32_e32 v34, v8, v32
	v_and_b32_e32 v36, 0xffff0000, v36
	v_fmac_f32_e32 v33, v11, v42
	v_fmac_f32_e32 v34, v12, v35
	v_lshlrev_b32_e32 v44, 16, v37
	v_and_b32_e32 v37, 0xffff0000, v37
	v_fmac_f32_e32 v33, v13, v43
	v_fmac_f32_e32 v34, v14, v36
	v_lshlrev_b32_e32 v45, 16, v38
	;; [unrolled: 4-line block ×4, first 2 shown]
	v_and_b32_e32 v40, 0xffff0000, v40
	v_fmac_f32_e32 v33, v20, v46
	v_fmac_f32_e32 v34, v21, v39
	v_fmac_f32_e32 v33, v22, v47
	v_fmac_f32_e32 v34, v23, v40
	v_add_f32_e32 v32, v33, v34
	ds_bpermute_b32 v33, v27, v32
	s_waitcnt lgkmcnt(0)
	v_add_f32_e32 v32, v32, v33
	ds_bpermute_b32 v33, v28, v32
	s_and_saveexec_b64 s[30:31], vcc
	s_cbranch_execz .LBB136_8
; %bb.10:                               ;   in Loop: Header=BB136_9 Depth=1
	v_add_u32_e32 v34, s12, v29
	v_cvt_f32_i32_e32 v34, v34
	s_waitcnt lgkmcnt(0)
	v_add_f32_e32 v32, v32, v33
	v_cmp_gt_i32_e64 s[4:5], s33, v29
	v_max_f32_e32 v33, v24, v24
	v_mul_f32_e32 v34, s26, v34
	v_cndmask_b32_e64 v34, 0, v34, s[2:3]
	v_fmac_f32_e32 v34, s27, v32
	v_cndmask_b32_e64 v32, 0, v34, s[4:5]
	ds_write_b32 v30, v32
	v_max_f32_e32 v32, v33, v34
	v_cndmask_b32_e64 v24, v24, v32, s[4:5]
	s_branch .LBB136_8
.LBB136_11:
	s_or_b64 exec, exec, s[28:29]
.LBB136_12:
	s_or_b64 exec, exec, s[6:7]
	v_xor_b32_e32 v1, 32, v4
	v_cmp_lt_i32_e32 vcc, v1, v5
	v_cndmask_b32_e32 v1, v4, v1, vcc
	v_lshlrev_b32_e32 v1, 2, v1
	ds_bpermute_b32 v2, v1, v24
	v_xor_b32_e32 v8, 16, v4
	v_max_f32_e32 v7, v24, v24
	v_cmp_lt_i32_e32 vcc, v8, v5
	v_xor_b32_e32 v9, 8, v4
	s_waitcnt lgkmcnt(0)
	v_max_f32_e32 v2, v2, v2
	v_max_f32_e32 v7, v7, v2
	v_cndmask_b32_e32 v2, v4, v8, vcc
	v_lshlrev_b32_e32 v2, 2, v2
	ds_bpermute_b32 v8, v2, v7
	v_cmp_lt_i32_e32 vcc, v9, v5
	v_xor_b32_e32 v10, 4, v4
	v_and_b32_e32 v20, 63, v0
	s_waitcnt lgkmcnt(0)
	v_max_f32_e32 v8, v8, v8
	v_max_f32_e32 v7, v7, v8
	v_cndmask_b32_e32 v8, v4, v9, vcc
	v_lshlrev_b32_e32 v9, 2, v8
	ds_bpermute_b32 v8, v9, v7
	v_cmp_lt_i32_e32 vcc, v10, v5
	s_waitcnt lgkmcnt(0)
	v_max_f32_e32 v8, v8, v8
	v_max_f32_e32 v8, v7, v8
	v_cndmask_b32_e32 v7, v4, v10, vcc
	v_lshlrev_b32_e32 v10, 2, v7
	ds_bpermute_b32 v11, v10, v8
	v_cmp_eq_u32_e32 vcc, 0, v20
	v_lshlrev_b32_e32 v7, 2, v19
	s_and_saveexec_b64 s[2:3], vcc
	s_cbranch_execz .LBB136_14
; %bb.13:
	s_waitcnt lgkmcnt(0)
	v_max_f32_e32 v11, v11, v11
	v_max_f32_e32 v8, v8, v8
	;; [unrolled: 1-line block ×3, first 2 shown]
	ds_write_b32 v7, v8 offset:128
.LBB136_14:
	s_or_b64 exec, exec, s[2:3]
	v_cmp_gt_u32_e64 s[2:3], 2, v20
	s_waitcnt lgkmcnt(0)
	v_mov_b32_e32 v11, 0xff7fffff
	v_lshlrev_b32_e32 v8, 2, v20
	s_barrier
	s_and_saveexec_b64 s[4:5], s[2:3]
; %bb.15:
	ds_read_b32 v11, v8 offset:128
; %bb.16:
	s_or_b64 exec, exec, s[4:5]
	v_xor_b32_e32 v12, 1, v4
	v_cmp_lt_i32_e64 s[4:5], v12, v5
	v_cndmask_b32_e64 v12, v4, v12, s[4:5]
	v_lshlrev_b32_e32 v21, 2, v12
	s_waitcnt lgkmcnt(0)
	ds_bpermute_b32 v12, v21, v11
	v_max_f32_e32 v11, v11, v11
	v_lshlrev_b32_e32 v6, 2, v6
	s_lshl_b32 s4, s17, 4
	s_min_i32 s12, s4, s33
	s_waitcnt lgkmcnt(0)
	v_max_f32_e32 v12, v12, v12
	v_max_f32_e32 v11, v11, v12
	ds_bpermute_b32 v11, v6, v11
	v_cmp_gt_i32_e64 s[4:5], s12, v0
	v_mov_b32_e32 v6, 0
	s_and_saveexec_b64 s[26:27], s[4:5]
	s_cbranch_execz .LBB136_20
; %bb.17:
	v_mov_b32_e32 v6, 0x90
	v_lshl_add_u32 v12, v0, 2, v6
	v_mov_b32_e32 v6, 0
	s_mov_b64 s[28:29], 0
	v_mov_b32_e32 v13, v0
.LBB136_18:                             ; =>This Inner Loop Header: Depth=1
	ds_read_b32 v14, v12
	v_add_u32_e32 v13, 0x80, v13
	v_cmp_le_i32_e64 s[6:7], s12, v13
	s_or_b64 s[28:29], s[6:7], s[28:29]
	s_waitcnt lgkmcnt(0)
	v_sub_f32_e32 v14, v14, v11
	v_mul_f32_e32 v14, 0x3fb8aa3b, v14
	v_exp_f32_e32 v14, v14
	ds_write_b32 v12, v14
	v_add_f32_e32 v6, v6, v14
	v_add_u32_e32 v12, 0x200, v12
	s_andn2_b64 exec, exec, s[28:29]
	s_cbranch_execnz .LBB136_18
; %bb.19:
	s_or_b64 exec, exec, s[28:29]
.LBB136_20:
	s_or_b64 exec, exec, s[26:27]
	ds_bpermute_b32 v1, v1, v6
	s_waitcnt lgkmcnt(0)
	v_add_f32_e32 v1, v6, v1
	ds_bpermute_b32 v2, v2, v1
	v_xor_b32_e32 v6, 2, v4
	v_cmp_lt_i32_e64 s[6:7], v6, v5
	v_cndmask_b32_e64 v5, v4, v6, s[6:7]
	s_waitcnt lgkmcnt(0)
	v_add_f32_e32 v1, v1, v2
	ds_bpermute_b32 v2, v9, v1
	s_waitcnt lgkmcnt(0)
	v_add_f32_e32 v1, v1, v2
	ds_bpermute_b32 v2, v10, v1
	s_waitcnt lgkmcnt(0)
	v_add_f32_e32 v1, v1, v2
	v_lshlrev_b32_e32 v2, 2, v5
	ds_bpermute_b32 v2, v2, v1
	s_waitcnt lgkmcnt(0)
	v_add_f32_e32 v1, v1, v2
	ds_bpermute_b32 v2, v21, v1
	s_waitcnt lgkmcnt(0)
	v_add_f32_e32 v1, v1, v2
	s_and_saveexec_b64 s[6:7], vcc
; %bb.21:
	ds_write_b32 v7, v1 offset:136
; %bb.22:
	s_or_b64 exec, exec, s[6:7]
	s_waitcnt lgkmcnt(0)
	s_barrier
	s_and_saveexec_b64 s[6:7], s[2:3]
; %bb.23:
	ds_read_b32 v1, v8 offset:136
; %bb.24:
	s_or_b64 exec, exec, s[6:7]
	s_waitcnt lgkmcnt(0)
	ds_bpermute_b32 v2, v21, v1
	v_lshlrev_b32_e32 v4, 2, v4
	s_waitcnt lgkmcnt(0)
	v_add_f32_e32 v1, v1, v2
	v_and_b32_e32 v2, 0xffffff00, v4
	ds_bpermute_b32 v1, v2, v1
	s_and_saveexec_b64 s[2:3], s[4:5]
	s_cbranch_execz .LBB136_27
; %bb.25:
	s_waitcnt lgkmcnt(0)
	v_add_f32_e32 v2, 0x358637bd, v1
	v_div_scale_f32 v1, s[4:5], v2, v2, 1.0
	v_div_scale_f32 v4, vcc, 1.0, v2, 1.0
	s_mov_b64 s[4:5], 0
	v_rcp_f32_e32 v5, v1
	v_fma_f32 v6, -v1, v5, 1.0
	v_fmac_f32_e32 v5, v6, v5
	v_mul_f32_e32 v6, v4, v5
	v_fma_f32 v7, -v1, v6, v4
	v_fmac_f32_e32 v6, v7, v5
	v_fma_f32 v1, -v1, v6, v4
	v_div_fmas_f32 v4, v1, v5, v6
	v_mov_b32_e32 v1, 0x90
	v_lshl_add_u32 v1, v0, 2, v1
	v_div_fixup_f32 v2, v4, v2, 1.0
	v_mov_b32_e32 v4, v0
.LBB136_26:                             ; =>This Inner Loop Header: Depth=1
	ds_read_b32 v5, v1
	v_add_u32_e32 v4, 0x80, v4
	v_cmp_le_i32_e32 vcc, s12, v4
	s_or_b64 s[4:5], vcc, s[4:5]
	s_waitcnt lgkmcnt(0)
	v_mul_f32_e32 v5, v2, v5
	ds_write_b32 v1, v5
	v_add_u32_e32 v1, 0x200, v1
	s_andn2_b64 exec, exec, s[4:5]
	s_cbranch_execnz .LBB136_26
.LBB136_27:
	s_or_b64 exec, exec, s[2:3]
	v_mov_b32_e32 v25, 0
	v_and_b32_e32 v22, 1, v0
	v_mov_b32_e32 v27, 0
	s_waitcnt lgkmcnt(0)
	s_barrier
	s_and_saveexec_b64 s[4:5], s[0:1]
	s_cbranch_execz .LBB136_35
; %bb.28:
	s_ashr_i32 s15, s14, 31
	s_lshl_b64 s[0:1], s[14:15], 1
	v_lshlrev_b32_e32 v1, 3, v0
	s_add_u32 s0, s24, s0
	v_lshlrev_b32_e32 v2, 4, v0
	v_and_b32_e32 v1, 8, v1
	s_addc_u32 s1, s25, s1
	v_and_b32_e32 v2, 0x3f0, v2
	s_add_i32 s14, s17, -1
	v_mov_b32_e32 v4, s1
	v_add_co_u32_e32 v24, vcc, s0, v2
	v_lshl_or_b32 v28, v19, 4, v1
	v_lshlrev_b32_e32 v1, 5, v22
	s_lshl_b64 s[0:1], s[22:23], 2
	v_lshl_or_b32 v1, v19, 6, v1
	s_add_u32 s0, s20, s0
	v_addc_co_u32_e32 v26, vcc, 0, v4, vcc
	v_add_u32_e32 v29, 0x90, v1
	v_and_b32_e32 v1, 60, v3
	s_addc_u32 s1, s21, s1
	v_mov_b32_e32 v2, s1
	v_add_co_u32_e32 v17, vcc, s0, v1
	s_mov_b32 s26, s13
	v_mov_b32_e32 v23, 0
	s_mov_b32 s15, s33
	v_addc_co_u32_e32 v18, vcc, 0, v2, vcc
	s_mov_b64 s[6:7], 0
	s_mov_b32 s20, 0x5040100
	s_movk_i32 s21, 0x7fff
	v_mov_b32_e32 v27, 0
	v_mov_b32_e32 v25, 0
	s_branch .LBB136_30
.LBB136_29:                             ;   in Loop: Header=BB136_30 Depth=1
	s_or_b64 exec, exec, s[2:3]
	s_waitcnt lgkmcnt(1)
	v_bfe_u32 v30, v13, 16, 1
	v_add3_u32 v30, v30, v13, s21
	v_or_b32_e32 v31, 0x400000, v13
	v_cmp_u_f32_e32 vcc, v13, v13
	v_cndmask_b32_e32 v13, v30, v31, vcc
	v_bfe_u32 v30, v14, 16, 1
	v_add3_u32 v30, v30, v14, s21
	v_or_b32_e32 v31, 0x400000, v14
	v_cmp_u_f32_e32 vcc, v14, v14
	v_cndmask_b32_e32 v14, v30, v31, vcc
	;; [unrolled: 5-line block ×4, first 2 shown]
	s_waitcnt lgkmcnt(0)
	v_bfe_u32 v30, v9, 16, 1
	v_add3_u32 v30, v30, v9, s21
	v_or_b32_e32 v31, 0x400000, v9
	v_cmp_u_f32_e32 vcc, v9, v9
	v_cndmask_b32_e32 v9, v30, v31, vcc
	v_bfe_u32 v30, v10, 16, 1
	v_add3_u32 v30, v30, v10, s21
	v_or_b32_e32 v31, 0x400000, v10
	v_cmp_u_f32_e32 vcc, v10, v10
	v_cndmask_b32_e32 v10, v30, v31, vcc
	v_bfe_u32 v30, v11, 16, 1
	v_add3_u32 v30, v30, v11, s21
	v_or_b32_e32 v31, 0x400000, v11
	v_cmp_u_f32_e32 vcc, v11, v11
	v_cndmask_b32_e32 v11, v30, v31, vcc
	v_bfe_u32 v30, v12, 16, 1
	v_add3_u32 v30, v30, v12, s21
	v_or_b32_e32 v31, 0x400000, v12
	v_cmp_u_f32_e32 vcc, v12, v12
	v_cndmask_b32_e32 v12, v30, v31, vcc
	v_and_b32_e32 v13, 0xffff0000, v13
	s_waitcnt vmcnt(1)
	v_lshlrev_b32_e32 v30, 16, v5
	v_mul_f32_e32 v30, v13, v30
	v_bfe_u32 v31, v30, 16, 1
	v_and_b32_e32 v14, 0xffff0000, v14
	v_and_b32_e32 v5, 0xffff0000, v5
	v_add3_u32 v31, v31, v30, s21
	v_or_b32_e32 v32, 0x400000, v30
	v_cmp_u_f32_e32 vcc, v30, v30
	v_mul_f32_e32 v5, v14, v5
	v_cndmask_b32_e32 v30, v31, v32, vcc
	v_bfe_u32 v31, v5, 16, 1
	v_add3_u32 v31, v31, v5, s21
	v_or_b32_e32 v32, 0x400000, v5
	v_cmp_u_f32_e32 vcc, v5, v5
	v_cndmask_b32_e32 v5, v31, v32, vcc
	v_and_b32_e32 v15, 0xffff0000, v15
	v_lshlrev_b32_e32 v31, 16, v6
	v_mul_f32_e32 v31, v15, v31
	v_bfe_u32 v32, v31, 16, 1
	v_and_b32_e32 v16, 0xffff0000, v16
	v_and_b32_e32 v6, 0xffff0000, v6
	v_add3_u32 v32, v32, v31, s21
	v_or_b32_e32 v33, 0x400000, v31
	v_cmp_u_f32_e32 vcc, v31, v31
	v_mul_f32_e32 v6, v16, v6
	v_cndmask_b32_e32 v31, v32, v33, vcc
	v_bfe_u32 v32, v6, 16, 1
	v_add3_u32 v32, v32, v6, s21
	v_or_b32_e32 v33, 0x400000, v6
	v_cmp_u_f32_e32 vcc, v6, v6
	v_cndmask_b32_e32 v6, v32, v33, vcc
	v_and_b32_e32 v9, 0xffff0000, v9
	;; [unrolled: 16-line block ×3, first 2 shown]
	v_lshlrev_b32_e32 v33, 16, v8
	v_mul_f32_e32 v33, v11, v33
	v_bfe_u32 v34, v33, 16, 1
	v_and_b32_e32 v12, 0xffff0000, v12
	v_and_b32_e32 v8, 0xffff0000, v8
	;; [unrolled: 1-line block ×4, first 2 shown]
	v_add3_u32 v34, v34, v33, s21
	v_or_b32_e32 v35, 0x400000, v33
	v_cmp_u_f32_e32 vcc, v33, v33
	v_mul_f32_e32 v8, v12, v8
	v_add_f32_e32 v5, v30, v5
	v_and_b32_e32 v6, 0xffff0000, v6
	v_and_b32_e32 v30, 0xffff0000, v31
	v_cndmask_b32_e32 v33, v34, v35, vcc
	v_bfe_u32 v34, v8, 16, 1
	v_add_f32_e32 v6, v30, v6
	v_add3_u32 v34, v34, v8, s21
	v_or_b32_e32 v35, 0x400000, v8
	v_cmp_u_f32_e32 vcc, v8, v8
	v_add_f32_e32 v5, v6, v5
	v_and_b32_e32 v6, 0xffff0000, v7
	v_and_b32_e32 v7, 0xffff0000, v32
	v_cndmask_b32_e32 v8, v34, v35, vcc
	v_add_f32_e32 v6, v7, v6
	v_add_f32_e32 v5, v6, v5
	v_and_b32_e32 v6, 0xffff0000, v8
	v_and_b32_e32 v7, 0xffff0000, v33
	v_add_f32_e32 v6, v7, v6
	v_add_f32_e32 v5, v6, v5
	;; [unrolled: 1-line block ×3, first 2 shown]
	s_waitcnt vmcnt(0)
	v_lshlrev_b32_e32 v5, 16, v1
	v_mul_f32_e32 v5, v13, v5
	v_bfe_u32 v6, v5, 16, 1
	v_and_b32_e32 v1, 0xffff0000, v1
	v_add3_u32 v6, v6, v5, s21
	v_or_b32_e32 v7, 0x400000, v5
	v_cmp_u_f32_e32 vcc, v5, v5
	v_mul_f32_e32 v1, v14, v1
	v_cndmask_b32_e32 v5, v6, v7, vcc
	v_bfe_u32 v6, v1, 16, 1
	v_add3_u32 v6, v6, v1, s21
	v_or_b32_e32 v7, 0x400000, v1
	v_cmp_u_f32_e32 vcc, v1, v1
	v_cndmask_b32_e32 v1, v6, v7, vcc
	v_lshlrev_b32_e32 v6, 16, v2
	v_mul_f32_e32 v6, v15, v6
	v_bfe_u32 v7, v6, 16, 1
	v_and_b32_e32 v2, 0xffff0000, v2
	v_add3_u32 v7, v7, v6, s21
	v_or_b32_e32 v8, 0x400000, v6
	v_cmp_u_f32_e32 vcc, v6, v6
	v_mul_f32_e32 v2, v16, v2
	v_cndmask_b32_e32 v6, v7, v8, vcc
	v_bfe_u32 v7, v2, 16, 1
	v_add3_u32 v7, v7, v2, s21
	v_or_b32_e32 v8, 0x400000, v2
	v_cmp_u_f32_e32 vcc, v2, v2
	v_cndmask_b32_e32 v2, v7, v8, vcc
	;; [unrolled: 14-line block ×3, first 2 shown]
	v_lshlrev_b32_e32 v8, 16, v4
	v_mul_f32_e32 v8, v11, v8
	v_bfe_u32 v9, v8, 16, 1
	v_and_b32_e32 v4, 0xffff0000, v4
	v_and_b32_e32 v1, 0xffff0000, v1
	;; [unrolled: 1-line block ×3, first 2 shown]
	v_add3_u32 v9, v9, v8, s21
	v_or_b32_e32 v10, 0x400000, v8
	v_cmp_u_f32_e32 vcc, v8, v8
	v_mul_f32_e32 v4, v12, v4
	v_add_f32_e32 v1, v5, v1
	v_and_b32_e32 v2, 0xffff0000, v2
	v_and_b32_e32 v5, 0xffff0000, v6
	v_cndmask_b32_e32 v8, v9, v10, vcc
	v_bfe_u32 v9, v4, 16, 1
	v_add_f32_e32 v2, v5, v2
	v_add3_u32 v9, v9, v4, s21
	v_or_b32_e32 v10, 0x400000, v4
	v_cmp_u_f32_e32 vcc, v4, v4
	v_add_f32_e32 v1, v2, v1
	v_and_b32_e32 v2, 0xffff0000, v3
	v_and_b32_e32 v3, 0xffff0000, v7
	v_cndmask_b32_e32 v4, v9, v10, vcc
	v_add_f32_e32 v2, v3, v2
	v_add_f32_e32 v1, v2, v1
	v_and_b32_e32 v2, 0xffff0000, v4
	v_and_b32_e32 v3, 0xffff0000, v8
	v_add_u32_e32 v19, 2, v19
	v_add_f32_e32 v2, v3, v2
	v_cmp_le_i32_e32 vcc, s17, v19
	v_add_f32_e32 v1, v2, v1
	s_or_b64 s[6:7], vcc, s[6:7]
	v_add_co_u32_e32 v17, vcc, 8, v17
	v_add_f32_e32 v25, v25, v1
	v_add_u32_e32 v28, 32, v28
	v_add_u32_e32 v29, 0x80, v29
	v_addc_co_u32_e32 v18, vcc, 0, v18, vcc
	s_andn2_b64 exec, exec, s[6:7]
	s_cbranch_execz .LBB136_34
.LBB136_30:                             ; =>This Inner Loop Header: Depth=1
	global_load_dword v1, v[17:18], off
	v_add_u32_e32 v36, 1, v28
	v_or_b32_e32 v34, 3, v28
	v_or_b32_e32 v35, 2, v28
	;; [unrolled: 1-line block ×6, first 2 shown]
	s_waitcnt vmcnt(0)
	v_mad_i64_i32 v[1:2], s[0:1], v1, s26, 0
	v_cmp_eq_u32_e64 s[0:1], s14, v19
	v_lshlrev_b64 v[1:2], 1, v[1:2]
	v_add_co_u32_e32 v1, vcc, v24, v1
	v_addc_co_u32_e32 v2, vcc, v26, v2, vcc
	global_load_dwordx4 v[5:8], v[1:2], off
	ds_read2_b64 v[13:16], v29 offset1:1
	ds_read2_b64 v[9:12], v29 offset0:2 offset1:3
	s_and_saveexec_b64 s[12:13], s[0:1]
	s_cbranch_execz .LBB136_32
; %bb.31:                               ;   in Loop: Header=BB136_30 Depth=1
	v_cmp_gt_i32_e32 vcc, s15, v36
	s_waitcnt vmcnt(0)
	v_cndmask_b32_sdwa v3, v23, v5, vcc dst_sel:DWORD dst_unused:UNUSED_PAD src0_sel:DWORD src1_sel:WORD_1
	v_cmp_gt_i32_e32 vcc, s33, v28
	v_cndmask_b32_e32 v4, 0, v5, vcc
	v_cmp_gt_i32_e32 vcc, s15, v34
	v_cmp_gt_i32_e64 s[2:3], s33, v35
	v_perm_b32 v5, v3, v4, s20
	v_cndmask_b32_e64 v3, 0, v6, s[2:3]
	v_cndmask_b32_sdwa v4, v23, v6, vcc dst_sel:DWORD dst_unused:UNUSED_PAD src0_sel:DWORD src1_sel:WORD_1
	v_cmp_gt_i32_e32 vcc, s15, v32
	v_cmp_gt_i32_e64 s[2:3], s33, v33
	v_perm_b32 v6, v4, v3, s20
	v_cndmask_b32_e64 v3, 0, v7, s[2:3]
	v_cndmask_b32_sdwa v4, v23, v7, vcc dst_sel:DWORD dst_unused:UNUSED_PAD src0_sel:DWORD src1_sel:WORD_1
	;; [unrolled: 5-line block ×3, first 2 shown]
	v_perm_b32 v8, v4, v3, s20
.LBB136_32:                             ;   in Loop: Header=BB136_30 Depth=1
	s_or_b64 exec, exec, s[12:13]
	global_load_dwordx4 v[1:4], v[1:2], off offset:1024
	s_and_saveexec_b64 s[2:3], s[0:1]
	s_cbranch_execz .LBB136_29
; %bb.33:                               ;   in Loop: Header=BB136_30 Depth=1
	v_cmp_gt_i32_e32 vcc, s15, v36
	s_waitcnt vmcnt(0)
	v_cndmask_b32_sdwa v36, v23, v1, vcc dst_sel:DWORD dst_unused:UNUSED_PAD src0_sel:DWORD src1_sel:WORD_1
	v_cmp_gt_i32_e32 vcc, s33, v28
	v_cndmask_b32_e32 v1, 0, v1, vcc
	v_cmp_gt_i32_e32 vcc, s15, v34
	v_cmp_gt_i32_e64 s[0:1], s33, v35
	v_cndmask_b32_e64 v34, 0, v2, s[0:1]
	v_cndmask_b32_sdwa v2, v23, v2, vcc dst_sel:DWORD dst_unused:UNUSED_PAD src0_sel:DWORD src1_sel:WORD_1
	v_cmp_gt_i32_e32 vcc, s15, v32
	v_cmp_gt_i32_e64 s[0:1], s33, v33
	v_cndmask_b32_e64 v32, 0, v3, s[0:1]
	v_cndmask_b32_sdwa v3, v23, v3, vcc dst_sel:DWORD dst_unused:UNUSED_PAD src0_sel:DWORD src1_sel:WORD_1
	;; [unrolled: 4-line block ×3, first 2 shown]
	v_perm_b32 v1, v36, v1, s20
	v_perm_b32 v2, v2, v34, s20
	;; [unrolled: 1-line block ×4, first 2 shown]
	s_branch .LBB136_29
.LBB136_34:
	s_or_b64 exec, exec, s[6:7]
.LBB136_35:
	s_or_b64 exec, exec, s[4:5]
	ds_bpermute_b32 v1, v21, v27
	ds_bpermute_b32 v3, v21, v25
	s_waitcnt lgkmcnt(0)
	s_barrier
	v_add_f32_e32 v2, v27, v1
	v_add_f32_e32 v1, v25, v3
	v_and_b32_e32 v3, 0x3c1, v0
	v_cmp_eq_u32_e32 vcc, 64, v3
	s_and_saveexec_b64 s[0:1], vcc
; %bb.36:
	v_mov_b32_e32 v4, 0x90
	v_lshl_add_u32 v4, v20, 1, v4
	ds_write2_b32 v4, v2, v1 offset1:32
; %bb.37:
	s_or_b64 exec, exec, s[0:1]
	v_cmp_gt_u32_e32 vcc, 64, v0
	v_lshrrev_b32_e32 v0, 1, v0
	s_waitcnt lgkmcnt(0)
	s_barrier
	s_and_saveexec_b64 s[0:1], vcc
	s_cbranch_execz .LBB136_43
; %bb.38:
	v_mov_b32_e32 v4, 0x90
	v_cmp_eq_u32_e32 vcc, 0, v22
	v_lshl_add_u32 v4, v0, 2, v4
	s_and_saveexec_b64 s[2:3], vcc
	s_cbranch_execz .LBB136_40
; %bb.39:
	ds_read_b32 v5, v4
	s_waitcnt lgkmcnt(0)
	v_add_f32_e32 v2, v2, v5
.LBB136_40:
	s_or_b64 exec, exec, s[2:3]
	s_and_saveexec_b64 s[2:3], vcc
	s_cbranch_execz .LBB136_42
; %bb.41:
	ds_read_b32 v4, v4 offset:128
	s_waitcnt lgkmcnt(0)
	v_add_f32_e32 v1, v1, v4
.LBB136_42:
	s_or_b64 exec, exec, s[2:3]
.LBB136_43:
	s_or_b64 exec, exec, s[0:1]
	v_cmp_eq_u32_e32 vcc, 0, v3
	s_barrier
	s_and_saveexec_b64 s[0:1], vcc
	s_cbranch_execz .LBB136_45
; %bb.44:
	s_mul_i32 s0, s10, s11
	s_mul_i32 s0, s0, s9
	s_lshl_b32 s0, s0, 6
	s_ashr_i32 s1, s0, 31
	s_lshl_b64 s[0:1], s[0:1], 1
	s_add_u32 s2, s18, s0
	s_mul_i32 s0, s11, s16
	s_addc_u32 s3, s19, s1
	s_ashr_i32 s1, s0, 31
	s_lshl_b64 s[0:1], s[0:1], 1
	s_add_u32 s2, s2, s0
	s_addc_u32 s3, s3, s1
	s_lshl_b32 s0, s8, 6
	s_ashr_i32 s1, s0, 31
	s_lshl_b64 s[0:1], s[0:1], 1
	s_add_u32 s0, s2, s0
	v_bfe_u32 v3, v2, 16, 1
	s_movk_i32 s2, 0x7fff
	v_add3_u32 v3, v3, v2, s2
	v_or_b32_e32 v4, 0x400000, v2
	v_cmp_u_f32_e32 vcc, v2, v2
	s_addc_u32 s1, s3, s1
	v_cndmask_b32_e32 v2, v3, v4, vcc
	v_lshlrev_b32_e32 v0, 1, v0
	global_store_short_d16_hi v0, v2, s[0:1]
	v_bfe_u32 v2, v1, 16, 1
	v_add3_u32 v2, v2, v1, s2
	v_or_b32_e32 v3, 0x400000, v1
	v_cmp_u_f32_e32 vcc, v1, v1
	v_cndmask_b32_e32 v1, v2, v3, vcc
	global_store_short_d16_hi v0, v1, s[0:1] offset:64
.LBB136_45:
	s_endpgm
	.section	.rodata,"a",@progbits
	.p2align	6, 0x0
	.amdhsa_kernel _ZN4vllm25paged_attention_v1_kernelI14__hip_bfloat16S1_Li64ELi16ELi128ELNS_18Fp8KVCacheDataTypeE0ELb0EEEvPT_PKS3_PKT0_S9_ifPKiSB_iPKfiiiSD_SD_iiiii
		.amdhsa_group_segment_fixed_size 144
		.amdhsa_private_segment_fixed_size 0
		.amdhsa_kernarg_size 384
		.amdhsa_user_sgpr_count 6
		.amdhsa_user_sgpr_private_segment_buffer 1
		.amdhsa_user_sgpr_dispatch_ptr 0
		.amdhsa_user_sgpr_queue_ptr 0
		.amdhsa_user_sgpr_kernarg_segment_ptr 1
		.amdhsa_user_sgpr_dispatch_id 0
		.amdhsa_user_sgpr_flat_scratch_init 0
		.amdhsa_user_sgpr_private_segment_size 0
		.amdhsa_uses_dynamic_stack 0
		.amdhsa_system_sgpr_private_segment_wavefront_offset 0
		.amdhsa_system_sgpr_workgroup_id_x 1
		.amdhsa_system_sgpr_workgroup_id_y 1
		.amdhsa_system_sgpr_workgroup_id_z 1
		.amdhsa_system_sgpr_workgroup_info 0
		.amdhsa_system_vgpr_workitem_id 0
		.amdhsa_next_free_vgpr 48
		.amdhsa_next_free_sgpr 34
		.amdhsa_reserve_vcc 1
		.amdhsa_reserve_flat_scratch 0
		.amdhsa_float_round_mode_32 0
		.amdhsa_float_round_mode_16_64 0
		.amdhsa_float_denorm_mode_32 3
		.amdhsa_float_denorm_mode_16_64 3
		.amdhsa_dx10_clamp 1
		.amdhsa_ieee_mode 1
		.amdhsa_fp16_overflow 0
		.amdhsa_exception_fp_ieee_invalid_op 0
		.amdhsa_exception_fp_denorm_src 0
		.amdhsa_exception_fp_ieee_div_zero 0
		.amdhsa_exception_fp_ieee_overflow 0
		.amdhsa_exception_fp_ieee_underflow 0
		.amdhsa_exception_fp_ieee_inexact 0
		.amdhsa_exception_int_div_zero 0
	.end_amdhsa_kernel
	.section	.text._ZN4vllm25paged_attention_v1_kernelI14__hip_bfloat16S1_Li64ELi16ELi128ELNS_18Fp8KVCacheDataTypeE0ELb0EEEvPT_PKS3_PKT0_S9_ifPKiSB_iPKfiiiSD_SD_iiiii,"axG",@progbits,_ZN4vllm25paged_attention_v1_kernelI14__hip_bfloat16S1_Li64ELi16ELi128ELNS_18Fp8KVCacheDataTypeE0ELb0EEEvPT_PKS3_PKT0_S9_ifPKiSB_iPKfiiiSD_SD_iiiii,comdat
.Lfunc_end136:
	.size	_ZN4vllm25paged_attention_v1_kernelI14__hip_bfloat16S1_Li64ELi16ELi128ELNS_18Fp8KVCacheDataTypeE0ELb0EEEvPT_PKS3_PKT0_S9_ifPKiSB_iPKfiiiSD_SD_iiiii, .Lfunc_end136-_ZN4vllm25paged_attention_v1_kernelI14__hip_bfloat16S1_Li64ELi16ELi128ELNS_18Fp8KVCacheDataTypeE0ELb0EEEvPT_PKS3_PKT0_S9_ifPKiSB_iPKfiiiSD_SD_iiiii
                                        ; -- End function
	.set _ZN4vllm25paged_attention_v1_kernelI14__hip_bfloat16S1_Li64ELi16ELi128ELNS_18Fp8KVCacheDataTypeE0ELb0EEEvPT_PKS3_PKT0_S9_ifPKiSB_iPKfiiiSD_SD_iiiii.num_vgpr, 48
	.set _ZN4vllm25paged_attention_v1_kernelI14__hip_bfloat16S1_Li64ELi16ELi128ELNS_18Fp8KVCacheDataTypeE0ELb0EEEvPT_PKS3_PKT0_S9_ifPKiSB_iPKfiiiSD_SD_iiiii.num_agpr, 0
	.set _ZN4vllm25paged_attention_v1_kernelI14__hip_bfloat16S1_Li64ELi16ELi128ELNS_18Fp8KVCacheDataTypeE0ELb0EEEvPT_PKS3_PKT0_S9_ifPKiSB_iPKfiiiSD_SD_iiiii.numbered_sgpr, 34
	.set _ZN4vllm25paged_attention_v1_kernelI14__hip_bfloat16S1_Li64ELi16ELi128ELNS_18Fp8KVCacheDataTypeE0ELb0EEEvPT_PKS3_PKT0_S9_ifPKiSB_iPKfiiiSD_SD_iiiii.num_named_barrier, 0
	.set _ZN4vllm25paged_attention_v1_kernelI14__hip_bfloat16S1_Li64ELi16ELi128ELNS_18Fp8KVCacheDataTypeE0ELb0EEEvPT_PKS3_PKT0_S9_ifPKiSB_iPKfiiiSD_SD_iiiii.private_seg_size, 0
	.set _ZN4vllm25paged_attention_v1_kernelI14__hip_bfloat16S1_Li64ELi16ELi128ELNS_18Fp8KVCacheDataTypeE0ELb0EEEvPT_PKS3_PKT0_S9_ifPKiSB_iPKfiiiSD_SD_iiiii.uses_vcc, 1
	.set _ZN4vllm25paged_attention_v1_kernelI14__hip_bfloat16S1_Li64ELi16ELi128ELNS_18Fp8KVCacheDataTypeE0ELb0EEEvPT_PKS3_PKT0_S9_ifPKiSB_iPKfiiiSD_SD_iiiii.uses_flat_scratch, 0
	.set _ZN4vllm25paged_attention_v1_kernelI14__hip_bfloat16S1_Li64ELi16ELi128ELNS_18Fp8KVCacheDataTypeE0ELb0EEEvPT_PKS3_PKT0_S9_ifPKiSB_iPKfiiiSD_SD_iiiii.has_dyn_sized_stack, 0
	.set _ZN4vllm25paged_attention_v1_kernelI14__hip_bfloat16S1_Li64ELi16ELi128ELNS_18Fp8KVCacheDataTypeE0ELb0EEEvPT_PKS3_PKT0_S9_ifPKiSB_iPKfiiiSD_SD_iiiii.has_recursion, 0
	.set _ZN4vllm25paged_attention_v1_kernelI14__hip_bfloat16S1_Li64ELi16ELi128ELNS_18Fp8KVCacheDataTypeE0ELb0EEEvPT_PKS3_PKT0_S9_ifPKiSB_iPKfiiiSD_SD_iiiii.has_indirect_call, 0
	.section	.AMDGPU.csdata,"",@progbits
; Kernel info:
; codeLenInByte = 4428
; TotalNumSgprs: 38
; NumVgprs: 48
; ScratchSize: 0
; MemoryBound: 0
; FloatMode: 240
; IeeeMode: 1
; LDSByteSize: 144 bytes/workgroup (compile time only)
; SGPRBlocks: 4
; VGPRBlocks: 11
; NumSGPRsForWavesPerEU: 38
; NumVGPRsForWavesPerEU: 48
; Occupancy: 5
; WaveLimiterHint : 1
; COMPUTE_PGM_RSRC2:SCRATCH_EN: 0
; COMPUTE_PGM_RSRC2:USER_SGPR: 6
; COMPUTE_PGM_RSRC2:TRAP_HANDLER: 0
; COMPUTE_PGM_RSRC2:TGID_X_EN: 1
; COMPUTE_PGM_RSRC2:TGID_Y_EN: 1
; COMPUTE_PGM_RSRC2:TGID_Z_EN: 1
; COMPUTE_PGM_RSRC2:TIDIG_COMP_CNT: 0
	.section	.text._ZN4vllm25paged_attention_v1_kernelI14__hip_bfloat16S1_Li80ELi16ELi128ELNS_18Fp8KVCacheDataTypeE0ELb0EEEvPT_PKS3_PKT0_S9_ifPKiSB_iPKfiiiSD_SD_iiiii,"axG",@progbits,_ZN4vllm25paged_attention_v1_kernelI14__hip_bfloat16S1_Li80ELi16ELi128ELNS_18Fp8KVCacheDataTypeE0ELb0EEEvPT_PKS3_PKT0_S9_ifPKiSB_iPKfiiiSD_SD_iiiii,comdat
	.protected	_ZN4vllm25paged_attention_v1_kernelI14__hip_bfloat16S1_Li80ELi16ELi128ELNS_18Fp8KVCacheDataTypeE0ELb0EEEvPT_PKS3_PKT0_S9_ifPKiSB_iPKfiiiSD_SD_iiiii ; -- Begin function _ZN4vllm25paged_attention_v1_kernelI14__hip_bfloat16S1_Li80ELi16ELi128ELNS_18Fp8KVCacheDataTypeE0ELb0EEEvPT_PKS3_PKT0_S9_ifPKiSB_iPKfiiiSD_SD_iiiii
	.globl	_ZN4vllm25paged_attention_v1_kernelI14__hip_bfloat16S1_Li80ELi16ELi128ELNS_18Fp8KVCacheDataTypeE0ELb0EEEvPT_PKS3_PKT0_S9_ifPKiSB_iPKfiiiSD_SD_iiiii
	.p2align	8
	.type	_ZN4vllm25paged_attention_v1_kernelI14__hip_bfloat16S1_Li80ELi16ELi128ELNS_18Fp8KVCacheDataTypeE0ELb0EEEvPT_PKS3_PKT0_S9_ifPKiSB_iPKfiiiSD_SD_iiiii,@function
_ZN4vllm25paged_attention_v1_kernelI14__hip_bfloat16S1_Li80ELi16ELi128ELNS_18Fp8KVCacheDataTypeE0ELb0EEEvPT_PKS3_PKT0_S9_ifPKiSB_iPKfiiiSD_SD_iiiii: ; @_ZN4vllm25paged_attention_v1_kernelI14__hip_bfloat16S1_Li80ELi16ELi128ELNS_18Fp8KVCacheDataTypeE0ELb0EEEvPT_PKS3_PKT0_S9_ifPKiSB_iPKfiiiSD_SD_iiiii
; %bb.0:
	s_load_dword s9, s[4:5], 0x80
	s_load_dwordx2 s[0:1], s[4:5], 0x30
	s_load_dwordx2 s[26:27], s[4:5], 0x20
	s_mov_b32 s10, s7
	s_ashr_i32 s11, s7, 31
	s_lshl_b64 s[2:3], s[10:11], 2
	s_waitcnt lgkmcnt(0)
	s_add_u32 s0, s0, s2
	s_addc_u32 s1, s1, s3
	s_abs_i32 s2, s26
	v_cvt_f32_u32_e32 v1, s2
	s_sub_i32 s11, 0, s2
	s_abs_i32 s7, s9
	s_xor_b32 s3, s9, s26
	v_rcp_iflag_f32_e32 v1, v1
	s_ashr_i32 s3, s3, 31
	s_mov_b32 s26, 0
	v_mul_f32_e32 v1, 0x4f7ffffe, v1
	v_cvt_u32_f32_e32 v1, v1
	v_readfirstlane_b32 s12, v1
	s_mul_i32 s11, s11, s12
	s_mul_hi_u32 s11, s12, s11
	s_add_i32 s12, s12, s11
	s_mul_hi_u32 s11, s7, s12
	s_mul_i32 s12, s11, s2
	s_sub_i32 s7, s7, s12
	s_add_i32 s12, s11, 1
	s_sub_i32 s13, s7, s2
	s_cmp_ge_u32 s7, s2
	s_cselect_b32 s11, s12, s11
	s_cselect_b32 s7, s13, s7
	s_add_i32 s12, s11, 1
	s_cmp_ge_u32 s7, s2
	s_cselect_b32 s2, s12, s11
	s_xor_b32 s2, s2, s3
	s_sub_i32 s12, s2, s3
	s_abs_i32 s11, s12
	v_cvt_f32_u32_e32 v1, s11
	s_load_dwordx2 s[2:3], s[4:5], 0x40
	s_sub_i32 s7, 0, s11
	s_abs_i32 s18, s6
	v_rcp_iflag_f32_e32 v1, v1
	v_mul_f32_e32 v1, 0x4f7ffffe, v1
	v_cvt_u32_f32_e32 v1, v1
	v_readfirstlane_b32 s13, v1
	s_mul_i32 s7, s7, s13
	s_mul_hi_u32 s7, s13, s7
	s_add_i32 s13, s13, s7
	s_waitcnt lgkmcnt(0)
	s_cmp_eq_u64 s[2:3], 0
	s_mul_hi_u32 s19, s18, s13
	s_cbranch_scc1 .LBB137_2
; %bb.1:
	s_ashr_i32 s7, s6, 31
	s_lshl_b64 s[14:15], s[6:7], 2
	s_add_u32 s2, s2, s14
	s_addc_u32 s3, s3, s15
	s_load_dword s26, s[2:3], 0x0
.LBB137_2:
	s_load_dword s33, s[0:1], 0x0
	s_ashr_i32 s3, s12, 31
	s_load_dwordx4 s[12:15], s[4:5], 0x48
	s_ashr_i32 s2, s6, 31
	v_and_b32_e32 v1, 3, v0
	s_mul_i32 s16, s6, 0x50
	v_cmp_gt_u32_e32 vcc, 40, v0
	v_lshlrev_b32_e32 v2, 2, v0
	s_and_saveexec_b64 s[0:1], vcc
	s_cbranch_execz .LBB137_4
; %bb.3:
	s_load_dwordx2 s[6:7], s[4:5], 0x8
	s_waitcnt lgkmcnt(0)
	s_mul_i32 s20, s12, s10
	s_ashr_i32 s21, s20, 31
	s_lshl_b64 s[20:21], s[20:21], 1
	v_and_b32_e32 v4, 0x3fc, v0
	s_add_u32 s12, s6, s20
	s_addc_u32 s15, s7, s21
	s_ashr_i32 s17, s16, 31
	s_lshl_b64 s[6:7], s[16:17], 1
	s_add_u32 s6, s12, s6
	s_addc_u32 s7, s15, s7
	global_load_dword v3, v2, s[6:7]
	v_mad_u32_u24 v4, v1, 40, v4
	s_waitcnt vmcnt(0)
	ds_write_b32 v4, v3
.LBB137_4:
	s_or_b64 exec, exec, s[0:1]
	s_waitcnt lgkmcnt(0)
	s_add_i32 s1, s33, 15
	s_ashr_i32 s6, s1, 31
	s_lshr_b32 s6, s6, 28
	s_add_i32 s1, s1, s6
	s_ashr_i32 s17, s1, 4
	s_xor_b32 s1, s2, s3
	s_mul_i32 s2, s19, s11
	s_sub_i32 s2, s18, s2
	s_add_i32 s3, s19, 1
	s_sub_i32 s6, s2, s11
	s_load_dwordx2 s[20:21], s[4:5], 0x28
	s_load_dword s0, s[4:5], 0x38
	s_cmp_ge_u32 s2, s11
	s_cselect_b32 s3, s3, s19
	s_cselect_b32 s2, s6, s2
	s_add_i32 s6, s3, 1
	s_cmp_ge_u32 s2, s11
	s_cselect_b32 s2, s6, s3
	v_lshrrev_b32_e32 v19, 6, v0
	s_xor_b32 s2, s2, s1
	s_waitcnt lgkmcnt(0)
	s_mul_i32 s22, s0, s10
	s_sub_i32 s12, s2, s1
	s_ashr_i32 s23, s22, 31
	v_cmp_le_i32_e64 s[0:1], s17, v19
	v_mbcnt_lo_u32_b32 v31, -1, 0
	s_barrier
                                        ; implicit-def: $vgpr4
                                        ; implicit-def: $vgpr6
                                        ; implicit-def: $vgpr5
	s_and_saveexec_b64 s[2:3], s[0:1]
	s_xor_b64 s[2:3], exec, s[2:3]
; %bb.5:
	v_mbcnt_hi_u32_b32 v4, -1, v31
	v_and_b32_e32 v6, 64, v4
	v_add_u32_e32 v5, 64, v6
                                        ; implicit-def: $vgpr2
                                        ; implicit-def: $vgpr1
                                        ; implicit-def: $vgpr31
; %bb.6:
	s_or_saveexec_b64 s[6:7], s[2:3]
	s_load_dwordx2 s[18:19], s[4:5], 0x0
	s_load_dwordx2 s[24:25], s[4:5], 0x18
	s_load_dword s11, s[4:5], 0x88
	v_mov_b32_e32 v28, 0xff7fffff
	s_mul_i32 s14, s12, s14
	v_lshrrev_b32_e32 v3, 4, v0
	s_xor_b64 exec, exec, s[6:7]
	s_cbranch_execz .LBB137_12
; %bb.7:
	s_load_dwordx2 s[2:3], s[4:5], 0x10
	s_ashr_i32 s15, s14, 31
	s_lshl_b64 s[4:5], s[14:15], 1
	v_mul_u32_u24_e32 v4, 40, v1
	v_bfe_u32 v28, v0, 2, 4
	s_waitcnt lgkmcnt(0)
	s_add_u32 s2, s2, s4
	ds_read2_b64 v[11:14], v4 offset1:1
	ds_read2_b64 v[20:23], v4 offset0:2 offset1:3
	s_addc_u32 s3, s3, s5
	v_lshlrev_b32_e32 v6, 4, v28
	ds_read_b64 v[4:5], v4 offset:32
	v_mov_b32_e32 v24, s3
	v_add_co_u32_e32 v6, vcc, s2, v6
	s_sub_i32 s12, 1, s33
	s_lshl_b64 s[2:3], s[22:23], 2
	v_addc_co_u32_e32 v30, vcc, 0, v24, vcc
	s_add_u32 s2, s20, s2
	v_cmp_eq_u32_e32 vcc, 0, v1
	s_addc_u32 s3, s21, s3
	v_and_b32_e32 v1, 60, v3
	v_and_b32_e32 v29, 12, v2
	v_mov_b32_e32 v2, s3
	v_add_co_u32_e64 v1, s[2:3], s2, v1
	s_waitcnt lgkmcnt(0)
	v_lshlrev_b32_e32 v24, 16, v4
	v_and_b32_e32 v25, 0xffff0000, v4
	v_addc_co_u32_e64 v2, s[2:3], 0, v2, s[2:3]
	v_mbcnt_hi_u32_b32 v4, -1, v31
	v_add_co_u32_e64 v29, s[2:3], v6, v29
	v_and_b32_e32 v6, 64, v4
	v_lshlrev_b32_e32 v26, 16, v5
	v_and_b32_e32 v27, 0xffff0000, v5
	v_addc_co_u32_e64 v30, s[2:3], 0, v30, s[2:3]
	v_add_u32_e32 v5, 64, v6
	v_xor_b32_e32 v31, 2, v4
	v_cmp_lt_i32_e64 s[2:3], v31, v5
	v_xor_b32_e32 v32, 1, v4
	v_cndmask_b32_e64 v31, v4, v31, s[2:3]
	v_cmp_lt_i32_e64 s[2:3], v32, v5
	v_lshl_or_b32 v33, v19, 4, v28
	v_lshlrev_b32_e32 v28, 2, v28
	v_cndmask_b32_e64 v32, v4, v32, s[2:3]
	v_lshl_or_b32 v28, v19, 6, v28
	v_lshlrev_b32_e32 v7, 16, v11
	v_and_b32_e32 v8, 0xffff0000, v11
	v_lshlrev_b32_e32 v9, 16, v12
	v_and_b32_e32 v10, 0xffff0000, v12
	;; [unrolled: 2-line block ×8, first 2 shown]
	s_mov_b32 s15, s13
	v_lshlrev_b32_e32 v31, 2, v31
	v_lshlrev_b32_e32 v32, 2, v32
	v_cmp_neq_f32_e64 s[2:3], s26, 0
	v_add_u32_e32 v34, 0xb0, v28
	s_mov_b64 s[28:29], 0
	v_mov_b32_e32 v28, 0xff7fffff
	v_mov_b32_e32 v35, v19
	s_branch .LBB137_9
.LBB137_8:                              ;   in Loop: Header=BB137_9 Depth=1
	s_or_b64 exec, exec, s[30:31]
	v_add_u32_e32 v35, 2, v35
	v_cmp_le_i32_e64 s[4:5], s17, v35
	s_or_b64 s[28:29], s[4:5], s[28:29]
	v_add_co_u32_e64 v1, s[4:5], 8, v1
	v_add_u32_e32 v33, 32, v33
	v_add_u32_e32 v34, 0x80, v34
	v_addc_co_u32_e64 v2, s[4:5], 0, v2, s[4:5]
	s_andn2_b64 exec, exec, s[28:29]
	s_cbranch_execz .LBB137_11
.LBB137_9:                              ; =>This Inner Loop Header: Depth=1
	global_load_dword v36, v[1:2], off
	s_waitcnt vmcnt(0) lgkmcnt(0)
	v_mad_i64_i32 v[36:37], s[4:5], v36, s15, 0
	v_lshlrev_b64 v[36:37], 1, v[36:37]
	v_add_co_u32_e64 v36, s[4:5], v29, v36
	v_addc_co_u32_e64 v37, s[4:5], v30, v37, s[4:5]
	global_load_dword v38, v[36:37], off offset:256
	global_load_dword v39, v[36:37], off offset:512
	;; [unrolled: 1-line block ×7, first 2 shown]
	global_load_dword v45, v[36:37], off
	global_load_dword v46, v[36:37], off offset:2048
	s_nop 0
	global_load_dword v36, v[36:37], off offset:2304
	s_waitcnt vmcnt(9)
	v_lshlrev_b32_e32 v37, 16, v38
	v_and_b32_e32 v38, 0xffff0000, v38
	v_mul_f32_e32 v37, v9, v37
	v_mul_f32_e32 v38, v10, v38
	s_waitcnt vmcnt(8)
	v_lshlrev_b32_e32 v48, 16, v39
	v_and_b32_e32 v39, 0xffff0000, v39
	s_waitcnt vmcnt(7)
	v_lshlrev_b32_e32 v49, 16, v40
	s_waitcnt vmcnt(2)
	v_lshlrev_b32_e32 v47, 16, v45
	v_and_b32_e32 v45, 0xffff0000, v45
	v_fmac_f32_e32 v37, v7, v47
	v_fmac_f32_e32 v38, v8, v45
	v_and_b32_e32 v40, 0xffff0000, v40
	v_fmac_f32_e32 v37, v11, v48
	v_fmac_f32_e32 v38, v12, v39
	v_lshlrev_b32_e32 v50, 16, v41
	v_and_b32_e32 v41, 0xffff0000, v41
	v_fmac_f32_e32 v37, v13, v49
	v_fmac_f32_e32 v38, v14, v40
	v_lshlrev_b32_e32 v51, 16, v42
	;; [unrolled: 4-line block ×4, first 2 shown]
	v_and_b32_e32 v44, 0xffff0000, v44
	v_fmac_f32_e32 v37, v20, v52
	v_fmac_f32_e32 v38, v21, v43
	s_waitcnt vmcnt(1)
	v_lshlrev_b32_e32 v47, 16, v46
	v_and_b32_e32 v46, 0xffff0000, v46
	v_fmac_f32_e32 v37, v22, v53
	v_fmac_f32_e32 v38, v23, v44
	s_waitcnt vmcnt(0)
	v_lshlrev_b32_e32 v45, 16, v36
	v_and_b32_e32 v36, 0xffff0000, v36
	v_fmac_f32_e32 v37, v24, v47
	v_fmac_f32_e32 v38, v25, v46
	v_fmac_f32_e32 v37, v26, v45
	v_fmac_f32_e32 v38, v27, v36
	v_add_f32_e32 v36, v37, v38
	ds_bpermute_b32 v37, v31, v36
	s_waitcnt lgkmcnt(0)
	v_add_f32_e32 v36, v36, v37
	ds_bpermute_b32 v37, v32, v36
	s_and_saveexec_b64 s[30:31], vcc
	s_cbranch_execz .LBB137_8
; %bb.10:                               ;   in Loop: Header=BB137_9 Depth=1
	v_add_u32_e32 v38, s12, v33
	v_cvt_f32_i32_e32 v38, v38
	s_waitcnt lgkmcnt(0)
	v_add_f32_e32 v36, v36, v37
	v_cmp_gt_i32_e64 s[4:5], s33, v33
	v_max_f32_e32 v37, v28, v28
	v_mul_f32_e32 v38, s26, v38
	v_cndmask_b32_e64 v38, 0, v38, s[2:3]
	v_fmac_f32_e32 v38, s27, v36
	v_cndmask_b32_e64 v36, 0, v38, s[4:5]
	ds_write_b32 v34, v36
	v_max_f32_e32 v36, v37, v38
	v_cndmask_b32_e64 v28, v28, v36, s[4:5]
	s_branch .LBB137_8
.LBB137_11:
	s_or_b64 exec, exec, s[28:29]
.LBB137_12:
	s_or_b64 exec, exec, s[6:7]
	v_xor_b32_e32 v1, 32, v4
	v_cmp_lt_i32_e32 vcc, v1, v5
	v_cndmask_b32_e32 v1, v4, v1, vcc
	v_lshlrev_b32_e32 v2, 2, v1
	ds_bpermute_b32 v1, v2, v28
	v_xor_b32_e32 v8, 16, v4
	v_max_f32_e32 v7, v28, v28
	v_cmp_lt_i32_e32 vcc, v8, v5
	v_xor_b32_e32 v9, 8, v4
	s_waitcnt lgkmcnt(0)
	v_max_f32_e32 v1, v1, v1
	v_max_f32_e32 v1, v7, v1
	v_cndmask_b32_e32 v7, v4, v8, vcc
	v_lshlrev_b32_e32 v7, 2, v7
	ds_bpermute_b32 v8, v7, v1
	v_cmp_lt_i32_e32 vcc, v9, v5
	v_xor_b32_e32 v11, 4, v4
	s_waitcnt lgkmcnt(0)
	v_max_f32_e32 v8, v8, v8
	v_max_f32_e32 v1, v1, v8
	v_cndmask_b32_e32 v8, v4, v9, vcc
	v_lshlrev_b32_e32 v10, 2, v8
	ds_bpermute_b32 v8, v10, v1
	v_cmp_lt_i32_e32 vcc, v11, v5
	s_waitcnt lgkmcnt(0)
	v_max_f32_e32 v8, v8, v8
	v_max_f32_e32 v9, v1, v8
	v_cndmask_b32_e32 v1, v4, v11, vcc
	v_lshlrev_b32_e32 v11, 2, v1
	ds_bpermute_b32 v12, v11, v9
	v_and_b32_e32 v1, 63, v0
	v_cmp_eq_u32_e32 vcc, 0, v1
	v_lshlrev_b32_e32 v8, 2, v19
	s_and_saveexec_b64 s[2:3], vcc
	s_cbranch_execz .LBB137_14
; %bb.13:
	s_waitcnt lgkmcnt(0)
	v_max_f32_e32 v12, v12, v12
	v_max_f32_e32 v9, v9, v9
	;; [unrolled: 1-line block ×3, first 2 shown]
	ds_write_b32 v8, v9 offset:160
.LBB137_14:
	s_or_b64 exec, exec, s[2:3]
	v_cmp_gt_u32_e64 s[2:3], 2, v1
	s_waitcnt lgkmcnt(0)
	v_mov_b32_e32 v12, 0xff7fffff
	v_lshlrev_b32_e32 v9, 2, v1
	s_barrier
	s_and_saveexec_b64 s[4:5], s[2:3]
; %bb.15:
	ds_read_b32 v12, v9 offset:160
; %bb.16:
	s_or_b64 exec, exec, s[4:5]
	v_xor_b32_e32 v13, 1, v4
	v_cmp_lt_i32_e64 s[4:5], v13, v5
	v_cndmask_b32_e64 v13, v4, v13, s[4:5]
	v_lshlrev_b32_e32 v20, 2, v13
	s_waitcnt lgkmcnt(0)
	ds_bpermute_b32 v13, v20, v12
	v_max_f32_e32 v12, v12, v12
	v_lshlrev_b32_e32 v6, 2, v6
	s_lshl_b32 s4, s17, 4
	s_min_i32 s12, s4, s33
	s_waitcnt lgkmcnt(0)
	v_max_f32_e32 v13, v13, v13
	v_max_f32_e32 v12, v12, v13
	ds_bpermute_b32 v12, v6, v12
	v_cmp_gt_i32_e64 s[4:5], s12, v0
	v_mov_b32_e32 v6, 0
	s_and_saveexec_b64 s[26:27], s[4:5]
	s_cbranch_execz .LBB137_20
; %bb.17:
	v_mov_b32_e32 v6, 0xb0
	v_lshl_add_u32 v13, v0, 2, v6
	v_mov_b32_e32 v6, 0
	s_mov_b64 s[28:29], 0
	v_mov_b32_e32 v14, v0
.LBB137_18:                             ; =>This Inner Loop Header: Depth=1
	ds_read_b32 v15, v13
	v_add_u32_e32 v14, 0x80, v14
	v_cmp_le_i32_e64 s[6:7], s12, v14
	s_or_b64 s[28:29], s[6:7], s[28:29]
	s_waitcnt lgkmcnt(0)
	v_sub_f32_e32 v15, v15, v12
	v_mul_f32_e32 v15, 0x3fb8aa3b, v15
	v_exp_f32_e32 v15, v15
	ds_write_b32 v13, v15
	v_add_f32_e32 v6, v6, v15
	v_add_u32_e32 v13, 0x200, v13
	s_andn2_b64 exec, exec, s[28:29]
	s_cbranch_execnz .LBB137_18
; %bb.19:
	s_or_b64 exec, exec, s[28:29]
.LBB137_20:
	s_or_b64 exec, exec, s[26:27]
	ds_bpermute_b32 v2, v2, v6
	s_waitcnt lgkmcnt(0)
	v_add_f32_e32 v2, v6, v2
	ds_bpermute_b32 v6, v7, v2
	v_xor_b32_e32 v7, 2, v4
	v_cmp_lt_i32_e64 s[6:7], v7, v5
	v_cndmask_b32_e64 v5, v4, v7, s[6:7]
	v_lshlrev_b32_e32 v5, 2, v5
	s_waitcnt lgkmcnt(0)
	v_add_f32_e32 v2, v2, v6
	ds_bpermute_b32 v6, v10, v2
	s_waitcnt lgkmcnt(0)
	v_add_f32_e32 v2, v2, v6
	ds_bpermute_b32 v6, v11, v2
	s_waitcnt lgkmcnt(0)
	v_add_f32_e32 v2, v2, v6
	ds_bpermute_b32 v5, v5, v2
	s_waitcnt lgkmcnt(0)
	v_add_f32_e32 v2, v2, v5
	ds_bpermute_b32 v5, v20, v2
	s_waitcnt lgkmcnt(0)
	v_add_f32_e32 v2, v2, v5
	s_and_saveexec_b64 s[6:7], vcc
; %bb.21:
	ds_write_b32 v8, v2 offset:168
; %bb.22:
	s_or_b64 exec, exec, s[6:7]
	s_waitcnt lgkmcnt(0)
	s_barrier
	s_and_saveexec_b64 s[6:7], s[2:3]
; %bb.23:
	ds_read_b32 v2, v9 offset:168
; %bb.24:
	s_or_b64 exec, exec, s[6:7]
	s_waitcnt lgkmcnt(0)
	ds_bpermute_b32 v5, v20, v2
	v_lshlrev_b32_e32 v4, 2, v4
	v_and_b32_e32 v4, 0xffffff00, v4
	s_waitcnt lgkmcnt(0)
	v_add_f32_e32 v2, v2, v5
	ds_bpermute_b32 v2, v4, v2
	s_and_saveexec_b64 s[2:3], s[4:5]
	s_cbranch_execz .LBB137_27
; %bb.25:
	s_waitcnt lgkmcnt(0)
	v_add_f32_e32 v4, 0x358637bd, v2
	v_div_scale_f32 v2, s[4:5], v4, v4, 1.0
	v_div_scale_f32 v5, vcc, 1.0, v4, 1.0
	s_mov_b64 s[4:5], 0
	v_rcp_f32_e32 v6, v2
	v_fma_f32 v7, -v2, v6, 1.0
	v_fmac_f32_e32 v6, v7, v6
	v_mul_f32_e32 v7, v5, v6
	v_fma_f32 v8, -v2, v7, v5
	v_fmac_f32_e32 v7, v8, v6
	v_fma_f32 v2, -v2, v7, v5
	v_div_fmas_f32 v5, v2, v6, v7
	v_mov_b32_e32 v2, 0xb0
	v_lshl_add_u32 v2, v0, 2, v2
	v_div_fixup_f32 v4, v5, v4, 1.0
	v_mov_b32_e32 v5, v0
.LBB137_26:                             ; =>This Inner Loop Header: Depth=1
	ds_read_b32 v6, v2
	v_add_u32_e32 v5, 0x80, v5
	v_cmp_le_i32_e32 vcc, s12, v5
	s_or_b64 s[4:5], vcc, s[4:5]
	s_waitcnt lgkmcnt(0)
	v_mul_f32_e32 v6, v4, v6
	ds_write_b32 v2, v6
	v_add_u32_e32 v2, 0x200, v2
	s_andn2_b64 exec, exec, s[4:5]
	s_cbranch_execnz .LBB137_26
.LBB137_27:
	s_or_b64 exec, exec, s[2:3]
	v_lshrrev_b32_e32 v21, 1, v1
	s_waitcnt lgkmcnt(0)
	s_barrier
	s_and_saveexec_b64 s[2:3], s[0:1]
	s_xor_b64 s[0:1], exec, s[2:3]
; %bb.28:
	v_lshrrev_b32_e32 v21, 1, v1
                                        ; implicit-def: $vgpr19
                                        ; implicit-def: $vgpr3
; %bb.29:
	s_or_saveexec_b64 s[6:7], s[0:1]
	v_mov_b32_e32 v24, 0
	v_and_b32_e32 v22, 1, v0
	v_mov_b32_e32 v25, 0
	v_mov_b32_e32 v26, 0
	s_xor_b64 exec, exec, s[6:7]
	s_cbranch_execz .LBB137_41
; %bb.30:
	s_ashr_i32 s15, s14, 31
	v_lshlrev_b32_e32 v1, 3, v0
	s_lshl_b64 s[0:1], s[14:15], 1
	v_and_b32_e32 v1, 8, v1
	s_add_u32 s24, s24, s0
	v_or_b32_e32 v4, 64, v21
	s_movk_i32 s0, 0x50
	s_addc_u32 s4, s25, s1
	s_add_i32 s25, s17, -1
	v_lshl_or_b32 v2, v21, 4, v1
	v_cmp_gt_u32_e64 s[0:1], s0, v4
	v_lshl_or_b32 v4, v4, 4, v1
	v_lshl_or_b32 v27, v19, 4, v1
	v_lshlrev_b32_e32 v1, 5, v22
	s_lshl_b64 s[2:3], s[22:23], 2
	v_lshl_or_b32 v1, v19, 6, v1
	s_add_u32 s2, s20, s2
	v_add_u32_e32 v28, 0xb0, v1
	v_and_b32_e32 v1, 60, v3
	s_addc_u32 s3, s21, s3
	v_mov_b32_e32 v3, s3
	v_add_co_u32_e32 v17, vcc, s2, v1
	s_mov_b32 s26, s13
	v_mov_b32_e32 v23, 0
	s_mov_b32 s27, s33
	v_addc_co_u32_e32 v18, vcc, 0, v3, vcc
	s_mov_b64 s[12:13], 0
	v_mov_b32_e32 v29, s4
	v_lshlrev_b32_e32 v30, 1, v2
	s_mov_b32 s20, 0x5040100
	s_movk_i32 s21, 0x7fff
	s_mov_b32 s22, 0x7060302
	v_lshlrev_b32_e32 v31, 1, v4
	v_mov_b32_e32 v26, 0
	v_mov_b32_e32 v25, 0
	;; [unrolled: 1-line block ×3, first 2 shown]
	s_branch .LBB137_33
.LBB137_31:                             ;   in Loop: Header=BB137_33 Depth=1
	s_or_b64 exec, exec, s[14:15]
	s_waitcnt vmcnt(0)
	v_lshlrev_b32_e32 v32, 16, v9
	v_lshlrev_b32_e32 v33, 16, v16
	v_mul_f32_e32 v32, v33, v32
	v_bfe_u32 v33, v32, 16, 1
	v_add3_u32 v33, v33, v32, s21
	v_or_b32_e32 v34, 0x400000, v32
	v_cmp_u_f32_e32 vcc, v32, v32
	v_cndmask_b32_e32 v32, v33, v34, vcc
	v_and_b32_e32 v9, 0xffff0000, v9
	v_and_b32_e32 v33, 0xffff0000, v16
	v_mul_f32_e32 v9, v33, v9
	v_bfe_u32 v33, v9, 16, 1
	v_add3_u32 v33, v33, v9, s21
	v_or_b32_e32 v34, 0x400000, v9
	v_cmp_u_f32_e32 vcc, v9, v9
	v_cndmask_b32_e32 v9, v33, v34, vcc
	v_lshlrev_b32_e32 v33, 16, v10
	v_lshlrev_b32_e32 v34, 16, v15
	v_mul_f32_e32 v33, v34, v33
	v_bfe_u32 v34, v33, 16, 1
	v_add3_u32 v34, v34, v33, s21
	v_or_b32_e32 v35, 0x400000, v33
	v_cmp_u_f32_e32 vcc, v33, v33
	v_cndmask_b32_e32 v33, v34, v35, vcc
	v_and_b32_e32 v10, 0xffff0000, v10
	v_and_b32_e32 v34, 0xffff0000, v15
	v_mul_f32_e32 v10, v34, v10
	v_bfe_u32 v34, v10, 16, 1
	v_add3_u32 v34, v34, v10, s21
	v_or_b32_e32 v35, 0x400000, v10
	v_cmp_u_f32_e32 vcc, v10, v10
	v_cndmask_b32_e32 v10, v34, v35, vcc
	;; [unrolled: 16-line block ×3, first 2 shown]
	v_lshlrev_b32_e32 v35, 16, v12
	v_lshlrev_b32_e32 v36, 16, v13
	v_mul_f32_e32 v35, v36, v35
	v_bfe_u32 v36, v35, 16, 1
	v_add3_u32 v36, v36, v35, s21
	v_or_b32_e32 v37, 0x400000, v35
	v_cmp_u_f32_e32 vcc, v35, v35
	v_cndmask_b32_e32 v35, v36, v37, vcc
	v_and_b32_e32 v12, 0xffff0000, v12
	v_and_b32_e32 v36, 0xffff0000, v13
	;; [unrolled: 1-line block ×4, first 2 shown]
	v_mul_f32_e32 v12, v36, v12
	v_add_f32_e32 v9, v32, v9
	v_and_b32_e32 v10, 0xffff0000, v10
	v_and_b32_e32 v32, 0xffff0000, v33
	v_bfe_u32 v36, v12, 16, 1
	v_add_f32_e32 v10, v32, v10
	v_add3_u32 v36, v36, v12, s21
	v_or_b32_e32 v37, 0x400000, v12
	v_cmp_u_f32_e32 vcc, v12, v12
	v_add_f32_e32 v9, v10, v9
	v_and_b32_e32 v10, 0xffff0000, v11
	v_and_b32_e32 v11, 0xffff0000, v34
	v_cndmask_b32_e32 v12, v36, v37, vcc
	v_add_f32_e32 v10, v11, v10
	v_add_f32_e32 v9, v10, v9
	v_and_b32_e32 v10, 0xffff0000, v12
	v_and_b32_e32 v11, 0xffff0000, v35
	v_add_f32_e32 v10, v11, v10
	v_add_f32_e32 v9, v10, v9
	v_add_f32_e32 v26, v26, v9
.LBB137_32:                             ;   in Loop: Header=BB137_33 Depth=1
	s_or_b64 exec, exec, s[4:5]
	s_waitcnt vmcnt(0)
	v_and_b32_e32 v9, 0xffff0000, v5
	v_and_b32_e32 v10, 0xffff0000, v16
	v_mul_f32_e32 v9, v10, v9
	v_bfe_u32 v11, v9, 16, 1
	v_add3_u32 v11, v11, v9, s21
	v_or_b32_e32 v12, 0x400000, v9
	v_cmp_u_f32_e32 vcc, v9, v9
	v_cndmask_b32_e32 v9, v11, v12, vcc
	v_lshlrev_b32_e32 v5, 16, v5
	v_lshlrev_b32_e32 v11, 16, v16
	v_mul_f32_e32 v5, v11, v5
	v_bfe_u32 v12, v5, 16, 1
	v_add3_u32 v12, v12, v5, s21
	v_or_b32_e32 v16, 0x400000, v5
	v_cmp_u_f32_e32 vcc, v5, v5
	v_cndmask_b32_e32 v5, v12, v16, vcc
	v_and_b32_e32 v12, 0xffff0000, v6
	v_and_b32_e32 v16, 0xffff0000, v15
	v_mul_f32_e32 v12, v16, v12
	v_bfe_u32 v32, v12, 16, 1
	v_lshlrev_b32_e32 v6, 16, v6
	v_lshlrev_b32_e32 v15, 16, v15
	v_add3_u32 v32, v32, v12, s21
	v_or_b32_e32 v33, 0x400000, v12
	v_cmp_u_f32_e32 vcc, v12, v12
	v_mul_f32_e32 v6, v15, v6
	v_cndmask_b32_e32 v12, v32, v33, vcc
	v_bfe_u32 v32, v6, 16, 1
	v_add3_u32 v32, v32, v6, s21
	v_or_b32_e32 v33, 0x400000, v6
	v_cmp_u_f32_e32 vcc, v6, v6
	v_cndmask_b32_e32 v6, v32, v33, vcc
	v_and_b32_e32 v32, 0xffff0000, v7
	v_and_b32_e32 v33, 0xffff0000, v14
	v_mul_f32_e32 v32, v33, v32
	v_bfe_u32 v34, v32, 16, 1
	v_lshlrev_b32_e32 v7, 16, v7
	v_lshlrev_b32_e32 v14, 16, v14
	v_add3_u32 v34, v34, v32, s21
	v_or_b32_e32 v35, 0x400000, v32
	v_cmp_u_f32_e32 vcc, v32, v32
	v_mul_f32_e32 v7, v14, v7
	v_cndmask_b32_e32 v32, v34, v35, vcc
	v_bfe_u32 v34, v7, 16, 1
	v_add3_u32 v34, v34, v7, s21
	v_or_b32_e32 v35, 0x400000, v7
	v_cmp_u_f32_e32 vcc, v7, v7
	v_cndmask_b32_e32 v7, v34, v35, vcc
	v_and_b32_e32 v34, 0xffff0000, v8
	v_and_b32_e32 v35, 0xffff0000, v13
	v_mul_f32_e32 v34, v35, v34
	v_bfe_u32 v36, v34, 16, 1
	v_lshlrev_b32_e32 v8, 16, v8
	v_lshlrev_b32_e32 v13, 16, v13
	v_and_b32_e32 v5, 0xffff0000, v5
	v_and_b32_e32 v9, 0xffff0000, v9
	v_add3_u32 v36, v36, v34, s21
	v_or_b32_e32 v37, 0x400000, v34
	v_cmp_u_f32_e32 vcc, v34, v34
	v_mul_f32_e32 v8, v13, v8
	v_add_f32_e32 v5, v5, v9
	v_and_b32_e32 v6, 0xffff0000, v6
	v_and_b32_e32 v9, 0xffff0000, v12
	v_cndmask_b32_e32 v34, v36, v37, vcc
	v_bfe_u32 v36, v8, 16, 1
	v_add_f32_e32 v6, v6, v9
	v_add3_u32 v36, v36, v8, s21
	v_or_b32_e32 v37, 0x400000, v8
	v_cmp_u_f32_e32 vcc, v8, v8
	v_add_f32_e32 v5, v6, v5
	v_and_b32_e32 v6, 0xffff0000, v7
	v_and_b32_e32 v7, 0xffff0000, v32
	v_cndmask_b32_e32 v8, v36, v37, vcc
	v_add_f32_e32 v6, v6, v7
	v_add_f32_e32 v5, v6, v5
	v_and_b32_e32 v6, 0xffff0000, v8
	v_and_b32_e32 v7, 0xffff0000, v34
	v_add_f32_e32 v6, v6, v7
	v_add_f32_e32 v5, v6, v5
	;; [unrolled: 1-line block ×3, first 2 shown]
	v_and_b32_e32 v5, 0xffff0000, v1
	v_mul_f32_e32 v5, v10, v5
	v_bfe_u32 v6, v5, 16, 1
	v_lshlrev_b32_e32 v1, 16, v1
	v_add3_u32 v6, v6, v5, s21
	v_or_b32_e32 v7, 0x400000, v5
	v_cmp_u_f32_e32 vcc, v5, v5
	v_mul_f32_e32 v1, v11, v1
	v_cndmask_b32_e32 v5, v6, v7, vcc
	v_bfe_u32 v6, v1, 16, 1
	v_add3_u32 v6, v6, v1, s21
	v_or_b32_e32 v7, 0x400000, v1
	v_cmp_u_f32_e32 vcc, v1, v1
	v_cndmask_b32_e32 v1, v6, v7, vcc
	v_and_b32_e32 v6, 0xffff0000, v2
	v_mul_f32_e32 v6, v16, v6
	v_bfe_u32 v7, v6, 16, 1
	v_lshlrev_b32_e32 v2, 16, v2
	v_add3_u32 v7, v7, v6, s21
	v_or_b32_e32 v8, 0x400000, v6
	v_cmp_u_f32_e32 vcc, v6, v6
	v_mul_f32_e32 v2, v15, v2
	v_cndmask_b32_e32 v6, v7, v8, vcc
	v_bfe_u32 v7, v2, 16, 1
	v_add3_u32 v7, v7, v2, s21
	v_or_b32_e32 v8, 0x400000, v2
	v_cmp_u_f32_e32 vcc, v2, v2
	v_cndmask_b32_e32 v2, v7, v8, vcc
	;; [unrolled: 14-line block ×3, first 2 shown]
	v_and_b32_e32 v8, 0xffff0000, v4
	v_mul_f32_e32 v8, v35, v8
	v_bfe_u32 v9, v8, 16, 1
	v_lshlrev_b32_e32 v4, 16, v4
	v_and_b32_e32 v1, 0xffff0000, v1
	v_and_b32_e32 v5, 0xffff0000, v5
	v_add3_u32 v9, v9, v8, s21
	v_or_b32_e32 v10, 0x400000, v8
	v_cmp_u_f32_e32 vcc, v8, v8
	v_mul_f32_e32 v4, v13, v4
	v_add_f32_e32 v1, v1, v5
	v_and_b32_e32 v2, 0xffff0000, v2
	v_and_b32_e32 v5, 0xffff0000, v6
	v_cndmask_b32_e32 v8, v9, v10, vcc
	v_bfe_u32 v9, v4, 16, 1
	v_add_f32_e32 v2, v2, v5
	v_add3_u32 v9, v9, v4, s21
	v_or_b32_e32 v10, 0x400000, v4
	v_cmp_u_f32_e32 vcc, v4, v4
	v_add_f32_e32 v1, v2, v1
	v_and_b32_e32 v2, 0xffff0000, v3
	v_and_b32_e32 v3, 0xffff0000, v7
	v_cndmask_b32_e32 v4, v9, v10, vcc
	v_add_f32_e32 v2, v2, v3
	v_add_f32_e32 v1, v2, v1
	v_and_b32_e32 v2, 0xffff0000, v4
	v_and_b32_e32 v3, 0xffff0000, v8
	v_add_u32_e32 v19, 2, v19
	v_add_f32_e32 v2, v2, v3
	v_cmp_le_i32_e32 vcc, s17, v19
	v_add_f32_e32 v1, v2, v1
	s_or_b64 s[12:13], vcc, s[12:13]
	v_add_co_u32_e32 v17, vcc, 8, v17
	v_add_f32_e32 v24, v24, v1
	v_add_u32_e32 v27, 32, v27
	v_add_u32_e32 v28, 0x80, v28
	v_addc_co_u32_e32 v18, vcc, 0, v18, vcc
	s_andn2_b64 exec, exec, s[12:13]
	s_cbranch_execz .LBB137_40
.LBB137_33:                             ; =>This Inner Loop Header: Depth=1
	global_load_dword v1, v[17:18], off
	s_waitcnt vmcnt(0)
	v_mad_i64_i32 v[1:2], s[2:3], v1, s26, 0
	v_cmp_eq_u32_e64 s[2:3], s25, v19
	v_lshlrev_b64 v[1:2], 1, v[1:2]
	v_add_co_u32_e32 v32, vcc, s24, v1
	v_addc_co_u32_e32 v33, vcc, v29, v2, vcc
	v_add_co_u32_e32 v5, vcc, v32, v30
	v_addc_co_u32_e32 v6, vcc, 0, v33, vcc
	global_load_dwordx4 v[1:4], v[5:6], off
	ds_read2_b64 v[13:16], v28 offset1:1
	ds_read2_b64 v[9:12], v28 offset0:2 offset1:3
	s_and_saveexec_b64 s[14:15], s[2:3]
	s_cbranch_execz .LBB137_35
; %bb.34:                               ;   in Loop: Header=BB137_33 Depth=1
	v_add_u32_e32 v7, 1, v27
	v_cmp_gt_i32_e32 vcc, s27, v7
	s_waitcnt vmcnt(0)
	v_cndmask_b32_sdwa v7, v23, v1, vcc dst_sel:DWORD dst_unused:UNUSED_PAD src0_sel:DWORD src1_sel:WORD_1
	v_cmp_gt_i32_e32 vcc, s33, v27
	v_cndmask_b32_e32 v1, 0, v1, vcc
	v_perm_b32 v1, v7, v1, s20
	v_or_b32_e32 v7, 3, v27
	v_or_b32_e32 v8, 2, v27
	v_cmp_gt_i32_e32 vcc, s27, v7
	v_cmp_gt_i32_e64 s[4:5], s33, v8
	v_cndmask_b32_e64 v7, 0, v2, s[4:5]
	v_cndmask_b32_sdwa v2, v23, v2, vcc dst_sel:DWORD dst_unused:UNUSED_PAD src0_sel:DWORD src1_sel:WORD_1
	v_perm_b32 v2, v2, v7, s20
	v_or_b32_e32 v7, 5, v27
	v_or_b32_e32 v8, 4, v27
	v_cmp_gt_i32_e32 vcc, s27, v7
	v_cmp_gt_i32_e64 s[4:5], s33, v8
	v_cndmask_b32_e64 v7, 0, v3, s[4:5]
	v_cndmask_b32_sdwa v3, v23, v3, vcc dst_sel:DWORD dst_unused:UNUSED_PAD src0_sel:DWORD src1_sel:WORD_1
	v_perm_b32 v3, v3, v7, s20
	v_or_b32_e32 v7, 7, v27
	v_or_b32_e32 v8, 6, v27
	v_cmp_gt_i32_e32 vcc, s27, v7
	v_cmp_gt_i32_e64 s[4:5], s33, v8
	v_cndmask_b32_e64 v7, 0, v4, s[4:5]
	v_cndmask_b32_sdwa v4, v23, v4, vcc dst_sel:DWORD dst_unused:UNUSED_PAD src0_sel:DWORD src1_sel:WORD_1
	v_perm_b32 v4, v4, v7, s20
.LBB137_35:                             ;   in Loop: Header=BB137_33 Depth=1
	s_or_b64 exec, exec, s[14:15]
	global_load_dwordx4 v[5:8], v[5:6], off offset:1024
	s_and_saveexec_b64 s[14:15], s[2:3]
	s_cbranch_execz .LBB137_37
; %bb.36:                               ;   in Loop: Header=BB137_33 Depth=1
	v_add_u32_e32 v34, 1, v27
	v_cmp_gt_i32_e32 vcc, s27, v34
	s_waitcnt vmcnt(0)
	v_cndmask_b32_sdwa v34, v23, v5, vcc dst_sel:DWORD dst_unused:UNUSED_PAD src0_sel:DWORD src1_sel:WORD_1
	v_cmp_gt_i32_e32 vcc, s33, v27
	v_cndmask_b32_e32 v5, 0, v5, vcc
	v_perm_b32 v5, v34, v5, s20
	v_or_b32_e32 v34, 3, v27
	v_or_b32_e32 v35, 2, v27
	v_cmp_gt_i32_e32 vcc, s27, v34
	v_cmp_gt_i32_e64 s[4:5], s33, v35
	v_cndmask_b32_e64 v34, 0, v6, s[4:5]
	v_cndmask_b32_sdwa v6, v23, v6, vcc dst_sel:DWORD dst_unused:UNUSED_PAD src0_sel:DWORD src1_sel:WORD_1
	v_perm_b32 v6, v6, v34, s20
	v_or_b32_e32 v34, 5, v27
	v_or_b32_e32 v35, 4, v27
	v_cmp_gt_i32_e32 vcc, s27, v34
	v_cmp_gt_i32_e64 s[4:5], s33, v35
	v_cndmask_b32_e64 v34, 0, v7, s[4:5]
	v_cndmask_b32_sdwa v7, v23, v7, vcc dst_sel:DWORD dst_unused:UNUSED_PAD src0_sel:DWORD src1_sel:WORD_1
	;; [unrolled: 7-line block ×3, first 2 shown]
	v_perm_b32 v8, v8, v34, s20
.LBB137_37:                             ;   in Loop: Header=BB137_33 Depth=1
	s_or_b64 exec, exec, s[14:15]
	s_waitcnt lgkmcnt(1)
	v_bfe_u32 v34, v13, 16, 1
	v_add3_u32 v34, v34, v13, s21
	v_or_b32_e32 v35, 0x400000, v13
	v_cmp_u_f32_e32 vcc, v13, v13
	v_cndmask_b32_e32 v13, v34, v35, vcc
	v_bfe_u32 v34, v14, 16, 1
	v_add3_u32 v34, v34, v14, s21
	v_or_b32_e32 v35, 0x400000, v14
	v_cmp_u_f32_e32 vcc, v14, v14
	v_cndmask_b32_e32 v14, v34, v35, vcc
	;; [unrolled: 5-line block ×3, first 2 shown]
	v_bfe_u32 v34, v16, 16, 1
	v_add3_u32 v34, v34, v16, s21
	v_or_b32_e32 v35, 0x400000, v16
	v_cmp_u_f32_e32 vcc, v16, v16
	s_waitcnt lgkmcnt(0)
	v_bfe_u32 v16, v9, 16, 1
	v_cndmask_b32_e32 v34, v34, v35, vcc
	v_add3_u32 v16, v16, v9, s21
	v_or_b32_e32 v35, 0x400000, v9
	v_cmp_u_f32_e32 vcc, v9, v9
	v_cndmask_b32_e32 v9, v16, v35, vcc
	v_bfe_u32 v16, v10, 16, 1
	v_add3_u32 v16, v16, v10, s21
	v_or_b32_e32 v35, 0x400000, v10
	v_cmp_u_f32_e32 vcc, v10, v10
	v_cndmask_b32_e32 v10, v16, v35, vcc
	v_bfe_u32 v16, v11, 16, 1
	v_add3_u32 v16, v16, v11, s21
	v_or_b32_e32 v35, 0x400000, v11
	v_cmp_u_f32_e32 vcc, v11, v11
	v_cndmask_b32_e32 v11, v16, v35, vcc
	v_bfe_u32 v16, v12, 16, 1
	v_add3_u32 v16, v16, v12, s21
	v_or_b32_e32 v35, 0x400000, v12
	v_cmp_u_f32_e32 vcc, v12, v12
	v_cndmask_b32_e32 v12, v16, v35, vcc
	v_perm_b32 v16, v14, v13, s22
	v_perm_b32 v15, v34, v15, s22
	;; [unrolled: 1-line block ×4, first 2 shown]
	s_and_saveexec_b64 s[4:5], s[0:1]
	s_cbranch_execz .LBB137_32
; %bb.38:                               ;   in Loop: Header=BB137_33 Depth=1
	v_add_co_u32_e32 v9, vcc, v32, v31
	v_addc_co_u32_e32 v10, vcc, 0, v33, vcc
	global_load_dwordx4 v[9:12], v[9:10], off
	s_and_saveexec_b64 s[14:15], s[2:3]
	s_cbranch_execz .LBB137_31
; %bb.39:                               ;   in Loop: Header=BB137_33 Depth=1
	v_add_u32_e32 v32, 1, v27
	v_cmp_gt_i32_e32 vcc, s27, v32
	s_waitcnt vmcnt(0)
	v_cndmask_b32_sdwa v32, v23, v9, vcc dst_sel:DWORD dst_unused:UNUSED_PAD src0_sel:DWORD src1_sel:WORD_1
	v_cmp_gt_i32_e32 vcc, s33, v27
	v_cndmask_b32_e32 v9, 0, v9, vcc
	v_perm_b32 v9, v32, v9, s20
	v_or_b32_e32 v32, 3, v27
	v_or_b32_e32 v33, 2, v27
	v_cmp_gt_i32_e32 vcc, s27, v32
	v_cmp_gt_i32_e64 s[2:3], s33, v33
	v_cndmask_b32_e64 v32, 0, v10, s[2:3]
	v_cndmask_b32_sdwa v10, v23, v10, vcc dst_sel:DWORD dst_unused:UNUSED_PAD src0_sel:DWORD src1_sel:WORD_1
	v_perm_b32 v10, v10, v32, s20
	v_or_b32_e32 v32, 5, v27
	v_or_b32_e32 v33, 4, v27
	v_cmp_gt_i32_e32 vcc, s27, v32
	v_cmp_gt_i32_e64 s[2:3], s33, v33
	v_cndmask_b32_e64 v32, 0, v11, s[2:3]
	v_cndmask_b32_sdwa v11, v23, v11, vcc dst_sel:DWORD dst_unused:UNUSED_PAD src0_sel:DWORD src1_sel:WORD_1
	;; [unrolled: 7-line block ×3, first 2 shown]
	v_perm_b32 v12, v12, v32, s20
	s_branch .LBB137_31
.LBB137_40:
	s_or_b64 exec, exec, s[12:13]
.LBB137_41:
	s_or_b64 exec, exec, s[6:7]
	ds_bpermute_b32 v1, v20, v24
	ds_bpermute_b32 v4, v20, v26
	;; [unrolled: 1-line block ×3, first 2 shown]
	v_cmp_eq_u32_e32 vcc, 0, v22
	s_waitcnt lgkmcnt(0)
	v_add_f32_e32 v3, v24, v1
	v_add_f32_e32 v1, v26, v4
	v_and_b32_e32 v4, 0x3c0, v0
	v_add_f32_e32 v2, v25, v2
	v_cmp_eq_u32_e64 s[0:1], 64, v4
	s_barrier
	s_and_saveexec_b64 s[2:3], s[0:1]
	s_cbranch_execz .LBB137_46
; %bb.42:
	s_and_saveexec_b64 s[0:1], vcc
; %bb.43:
	v_mov_b32_e32 v4, 0xb0
	v_lshl_add_u32 v4, v21, 2, v4
	ds_write2_b32 v4, v3, v2 offset1:32
; %bb.44:
	s_or_b64 exec, exec, s[0:1]
	v_or_b32_e32 v4, 64, v21
	s_movk_i32 s0, 0x50
	v_cmp_gt_u32_e64 s[0:1], s0, v4
	s_and_b64 s[0:1], vcc, s[0:1]
	s_and_b64 exec, exec, s[0:1]
; %bb.45:
	v_mov_b32_e32 v4, 0xb0
	v_lshl_add_u32 v4, v21, 2, v4
	ds_write_b32 v4, v1 offset:256
.LBB137_46:
	s_or_b64 exec, exec, s[2:3]
	v_cmp_gt_u32_e64 s[0:1], 64, v0
	v_lshrrev_b32_e32 v0, 1, v0
	s_waitcnt lgkmcnt(0)
	s_barrier
	s_and_saveexec_b64 s[4:5], s[0:1]
	s_cbranch_execz .LBB137_54
; %bb.47:
	s_and_saveexec_b64 s[2:3], vcc
	s_cbranch_execz .LBB137_49
; %bb.48:
	v_mov_b32_e32 v4, 0xb0
	v_lshl_add_u32 v4, v0, 2, v4
	ds_read_b32 v4, v4
	s_waitcnt lgkmcnt(0)
	v_add_f32_e32 v3, v3, v4
.LBB137_49:
	s_or_b64 exec, exec, s[2:3]
	v_or_b32_e32 v4, 32, v0
	s_movk_i32 s6, 0x50
	v_cmp_gt_u32_e64 s[2:3], s6, v4
	s_and_b64 s[12:13], vcc, s[2:3]
	s_and_saveexec_b64 s[2:3], s[12:13]
	s_cbranch_execz .LBB137_51
; %bb.50:
	v_mov_b32_e32 v4, 0xb0
	v_lshl_add_u32 v4, v0, 2, v4
	ds_read_b32 v4, v4 offset:128
	s_waitcnt lgkmcnt(0)
	v_add_f32_e32 v2, v2, v4
.LBB137_51:
	s_or_b64 exec, exec, s[2:3]
	v_or_b32_e32 v4, 64, v0
	v_cmp_gt_u32_e64 s[2:3], s6, v4
	s_and_b64 s[6:7], vcc, s[2:3]
	s_and_saveexec_b64 s[2:3], s[6:7]
	s_cbranch_execz .LBB137_53
; %bb.52:
	v_mov_b32_e32 v4, 0xb0
	v_lshl_add_u32 v4, v0, 2, v4
	ds_read_b32 v4, v4 offset:256
	s_waitcnt lgkmcnt(0)
	v_add_f32_e32 v1, v1, v4
.LBB137_53:
	s_or_b64 exec, exec, s[2:3]
.LBB137_54:
	s_or_b64 exec, exec, s[4:5]
	s_barrier
	s_and_saveexec_b64 s[2:3], s[0:1]
	s_cbranch_execz .LBB137_61
; %bb.55:
	s_mul_i32 s0, s10, s11
	s_mul_i32 s0, s0, s9
	s_mulk_i32 s0, 0x50
	s_ashr_i32 s1, s0, 31
	s_lshl_b64 s[0:1], s[0:1], 1
	s_add_u32 s2, s18, s0
	s_mul_i32 s0, s11, s16
	s_addc_u32 s3, s19, s1
	s_ashr_i32 s1, s0, 31
	s_lshl_b64 s[0:1], s[0:1], 1
	s_add_u32 s2, s2, s0
	s_mul_i32 s0, s8, 0x50
	s_addc_u32 s3, s3, s1
	s_ashr_i32 s1, s0, 31
	s_lshl_b64 s[0:1], s[0:1], 1
	s_add_u32 s2, s2, s0
	s_movk_i32 s6, 0x50
	s_addc_u32 s3, s3, s1
	v_lshlrev_b32_e32 v4, 1, v0
	s_and_saveexec_b64 s[4:5], vcc
	s_cbranch_execz .LBB137_57
; %bb.56:
	v_bfe_u32 v5, v3, 16, 1
	s_movk_i32 s0, 0x7fff
	v_add3_u32 v5, v5, v3, s0
	v_or_b32_e32 v6, 0x400000, v3
	v_cmp_u_f32_e64 s[0:1], v3, v3
	v_cndmask_b32_e64 v3, v5, v6, s[0:1]
	global_store_short_d16_hi v4, v3, s[2:3]
.LBB137_57:
	s_or_b64 exec, exec, s[4:5]
	v_or_b32_e32 v3, 32, v0
	v_cmp_gt_u32_e64 s[0:1], s6, v3
	s_and_b64 s[0:1], vcc, s[0:1]
	s_and_saveexec_b64 s[4:5], s[0:1]
	s_cbranch_execz .LBB137_59
; %bb.58:
	v_bfe_u32 v3, v2, 16, 1
	s_movk_i32 s0, 0x7fff
	v_add3_u32 v3, v3, v2, s0
	v_or_b32_e32 v5, 0x400000, v2
	v_cmp_u_f32_e64 s[0:1], v2, v2
	v_cndmask_b32_e64 v2, v3, v5, s[0:1]
	global_store_short_d16_hi v4, v2, s[2:3] offset:64
.LBB137_59:
	s_or_b64 exec, exec, s[4:5]
	v_or_b32_e32 v0, 64, v0
	s_movk_i32 s0, 0x50
	v_cmp_gt_u32_e64 s[0:1], s0, v0
	s_and_b64 s[0:1], vcc, s[0:1]
	s_and_b64 exec, exec, s[0:1]
	s_cbranch_execz .LBB137_61
; %bb.60:
	v_bfe_u32 v0, v1, 16, 1
	s_movk_i32 s0, 0x7fff
	v_add3_u32 v0, v0, v1, s0
	v_or_b32_e32 v2, 0x400000, v1
	v_cmp_u_f32_e32 vcc, v1, v1
	v_cndmask_b32_e32 v0, v0, v2, vcc
	global_store_short_d16_hi v4, v0, s[2:3] offset:128
.LBB137_61:
	s_endpgm
	.section	.rodata,"a",@progbits
	.p2align	6, 0x0
	.amdhsa_kernel _ZN4vllm25paged_attention_v1_kernelI14__hip_bfloat16S1_Li80ELi16ELi128ELNS_18Fp8KVCacheDataTypeE0ELb0EEEvPT_PKS3_PKT0_S9_ifPKiSB_iPKfiiiSD_SD_iiiii
		.amdhsa_group_segment_fixed_size 176
		.amdhsa_private_segment_fixed_size 0
		.amdhsa_kernarg_size 384
		.amdhsa_user_sgpr_count 6
		.amdhsa_user_sgpr_private_segment_buffer 1
		.amdhsa_user_sgpr_dispatch_ptr 0
		.amdhsa_user_sgpr_queue_ptr 0
		.amdhsa_user_sgpr_kernarg_segment_ptr 1
		.amdhsa_user_sgpr_dispatch_id 0
		.amdhsa_user_sgpr_flat_scratch_init 0
		.amdhsa_user_sgpr_private_segment_size 0
		.amdhsa_uses_dynamic_stack 0
		.amdhsa_system_sgpr_private_segment_wavefront_offset 0
		.amdhsa_system_sgpr_workgroup_id_x 1
		.amdhsa_system_sgpr_workgroup_id_y 1
		.amdhsa_system_sgpr_workgroup_id_z 1
		.amdhsa_system_sgpr_workgroup_info 0
		.amdhsa_system_vgpr_workitem_id 0
		.amdhsa_next_free_vgpr 54
		.amdhsa_next_free_sgpr 34
		.amdhsa_reserve_vcc 1
		.amdhsa_reserve_flat_scratch 0
		.amdhsa_float_round_mode_32 0
		.amdhsa_float_round_mode_16_64 0
		.amdhsa_float_denorm_mode_32 3
		.amdhsa_float_denorm_mode_16_64 3
		.amdhsa_dx10_clamp 1
		.amdhsa_ieee_mode 1
		.amdhsa_fp16_overflow 0
		.amdhsa_exception_fp_ieee_invalid_op 0
		.amdhsa_exception_fp_denorm_src 0
		.amdhsa_exception_fp_ieee_div_zero 0
		.amdhsa_exception_fp_ieee_overflow 0
		.amdhsa_exception_fp_ieee_underflow 0
		.amdhsa_exception_fp_ieee_inexact 0
		.amdhsa_exception_int_div_zero 0
	.end_amdhsa_kernel
	.section	.text._ZN4vllm25paged_attention_v1_kernelI14__hip_bfloat16S1_Li80ELi16ELi128ELNS_18Fp8KVCacheDataTypeE0ELb0EEEvPT_PKS3_PKT0_S9_ifPKiSB_iPKfiiiSD_SD_iiiii,"axG",@progbits,_ZN4vllm25paged_attention_v1_kernelI14__hip_bfloat16S1_Li80ELi16ELi128ELNS_18Fp8KVCacheDataTypeE0ELb0EEEvPT_PKS3_PKT0_S9_ifPKiSB_iPKfiiiSD_SD_iiiii,comdat
.Lfunc_end137:
	.size	_ZN4vllm25paged_attention_v1_kernelI14__hip_bfloat16S1_Li80ELi16ELi128ELNS_18Fp8KVCacheDataTypeE0ELb0EEEvPT_PKS3_PKT0_S9_ifPKiSB_iPKfiiiSD_SD_iiiii, .Lfunc_end137-_ZN4vllm25paged_attention_v1_kernelI14__hip_bfloat16S1_Li80ELi16ELi128ELNS_18Fp8KVCacheDataTypeE0ELb0EEEvPT_PKS3_PKT0_S9_ifPKiSB_iPKfiiiSD_SD_iiiii
                                        ; -- End function
	.set _ZN4vllm25paged_attention_v1_kernelI14__hip_bfloat16S1_Li80ELi16ELi128ELNS_18Fp8KVCacheDataTypeE0ELb0EEEvPT_PKS3_PKT0_S9_ifPKiSB_iPKfiiiSD_SD_iiiii.num_vgpr, 54
	.set _ZN4vllm25paged_attention_v1_kernelI14__hip_bfloat16S1_Li80ELi16ELi128ELNS_18Fp8KVCacheDataTypeE0ELb0EEEvPT_PKS3_PKT0_S9_ifPKiSB_iPKfiiiSD_SD_iiiii.num_agpr, 0
	.set _ZN4vllm25paged_attention_v1_kernelI14__hip_bfloat16S1_Li80ELi16ELi128ELNS_18Fp8KVCacheDataTypeE0ELb0EEEvPT_PKS3_PKT0_S9_ifPKiSB_iPKfiiiSD_SD_iiiii.numbered_sgpr, 34
	.set _ZN4vllm25paged_attention_v1_kernelI14__hip_bfloat16S1_Li80ELi16ELi128ELNS_18Fp8KVCacheDataTypeE0ELb0EEEvPT_PKS3_PKT0_S9_ifPKiSB_iPKfiiiSD_SD_iiiii.num_named_barrier, 0
	.set _ZN4vllm25paged_attention_v1_kernelI14__hip_bfloat16S1_Li80ELi16ELi128ELNS_18Fp8KVCacheDataTypeE0ELb0EEEvPT_PKS3_PKT0_S9_ifPKiSB_iPKfiiiSD_SD_iiiii.private_seg_size, 0
	.set _ZN4vllm25paged_attention_v1_kernelI14__hip_bfloat16S1_Li80ELi16ELi128ELNS_18Fp8KVCacheDataTypeE0ELb0EEEvPT_PKS3_PKT0_S9_ifPKiSB_iPKfiiiSD_SD_iiiii.uses_vcc, 1
	.set _ZN4vllm25paged_attention_v1_kernelI14__hip_bfloat16S1_Li80ELi16ELi128ELNS_18Fp8KVCacheDataTypeE0ELb0EEEvPT_PKS3_PKT0_S9_ifPKiSB_iPKfiiiSD_SD_iiiii.uses_flat_scratch, 0
	.set _ZN4vllm25paged_attention_v1_kernelI14__hip_bfloat16S1_Li80ELi16ELi128ELNS_18Fp8KVCacheDataTypeE0ELb0EEEvPT_PKS3_PKT0_S9_ifPKiSB_iPKfiiiSD_SD_iiiii.has_dyn_sized_stack, 0
	.set _ZN4vllm25paged_attention_v1_kernelI14__hip_bfloat16S1_Li80ELi16ELi128ELNS_18Fp8KVCacheDataTypeE0ELb0EEEvPT_PKS3_PKT0_S9_ifPKiSB_iPKfiiiSD_SD_iiiii.has_recursion, 0
	.set _ZN4vllm25paged_attention_v1_kernelI14__hip_bfloat16S1_Li80ELi16ELi128ELNS_18Fp8KVCacheDataTypeE0ELb0EEEvPT_PKS3_PKT0_S9_ifPKiSB_iPKfiiiSD_SD_iiiii.has_indirect_call, 0
	.section	.AMDGPU.csdata,"",@progbits
; Kernel info:
; codeLenInByte = 5628
; TotalNumSgprs: 38
; NumVgprs: 54
; ScratchSize: 0
; MemoryBound: 0
; FloatMode: 240
; IeeeMode: 1
; LDSByteSize: 176 bytes/workgroup (compile time only)
; SGPRBlocks: 4
; VGPRBlocks: 13
; NumSGPRsForWavesPerEU: 38
; NumVGPRsForWavesPerEU: 54
; Occupancy: 4
; WaveLimiterHint : 1
; COMPUTE_PGM_RSRC2:SCRATCH_EN: 0
; COMPUTE_PGM_RSRC2:USER_SGPR: 6
; COMPUTE_PGM_RSRC2:TRAP_HANDLER: 0
; COMPUTE_PGM_RSRC2:TGID_X_EN: 1
; COMPUTE_PGM_RSRC2:TGID_Y_EN: 1
; COMPUTE_PGM_RSRC2:TGID_Z_EN: 1
; COMPUTE_PGM_RSRC2:TIDIG_COMP_CNT: 0
	.section	.text._ZN4vllm25paged_attention_v1_kernelI14__hip_bfloat16S1_Li96ELi16ELi128ELNS_18Fp8KVCacheDataTypeE0ELb0EEEvPT_PKS3_PKT0_S9_ifPKiSB_iPKfiiiSD_SD_iiiii,"axG",@progbits,_ZN4vllm25paged_attention_v1_kernelI14__hip_bfloat16S1_Li96ELi16ELi128ELNS_18Fp8KVCacheDataTypeE0ELb0EEEvPT_PKS3_PKT0_S9_ifPKiSB_iPKfiiiSD_SD_iiiii,comdat
	.protected	_ZN4vllm25paged_attention_v1_kernelI14__hip_bfloat16S1_Li96ELi16ELi128ELNS_18Fp8KVCacheDataTypeE0ELb0EEEvPT_PKS3_PKT0_S9_ifPKiSB_iPKfiiiSD_SD_iiiii ; -- Begin function _ZN4vllm25paged_attention_v1_kernelI14__hip_bfloat16S1_Li96ELi16ELi128ELNS_18Fp8KVCacheDataTypeE0ELb0EEEvPT_PKS3_PKT0_S9_ifPKiSB_iPKfiiiSD_SD_iiiii
	.globl	_ZN4vllm25paged_attention_v1_kernelI14__hip_bfloat16S1_Li96ELi16ELi128ELNS_18Fp8KVCacheDataTypeE0ELb0EEEvPT_PKS3_PKT0_S9_ifPKiSB_iPKfiiiSD_SD_iiiii
	.p2align	8
	.type	_ZN4vllm25paged_attention_v1_kernelI14__hip_bfloat16S1_Li96ELi16ELi128ELNS_18Fp8KVCacheDataTypeE0ELb0EEEvPT_PKS3_PKT0_S9_ifPKiSB_iPKfiiiSD_SD_iiiii,@function
_ZN4vllm25paged_attention_v1_kernelI14__hip_bfloat16S1_Li96ELi16ELi128ELNS_18Fp8KVCacheDataTypeE0ELb0EEEvPT_PKS3_PKT0_S9_ifPKiSB_iPKfiiiSD_SD_iiiii: ; @_ZN4vllm25paged_attention_v1_kernelI14__hip_bfloat16S1_Li96ELi16ELi128ELNS_18Fp8KVCacheDataTypeE0ELb0EEEvPT_PKS3_PKT0_S9_ifPKiSB_iPKfiiiSD_SD_iiiii
; %bb.0:
	s_load_dword s9, s[4:5], 0x80
	s_load_dwordx2 s[0:1], s[4:5], 0x30
	s_load_dwordx2 s[26:27], s[4:5], 0x20
	s_mov_b32 s10, s7
	s_ashr_i32 s11, s7, 31
	s_lshl_b64 s[2:3], s[10:11], 2
	s_waitcnt lgkmcnt(0)
	s_add_u32 s0, s0, s2
	s_addc_u32 s1, s1, s3
	s_abs_i32 s2, s26
	v_cvt_f32_u32_e32 v1, s2
	s_sub_i32 s11, 0, s2
	s_abs_i32 s7, s9
	s_xor_b32 s3, s9, s26
	v_rcp_iflag_f32_e32 v1, v1
	s_ashr_i32 s3, s3, 31
	s_mov_b32 s26, 0
	v_mul_f32_e32 v1, 0x4f7ffffe, v1
	v_cvt_u32_f32_e32 v1, v1
	v_readfirstlane_b32 s12, v1
	s_mul_i32 s11, s11, s12
	s_mul_hi_u32 s11, s12, s11
	s_add_i32 s12, s12, s11
	s_mul_hi_u32 s11, s7, s12
	s_mul_i32 s12, s11, s2
	s_sub_i32 s7, s7, s12
	s_add_i32 s12, s11, 1
	s_sub_i32 s13, s7, s2
	s_cmp_ge_u32 s7, s2
	s_cselect_b32 s11, s12, s11
	s_cselect_b32 s7, s13, s7
	s_add_i32 s12, s11, 1
	s_cmp_ge_u32 s7, s2
	s_cselect_b32 s2, s12, s11
	s_xor_b32 s2, s2, s3
	s_sub_i32 s12, s2, s3
	s_abs_i32 s11, s12
	v_cvt_f32_u32_e32 v1, s11
	s_load_dwordx2 s[2:3], s[4:5], 0x40
	s_sub_i32 s7, 0, s11
	s_abs_i32 s18, s6
	v_rcp_iflag_f32_e32 v1, v1
	v_mul_f32_e32 v1, 0x4f7ffffe, v1
	v_cvt_u32_f32_e32 v1, v1
	v_readfirstlane_b32 s13, v1
	s_mul_i32 s7, s7, s13
	s_mul_hi_u32 s7, s13, s7
	s_add_i32 s13, s13, s7
	s_waitcnt lgkmcnt(0)
	s_cmp_eq_u64 s[2:3], 0
	s_mul_hi_u32 s19, s18, s13
	s_cbranch_scc1 .LBB138_2
; %bb.1:
	s_ashr_i32 s7, s6, 31
	s_lshl_b64 s[14:15], s[6:7], 2
	s_add_u32 s2, s2, s14
	s_addc_u32 s3, s3, s15
	s_load_dword s26, s[2:3], 0x0
.LBB138_2:
	s_load_dword s33, s[0:1], 0x0
	s_ashr_i32 s3, s12, 31
	s_load_dwordx4 s[12:15], s[4:5], 0x48
	s_ashr_i32 s2, s6, 31
	v_and_b32_e32 v1, 3, v0
	s_mul_i32 s16, s6, 0x60
	v_cmp_gt_u32_e32 vcc, 48, v0
	v_lshlrev_b32_e32 v2, 2, v0
	s_and_saveexec_b64 s[0:1], vcc
	s_cbranch_execz .LBB138_4
; %bb.3:
	s_load_dwordx2 s[6:7], s[4:5], 0x8
	s_waitcnt lgkmcnt(0)
	s_mul_i32 s20, s12, s10
	s_ashr_i32 s21, s20, 31
	s_lshl_b64 s[20:21], s[20:21], 1
	v_and_b32_e32 v4, 0x3fc, v0
	s_add_u32 s12, s6, s20
	s_addc_u32 s15, s7, s21
	s_ashr_i32 s17, s16, 31
	s_lshl_b64 s[6:7], s[16:17], 1
	s_add_u32 s6, s12, s6
	s_addc_u32 s7, s15, s7
	global_load_dword v3, v2, s[6:7]
	v_mad_u32_u24 v4, v1, 48, v4
	s_waitcnt vmcnt(0)
	ds_write_b32 v4, v3
.LBB138_4:
	s_or_b64 exec, exec, s[0:1]
	s_waitcnt lgkmcnt(0)
	s_add_i32 s1, s33, 15
	s_ashr_i32 s6, s1, 31
	s_lshr_b32 s6, s6, 28
	s_add_i32 s1, s1, s6
	s_ashr_i32 s17, s1, 4
	s_xor_b32 s1, s2, s3
	s_mul_i32 s2, s19, s11
	s_sub_i32 s2, s18, s2
	s_add_i32 s3, s19, 1
	s_sub_i32 s6, s2, s11
	s_load_dwordx2 s[20:21], s[4:5], 0x28
	s_load_dword s0, s[4:5], 0x38
	s_cmp_ge_u32 s2, s11
	s_cselect_b32 s3, s3, s19
	s_cselect_b32 s2, s6, s2
	s_add_i32 s6, s3, 1
	s_cmp_ge_u32 s2, s11
	s_cselect_b32 s2, s6, s3
	v_lshrrev_b32_e32 v23, 6, v0
	s_xor_b32 s2, s2, s1
	s_waitcnt lgkmcnt(0)
	s_mul_i32 s22, s0, s10
	s_sub_i32 s12, s2, s1
	s_ashr_i32 s23, s22, 31
	v_cmp_gt_i32_e64 s[0:1], s17, v23
	v_cmp_le_i32_e32 vcc, s17, v23
	v_mbcnt_lo_u32_b32 v35, -1, 0
	s_barrier
                                        ; implicit-def: $vgpr4
                                        ; implicit-def: $vgpr6
                                        ; implicit-def: $vgpr5
	s_and_saveexec_b64 s[2:3], vcc
	s_xor_b64 s[2:3], exec, s[2:3]
; %bb.5:
	v_mbcnt_hi_u32_b32 v4, -1, v35
	v_and_b32_e32 v6, 64, v4
	v_add_u32_e32 v5, 64, v6
                                        ; implicit-def: $vgpr2
                                        ; implicit-def: $vgpr1
                                        ; implicit-def: $vgpr35
; %bb.6:
	s_or_saveexec_b64 s[6:7], s[2:3]
	s_load_dwordx2 s[18:19], s[4:5], 0x0
	s_load_dwordx2 s[24:25], s[4:5], 0x18
	s_load_dword s11, s[4:5], 0x88
	v_mov_b32_e32 v32, 0xff7fffff
	s_mul_i32 s14, s12, s14
	v_lshrrev_b32_e32 v3, 4, v0
	s_xor_b64 exec, exec, s[6:7]
	s_cbranch_execz .LBB138_12
; %bb.7:
	s_load_dwordx2 s[2:3], s[4:5], 0x10
	s_ashr_i32 s15, s14, 31
	s_lshl_b64 s[4:5], s[14:15], 1
	v_mul_u32_u24_e32 v4, 48, v1
	v_bfe_u32 v32, v0, 2, 4
	s_waitcnt lgkmcnt(0)
	s_add_u32 s2, s2, s4
	ds_read_b128 v[11:14], v4
	ds_read_b128 v[19:22], v4 offset:16
	ds_read_b128 v[28:31], v4 offset:32
	s_addc_u32 s3, s3, s5
	v_lshlrev_b32_e32 v4, 4, v32
	v_mov_b32_e32 v5, s3
	v_add_co_u32_e32 v4, vcc, s2, v4
	s_sub_i32 s12, 1, s33
	s_lshl_b64 s[2:3], s[22:23], 2
	v_addc_co_u32_e32 v5, vcc, 0, v5, vcc
	s_add_u32 s2, s20, s2
	v_cmp_eq_u32_e32 vcc, 0, v1
	s_addc_u32 s3, s21, s3
	v_and_b32_e32 v1, 60, v3
	v_and_b32_e32 v6, 12, v2
	v_mov_b32_e32 v2, s3
	v_add_co_u32_e64 v1, s[2:3], s2, v1
	v_addc_co_u32_e64 v2, s[2:3], 0, v2, s[2:3]
	v_add_co_u32_e64 v33, s[2:3], v4, v6
	v_mbcnt_hi_u32_b32 v4, -1, v35
	v_and_b32_e32 v6, 64, v4
	v_addc_co_u32_e64 v34, s[2:3], 0, v5, s[2:3]
	v_add_u32_e32 v5, 64, v6
	v_xor_b32_e32 v35, 2, v4
	v_cmp_lt_i32_e64 s[2:3], v35, v5
	v_xor_b32_e32 v36, 1, v4
	v_cndmask_b32_e64 v35, v4, v35, s[2:3]
	v_cmp_lt_i32_e64 s[2:3], v36, v5
	v_lshl_or_b32 v37, v23, 4, v32
	v_lshlrev_b32_e32 v32, 2, v32
	v_cndmask_b32_e64 v36, v4, v36, s[2:3]
	v_lshl_or_b32 v32, v23, 6, v32
	s_waitcnt lgkmcnt(2)
	v_lshlrev_b32_e32 v7, 16, v11
	v_and_b32_e32 v8, 0xffff0000, v11
	v_lshlrev_b32_e32 v9, 16, v12
	v_and_b32_e32 v10, 0xffff0000, v12
	v_lshlrev_b32_e32 v11, 16, v13
	v_and_b32_e32 v12, 0xffff0000, v13
	v_lshlrev_b32_e32 v13, 16, v14
	v_and_b32_e32 v14, 0xffff0000, v14
	s_waitcnt lgkmcnt(1)
	v_lshlrev_b32_e32 v15, 16, v19
	v_and_b32_e32 v16, 0xffff0000, v19
	v_lshlrev_b32_e32 v17, 16, v20
	v_and_b32_e32 v18, 0xffff0000, v20
	v_lshlrev_b32_e32 v19, 16, v21
	v_and_b32_e32 v20, 0xffff0000, v21
	v_lshlrev_b32_e32 v21, 16, v22
	v_and_b32_e32 v22, 0xffff0000, v22
	;; [unrolled: 9-line block ×3, first 2 shown]
	s_mov_b32 s15, s13
	v_lshlrev_b32_e32 v35, 2, v35
	v_lshlrev_b32_e32 v36, 2, v36
	v_cmp_neq_f32_e64 s[2:3], s26, 0
	v_add_u32_e32 v38, 0xd0, v32
	s_mov_b64 s[28:29], 0
	v_mov_b32_e32 v32, 0xff7fffff
	v_mov_b32_e32 v39, v23
	s_branch .LBB138_9
.LBB138_8:                              ;   in Loop: Header=BB138_9 Depth=1
	s_or_b64 exec, exec, s[30:31]
	v_add_u32_e32 v39, 2, v39
	v_cmp_le_i32_e64 s[4:5], s17, v39
	s_or_b64 s[28:29], s[4:5], s[28:29]
	v_add_co_u32_e64 v1, s[4:5], 8, v1
	v_add_u32_e32 v37, 32, v37
	v_add_u32_e32 v38, 0x80, v38
	v_addc_co_u32_e64 v2, s[4:5], 0, v2, s[4:5]
	s_andn2_b64 exec, exec, s[28:29]
	s_cbranch_execz .LBB138_11
.LBB138_9:                              ; =>This Inner Loop Header: Depth=1
	global_load_dword v40, v[1:2], off
	s_waitcnt vmcnt(0) lgkmcnt(0)
	v_mad_i64_i32 v[40:41], s[4:5], v40, s15, 0
	v_lshlrev_b64 v[40:41], 1, v[40:41]
	v_add_co_u32_e64 v40, s[4:5], v33, v40
	v_addc_co_u32_e64 v41, s[4:5], v34, v41, s[4:5]
	global_load_dword v42, v[40:41], off offset:256
	global_load_dword v43, v[40:41], off
	global_load_dword v44, v[40:41], off offset:512
	global_load_dword v45, v[40:41], off offset:768
	;; [unrolled: 1-line block ×9, first 2 shown]
	s_nop 0
	global_load_dword v40, v[40:41], off offset:2816
	s_waitcnt vmcnt(11)
	v_lshlrev_b32_e32 v41, 16, v42
	v_and_b32_e32 v42, 0xffff0000, v42
	v_mul_f32_e32 v41, v9, v41
	s_waitcnt vmcnt(10)
	v_lshlrev_b32_e32 v53, 16, v43
	v_and_b32_e32 v43, 0xffff0000, v43
	v_mul_f32_e32 v42, v10, v42
	v_fmac_f32_e32 v41, v7, v53
	v_fmac_f32_e32 v42, v8, v43
	s_waitcnt vmcnt(9)
	v_lshlrev_b32_e32 v43, 16, v44
	v_fmac_f32_e32 v41, v11, v43
	v_and_b32_e32 v43, 0xffff0000, v44
	v_fmac_f32_e32 v42, v12, v43
	s_waitcnt vmcnt(8)
	v_lshlrev_b32_e32 v43, 16, v45
	v_fmac_f32_e32 v41, v13, v43
	v_and_b32_e32 v43, 0xffff0000, v45
	;; [unrolled: 5-line block ×6, first 2 shown]
	v_fmac_f32_e32 v42, v22, v43
	s_waitcnt vmcnt(3)
	v_lshlrev_b32_e32 v43, 16, v50
	v_and_b32_e32 v44, 0xffff0000, v50
	v_fmac_f32_e32 v41, v24, v43
	s_waitcnt vmcnt(2)
	v_lshlrev_b32_e32 v43, 16, v51
	v_and_b32_e32 v45, 0xffff0000, v51
	;; [unrolled: 4-line block ×3, first 2 shown]
	v_fmac_f32_e32 v41, v26, v43
	v_fmac_f32_e32 v42, v27, v45
	s_waitcnt vmcnt(0)
	v_lshlrev_b32_e32 v43, 16, v40
	v_and_b32_e32 v40, 0xffff0000, v40
	v_fmac_f32_e32 v41, v28, v44
	v_fmac_f32_e32 v42, v29, v46
	;; [unrolled: 1-line block ×4, first 2 shown]
	v_add_f32_e32 v40, v41, v42
	ds_bpermute_b32 v41, v35, v40
	s_waitcnt lgkmcnt(0)
	v_add_f32_e32 v40, v40, v41
	ds_bpermute_b32 v41, v36, v40
	s_and_saveexec_b64 s[30:31], vcc
	s_cbranch_execz .LBB138_8
; %bb.10:                               ;   in Loop: Header=BB138_9 Depth=1
	v_add_u32_e32 v42, s12, v37
	v_cvt_f32_i32_e32 v42, v42
	s_waitcnt lgkmcnt(0)
	v_add_f32_e32 v40, v40, v41
	v_cmp_gt_i32_e64 s[4:5], s33, v37
	v_max_f32_e32 v41, v32, v32
	v_mul_f32_e32 v42, s26, v42
	v_cndmask_b32_e64 v42, 0, v42, s[2:3]
	v_fmac_f32_e32 v42, s27, v40
	v_cndmask_b32_e64 v40, 0, v42, s[4:5]
	ds_write_b32 v38, v40
	v_max_f32_e32 v40, v41, v42
	v_cndmask_b32_e64 v32, v32, v40, s[4:5]
	s_branch .LBB138_8
.LBB138_11:
	s_or_b64 exec, exec, s[28:29]
.LBB138_12:
	s_or_b64 exec, exec, s[6:7]
	v_xor_b32_e32 v1, 32, v4
	v_cmp_lt_i32_e32 vcc, v1, v5
	v_cndmask_b32_e32 v1, v4, v1, vcc
	v_lshlrev_b32_e32 v1, 2, v1
	ds_bpermute_b32 v2, v1, v32
	v_xor_b32_e32 v8, 16, v4
	v_max_f32_e32 v7, v32, v32
	v_cmp_lt_i32_e32 vcc, v8, v5
	v_xor_b32_e32 v9, 8, v4
	s_waitcnt lgkmcnt(0)
	v_max_f32_e32 v2, v2, v2
	v_max_f32_e32 v7, v7, v2
	v_cndmask_b32_e32 v2, v4, v8, vcc
	v_lshlrev_b32_e32 v2, 2, v2
	ds_bpermute_b32 v8, v2, v7
	v_cmp_lt_i32_e32 vcc, v9, v5
	v_xor_b32_e32 v10, 4, v4
	v_and_b32_e32 v24, 63, v0
	s_waitcnt lgkmcnt(0)
	v_max_f32_e32 v8, v8, v8
	v_max_f32_e32 v7, v7, v8
	v_cndmask_b32_e32 v8, v4, v9, vcc
	v_lshlrev_b32_e32 v9, 2, v8
	ds_bpermute_b32 v8, v9, v7
	v_cmp_lt_i32_e32 vcc, v10, v5
	s_waitcnt lgkmcnt(0)
	v_max_f32_e32 v8, v8, v8
	v_max_f32_e32 v8, v7, v8
	v_cndmask_b32_e32 v7, v4, v10, vcc
	v_lshlrev_b32_e32 v10, 2, v7
	ds_bpermute_b32 v11, v10, v8
	v_cmp_eq_u32_e32 vcc, 0, v24
	v_lshlrev_b32_e32 v7, 2, v23
	s_and_saveexec_b64 s[2:3], vcc
	s_cbranch_execz .LBB138_14
; %bb.13:
	s_waitcnt lgkmcnt(0)
	v_max_f32_e32 v11, v11, v11
	v_max_f32_e32 v8, v8, v8
	;; [unrolled: 1-line block ×3, first 2 shown]
	ds_write_b32 v7, v8 offset:192
.LBB138_14:
	s_or_b64 exec, exec, s[2:3]
	v_cmp_gt_u32_e64 s[2:3], 2, v24
	s_waitcnt lgkmcnt(0)
	v_mov_b32_e32 v11, 0xff7fffff
	v_lshlrev_b32_e32 v8, 2, v24
	s_barrier
	s_and_saveexec_b64 s[4:5], s[2:3]
; %bb.15:
	ds_read_b32 v11, v8 offset:192
; %bb.16:
	s_or_b64 exec, exec, s[4:5]
	v_xor_b32_e32 v12, 1, v4
	v_cmp_lt_i32_e64 s[4:5], v12, v5
	v_cndmask_b32_e64 v12, v4, v12, s[4:5]
	v_lshlrev_b32_e32 v25, 2, v12
	s_waitcnt lgkmcnt(0)
	ds_bpermute_b32 v12, v25, v11
	v_max_f32_e32 v11, v11, v11
	v_lshlrev_b32_e32 v6, 2, v6
	s_lshl_b32 s4, s17, 4
	s_min_i32 s12, s4, s33
	s_waitcnt lgkmcnt(0)
	v_max_f32_e32 v12, v12, v12
	v_max_f32_e32 v11, v11, v12
	ds_bpermute_b32 v11, v6, v11
	v_cmp_gt_i32_e64 s[4:5], s12, v0
	v_mov_b32_e32 v6, 0
	s_and_saveexec_b64 s[26:27], s[4:5]
	s_cbranch_execz .LBB138_20
; %bb.17:
	v_mov_b32_e32 v6, 0xd0
	v_lshl_add_u32 v12, v0, 2, v6
	v_mov_b32_e32 v6, 0
	s_mov_b64 s[28:29], 0
	v_mov_b32_e32 v13, v0
.LBB138_18:                             ; =>This Inner Loop Header: Depth=1
	ds_read_b32 v14, v12
	v_add_u32_e32 v13, 0x80, v13
	v_cmp_le_i32_e64 s[6:7], s12, v13
	s_or_b64 s[28:29], s[6:7], s[28:29]
	s_waitcnt lgkmcnt(0)
	v_sub_f32_e32 v14, v14, v11
	v_mul_f32_e32 v14, 0x3fb8aa3b, v14
	v_exp_f32_e32 v14, v14
	ds_write_b32 v12, v14
	v_add_f32_e32 v6, v6, v14
	v_add_u32_e32 v12, 0x200, v12
	s_andn2_b64 exec, exec, s[28:29]
	s_cbranch_execnz .LBB138_18
; %bb.19:
	s_or_b64 exec, exec, s[28:29]
.LBB138_20:
	s_or_b64 exec, exec, s[26:27]
	ds_bpermute_b32 v1, v1, v6
	s_waitcnt lgkmcnt(0)
	v_add_f32_e32 v1, v6, v1
	ds_bpermute_b32 v2, v2, v1
	v_xor_b32_e32 v6, 2, v4
	v_cmp_lt_i32_e64 s[6:7], v6, v5
	v_cndmask_b32_e64 v5, v4, v6, s[6:7]
	s_waitcnt lgkmcnt(0)
	v_add_f32_e32 v1, v1, v2
	ds_bpermute_b32 v2, v9, v1
	s_waitcnt lgkmcnt(0)
	v_add_f32_e32 v1, v1, v2
	ds_bpermute_b32 v2, v10, v1
	s_waitcnt lgkmcnt(0)
	v_add_f32_e32 v1, v1, v2
	v_lshlrev_b32_e32 v2, 2, v5
	ds_bpermute_b32 v2, v2, v1
	s_waitcnt lgkmcnt(0)
	v_add_f32_e32 v1, v1, v2
	ds_bpermute_b32 v2, v25, v1
	s_waitcnt lgkmcnt(0)
	v_add_f32_e32 v1, v1, v2
	s_and_saveexec_b64 s[6:7], vcc
; %bb.21:
	ds_write_b32 v7, v1 offset:200
; %bb.22:
	s_or_b64 exec, exec, s[6:7]
	s_waitcnt lgkmcnt(0)
	s_barrier
	s_and_saveexec_b64 s[6:7], s[2:3]
; %bb.23:
	ds_read_b32 v1, v8 offset:200
; %bb.24:
	s_or_b64 exec, exec, s[6:7]
	s_waitcnt lgkmcnt(0)
	ds_bpermute_b32 v2, v25, v1
	v_lshlrev_b32_e32 v4, 2, v4
	s_waitcnt lgkmcnt(0)
	v_add_f32_e32 v1, v1, v2
	v_and_b32_e32 v2, 0xffffff00, v4
	ds_bpermute_b32 v1, v2, v1
	s_and_saveexec_b64 s[2:3], s[4:5]
	s_cbranch_execz .LBB138_27
; %bb.25:
	s_waitcnt lgkmcnt(0)
	v_add_f32_e32 v2, 0x358637bd, v1
	v_div_scale_f32 v1, s[4:5], v2, v2, 1.0
	v_div_scale_f32 v4, vcc, 1.0, v2, 1.0
	s_mov_b64 s[4:5], 0
	v_rcp_f32_e32 v5, v1
	v_fma_f32 v6, -v1, v5, 1.0
	v_fmac_f32_e32 v5, v6, v5
	v_mul_f32_e32 v6, v4, v5
	v_fma_f32 v7, -v1, v6, v4
	v_fmac_f32_e32 v6, v7, v5
	v_fma_f32 v1, -v1, v6, v4
	v_div_fmas_f32 v4, v1, v5, v6
	v_mov_b32_e32 v1, 0xd0
	v_lshl_add_u32 v1, v0, 2, v1
	v_div_fixup_f32 v2, v4, v2, 1.0
	v_mov_b32_e32 v4, v0
.LBB138_26:                             ; =>This Inner Loop Header: Depth=1
	ds_read_b32 v5, v1
	v_add_u32_e32 v4, 0x80, v4
	v_cmp_le_i32_e32 vcc, s12, v4
	s_or_b64 s[4:5], vcc, s[4:5]
	s_waitcnt lgkmcnt(0)
	v_mul_f32_e32 v5, v2, v5
	ds_write_b32 v1, v5
	v_add_u32_e32 v1, 0x200, v1
	s_andn2_b64 exec, exec, s[4:5]
	s_cbranch_execnz .LBB138_26
.LBB138_27:
	s_or_b64 exec, exec, s[2:3]
	v_mov_b32_e32 v28, 0
	v_and_b32_e32 v26, 1, v0
	v_mov_b32_e32 v31, 0
	v_mov_b32_e32 v29, 0
	s_waitcnt lgkmcnt(0)
	s_barrier
	s_and_saveexec_b64 s[4:5], s[0:1]
	s_cbranch_execz .LBB138_37
; %bb.28:
	s_ashr_i32 s15, s14, 31
	s_lshl_b64 s[0:1], s[14:15], 1
	v_lshlrev_b32_e32 v1, 3, v0
	s_add_u32 s0, s24, s0
	v_lshlrev_b32_e32 v2, 4, v0
	v_and_b32_e32 v1, 8, v1
	s_addc_u32 s1, s25, s1
	v_and_b32_e32 v2, 0x3f0, v2
	s_add_i32 s14, s17, -1
	v_mov_b32_e32 v4, s1
	v_add_co_u32_e32 v30, vcc, s0, v2
	v_lshl_or_b32 v33, v23, 4, v1
	v_lshlrev_b32_e32 v1, 5, v26
	s_lshl_b64 s[0:1], s[22:23], 2
	v_lshl_or_b32 v1, v23, 6, v1
	s_add_u32 s0, s20, s0
	v_addc_co_u32_e32 v32, vcc, 0, v4, vcc
	v_add_u32_e32 v34, 0xd0, v1
	v_and_b32_e32 v1, 60, v3
	s_addc_u32 s1, s21, s1
	v_mov_b32_e32 v2, s1
	v_add_co_u32_e32 v21, vcc, s0, v1
	s_mov_b32 s26, s13
	v_mov_b32_e32 v27, 0
	s_mov_b32 s15, s33
	v_addc_co_u32_e32 v22, vcc, 0, v2, vcc
	s_mov_b64 s[6:7], 0
	s_mov_b32 s20, 0x5040100
	s_movk_i32 s21, 0x7fff
	v_mov_b32_e32 v29, 0
	v_mov_b32_e32 v31, 0
	;; [unrolled: 1-line block ×3, first 2 shown]
	s_branch .LBB138_30
.LBB138_29:                             ;   in Loop: Header=BB138_30 Depth=1
	s_or_b64 exec, exec, s[2:3]
	s_waitcnt lgkmcnt(1)
	v_bfe_u32 v35, v17, 16, 1
	v_add3_u32 v35, v35, v17, s21
	v_or_b32_e32 v36, 0x400000, v17
	v_cmp_u_f32_e32 vcc, v17, v17
	v_cndmask_b32_e32 v17, v35, v36, vcc
	v_bfe_u32 v35, v18, 16, 1
	v_add3_u32 v35, v35, v18, s21
	v_or_b32_e32 v36, 0x400000, v18
	v_cmp_u_f32_e32 vcc, v18, v18
	v_cndmask_b32_e32 v18, v35, v36, vcc
	;; [unrolled: 5-line block ×4, first 2 shown]
	s_waitcnt lgkmcnt(0)
	v_bfe_u32 v35, v13, 16, 1
	v_add3_u32 v35, v35, v13, s21
	v_or_b32_e32 v36, 0x400000, v13
	v_cmp_u_f32_e32 vcc, v13, v13
	v_bfe_u32 v13, v14, 16, 1
	v_cndmask_b32_e32 v35, v35, v36, vcc
	v_add3_u32 v13, v13, v14, s21
	v_or_b32_e32 v36, 0x400000, v14
	v_cmp_u_f32_e32 vcc, v14, v14
	v_cndmask_b32_e32 v36, v13, v36, vcc
	v_bfe_u32 v13, v15, 16, 1
	v_add3_u32 v13, v13, v15, s21
	v_or_b32_e32 v14, 0x400000, v15
	v_cmp_u_f32_e32 vcc, v15, v15
	v_cndmask_b32_e32 v37, v13, v14, vcc
	v_bfe_u32 v13, v16, 16, 1
	v_add3_u32 v13, v13, v16, s21
	v_or_b32_e32 v14, 0x400000, v16
	v_cmp_u_f32_e32 vcc, v16, v16
	v_cndmask_b32_e32 v38, v13, v14, vcc
	v_and_b32_e32 v13, 0xffff0000, v18
	s_waitcnt vmcnt(1)
	v_and_b32_e32 v14, 0xffff0000, v9
	v_mul_f32_e32 v14, v13, v14
	v_bfe_u32 v15, v14, 16, 1
	v_add3_u32 v15, v15, v14, s21
	v_or_b32_e32 v16, 0x400000, v14
	v_cmp_u_f32_e32 vcc, v14, v14
	v_and_b32_e32 v14, 0xffff0000, v17
	v_lshlrev_b32_e32 v9, 16, v9
	v_mul_f32_e32 v9, v14, v9
	v_cndmask_b32_e32 v18, v15, v16, vcc
	v_bfe_u32 v15, v9, 16, 1
	v_add3_u32 v15, v15, v9, s21
	v_or_b32_e32 v16, 0x400000, v9
	v_cmp_u_f32_e32 vcc, v9, v9
	v_cndmask_b32_e32 v39, v15, v16, vcc
	v_and_b32_e32 v9, 0xffff0000, v20
	v_and_b32_e32 v15, 0xffff0000, v10
	v_mul_f32_e32 v15, v9, v15
	v_bfe_u32 v16, v15, 16, 1
	v_add3_u32 v16, v16, v15, s21
	v_or_b32_e32 v17, 0x400000, v15
	v_cmp_u_f32_e32 vcc, v15, v15
	v_and_b32_e32 v15, 0xffff0000, v19
	v_lshlrev_b32_e32 v10, 16, v10
	v_mul_f32_e32 v10, v15, v10
	v_cndmask_b32_e32 v20, v16, v17, vcc
	v_bfe_u32 v16, v10, 16, 1
	v_add3_u32 v16, v16, v10, s21
	v_or_b32_e32 v17, 0x400000, v10
	v_cmp_u_f32_e32 vcc, v10, v10
	v_cndmask_b32_e32 v19, v16, v17, vcc
	v_and_b32_e32 v10, 0xffff0000, v36
	;; [unrolled: 16-line block ×3, first 2 shown]
	v_and_b32_e32 v17, 0xffff0000, v12
	v_mul_f32_e32 v17, v11, v17
	v_bfe_u32 v38, v17, 16, 1
	v_add3_u32 v38, v38, v17, s21
	v_or_b32_e32 v40, 0x400000, v17
	v_cmp_u_f32_e32 vcc, v17, v17
	v_and_b32_e32 v17, 0xffff0000, v37
	v_lshlrev_b32_e32 v12, 16, v12
	v_mul_f32_e32 v12, v17, v12
	v_bfe_u32 v37, v12, 16, 1
	v_cndmask_b32_e32 v38, v38, v40, vcc
	v_add3_u32 v37, v37, v12, s21
	v_or_b32_e32 v40, 0x400000, v12
	v_cmp_u_f32_e32 vcc, v12, v12
	v_cndmask_b32_e32 v12, v37, v40, vcc
	v_and_b32_e32 v37, 0xffff0000, v39
	v_and_b32_e32 v18, 0xffff0000, v18
	;; [unrolled: 1-line block ×4, first 2 shown]
	v_add_f32_e32 v18, v37, v18
	v_add_f32_e32 v19, v19, v20
	;; [unrolled: 1-line block ×3, first 2 shown]
	v_and_b32_e32 v19, 0xffff0000, v35
	v_and_b32_e32 v20, 0xffff0000, v36
	v_add_f32_e32 v19, v19, v20
	v_add_f32_e32 v18, v19, v18
	v_and_b32_e32 v12, 0xffff0000, v12
	v_and_b32_e32 v19, 0xffff0000, v38
	v_add_f32_e32 v12, v12, v19
	v_add_f32_e32 v12, v12, v18
	;; [unrolled: 1-line block ×3, first 2 shown]
	v_and_b32_e32 v12, 0xffff0000, v1
	v_mul_f32_e32 v12, v13, v12
	v_bfe_u32 v18, v12, 16, 1
	v_lshlrev_b32_e32 v1, 16, v1
	v_add3_u32 v18, v18, v12, s21
	v_or_b32_e32 v19, 0x400000, v12
	v_cmp_u_f32_e32 vcc, v12, v12
	v_mul_f32_e32 v1, v14, v1
	v_cndmask_b32_e32 v12, v18, v19, vcc
	v_bfe_u32 v18, v1, 16, 1
	v_add3_u32 v18, v18, v1, s21
	v_or_b32_e32 v19, 0x400000, v1
	v_cmp_u_f32_e32 vcc, v1, v1
	v_cndmask_b32_e32 v1, v18, v19, vcc
	v_and_b32_e32 v18, 0xffff0000, v2
	v_mul_f32_e32 v18, v9, v18
	v_bfe_u32 v19, v18, 16, 1
	v_lshlrev_b32_e32 v2, 16, v2
	v_add3_u32 v19, v19, v18, s21
	v_or_b32_e32 v20, 0x400000, v18
	v_cmp_u_f32_e32 vcc, v18, v18
	v_mul_f32_e32 v2, v15, v2
	v_cndmask_b32_e32 v18, v19, v20, vcc
	v_bfe_u32 v19, v2, 16, 1
	v_add3_u32 v19, v19, v2, s21
	v_or_b32_e32 v20, 0x400000, v2
	v_cmp_u_f32_e32 vcc, v2, v2
	v_cndmask_b32_e32 v2, v19, v20, vcc
	;; [unrolled: 14-line block ×3, first 2 shown]
	v_and_b32_e32 v20, 0xffff0000, v4
	v_mul_f32_e32 v20, v11, v20
	v_bfe_u32 v35, v20, 16, 1
	v_lshlrev_b32_e32 v4, 16, v4
	v_and_b32_e32 v1, 0xffff0000, v1
	v_and_b32_e32 v12, 0xffff0000, v12
	v_add3_u32 v35, v35, v20, s21
	v_or_b32_e32 v36, 0x400000, v20
	v_cmp_u_f32_e32 vcc, v20, v20
	v_mul_f32_e32 v4, v17, v4
	v_add_f32_e32 v1, v1, v12
	v_and_b32_e32 v2, 0xffff0000, v2
	v_and_b32_e32 v12, 0xffff0000, v18
	v_cndmask_b32_e32 v20, v35, v36, vcc
	v_bfe_u32 v35, v4, 16, 1
	v_add_f32_e32 v2, v2, v12
	v_add3_u32 v35, v35, v4, s21
	v_or_b32_e32 v36, 0x400000, v4
	v_cmp_u_f32_e32 vcc, v4, v4
	v_add_f32_e32 v1, v2, v1
	v_and_b32_e32 v2, 0xffff0000, v3
	v_and_b32_e32 v3, 0xffff0000, v19
	v_cndmask_b32_e32 v4, v35, v36, vcc
	v_add_f32_e32 v2, v2, v3
	v_add_f32_e32 v1, v2, v1
	v_and_b32_e32 v2, 0xffff0000, v4
	v_and_b32_e32 v3, 0xffff0000, v20
	v_add_f32_e32 v2, v2, v3
	v_add_f32_e32 v1, v2, v1
	;; [unrolled: 1-line block ×3, first 2 shown]
	s_waitcnt vmcnt(0)
	v_lshlrev_b32_e32 v1, 16, v5
	v_mul_f32_e32 v1, v14, v1
	v_bfe_u32 v2, v1, 16, 1
	v_add3_u32 v2, v2, v1, s21
	v_or_b32_e32 v3, 0x400000, v1
	v_cmp_u_f32_e32 vcc, v1, v1
	v_cndmask_b32_e32 v1, v2, v3, vcc
	v_and_b32_e32 v2, 0xffff0000, v5
	v_mul_f32_e32 v2, v13, v2
	v_bfe_u32 v3, v2, 16, 1
	v_add3_u32 v3, v3, v2, s21
	v_or_b32_e32 v4, 0x400000, v2
	v_cmp_u_f32_e32 vcc, v2, v2
	v_cndmask_b32_e32 v2, v3, v4, vcc
	v_lshlrev_b32_e32 v3, 16, v6
	v_mul_f32_e32 v3, v15, v3
	v_bfe_u32 v4, v3, 16, 1
	v_add3_u32 v4, v4, v3, s21
	v_or_b32_e32 v5, 0x400000, v3
	v_cmp_u_f32_e32 vcc, v3, v3
	v_cndmask_b32_e32 v3, v4, v5, vcc
	v_and_b32_e32 v4, 0xffff0000, v6
	v_mul_f32_e32 v4, v9, v4
	v_bfe_u32 v5, v4, 16, 1
	v_add3_u32 v5, v5, v4, s21
	v_or_b32_e32 v6, 0x400000, v4
	v_cmp_u_f32_e32 vcc, v4, v4
	v_cndmask_b32_e32 v4, v5, v6, vcc
	;; [unrolled: 14-line block ×3, first 2 shown]
	v_lshlrev_b32_e32 v7, 16, v8
	v_mul_f32_e32 v7, v17, v7
	v_bfe_u32 v9, v7, 16, 1
	v_and_b32_e32 v8, 0xffff0000, v8
	v_and_b32_e32 v2, 0xffff0000, v2
	;; [unrolled: 1-line block ×3, first 2 shown]
	v_add3_u32 v9, v9, v7, s21
	v_or_b32_e32 v10, 0x400000, v7
	v_cmp_u_f32_e32 vcc, v7, v7
	v_mul_f32_e32 v8, v11, v8
	v_add_f32_e32 v1, v1, v2
	v_and_b32_e32 v2, 0xffff0000, v4
	v_and_b32_e32 v3, 0xffff0000, v3
	v_cndmask_b32_e32 v7, v9, v10, vcc
	v_bfe_u32 v9, v8, 16, 1
	v_add_f32_e32 v2, v3, v2
	v_add3_u32 v9, v9, v8, s21
	v_or_b32_e32 v10, 0x400000, v8
	v_cmp_u_f32_e32 vcc, v8, v8
	v_add_f32_e32 v1, v2, v1
	v_and_b32_e32 v2, 0xffff0000, v6
	v_and_b32_e32 v3, 0xffff0000, v5
	v_cndmask_b32_e32 v8, v9, v10, vcc
	v_add_f32_e32 v2, v3, v2
	v_add_f32_e32 v1, v2, v1
	v_and_b32_e32 v2, 0xffff0000, v8
	v_and_b32_e32 v3, 0xffff0000, v7
	v_add_u32_e32 v23, 2, v23
	v_add_f32_e32 v2, v3, v2
	v_cmp_le_i32_e32 vcc, s17, v23
	v_add_f32_e32 v1, v2, v1
	s_or_b64 s[6:7], vcc, s[6:7]
	v_add_co_u32_e32 v21, vcc, 8, v21
	v_add_f32_e32 v29, v29, v1
	v_add_u32_e32 v33, 32, v33
	v_add_u32_e32 v34, 0x80, v34
	v_addc_co_u32_e32 v22, vcc, 0, v22, vcc
	s_andn2_b64 exec, exec, s[6:7]
	s_cbranch_execz .LBB138_36
.LBB138_30:                             ; =>This Inner Loop Header: Depth=1
	global_load_dword v1, v[21:22], off
	v_add_u32_e32 v41, 1, v33
	v_or_b32_e32 v39, 3, v33
	v_or_b32_e32 v40, 2, v33
	;; [unrolled: 1-line block ×6, first 2 shown]
	s_waitcnt vmcnt(0)
	v_mad_i64_i32 v[1:2], s[0:1], v1, s26, 0
	v_cmp_eq_u32_e64 s[0:1], s14, v23
	v_lshlrev_b64 v[1:2], 1, v[1:2]
	v_add_co_u32_e32 v5, vcc, v30, v1
	v_addc_co_u32_e32 v6, vcc, v32, v2, vcc
	global_load_dwordx4 v[1:4], v[5:6], off
	ds_read2_b64 v[17:20], v34 offset1:1
	ds_read2_b64 v[13:16], v34 offset0:2 offset1:3
	s_and_saveexec_b64 s[12:13], s[0:1]
	s_cbranch_execnz .LBB138_33
; %bb.31:                               ;   in Loop: Header=BB138_30 Depth=1
	s_or_b64 exec, exec, s[12:13]
	global_load_dwordx4 v[9:12], v[5:6], off offset:1024
	s_and_saveexec_b64 s[12:13], s[0:1]
	s_cbranch_execnz .LBB138_34
.LBB138_32:                             ;   in Loop: Header=BB138_30 Depth=1
	s_or_b64 exec, exec, s[12:13]
	global_load_dwordx4 v[5:8], v[5:6], off offset:2048
	s_and_saveexec_b64 s[2:3], s[0:1]
	s_cbranch_execz .LBB138_29
	s_branch .LBB138_35
.LBB138_33:                             ;   in Loop: Header=BB138_30 Depth=1
	v_cmp_gt_i32_e32 vcc, s15, v41
	s_waitcnt vmcnt(0)
	v_cndmask_b32_sdwa v7, v27, v1, vcc dst_sel:DWORD dst_unused:UNUSED_PAD src0_sel:DWORD src1_sel:WORD_1
	v_cmp_gt_i32_e32 vcc, s33, v33
	v_cndmask_b32_e32 v1, 0, v1, vcc
	v_cmp_gt_i32_e32 vcc, s15, v39
	v_cmp_gt_i32_e64 s[2:3], s33, v40
	v_perm_b32 v1, v7, v1, s20
	v_cndmask_b32_e64 v7, 0, v2, s[2:3]
	v_cndmask_b32_sdwa v2, v27, v2, vcc dst_sel:DWORD dst_unused:UNUSED_PAD src0_sel:DWORD src1_sel:WORD_1
	v_cmp_gt_i32_e32 vcc, s15, v37
	v_cmp_gt_i32_e64 s[2:3], s33, v38
	v_perm_b32 v2, v2, v7, s20
	v_cndmask_b32_e64 v7, 0, v3, s[2:3]
	v_cndmask_b32_sdwa v3, v27, v3, vcc dst_sel:DWORD dst_unused:UNUSED_PAD src0_sel:DWORD src1_sel:WORD_1
	;; [unrolled: 5-line block ×3, first 2 shown]
	v_perm_b32 v4, v4, v7, s20
	s_or_b64 exec, exec, s[12:13]
	global_load_dwordx4 v[9:12], v[5:6], off offset:1024
	s_and_saveexec_b64 s[12:13], s[0:1]
	s_cbranch_execz .LBB138_32
.LBB138_34:                             ;   in Loop: Header=BB138_30 Depth=1
	v_cmp_gt_i32_e32 vcc, s15, v41
	s_waitcnt vmcnt(0)
	v_cndmask_b32_sdwa v7, v27, v9, vcc dst_sel:DWORD dst_unused:UNUSED_PAD src0_sel:DWORD src1_sel:WORD_1
	v_cmp_gt_i32_e32 vcc, s33, v33
	v_cndmask_b32_e32 v8, 0, v9, vcc
	v_cmp_gt_i32_e32 vcc, s15, v39
	v_cmp_gt_i32_e64 s[2:3], s33, v40
	v_perm_b32 v9, v7, v8, s20
	v_cndmask_b32_e64 v7, 0, v10, s[2:3]
	v_cndmask_b32_sdwa v8, v27, v10, vcc dst_sel:DWORD dst_unused:UNUSED_PAD src0_sel:DWORD src1_sel:WORD_1
	v_cmp_gt_i32_e32 vcc, s15, v37
	v_cmp_gt_i32_e64 s[2:3], s33, v38
	v_perm_b32 v10, v8, v7, s20
	v_cndmask_b32_e64 v7, 0, v11, s[2:3]
	v_cndmask_b32_sdwa v8, v27, v11, vcc dst_sel:DWORD dst_unused:UNUSED_PAD src0_sel:DWORD src1_sel:WORD_1
	;; [unrolled: 5-line block ×3, first 2 shown]
	v_perm_b32 v12, v8, v7, s20
	s_or_b64 exec, exec, s[12:13]
	global_load_dwordx4 v[5:8], v[5:6], off offset:2048
	s_and_saveexec_b64 s[2:3], s[0:1]
	s_cbranch_execz .LBB138_29
.LBB138_35:                             ;   in Loop: Header=BB138_30 Depth=1
	v_cmp_gt_i32_e32 vcc, s15, v41
	s_waitcnt vmcnt(0)
	v_cndmask_b32_sdwa v41, v27, v5, vcc dst_sel:DWORD dst_unused:UNUSED_PAD src0_sel:DWORD src1_sel:WORD_1
	v_cmp_gt_i32_e32 vcc, s33, v33
	v_cndmask_b32_e32 v5, 0, v5, vcc
	v_cmp_gt_i32_e32 vcc, s15, v39
	v_cmp_gt_i32_e64 s[0:1], s33, v40
	v_cndmask_b32_e64 v39, 0, v6, s[0:1]
	v_cndmask_b32_sdwa v6, v27, v6, vcc dst_sel:DWORD dst_unused:UNUSED_PAD src0_sel:DWORD src1_sel:WORD_1
	v_cmp_gt_i32_e32 vcc, s15, v37
	v_cmp_gt_i32_e64 s[0:1], s33, v38
	v_cndmask_b32_e64 v37, 0, v7, s[0:1]
	v_cndmask_b32_sdwa v7, v27, v7, vcc dst_sel:DWORD dst_unused:UNUSED_PAD src0_sel:DWORD src1_sel:WORD_1
	;; [unrolled: 4-line block ×3, first 2 shown]
	v_perm_b32 v5, v41, v5, s20
	v_perm_b32 v6, v6, v39, s20
	;; [unrolled: 1-line block ×4, first 2 shown]
	s_branch .LBB138_29
.LBB138_36:
	s_or_b64 exec, exec, s[6:7]
.LBB138_37:
	s_or_b64 exec, exec, s[4:5]
	ds_bpermute_b32 v1, v25, v28
	ds_bpermute_b32 v4, v25, v29
	;; [unrolled: 1-line block ×3, first 2 shown]
	s_waitcnt lgkmcnt(0)
	s_barrier
	v_add_f32_e32 v3, v28, v1
	v_add_f32_e32 v1, v29, v4
	v_and_b32_e32 v4, 0x3c1, v0
	v_add_f32_e32 v2, v31, v2
	v_cmp_eq_u32_e32 vcc, 64, v4
	s_and_saveexec_b64 s[0:1], vcc
	s_cbranch_execz .LBB138_39
; %bb.38:
	v_mov_b32_e32 v5, 0xd0
	v_lshl_add_u32 v5, v24, 1, v5
	ds_write2_b32 v5, v3, v2 offset1:32
	ds_write_b32 v5, v1 offset:256
.LBB138_39:
	s_or_b64 exec, exec, s[0:1]
	v_cmp_gt_u32_e32 vcc, 64, v0
	v_lshrrev_b32_e32 v0, 1, v0
	s_waitcnt lgkmcnt(0)
	s_barrier
	s_and_saveexec_b64 s[0:1], vcc
	s_cbranch_execz .LBB138_45
; %bb.40:
	v_mov_b32_e32 v5, 0xd0
	v_cmp_eq_u32_e32 vcc, 0, v26
	v_lshl_add_u32 v5, v0, 2, v5
	s_and_saveexec_b64 s[2:3], vcc
	s_cbranch_execnz .LBB138_48
; %bb.41:
	s_or_b64 exec, exec, s[2:3]
	s_and_saveexec_b64 s[2:3], vcc
	s_cbranch_execnz .LBB138_49
.LBB138_42:
	s_or_b64 exec, exec, s[2:3]
	s_and_saveexec_b64 s[2:3], vcc
	s_cbranch_execz .LBB138_44
.LBB138_43:
	ds_read_b32 v5, v5 offset:256
	s_waitcnt lgkmcnt(0)
	v_add_f32_e32 v1, v1, v5
.LBB138_44:
	s_or_b64 exec, exec, s[2:3]
.LBB138_45:
	s_or_b64 exec, exec, s[0:1]
	v_cmp_eq_u32_e32 vcc, 0, v4
	s_barrier
	s_and_saveexec_b64 s[0:1], vcc
	s_cbranch_execz .LBB138_47
; %bb.46:
	s_mul_i32 s0, s10, s11
	s_mul_i32 s0, s0, s9
	s_mulk_i32 s0, 0x60
	s_ashr_i32 s1, s0, 31
	s_lshl_b64 s[0:1], s[0:1], 1
	s_add_u32 s2, s18, s0
	s_mul_i32 s0, s11, s16
	s_addc_u32 s3, s19, s1
	s_ashr_i32 s1, s0, 31
	s_lshl_b64 s[0:1], s[0:1], 1
	s_add_u32 s2, s2, s0
	s_mul_i32 s0, s8, 0x60
	s_addc_u32 s3, s3, s1
	s_ashr_i32 s1, s0, 31
	s_lshl_b64 s[0:1], s[0:1], 1
	s_add_u32 s0, s2, s0
	v_bfe_u32 v4, v3, 16, 1
	s_movk_i32 s2, 0x7fff
	v_add3_u32 v4, v4, v3, s2
	v_or_b32_e32 v5, 0x400000, v3
	v_cmp_u_f32_e32 vcc, v3, v3
	s_addc_u32 s1, s3, s1
	v_lshlrev_b32_e32 v0, 1, v0
	v_cndmask_b32_e32 v3, v4, v5, vcc
	global_store_short_d16_hi v0, v3, s[0:1]
	v_bfe_u32 v3, v2, 16, 1
	v_add3_u32 v3, v3, v2, s2
	v_or_b32_e32 v4, 0x400000, v2
	v_cmp_u_f32_e32 vcc, v2, v2
	v_cndmask_b32_e32 v2, v3, v4, vcc
	global_store_short_d16_hi v0, v2, s[0:1] offset:64
	v_bfe_u32 v2, v1, 16, 1
	v_add3_u32 v2, v2, v1, s2
	v_or_b32_e32 v3, 0x400000, v1
	v_cmp_u_f32_e32 vcc, v1, v1
	v_cndmask_b32_e32 v1, v2, v3, vcc
	global_store_short_d16_hi v0, v1, s[0:1] offset:128
.LBB138_47:
	s_endpgm
.LBB138_48:
	ds_read_b32 v6, v5
	s_waitcnt lgkmcnt(0)
	v_add_f32_e32 v3, v3, v6
	s_or_b64 exec, exec, s[2:3]
	s_and_saveexec_b64 s[2:3], vcc
	s_cbranch_execz .LBB138_42
.LBB138_49:
	ds_read_b32 v6, v5 offset:128
	s_waitcnt lgkmcnt(0)
	v_add_f32_e32 v2, v2, v6
	s_or_b64 exec, exec, s[2:3]
	s_and_saveexec_b64 s[2:3], vcc
	s_cbranch_execnz .LBB138_43
	s_branch .LBB138_44
	.section	.rodata,"a",@progbits
	.p2align	6, 0x0
	.amdhsa_kernel _ZN4vllm25paged_attention_v1_kernelI14__hip_bfloat16S1_Li96ELi16ELi128ELNS_18Fp8KVCacheDataTypeE0ELb0EEEvPT_PKS3_PKT0_S9_ifPKiSB_iPKfiiiSD_SD_iiiii
		.amdhsa_group_segment_fixed_size 208
		.amdhsa_private_segment_fixed_size 0
		.amdhsa_kernarg_size 384
		.amdhsa_user_sgpr_count 6
		.amdhsa_user_sgpr_private_segment_buffer 1
		.amdhsa_user_sgpr_dispatch_ptr 0
		.amdhsa_user_sgpr_queue_ptr 0
		.amdhsa_user_sgpr_kernarg_segment_ptr 1
		.amdhsa_user_sgpr_dispatch_id 0
		.amdhsa_user_sgpr_flat_scratch_init 0
		.amdhsa_user_sgpr_private_segment_size 0
		.amdhsa_uses_dynamic_stack 0
		.amdhsa_system_sgpr_private_segment_wavefront_offset 0
		.amdhsa_system_sgpr_workgroup_id_x 1
		.amdhsa_system_sgpr_workgroup_id_y 1
		.amdhsa_system_sgpr_workgroup_id_z 1
		.amdhsa_system_sgpr_workgroup_info 0
		.amdhsa_system_vgpr_workitem_id 0
		.amdhsa_next_free_vgpr 54
		.amdhsa_next_free_sgpr 34
		.amdhsa_reserve_vcc 1
		.amdhsa_reserve_flat_scratch 0
		.amdhsa_float_round_mode_32 0
		.amdhsa_float_round_mode_16_64 0
		.amdhsa_float_denorm_mode_32 3
		.amdhsa_float_denorm_mode_16_64 3
		.amdhsa_dx10_clamp 1
		.amdhsa_ieee_mode 1
		.amdhsa_fp16_overflow 0
		.amdhsa_exception_fp_ieee_invalid_op 0
		.amdhsa_exception_fp_denorm_src 0
		.amdhsa_exception_fp_ieee_div_zero 0
		.amdhsa_exception_fp_ieee_overflow 0
		.amdhsa_exception_fp_ieee_underflow 0
		.amdhsa_exception_fp_ieee_inexact 0
		.amdhsa_exception_int_div_zero 0
	.end_amdhsa_kernel
	.section	.text._ZN4vllm25paged_attention_v1_kernelI14__hip_bfloat16S1_Li96ELi16ELi128ELNS_18Fp8KVCacheDataTypeE0ELb0EEEvPT_PKS3_PKT0_S9_ifPKiSB_iPKfiiiSD_SD_iiiii,"axG",@progbits,_ZN4vllm25paged_attention_v1_kernelI14__hip_bfloat16S1_Li96ELi16ELi128ELNS_18Fp8KVCacheDataTypeE0ELb0EEEvPT_PKS3_PKT0_S9_ifPKiSB_iPKfiiiSD_SD_iiiii,comdat
.Lfunc_end138:
	.size	_ZN4vllm25paged_attention_v1_kernelI14__hip_bfloat16S1_Li96ELi16ELi128ELNS_18Fp8KVCacheDataTypeE0ELb0EEEvPT_PKS3_PKT0_S9_ifPKiSB_iPKfiiiSD_SD_iiiii, .Lfunc_end138-_ZN4vllm25paged_attention_v1_kernelI14__hip_bfloat16S1_Li96ELi16ELi128ELNS_18Fp8KVCacheDataTypeE0ELb0EEEvPT_PKS3_PKT0_S9_ifPKiSB_iPKfiiiSD_SD_iiiii
                                        ; -- End function
	.set _ZN4vllm25paged_attention_v1_kernelI14__hip_bfloat16S1_Li96ELi16ELi128ELNS_18Fp8KVCacheDataTypeE0ELb0EEEvPT_PKS3_PKT0_S9_ifPKiSB_iPKfiiiSD_SD_iiiii.num_vgpr, 54
	.set _ZN4vllm25paged_attention_v1_kernelI14__hip_bfloat16S1_Li96ELi16ELi128ELNS_18Fp8KVCacheDataTypeE0ELb0EEEvPT_PKS3_PKT0_S9_ifPKiSB_iPKfiiiSD_SD_iiiii.num_agpr, 0
	.set _ZN4vllm25paged_attention_v1_kernelI14__hip_bfloat16S1_Li96ELi16ELi128ELNS_18Fp8KVCacheDataTypeE0ELb0EEEvPT_PKS3_PKT0_S9_ifPKiSB_iPKfiiiSD_SD_iiiii.numbered_sgpr, 34
	.set _ZN4vllm25paged_attention_v1_kernelI14__hip_bfloat16S1_Li96ELi16ELi128ELNS_18Fp8KVCacheDataTypeE0ELb0EEEvPT_PKS3_PKT0_S9_ifPKiSB_iPKfiiiSD_SD_iiiii.num_named_barrier, 0
	.set _ZN4vllm25paged_attention_v1_kernelI14__hip_bfloat16S1_Li96ELi16ELi128ELNS_18Fp8KVCacheDataTypeE0ELb0EEEvPT_PKS3_PKT0_S9_ifPKiSB_iPKfiiiSD_SD_iiiii.private_seg_size, 0
	.set _ZN4vllm25paged_attention_v1_kernelI14__hip_bfloat16S1_Li96ELi16ELi128ELNS_18Fp8KVCacheDataTypeE0ELb0EEEvPT_PKS3_PKT0_S9_ifPKiSB_iPKfiiiSD_SD_iiiii.uses_vcc, 1
	.set _ZN4vllm25paged_attention_v1_kernelI14__hip_bfloat16S1_Li96ELi16ELi128ELNS_18Fp8KVCacheDataTypeE0ELb0EEEvPT_PKS3_PKT0_S9_ifPKiSB_iPKfiiiSD_SD_iiiii.uses_flat_scratch, 0
	.set _ZN4vllm25paged_attention_v1_kernelI14__hip_bfloat16S1_Li96ELi16ELi128ELNS_18Fp8KVCacheDataTypeE0ELb0EEEvPT_PKS3_PKT0_S9_ifPKiSB_iPKfiiiSD_SD_iiiii.has_dyn_sized_stack, 0
	.set _ZN4vllm25paged_attention_v1_kernelI14__hip_bfloat16S1_Li96ELi16ELi128ELNS_18Fp8KVCacheDataTypeE0ELb0EEEvPT_PKS3_PKT0_S9_ifPKiSB_iPKfiiiSD_SD_iiiii.has_recursion, 0
	.set _ZN4vllm25paged_attention_v1_kernelI14__hip_bfloat16S1_Li96ELi16ELi128ELNS_18Fp8KVCacheDataTypeE0ELb0EEEvPT_PKS3_PKT0_S9_ifPKiSB_iPKfiiiSD_SD_iiiii.has_indirect_call, 0
	.section	.AMDGPU.csdata,"",@progbits
; Kernel info:
; codeLenInByte = 5404
; TotalNumSgprs: 38
; NumVgprs: 54
; ScratchSize: 0
; MemoryBound: 0
; FloatMode: 240
; IeeeMode: 1
; LDSByteSize: 208 bytes/workgroup (compile time only)
; SGPRBlocks: 4
; VGPRBlocks: 13
; NumSGPRsForWavesPerEU: 38
; NumVGPRsForWavesPerEU: 54
; Occupancy: 4
; WaveLimiterHint : 1
; COMPUTE_PGM_RSRC2:SCRATCH_EN: 0
; COMPUTE_PGM_RSRC2:USER_SGPR: 6
; COMPUTE_PGM_RSRC2:TRAP_HANDLER: 0
; COMPUTE_PGM_RSRC2:TGID_X_EN: 1
; COMPUTE_PGM_RSRC2:TGID_Y_EN: 1
; COMPUTE_PGM_RSRC2:TGID_Z_EN: 1
; COMPUTE_PGM_RSRC2:TIDIG_COMP_CNT: 0
	.section	.text._ZN4vllm25paged_attention_v1_kernelI14__hip_bfloat16S1_Li112ELi16ELi128ELNS_18Fp8KVCacheDataTypeE0ELb0EEEvPT_PKS3_PKT0_S9_ifPKiSB_iPKfiiiSD_SD_iiiii,"axG",@progbits,_ZN4vllm25paged_attention_v1_kernelI14__hip_bfloat16S1_Li112ELi16ELi128ELNS_18Fp8KVCacheDataTypeE0ELb0EEEvPT_PKS3_PKT0_S9_ifPKiSB_iPKfiiiSD_SD_iiiii,comdat
	.protected	_ZN4vllm25paged_attention_v1_kernelI14__hip_bfloat16S1_Li112ELi16ELi128ELNS_18Fp8KVCacheDataTypeE0ELb0EEEvPT_PKS3_PKT0_S9_ifPKiSB_iPKfiiiSD_SD_iiiii ; -- Begin function _ZN4vllm25paged_attention_v1_kernelI14__hip_bfloat16S1_Li112ELi16ELi128ELNS_18Fp8KVCacheDataTypeE0ELb0EEEvPT_PKS3_PKT0_S9_ifPKiSB_iPKfiiiSD_SD_iiiii
	.globl	_ZN4vllm25paged_attention_v1_kernelI14__hip_bfloat16S1_Li112ELi16ELi128ELNS_18Fp8KVCacheDataTypeE0ELb0EEEvPT_PKS3_PKT0_S9_ifPKiSB_iPKfiiiSD_SD_iiiii
	.p2align	8
	.type	_ZN4vllm25paged_attention_v1_kernelI14__hip_bfloat16S1_Li112ELi16ELi128ELNS_18Fp8KVCacheDataTypeE0ELb0EEEvPT_PKS3_PKT0_S9_ifPKiSB_iPKfiiiSD_SD_iiiii,@function
_ZN4vllm25paged_attention_v1_kernelI14__hip_bfloat16S1_Li112ELi16ELi128ELNS_18Fp8KVCacheDataTypeE0ELb0EEEvPT_PKS3_PKT0_S9_ifPKiSB_iPKfiiiSD_SD_iiiii: ; @_ZN4vllm25paged_attention_v1_kernelI14__hip_bfloat16S1_Li112ELi16ELi128ELNS_18Fp8KVCacheDataTypeE0ELb0EEEvPT_PKS3_PKT0_S9_ifPKiSB_iPKfiiiSD_SD_iiiii
; %bb.0:
	s_load_dword s9, s[4:5], 0x80
	s_load_dwordx2 s[0:1], s[4:5], 0x30
	s_load_dwordx2 s[26:27], s[4:5], 0x20
	s_mov_b32 s10, s7
	s_ashr_i32 s11, s7, 31
	s_lshl_b64 s[2:3], s[10:11], 2
	s_waitcnt lgkmcnt(0)
	s_add_u32 s0, s0, s2
	s_addc_u32 s1, s1, s3
	s_abs_i32 s2, s26
	v_cvt_f32_u32_e32 v1, s2
	s_sub_i32 s11, 0, s2
	s_abs_i32 s7, s9
	s_xor_b32 s3, s9, s26
	v_rcp_iflag_f32_e32 v1, v1
	s_ashr_i32 s3, s3, 31
	s_mov_b32 s26, 0
	v_mul_f32_e32 v1, 0x4f7ffffe, v1
	v_cvt_u32_f32_e32 v1, v1
	v_readfirstlane_b32 s12, v1
	s_mul_i32 s11, s11, s12
	s_mul_hi_u32 s11, s12, s11
	s_add_i32 s12, s12, s11
	s_mul_hi_u32 s11, s7, s12
	s_mul_i32 s12, s11, s2
	s_sub_i32 s7, s7, s12
	s_add_i32 s12, s11, 1
	s_sub_i32 s13, s7, s2
	s_cmp_ge_u32 s7, s2
	s_cselect_b32 s11, s12, s11
	s_cselect_b32 s7, s13, s7
	s_add_i32 s12, s11, 1
	s_cmp_ge_u32 s7, s2
	s_cselect_b32 s2, s12, s11
	s_xor_b32 s2, s2, s3
	s_sub_i32 s12, s2, s3
	s_abs_i32 s11, s12
	v_cvt_f32_u32_e32 v1, s11
	s_load_dwordx2 s[2:3], s[4:5], 0x40
	s_sub_i32 s7, 0, s11
	s_abs_i32 s18, s6
	v_rcp_iflag_f32_e32 v1, v1
	v_mul_f32_e32 v1, 0x4f7ffffe, v1
	v_cvt_u32_f32_e32 v1, v1
	v_readfirstlane_b32 s13, v1
	s_mul_i32 s7, s7, s13
	s_mul_hi_u32 s7, s13, s7
	s_add_i32 s13, s13, s7
	s_waitcnt lgkmcnt(0)
	s_cmp_eq_u64 s[2:3], 0
	s_mul_hi_u32 s19, s18, s13
	s_cbranch_scc1 .LBB139_2
; %bb.1:
	s_ashr_i32 s7, s6, 31
	s_lshl_b64 s[14:15], s[6:7], 2
	s_add_u32 s2, s2, s14
	s_addc_u32 s3, s3, s15
	s_load_dword s26, s[2:3], 0x0
.LBB139_2:
	s_load_dword s33, s[0:1], 0x0
	s_ashr_i32 s3, s12, 31
	s_load_dwordx4 s[12:15], s[4:5], 0x48
	s_ashr_i32 s2, s6, 31
	v_and_b32_e32 v1, 3, v0
	s_mul_i32 s16, s6, 0x70
	v_cmp_gt_u32_e32 vcc, 56, v0
	v_lshlrev_b32_e32 v2, 2, v0
	s_and_saveexec_b64 s[0:1], vcc
	s_cbranch_execz .LBB139_4
; %bb.3:
	s_load_dwordx2 s[6:7], s[4:5], 0x8
	s_waitcnt lgkmcnt(0)
	s_mul_i32 s20, s12, s10
	s_ashr_i32 s21, s20, 31
	s_lshl_b64 s[20:21], s[20:21], 1
	v_and_b32_e32 v4, 0x3fc, v0
	s_add_u32 s12, s6, s20
	s_addc_u32 s15, s7, s21
	s_ashr_i32 s17, s16, 31
	s_lshl_b64 s[6:7], s[16:17], 1
	s_add_u32 s6, s12, s6
	s_addc_u32 s7, s15, s7
	global_load_dword v3, v2, s[6:7]
	v_mad_u32_u24 v4, v1, 56, v4
	s_waitcnt vmcnt(0)
	ds_write_b32 v4, v3
.LBB139_4:
	s_or_b64 exec, exec, s[0:1]
	s_waitcnt lgkmcnt(0)
	s_add_i32 s1, s33, 15
	s_ashr_i32 s6, s1, 31
	s_lshr_b32 s6, s6, 28
	s_add_i32 s1, s1, s6
	s_ashr_i32 s17, s1, 4
	s_xor_b32 s1, s2, s3
	s_mul_i32 s2, s19, s11
	s_sub_i32 s2, s18, s2
	s_add_i32 s3, s19, 1
	s_sub_i32 s6, s2, s11
	s_load_dwordx2 s[20:21], s[4:5], 0x28
	s_load_dword s0, s[4:5], 0x38
	s_cmp_ge_u32 s2, s11
	s_cselect_b32 s3, s3, s19
	s_cselect_b32 s2, s6, s2
	s_add_i32 s6, s3, 1
	s_cmp_ge_u32 s2, s11
	s_cselect_b32 s2, s6, s3
	v_lshrrev_b32_e32 v23, 6, v0
	s_xor_b32 s2, s2, s1
	s_waitcnt lgkmcnt(0)
	s_mul_i32 s22, s0, s10
	s_sub_i32 s12, s2, s1
	s_ashr_i32 s23, s22, 31
	v_cmp_le_i32_e64 s[0:1], s17, v23
	v_mbcnt_lo_u32_b32 v39, -1, 0
	s_barrier
                                        ; implicit-def: $vgpr4
                                        ; implicit-def: $vgpr6
                                        ; implicit-def: $vgpr5
	s_and_saveexec_b64 s[2:3], s[0:1]
	s_xor_b64 s[2:3], exec, s[2:3]
; %bb.5:
	v_mbcnt_hi_u32_b32 v4, -1, v39
	v_and_b32_e32 v6, 64, v4
	v_add_u32_e32 v5, 64, v6
                                        ; implicit-def: $vgpr2
                                        ; implicit-def: $vgpr1
                                        ; implicit-def: $vgpr39
; %bb.6:
	s_or_saveexec_b64 s[6:7], s[2:3]
	s_load_dwordx2 s[18:19], s[4:5], 0x0
	s_load_dwordx2 s[24:25], s[4:5], 0x18
	s_load_dword s11, s[4:5], 0x88
	v_mov_b32_e32 v36, 0xff7fffff
	s_mul_i32 s14, s12, s14
	v_lshrrev_b32_e32 v3, 4, v0
	s_xor_b64 exec, exec, s[6:7]
	s_cbranch_execz .LBB139_12
; %bb.7:
	s_load_dwordx2 s[2:3], s[4:5], 0x10
	s_ashr_i32 s15, s14, 31
	s_lshl_b64 s[4:5], s[14:15], 1
	v_mul_u32_u24_e32 v6, 56, v1
	v_bfe_u32 v36, v0, 2, 4
	s_waitcnt lgkmcnt(0)
	s_add_u32 s2, s2, s4
	ds_read2_b64 v[11:14], v6 offset1:1
	ds_read2_b64 v[19:22], v6 offset0:2 offset1:3
	ds_read_b64 v[4:5], v6 offset:48
	ds_read2_b64 v[28:31], v6 offset0:4 offset1:5
	s_addc_u32 s3, s3, s5
	v_lshlrev_b32_e32 v6, 4, v36
	v_mov_b32_e32 v32, s3
	v_add_co_u32_e32 v6, vcc, s2, v6
	s_sub_i32 s12, 1, s33
	s_lshl_b64 s[2:3], s[22:23], 2
	v_addc_co_u32_e32 v38, vcc, 0, v32, vcc
	s_add_u32 s2, s20, s2
	v_cmp_eq_u32_e32 vcc, 0, v1
	s_addc_u32 s3, s21, s3
	v_and_b32_e32 v1, 60, v3
	v_and_b32_e32 v37, 12, v2
	v_mov_b32_e32 v2, s3
	v_add_co_u32_e64 v1, s[2:3], s2, v1
	s_waitcnt lgkmcnt(1)
	v_lshlrev_b32_e32 v32, 16, v4
	v_and_b32_e32 v33, 0xffff0000, v4
	v_addc_co_u32_e64 v2, s[2:3], 0, v2, s[2:3]
	v_mbcnt_hi_u32_b32 v4, -1, v39
	v_add_co_u32_e64 v37, s[2:3], v6, v37
	v_and_b32_e32 v6, 64, v4
	v_lshlrev_b32_e32 v34, 16, v5
	v_and_b32_e32 v35, 0xffff0000, v5
	v_addc_co_u32_e64 v38, s[2:3], 0, v38, s[2:3]
	v_add_u32_e32 v5, 64, v6
	v_xor_b32_e32 v39, 2, v4
	v_cmp_lt_i32_e64 s[2:3], v39, v5
	v_xor_b32_e32 v40, 1, v4
	v_cndmask_b32_e64 v39, v4, v39, s[2:3]
	v_cmp_lt_i32_e64 s[2:3], v40, v5
	v_lshl_or_b32 v41, v23, 4, v36
	v_lshlrev_b32_e32 v36, 2, v36
	v_cndmask_b32_e64 v40, v4, v40, s[2:3]
	v_lshl_or_b32 v36, v23, 6, v36
	v_lshlrev_b32_e32 v7, 16, v11
	v_and_b32_e32 v8, 0xffff0000, v11
	v_lshlrev_b32_e32 v9, 16, v12
	v_and_b32_e32 v10, 0xffff0000, v12
	;; [unrolled: 2-line block ×8, first 2 shown]
	s_waitcnt lgkmcnt(0)
	v_lshlrev_b32_e32 v24, 16, v28
	v_and_b32_e32 v25, 0xffff0000, v28
	v_lshlrev_b32_e32 v26, 16, v29
	v_and_b32_e32 v27, 0xffff0000, v29
	;; [unrolled: 2-line block ×4, first 2 shown]
	s_mov_b32 s15, s13
	v_lshlrev_b32_e32 v39, 2, v39
	v_lshlrev_b32_e32 v40, 2, v40
	v_cmp_neq_f32_e64 s[2:3], s26, 0
	v_add_u32_e32 v42, 0xf0, v36
	s_mov_b64 s[28:29], 0
	v_mov_b32_e32 v36, 0xff7fffff
	v_mov_b32_e32 v43, v23
	s_branch .LBB139_9
.LBB139_8:                              ;   in Loop: Header=BB139_9 Depth=1
	s_or_b64 exec, exec, s[30:31]
	v_add_u32_e32 v43, 2, v43
	v_cmp_le_i32_e64 s[4:5], s17, v43
	s_or_b64 s[28:29], s[4:5], s[28:29]
	v_add_co_u32_e64 v1, s[4:5], 8, v1
	v_add_u32_e32 v41, 32, v41
	v_add_u32_e32 v42, 0x80, v42
	v_addc_co_u32_e64 v2, s[4:5], 0, v2, s[4:5]
	s_andn2_b64 exec, exec, s[28:29]
	s_cbranch_execz .LBB139_11
.LBB139_9:                              ; =>This Inner Loop Header: Depth=1
	global_load_dword v44, v[1:2], off
	s_waitcnt vmcnt(0) lgkmcnt(0)
	v_mad_i64_i32 v[44:45], s[4:5], v44, s15, 0
	v_lshlrev_b64 v[44:45], 1, v[44:45]
	v_add_co_u32_e64 v44, s[4:5], v37, v44
	v_addc_co_u32_e64 v45, s[4:5], v38, v45, s[4:5]
	global_load_dword v48, v[44:45], off offset:256
	global_load_dword v49, v[44:45], off
	global_load_dword v50, v[44:45], off offset:512
	global_load_dword v51, v[44:45], off offset:768
	;; [unrolled: 1-line block ×12, first 2 shown]
	s_waitcnt vmcnt(13)
	v_lshlrev_b32_e32 v44, 16, v48
	v_mul_f32_e32 v44, v9, v44
	s_waitcnt vmcnt(12)
	v_lshlrev_b32_e32 v45, 16, v49
	v_fmac_f32_e32 v44, v7, v45
	v_and_b32_e32 v45, 0xffff0000, v48
	v_and_b32_e32 v49, 0xffff0000, v49
	v_mul_f32_e32 v45, v10, v45
	s_waitcnt vmcnt(11)
	v_lshlrev_b32_e32 v48, 16, v50
	v_fmac_f32_e32 v45, v8, v49
	v_fmac_f32_e32 v44, v11, v48
	v_and_b32_e32 v48, 0xffff0000, v50
	v_fmac_f32_e32 v45, v12, v48
	s_waitcnt vmcnt(10)
	v_lshlrev_b32_e32 v48, 16, v51
	v_fmac_f32_e32 v44, v13, v48
	v_and_b32_e32 v48, 0xffff0000, v51
	v_fmac_f32_e32 v45, v14, v48
	s_waitcnt vmcnt(9)
	v_lshlrev_b32_e32 v48, 16, v52
	;; [unrolled: 5-line block ×10, first 2 shown]
	v_and_b32_e32 v47, 0xffff0000, v47
	v_fmac_f32_e32 v44, v32, v48
	v_fmac_f32_e32 v45, v33, v47
	s_waitcnt vmcnt(0)
	v_lshlrev_b32_e32 v47, 16, v46
	v_and_b32_e32 v46, 0xffff0000, v46
	v_fmac_f32_e32 v44, v34, v47
	v_fmac_f32_e32 v45, v35, v46
	v_add_f32_e32 v44, v44, v45
	ds_bpermute_b32 v45, v39, v44
	s_waitcnt lgkmcnt(0)
	v_add_f32_e32 v44, v44, v45
	ds_bpermute_b32 v45, v40, v44
	s_and_saveexec_b64 s[30:31], vcc
	s_cbranch_execz .LBB139_8
; %bb.10:                               ;   in Loop: Header=BB139_9 Depth=1
	v_add_u32_e32 v46, s12, v41
	v_cvt_f32_i32_e32 v46, v46
	s_waitcnt lgkmcnt(0)
	v_add_f32_e32 v44, v44, v45
	v_cmp_gt_i32_e64 s[4:5], s33, v41
	v_max_f32_e32 v45, v36, v36
	v_mul_f32_e32 v46, s26, v46
	v_cndmask_b32_e64 v46, 0, v46, s[2:3]
	v_fmac_f32_e32 v46, s27, v44
	v_cndmask_b32_e64 v44, 0, v46, s[4:5]
	ds_write_b32 v42, v44
	v_max_f32_e32 v44, v45, v46
	v_cndmask_b32_e64 v36, v36, v44, s[4:5]
	s_branch .LBB139_8
.LBB139_11:
	s_or_b64 exec, exec, s[28:29]
.LBB139_12:
	s_or_b64 exec, exec, s[6:7]
	v_xor_b32_e32 v1, 32, v4
	v_cmp_lt_i32_e32 vcc, v1, v5
	v_cndmask_b32_e32 v1, v4, v1, vcc
	v_lshlrev_b32_e32 v2, 2, v1
	ds_bpermute_b32 v1, v2, v36
	v_xor_b32_e32 v8, 16, v4
	v_max_f32_e32 v7, v36, v36
	v_cmp_lt_i32_e32 vcc, v8, v5
	v_xor_b32_e32 v9, 8, v4
	s_waitcnt lgkmcnt(0)
	v_max_f32_e32 v1, v1, v1
	v_max_f32_e32 v1, v7, v1
	v_cndmask_b32_e32 v7, v4, v8, vcc
	v_lshlrev_b32_e32 v7, 2, v7
	ds_bpermute_b32 v8, v7, v1
	v_cmp_lt_i32_e32 vcc, v9, v5
	v_xor_b32_e32 v11, 4, v4
	s_waitcnt lgkmcnt(0)
	v_max_f32_e32 v8, v8, v8
	v_max_f32_e32 v1, v1, v8
	v_cndmask_b32_e32 v8, v4, v9, vcc
	v_lshlrev_b32_e32 v10, 2, v8
	ds_bpermute_b32 v8, v10, v1
	v_cmp_lt_i32_e32 vcc, v11, v5
	s_waitcnt lgkmcnt(0)
	v_max_f32_e32 v8, v8, v8
	v_max_f32_e32 v9, v1, v8
	v_cndmask_b32_e32 v1, v4, v11, vcc
	v_lshlrev_b32_e32 v11, 2, v1
	ds_bpermute_b32 v12, v11, v9
	v_and_b32_e32 v1, 63, v0
	v_cmp_eq_u32_e32 vcc, 0, v1
	v_lshlrev_b32_e32 v8, 2, v23
	s_and_saveexec_b64 s[2:3], vcc
	s_cbranch_execz .LBB139_14
; %bb.13:
	s_waitcnt lgkmcnt(0)
	v_max_f32_e32 v12, v12, v12
	v_max_f32_e32 v9, v9, v9
	;; [unrolled: 1-line block ×3, first 2 shown]
	ds_write_b32 v8, v9 offset:224
.LBB139_14:
	s_or_b64 exec, exec, s[2:3]
	v_cmp_gt_u32_e64 s[2:3], 2, v1
	s_waitcnt lgkmcnt(0)
	v_mov_b32_e32 v12, 0xff7fffff
	v_lshlrev_b32_e32 v9, 2, v1
	s_barrier
	s_and_saveexec_b64 s[4:5], s[2:3]
; %bb.15:
	ds_read_b32 v12, v9 offset:224
; %bb.16:
	s_or_b64 exec, exec, s[4:5]
	v_xor_b32_e32 v13, 1, v4
	v_cmp_lt_i32_e64 s[4:5], v13, v5
	v_cndmask_b32_e64 v13, v4, v13, s[4:5]
	v_lshlrev_b32_e32 v24, 2, v13
	s_waitcnt lgkmcnt(0)
	ds_bpermute_b32 v13, v24, v12
	v_max_f32_e32 v12, v12, v12
	v_lshlrev_b32_e32 v6, 2, v6
	s_lshl_b32 s4, s17, 4
	s_min_i32 s12, s4, s33
	s_waitcnt lgkmcnt(0)
	v_max_f32_e32 v13, v13, v13
	v_max_f32_e32 v12, v12, v13
	ds_bpermute_b32 v12, v6, v12
	v_cmp_gt_i32_e64 s[4:5], s12, v0
	v_mov_b32_e32 v6, 0
	s_and_saveexec_b64 s[26:27], s[4:5]
	s_cbranch_execz .LBB139_20
; %bb.17:
	v_mov_b32_e32 v6, 0xf0
	v_lshl_add_u32 v13, v0, 2, v6
	v_mov_b32_e32 v6, 0
	s_mov_b64 s[28:29], 0
	v_mov_b32_e32 v14, v0
.LBB139_18:                             ; =>This Inner Loop Header: Depth=1
	ds_read_b32 v15, v13
	v_add_u32_e32 v14, 0x80, v14
	v_cmp_le_i32_e64 s[6:7], s12, v14
	s_or_b64 s[28:29], s[6:7], s[28:29]
	s_waitcnt lgkmcnt(0)
	v_sub_f32_e32 v15, v15, v12
	v_mul_f32_e32 v15, 0x3fb8aa3b, v15
	v_exp_f32_e32 v15, v15
	ds_write_b32 v13, v15
	v_add_f32_e32 v6, v6, v15
	v_add_u32_e32 v13, 0x200, v13
	s_andn2_b64 exec, exec, s[28:29]
	s_cbranch_execnz .LBB139_18
; %bb.19:
	s_or_b64 exec, exec, s[28:29]
.LBB139_20:
	s_or_b64 exec, exec, s[26:27]
	ds_bpermute_b32 v2, v2, v6
	s_waitcnt lgkmcnt(0)
	v_add_f32_e32 v2, v6, v2
	ds_bpermute_b32 v6, v7, v2
	v_xor_b32_e32 v7, 2, v4
	v_cmp_lt_i32_e64 s[6:7], v7, v5
	v_cndmask_b32_e64 v5, v4, v7, s[6:7]
	v_lshlrev_b32_e32 v5, 2, v5
	s_waitcnt lgkmcnt(0)
	v_add_f32_e32 v2, v2, v6
	ds_bpermute_b32 v6, v10, v2
	s_waitcnt lgkmcnt(0)
	v_add_f32_e32 v2, v2, v6
	ds_bpermute_b32 v6, v11, v2
	;; [unrolled: 3-line block ×4, first 2 shown]
	s_waitcnt lgkmcnt(0)
	v_add_f32_e32 v2, v2, v5
	s_and_saveexec_b64 s[6:7], vcc
; %bb.21:
	ds_write_b32 v8, v2 offset:232
; %bb.22:
	s_or_b64 exec, exec, s[6:7]
	s_waitcnt lgkmcnt(0)
	s_barrier
	s_and_saveexec_b64 s[6:7], s[2:3]
; %bb.23:
	ds_read_b32 v2, v9 offset:232
; %bb.24:
	s_or_b64 exec, exec, s[6:7]
	s_waitcnt lgkmcnt(0)
	ds_bpermute_b32 v5, v24, v2
	v_lshlrev_b32_e32 v4, 2, v4
	v_and_b32_e32 v4, 0xffffff00, v4
	s_waitcnt lgkmcnt(0)
	v_add_f32_e32 v2, v2, v5
	ds_bpermute_b32 v2, v4, v2
	s_and_saveexec_b64 s[2:3], s[4:5]
	s_cbranch_execz .LBB139_27
; %bb.25:
	s_waitcnt lgkmcnt(0)
	v_add_f32_e32 v4, 0x358637bd, v2
	v_div_scale_f32 v2, s[4:5], v4, v4, 1.0
	v_div_scale_f32 v5, vcc, 1.0, v4, 1.0
	s_mov_b64 s[4:5], 0
	v_rcp_f32_e32 v6, v2
	v_fma_f32 v7, -v2, v6, 1.0
	v_fmac_f32_e32 v6, v7, v6
	v_mul_f32_e32 v7, v5, v6
	v_fma_f32 v8, -v2, v7, v5
	v_fmac_f32_e32 v7, v8, v6
	v_fma_f32 v2, -v2, v7, v5
	v_div_fmas_f32 v5, v2, v6, v7
	v_mov_b32_e32 v2, 0xf0
	v_lshl_add_u32 v2, v0, 2, v2
	v_div_fixup_f32 v4, v5, v4, 1.0
	v_mov_b32_e32 v5, v0
.LBB139_26:                             ; =>This Inner Loop Header: Depth=1
	ds_read_b32 v6, v2
	v_add_u32_e32 v5, 0x80, v5
	v_cmp_le_i32_e32 vcc, s12, v5
	s_or_b64 s[4:5], vcc, s[4:5]
	s_waitcnt lgkmcnt(0)
	v_mul_f32_e32 v6, v4, v6
	ds_write_b32 v2, v6
	v_add_u32_e32 v2, 0x200, v2
	s_andn2_b64 exec, exec, s[4:5]
	s_cbranch_execnz .LBB139_26
.LBB139_27:
	s_or_b64 exec, exec, s[2:3]
	v_lshrrev_b32_e32 v25, 1, v1
	s_waitcnt lgkmcnt(0)
	s_barrier
	s_and_saveexec_b64 s[2:3], s[0:1]
	s_xor_b64 s[0:1], exec, s[2:3]
; %bb.28:
	v_lshrrev_b32_e32 v25, 1, v1
                                        ; implicit-def: $vgpr23
                                        ; implicit-def: $vgpr3
; %bb.29:
	s_or_saveexec_b64 s[6:7], s[0:1]
	v_mov_b32_e32 v28, 0
	v_and_b32_e32 v26, 1, v0
	v_mov_b32_e32 v30, 0
	v_mov_b32_e32 v29, 0
	;; [unrolled: 1-line block ×3, first 2 shown]
	s_xor_b64 exec, exec, s[6:7]
	s_cbranch_execz .LBB139_43
; %bb.30:
	s_ashr_i32 s15, s14, 31
	v_lshlrev_b32_e32 v1, 3, v0
	s_lshl_b64 s[0:1], s[14:15], 1
	v_and_b32_e32 v1, 8, v1
	s_add_u32 s24, s24, s0
	v_or_b32_e32 v4, 0x60, v25
	s_movk_i32 s0, 0x70
	s_addc_u32 s4, s25, s1
	s_add_i32 s25, s17, -1
	v_lshl_or_b32 v2, v25, 4, v1
	v_cmp_gt_u32_e64 s[0:1], s0, v4
	v_lshl_or_b32 v4, v4, 4, v1
	v_lshl_or_b32 v32, v23, 4, v1
	v_lshlrev_b32_e32 v1, 5, v26
	s_lshl_b64 s[2:3], s[22:23], 2
	v_lshl_or_b32 v1, v23, 6, v1
	s_add_u32 s2, s20, s2
	v_add_u32_e32 v33, 0xf0, v1
	v_and_b32_e32 v1, 60, v3
	s_addc_u32 s3, s21, s3
	v_mov_b32_e32 v3, s3
	v_add_co_u32_e32 v21, vcc, s2, v1
	s_mov_b32 s26, s13
	v_mov_b32_e32 v27, 0
	s_mov_b32 s27, s33
	v_addc_co_u32_e32 v22, vcc, 0, v3, vcc
	s_mov_b64 s[12:13], 0
	v_mov_b32_e32 v34, s4
	v_lshlrev_b32_e32 v35, 1, v2
	s_mov_b32 s20, 0x5040100
	s_movk_i32 s21, 0x7fff
	s_mov_b32 s22, 0x7060302
	v_lshlrev_b32_e32 v36, 1, v4
	v_mov_b32_e32 v31, 0
	v_mov_b32_e32 v29, 0
	;; [unrolled: 1-line block ×4, first 2 shown]
	s_branch .LBB139_33
.LBB139_31:                             ;   in Loop: Header=BB139_33 Depth=1
	s_or_b64 exec, exec, s[14:15]
	s_waitcnt vmcnt(0)
	v_lshlrev_b32_e32 v37, 16, v13
	v_lshlrev_b32_e32 v38, 16, v20
	v_mul_f32_e32 v37, v38, v37
	v_bfe_u32 v38, v37, 16, 1
	v_add3_u32 v38, v38, v37, s21
	v_or_b32_e32 v39, 0x400000, v37
	v_cmp_u_f32_e32 vcc, v37, v37
	v_cndmask_b32_e32 v37, v38, v39, vcc
	v_and_b32_e32 v13, 0xffff0000, v13
	v_and_b32_e32 v38, 0xffff0000, v20
	v_mul_f32_e32 v13, v38, v13
	v_bfe_u32 v38, v13, 16, 1
	v_add3_u32 v38, v38, v13, s21
	v_or_b32_e32 v39, 0x400000, v13
	v_cmp_u_f32_e32 vcc, v13, v13
	v_cndmask_b32_e32 v13, v38, v39, vcc
	v_lshlrev_b32_e32 v38, 16, v14
	v_lshlrev_b32_e32 v39, 16, v19
	v_mul_f32_e32 v38, v39, v38
	v_bfe_u32 v39, v38, 16, 1
	v_add3_u32 v39, v39, v38, s21
	v_or_b32_e32 v40, 0x400000, v38
	v_cmp_u_f32_e32 vcc, v38, v38
	v_cndmask_b32_e32 v38, v39, v40, vcc
	v_and_b32_e32 v14, 0xffff0000, v14
	v_and_b32_e32 v39, 0xffff0000, v19
	v_mul_f32_e32 v14, v39, v14
	v_bfe_u32 v39, v14, 16, 1
	v_add3_u32 v39, v39, v14, s21
	v_or_b32_e32 v40, 0x400000, v14
	v_cmp_u_f32_e32 vcc, v14, v14
	v_cndmask_b32_e32 v14, v39, v40, vcc
	;; [unrolled: 16-line block ×3, first 2 shown]
	v_lshlrev_b32_e32 v40, 16, v16
	v_lshlrev_b32_e32 v41, 16, v17
	v_mul_f32_e32 v40, v41, v40
	v_bfe_u32 v41, v40, 16, 1
	v_add3_u32 v41, v41, v40, s21
	v_or_b32_e32 v42, 0x400000, v40
	v_cmp_u_f32_e32 vcc, v40, v40
	v_cndmask_b32_e32 v40, v41, v42, vcc
	v_and_b32_e32 v16, 0xffff0000, v16
	v_and_b32_e32 v41, 0xffff0000, v17
	;; [unrolled: 1-line block ×4, first 2 shown]
	v_mul_f32_e32 v16, v41, v16
	v_add_f32_e32 v13, v37, v13
	v_and_b32_e32 v14, 0xffff0000, v14
	v_and_b32_e32 v37, 0xffff0000, v38
	v_bfe_u32 v41, v16, 16, 1
	v_add_f32_e32 v14, v37, v14
	v_add3_u32 v41, v41, v16, s21
	v_or_b32_e32 v42, 0x400000, v16
	v_cmp_u_f32_e32 vcc, v16, v16
	v_add_f32_e32 v13, v14, v13
	v_and_b32_e32 v14, 0xffff0000, v15
	v_and_b32_e32 v15, 0xffff0000, v39
	v_cndmask_b32_e32 v16, v41, v42, vcc
	v_add_f32_e32 v14, v15, v14
	v_add_f32_e32 v13, v14, v13
	v_and_b32_e32 v14, 0xffff0000, v16
	v_and_b32_e32 v15, 0xffff0000, v40
	v_add_f32_e32 v14, v15, v14
	v_add_f32_e32 v13, v14, v13
	;; [unrolled: 1-line block ×3, first 2 shown]
.LBB139_32:                             ;   in Loop: Header=BB139_33 Depth=1
	s_or_b64 exec, exec, s[4:5]
	s_waitcnt vmcnt(0)
	v_and_b32_e32 v14, 0xffff0000, v9
	v_and_b32_e32 v13, 0xffff0000, v20
	v_mul_f32_e32 v14, v13, v14
	v_bfe_u32 v15, v14, 16, 1
	v_add3_u32 v15, v15, v14, s21
	v_or_b32_e32 v16, 0x400000, v14
	v_cmp_u_f32_e32 vcc, v14, v14
	v_lshlrev_b32_e32 v14, 16, v9
	v_lshlrev_b32_e32 v9, 16, v20
	v_mul_f32_e32 v14, v9, v14
	v_cndmask_b32_e32 v37, v15, v16, vcc
	v_bfe_u32 v15, v14, 16, 1
	v_add3_u32 v15, v15, v14, s21
	v_or_b32_e32 v16, 0x400000, v14
	v_cmp_u_f32_e32 vcc, v14, v14
	v_cndmask_b32_e32 v20, v15, v16, vcc
	v_and_b32_e32 v15, 0xffff0000, v10
	v_and_b32_e32 v14, 0xffff0000, v19
	v_mul_f32_e32 v15, v14, v15
	v_bfe_u32 v16, v15, 16, 1
	v_add3_u32 v16, v16, v15, s21
	v_or_b32_e32 v38, 0x400000, v15
	v_cmp_u_f32_e32 vcc, v15, v15
	v_lshlrev_b32_e32 v15, 16, v10
	v_lshlrev_b32_e32 v10, 16, v19
	v_mul_f32_e32 v15, v10, v15
	v_cndmask_b32_e32 v38, v16, v38, vcc
	v_bfe_u32 v16, v15, 16, 1
	v_add3_u32 v16, v16, v15, s21
	v_or_b32_e32 v19, 0x400000, v15
	v_cmp_u_f32_e32 vcc, v15, v15
	v_cndmask_b32_e32 v19, v16, v19, vcc
	v_and_b32_e32 v16, 0xffff0000, v11
	v_and_b32_e32 v15, 0xffff0000, v18
	v_mul_f32_e32 v16, v15, v16
	v_bfe_u32 v39, v16, 16, 1
	v_add3_u32 v39, v39, v16, s21
	v_or_b32_e32 v40, 0x400000, v16
	v_cmp_u_f32_e32 vcc, v16, v16
	v_lshlrev_b32_e32 v16, 16, v11
	v_lshlrev_b32_e32 v11, 16, v18
	v_mul_f32_e32 v16, v11, v16
	v_bfe_u32 v18, v16, 16, 1
	v_cndmask_b32_e32 v39, v39, v40, vcc
	v_add3_u32 v18, v18, v16, s21
	v_or_b32_e32 v40, 0x400000, v16
	v_cmp_u_f32_e32 vcc, v16, v16
	v_cndmask_b32_e32 v18, v18, v40, vcc
	v_and_b32_e32 v40, 0xffff0000, v12
	v_and_b32_e32 v16, 0xffff0000, v17
	v_mul_f32_e32 v40, v16, v40
	v_bfe_u32 v41, v40, 16, 1
	v_add3_u32 v41, v41, v40, s21
	v_or_b32_e32 v42, 0x400000, v40
	v_cmp_u_f32_e32 vcc, v40, v40
	v_cndmask_b32_e32 v40, v41, v42, vcc
	v_lshlrev_b32_e32 v41, 16, v12
	v_lshlrev_b32_e32 v12, 16, v17
	v_and_b32_e32 v20, 0xffff0000, v20
	v_and_b32_e32 v37, 0xffff0000, v37
	v_mul_f32_e32 v17, v12, v41
	v_add_f32_e32 v20, v20, v37
	v_and_b32_e32 v19, 0xffff0000, v19
	v_and_b32_e32 v37, 0xffff0000, v38
	v_bfe_u32 v41, v17, 16, 1
	v_add_f32_e32 v19, v19, v37
	v_add3_u32 v41, v41, v17, s21
	v_or_b32_e32 v42, 0x400000, v17
	v_cmp_u_f32_e32 vcc, v17, v17
	v_add_f32_e32 v19, v19, v20
	v_and_b32_e32 v18, 0xffff0000, v18
	v_and_b32_e32 v20, 0xffff0000, v39
	v_cndmask_b32_e32 v17, v41, v42, vcc
	v_add_f32_e32 v18, v18, v20
	v_add_f32_e32 v18, v18, v19
	v_and_b32_e32 v17, 0xffff0000, v17
	v_and_b32_e32 v19, 0xffff0000, v40
	v_add_f32_e32 v17, v17, v19
	v_add_f32_e32 v17, v17, v18
	;; [unrolled: 1-line block ×3, first 2 shown]
	v_and_b32_e32 v17, 0xffff0000, v5
	v_mul_f32_e32 v17, v13, v17
	v_bfe_u32 v18, v17, 16, 1
	v_lshlrev_b32_e32 v5, 16, v5
	v_add3_u32 v18, v18, v17, s21
	v_or_b32_e32 v19, 0x400000, v17
	v_cmp_u_f32_e32 vcc, v17, v17
	v_mul_f32_e32 v5, v9, v5
	v_cndmask_b32_e32 v17, v18, v19, vcc
	v_bfe_u32 v18, v5, 16, 1
	v_add3_u32 v18, v18, v5, s21
	v_or_b32_e32 v19, 0x400000, v5
	v_cmp_u_f32_e32 vcc, v5, v5
	v_cndmask_b32_e32 v5, v18, v19, vcc
	v_and_b32_e32 v18, 0xffff0000, v6
	v_mul_f32_e32 v18, v14, v18
	v_bfe_u32 v19, v18, 16, 1
	v_lshlrev_b32_e32 v6, 16, v6
	v_add3_u32 v19, v19, v18, s21
	v_or_b32_e32 v20, 0x400000, v18
	v_cmp_u_f32_e32 vcc, v18, v18
	v_mul_f32_e32 v6, v10, v6
	v_cndmask_b32_e32 v18, v19, v20, vcc
	v_bfe_u32 v19, v6, 16, 1
	v_add3_u32 v19, v19, v6, s21
	v_or_b32_e32 v20, 0x400000, v6
	v_cmp_u_f32_e32 vcc, v6, v6
	v_cndmask_b32_e32 v6, v19, v20, vcc
	;; [unrolled: 14-line block ×3, first 2 shown]
	v_and_b32_e32 v20, 0xffff0000, v8
	v_mul_f32_e32 v20, v16, v20
	v_bfe_u32 v37, v20, 16, 1
	v_lshlrev_b32_e32 v8, 16, v8
	v_and_b32_e32 v5, 0xffff0000, v5
	v_and_b32_e32 v17, 0xffff0000, v17
	v_add3_u32 v37, v37, v20, s21
	v_or_b32_e32 v38, 0x400000, v20
	v_cmp_u_f32_e32 vcc, v20, v20
	v_mul_f32_e32 v8, v12, v8
	v_add_f32_e32 v5, v5, v17
	v_and_b32_e32 v6, 0xffff0000, v6
	v_and_b32_e32 v17, 0xffff0000, v18
	v_cndmask_b32_e32 v20, v37, v38, vcc
	v_bfe_u32 v37, v8, 16, 1
	v_add_f32_e32 v6, v6, v17
	v_add3_u32 v37, v37, v8, s21
	v_or_b32_e32 v38, 0x400000, v8
	v_cmp_u_f32_e32 vcc, v8, v8
	v_add_f32_e32 v5, v6, v5
	v_and_b32_e32 v6, 0xffff0000, v7
	v_and_b32_e32 v7, 0xffff0000, v19
	v_cndmask_b32_e32 v8, v37, v38, vcc
	v_add_f32_e32 v6, v6, v7
	v_add_f32_e32 v5, v6, v5
	v_and_b32_e32 v6, 0xffff0000, v8
	v_and_b32_e32 v7, 0xffff0000, v20
	v_add_f32_e32 v6, v6, v7
	v_add_f32_e32 v5, v6, v5
	v_add_f32_e32 v30, v30, v5
	v_and_b32_e32 v5, 0xffff0000, v1
	v_mul_f32_e32 v5, v13, v5
	v_bfe_u32 v6, v5, 16, 1
	v_lshlrev_b32_e32 v1, 16, v1
	v_add3_u32 v6, v6, v5, s21
	v_or_b32_e32 v7, 0x400000, v5
	v_cmp_u_f32_e32 vcc, v5, v5
	v_mul_f32_e32 v1, v9, v1
	v_cndmask_b32_e32 v5, v6, v7, vcc
	v_bfe_u32 v6, v1, 16, 1
	v_add3_u32 v6, v6, v1, s21
	v_or_b32_e32 v7, 0x400000, v1
	v_cmp_u_f32_e32 vcc, v1, v1
	v_cndmask_b32_e32 v1, v6, v7, vcc
	v_and_b32_e32 v6, 0xffff0000, v2
	v_mul_f32_e32 v6, v14, v6
	v_bfe_u32 v7, v6, 16, 1
	v_lshlrev_b32_e32 v2, 16, v2
	v_add3_u32 v7, v7, v6, s21
	v_or_b32_e32 v8, 0x400000, v6
	v_cmp_u_f32_e32 vcc, v6, v6
	v_mul_f32_e32 v2, v10, v2
	v_cndmask_b32_e32 v6, v7, v8, vcc
	v_bfe_u32 v7, v2, 16, 1
	v_add3_u32 v7, v7, v2, s21
	v_or_b32_e32 v8, 0x400000, v2
	v_cmp_u_f32_e32 vcc, v2, v2
	v_cndmask_b32_e32 v2, v7, v8, vcc
	;; [unrolled: 14-line block ×3, first 2 shown]
	v_and_b32_e32 v8, 0xffff0000, v4
	v_mul_f32_e32 v8, v16, v8
	v_bfe_u32 v9, v8, 16, 1
	v_lshlrev_b32_e32 v4, 16, v4
	v_and_b32_e32 v1, 0xffff0000, v1
	v_and_b32_e32 v5, 0xffff0000, v5
	v_add3_u32 v9, v9, v8, s21
	v_or_b32_e32 v10, 0x400000, v8
	v_cmp_u_f32_e32 vcc, v8, v8
	v_mul_f32_e32 v4, v12, v4
	v_add_f32_e32 v1, v1, v5
	v_and_b32_e32 v2, 0xffff0000, v2
	v_and_b32_e32 v5, 0xffff0000, v6
	v_cndmask_b32_e32 v8, v9, v10, vcc
	v_bfe_u32 v9, v4, 16, 1
	v_add_f32_e32 v2, v2, v5
	v_add3_u32 v9, v9, v4, s21
	v_or_b32_e32 v10, 0x400000, v4
	v_cmp_u_f32_e32 vcc, v4, v4
	v_add_f32_e32 v1, v2, v1
	v_and_b32_e32 v2, 0xffff0000, v3
	v_and_b32_e32 v3, 0xffff0000, v7
	v_cndmask_b32_e32 v4, v9, v10, vcc
	v_add_f32_e32 v2, v2, v3
	v_add_f32_e32 v1, v2, v1
	v_and_b32_e32 v2, 0xffff0000, v4
	v_and_b32_e32 v3, 0xffff0000, v8
	v_add_u32_e32 v23, 2, v23
	v_add_f32_e32 v2, v2, v3
	v_cmp_le_i32_e32 vcc, s17, v23
	v_add_f32_e32 v1, v2, v1
	s_or_b64 s[12:13], vcc, s[12:13]
	v_add_co_u32_e32 v21, vcc, 8, v21
	v_add_f32_e32 v28, v28, v1
	v_add_u32_e32 v32, 32, v32
	v_add_u32_e32 v33, 0x80, v33
	v_addc_co_u32_e32 v22, vcc, 0, v22, vcc
	s_andn2_b64 exec, exec, s[12:13]
	s_cbranch_execz .LBB139_42
.LBB139_33:                             ; =>This Inner Loop Header: Depth=1
	global_load_dword v1, v[21:22], off
	s_waitcnt vmcnt(0)
	v_mad_i64_i32 v[1:2], s[2:3], v1, s26, 0
	v_cmp_eq_u32_e64 s[2:3], s25, v23
	v_lshlrev_b64 v[1:2], 1, v[1:2]
	v_add_co_u32_e32 v37, vcc, s24, v1
	v_addc_co_u32_e32 v38, vcc, v34, v2, vcc
	v_add_co_u32_e32 v9, vcc, v37, v35
	v_addc_co_u32_e32 v10, vcc, 0, v38, vcc
	global_load_dwordx4 v[1:4], v[9:10], off
	ds_read2_b64 v[17:20], v33 offset1:1
	ds_read2_b64 v[13:16], v33 offset0:2 offset1:3
	s_and_saveexec_b64 s[14:15], s[2:3]
	s_cbranch_execnz .LBB139_40
; %bb.34:                               ;   in Loop: Header=BB139_33 Depth=1
	s_or_b64 exec, exec, s[14:15]
	global_load_dwordx4 v[5:8], v[9:10], off offset:1024
	s_and_saveexec_b64 s[14:15], s[2:3]
	s_cbranch_execnz .LBB139_41
.LBB139_35:                             ;   in Loop: Header=BB139_33 Depth=1
	s_or_b64 exec, exec, s[14:15]
	global_load_dwordx4 v[9:12], v[9:10], off offset:2048
	s_and_saveexec_b64 s[14:15], s[2:3]
	s_cbranch_execz .LBB139_37
.LBB139_36:                             ;   in Loop: Header=BB139_33 Depth=1
	v_add_u32_e32 v39, 1, v32
	v_cmp_gt_i32_e32 vcc, s27, v39
	s_waitcnt vmcnt(0)
	v_cndmask_b32_sdwa v39, v27, v9, vcc dst_sel:DWORD dst_unused:UNUSED_PAD src0_sel:DWORD src1_sel:WORD_1
	v_cmp_gt_i32_e32 vcc, s33, v32
	v_cndmask_b32_e32 v9, 0, v9, vcc
	v_perm_b32 v9, v39, v9, s20
	v_or_b32_e32 v39, 3, v32
	v_or_b32_e32 v40, 2, v32
	v_cmp_gt_i32_e32 vcc, s27, v39
	v_cmp_gt_i32_e64 s[4:5], s33, v40
	v_cndmask_b32_e64 v39, 0, v10, s[4:5]
	v_cndmask_b32_sdwa v10, v27, v10, vcc dst_sel:DWORD dst_unused:UNUSED_PAD src0_sel:DWORD src1_sel:WORD_1
	v_perm_b32 v10, v10, v39, s20
	v_or_b32_e32 v39, 5, v32
	v_or_b32_e32 v40, 4, v32
	v_cmp_gt_i32_e32 vcc, s27, v39
	v_cmp_gt_i32_e64 s[4:5], s33, v40
	v_cndmask_b32_e64 v39, 0, v11, s[4:5]
	v_cndmask_b32_sdwa v11, v27, v11, vcc dst_sel:DWORD dst_unused:UNUSED_PAD src0_sel:DWORD src1_sel:WORD_1
	;; [unrolled: 7-line block ×3, first 2 shown]
	v_perm_b32 v12, v12, v39, s20
.LBB139_37:                             ;   in Loop: Header=BB139_33 Depth=1
	s_or_b64 exec, exec, s[14:15]
	s_waitcnt lgkmcnt(1)
	v_bfe_u32 v39, v17, 16, 1
	v_add3_u32 v39, v39, v17, s21
	v_or_b32_e32 v40, 0x400000, v17
	v_cmp_u_f32_e32 vcc, v17, v17
	v_cndmask_b32_e32 v17, v39, v40, vcc
	v_bfe_u32 v39, v18, 16, 1
	v_add3_u32 v39, v39, v18, s21
	v_or_b32_e32 v40, 0x400000, v18
	v_cmp_u_f32_e32 vcc, v18, v18
	v_cndmask_b32_e32 v18, v39, v40, vcc
	;; [unrolled: 5-line block ×3, first 2 shown]
	v_bfe_u32 v39, v20, 16, 1
	v_add3_u32 v39, v39, v20, s21
	v_or_b32_e32 v40, 0x400000, v20
	v_cmp_u_f32_e32 vcc, v20, v20
	s_waitcnt lgkmcnt(0)
	v_bfe_u32 v20, v13, 16, 1
	v_cndmask_b32_e32 v39, v39, v40, vcc
	v_add3_u32 v20, v20, v13, s21
	v_or_b32_e32 v40, 0x400000, v13
	v_cmp_u_f32_e32 vcc, v13, v13
	v_cndmask_b32_e32 v13, v20, v40, vcc
	v_bfe_u32 v20, v14, 16, 1
	v_add3_u32 v20, v20, v14, s21
	v_or_b32_e32 v40, 0x400000, v14
	v_cmp_u_f32_e32 vcc, v14, v14
	v_cndmask_b32_e32 v14, v20, v40, vcc
	v_bfe_u32 v20, v15, 16, 1
	;; [unrolled: 5-line block ×3, first 2 shown]
	v_add3_u32 v20, v20, v16, s21
	v_or_b32_e32 v40, 0x400000, v16
	v_cmp_u_f32_e32 vcc, v16, v16
	v_cndmask_b32_e32 v16, v20, v40, vcc
	v_perm_b32 v20, v18, v17, s22
	v_perm_b32 v19, v39, v19, s22
	;; [unrolled: 1-line block ×4, first 2 shown]
	s_and_saveexec_b64 s[4:5], s[0:1]
	s_cbranch_execz .LBB139_32
; %bb.38:                               ;   in Loop: Header=BB139_33 Depth=1
	v_add_co_u32_e32 v13, vcc, v37, v36
	v_addc_co_u32_e32 v14, vcc, 0, v38, vcc
	global_load_dwordx4 v[13:16], v[13:14], off
	s_and_saveexec_b64 s[14:15], s[2:3]
	s_cbranch_execz .LBB139_31
; %bb.39:                               ;   in Loop: Header=BB139_33 Depth=1
	v_add_u32_e32 v37, 1, v32
	v_cmp_gt_i32_e32 vcc, s27, v37
	s_waitcnt vmcnt(0)
	v_cndmask_b32_sdwa v37, v27, v13, vcc dst_sel:DWORD dst_unused:UNUSED_PAD src0_sel:DWORD src1_sel:WORD_1
	v_cmp_gt_i32_e32 vcc, s33, v32
	v_cndmask_b32_e32 v13, 0, v13, vcc
	v_perm_b32 v13, v37, v13, s20
	v_or_b32_e32 v37, 3, v32
	v_or_b32_e32 v38, 2, v32
	v_cmp_gt_i32_e32 vcc, s27, v37
	v_cmp_gt_i32_e64 s[2:3], s33, v38
	v_cndmask_b32_e64 v37, 0, v14, s[2:3]
	v_cndmask_b32_sdwa v14, v27, v14, vcc dst_sel:DWORD dst_unused:UNUSED_PAD src0_sel:DWORD src1_sel:WORD_1
	v_perm_b32 v14, v14, v37, s20
	v_or_b32_e32 v37, 5, v32
	v_or_b32_e32 v38, 4, v32
	v_cmp_gt_i32_e32 vcc, s27, v37
	v_cmp_gt_i32_e64 s[2:3], s33, v38
	v_cndmask_b32_e64 v37, 0, v15, s[2:3]
	v_cndmask_b32_sdwa v15, v27, v15, vcc dst_sel:DWORD dst_unused:UNUSED_PAD src0_sel:DWORD src1_sel:WORD_1
	;; [unrolled: 7-line block ×3, first 2 shown]
	v_perm_b32 v16, v16, v37, s20
	s_branch .LBB139_31
.LBB139_40:                             ;   in Loop: Header=BB139_33 Depth=1
	v_add_u32_e32 v5, 1, v32
	v_cmp_gt_i32_e32 vcc, s27, v5
	s_waitcnt vmcnt(0)
	v_cndmask_b32_sdwa v5, v27, v1, vcc dst_sel:DWORD dst_unused:UNUSED_PAD src0_sel:DWORD src1_sel:WORD_1
	v_cmp_gt_i32_e32 vcc, s33, v32
	v_cndmask_b32_e32 v1, 0, v1, vcc
	v_perm_b32 v1, v5, v1, s20
	v_or_b32_e32 v5, 3, v32
	v_or_b32_e32 v6, 2, v32
	v_cmp_gt_i32_e32 vcc, s27, v5
	v_cmp_gt_i32_e64 s[4:5], s33, v6
	v_cndmask_b32_e64 v5, 0, v2, s[4:5]
	v_cndmask_b32_sdwa v2, v27, v2, vcc dst_sel:DWORD dst_unused:UNUSED_PAD src0_sel:DWORD src1_sel:WORD_1
	v_perm_b32 v2, v2, v5, s20
	v_or_b32_e32 v5, 5, v32
	v_or_b32_e32 v6, 4, v32
	v_cmp_gt_i32_e32 vcc, s27, v5
	v_cmp_gt_i32_e64 s[4:5], s33, v6
	v_cndmask_b32_e64 v5, 0, v3, s[4:5]
	v_cndmask_b32_sdwa v3, v27, v3, vcc dst_sel:DWORD dst_unused:UNUSED_PAD src0_sel:DWORD src1_sel:WORD_1
	;; [unrolled: 7-line block ×3, first 2 shown]
	v_perm_b32 v4, v4, v5, s20
	s_or_b64 exec, exec, s[14:15]
	global_load_dwordx4 v[5:8], v[9:10], off offset:1024
	s_and_saveexec_b64 s[14:15], s[2:3]
	s_cbranch_execz .LBB139_35
.LBB139_41:                             ;   in Loop: Header=BB139_33 Depth=1
	v_add_u32_e32 v11, 1, v32
	v_cmp_gt_i32_e32 vcc, s27, v11
	s_waitcnt vmcnt(0)
	v_cndmask_b32_sdwa v11, v27, v5, vcc dst_sel:DWORD dst_unused:UNUSED_PAD src0_sel:DWORD src1_sel:WORD_1
	v_cmp_gt_i32_e32 vcc, s33, v32
	v_cndmask_b32_e32 v5, 0, v5, vcc
	v_perm_b32 v5, v11, v5, s20
	v_or_b32_e32 v11, 3, v32
	v_or_b32_e32 v12, 2, v32
	v_cmp_gt_i32_e32 vcc, s27, v11
	v_cmp_gt_i32_e64 s[4:5], s33, v12
	v_cndmask_b32_e64 v11, 0, v6, s[4:5]
	v_cndmask_b32_sdwa v6, v27, v6, vcc dst_sel:DWORD dst_unused:UNUSED_PAD src0_sel:DWORD src1_sel:WORD_1
	v_perm_b32 v6, v6, v11, s20
	v_or_b32_e32 v11, 5, v32
	v_or_b32_e32 v12, 4, v32
	v_cmp_gt_i32_e32 vcc, s27, v11
	v_cmp_gt_i32_e64 s[4:5], s33, v12
	v_cndmask_b32_e64 v11, 0, v7, s[4:5]
	v_cndmask_b32_sdwa v7, v27, v7, vcc dst_sel:DWORD dst_unused:UNUSED_PAD src0_sel:DWORD src1_sel:WORD_1
	;; [unrolled: 7-line block ×3, first 2 shown]
	v_perm_b32 v8, v8, v11, s20
	s_or_b64 exec, exec, s[14:15]
	global_load_dwordx4 v[9:12], v[9:10], off offset:2048
	s_and_saveexec_b64 s[14:15], s[2:3]
	s_cbranch_execnz .LBB139_36
	s_branch .LBB139_37
.LBB139_42:
	s_or_b64 exec, exec, s[12:13]
.LBB139_43:
	s_or_b64 exec, exec, s[6:7]
	ds_bpermute_b32 v2, v24, v30
	ds_bpermute_b32 v5, v24, v29
	;; [unrolled: 1-line block ×4, first 2 shown]
	v_cmp_eq_u32_e32 vcc, 0, v26
	s_waitcnt lgkmcnt(3)
	v_add_f32_e32 v3, v30, v2
	s_waitcnt lgkmcnt(2)
	v_add_f32_e32 v2, v29, v5
	v_and_b32_e32 v5, 0x3c0, v0
	s_waitcnt lgkmcnt(1)
	v_add_f32_e32 v4, v28, v1
	s_waitcnt lgkmcnt(0)
	v_add_f32_e32 v1, v31, v6
	v_cmp_eq_u32_e64 s[0:1], 64, v5
	s_barrier
	s_and_saveexec_b64 s[2:3], s[0:1]
	s_cbranch_execz .LBB139_48
; %bb.44:
	s_and_saveexec_b64 s[0:1], vcc
	s_cbranch_execz .LBB139_46
; %bb.45:
	v_mov_b32_e32 v5, 0xf0
	v_lshl_add_u32 v5, v25, 2, v5
	ds_write2_b32 v5, v4, v3 offset1:32
	ds_write_b32 v5, v2 offset:256
.LBB139_46:
	s_or_b64 exec, exec, s[0:1]
	v_or_b32_e32 v5, 0x60, v25
	s_movk_i32 s0, 0x70
	v_cmp_gt_u32_e64 s[0:1], s0, v5
	s_and_b64 s[0:1], vcc, s[0:1]
	s_and_b64 exec, exec, s[0:1]
; %bb.47:
	v_mov_b32_e32 v5, 0xf0
	v_lshl_add_u32 v5, v25, 2, v5
	ds_write_b32 v5, v1 offset:384
.LBB139_48:
	s_or_b64 exec, exec, s[2:3]
	v_cmp_gt_u32_e64 s[0:1], 64, v0
	v_lshrrev_b32_e32 v0, 1, v0
	s_waitcnt lgkmcnt(0)
	s_barrier
	s_and_saveexec_b64 s[4:5], s[0:1]
	s_cbranch_execz .LBB139_58
; %bb.49:
	s_and_saveexec_b64 s[2:3], vcc
	s_cbranch_execz .LBB139_51
; %bb.50:
	v_mov_b32_e32 v5, 0xf0
	v_lshl_add_u32 v5, v0, 2, v5
	ds_read_b32 v5, v5
	s_waitcnt lgkmcnt(0)
	v_add_f32_e32 v4, v4, v5
.LBB139_51:
	s_or_b64 exec, exec, s[2:3]
	v_or_b32_e32 v5, 32, v0
	s_movk_i32 s6, 0x70
	v_cmp_gt_u32_e64 s[2:3], s6, v5
	s_and_b64 s[12:13], vcc, s[2:3]
	s_and_saveexec_b64 s[2:3], s[12:13]
	s_cbranch_execz .LBB139_53
; %bb.52:
	v_mov_b32_e32 v5, 0xf0
	v_lshl_add_u32 v5, v0, 2, v5
	ds_read_b32 v5, v5 offset:128
	s_waitcnt lgkmcnt(0)
	v_add_f32_e32 v3, v3, v5
.LBB139_53:
	s_or_b64 exec, exec, s[2:3]
	v_or_b32_e32 v5, 64, v0
	v_cmp_gt_u32_e64 s[2:3], s6, v5
	s_and_b64 s[6:7], vcc, s[2:3]
	s_and_saveexec_b64 s[2:3], s[6:7]
	s_cbranch_execz .LBB139_55
; %bb.54:
	v_mov_b32_e32 v5, 0xf0
	v_lshl_add_u32 v5, v0, 2, v5
	ds_read_b32 v5, v5 offset:256
	s_waitcnt lgkmcnt(0)
	v_add_f32_e32 v2, v2, v5
.LBB139_55:
	s_or_b64 exec, exec, s[2:3]
	v_or_b32_e32 v5, 0x60, v0
	s_movk_i32 s2, 0x70
	v_cmp_gt_u32_e64 s[2:3], s2, v5
	s_and_b64 s[6:7], vcc, s[2:3]
	s_and_saveexec_b64 s[2:3], s[6:7]
	s_cbranch_execz .LBB139_57
; %bb.56:
	v_mov_b32_e32 v5, 0xf0
	v_lshl_add_u32 v5, v0, 2, v5
	ds_read_b32 v5, v5 offset:384
	s_waitcnt lgkmcnt(0)
	v_add_f32_e32 v1, v1, v5
.LBB139_57:
	s_or_b64 exec, exec, s[2:3]
.LBB139_58:
	s_or_b64 exec, exec, s[4:5]
	s_barrier
	s_and_saveexec_b64 s[2:3], s[0:1]
	s_cbranch_execz .LBB139_67
; %bb.59:
	s_mul_i32 s0, s10, s11
	s_mul_i32 s0, s0, s9
	s_mulk_i32 s0, 0x70
	s_ashr_i32 s1, s0, 31
	s_lshl_b64 s[0:1], s[0:1], 1
	s_add_u32 s2, s18, s0
	s_mul_i32 s0, s11, s16
	s_addc_u32 s3, s19, s1
	s_ashr_i32 s1, s0, 31
	s_lshl_b64 s[0:1], s[0:1], 1
	s_add_u32 s2, s2, s0
	s_mul_i32 s0, s8, 0x70
	s_addc_u32 s3, s3, s1
	s_ashr_i32 s1, s0, 31
	s_lshl_b64 s[0:1], s[0:1], 1
	s_add_u32 s2, s2, s0
	s_movk_i32 s6, 0x70
	s_addc_u32 s3, s3, s1
	v_lshlrev_b32_e32 v5, 1, v0
	s_and_saveexec_b64 s[4:5], vcc
	s_cbranch_execz .LBB139_61
; %bb.60:
	v_bfe_u32 v6, v4, 16, 1
	s_movk_i32 s0, 0x7fff
	v_add3_u32 v6, v6, v4, s0
	v_or_b32_e32 v7, 0x400000, v4
	v_cmp_u_f32_e64 s[0:1], v4, v4
	v_cndmask_b32_e64 v4, v6, v7, s[0:1]
	global_store_short_d16_hi v5, v4, s[2:3]
.LBB139_61:
	s_or_b64 exec, exec, s[4:5]
	v_or_b32_e32 v4, 32, v0
	v_cmp_gt_u32_e64 s[0:1], s6, v4
	s_and_b64 s[0:1], vcc, s[0:1]
	s_and_saveexec_b64 s[4:5], s[0:1]
	s_cbranch_execz .LBB139_63
; %bb.62:
	v_bfe_u32 v4, v3, 16, 1
	s_movk_i32 s0, 0x7fff
	v_add3_u32 v4, v4, v3, s0
	v_or_b32_e32 v6, 0x400000, v3
	v_cmp_u_f32_e64 s[0:1], v3, v3
	v_cndmask_b32_e64 v3, v4, v6, s[0:1]
	global_store_short_d16_hi v5, v3, s[2:3] offset:64
.LBB139_63:
	s_or_b64 exec, exec, s[4:5]
	v_or_b32_e32 v3, 64, v0
	v_cmp_gt_u32_e64 s[0:1], s6, v3
	s_and_b64 s[0:1], vcc, s[0:1]
	s_and_saveexec_b64 s[4:5], s[0:1]
	s_cbranch_execz .LBB139_65
; %bb.64:
	v_bfe_u32 v3, v2, 16, 1
	s_movk_i32 s0, 0x7fff
	v_add3_u32 v3, v3, v2, s0
	v_or_b32_e32 v4, 0x400000, v2
	v_cmp_u_f32_e64 s[0:1], v2, v2
	v_cndmask_b32_e64 v2, v3, v4, s[0:1]
	global_store_short_d16_hi v5, v2, s[2:3] offset:128
.LBB139_65:
	s_or_b64 exec, exec, s[4:5]
	v_or_b32_e32 v0, 0x60, v0
	v_cmp_gt_u32_e64 s[0:1], s6, v0
	s_and_b64 s[0:1], vcc, s[0:1]
	s_and_b64 exec, exec, s[0:1]
	s_cbranch_execz .LBB139_67
; %bb.66:
	v_bfe_u32 v0, v1, 16, 1
	s_movk_i32 s0, 0x7fff
	v_add3_u32 v0, v0, v1, s0
	v_or_b32_e32 v2, 0x400000, v1
	v_cmp_u_f32_e32 vcc, v1, v1
	v_cndmask_b32_e32 v0, v0, v2, vcc
	global_store_short_d16_hi v5, v0, s[2:3] offset:192
.LBB139_67:
	s_endpgm
	.section	.rodata,"a",@progbits
	.p2align	6, 0x0
	.amdhsa_kernel _ZN4vllm25paged_attention_v1_kernelI14__hip_bfloat16S1_Li112ELi16ELi128ELNS_18Fp8KVCacheDataTypeE0ELb0EEEvPT_PKS3_PKT0_S9_ifPKiSB_iPKfiiiSD_SD_iiiii
		.amdhsa_group_segment_fixed_size 240
		.amdhsa_private_segment_fixed_size 0
		.amdhsa_kernarg_size 384
		.amdhsa_user_sgpr_count 6
		.amdhsa_user_sgpr_private_segment_buffer 1
		.amdhsa_user_sgpr_dispatch_ptr 0
		.amdhsa_user_sgpr_queue_ptr 0
		.amdhsa_user_sgpr_kernarg_segment_ptr 1
		.amdhsa_user_sgpr_dispatch_id 0
		.amdhsa_user_sgpr_flat_scratch_init 0
		.amdhsa_user_sgpr_private_segment_size 0
		.amdhsa_uses_dynamic_stack 0
		.amdhsa_system_sgpr_private_segment_wavefront_offset 0
		.amdhsa_system_sgpr_workgroup_id_x 1
		.amdhsa_system_sgpr_workgroup_id_y 1
		.amdhsa_system_sgpr_workgroup_id_z 1
		.amdhsa_system_sgpr_workgroup_info 0
		.amdhsa_system_vgpr_workitem_id 0
		.amdhsa_next_free_vgpr 60
		.amdhsa_next_free_sgpr 34
		.amdhsa_reserve_vcc 1
		.amdhsa_reserve_flat_scratch 0
		.amdhsa_float_round_mode_32 0
		.amdhsa_float_round_mode_16_64 0
		.amdhsa_float_denorm_mode_32 3
		.amdhsa_float_denorm_mode_16_64 3
		.amdhsa_dx10_clamp 1
		.amdhsa_ieee_mode 1
		.amdhsa_fp16_overflow 0
		.amdhsa_exception_fp_ieee_invalid_op 0
		.amdhsa_exception_fp_denorm_src 0
		.amdhsa_exception_fp_ieee_div_zero 0
		.amdhsa_exception_fp_ieee_overflow 0
		.amdhsa_exception_fp_ieee_underflow 0
		.amdhsa_exception_fp_ieee_inexact 0
		.amdhsa_exception_int_div_zero 0
	.end_amdhsa_kernel
	.section	.text._ZN4vllm25paged_attention_v1_kernelI14__hip_bfloat16S1_Li112ELi16ELi128ELNS_18Fp8KVCacheDataTypeE0ELb0EEEvPT_PKS3_PKT0_S9_ifPKiSB_iPKfiiiSD_SD_iiiii,"axG",@progbits,_ZN4vllm25paged_attention_v1_kernelI14__hip_bfloat16S1_Li112ELi16ELi128ELNS_18Fp8KVCacheDataTypeE0ELb0EEEvPT_PKS3_PKT0_S9_ifPKiSB_iPKfiiiSD_SD_iiiii,comdat
.Lfunc_end139:
	.size	_ZN4vllm25paged_attention_v1_kernelI14__hip_bfloat16S1_Li112ELi16ELi128ELNS_18Fp8KVCacheDataTypeE0ELb0EEEvPT_PKS3_PKT0_S9_ifPKiSB_iPKfiiiSD_SD_iiiii, .Lfunc_end139-_ZN4vllm25paged_attention_v1_kernelI14__hip_bfloat16S1_Li112ELi16ELi128ELNS_18Fp8KVCacheDataTypeE0ELb0EEEvPT_PKS3_PKT0_S9_ifPKiSB_iPKfiiiSD_SD_iiiii
                                        ; -- End function
	.set _ZN4vllm25paged_attention_v1_kernelI14__hip_bfloat16S1_Li112ELi16ELi128ELNS_18Fp8KVCacheDataTypeE0ELb0EEEvPT_PKS3_PKT0_S9_ifPKiSB_iPKfiiiSD_SD_iiiii.num_vgpr, 60
	.set _ZN4vllm25paged_attention_v1_kernelI14__hip_bfloat16S1_Li112ELi16ELi128ELNS_18Fp8KVCacheDataTypeE0ELb0EEEvPT_PKS3_PKT0_S9_ifPKiSB_iPKfiiiSD_SD_iiiii.num_agpr, 0
	.set _ZN4vllm25paged_attention_v1_kernelI14__hip_bfloat16S1_Li112ELi16ELi128ELNS_18Fp8KVCacheDataTypeE0ELb0EEEvPT_PKS3_PKT0_S9_ifPKiSB_iPKfiiiSD_SD_iiiii.numbered_sgpr, 34
	.set _ZN4vllm25paged_attention_v1_kernelI14__hip_bfloat16S1_Li112ELi16ELi128ELNS_18Fp8KVCacheDataTypeE0ELb0EEEvPT_PKS3_PKT0_S9_ifPKiSB_iPKfiiiSD_SD_iiiii.num_named_barrier, 0
	.set _ZN4vllm25paged_attention_v1_kernelI14__hip_bfloat16S1_Li112ELi16ELi128ELNS_18Fp8KVCacheDataTypeE0ELb0EEEvPT_PKS3_PKT0_S9_ifPKiSB_iPKfiiiSD_SD_iiiii.private_seg_size, 0
	.set _ZN4vllm25paged_attention_v1_kernelI14__hip_bfloat16S1_Li112ELi16ELi128ELNS_18Fp8KVCacheDataTypeE0ELb0EEEvPT_PKS3_PKT0_S9_ifPKiSB_iPKfiiiSD_SD_iiiii.uses_vcc, 1
	.set _ZN4vllm25paged_attention_v1_kernelI14__hip_bfloat16S1_Li112ELi16ELi128ELNS_18Fp8KVCacheDataTypeE0ELb0EEEvPT_PKS3_PKT0_S9_ifPKiSB_iPKfiiiSD_SD_iiiii.uses_flat_scratch, 0
	.set _ZN4vllm25paged_attention_v1_kernelI14__hip_bfloat16S1_Li112ELi16ELi128ELNS_18Fp8KVCacheDataTypeE0ELb0EEEvPT_PKS3_PKT0_S9_ifPKiSB_iPKfiiiSD_SD_iiiii.has_dyn_sized_stack, 0
	.set _ZN4vllm25paged_attention_v1_kernelI14__hip_bfloat16S1_Li112ELi16ELi128ELNS_18Fp8KVCacheDataTypeE0ELb0EEEvPT_PKS3_PKT0_S9_ifPKiSB_iPKfiiiSD_SD_iiiii.has_recursion, 0
	.set _ZN4vllm25paged_attention_v1_kernelI14__hip_bfloat16S1_Li112ELi16ELi128ELNS_18Fp8KVCacheDataTypeE0ELb0EEEvPT_PKS3_PKT0_S9_ifPKiSB_iPKfiiiSD_SD_iiiii.has_indirect_call, 0
	.section	.AMDGPU.csdata,"",@progbits
; Kernel info:
; codeLenInByte = 6692
; TotalNumSgprs: 38
; NumVgprs: 60
; ScratchSize: 0
; MemoryBound: 0
; FloatMode: 240
; IeeeMode: 1
; LDSByteSize: 240 bytes/workgroup (compile time only)
; SGPRBlocks: 4
; VGPRBlocks: 14
; NumSGPRsForWavesPerEU: 38
; NumVGPRsForWavesPerEU: 60
; Occupancy: 4
; WaveLimiterHint : 1
; COMPUTE_PGM_RSRC2:SCRATCH_EN: 0
; COMPUTE_PGM_RSRC2:USER_SGPR: 6
; COMPUTE_PGM_RSRC2:TRAP_HANDLER: 0
; COMPUTE_PGM_RSRC2:TGID_X_EN: 1
; COMPUTE_PGM_RSRC2:TGID_Y_EN: 1
; COMPUTE_PGM_RSRC2:TGID_Z_EN: 1
; COMPUTE_PGM_RSRC2:TIDIG_COMP_CNT: 0
	.section	.text._ZN4vllm25paged_attention_v1_kernelI14__hip_bfloat16S1_Li120ELi16ELi128ELNS_18Fp8KVCacheDataTypeE0ELb0EEEvPT_PKS3_PKT0_S9_ifPKiSB_iPKfiiiSD_SD_iiiii,"axG",@progbits,_ZN4vllm25paged_attention_v1_kernelI14__hip_bfloat16S1_Li120ELi16ELi128ELNS_18Fp8KVCacheDataTypeE0ELb0EEEvPT_PKS3_PKT0_S9_ifPKiSB_iPKfiiiSD_SD_iiiii,comdat
	.protected	_ZN4vllm25paged_attention_v1_kernelI14__hip_bfloat16S1_Li120ELi16ELi128ELNS_18Fp8KVCacheDataTypeE0ELb0EEEvPT_PKS3_PKT0_S9_ifPKiSB_iPKfiiiSD_SD_iiiii ; -- Begin function _ZN4vllm25paged_attention_v1_kernelI14__hip_bfloat16S1_Li120ELi16ELi128ELNS_18Fp8KVCacheDataTypeE0ELb0EEEvPT_PKS3_PKT0_S9_ifPKiSB_iPKfiiiSD_SD_iiiii
	.globl	_ZN4vllm25paged_attention_v1_kernelI14__hip_bfloat16S1_Li120ELi16ELi128ELNS_18Fp8KVCacheDataTypeE0ELb0EEEvPT_PKS3_PKT0_S9_ifPKiSB_iPKfiiiSD_SD_iiiii
	.p2align	8
	.type	_ZN4vllm25paged_attention_v1_kernelI14__hip_bfloat16S1_Li120ELi16ELi128ELNS_18Fp8KVCacheDataTypeE0ELb0EEEvPT_PKS3_PKT0_S9_ifPKiSB_iPKfiiiSD_SD_iiiii,@function
_ZN4vllm25paged_attention_v1_kernelI14__hip_bfloat16S1_Li120ELi16ELi128ELNS_18Fp8KVCacheDataTypeE0ELb0EEEvPT_PKS3_PKT0_S9_ifPKiSB_iPKfiiiSD_SD_iiiii: ; @_ZN4vllm25paged_attention_v1_kernelI14__hip_bfloat16S1_Li120ELi16ELi128ELNS_18Fp8KVCacheDataTypeE0ELb0EEEvPT_PKS3_PKT0_S9_ifPKiSB_iPKfiiiSD_SD_iiiii
; %bb.0:
	s_load_dword s9, s[4:5], 0x80
	s_load_dwordx2 s[0:1], s[4:5], 0x30
	s_load_dwordx2 s[26:27], s[4:5], 0x20
	s_mov_b32 s10, s7
	s_ashr_i32 s11, s7, 31
	s_lshl_b64 s[2:3], s[10:11], 2
	s_waitcnt lgkmcnt(0)
	s_add_u32 s0, s0, s2
	s_addc_u32 s1, s1, s3
	s_abs_i32 s2, s26
	v_cvt_f32_u32_e32 v1, s2
	s_sub_i32 s11, 0, s2
	s_abs_i32 s7, s9
	s_xor_b32 s3, s9, s26
	v_rcp_iflag_f32_e32 v1, v1
	s_ashr_i32 s3, s3, 31
	s_mov_b32 s26, 0
	v_mul_f32_e32 v1, 0x4f7ffffe, v1
	v_cvt_u32_f32_e32 v1, v1
	v_readfirstlane_b32 s12, v1
	s_mul_i32 s11, s11, s12
	s_mul_hi_u32 s11, s12, s11
	s_add_i32 s12, s12, s11
	s_mul_hi_u32 s11, s7, s12
	s_mul_i32 s12, s11, s2
	s_sub_i32 s7, s7, s12
	s_add_i32 s12, s11, 1
	s_sub_i32 s13, s7, s2
	s_cmp_ge_u32 s7, s2
	s_cselect_b32 s11, s12, s11
	s_cselect_b32 s7, s13, s7
	s_add_i32 s12, s11, 1
	s_cmp_ge_u32 s7, s2
	s_cselect_b32 s2, s12, s11
	s_xor_b32 s2, s2, s3
	s_sub_i32 s12, s2, s3
	s_abs_i32 s11, s12
	v_cvt_f32_u32_e32 v1, s11
	s_load_dwordx2 s[2:3], s[4:5], 0x40
	s_sub_i32 s7, 0, s11
	s_abs_i32 s18, s6
	v_rcp_iflag_f32_e32 v1, v1
	v_mul_f32_e32 v1, 0x4f7ffffe, v1
	v_cvt_u32_f32_e32 v1, v1
	v_readfirstlane_b32 s13, v1
	s_mul_i32 s7, s7, s13
	s_mul_hi_u32 s7, s13, s7
	s_add_i32 s13, s13, s7
	s_waitcnt lgkmcnt(0)
	s_cmp_eq_u64 s[2:3], 0
	s_mul_hi_u32 s19, s18, s13
	s_cbranch_scc1 .LBB140_2
; %bb.1:
	s_ashr_i32 s7, s6, 31
	s_lshl_b64 s[14:15], s[6:7], 2
	s_add_u32 s2, s2, s14
	s_addc_u32 s3, s3, s15
	s_load_dword s26, s[2:3], 0x0
.LBB140_2:
	s_load_dword s33, s[0:1], 0x0
	s_ashr_i32 s3, s12, 31
	s_load_dwordx4 s[12:15], s[4:5], 0x48
	s_ashr_i32 s2, s6, 31
	v_and_b32_e32 v1, 3, v0
	s_mul_i32 s16, s6, 0x78
	v_cmp_gt_u32_e32 vcc, 60, v0
	v_lshlrev_b32_e32 v2, 2, v0
	s_and_saveexec_b64 s[0:1], vcc
	s_cbranch_execz .LBB140_4
; %bb.3:
	s_load_dwordx2 s[6:7], s[4:5], 0x8
	s_waitcnt lgkmcnt(0)
	s_mul_i32 s20, s12, s10
	s_ashr_i32 s21, s20, 31
	s_lshl_b64 s[20:21], s[20:21], 1
	v_and_b32_e32 v4, 0x3fc, v0
	s_add_u32 s12, s6, s20
	s_addc_u32 s15, s7, s21
	s_ashr_i32 s17, s16, 31
	s_lshl_b64 s[6:7], s[16:17], 1
	s_add_u32 s6, s12, s6
	s_addc_u32 s7, s15, s7
	global_load_dword v3, v2, s[6:7]
	v_mad_u32_u24 v4, v1, 60, v4
	s_waitcnt vmcnt(0)
	ds_write_b32 v4, v3
.LBB140_4:
	s_or_b64 exec, exec, s[0:1]
	s_waitcnt lgkmcnt(0)
	s_add_i32 s1, s33, 15
	s_ashr_i32 s6, s1, 31
	s_lshr_b32 s6, s6, 28
	s_add_i32 s1, s1, s6
	s_ashr_i32 s17, s1, 4
	s_xor_b32 s1, s2, s3
	s_mul_i32 s2, s19, s11
	s_sub_i32 s2, s18, s2
	s_add_i32 s3, s19, 1
	s_sub_i32 s6, s2, s11
	s_load_dwordx2 s[20:21], s[4:5], 0x28
	s_load_dword s0, s[4:5], 0x38
	s_cmp_ge_u32 s2, s11
	s_cselect_b32 s3, s3, s19
	s_cselect_b32 s2, s6, s2
	s_add_i32 s6, s3, 1
	s_cmp_ge_u32 s2, s11
	s_cselect_b32 s2, s6, s3
	v_lshrrev_b32_e32 v23, 6, v0
	s_xor_b32 s2, s2, s1
	s_waitcnt lgkmcnt(0)
	s_mul_i32 s22, s0, s10
	s_sub_i32 s12, s2, s1
	s_ashr_i32 s23, s22, 31
	v_cmp_le_i32_e64 s[0:1], s17, v23
	v_mbcnt_lo_u32_b32 v41, -1, 0
	s_barrier
                                        ; implicit-def: $vgpr4
                                        ; implicit-def: $vgpr6
                                        ; implicit-def: $vgpr5
	s_and_saveexec_b64 s[2:3], s[0:1]
	s_xor_b64 s[2:3], exec, s[2:3]
; %bb.5:
	v_mbcnt_hi_u32_b32 v4, -1, v41
	v_and_b32_e32 v6, 64, v4
	v_add_u32_e32 v5, 64, v6
                                        ; implicit-def: $vgpr2
                                        ; implicit-def: $vgpr1
                                        ; implicit-def: $vgpr41
; %bb.6:
	s_or_saveexec_b64 s[6:7], s[2:3]
	s_load_dwordx2 s[18:19], s[4:5], 0x0
	s_load_dwordx2 s[24:25], s[4:5], 0x18
	s_load_dword s11, s[4:5], 0x88
	v_mov_b32_e32 v36, 0xff7fffff
	s_mul_i32 s14, s12, s14
	v_lshrrev_b32_e32 v3, 4, v0
	s_xor_b64 exec, exec, s[6:7]
	s_cbranch_execz .LBB140_12
; %bb.7:
	s_load_dwordx2 s[2:3], s[4:5], 0x10
	s_ashr_i32 s15, s14, 31
	s_lshl_b64 s[4:5], s[14:15], 1
	v_bfe_u32 v36, v0, 2, 4
	v_lshlrev_b32_e32 v4, 4, v36
	s_waitcnt lgkmcnt(0)
	s_add_u32 s2, s2, s4
	s_addc_u32 s3, s3, s5
	v_mov_b32_e32 v5, s3
	v_add_co_u32_e32 v6, vcc, s2, v4
	v_mul_u32_u24_e32 v24, 60, v1
	v_addc_co_u32_e32 v38, vcc, 0, v5, vcc
	ds_read2_b32 v[4:5], v24 offset1:1
	ds_read2_b32 v[13:14], v24 offset0:2 offset1:3
	ds_read2_b32 v[17:18], v24 offset0:4 offset1:5
	;; [unrolled: 1-line block ×3, first 2 shown]
	s_sub_i32 s12, 1, s33
	s_lshl_b64 s[2:3], s[22:23], 2
	s_add_u32 s2, s20, s2
	s_waitcnt lgkmcnt(3)
	v_lshlrev_b32_e32 v7, 16, v4
	v_and_b32_e32 v8, 0xffff0000, v4
	v_lshlrev_b32_e32 v9, 16, v5
	v_and_b32_e32 v10, 0xffff0000, v5
	ds_read2_b32 v[4:5], v24 offset0:8 offset1:9
	v_cmp_eq_u32_e32 vcc, 0, v1
	s_addc_u32 s3, s21, s3
	v_and_b32_e32 v1, 60, v3
	v_and_b32_e32 v37, 12, v2
	v_mov_b32_e32 v2, s3
	v_add_co_u32_e64 v1, s[2:3], s2, v1
	ds_read_b32 v40, v24 offset:56
	ds_read2_b32 v[30:31], v24 offset0:10 offset1:11
	ds_read2_b32 v[34:35], v24 offset0:12 offset1:13
	s_waitcnt lgkmcnt(3)
	v_lshlrev_b32_e32 v24, 16, v4
	v_and_b32_e32 v25, 0xffff0000, v4
	v_addc_co_u32_e64 v2, s[2:3], 0, v2, s[2:3]
	v_mbcnt_hi_u32_b32 v4, -1, v41
	v_add_co_u32_e64 v37, s[2:3], v6, v37
	v_and_b32_e32 v6, 64, v4
	v_lshlrev_b32_e32 v26, 16, v5
	v_and_b32_e32 v27, 0xffff0000, v5
	v_addc_co_u32_e64 v38, s[2:3], 0, v38, s[2:3]
	v_add_u32_e32 v5, 64, v6
	v_xor_b32_e32 v41, 2, v4
	v_cmp_lt_i32_e64 s[2:3], v41, v5
	v_xor_b32_e32 v42, 1, v4
	v_cndmask_b32_e64 v41, v4, v41, s[2:3]
	v_cmp_lt_i32_e64 s[2:3], v42, v5
	v_lshl_or_b32 v43, v23, 4, v36
	v_lshlrev_b32_e32 v36, 2, v36
	v_cndmask_b32_e64 v42, v4, v42, s[2:3]
	v_lshl_or_b32 v36, v23, 6, v36
	v_lshlrev_b32_e32 v11, 16, v13
	v_and_b32_e32 v12, 0xffff0000, v13
	v_lshlrev_b32_e32 v13, 16, v14
	v_and_b32_e32 v14, 0xffff0000, v14
	;; [unrolled: 2-line block ×6, first 2 shown]
	s_waitcnt lgkmcnt(1)
	v_lshlrev_b32_e32 v28, 16, v30
	v_and_b32_e32 v29, 0xffff0000, v30
	v_lshlrev_b32_e32 v30, 16, v31
	v_and_b32_e32 v31, 0xffff0000, v31
	s_waitcnt lgkmcnt(0)
	v_lshlrev_b32_e32 v32, 16, v34
	v_and_b32_e32 v33, 0xffff0000, v34
	v_lshlrev_b32_e32 v34, 16, v35
	v_and_b32_e32 v35, 0xffff0000, v35
	s_mov_b32 s15, s13
	v_lshlrev_b32_e32 v39, 16, v40
	v_and_b32_e32 v40, 0xffff0000, v40
	v_lshlrev_b32_e32 v41, 2, v41
	v_lshlrev_b32_e32 v42, 2, v42
	v_cmp_neq_f32_e64 s[2:3], s26, 0
	v_add_u32_e32 v44, 0x100, v36
	s_mov_b64 s[28:29], 0
	v_mov_b32_e32 v36, 0xff7fffff
	v_mov_b32_e32 v45, v23
	s_branch .LBB140_9
.LBB140_8:                              ;   in Loop: Header=BB140_9 Depth=1
	s_or_b64 exec, exec, s[30:31]
	v_add_u32_e32 v45, 2, v45
	v_cmp_le_i32_e64 s[4:5], s17, v45
	s_or_b64 s[28:29], s[4:5], s[28:29]
	v_add_co_u32_e64 v1, s[4:5], 8, v1
	v_add_u32_e32 v43, 32, v43
	v_add_u32_e32 v44, 0x80, v44
	v_addc_co_u32_e64 v2, s[4:5], 0, v2, s[4:5]
	s_andn2_b64 exec, exec, s[28:29]
	s_cbranch_execz .LBB140_11
.LBB140_9:                              ; =>This Inner Loop Header: Depth=1
	global_load_dword v46, v[1:2], off
	s_waitcnt vmcnt(0) lgkmcnt(0)
	v_mad_i64_i32 v[46:47], s[4:5], v46, s15, 0
	v_lshlrev_b64 v[46:47], 1, v[46:47]
	v_add_co_u32_e64 v46, s[4:5], v37, v46
	v_addc_co_u32_e64 v47, s[4:5], v38, v47, s[4:5]
	global_load_dword v51, v[46:47], off offset:256
	global_load_dword v52, v[46:47], off
	global_load_dword v53, v[46:47], off offset:512
	global_load_dword v54, v[46:47], off offset:768
	;; [unrolled: 1-line block ×13, first 2 shown]
	s_waitcnt vmcnt(14)
	v_lshlrev_b32_e32 v46, 16, v51
	v_mul_f32_e32 v46, v9, v46
	s_waitcnt vmcnt(13)
	v_lshlrev_b32_e32 v47, 16, v52
	v_fmac_f32_e32 v46, v7, v47
	v_and_b32_e32 v47, 0xffff0000, v51
	v_and_b32_e32 v52, 0xffff0000, v52
	v_mul_f32_e32 v47, v10, v47
	s_waitcnt vmcnt(12)
	v_lshlrev_b32_e32 v51, 16, v53
	v_fmac_f32_e32 v47, v8, v52
	v_fmac_f32_e32 v46, v11, v51
	v_and_b32_e32 v51, 0xffff0000, v53
	v_fmac_f32_e32 v47, v12, v51
	s_waitcnt vmcnt(11)
	v_lshlrev_b32_e32 v51, 16, v54
	v_fmac_f32_e32 v46, v13, v51
	v_and_b32_e32 v51, 0xffff0000, v54
	v_fmac_f32_e32 v47, v14, v51
	s_waitcnt vmcnt(10)
	v_lshlrev_b32_e32 v51, 16, v55
	;; [unrolled: 5-line block ×10, first 2 shown]
	v_and_b32_e32 v50, 0xffff0000, v50
	v_fmac_f32_e32 v46, v32, v51
	v_fmac_f32_e32 v47, v33, v50
	s_waitcnt vmcnt(1)
	v_lshlrev_b32_e32 v50, 16, v49
	v_and_b32_e32 v49, 0xffff0000, v49
	v_fmac_f32_e32 v46, v34, v50
	v_fmac_f32_e32 v47, v35, v49
	s_waitcnt vmcnt(0)
	v_lshlrev_b32_e32 v49, 16, v48
	v_and_b32_e32 v48, 0xffff0000, v48
	v_fmac_f32_e32 v46, v39, v49
	v_fmac_f32_e32 v47, v40, v48
	v_add_f32_e32 v46, v46, v47
	ds_bpermute_b32 v47, v41, v46
	s_waitcnt lgkmcnt(0)
	v_add_f32_e32 v46, v46, v47
	ds_bpermute_b32 v47, v42, v46
	s_and_saveexec_b64 s[30:31], vcc
	s_cbranch_execz .LBB140_8
; %bb.10:                               ;   in Loop: Header=BB140_9 Depth=1
	v_add_u32_e32 v48, s12, v43
	v_cvt_f32_i32_e32 v48, v48
	s_waitcnt lgkmcnt(0)
	v_add_f32_e32 v46, v46, v47
	v_cmp_gt_i32_e64 s[4:5], s33, v43
	v_max_f32_e32 v47, v36, v36
	v_mul_f32_e32 v48, s26, v48
	v_cndmask_b32_e64 v48, 0, v48, s[2:3]
	v_fmac_f32_e32 v48, s27, v46
	v_cndmask_b32_e64 v46, 0, v48, s[4:5]
	ds_write_b32 v44, v46
	v_max_f32_e32 v46, v47, v48
	v_cndmask_b32_e64 v36, v36, v46, s[4:5]
	s_branch .LBB140_8
.LBB140_11:
	s_or_b64 exec, exec, s[28:29]
.LBB140_12:
	s_or_b64 exec, exec, s[6:7]
	v_xor_b32_e32 v1, 32, v4
	v_cmp_lt_i32_e32 vcc, v1, v5
	v_cndmask_b32_e32 v1, v4, v1, vcc
	v_lshlrev_b32_e32 v2, 2, v1
	ds_bpermute_b32 v1, v2, v36
	v_xor_b32_e32 v8, 16, v4
	v_max_f32_e32 v7, v36, v36
	v_cmp_lt_i32_e32 vcc, v8, v5
	v_xor_b32_e32 v9, 8, v4
	s_waitcnt lgkmcnt(0)
	v_max_f32_e32 v1, v1, v1
	v_max_f32_e32 v1, v7, v1
	v_cndmask_b32_e32 v7, v4, v8, vcc
	v_lshlrev_b32_e32 v7, 2, v7
	ds_bpermute_b32 v8, v7, v1
	v_cmp_lt_i32_e32 vcc, v9, v5
	v_xor_b32_e32 v11, 4, v4
	s_waitcnt lgkmcnt(0)
	v_max_f32_e32 v8, v8, v8
	v_max_f32_e32 v1, v1, v8
	v_cndmask_b32_e32 v8, v4, v9, vcc
	v_lshlrev_b32_e32 v10, 2, v8
	ds_bpermute_b32 v8, v10, v1
	v_cmp_lt_i32_e32 vcc, v11, v5
	s_waitcnt lgkmcnt(0)
	v_max_f32_e32 v8, v8, v8
	v_max_f32_e32 v9, v1, v8
	v_cndmask_b32_e32 v1, v4, v11, vcc
	v_lshlrev_b32_e32 v11, 2, v1
	ds_bpermute_b32 v12, v11, v9
	v_and_b32_e32 v1, 63, v0
	v_cmp_eq_u32_e32 vcc, 0, v1
	v_lshlrev_b32_e32 v8, 2, v23
	s_and_saveexec_b64 s[2:3], vcc
	s_cbranch_execz .LBB140_14
; %bb.13:
	s_waitcnt lgkmcnt(0)
	v_max_f32_e32 v12, v12, v12
	v_max_f32_e32 v9, v9, v9
	;; [unrolled: 1-line block ×3, first 2 shown]
	ds_write_b32 v8, v9 offset:240
.LBB140_14:
	s_or_b64 exec, exec, s[2:3]
	v_cmp_gt_u32_e64 s[2:3], 2, v1
	s_waitcnt lgkmcnt(0)
	v_mov_b32_e32 v12, 0xff7fffff
	v_lshlrev_b32_e32 v9, 2, v1
	s_barrier
	s_and_saveexec_b64 s[4:5], s[2:3]
; %bb.15:
	ds_read_b32 v12, v9 offset:240
; %bb.16:
	s_or_b64 exec, exec, s[4:5]
	v_xor_b32_e32 v13, 1, v4
	v_cmp_lt_i32_e64 s[4:5], v13, v5
	v_cndmask_b32_e64 v13, v4, v13, s[4:5]
	v_lshlrev_b32_e32 v24, 2, v13
	s_waitcnt lgkmcnt(0)
	ds_bpermute_b32 v13, v24, v12
	v_max_f32_e32 v12, v12, v12
	v_lshlrev_b32_e32 v6, 2, v6
	s_lshl_b32 s4, s17, 4
	s_min_i32 s12, s4, s33
	s_waitcnt lgkmcnt(0)
	v_max_f32_e32 v13, v13, v13
	v_max_f32_e32 v12, v12, v13
	ds_bpermute_b32 v12, v6, v12
	v_cmp_gt_i32_e64 s[4:5], s12, v0
	v_mov_b32_e32 v6, 0
	s_and_saveexec_b64 s[26:27], s[4:5]
	s_cbranch_execz .LBB140_20
; %bb.17:
	v_mov_b32_e32 v6, 0x100
	v_lshl_add_u32 v13, v0, 2, v6
	v_mov_b32_e32 v6, 0
	s_mov_b64 s[28:29], 0
	v_mov_b32_e32 v14, v0
.LBB140_18:                             ; =>This Inner Loop Header: Depth=1
	ds_read_b32 v15, v13
	v_add_u32_e32 v14, 0x80, v14
	v_cmp_le_i32_e64 s[6:7], s12, v14
	s_or_b64 s[28:29], s[6:7], s[28:29]
	s_waitcnt lgkmcnt(0)
	v_sub_f32_e32 v15, v15, v12
	v_mul_f32_e32 v15, 0x3fb8aa3b, v15
	v_exp_f32_e32 v15, v15
	ds_write_b32 v13, v15
	v_add_f32_e32 v6, v6, v15
	v_add_u32_e32 v13, 0x200, v13
	s_andn2_b64 exec, exec, s[28:29]
	s_cbranch_execnz .LBB140_18
; %bb.19:
	s_or_b64 exec, exec, s[28:29]
.LBB140_20:
	s_or_b64 exec, exec, s[26:27]
	ds_bpermute_b32 v2, v2, v6
	s_waitcnt lgkmcnt(0)
	v_add_f32_e32 v2, v6, v2
	ds_bpermute_b32 v6, v7, v2
	v_xor_b32_e32 v7, 2, v4
	v_cmp_lt_i32_e64 s[6:7], v7, v5
	v_cndmask_b32_e64 v5, v4, v7, s[6:7]
	v_lshlrev_b32_e32 v5, 2, v5
	s_waitcnt lgkmcnt(0)
	v_add_f32_e32 v2, v2, v6
	ds_bpermute_b32 v6, v10, v2
	s_waitcnt lgkmcnt(0)
	v_add_f32_e32 v2, v2, v6
	ds_bpermute_b32 v6, v11, v2
	;; [unrolled: 3-line block ×4, first 2 shown]
	s_waitcnt lgkmcnt(0)
	v_add_f32_e32 v2, v2, v5
	s_and_saveexec_b64 s[6:7], vcc
; %bb.21:
	ds_write_b32 v8, v2 offset:248
; %bb.22:
	s_or_b64 exec, exec, s[6:7]
	s_waitcnt lgkmcnt(0)
	s_barrier
	s_and_saveexec_b64 s[6:7], s[2:3]
; %bb.23:
	ds_read_b32 v2, v9 offset:248
; %bb.24:
	s_or_b64 exec, exec, s[6:7]
	s_waitcnt lgkmcnt(0)
	ds_bpermute_b32 v5, v24, v2
	v_lshlrev_b32_e32 v4, 2, v4
	v_and_b32_e32 v4, 0xffffff00, v4
	s_waitcnt lgkmcnt(0)
	v_add_f32_e32 v2, v2, v5
	ds_bpermute_b32 v2, v4, v2
	s_and_saveexec_b64 s[2:3], s[4:5]
	s_cbranch_execz .LBB140_27
; %bb.25:
	s_waitcnt lgkmcnt(0)
	v_add_f32_e32 v4, 0x358637bd, v2
	v_div_scale_f32 v2, s[4:5], v4, v4, 1.0
	v_div_scale_f32 v5, vcc, 1.0, v4, 1.0
	s_mov_b64 s[4:5], 0
	v_rcp_f32_e32 v6, v2
	v_fma_f32 v7, -v2, v6, 1.0
	v_fmac_f32_e32 v6, v7, v6
	v_mul_f32_e32 v7, v5, v6
	v_fma_f32 v8, -v2, v7, v5
	v_fmac_f32_e32 v7, v8, v6
	v_fma_f32 v2, -v2, v7, v5
	v_div_fmas_f32 v5, v2, v6, v7
	v_mov_b32_e32 v2, 0x100
	v_lshl_add_u32 v2, v0, 2, v2
	v_div_fixup_f32 v4, v5, v4, 1.0
	v_mov_b32_e32 v5, v0
.LBB140_26:                             ; =>This Inner Loop Header: Depth=1
	ds_read_b32 v6, v2
	v_add_u32_e32 v5, 0x80, v5
	v_cmp_le_i32_e32 vcc, s12, v5
	s_or_b64 s[4:5], vcc, s[4:5]
	s_waitcnt lgkmcnt(0)
	v_mul_f32_e32 v6, v4, v6
	ds_write_b32 v2, v6
	v_add_u32_e32 v2, 0x200, v2
	s_andn2_b64 exec, exec, s[4:5]
	s_cbranch_execnz .LBB140_26
.LBB140_27:
	s_or_b64 exec, exec, s[2:3]
	v_lshrrev_b32_e32 v25, 1, v1
	s_waitcnt lgkmcnt(0)
	s_barrier
	s_and_saveexec_b64 s[2:3], s[0:1]
	s_xor_b64 s[0:1], exec, s[2:3]
; %bb.28:
	v_lshrrev_b32_e32 v25, 1, v1
                                        ; implicit-def: $vgpr23
                                        ; implicit-def: $vgpr3
; %bb.29:
	s_or_saveexec_b64 s[6:7], s[0:1]
	v_mov_b32_e32 v28, 0
	v_and_b32_e32 v26, 1, v0
	v_mov_b32_e32 v30, 0
	v_mov_b32_e32 v29, 0
	;; [unrolled: 1-line block ×3, first 2 shown]
	s_xor_b64 exec, exec, s[6:7]
	s_cbranch_execz .LBB140_43
; %bb.30:
	s_ashr_i32 s15, s14, 31
	v_lshlrev_b32_e32 v1, 3, v0
	s_lshl_b64 s[0:1], s[14:15], 1
	v_and_b32_e32 v1, 8, v1
	s_add_u32 s24, s24, s0
	v_or_b32_e32 v4, 0x60, v25
	s_movk_i32 s0, 0x78
	s_addc_u32 s4, s25, s1
	s_add_i32 s25, s17, -1
	v_lshl_or_b32 v2, v25, 4, v1
	v_cmp_gt_u32_e64 s[0:1], s0, v4
	v_lshl_or_b32 v4, v4, 4, v1
	v_lshl_or_b32 v32, v23, 4, v1
	v_lshlrev_b32_e32 v1, 5, v26
	s_lshl_b64 s[2:3], s[22:23], 2
	v_lshl_or_b32 v1, v23, 6, v1
	s_add_u32 s2, s20, s2
	v_add_u32_e32 v33, 0x100, v1
	v_and_b32_e32 v1, 60, v3
	s_addc_u32 s3, s21, s3
	v_mov_b32_e32 v3, s3
	v_add_co_u32_e32 v21, vcc, s2, v1
	s_mov_b32 s26, s13
	v_mov_b32_e32 v27, 0
	s_mov_b32 s27, s33
	v_addc_co_u32_e32 v22, vcc, 0, v3, vcc
	s_mov_b64 s[12:13], 0
	v_mov_b32_e32 v34, s4
	v_lshlrev_b32_e32 v35, 1, v2
	s_mov_b32 s20, 0x5040100
	s_movk_i32 s21, 0x7fff
	s_mov_b32 s22, 0x7060302
	v_lshlrev_b32_e32 v36, 1, v4
	v_mov_b32_e32 v31, 0
	v_mov_b32_e32 v29, 0
	;; [unrolled: 1-line block ×4, first 2 shown]
	s_branch .LBB140_33
.LBB140_31:                             ;   in Loop: Header=BB140_33 Depth=1
	s_or_b64 exec, exec, s[14:15]
	s_waitcnt vmcnt(0)
	v_lshlrev_b32_e32 v37, 16, v13
	v_lshlrev_b32_e32 v38, 16, v20
	v_mul_f32_e32 v37, v38, v37
	v_bfe_u32 v38, v37, 16, 1
	v_add3_u32 v38, v38, v37, s21
	v_or_b32_e32 v39, 0x400000, v37
	v_cmp_u_f32_e32 vcc, v37, v37
	v_cndmask_b32_e32 v37, v38, v39, vcc
	v_and_b32_e32 v13, 0xffff0000, v13
	v_and_b32_e32 v38, 0xffff0000, v20
	v_mul_f32_e32 v13, v38, v13
	v_bfe_u32 v38, v13, 16, 1
	v_add3_u32 v38, v38, v13, s21
	v_or_b32_e32 v39, 0x400000, v13
	v_cmp_u_f32_e32 vcc, v13, v13
	v_cndmask_b32_e32 v13, v38, v39, vcc
	v_lshlrev_b32_e32 v38, 16, v14
	v_lshlrev_b32_e32 v39, 16, v19
	v_mul_f32_e32 v38, v39, v38
	v_bfe_u32 v39, v38, 16, 1
	v_add3_u32 v39, v39, v38, s21
	v_or_b32_e32 v40, 0x400000, v38
	v_cmp_u_f32_e32 vcc, v38, v38
	v_cndmask_b32_e32 v38, v39, v40, vcc
	v_and_b32_e32 v14, 0xffff0000, v14
	v_and_b32_e32 v39, 0xffff0000, v19
	v_mul_f32_e32 v14, v39, v14
	v_bfe_u32 v39, v14, 16, 1
	v_add3_u32 v39, v39, v14, s21
	v_or_b32_e32 v40, 0x400000, v14
	v_cmp_u_f32_e32 vcc, v14, v14
	v_cndmask_b32_e32 v14, v39, v40, vcc
	;; [unrolled: 16-line block ×3, first 2 shown]
	v_lshlrev_b32_e32 v40, 16, v16
	v_lshlrev_b32_e32 v41, 16, v17
	v_mul_f32_e32 v40, v41, v40
	v_bfe_u32 v41, v40, 16, 1
	v_add3_u32 v41, v41, v40, s21
	v_or_b32_e32 v42, 0x400000, v40
	v_cmp_u_f32_e32 vcc, v40, v40
	v_cndmask_b32_e32 v40, v41, v42, vcc
	v_and_b32_e32 v16, 0xffff0000, v16
	v_and_b32_e32 v41, 0xffff0000, v17
	;; [unrolled: 1-line block ×4, first 2 shown]
	v_mul_f32_e32 v16, v41, v16
	v_add_f32_e32 v13, v37, v13
	v_and_b32_e32 v14, 0xffff0000, v14
	v_and_b32_e32 v37, 0xffff0000, v38
	v_bfe_u32 v41, v16, 16, 1
	v_add_f32_e32 v14, v37, v14
	v_add3_u32 v41, v41, v16, s21
	v_or_b32_e32 v42, 0x400000, v16
	v_cmp_u_f32_e32 vcc, v16, v16
	v_add_f32_e32 v13, v14, v13
	v_and_b32_e32 v14, 0xffff0000, v15
	v_and_b32_e32 v15, 0xffff0000, v39
	v_cndmask_b32_e32 v16, v41, v42, vcc
	v_add_f32_e32 v14, v15, v14
	v_add_f32_e32 v13, v14, v13
	v_and_b32_e32 v14, 0xffff0000, v16
	v_and_b32_e32 v15, 0xffff0000, v40
	v_add_f32_e32 v14, v15, v14
	v_add_f32_e32 v13, v14, v13
	v_add_f32_e32 v31, v31, v13
.LBB140_32:                             ;   in Loop: Header=BB140_33 Depth=1
	s_or_b64 exec, exec, s[4:5]
	s_waitcnt vmcnt(0)
	v_and_b32_e32 v14, 0xffff0000, v9
	v_and_b32_e32 v13, 0xffff0000, v20
	v_mul_f32_e32 v14, v13, v14
	v_bfe_u32 v15, v14, 16, 1
	v_add3_u32 v15, v15, v14, s21
	v_or_b32_e32 v16, 0x400000, v14
	v_cmp_u_f32_e32 vcc, v14, v14
	v_lshlrev_b32_e32 v14, 16, v9
	v_lshlrev_b32_e32 v9, 16, v20
	v_mul_f32_e32 v14, v9, v14
	v_cndmask_b32_e32 v37, v15, v16, vcc
	v_bfe_u32 v15, v14, 16, 1
	v_add3_u32 v15, v15, v14, s21
	v_or_b32_e32 v16, 0x400000, v14
	v_cmp_u_f32_e32 vcc, v14, v14
	v_cndmask_b32_e32 v20, v15, v16, vcc
	v_and_b32_e32 v15, 0xffff0000, v10
	v_and_b32_e32 v14, 0xffff0000, v19
	v_mul_f32_e32 v15, v14, v15
	v_bfe_u32 v16, v15, 16, 1
	v_add3_u32 v16, v16, v15, s21
	v_or_b32_e32 v38, 0x400000, v15
	v_cmp_u_f32_e32 vcc, v15, v15
	v_lshlrev_b32_e32 v15, 16, v10
	v_lshlrev_b32_e32 v10, 16, v19
	v_mul_f32_e32 v15, v10, v15
	v_cndmask_b32_e32 v38, v16, v38, vcc
	v_bfe_u32 v16, v15, 16, 1
	v_add3_u32 v16, v16, v15, s21
	v_or_b32_e32 v19, 0x400000, v15
	v_cmp_u_f32_e32 vcc, v15, v15
	v_cndmask_b32_e32 v19, v16, v19, vcc
	v_and_b32_e32 v16, 0xffff0000, v11
	v_and_b32_e32 v15, 0xffff0000, v18
	v_mul_f32_e32 v16, v15, v16
	v_bfe_u32 v39, v16, 16, 1
	v_add3_u32 v39, v39, v16, s21
	v_or_b32_e32 v40, 0x400000, v16
	v_cmp_u_f32_e32 vcc, v16, v16
	v_lshlrev_b32_e32 v16, 16, v11
	v_lshlrev_b32_e32 v11, 16, v18
	v_mul_f32_e32 v16, v11, v16
	v_bfe_u32 v18, v16, 16, 1
	v_cndmask_b32_e32 v39, v39, v40, vcc
	v_add3_u32 v18, v18, v16, s21
	v_or_b32_e32 v40, 0x400000, v16
	v_cmp_u_f32_e32 vcc, v16, v16
	v_cndmask_b32_e32 v18, v18, v40, vcc
	v_and_b32_e32 v40, 0xffff0000, v12
	v_and_b32_e32 v16, 0xffff0000, v17
	v_mul_f32_e32 v40, v16, v40
	v_bfe_u32 v41, v40, 16, 1
	v_add3_u32 v41, v41, v40, s21
	v_or_b32_e32 v42, 0x400000, v40
	v_cmp_u_f32_e32 vcc, v40, v40
	v_cndmask_b32_e32 v40, v41, v42, vcc
	v_lshlrev_b32_e32 v41, 16, v12
	v_lshlrev_b32_e32 v12, 16, v17
	v_and_b32_e32 v20, 0xffff0000, v20
	v_and_b32_e32 v37, 0xffff0000, v37
	v_mul_f32_e32 v17, v12, v41
	v_add_f32_e32 v20, v20, v37
	v_and_b32_e32 v19, 0xffff0000, v19
	v_and_b32_e32 v37, 0xffff0000, v38
	v_bfe_u32 v41, v17, 16, 1
	v_add_f32_e32 v19, v19, v37
	v_add3_u32 v41, v41, v17, s21
	v_or_b32_e32 v42, 0x400000, v17
	v_cmp_u_f32_e32 vcc, v17, v17
	v_add_f32_e32 v19, v19, v20
	v_and_b32_e32 v18, 0xffff0000, v18
	v_and_b32_e32 v20, 0xffff0000, v39
	v_cndmask_b32_e32 v17, v41, v42, vcc
	v_add_f32_e32 v18, v18, v20
	v_add_f32_e32 v18, v18, v19
	v_and_b32_e32 v17, 0xffff0000, v17
	v_and_b32_e32 v19, 0xffff0000, v40
	v_add_f32_e32 v17, v17, v19
	v_add_f32_e32 v17, v17, v18
	;; [unrolled: 1-line block ×3, first 2 shown]
	v_and_b32_e32 v17, 0xffff0000, v5
	v_mul_f32_e32 v17, v13, v17
	v_bfe_u32 v18, v17, 16, 1
	v_lshlrev_b32_e32 v5, 16, v5
	v_add3_u32 v18, v18, v17, s21
	v_or_b32_e32 v19, 0x400000, v17
	v_cmp_u_f32_e32 vcc, v17, v17
	v_mul_f32_e32 v5, v9, v5
	v_cndmask_b32_e32 v17, v18, v19, vcc
	v_bfe_u32 v18, v5, 16, 1
	v_add3_u32 v18, v18, v5, s21
	v_or_b32_e32 v19, 0x400000, v5
	v_cmp_u_f32_e32 vcc, v5, v5
	v_cndmask_b32_e32 v5, v18, v19, vcc
	v_and_b32_e32 v18, 0xffff0000, v6
	v_mul_f32_e32 v18, v14, v18
	v_bfe_u32 v19, v18, 16, 1
	v_lshlrev_b32_e32 v6, 16, v6
	v_add3_u32 v19, v19, v18, s21
	v_or_b32_e32 v20, 0x400000, v18
	v_cmp_u_f32_e32 vcc, v18, v18
	v_mul_f32_e32 v6, v10, v6
	v_cndmask_b32_e32 v18, v19, v20, vcc
	v_bfe_u32 v19, v6, 16, 1
	v_add3_u32 v19, v19, v6, s21
	v_or_b32_e32 v20, 0x400000, v6
	v_cmp_u_f32_e32 vcc, v6, v6
	v_cndmask_b32_e32 v6, v19, v20, vcc
	;; [unrolled: 14-line block ×3, first 2 shown]
	v_and_b32_e32 v20, 0xffff0000, v8
	v_mul_f32_e32 v20, v16, v20
	v_bfe_u32 v37, v20, 16, 1
	v_lshlrev_b32_e32 v8, 16, v8
	v_and_b32_e32 v5, 0xffff0000, v5
	v_and_b32_e32 v17, 0xffff0000, v17
	v_add3_u32 v37, v37, v20, s21
	v_or_b32_e32 v38, 0x400000, v20
	v_cmp_u_f32_e32 vcc, v20, v20
	v_mul_f32_e32 v8, v12, v8
	v_add_f32_e32 v5, v5, v17
	v_and_b32_e32 v6, 0xffff0000, v6
	v_and_b32_e32 v17, 0xffff0000, v18
	v_cndmask_b32_e32 v20, v37, v38, vcc
	v_bfe_u32 v37, v8, 16, 1
	v_add_f32_e32 v6, v6, v17
	v_add3_u32 v37, v37, v8, s21
	v_or_b32_e32 v38, 0x400000, v8
	v_cmp_u_f32_e32 vcc, v8, v8
	v_add_f32_e32 v5, v6, v5
	v_and_b32_e32 v6, 0xffff0000, v7
	v_and_b32_e32 v7, 0xffff0000, v19
	v_cndmask_b32_e32 v8, v37, v38, vcc
	v_add_f32_e32 v6, v6, v7
	v_add_f32_e32 v5, v6, v5
	v_and_b32_e32 v6, 0xffff0000, v8
	v_and_b32_e32 v7, 0xffff0000, v20
	v_add_f32_e32 v6, v6, v7
	v_add_f32_e32 v5, v6, v5
	;; [unrolled: 1-line block ×3, first 2 shown]
	v_and_b32_e32 v5, 0xffff0000, v1
	v_mul_f32_e32 v5, v13, v5
	v_bfe_u32 v6, v5, 16, 1
	v_lshlrev_b32_e32 v1, 16, v1
	v_add3_u32 v6, v6, v5, s21
	v_or_b32_e32 v7, 0x400000, v5
	v_cmp_u_f32_e32 vcc, v5, v5
	v_mul_f32_e32 v1, v9, v1
	v_cndmask_b32_e32 v5, v6, v7, vcc
	v_bfe_u32 v6, v1, 16, 1
	v_add3_u32 v6, v6, v1, s21
	v_or_b32_e32 v7, 0x400000, v1
	v_cmp_u_f32_e32 vcc, v1, v1
	v_cndmask_b32_e32 v1, v6, v7, vcc
	v_and_b32_e32 v6, 0xffff0000, v2
	v_mul_f32_e32 v6, v14, v6
	v_bfe_u32 v7, v6, 16, 1
	v_lshlrev_b32_e32 v2, 16, v2
	v_add3_u32 v7, v7, v6, s21
	v_or_b32_e32 v8, 0x400000, v6
	v_cmp_u_f32_e32 vcc, v6, v6
	v_mul_f32_e32 v2, v10, v2
	v_cndmask_b32_e32 v6, v7, v8, vcc
	v_bfe_u32 v7, v2, 16, 1
	v_add3_u32 v7, v7, v2, s21
	v_or_b32_e32 v8, 0x400000, v2
	v_cmp_u_f32_e32 vcc, v2, v2
	v_cndmask_b32_e32 v2, v7, v8, vcc
	;; [unrolled: 14-line block ×3, first 2 shown]
	v_and_b32_e32 v8, 0xffff0000, v4
	v_mul_f32_e32 v8, v16, v8
	v_bfe_u32 v9, v8, 16, 1
	v_lshlrev_b32_e32 v4, 16, v4
	v_and_b32_e32 v1, 0xffff0000, v1
	v_and_b32_e32 v5, 0xffff0000, v5
	v_add3_u32 v9, v9, v8, s21
	v_or_b32_e32 v10, 0x400000, v8
	v_cmp_u_f32_e32 vcc, v8, v8
	v_mul_f32_e32 v4, v12, v4
	v_add_f32_e32 v1, v1, v5
	v_and_b32_e32 v2, 0xffff0000, v2
	v_and_b32_e32 v5, 0xffff0000, v6
	v_cndmask_b32_e32 v8, v9, v10, vcc
	v_bfe_u32 v9, v4, 16, 1
	v_add_f32_e32 v2, v2, v5
	v_add3_u32 v9, v9, v4, s21
	v_or_b32_e32 v10, 0x400000, v4
	v_cmp_u_f32_e32 vcc, v4, v4
	v_add_f32_e32 v1, v2, v1
	v_and_b32_e32 v2, 0xffff0000, v3
	v_and_b32_e32 v3, 0xffff0000, v7
	v_cndmask_b32_e32 v4, v9, v10, vcc
	v_add_f32_e32 v2, v2, v3
	v_add_f32_e32 v1, v2, v1
	v_and_b32_e32 v2, 0xffff0000, v4
	v_and_b32_e32 v3, 0xffff0000, v8
	v_add_u32_e32 v23, 2, v23
	v_add_f32_e32 v2, v2, v3
	v_cmp_le_i32_e32 vcc, s17, v23
	v_add_f32_e32 v1, v2, v1
	s_or_b64 s[12:13], vcc, s[12:13]
	v_add_co_u32_e32 v21, vcc, 8, v21
	v_add_f32_e32 v28, v28, v1
	v_add_u32_e32 v32, 32, v32
	v_add_u32_e32 v33, 0x80, v33
	v_addc_co_u32_e32 v22, vcc, 0, v22, vcc
	s_andn2_b64 exec, exec, s[12:13]
	s_cbranch_execz .LBB140_42
.LBB140_33:                             ; =>This Inner Loop Header: Depth=1
	global_load_dword v1, v[21:22], off
	s_waitcnt vmcnt(0)
	v_mad_i64_i32 v[1:2], s[2:3], v1, s26, 0
	v_cmp_eq_u32_e64 s[2:3], s25, v23
	v_lshlrev_b64 v[1:2], 1, v[1:2]
	v_add_co_u32_e32 v37, vcc, s24, v1
	v_addc_co_u32_e32 v38, vcc, v34, v2, vcc
	v_add_co_u32_e32 v9, vcc, v37, v35
	v_addc_co_u32_e32 v10, vcc, 0, v38, vcc
	global_load_dwordx4 v[1:4], v[9:10], off
	ds_read2_b64 v[17:20], v33 offset1:1
	ds_read2_b64 v[13:16], v33 offset0:2 offset1:3
	s_and_saveexec_b64 s[14:15], s[2:3]
	s_cbranch_execnz .LBB140_40
; %bb.34:                               ;   in Loop: Header=BB140_33 Depth=1
	s_or_b64 exec, exec, s[14:15]
	global_load_dwordx4 v[5:8], v[9:10], off offset:1024
	s_and_saveexec_b64 s[14:15], s[2:3]
	s_cbranch_execnz .LBB140_41
.LBB140_35:                             ;   in Loop: Header=BB140_33 Depth=1
	s_or_b64 exec, exec, s[14:15]
	global_load_dwordx4 v[9:12], v[9:10], off offset:2048
	s_and_saveexec_b64 s[14:15], s[2:3]
	s_cbranch_execz .LBB140_37
.LBB140_36:                             ;   in Loop: Header=BB140_33 Depth=1
	v_add_u32_e32 v39, 1, v32
	v_cmp_gt_i32_e32 vcc, s27, v39
	s_waitcnt vmcnt(0)
	v_cndmask_b32_sdwa v39, v27, v9, vcc dst_sel:DWORD dst_unused:UNUSED_PAD src0_sel:DWORD src1_sel:WORD_1
	v_cmp_gt_i32_e32 vcc, s33, v32
	v_cndmask_b32_e32 v9, 0, v9, vcc
	v_perm_b32 v9, v39, v9, s20
	v_or_b32_e32 v39, 3, v32
	v_or_b32_e32 v40, 2, v32
	v_cmp_gt_i32_e32 vcc, s27, v39
	v_cmp_gt_i32_e64 s[4:5], s33, v40
	v_cndmask_b32_e64 v39, 0, v10, s[4:5]
	v_cndmask_b32_sdwa v10, v27, v10, vcc dst_sel:DWORD dst_unused:UNUSED_PAD src0_sel:DWORD src1_sel:WORD_1
	v_perm_b32 v10, v10, v39, s20
	v_or_b32_e32 v39, 5, v32
	v_or_b32_e32 v40, 4, v32
	v_cmp_gt_i32_e32 vcc, s27, v39
	v_cmp_gt_i32_e64 s[4:5], s33, v40
	v_cndmask_b32_e64 v39, 0, v11, s[4:5]
	v_cndmask_b32_sdwa v11, v27, v11, vcc dst_sel:DWORD dst_unused:UNUSED_PAD src0_sel:DWORD src1_sel:WORD_1
	;; [unrolled: 7-line block ×3, first 2 shown]
	v_perm_b32 v12, v12, v39, s20
.LBB140_37:                             ;   in Loop: Header=BB140_33 Depth=1
	s_or_b64 exec, exec, s[14:15]
	s_waitcnt lgkmcnt(1)
	v_bfe_u32 v39, v17, 16, 1
	v_add3_u32 v39, v39, v17, s21
	v_or_b32_e32 v40, 0x400000, v17
	v_cmp_u_f32_e32 vcc, v17, v17
	v_cndmask_b32_e32 v17, v39, v40, vcc
	v_bfe_u32 v39, v18, 16, 1
	v_add3_u32 v39, v39, v18, s21
	v_or_b32_e32 v40, 0x400000, v18
	v_cmp_u_f32_e32 vcc, v18, v18
	v_cndmask_b32_e32 v18, v39, v40, vcc
	;; [unrolled: 5-line block ×3, first 2 shown]
	v_bfe_u32 v39, v20, 16, 1
	v_add3_u32 v39, v39, v20, s21
	v_or_b32_e32 v40, 0x400000, v20
	v_cmp_u_f32_e32 vcc, v20, v20
	s_waitcnt lgkmcnt(0)
	v_bfe_u32 v20, v13, 16, 1
	v_cndmask_b32_e32 v39, v39, v40, vcc
	v_add3_u32 v20, v20, v13, s21
	v_or_b32_e32 v40, 0x400000, v13
	v_cmp_u_f32_e32 vcc, v13, v13
	v_cndmask_b32_e32 v13, v20, v40, vcc
	v_bfe_u32 v20, v14, 16, 1
	v_add3_u32 v20, v20, v14, s21
	v_or_b32_e32 v40, 0x400000, v14
	v_cmp_u_f32_e32 vcc, v14, v14
	v_cndmask_b32_e32 v14, v20, v40, vcc
	v_bfe_u32 v20, v15, 16, 1
	;; [unrolled: 5-line block ×3, first 2 shown]
	v_add3_u32 v20, v20, v16, s21
	v_or_b32_e32 v40, 0x400000, v16
	v_cmp_u_f32_e32 vcc, v16, v16
	v_cndmask_b32_e32 v16, v20, v40, vcc
	v_perm_b32 v20, v18, v17, s22
	v_perm_b32 v19, v39, v19, s22
	;; [unrolled: 1-line block ×4, first 2 shown]
	s_and_saveexec_b64 s[4:5], s[0:1]
	s_cbranch_execz .LBB140_32
; %bb.38:                               ;   in Loop: Header=BB140_33 Depth=1
	v_add_co_u32_e32 v13, vcc, v37, v36
	v_addc_co_u32_e32 v14, vcc, 0, v38, vcc
	global_load_dwordx4 v[13:16], v[13:14], off
	s_and_saveexec_b64 s[14:15], s[2:3]
	s_cbranch_execz .LBB140_31
; %bb.39:                               ;   in Loop: Header=BB140_33 Depth=1
	v_add_u32_e32 v37, 1, v32
	v_cmp_gt_i32_e32 vcc, s27, v37
	s_waitcnt vmcnt(0)
	v_cndmask_b32_sdwa v37, v27, v13, vcc dst_sel:DWORD dst_unused:UNUSED_PAD src0_sel:DWORD src1_sel:WORD_1
	v_cmp_gt_i32_e32 vcc, s33, v32
	v_cndmask_b32_e32 v13, 0, v13, vcc
	v_perm_b32 v13, v37, v13, s20
	v_or_b32_e32 v37, 3, v32
	v_or_b32_e32 v38, 2, v32
	v_cmp_gt_i32_e32 vcc, s27, v37
	v_cmp_gt_i32_e64 s[2:3], s33, v38
	v_cndmask_b32_e64 v37, 0, v14, s[2:3]
	v_cndmask_b32_sdwa v14, v27, v14, vcc dst_sel:DWORD dst_unused:UNUSED_PAD src0_sel:DWORD src1_sel:WORD_1
	v_perm_b32 v14, v14, v37, s20
	v_or_b32_e32 v37, 5, v32
	v_or_b32_e32 v38, 4, v32
	v_cmp_gt_i32_e32 vcc, s27, v37
	v_cmp_gt_i32_e64 s[2:3], s33, v38
	v_cndmask_b32_e64 v37, 0, v15, s[2:3]
	v_cndmask_b32_sdwa v15, v27, v15, vcc dst_sel:DWORD dst_unused:UNUSED_PAD src0_sel:DWORD src1_sel:WORD_1
	;; [unrolled: 7-line block ×3, first 2 shown]
	v_perm_b32 v16, v16, v37, s20
	s_branch .LBB140_31
.LBB140_40:                             ;   in Loop: Header=BB140_33 Depth=1
	v_add_u32_e32 v5, 1, v32
	v_cmp_gt_i32_e32 vcc, s27, v5
	s_waitcnt vmcnt(0)
	v_cndmask_b32_sdwa v5, v27, v1, vcc dst_sel:DWORD dst_unused:UNUSED_PAD src0_sel:DWORD src1_sel:WORD_1
	v_cmp_gt_i32_e32 vcc, s33, v32
	v_cndmask_b32_e32 v1, 0, v1, vcc
	v_perm_b32 v1, v5, v1, s20
	v_or_b32_e32 v5, 3, v32
	v_or_b32_e32 v6, 2, v32
	v_cmp_gt_i32_e32 vcc, s27, v5
	v_cmp_gt_i32_e64 s[4:5], s33, v6
	v_cndmask_b32_e64 v5, 0, v2, s[4:5]
	v_cndmask_b32_sdwa v2, v27, v2, vcc dst_sel:DWORD dst_unused:UNUSED_PAD src0_sel:DWORD src1_sel:WORD_1
	v_perm_b32 v2, v2, v5, s20
	v_or_b32_e32 v5, 5, v32
	v_or_b32_e32 v6, 4, v32
	v_cmp_gt_i32_e32 vcc, s27, v5
	v_cmp_gt_i32_e64 s[4:5], s33, v6
	v_cndmask_b32_e64 v5, 0, v3, s[4:5]
	v_cndmask_b32_sdwa v3, v27, v3, vcc dst_sel:DWORD dst_unused:UNUSED_PAD src0_sel:DWORD src1_sel:WORD_1
	;; [unrolled: 7-line block ×3, first 2 shown]
	v_perm_b32 v4, v4, v5, s20
	s_or_b64 exec, exec, s[14:15]
	global_load_dwordx4 v[5:8], v[9:10], off offset:1024
	s_and_saveexec_b64 s[14:15], s[2:3]
	s_cbranch_execz .LBB140_35
.LBB140_41:                             ;   in Loop: Header=BB140_33 Depth=1
	v_add_u32_e32 v11, 1, v32
	v_cmp_gt_i32_e32 vcc, s27, v11
	s_waitcnt vmcnt(0)
	v_cndmask_b32_sdwa v11, v27, v5, vcc dst_sel:DWORD dst_unused:UNUSED_PAD src0_sel:DWORD src1_sel:WORD_1
	v_cmp_gt_i32_e32 vcc, s33, v32
	v_cndmask_b32_e32 v5, 0, v5, vcc
	v_perm_b32 v5, v11, v5, s20
	v_or_b32_e32 v11, 3, v32
	v_or_b32_e32 v12, 2, v32
	v_cmp_gt_i32_e32 vcc, s27, v11
	v_cmp_gt_i32_e64 s[4:5], s33, v12
	v_cndmask_b32_e64 v11, 0, v6, s[4:5]
	v_cndmask_b32_sdwa v6, v27, v6, vcc dst_sel:DWORD dst_unused:UNUSED_PAD src0_sel:DWORD src1_sel:WORD_1
	v_perm_b32 v6, v6, v11, s20
	v_or_b32_e32 v11, 5, v32
	v_or_b32_e32 v12, 4, v32
	v_cmp_gt_i32_e32 vcc, s27, v11
	v_cmp_gt_i32_e64 s[4:5], s33, v12
	v_cndmask_b32_e64 v11, 0, v7, s[4:5]
	v_cndmask_b32_sdwa v7, v27, v7, vcc dst_sel:DWORD dst_unused:UNUSED_PAD src0_sel:DWORD src1_sel:WORD_1
	;; [unrolled: 7-line block ×3, first 2 shown]
	v_perm_b32 v8, v8, v11, s20
	s_or_b64 exec, exec, s[14:15]
	global_load_dwordx4 v[9:12], v[9:10], off offset:2048
	s_and_saveexec_b64 s[14:15], s[2:3]
	s_cbranch_execnz .LBB140_36
	s_branch .LBB140_37
.LBB140_42:
	s_or_b64 exec, exec, s[12:13]
.LBB140_43:
	s_or_b64 exec, exec, s[6:7]
	ds_bpermute_b32 v2, v24, v30
	ds_bpermute_b32 v5, v24, v29
	;; [unrolled: 1-line block ×4, first 2 shown]
	v_cmp_eq_u32_e32 vcc, 0, v26
	s_waitcnt lgkmcnt(3)
	v_add_f32_e32 v3, v30, v2
	s_waitcnt lgkmcnt(2)
	v_add_f32_e32 v2, v29, v5
	v_and_b32_e32 v5, 0x3c0, v0
	s_waitcnt lgkmcnt(1)
	v_add_f32_e32 v4, v28, v1
	s_waitcnt lgkmcnt(0)
	v_add_f32_e32 v1, v31, v6
	v_cmp_eq_u32_e64 s[0:1], 64, v5
	s_barrier
	s_and_saveexec_b64 s[2:3], s[0:1]
	s_cbranch_execz .LBB140_48
; %bb.44:
	s_and_saveexec_b64 s[0:1], vcc
	s_cbranch_execz .LBB140_46
; %bb.45:
	v_mov_b32_e32 v5, 0x100
	v_lshl_add_u32 v5, v25, 2, v5
	ds_write2_b32 v5, v4, v3 offset1:32
	ds_write_b32 v5, v2 offset:256
.LBB140_46:
	s_or_b64 exec, exec, s[0:1]
	v_or_b32_e32 v5, 0x60, v25
	s_movk_i32 s0, 0x78
	v_cmp_gt_u32_e64 s[0:1], s0, v5
	s_and_b64 s[0:1], vcc, s[0:1]
	s_and_b64 exec, exec, s[0:1]
; %bb.47:
	v_mov_b32_e32 v5, 0x100
	v_lshl_add_u32 v5, v25, 2, v5
	ds_write_b32 v5, v1 offset:384
.LBB140_48:
	s_or_b64 exec, exec, s[2:3]
	v_cmp_gt_u32_e64 s[0:1], 64, v0
	v_lshrrev_b32_e32 v0, 1, v0
	s_waitcnt lgkmcnt(0)
	s_barrier
	s_and_saveexec_b64 s[4:5], s[0:1]
	s_cbranch_execz .LBB140_58
; %bb.49:
	s_and_saveexec_b64 s[2:3], vcc
	s_cbranch_execz .LBB140_51
; %bb.50:
	v_mov_b32_e32 v5, 0x100
	v_lshl_add_u32 v5, v0, 2, v5
	ds_read_b32 v5, v5
	s_waitcnt lgkmcnt(0)
	v_add_f32_e32 v4, v4, v5
.LBB140_51:
	s_or_b64 exec, exec, s[2:3]
	v_or_b32_e32 v5, 32, v0
	s_movk_i32 s6, 0x78
	v_cmp_gt_u32_e64 s[2:3], s6, v5
	s_and_b64 s[12:13], vcc, s[2:3]
	s_and_saveexec_b64 s[2:3], s[12:13]
	s_cbranch_execz .LBB140_53
; %bb.52:
	v_mov_b32_e32 v5, 0x100
	v_lshl_add_u32 v5, v0, 2, v5
	ds_read_b32 v5, v5 offset:128
	s_waitcnt lgkmcnt(0)
	v_add_f32_e32 v3, v3, v5
.LBB140_53:
	s_or_b64 exec, exec, s[2:3]
	v_or_b32_e32 v5, 64, v0
	v_cmp_gt_u32_e64 s[2:3], s6, v5
	s_and_b64 s[6:7], vcc, s[2:3]
	s_and_saveexec_b64 s[2:3], s[6:7]
	s_cbranch_execz .LBB140_55
; %bb.54:
	v_mov_b32_e32 v5, 0x100
	v_lshl_add_u32 v5, v0, 2, v5
	ds_read_b32 v5, v5 offset:256
	s_waitcnt lgkmcnt(0)
	v_add_f32_e32 v2, v2, v5
.LBB140_55:
	s_or_b64 exec, exec, s[2:3]
	v_or_b32_e32 v5, 0x60, v0
	s_movk_i32 s2, 0x78
	v_cmp_gt_u32_e64 s[2:3], s2, v5
	s_and_b64 s[6:7], vcc, s[2:3]
	s_and_saveexec_b64 s[2:3], s[6:7]
	s_cbranch_execz .LBB140_57
; %bb.56:
	v_mov_b32_e32 v5, 0x100
	v_lshl_add_u32 v5, v0, 2, v5
	ds_read_b32 v5, v5 offset:384
	s_waitcnt lgkmcnt(0)
	v_add_f32_e32 v1, v1, v5
.LBB140_57:
	s_or_b64 exec, exec, s[2:3]
.LBB140_58:
	s_or_b64 exec, exec, s[4:5]
	s_barrier
	s_and_saveexec_b64 s[2:3], s[0:1]
	s_cbranch_execz .LBB140_67
; %bb.59:
	s_mul_i32 s0, s10, s11
	s_mul_i32 s0, s0, s9
	s_mulk_i32 s0, 0x78
	s_ashr_i32 s1, s0, 31
	s_lshl_b64 s[0:1], s[0:1], 1
	s_add_u32 s2, s18, s0
	s_mul_i32 s0, s11, s16
	s_addc_u32 s3, s19, s1
	s_ashr_i32 s1, s0, 31
	s_lshl_b64 s[0:1], s[0:1], 1
	s_add_u32 s2, s2, s0
	s_mul_i32 s0, s8, 0x78
	s_addc_u32 s3, s3, s1
	s_ashr_i32 s1, s0, 31
	s_lshl_b64 s[0:1], s[0:1], 1
	s_add_u32 s2, s2, s0
	s_movk_i32 s6, 0x78
	s_addc_u32 s3, s3, s1
	v_lshlrev_b32_e32 v5, 1, v0
	s_and_saveexec_b64 s[4:5], vcc
	s_cbranch_execz .LBB140_61
; %bb.60:
	v_bfe_u32 v6, v4, 16, 1
	s_movk_i32 s0, 0x7fff
	v_add3_u32 v6, v6, v4, s0
	v_or_b32_e32 v7, 0x400000, v4
	v_cmp_u_f32_e64 s[0:1], v4, v4
	v_cndmask_b32_e64 v4, v6, v7, s[0:1]
	global_store_short_d16_hi v5, v4, s[2:3]
.LBB140_61:
	s_or_b64 exec, exec, s[4:5]
	v_or_b32_e32 v4, 32, v0
	v_cmp_gt_u32_e64 s[0:1], s6, v4
	s_and_b64 s[0:1], vcc, s[0:1]
	s_and_saveexec_b64 s[4:5], s[0:1]
	s_cbranch_execz .LBB140_63
; %bb.62:
	v_bfe_u32 v4, v3, 16, 1
	s_movk_i32 s0, 0x7fff
	v_add3_u32 v4, v4, v3, s0
	v_or_b32_e32 v6, 0x400000, v3
	v_cmp_u_f32_e64 s[0:1], v3, v3
	v_cndmask_b32_e64 v3, v4, v6, s[0:1]
	global_store_short_d16_hi v5, v3, s[2:3] offset:64
.LBB140_63:
	s_or_b64 exec, exec, s[4:5]
	v_or_b32_e32 v3, 64, v0
	v_cmp_gt_u32_e64 s[0:1], s6, v3
	s_and_b64 s[0:1], vcc, s[0:1]
	s_and_saveexec_b64 s[4:5], s[0:1]
	s_cbranch_execz .LBB140_65
; %bb.64:
	v_bfe_u32 v3, v2, 16, 1
	s_movk_i32 s0, 0x7fff
	v_add3_u32 v3, v3, v2, s0
	v_or_b32_e32 v4, 0x400000, v2
	v_cmp_u_f32_e64 s[0:1], v2, v2
	v_cndmask_b32_e64 v2, v3, v4, s[0:1]
	global_store_short_d16_hi v5, v2, s[2:3] offset:128
.LBB140_65:
	s_or_b64 exec, exec, s[4:5]
	v_or_b32_e32 v0, 0x60, v0
	v_cmp_gt_u32_e64 s[0:1], s6, v0
	s_and_b64 s[0:1], vcc, s[0:1]
	s_and_b64 exec, exec, s[0:1]
	s_cbranch_execz .LBB140_67
; %bb.66:
	v_bfe_u32 v0, v1, 16, 1
	s_movk_i32 s0, 0x7fff
	v_add3_u32 v0, v0, v1, s0
	v_or_b32_e32 v2, 0x400000, v1
	v_cmp_u_f32_e32 vcc, v1, v1
	v_cndmask_b32_e32 v0, v0, v2, vcc
	global_store_short_d16_hi v5, v0, s[2:3] offset:192
.LBB140_67:
	s_endpgm
	.section	.rodata,"a",@progbits
	.p2align	6, 0x0
	.amdhsa_kernel _ZN4vllm25paged_attention_v1_kernelI14__hip_bfloat16S1_Li120ELi16ELi128ELNS_18Fp8KVCacheDataTypeE0ELb0EEEvPT_PKS3_PKT0_S9_ifPKiSB_iPKfiiiSD_SD_iiiii
		.amdhsa_group_segment_fixed_size 256
		.amdhsa_private_segment_fixed_size 0
		.amdhsa_kernarg_size 384
		.amdhsa_user_sgpr_count 6
		.amdhsa_user_sgpr_private_segment_buffer 1
		.amdhsa_user_sgpr_dispatch_ptr 0
		.amdhsa_user_sgpr_queue_ptr 0
		.amdhsa_user_sgpr_kernarg_segment_ptr 1
		.amdhsa_user_sgpr_dispatch_id 0
		.amdhsa_user_sgpr_flat_scratch_init 0
		.amdhsa_user_sgpr_private_segment_size 0
		.amdhsa_uses_dynamic_stack 0
		.amdhsa_system_sgpr_private_segment_wavefront_offset 0
		.amdhsa_system_sgpr_workgroup_id_x 1
		.amdhsa_system_sgpr_workgroup_id_y 1
		.amdhsa_system_sgpr_workgroup_id_z 1
		.amdhsa_system_sgpr_workgroup_info 0
		.amdhsa_system_vgpr_workitem_id 0
		.amdhsa_next_free_vgpr 63
		.amdhsa_next_free_sgpr 34
		.amdhsa_reserve_vcc 1
		.amdhsa_reserve_flat_scratch 0
		.amdhsa_float_round_mode_32 0
		.amdhsa_float_round_mode_16_64 0
		.amdhsa_float_denorm_mode_32 3
		.amdhsa_float_denorm_mode_16_64 3
		.amdhsa_dx10_clamp 1
		.amdhsa_ieee_mode 1
		.amdhsa_fp16_overflow 0
		.amdhsa_exception_fp_ieee_invalid_op 0
		.amdhsa_exception_fp_denorm_src 0
		.amdhsa_exception_fp_ieee_div_zero 0
		.amdhsa_exception_fp_ieee_overflow 0
		.amdhsa_exception_fp_ieee_underflow 0
		.amdhsa_exception_fp_ieee_inexact 0
		.amdhsa_exception_int_div_zero 0
	.end_amdhsa_kernel
	.section	.text._ZN4vllm25paged_attention_v1_kernelI14__hip_bfloat16S1_Li120ELi16ELi128ELNS_18Fp8KVCacheDataTypeE0ELb0EEEvPT_PKS3_PKT0_S9_ifPKiSB_iPKfiiiSD_SD_iiiii,"axG",@progbits,_ZN4vllm25paged_attention_v1_kernelI14__hip_bfloat16S1_Li120ELi16ELi128ELNS_18Fp8KVCacheDataTypeE0ELb0EEEvPT_PKS3_PKT0_S9_ifPKiSB_iPKfiiiSD_SD_iiiii,comdat
.Lfunc_end140:
	.size	_ZN4vllm25paged_attention_v1_kernelI14__hip_bfloat16S1_Li120ELi16ELi128ELNS_18Fp8KVCacheDataTypeE0ELb0EEEvPT_PKS3_PKT0_S9_ifPKiSB_iPKfiiiSD_SD_iiiii, .Lfunc_end140-_ZN4vllm25paged_attention_v1_kernelI14__hip_bfloat16S1_Li120ELi16ELi128ELNS_18Fp8KVCacheDataTypeE0ELb0EEEvPT_PKS3_PKT0_S9_ifPKiSB_iPKfiiiSD_SD_iiiii
                                        ; -- End function
	.set _ZN4vllm25paged_attention_v1_kernelI14__hip_bfloat16S1_Li120ELi16ELi128ELNS_18Fp8KVCacheDataTypeE0ELb0EEEvPT_PKS3_PKT0_S9_ifPKiSB_iPKfiiiSD_SD_iiiii.num_vgpr, 63
	.set _ZN4vllm25paged_attention_v1_kernelI14__hip_bfloat16S1_Li120ELi16ELi128ELNS_18Fp8KVCacheDataTypeE0ELb0EEEvPT_PKS3_PKT0_S9_ifPKiSB_iPKfiiiSD_SD_iiiii.num_agpr, 0
	.set _ZN4vllm25paged_attention_v1_kernelI14__hip_bfloat16S1_Li120ELi16ELi128ELNS_18Fp8KVCacheDataTypeE0ELb0EEEvPT_PKS3_PKT0_S9_ifPKiSB_iPKfiiiSD_SD_iiiii.numbered_sgpr, 34
	.set _ZN4vllm25paged_attention_v1_kernelI14__hip_bfloat16S1_Li120ELi16ELi128ELNS_18Fp8KVCacheDataTypeE0ELb0EEEvPT_PKS3_PKT0_S9_ifPKiSB_iPKfiiiSD_SD_iiiii.num_named_barrier, 0
	.set _ZN4vllm25paged_attention_v1_kernelI14__hip_bfloat16S1_Li120ELi16ELi128ELNS_18Fp8KVCacheDataTypeE0ELb0EEEvPT_PKS3_PKT0_S9_ifPKiSB_iPKfiiiSD_SD_iiiii.private_seg_size, 0
	.set _ZN4vllm25paged_attention_v1_kernelI14__hip_bfloat16S1_Li120ELi16ELi128ELNS_18Fp8KVCacheDataTypeE0ELb0EEEvPT_PKS3_PKT0_S9_ifPKiSB_iPKfiiiSD_SD_iiiii.uses_vcc, 1
	.set _ZN4vllm25paged_attention_v1_kernelI14__hip_bfloat16S1_Li120ELi16ELi128ELNS_18Fp8KVCacheDataTypeE0ELb0EEEvPT_PKS3_PKT0_S9_ifPKiSB_iPKfiiiSD_SD_iiiii.uses_flat_scratch, 0
	.set _ZN4vllm25paged_attention_v1_kernelI14__hip_bfloat16S1_Li120ELi16ELi128ELNS_18Fp8KVCacheDataTypeE0ELb0EEEvPT_PKS3_PKT0_S9_ifPKiSB_iPKfiiiSD_SD_iiiii.has_dyn_sized_stack, 0
	.set _ZN4vllm25paged_attention_v1_kernelI14__hip_bfloat16S1_Li120ELi16ELi128ELNS_18Fp8KVCacheDataTypeE0ELb0EEEvPT_PKS3_PKT0_S9_ifPKiSB_iPKfiiiSD_SD_iiiii.has_recursion, 0
	.set _ZN4vllm25paged_attention_v1_kernelI14__hip_bfloat16S1_Li120ELi16ELi128ELNS_18Fp8KVCacheDataTypeE0ELb0EEEvPT_PKS3_PKT0_S9_ifPKiSB_iPKfiiiSD_SD_iiiii.has_indirect_call, 0
	.section	.AMDGPU.csdata,"",@progbits
; Kernel info:
; codeLenInByte = 6776
; TotalNumSgprs: 38
; NumVgprs: 63
; ScratchSize: 0
; MemoryBound: 0
; FloatMode: 240
; IeeeMode: 1
; LDSByteSize: 256 bytes/workgroup (compile time only)
; SGPRBlocks: 4
; VGPRBlocks: 15
; NumSGPRsForWavesPerEU: 38
; NumVGPRsForWavesPerEU: 63
; Occupancy: 4
; WaveLimiterHint : 1
; COMPUTE_PGM_RSRC2:SCRATCH_EN: 0
; COMPUTE_PGM_RSRC2:USER_SGPR: 6
; COMPUTE_PGM_RSRC2:TRAP_HANDLER: 0
; COMPUTE_PGM_RSRC2:TGID_X_EN: 1
; COMPUTE_PGM_RSRC2:TGID_Y_EN: 1
; COMPUTE_PGM_RSRC2:TGID_Z_EN: 1
; COMPUTE_PGM_RSRC2:TIDIG_COMP_CNT: 0
	.section	.text._ZN4vllm25paged_attention_v1_kernelI14__hip_bfloat16S1_Li128ELi16ELi128ELNS_18Fp8KVCacheDataTypeE0ELb0EEEvPT_PKS3_PKT0_S9_ifPKiSB_iPKfiiiSD_SD_iiiii,"axG",@progbits,_ZN4vllm25paged_attention_v1_kernelI14__hip_bfloat16S1_Li128ELi16ELi128ELNS_18Fp8KVCacheDataTypeE0ELb0EEEvPT_PKS3_PKT0_S9_ifPKiSB_iPKfiiiSD_SD_iiiii,comdat
	.protected	_ZN4vllm25paged_attention_v1_kernelI14__hip_bfloat16S1_Li128ELi16ELi128ELNS_18Fp8KVCacheDataTypeE0ELb0EEEvPT_PKS3_PKT0_S9_ifPKiSB_iPKfiiiSD_SD_iiiii ; -- Begin function _ZN4vllm25paged_attention_v1_kernelI14__hip_bfloat16S1_Li128ELi16ELi128ELNS_18Fp8KVCacheDataTypeE0ELb0EEEvPT_PKS3_PKT0_S9_ifPKiSB_iPKfiiiSD_SD_iiiii
	.globl	_ZN4vllm25paged_attention_v1_kernelI14__hip_bfloat16S1_Li128ELi16ELi128ELNS_18Fp8KVCacheDataTypeE0ELb0EEEvPT_PKS3_PKT0_S9_ifPKiSB_iPKfiiiSD_SD_iiiii
	.p2align	8
	.type	_ZN4vllm25paged_attention_v1_kernelI14__hip_bfloat16S1_Li128ELi16ELi128ELNS_18Fp8KVCacheDataTypeE0ELb0EEEvPT_PKS3_PKT0_S9_ifPKiSB_iPKfiiiSD_SD_iiiii,@function
_ZN4vllm25paged_attention_v1_kernelI14__hip_bfloat16S1_Li128ELi16ELi128ELNS_18Fp8KVCacheDataTypeE0ELb0EEEvPT_PKS3_PKT0_S9_ifPKiSB_iPKfiiiSD_SD_iiiii: ; @_ZN4vllm25paged_attention_v1_kernelI14__hip_bfloat16S1_Li128ELi16ELi128ELNS_18Fp8KVCacheDataTypeE0ELb0EEEvPT_PKS3_PKT0_S9_ifPKiSB_iPKfiiiSD_SD_iiiii
; %bb.0:
	s_load_dword s9, s[4:5], 0x80
	s_load_dwordx2 s[0:1], s[4:5], 0x30
	s_load_dwordx2 s[10:11], s[4:5], 0x20
	s_mov_b32 s16, s7
	s_ashr_i32 s17, s7, 31
	s_lshl_b64 s[2:3], s[16:17], 2
	s_waitcnt lgkmcnt(0)
	s_add_u32 s0, s0, s2
	s_addc_u32 s1, s1, s3
	s_abs_i32 s2, s10
	v_cvt_f32_u32_e32 v1, s2
	s_xor_b32 s3, s9, s10
	s_sub_i32 s10, 0, s2
	s_abs_i32 s7, s9
	v_rcp_iflag_f32_e32 v1, v1
	s_ashr_i32 s3, s3, 31
	v_mul_f32_e32 v1, 0x4f7ffffe, v1
	v_cvt_u32_f32_e32 v1, v1
	v_readfirstlane_b32 s12, v1
	s_mul_i32 s10, s10, s12
	s_mul_hi_u32 s10, s12, s10
	s_add_i32 s12, s12, s10
	s_mul_hi_u32 s10, s7, s12
	s_mul_i32 s12, s10, s2
	s_sub_i32 s7, s7, s12
	s_add_i32 s12, s10, 1
	s_sub_i32 s13, s7, s2
	s_cmp_ge_u32 s7, s2
	s_cselect_b32 s10, s12, s10
	s_cselect_b32 s7, s13, s7
	s_add_i32 s12, s10, 1
	s_cmp_ge_u32 s7, s2
	s_cselect_b32 s2, s12, s10
	s_xor_b32 s2, s2, s3
	s_sub_i32 s12, s2, s3
	s_abs_i32 s17, s12
	v_cvt_f32_u32_e32 v1, s17
	s_load_dwordx2 s[2:3], s[4:5], 0x40
	s_sub_i32 s7, 0, s17
	s_abs_i32 s20, s6
	v_rcp_iflag_f32_e32 v1, v1
	s_mov_b32 s10, 0
	v_mul_f32_e32 v1, 0x4f7ffffe, v1
	v_cvt_u32_f32_e32 v1, v1
	v_readfirstlane_b32 s13, v1
	s_mul_i32 s7, s7, s13
	s_mul_hi_u32 s7, s13, s7
	s_add_i32 s13, s13, s7
	s_waitcnt lgkmcnt(0)
	s_cmp_eq_u64 s[2:3], 0
	s_mul_hi_u32 s21, s20, s13
	s_cbranch_scc1 .LBB141_2
; %bb.1:
	s_ashr_i32 s7, s6, 31
	s_lshl_b64 s[14:15], s[6:7], 2
	s_add_u32 s2, s2, s14
	s_addc_u32 s3, s3, s15
	s_load_dword s10, s[2:3], 0x0
.LBB141_2:
	s_load_dword s33, s[0:1], 0x0
	s_ashr_i32 s24, s12, 31
	s_load_dwordx4 s[12:15], s[4:5], 0x48
	s_ashr_i32 s7, s6, 31
	v_and_b32_e32 v1, 3, v0
	s_lshl_b32 s18, s6, 7
	v_cmp_gt_u32_e64 s[0:1], 64, v0
	v_lshlrev_b32_e32 v2, 2, v0
	s_and_saveexec_b64 s[2:3], s[0:1]
	s_cbranch_execz .LBB141_4
; %bb.3:
	s_load_dwordx2 s[22:23], s[4:5], 0x8
	s_waitcnt lgkmcnt(0)
	s_mul_i32 s26, s12, s16
	s_ashr_i32 s27, s26, 31
	s_lshl_b64 s[26:27], s[26:27], 1
	v_and_b32_e32 v4, 0x3fc, v0
	s_add_u32 s6, s22, s26
	s_addc_u32 s12, s23, s27
	s_ashr_i32 s19, s18, 31
	s_lshl_b64 s[22:23], s[18:19], 1
	s_add_u32 s22, s6, s22
	s_addc_u32 s23, s12, s23
	global_load_dword v3, v2, s[22:23]
	v_lshl_add_u32 v4, v1, 6, v4
	s_waitcnt vmcnt(0)
	ds_write_b32 v4, v3
.LBB141_4:
	s_or_b64 exec, exec, s[2:3]
	s_waitcnt lgkmcnt(0)
	s_add_i32 s3, s33, 15
	s_ashr_i32 s6, s3, 31
	s_lshr_b32 s6, s6, 28
	s_add_i32 s3, s3, s6
	s_mul_i32 s6, s21, s17
	s_sub_i32 s6, s20, s6
	s_ashr_i32 s19, s3, 4
	s_xor_b32 s3, s7, s24
	s_add_i32 s7, s21, 1
	s_sub_i32 s12, s6, s17
	s_load_dwordx2 s[22:23], s[4:5], 0x28
	s_load_dword s2, s[4:5], 0x38
	s_cmp_ge_u32 s6, s17
	s_cselect_b32 s7, s7, s21
	s_cselect_b32 s6, s12, s6
	s_add_i32 s12, s7, 1
	s_cmp_ge_u32 s6, s17
	s_cselect_b32 s6, s12, s7
	v_lshrrev_b32_e32 v27, 6, v0
	s_xor_b32 s6, s6, s3
	s_waitcnt lgkmcnt(0)
	s_mul_i32 s24, s2, s16
	s_sub_i32 s12, s6, s3
	s_ashr_i32 s25, s24, 31
	v_cmp_gt_i32_e64 s[2:3], s19, v27
	v_cmp_le_i32_e32 vcc, s19, v27
	v_mbcnt_lo_u32_b32 v43, -1, 0
	s_barrier
                                        ; implicit-def: $vgpr4
                                        ; implicit-def: $vgpr12
                                        ; implicit-def: $vgpr5
	s_and_saveexec_b64 s[6:7], vcc
	s_xor_b64 s[6:7], exec, s[6:7]
; %bb.5:
	v_mbcnt_hi_u32_b32 v4, -1, v43
	v_and_b32_e32 v12, 64, v4
	v_add_u32_e32 v5, 64, v12
                                        ; implicit-def: $vgpr2
                                        ; implicit-def: $vgpr1
                                        ; implicit-def: $vgpr43
; %bb.6:
	s_or_saveexec_b64 s[28:29], s[6:7]
	s_load_dwordx2 s[20:21], s[4:5], 0x0
	s_load_dwordx2 s[26:27], s[4:5], 0x18
	s_load_dword s17, s[4:5], 0x88
	v_mov_b32_e32 v40, 0xff7fffff
	s_mul_i32 s14, s12, s14
	v_lshrrev_b32_e32 v41, 4, v0
	s_xor_b64 exec, exec, s[28:29]
	s_cbranch_execz .LBB141_12
; %bb.7:
	s_load_dwordx2 s[4:5], s[4:5], 0x10
	s_ashr_i32 s15, s14, 31
	s_lshl_b64 s[6:7], s[14:15], 1
	v_lshlrev_b32_e32 v4, 6, v1
	v_bfe_u32 v40, v0, 2, 4
	s_waitcnt lgkmcnt(0)
	s_add_u32 s4, s4, s6
	ds_read_b128 v[11:14], v4
	ds_read_b128 v[19:22], v4 offset:16
	ds_read_b128 v[28:31], v4 offset:32
	;; [unrolled: 1-line block ×3, first 2 shown]
	s_addc_u32 s5, s5, s7
	v_lshlrev_b32_e32 v4, 4, v40
	v_mov_b32_e32 v5, s5
	v_add_co_u32_e32 v4, vcc, s4, v4
	s_sub_i32 s12, 1, s33
	s_lshl_b64 s[4:5], s[24:25], 2
	v_addc_co_u32_e32 v5, vcc, 0, v5, vcc
	s_add_u32 s4, s22, s4
	v_cmp_eq_u32_e32 vcc, 0, v1
	s_addc_u32 s5, s23, s5
	v_and_b32_e32 v1, 60, v41
	v_and_b32_e32 v6, 12, v2
	v_mov_b32_e32 v2, s5
	v_add_co_u32_e64 v1, s[4:5], s4, v1
	v_addc_co_u32_e64 v2, s[4:5], 0, v2, s[4:5]
	v_add_co_u32_e64 v41, s[4:5], v4, v6
	v_mbcnt_hi_u32_b32 v4, -1, v43
	v_and_b32_e32 v3, 64, v4
	v_addc_co_u32_e64 v42, s[4:5], 0, v5, s[4:5]
	v_add_u32_e32 v5, 64, v3
	v_xor_b32_e32 v43, 2, v4
	v_cmp_lt_i32_e64 s[4:5], v43, v5
	v_xor_b32_e32 v44, 1, v4
	v_cndmask_b32_e64 v43, v4, v43, s[4:5]
	v_cmp_lt_i32_e64 s[4:5], v44, v5
	v_lshl_or_b32 v45, v27, 4, v40
	v_lshlrev_b32_e32 v40, 2, v40
	v_cndmask_b32_e64 v44, v4, v44, s[4:5]
	v_lshl_or_b32 v40, v27, 6, v40
	s_waitcnt lgkmcnt(3)
	v_lshlrev_b32_e32 v7, 16, v11
	v_and_b32_e32 v8, 0xffff0000, v11
	v_lshlrev_b32_e32 v9, 16, v12
	v_and_b32_e32 v10, 0xffff0000, v12
	v_lshlrev_b32_e32 v11, 16, v13
	v_and_b32_e32 v12, 0xffff0000, v13
	v_lshlrev_b32_e32 v13, 16, v14
	v_and_b32_e32 v14, 0xffff0000, v14
	s_waitcnt lgkmcnt(2)
	v_lshlrev_b32_e32 v15, 16, v19
	v_and_b32_e32 v16, 0xffff0000, v19
	v_lshlrev_b32_e32 v17, 16, v20
	v_and_b32_e32 v18, 0xffff0000, v20
	v_lshlrev_b32_e32 v19, 16, v21
	v_and_b32_e32 v20, 0xffff0000, v21
	v_lshlrev_b32_e32 v21, 16, v22
	v_and_b32_e32 v22, 0xffff0000, v22
	;; [unrolled: 9-line block ×4, first 2 shown]
	s_mov_b32 s15, s13
	v_lshlrev_b32_e32 v43, 2, v43
	v_lshlrev_b32_e32 v44, 2, v44
	v_cmp_neq_f32_e64 s[4:5], s10, 0
	v_add_u32_e32 v46, 0x110, v40
	s_mov_b64 s[30:31], 0
	v_mov_b32_e32 v40, 0xff7fffff
	v_mov_b32_e32 v47, v27
	s_branch .LBB141_9
.LBB141_8:                              ;   in Loop: Header=BB141_9 Depth=1
	s_or_b64 exec, exec, s[34:35]
	v_add_u32_e32 v47, 2, v47
	v_cmp_le_i32_e64 s[6:7], s19, v47
	s_or_b64 s[30:31], s[6:7], s[30:31]
	v_add_co_u32_e64 v1, s[6:7], 8, v1
	v_add_u32_e32 v45, 32, v45
	v_add_u32_e32 v46, 0x80, v46
	v_addc_co_u32_e64 v2, s[6:7], 0, v2, s[6:7]
	s_andn2_b64 exec, exec, s[30:31]
	s_cbranch_execz .LBB141_11
.LBB141_9:                              ; =>This Inner Loop Header: Depth=1
	global_load_dword v48, v[1:2], off
	s_waitcnt vmcnt(0) lgkmcnt(0)
	v_mad_i64_i32 v[48:49], s[6:7], v48, s15, 0
	v_lshlrev_b64 v[48:49], 1, v[48:49]
	v_add_co_u32_e64 v48, s[6:7], v41, v48
	v_addc_co_u32_e64 v49, s[6:7], v42, v49, s[6:7]
	global_load_dword v55, v[48:49], off offset:256
	global_load_dword v56, v[48:49], off
	global_load_dword v57, v[48:49], off offset:512
	global_load_dword v58, v[48:49], off offset:768
	;; [unrolled: 1-line block ×14, first 2 shown]
	s_waitcnt vmcnt(15)
	v_lshlrev_b32_e32 v48, 16, v55
	v_mul_f32_e32 v48, v9, v48
	s_waitcnt vmcnt(14)
	v_lshlrev_b32_e32 v49, 16, v56
	v_fmac_f32_e32 v48, v7, v49
	v_and_b32_e32 v49, 0xffff0000, v55
	v_and_b32_e32 v56, 0xffff0000, v56
	v_mul_f32_e32 v49, v10, v49
	s_waitcnt vmcnt(13)
	v_lshlrev_b32_e32 v55, 16, v57
	v_fmac_f32_e32 v49, v8, v56
	v_fmac_f32_e32 v48, v11, v55
	v_and_b32_e32 v55, 0xffff0000, v57
	v_fmac_f32_e32 v49, v12, v55
	s_waitcnt vmcnt(12)
	v_lshlrev_b32_e32 v55, 16, v58
	v_fmac_f32_e32 v48, v13, v55
	v_and_b32_e32 v55, 0xffff0000, v58
	v_fmac_f32_e32 v49, v14, v55
	s_waitcnt vmcnt(11)
	v_lshlrev_b32_e32 v55, 16, v59
	;; [unrolled: 5-line block ×7, first 2 shown]
	v_and_b32_e32 v3, 0xffff0000, v3
	v_fmac_f32_e32 v48, v25, v55
	v_fmac_f32_e32 v49, v26, v3
	s_waitcnt vmcnt(5)
	v_lshlrev_b32_e32 v3, 16, v6
	v_fmac_f32_e32 v48, v28, v3
	v_and_b32_e32 v3, 0xffff0000, v6
	v_fmac_f32_e32 v49, v29, v3
	s_waitcnt vmcnt(4)
	v_lshlrev_b32_e32 v3, 16, v54
	v_fmac_f32_e32 v48, v30, v3
	v_and_b32_e32 v3, 0xffff0000, v54
	;; [unrolled: 5-line block ×3, first 2 shown]
	v_fmac_f32_e32 v49, v33, v3
	s_waitcnt vmcnt(2)
	v_lshlrev_b32_e32 v3, 16, v52
	v_and_b32_e32 v6, 0xffff0000, v52
	v_fmac_f32_e32 v48, v34, v3
	s_waitcnt vmcnt(1)
	v_lshlrev_b32_e32 v3, 16, v51
	v_and_b32_e32 v51, 0xffff0000, v51
	;; [unrolled: 4-line block ×3, first 2 shown]
	v_fmac_f32_e32 v48, v36, v3
	v_fmac_f32_e32 v49, v37, v51
	v_fmac_f32_e32 v48, v38, v6
	v_fmac_f32_e32 v49, v39, v50
	v_add_f32_e32 v3, v48, v49
	ds_bpermute_b32 v6, v43, v3
	s_waitcnt lgkmcnt(0)
	v_add_f32_e32 v48, v3, v6
	ds_bpermute_b32 v49, v44, v48
	s_and_saveexec_b64 s[34:35], vcc
	s_cbranch_execz .LBB141_8
; %bb.10:                               ;   in Loop: Header=BB141_9 Depth=1
	v_add_u32_e32 v3, s12, v45
	v_cvt_f32_i32_e32 v3, v3
	s_waitcnt lgkmcnt(0)
	v_add_f32_e32 v6, v48, v49
	v_max_f32_e32 v48, v40, v40
	v_cmp_gt_i32_e64 s[6:7], s33, v45
	v_mul_f32_e32 v3, s10, v3
	v_cndmask_b32_e64 v3, 0, v3, s[4:5]
	v_fmac_f32_e32 v3, s11, v6
	v_cndmask_b32_e64 v6, 0, v3, s[6:7]
	v_max_f32_e32 v3, v48, v3
	v_cndmask_b32_e64 v40, v40, v3, s[6:7]
	ds_write_b32 v46, v6
	s_branch .LBB141_8
.LBB141_11:
	s_or_b64 exec, exec, s[30:31]
	v_lshrrev_b32_e32 v41, 4, v0
	v_and_b32_e32 v12, 64, v4
.LBB141_12:
	s_or_b64 exec, exec, s[28:29]
	v_xor_b32_e32 v1, 32, v4
	v_cmp_lt_i32_e32 vcc, v1, v5
	v_cndmask_b32_e32 v1, v4, v1, vcc
	v_lshlrev_b32_e32 v1, 2, v1
	ds_bpermute_b32 v2, v1, v40
	v_xor_b32_e32 v8, 16, v4
	v_max_f32_e32 v7, v40, v40
	v_cmp_lt_i32_e32 vcc, v8, v5
	v_xor_b32_e32 v9, 8, v4
	s_waitcnt lgkmcnt(0)
	v_max_f32_e32 v2, v2, v2
	v_max_f32_e32 v7, v7, v2
	v_cndmask_b32_e32 v2, v4, v8, vcc
	v_lshlrev_b32_e32 v2, 2, v2
	ds_bpermute_b32 v8, v2, v7
	v_cmp_lt_i32_e32 vcc, v9, v5
	v_xor_b32_e32 v10, 4, v4
	v_and_b32_e32 v28, 63, v0
	s_waitcnt lgkmcnt(0)
	v_max_f32_e32 v8, v8, v8
	v_max_f32_e32 v7, v7, v8
	v_cndmask_b32_e32 v8, v4, v9, vcc
	v_lshlrev_b32_e32 v9, 2, v8
	ds_bpermute_b32 v8, v9, v7
	v_cmp_lt_i32_e32 vcc, v10, v5
	s_waitcnt lgkmcnt(0)
	v_max_f32_e32 v8, v8, v8
	v_max_f32_e32 v8, v7, v8
	v_cndmask_b32_e32 v7, v4, v10, vcc
	v_lshlrev_b32_e32 v10, 2, v7
	ds_bpermute_b32 v11, v10, v8
	v_cmp_eq_u32_e32 vcc, 0, v28
	v_lshlrev_b32_e32 v7, 2, v27
	s_and_saveexec_b64 s[4:5], vcc
	s_cbranch_execz .LBB141_14
; %bb.13:
	s_waitcnt lgkmcnt(0)
	v_max_f32_e32 v3, v11, v11
	v_max_f32_e32 v6, v8, v8
	;; [unrolled: 1-line block ×3, first 2 shown]
	ds_write_b32 v7, v3 offset:256
.LBB141_14:
	s_or_b64 exec, exec, s[4:5]
	v_cmp_gt_u32_e64 s[4:5], 2, v28
	s_waitcnt lgkmcnt(0)
	v_mov_b32_e32 v11, 0xff7fffff
	v_lshlrev_b32_e32 v8, 2, v28
	s_barrier
	s_and_saveexec_b64 s[6:7], s[4:5]
; %bb.15:
	ds_read_b32 v11, v8 offset:256
; %bb.16:
	s_or_b64 exec, exec, s[6:7]
	v_xor_b32_e32 v3, 1, v4
	v_cmp_lt_i32_e64 s[6:7], v3, v5
	v_cndmask_b32_e64 v3, v4, v3, s[6:7]
	v_lshlrev_b32_e32 v29, 2, v3
	s_waitcnt lgkmcnt(0)
	ds_bpermute_b32 v3, v29, v11
	v_max_f32_e32 v6, v11, v11
	s_lshl_b32 s6, s19, 4
	s_min_i32 s12, s6, s33
	v_cmp_gt_i32_e64 s[6:7], s12, v0
	s_waitcnt lgkmcnt(0)
	v_max_f32_e32 v3, v3, v3
	v_max_f32_e32 v3, v6, v3
	v_lshlrev_b32_e32 v6, 2, v12
	ds_bpermute_b32 v11, v6, v3
	v_mov_b32_e32 v6, 0
	s_and_saveexec_b64 s[28:29], s[6:7]
	s_cbranch_execz .LBB141_20
; %bb.17:
	v_mov_b32_e32 v3, 0x110
	v_lshl_add_u32 v12, v0, 2, v3
	v_mov_b32_e32 v6, 0
	s_mov_b64 s[30:31], 0
	v_mov_b32_e32 v13, v0
.LBB141_18:                             ; =>This Inner Loop Header: Depth=1
	ds_read_b32 v3, v12
	v_add_u32_e32 v13, 0x80, v13
	v_cmp_le_i32_e64 s[10:11], s12, v13
	s_or_b64 s[30:31], s[10:11], s[30:31]
	s_waitcnt lgkmcnt(0)
	v_sub_f32_e32 v3, v3, v11
	v_mul_f32_e32 v3, 0x3fb8aa3b, v3
	v_exp_f32_e32 v3, v3
	ds_write_b32 v12, v3
	v_add_f32_e32 v6, v6, v3
	v_add_u32_e32 v12, 0x200, v12
	s_andn2_b64 exec, exec, s[30:31]
	s_cbranch_execnz .LBB141_18
; %bb.19:
	s_or_b64 exec, exec, s[30:31]
.LBB141_20:
	s_or_b64 exec, exec, s[28:29]
	ds_bpermute_b32 v1, v1, v6
	v_xor_b32_e32 v3, 2, v4
	v_cmp_lt_i32_e64 s[10:11], v3, v5
	v_cndmask_b32_e64 v3, v4, v3, s[10:11]
	s_waitcnt lgkmcnt(0)
	v_add_f32_e32 v1, v6, v1
	ds_bpermute_b32 v2, v2, v1
	s_waitcnt lgkmcnt(0)
	v_add_f32_e32 v1, v1, v2
	ds_bpermute_b32 v2, v9, v1
	;; [unrolled: 3-line block ×3, first 2 shown]
	s_waitcnt lgkmcnt(0)
	v_add_f32_e32 v1, v1, v2
	v_lshlrev_b32_e32 v2, 2, v3
	ds_bpermute_b32 v2, v2, v1
	s_waitcnt lgkmcnt(0)
	v_add_f32_e32 v1, v1, v2
	ds_bpermute_b32 v2, v29, v1
	s_waitcnt lgkmcnt(0)
	v_add_f32_e32 v1, v1, v2
	s_and_saveexec_b64 s[10:11], vcc
; %bb.21:
	ds_write_b32 v7, v1 offset:264
; %bb.22:
	s_or_b64 exec, exec, s[10:11]
	s_waitcnt lgkmcnt(0)
	s_barrier
	s_and_saveexec_b64 s[10:11], s[4:5]
; %bb.23:
	ds_read_b32 v1, v8 offset:264
; %bb.24:
	s_or_b64 exec, exec, s[10:11]
	s_waitcnt lgkmcnt(0)
	ds_bpermute_b32 v2, v29, v1
	v_lshlrev_b32_e32 v3, 2, v4
	s_waitcnt lgkmcnt(0)
	v_add_f32_e32 v1, v1, v2
	v_and_b32_e32 v2, 0xffffff00, v3
	ds_bpermute_b32 v1, v2, v1
	s_and_saveexec_b64 s[4:5], s[6:7]
	s_cbranch_execz .LBB141_27
; %bb.25:
	s_waitcnt lgkmcnt(0)
	v_add_f32_e32 v2, 0x358637bd, v1
	v_div_scale_f32 v1, s[6:7], v2, v2, 1.0
	v_div_scale_f32 v3, vcc, 1.0, v2, 1.0
	s_mov_b64 s[6:7], 0
	v_rcp_f32_e32 v4, v1
	v_fma_f32 v5, -v1, v4, 1.0
	v_fmac_f32_e32 v4, v5, v4
	v_mul_f32_e32 v5, v3, v4
	v_fma_f32 v6, -v1, v5, v3
	v_fmac_f32_e32 v5, v6, v4
	v_fma_f32 v1, -v1, v5, v3
	v_div_fmas_f32 v3, v1, v4, v5
	v_mov_b32_e32 v1, 0x110
	v_lshl_add_u32 v1, v0, 2, v1
	v_mov_b32_e32 v4, v0
	v_div_fixup_f32 v2, v3, v2, 1.0
.LBB141_26:                             ; =>This Inner Loop Header: Depth=1
	ds_read_b32 v3, v1
	v_add_u32_e32 v4, 0x80, v4
	v_cmp_le_i32_e32 vcc, s12, v4
	s_or_b64 s[6:7], vcc, s[6:7]
	s_waitcnt lgkmcnt(0)
	v_mul_f32_e32 v3, v2, v3
	ds_write_b32 v1, v3
	v_add_u32_e32 v1, 0x200, v1
	s_andn2_b64 exec, exec, s[6:7]
	s_cbranch_execnz .LBB141_26
.LBB141_27:
	s_or_b64 exec, exec, s[4:5]
	v_mov_b32_e32 v32, 0
	v_and_b32_e32 v30, 1, v0
	v_mov_b32_e32 v34, 0
	v_mov_b32_e32 v33, 0
	;; [unrolled: 1-line block ×3, first 2 shown]
	s_waitcnt lgkmcnt(0)
	s_barrier
	s_and_saveexec_b64 s[6:7], s[2:3]
	s_cbranch_execz .LBB141_39
; %bb.28:
	s_ashr_i32 s15, s14, 31
	s_lshl_b64 s[2:3], s[14:15], 1
	v_lshlrev_b32_e32 v1, 3, v0
	s_add_u32 s2, s26, s2
	v_lshlrev_b32_e32 v2, 4, v0
	v_and_b32_e32 v1, 8, v1
	s_addc_u32 s3, s27, s3
	v_and_b32_e32 v2, 0x3f0, v2
	s_add_i32 s14, s19, -1
	v_mov_b32_e32 v3, s3
	v_add_co_u32_e32 v36, vcc, s2, v2
	v_lshl_or_b32 v38, v27, 4, v1
	v_lshlrev_b32_e32 v1, 5, v30
	s_lshl_b64 s[2:3], s[24:25], 2
	v_lshl_or_b32 v1, v27, 6, v1
	s_add_u32 s2, s22, s2
	v_addc_co_u32_e32 v37, vcc, 0, v3, vcc
	v_add_u32_e32 v39, 0x110, v1
	v_and_b32_e32 v1, 60, v41
	s_addc_u32 s3, s23, s3
	v_mov_b32_e32 v2, s3
	v_add_co_u32_e32 v25, vcc, s2, v1
	s_mov_b32 s28, s13
	v_mov_b32_e32 v35, 0
	s_mov_b32 s15, s33
	v_addc_co_u32_e32 v26, vcc, 0, v2, vcc
	s_mov_b64 s[10:11], 0
	s_mov_b32 s22, 0x5040100
	s_movk_i32 s23, 0x7fff
	v_mov_b32_e32 v31, 0
	v_mov_b32_e32 v33, 0
	;; [unrolled: 1-line block ×4, first 2 shown]
	s_branch .LBB141_30
.LBB141_29:                             ;   in Loop: Header=BB141_30 Depth=1
	s_or_b64 exec, exec, s[4:5]
	s_waitcnt lgkmcnt(1)
	v_bfe_u32 v40, v17, 16, 1
	v_add3_u32 v40, v40, v17, s23
	v_or_b32_e32 v41, 0x400000, v17
	v_cmp_u_f32_e32 vcc, v17, v17
	v_cndmask_b32_e32 v17, v40, v41, vcc
	v_bfe_u32 v40, v18, 16, 1
	v_add3_u32 v40, v40, v18, s23
	v_or_b32_e32 v41, 0x400000, v18
	v_cmp_u_f32_e32 vcc, v18, v18
	v_cndmask_b32_e32 v18, v40, v41, vcc
	v_bfe_u32 v40, v19, 16, 1
	v_add3_u32 v40, v40, v19, s23
	v_or_b32_e32 v41, 0x400000, v19
	v_cmp_u_f32_e32 vcc, v19, v19
	v_cndmask_b32_e32 v19, v40, v41, vcc
	v_bfe_u32 v40, v20, 16, 1
	v_add3_u32 v40, v40, v20, s23
	v_or_b32_e32 v41, 0x400000, v20
	v_cmp_u_f32_e32 vcc, v20, v20
	v_cndmask_b32_e32 v20, v40, v41, vcc
	s_waitcnt lgkmcnt(0)
	v_bfe_u32 v40, v13, 16, 1
	v_add3_u32 v40, v40, v13, s23
	v_or_b32_e32 v41, 0x400000, v13
	v_cmp_u_f32_e32 vcc, v13, v13
	v_bfe_u32 v13, v14, 16, 1
	v_cndmask_b32_e32 v40, v40, v41, vcc
	v_add3_u32 v13, v13, v14, s23
	v_or_b32_e32 v41, 0x400000, v14
	v_cmp_u_f32_e32 vcc, v14, v14
	v_cndmask_b32_e32 v41, v13, v41, vcc
	v_bfe_u32 v13, v15, 16, 1
	v_add3_u32 v13, v13, v15, s23
	v_or_b32_e32 v14, 0x400000, v15
	v_cmp_u_f32_e32 vcc, v15, v15
	v_cndmask_b32_e32 v42, v13, v14, vcc
	v_bfe_u32 v13, v16, 16, 1
	v_add3_u32 v13, v13, v16, s23
	v_or_b32_e32 v14, 0x400000, v16
	v_cmp_u_f32_e32 vcc, v16, v16
	v_cndmask_b32_e32 v16, v13, v14, vcc
	v_and_b32_e32 v13, 0xffff0000, v18
	s_waitcnt vmcnt(1)
	v_and_b32_e32 v14, 0xffff0000, v21
	v_mul_f32_e32 v14, v13, v14
	v_bfe_u32 v15, v14, 16, 1
	v_add3_u32 v15, v15, v14, s23
	v_or_b32_e32 v18, 0x400000, v14
	v_cmp_u_f32_e32 vcc, v14, v14
	v_and_b32_e32 v17, 0xffff0000, v17
	v_lshlrev_b32_e32 v14, 16, v21
	v_mul_f32_e32 v14, v17, v14
	v_cndmask_b32_e32 v43, v15, v18, vcc
	v_bfe_u32 v15, v14, 16, 1
	v_add3_u32 v15, v15, v14, s23
	v_or_b32_e32 v18, 0x400000, v14
	v_cmp_u_f32_e32 vcc, v14, v14
	v_cndmask_b32_e32 v21, v15, v18, vcc
	v_and_b32_e32 v14, 0xffff0000, v20
	v_and_b32_e32 v15, 0xffff0000, v22
	v_mul_f32_e32 v15, v14, v15
	v_bfe_u32 v18, v15, 16, 1
	v_add3_u32 v18, v18, v15, s23
	v_or_b32_e32 v20, 0x400000, v15
	v_cmp_u_f32_e32 vcc, v15, v15
	v_cndmask_b32_e32 v44, v18, v20, vcc
	v_and_b32_e32 v18, 0xffff0000, v19
	v_lshlrev_b32_e32 v15, 16, v22
	v_mul_f32_e32 v15, v18, v15
	v_bfe_u32 v19, v15, 16, 1
	v_add3_u32 v19, v19, v15, s23
	v_or_b32_e32 v20, 0x400000, v15
	v_cmp_u_f32_e32 vcc, v15, v15
	v_cndmask_b32_e32 v22, v19, v20, vcc
	v_and_b32_e32 v15, 0xffff0000, v41
	v_and_b32_e32 v19, 0xffff0000, v23
	v_mul_f32_e32 v19, v15, v19
	v_bfe_u32 v20, v19, 16, 1
	v_add3_u32 v20, v20, v19, s23
	v_or_b32_e32 v41, 0x400000, v19
	v_cmp_u_f32_e32 vcc, v19, v19
	v_cndmask_b32_e32 v41, v20, v41, vcc
	v_and_b32_e32 v19, 0xffff0000, v40
	v_lshlrev_b32_e32 v20, 16, v23
	v_mul_f32_e32 v20, v19, v20
	v_bfe_u32 v23, v20, 16, 1
	v_add3_u32 v23, v23, v20, s23
	v_or_b32_e32 v40, 0x400000, v20
	v_cmp_u_f32_e32 vcc, v20, v20
	v_and_b32_e32 v16, 0xffff0000, v16
	v_and_b32_e32 v20, 0xffff0000, v24
	v_mul_f32_e32 v20, v16, v20
	v_cndmask_b32_e32 v23, v23, v40, vcc
	v_bfe_u32 v40, v20, 16, 1
	v_add3_u32 v40, v40, v20, s23
	v_or_b32_e32 v45, 0x400000, v20
	v_cmp_u_f32_e32 vcc, v20, v20
	v_and_b32_e32 v20, 0xffff0000, v42
	v_lshlrev_b32_e32 v24, 16, v24
	v_mul_f32_e32 v24, v20, v24
	v_bfe_u32 v42, v24, 16, 1
	v_cndmask_b32_e32 v40, v40, v45, vcc
	v_add3_u32 v42, v42, v24, s23
	v_or_b32_e32 v45, 0x400000, v24
	v_cmp_u_f32_e32 vcc, v24, v24
	v_cndmask_b32_e32 v24, v42, v45, vcc
	v_and_b32_e32 v21, 0xffff0000, v21
	v_and_b32_e32 v42, 0xffff0000, v43
	v_add_f32_e32 v21, v21, v42
	v_and_b32_e32 v22, 0xffff0000, v22
	v_and_b32_e32 v42, 0xffff0000, v44
	v_add_f32_e32 v22, v22, v42
	v_add_f32_e32 v21, v22, v21
	v_and_b32_e32 v22, 0xffff0000, v23
	v_and_b32_e32 v23, 0xffff0000, v41
	v_add_f32_e32 v22, v22, v23
	;; [unrolled: 4-line block ×3, first 2 shown]
	v_add_f32_e32 v21, v22, v21
	v_add_f32_e32 v33, v33, v21
	v_and_b32_e32 v21, 0xffff0000, v9
	v_mul_f32_e32 v21, v13, v21
	v_bfe_u32 v22, v21, 16, 1
	v_lshlrev_b32_e32 v9, 16, v9
	v_add3_u32 v22, v22, v21, s23
	v_or_b32_e32 v23, 0x400000, v21
	v_cmp_u_f32_e32 vcc, v21, v21
	v_mul_f32_e32 v9, v17, v9
	v_cndmask_b32_e32 v21, v22, v23, vcc
	v_bfe_u32 v22, v9, 16, 1
	v_add3_u32 v22, v22, v9, s23
	v_or_b32_e32 v23, 0x400000, v9
	v_cmp_u_f32_e32 vcc, v9, v9
	v_cndmask_b32_e32 v9, v22, v23, vcc
	v_and_b32_e32 v22, 0xffff0000, v10
	v_mul_f32_e32 v22, v14, v22
	v_bfe_u32 v23, v22, 16, 1
	v_lshlrev_b32_e32 v10, 16, v10
	v_add3_u32 v23, v23, v22, s23
	v_or_b32_e32 v24, 0x400000, v22
	v_cmp_u_f32_e32 vcc, v22, v22
	v_mul_f32_e32 v10, v18, v10
	v_cndmask_b32_e32 v22, v23, v24, vcc
	v_bfe_u32 v23, v10, 16, 1
	v_add3_u32 v23, v23, v10, s23
	v_or_b32_e32 v24, 0x400000, v10
	v_cmp_u_f32_e32 vcc, v10, v10
	v_cndmask_b32_e32 v10, v23, v24, vcc
	;; [unrolled: 14-line block ×3, first 2 shown]
	v_and_b32_e32 v24, 0xffff0000, v12
	v_mul_f32_e32 v24, v16, v24
	v_bfe_u32 v40, v24, 16, 1
	v_lshlrev_b32_e32 v12, 16, v12
	v_and_b32_e32 v9, 0xffff0000, v9
	v_and_b32_e32 v21, 0xffff0000, v21
	v_add3_u32 v40, v40, v24, s23
	v_or_b32_e32 v41, 0x400000, v24
	v_cmp_u_f32_e32 vcc, v24, v24
	v_mul_f32_e32 v12, v20, v12
	v_add_f32_e32 v9, v9, v21
	v_and_b32_e32 v10, 0xffff0000, v10
	v_and_b32_e32 v21, 0xffff0000, v22
	v_cndmask_b32_e32 v24, v40, v41, vcc
	v_bfe_u32 v40, v12, 16, 1
	v_add_f32_e32 v10, v10, v21
	v_add3_u32 v40, v40, v12, s23
	v_or_b32_e32 v41, 0x400000, v12
	v_cmp_u_f32_e32 vcc, v12, v12
	v_add_f32_e32 v9, v10, v9
	v_and_b32_e32 v10, 0xffff0000, v11
	v_and_b32_e32 v11, 0xffff0000, v23
	v_cndmask_b32_e32 v12, v40, v41, vcc
	v_add_f32_e32 v10, v10, v11
	v_add_f32_e32 v9, v10, v9
	v_and_b32_e32 v10, 0xffff0000, v12
	v_and_b32_e32 v11, 0xffff0000, v24
	v_add_f32_e32 v10, v10, v11
	v_add_f32_e32 v9, v10, v9
	;; [unrolled: 1-line block ×3, first 2 shown]
	v_and_b32_e32 v9, 0xffff0000, v1
	v_mul_f32_e32 v9, v13, v9
	v_bfe_u32 v10, v9, 16, 1
	v_lshlrev_b32_e32 v1, 16, v1
	v_add3_u32 v10, v10, v9, s23
	v_or_b32_e32 v11, 0x400000, v9
	v_cmp_u_f32_e32 vcc, v9, v9
	v_mul_f32_e32 v1, v17, v1
	v_cndmask_b32_e32 v9, v10, v11, vcc
	v_bfe_u32 v10, v1, 16, 1
	v_add3_u32 v10, v10, v1, s23
	v_or_b32_e32 v11, 0x400000, v1
	v_cmp_u_f32_e32 vcc, v1, v1
	v_cndmask_b32_e32 v1, v10, v11, vcc
	v_and_b32_e32 v10, 0xffff0000, v2
	v_mul_f32_e32 v10, v14, v10
	v_bfe_u32 v11, v10, 16, 1
	v_lshlrev_b32_e32 v2, 16, v2
	v_add3_u32 v11, v11, v10, s23
	v_or_b32_e32 v12, 0x400000, v10
	v_cmp_u_f32_e32 vcc, v10, v10
	v_mul_f32_e32 v2, v18, v2
	v_cndmask_b32_e32 v10, v11, v12, vcc
	v_bfe_u32 v11, v2, 16, 1
	v_add3_u32 v11, v11, v2, s23
	v_or_b32_e32 v12, 0x400000, v2
	v_cmp_u_f32_e32 vcc, v2, v2
	v_cndmask_b32_e32 v2, v11, v12, vcc
	v_and_b32_e32 v11, 0xffff0000, v3
	v_mul_f32_e32 v11, v15, v11
	v_bfe_u32 v12, v11, 16, 1
	v_lshlrev_b32_e32 v3, 16, v3
	v_add3_u32 v12, v12, v11, s23
	v_or_b32_e32 v21, 0x400000, v11
	v_cmp_u_f32_e32 vcc, v11, v11
	v_mul_f32_e32 v3, v19, v3
	v_cndmask_b32_e32 v11, v12, v21, vcc
	v_bfe_u32 v12, v3, 16, 1
	v_add3_u32 v12, v12, v3, s23
	v_or_b32_e32 v21, 0x400000, v3
	v_cmp_u_f32_e32 vcc, v3, v3
	v_cndmask_b32_e32 v3, v12, v21, vcc
	v_and_b32_e32 v12, 0xffff0000, v4
	v_mul_f32_e32 v12, v16, v12
	v_bfe_u32 v21, v12, 16, 1
	v_lshlrev_b32_e32 v4, 16, v4
	v_and_b32_e32 v1, 0xffff0000, v1
	v_and_b32_e32 v9, 0xffff0000, v9
	v_add3_u32 v21, v21, v12, s23
	v_or_b32_e32 v22, 0x400000, v12
	v_cmp_u_f32_e32 vcc, v12, v12
	v_mul_f32_e32 v4, v20, v4
	v_add_f32_e32 v1, v1, v9
	v_and_b32_e32 v2, 0xffff0000, v2
	v_and_b32_e32 v9, 0xffff0000, v10
	v_cndmask_b32_e32 v12, v21, v22, vcc
	v_bfe_u32 v21, v4, 16, 1
	v_add_f32_e32 v2, v2, v9
	v_add3_u32 v21, v21, v4, s23
	v_or_b32_e32 v22, 0x400000, v4
	v_cmp_u_f32_e32 vcc, v4, v4
	v_add_f32_e32 v1, v2, v1
	v_and_b32_e32 v2, 0xffff0000, v3
	v_and_b32_e32 v3, 0xffff0000, v11
	v_cndmask_b32_e32 v4, v21, v22, vcc
	v_add_f32_e32 v2, v2, v3
	v_add_f32_e32 v1, v2, v1
	v_and_b32_e32 v2, 0xffff0000, v4
	v_and_b32_e32 v3, 0xffff0000, v12
	v_add_f32_e32 v2, v2, v3
	v_add_f32_e32 v1, v2, v1
	;; [unrolled: 1-line block ×3, first 2 shown]
	s_waitcnt vmcnt(0)
	v_lshlrev_b32_e32 v1, 16, v5
	v_mul_f32_e32 v1, v17, v1
	v_bfe_u32 v2, v1, 16, 1
	v_add3_u32 v2, v2, v1, s23
	v_or_b32_e32 v3, 0x400000, v1
	v_cmp_u_f32_e32 vcc, v1, v1
	v_cndmask_b32_e32 v1, v2, v3, vcc
	v_and_b32_e32 v2, 0xffff0000, v5
	v_mul_f32_e32 v2, v13, v2
	v_bfe_u32 v3, v2, 16, 1
	v_add3_u32 v3, v3, v2, s23
	v_or_b32_e32 v4, 0x400000, v2
	v_cmp_u_f32_e32 vcc, v2, v2
	v_cndmask_b32_e32 v2, v3, v4, vcc
	v_lshlrev_b32_e32 v3, 16, v6
	v_mul_f32_e32 v3, v18, v3
	v_bfe_u32 v4, v3, 16, 1
	v_add3_u32 v4, v4, v3, s23
	v_or_b32_e32 v5, 0x400000, v3
	v_cmp_u_f32_e32 vcc, v3, v3
	v_cndmask_b32_e32 v3, v4, v5, vcc
	v_and_b32_e32 v4, 0xffff0000, v6
	v_mul_f32_e32 v4, v14, v4
	v_bfe_u32 v5, v4, 16, 1
	v_add3_u32 v5, v5, v4, s23
	v_or_b32_e32 v6, 0x400000, v4
	v_cmp_u_f32_e32 vcc, v4, v4
	v_cndmask_b32_e32 v4, v5, v6, vcc
	;; [unrolled: 14-line block ×3, first 2 shown]
	v_lshlrev_b32_e32 v7, 16, v8
	v_mul_f32_e32 v7, v20, v7
	v_bfe_u32 v9, v7, 16, 1
	v_and_b32_e32 v8, 0xffff0000, v8
	v_and_b32_e32 v2, 0xffff0000, v2
	v_and_b32_e32 v1, 0xffff0000, v1
	v_add3_u32 v9, v9, v7, s23
	v_or_b32_e32 v10, 0x400000, v7
	v_cmp_u_f32_e32 vcc, v7, v7
	v_mul_f32_e32 v8, v16, v8
	v_add_f32_e32 v1, v1, v2
	v_and_b32_e32 v2, 0xffff0000, v4
	v_and_b32_e32 v3, 0xffff0000, v3
	v_cndmask_b32_e32 v7, v9, v10, vcc
	v_bfe_u32 v9, v8, 16, 1
	v_add_f32_e32 v2, v3, v2
	v_add3_u32 v9, v9, v8, s23
	v_or_b32_e32 v10, 0x400000, v8
	v_cmp_u_f32_e32 vcc, v8, v8
	v_add_f32_e32 v1, v2, v1
	v_and_b32_e32 v2, 0xffff0000, v6
	v_and_b32_e32 v3, 0xffff0000, v5
	v_cndmask_b32_e32 v8, v9, v10, vcc
	v_add_f32_e32 v2, v3, v2
	v_add_f32_e32 v1, v2, v1
	v_and_b32_e32 v2, 0xffff0000, v8
	v_and_b32_e32 v3, 0xffff0000, v7
	v_add_u32_e32 v27, 2, v27
	v_add_f32_e32 v2, v3, v2
	v_cmp_le_i32_e32 vcc, s19, v27
	v_add_f32_e32 v1, v2, v1
	s_or_b64 s[10:11], vcc, s[10:11]
	v_add_co_u32_e32 v25, vcc, 8, v25
	v_add_f32_e32 v31, v31, v1
	v_add_u32_e32 v38, 32, v38
	v_add_u32_e32 v39, 0x80, v39
	v_addc_co_u32_e32 v26, vcc, 0, v26, vcc
	s_andn2_b64 exec, exec, s[10:11]
	s_cbranch_execz .LBB141_38
.LBB141_30:                             ; =>This Inner Loop Header: Depth=1
	global_load_dword v1, v[25:26], off
	v_add_u32_e32 v46, 1, v38
	v_or_b32_e32 v44, 3, v38
	v_or_b32_e32 v45, 2, v38
	;; [unrolled: 1-line block ×6, first 2 shown]
	s_waitcnt vmcnt(0)
	v_mad_i64_i32 v[1:2], s[2:3], v1, s28, 0
	v_cmp_eq_u32_e64 s[2:3], s14, v27
	v_lshlrev_b64 v[1:2], 1, v[1:2]
	v_add_co_u32_e32 v5, vcc, v36, v1
	v_addc_co_u32_e32 v6, vcc, v37, v2, vcc
	global_load_dwordx4 v[1:4], v[5:6], off
	ds_read2_b64 v[17:20], v39 offset1:1
	ds_read2_b64 v[13:16], v39 offset0:2 offset1:3
	s_and_saveexec_b64 s[12:13], s[2:3]
	s_cbranch_execnz .LBB141_34
; %bb.31:                               ;   in Loop: Header=BB141_30 Depth=1
	s_or_b64 exec, exec, s[12:13]
	global_load_dwordx4 v[9:12], v[5:6], off offset:1024
	s_and_saveexec_b64 s[12:13], s[2:3]
	s_cbranch_execnz .LBB141_35
.LBB141_32:                             ;   in Loop: Header=BB141_30 Depth=1
	s_or_b64 exec, exec, s[12:13]
	global_load_dwordx4 v[21:24], v[5:6], off offset:2048
	s_and_saveexec_b64 s[12:13], s[2:3]
	s_cbranch_execnz .LBB141_36
.LBB141_33:                             ;   in Loop: Header=BB141_30 Depth=1
	s_or_b64 exec, exec, s[12:13]
	global_load_dwordx4 v[5:8], v[5:6], off offset:3072
	s_and_saveexec_b64 s[4:5], s[2:3]
	s_cbranch_execz .LBB141_29
	s_branch .LBB141_37
.LBB141_34:                             ;   in Loop: Header=BB141_30 Depth=1
	v_cmp_gt_i32_e32 vcc, s15, v46
	s_waitcnt vmcnt(0)
	v_cndmask_b32_sdwa v7, v35, v1, vcc dst_sel:DWORD dst_unused:UNUSED_PAD src0_sel:DWORD src1_sel:WORD_1
	v_cmp_gt_i32_e32 vcc, s33, v38
	v_cndmask_b32_e32 v1, 0, v1, vcc
	v_cmp_gt_i32_e32 vcc, s15, v44
	v_cmp_gt_i32_e64 s[4:5], s33, v45
	v_perm_b32 v1, v7, v1, s22
	v_cndmask_b32_e64 v7, 0, v2, s[4:5]
	v_cndmask_b32_sdwa v2, v35, v2, vcc dst_sel:DWORD dst_unused:UNUSED_PAD src0_sel:DWORD src1_sel:WORD_1
	v_cmp_gt_i32_e32 vcc, s15, v42
	v_cmp_gt_i32_e64 s[4:5], s33, v43
	v_perm_b32 v2, v2, v7, s22
	v_cndmask_b32_e64 v7, 0, v3, s[4:5]
	v_cndmask_b32_sdwa v3, v35, v3, vcc dst_sel:DWORD dst_unused:UNUSED_PAD src0_sel:DWORD src1_sel:WORD_1
	;; [unrolled: 5-line block ×3, first 2 shown]
	v_perm_b32 v4, v4, v7, s22
	s_or_b64 exec, exec, s[12:13]
	global_load_dwordx4 v[9:12], v[5:6], off offset:1024
	s_and_saveexec_b64 s[12:13], s[2:3]
	s_cbranch_execz .LBB141_32
.LBB141_35:                             ;   in Loop: Header=BB141_30 Depth=1
	v_cmp_gt_i32_e32 vcc, s15, v46
	s_waitcnt vmcnt(0)
	v_cndmask_b32_sdwa v7, v35, v9, vcc dst_sel:DWORD dst_unused:UNUSED_PAD src0_sel:DWORD src1_sel:WORD_1
	v_cmp_gt_i32_e32 vcc, s33, v38
	v_cndmask_b32_e32 v8, 0, v9, vcc
	v_cmp_gt_i32_e32 vcc, s15, v44
	v_cmp_gt_i32_e64 s[4:5], s33, v45
	v_perm_b32 v9, v7, v8, s22
	v_cndmask_b32_e64 v7, 0, v10, s[4:5]
	v_cndmask_b32_sdwa v8, v35, v10, vcc dst_sel:DWORD dst_unused:UNUSED_PAD src0_sel:DWORD src1_sel:WORD_1
	v_cmp_gt_i32_e32 vcc, s15, v42
	v_cmp_gt_i32_e64 s[4:5], s33, v43
	v_perm_b32 v10, v8, v7, s22
	v_cndmask_b32_e64 v7, 0, v11, s[4:5]
	v_cndmask_b32_sdwa v8, v35, v11, vcc dst_sel:DWORD dst_unused:UNUSED_PAD src0_sel:DWORD src1_sel:WORD_1
	;; [unrolled: 5-line block ×3, first 2 shown]
	v_perm_b32 v12, v8, v7, s22
	s_or_b64 exec, exec, s[12:13]
	global_load_dwordx4 v[21:24], v[5:6], off offset:2048
	s_and_saveexec_b64 s[12:13], s[2:3]
	s_cbranch_execz .LBB141_33
.LBB141_36:                             ;   in Loop: Header=BB141_30 Depth=1
	v_cmp_gt_i32_e32 vcc, s15, v46
	s_waitcnt vmcnt(0)
	v_cndmask_b32_sdwa v7, v35, v21, vcc dst_sel:DWORD dst_unused:UNUSED_PAD src0_sel:DWORD src1_sel:WORD_1
	v_cmp_gt_i32_e32 vcc, s33, v38
	v_cndmask_b32_e32 v8, 0, v21, vcc
	v_cmp_gt_i32_e32 vcc, s15, v44
	v_cmp_gt_i32_e64 s[4:5], s33, v45
	v_perm_b32 v21, v7, v8, s22
	v_cndmask_b32_e64 v7, 0, v22, s[4:5]
	v_cndmask_b32_sdwa v8, v35, v22, vcc dst_sel:DWORD dst_unused:UNUSED_PAD src0_sel:DWORD src1_sel:WORD_1
	v_cmp_gt_i32_e32 vcc, s15, v42
	v_cmp_gt_i32_e64 s[4:5], s33, v43
	v_perm_b32 v22, v8, v7, s22
	v_cndmask_b32_e64 v7, 0, v23, s[4:5]
	v_cndmask_b32_sdwa v8, v35, v23, vcc dst_sel:DWORD dst_unused:UNUSED_PAD src0_sel:DWORD src1_sel:WORD_1
	;; [unrolled: 5-line block ×3, first 2 shown]
	v_perm_b32 v24, v8, v7, s22
	s_or_b64 exec, exec, s[12:13]
	global_load_dwordx4 v[5:8], v[5:6], off offset:3072
	s_and_saveexec_b64 s[4:5], s[2:3]
	s_cbranch_execz .LBB141_29
.LBB141_37:                             ;   in Loop: Header=BB141_30 Depth=1
	v_cmp_gt_i32_e32 vcc, s15, v46
	s_waitcnt vmcnt(0)
	v_cndmask_b32_sdwa v46, v35, v5, vcc dst_sel:DWORD dst_unused:UNUSED_PAD src0_sel:DWORD src1_sel:WORD_1
	v_cmp_gt_i32_e32 vcc, s33, v38
	v_cndmask_b32_e32 v5, 0, v5, vcc
	v_cmp_gt_i32_e32 vcc, s15, v44
	v_cmp_gt_i32_e64 s[2:3], s33, v45
	v_cndmask_b32_e64 v44, 0, v6, s[2:3]
	v_cndmask_b32_sdwa v6, v35, v6, vcc dst_sel:DWORD dst_unused:UNUSED_PAD src0_sel:DWORD src1_sel:WORD_1
	v_cmp_gt_i32_e32 vcc, s15, v42
	v_cmp_gt_i32_e64 s[2:3], s33, v43
	v_cndmask_b32_e64 v42, 0, v7, s[2:3]
	v_cndmask_b32_sdwa v7, v35, v7, vcc dst_sel:DWORD dst_unused:UNUSED_PAD src0_sel:DWORD src1_sel:WORD_1
	v_cmp_gt_i32_e32 vcc, s15, v40
	v_cmp_gt_i32_e64 s[2:3], s33, v41
	v_cndmask_b32_e64 v40, 0, v8, s[2:3]
	v_cndmask_b32_sdwa v8, v35, v8, vcc dst_sel:DWORD dst_unused:UNUSED_PAD src0_sel:DWORD src1_sel:WORD_1
	v_perm_b32 v5, v46, v5, s22
	v_perm_b32 v6, v6, v44, s22
	;; [unrolled: 1-line block ×4, first 2 shown]
	s_branch .LBB141_29
.LBB141_38:
	s_or_b64 exec, exec, s[10:11]
.LBB141_39:
	s_or_b64 exec, exec, s[6:7]
	ds_bpermute_b32 v2, v29, v34
	ds_bpermute_b32 v5, v29, v33
	;; [unrolled: 1-line block ×4, first 2 shown]
	s_waitcnt lgkmcnt(0)
	v_add_f32_e32 v3, v34, v2
	v_add_f32_e32 v2, v33, v5
	v_and_b32_e32 v5, 0x3c1, v0
	v_add_f32_e32 v4, v32, v1
	v_add_f32_e32 v1, v31, v6
	v_cmp_eq_u32_e32 vcc, 64, v5
	s_barrier
	s_and_saveexec_b64 s[2:3], vcc
	s_cbranch_execz .LBB141_41
; %bb.40:
	v_mov_b32_e32 v6, 0x110
	v_lshl_add_u32 v6, v28, 1, v6
	ds_write2_b32 v6, v4, v3 offset1:32
	ds_write2_b32 v6, v2, v1 offset0:64 offset1:96
.LBB141_41:
	s_or_b64 exec, exec, s[2:3]
	v_lshrrev_b32_e32 v0, 1, v0
	s_waitcnt lgkmcnt(0)
	s_barrier
	s_and_saveexec_b64 s[2:3], s[0:1]
	s_cbranch_execz .LBB141_48
; %bb.42:
	v_mov_b32_e32 v6, 0x110
	v_cmp_eq_u32_e32 vcc, 0, v30
	v_lshl_add_u32 v6, v0, 2, v6
	s_and_saveexec_b64 s[0:1], vcc
	s_cbranch_execnz .LBB141_51
; %bb.43:
	s_or_b64 exec, exec, s[0:1]
	s_and_saveexec_b64 s[0:1], vcc
	s_cbranch_execnz .LBB141_52
.LBB141_44:
	s_or_b64 exec, exec, s[0:1]
	s_and_saveexec_b64 s[0:1], vcc
	s_cbranch_execnz .LBB141_53
.LBB141_45:
	s_or_b64 exec, exec, s[0:1]
	s_and_saveexec_b64 s[0:1], vcc
	s_cbranch_execz .LBB141_47
.LBB141_46:
	ds_read_b32 v6, v6 offset:384
	s_waitcnt lgkmcnt(0)
	v_add_f32_e32 v1, v1, v6
.LBB141_47:
	s_or_b64 exec, exec, s[0:1]
.LBB141_48:
	s_or_b64 exec, exec, s[2:3]
	v_cmp_eq_u32_e32 vcc, 0, v5
	s_barrier
	s_and_saveexec_b64 s[0:1], vcc
	s_cbranch_execz .LBB141_50
; %bb.49:
	s_mul_i32 s0, s16, s17
	s_mul_i32 s0, s0, s9
	s_lshl_b32 s0, s0, 7
	s_ashr_i32 s1, s0, 31
	s_lshl_b64 s[0:1], s[0:1], 1
	s_add_u32 s2, s20, s0
	s_mul_i32 s0, s17, s18
	s_addc_u32 s3, s21, s1
	s_ashr_i32 s1, s0, 31
	s_lshl_b64 s[0:1], s[0:1], 1
	s_add_u32 s2, s2, s0
	s_addc_u32 s3, s3, s1
	s_lshl_b32 s0, s8, 7
	s_ashr_i32 s1, s0, 31
	s_lshl_b64 s[0:1], s[0:1], 1
	s_add_u32 s0, s2, s0
	v_bfe_u32 v5, v4, 16, 1
	s_movk_i32 s2, 0x7fff
	v_add3_u32 v5, v5, v4, s2
	v_or_b32_e32 v6, 0x400000, v4
	v_cmp_u_f32_e32 vcc, v4, v4
	s_addc_u32 s1, s3, s1
	v_lshlrev_b32_e32 v0, 1, v0
	v_cndmask_b32_e32 v4, v5, v6, vcc
	global_store_short_d16_hi v0, v4, s[0:1]
	v_bfe_u32 v4, v3, 16, 1
	v_add3_u32 v4, v4, v3, s2
	v_or_b32_e32 v5, 0x400000, v3
	v_cmp_u_f32_e32 vcc, v3, v3
	v_cndmask_b32_e32 v3, v4, v5, vcc
	global_store_short_d16_hi v0, v3, s[0:1] offset:64
	v_bfe_u32 v3, v2, 16, 1
	v_add3_u32 v3, v3, v2, s2
	v_or_b32_e32 v4, 0x400000, v2
	v_cmp_u_f32_e32 vcc, v2, v2
	v_cndmask_b32_e32 v2, v3, v4, vcc
	global_store_short_d16_hi v0, v2, s[0:1] offset:128
	;; [unrolled: 6-line block ×3, first 2 shown]
.LBB141_50:
	s_endpgm
.LBB141_51:
	ds_read_b32 v7, v6
	s_waitcnt lgkmcnt(0)
	v_add_f32_e32 v4, v4, v7
	s_or_b64 exec, exec, s[0:1]
	s_and_saveexec_b64 s[0:1], vcc
	s_cbranch_execz .LBB141_44
.LBB141_52:
	ds_read_b32 v7, v6 offset:128
	s_waitcnt lgkmcnt(0)
	v_add_f32_e32 v3, v3, v7
	s_or_b64 exec, exec, s[0:1]
	s_and_saveexec_b64 s[0:1], vcc
	s_cbranch_execz .LBB141_45
.LBB141_53:
	ds_read_b32 v7, v6 offset:256
	s_waitcnt lgkmcnt(0)
	v_add_f32_e32 v2, v2, v7
	s_or_b64 exec, exec, s[0:1]
	s_and_saveexec_b64 s[0:1], vcc
	s_cbranch_execnz .LBB141_46
	s_branch .LBB141_47
	.section	.rodata,"a",@progbits
	.p2align	6, 0x0
	.amdhsa_kernel _ZN4vllm25paged_attention_v1_kernelI14__hip_bfloat16S1_Li128ELi16ELi128ELNS_18Fp8KVCacheDataTypeE0ELb0EEEvPT_PKS3_PKT0_S9_ifPKiSB_iPKfiiiSD_SD_iiiii
		.amdhsa_group_segment_fixed_size 272
		.amdhsa_private_segment_fixed_size 0
		.amdhsa_kernarg_size 384
		.amdhsa_user_sgpr_count 6
		.amdhsa_user_sgpr_private_segment_buffer 1
		.amdhsa_user_sgpr_dispatch_ptr 0
		.amdhsa_user_sgpr_queue_ptr 0
		.amdhsa_user_sgpr_kernarg_segment_ptr 1
		.amdhsa_user_sgpr_dispatch_id 0
		.amdhsa_user_sgpr_flat_scratch_init 0
		.amdhsa_user_sgpr_private_segment_size 0
		.amdhsa_uses_dynamic_stack 0
		.amdhsa_system_sgpr_private_segment_wavefront_offset 0
		.amdhsa_system_sgpr_workgroup_id_x 1
		.amdhsa_system_sgpr_workgroup_id_y 1
		.amdhsa_system_sgpr_workgroup_id_z 1
		.amdhsa_system_sgpr_workgroup_info 0
		.amdhsa_system_vgpr_workitem_id 0
		.amdhsa_next_free_vgpr 64
		.amdhsa_next_free_sgpr 36
		.amdhsa_reserve_vcc 1
		.amdhsa_reserve_flat_scratch 0
		.amdhsa_float_round_mode_32 0
		.amdhsa_float_round_mode_16_64 0
		.amdhsa_float_denorm_mode_32 3
		.amdhsa_float_denorm_mode_16_64 3
		.amdhsa_dx10_clamp 1
		.amdhsa_ieee_mode 1
		.amdhsa_fp16_overflow 0
		.amdhsa_exception_fp_ieee_invalid_op 0
		.amdhsa_exception_fp_denorm_src 0
		.amdhsa_exception_fp_ieee_div_zero 0
		.amdhsa_exception_fp_ieee_overflow 0
		.amdhsa_exception_fp_ieee_underflow 0
		.amdhsa_exception_fp_ieee_inexact 0
		.amdhsa_exception_int_div_zero 0
	.end_amdhsa_kernel
	.section	.text._ZN4vllm25paged_attention_v1_kernelI14__hip_bfloat16S1_Li128ELi16ELi128ELNS_18Fp8KVCacheDataTypeE0ELb0EEEvPT_PKS3_PKT0_S9_ifPKiSB_iPKfiiiSD_SD_iiiii,"axG",@progbits,_ZN4vllm25paged_attention_v1_kernelI14__hip_bfloat16S1_Li128ELi16ELi128ELNS_18Fp8KVCacheDataTypeE0ELb0EEEvPT_PKS3_PKT0_S9_ifPKiSB_iPKfiiiSD_SD_iiiii,comdat
.Lfunc_end141:
	.size	_ZN4vllm25paged_attention_v1_kernelI14__hip_bfloat16S1_Li128ELi16ELi128ELNS_18Fp8KVCacheDataTypeE0ELb0EEEvPT_PKS3_PKT0_S9_ifPKiSB_iPKfiiiSD_SD_iiiii, .Lfunc_end141-_ZN4vllm25paged_attention_v1_kernelI14__hip_bfloat16S1_Li128ELi16ELi128ELNS_18Fp8KVCacheDataTypeE0ELb0EEEvPT_PKS3_PKT0_S9_ifPKiSB_iPKfiiiSD_SD_iiiii
                                        ; -- End function
	.set _ZN4vllm25paged_attention_v1_kernelI14__hip_bfloat16S1_Li128ELi16ELi128ELNS_18Fp8KVCacheDataTypeE0ELb0EEEvPT_PKS3_PKT0_S9_ifPKiSB_iPKfiiiSD_SD_iiiii.num_vgpr, 64
	.set _ZN4vllm25paged_attention_v1_kernelI14__hip_bfloat16S1_Li128ELi16ELi128ELNS_18Fp8KVCacheDataTypeE0ELb0EEEvPT_PKS3_PKT0_S9_ifPKiSB_iPKfiiiSD_SD_iiiii.num_agpr, 0
	.set _ZN4vllm25paged_attention_v1_kernelI14__hip_bfloat16S1_Li128ELi16ELi128ELNS_18Fp8KVCacheDataTypeE0ELb0EEEvPT_PKS3_PKT0_S9_ifPKiSB_iPKfiiiSD_SD_iiiii.numbered_sgpr, 36
	.set _ZN4vllm25paged_attention_v1_kernelI14__hip_bfloat16S1_Li128ELi16ELi128ELNS_18Fp8KVCacheDataTypeE0ELb0EEEvPT_PKS3_PKT0_S9_ifPKiSB_iPKfiiiSD_SD_iiiii.num_named_barrier, 0
	.set _ZN4vllm25paged_attention_v1_kernelI14__hip_bfloat16S1_Li128ELi16ELi128ELNS_18Fp8KVCacheDataTypeE0ELb0EEEvPT_PKS3_PKT0_S9_ifPKiSB_iPKfiiiSD_SD_iiiii.private_seg_size, 0
	.set _ZN4vllm25paged_attention_v1_kernelI14__hip_bfloat16S1_Li128ELi16ELi128ELNS_18Fp8KVCacheDataTypeE0ELb0EEEvPT_PKS3_PKT0_S9_ifPKiSB_iPKfiiiSD_SD_iiiii.uses_vcc, 1
	.set _ZN4vllm25paged_attention_v1_kernelI14__hip_bfloat16S1_Li128ELi16ELi128ELNS_18Fp8KVCacheDataTypeE0ELb0EEEvPT_PKS3_PKT0_S9_ifPKiSB_iPKfiiiSD_SD_iiiii.uses_flat_scratch, 0
	.set _ZN4vllm25paged_attention_v1_kernelI14__hip_bfloat16S1_Li128ELi16ELi128ELNS_18Fp8KVCacheDataTypeE0ELb0EEEvPT_PKS3_PKT0_S9_ifPKiSB_iPKfiiiSD_SD_iiiii.has_dyn_sized_stack, 0
	.set _ZN4vllm25paged_attention_v1_kernelI14__hip_bfloat16S1_Li128ELi16ELi128ELNS_18Fp8KVCacheDataTypeE0ELb0EEEvPT_PKS3_PKT0_S9_ifPKiSB_iPKfiiiSD_SD_iiiii.has_recursion, 0
	.set _ZN4vllm25paged_attention_v1_kernelI14__hip_bfloat16S1_Li128ELi16ELi128ELNS_18Fp8KVCacheDataTypeE0ELb0EEEvPT_PKS3_PKT0_S9_ifPKiSB_iPKfiiiSD_SD_iiiii.has_indirect_call, 0
	.section	.AMDGPU.csdata,"",@progbits
; Kernel info:
; codeLenInByte = 6300
; TotalNumSgprs: 40
; NumVgprs: 64
; ScratchSize: 0
; MemoryBound: 0
; FloatMode: 240
; IeeeMode: 1
; LDSByteSize: 272 bytes/workgroup (compile time only)
; SGPRBlocks: 4
; VGPRBlocks: 15
; NumSGPRsForWavesPerEU: 40
; NumVGPRsForWavesPerEU: 64
; Occupancy: 4
; WaveLimiterHint : 1
; COMPUTE_PGM_RSRC2:SCRATCH_EN: 0
; COMPUTE_PGM_RSRC2:USER_SGPR: 6
; COMPUTE_PGM_RSRC2:TRAP_HANDLER: 0
; COMPUTE_PGM_RSRC2:TGID_X_EN: 1
; COMPUTE_PGM_RSRC2:TGID_Y_EN: 1
; COMPUTE_PGM_RSRC2:TGID_Z_EN: 1
; COMPUTE_PGM_RSRC2:TIDIG_COMP_CNT: 0
	.section	.text._ZN4vllm25paged_attention_v1_kernelI14__hip_bfloat16S1_Li192ELi16ELi128ELNS_18Fp8KVCacheDataTypeE0ELb0EEEvPT_PKS3_PKT0_S9_ifPKiSB_iPKfiiiSD_SD_iiiii,"axG",@progbits,_ZN4vllm25paged_attention_v1_kernelI14__hip_bfloat16S1_Li192ELi16ELi128ELNS_18Fp8KVCacheDataTypeE0ELb0EEEvPT_PKS3_PKT0_S9_ifPKiSB_iPKfiiiSD_SD_iiiii,comdat
	.protected	_ZN4vllm25paged_attention_v1_kernelI14__hip_bfloat16S1_Li192ELi16ELi128ELNS_18Fp8KVCacheDataTypeE0ELb0EEEvPT_PKS3_PKT0_S9_ifPKiSB_iPKfiiiSD_SD_iiiii ; -- Begin function _ZN4vllm25paged_attention_v1_kernelI14__hip_bfloat16S1_Li192ELi16ELi128ELNS_18Fp8KVCacheDataTypeE0ELb0EEEvPT_PKS3_PKT0_S9_ifPKiSB_iPKfiiiSD_SD_iiiii
	.globl	_ZN4vllm25paged_attention_v1_kernelI14__hip_bfloat16S1_Li192ELi16ELi128ELNS_18Fp8KVCacheDataTypeE0ELb0EEEvPT_PKS3_PKT0_S9_ifPKiSB_iPKfiiiSD_SD_iiiii
	.p2align	8
	.type	_ZN4vllm25paged_attention_v1_kernelI14__hip_bfloat16S1_Li192ELi16ELi128ELNS_18Fp8KVCacheDataTypeE0ELb0EEEvPT_PKS3_PKT0_S9_ifPKiSB_iPKfiiiSD_SD_iiiii,@function
_ZN4vllm25paged_attention_v1_kernelI14__hip_bfloat16S1_Li192ELi16ELi128ELNS_18Fp8KVCacheDataTypeE0ELb0EEEvPT_PKS3_PKT0_S9_ifPKiSB_iPKfiiiSD_SD_iiiii: ; @_ZN4vllm25paged_attention_v1_kernelI14__hip_bfloat16S1_Li192ELi16ELi128ELNS_18Fp8KVCacheDataTypeE0ELb0EEEvPT_PKS3_PKT0_S9_ifPKiSB_iPKfiiiSD_SD_iiiii
; %bb.0:
	s_mov_b64 s[38:39], s[2:3]
	s_mov_b64 s[36:37], s[0:1]
	s_add_u32 s36, s36, s9
	s_load_dword s9, s[4:5], 0x80
	s_load_dwordx2 s[0:1], s[4:5], 0x30
	s_load_dwordx2 s[26:27], s[4:5], 0x20
	s_addc_u32 s37, s37, 0
	s_mov_b32 s10, s7
	s_ashr_i32 s11, s7, 31
	s_lshl_b64 s[2:3], s[10:11], 2
	s_waitcnt lgkmcnt(0)
	s_add_u32 s0, s0, s2
	s_addc_u32 s1, s1, s3
	s_abs_i32 s2, s26
	v_mov_b32_e32 v57, v0
	v_cvt_f32_u32_e32 v0, s2
	s_sub_i32 s11, 0, s2
	s_abs_i32 s7, s9
	s_xor_b32 s3, s9, s26
	v_rcp_iflag_f32_e32 v0, v0
	s_ashr_i32 s3, s3, 31
	s_mov_b32 s26, 0
	v_mul_f32_e32 v0, 0x4f7ffffe, v0
	v_cvt_u32_f32_e32 v0, v0
	v_readfirstlane_b32 s12, v0
	s_mul_i32 s11, s11, s12
	s_mul_hi_u32 s11, s12, s11
	s_add_i32 s12, s12, s11
	s_mul_hi_u32 s11, s7, s12
	s_mul_i32 s12, s11, s2
	s_sub_i32 s7, s7, s12
	s_add_i32 s12, s11, 1
	s_sub_i32 s13, s7, s2
	s_cmp_ge_u32 s7, s2
	s_cselect_b32 s11, s12, s11
	s_cselect_b32 s7, s13, s7
	s_add_i32 s12, s11, 1
	s_cmp_ge_u32 s7, s2
	s_cselect_b32 s2, s12, s11
	s_xor_b32 s2, s2, s3
	s_sub_i32 s12, s2, s3
	s_abs_i32 s11, s12
	v_cvt_f32_u32_e32 v0, s11
	s_load_dwordx2 s[2:3], s[4:5], 0x40
	s_sub_i32 s7, 0, s11
	s_abs_i32 s18, s6
	v_rcp_iflag_f32_e32 v0, v0
	v_mul_f32_e32 v0, 0x4f7ffffe, v0
	v_cvt_u32_f32_e32 v0, v0
	v_readfirstlane_b32 s13, v0
	s_mul_i32 s7, s7, s13
	s_mul_hi_u32 s7, s13, s7
	s_add_i32 s13, s13, s7
	s_waitcnt lgkmcnt(0)
	s_cmp_eq_u64 s[2:3], 0
	s_mul_hi_u32 s19, s18, s13
	s_cbranch_scc1 .LBB142_2
; %bb.1:
	s_ashr_i32 s7, s6, 31
	s_lshl_b64 s[14:15], s[6:7], 2
	s_add_u32 s2, s2, s14
	s_addc_u32 s3, s3, s15
	s_load_dword s26, s[2:3], 0x0
.LBB142_2:
	s_load_dword s33, s[0:1], 0x0
	s_ashr_i32 s3, s12, 31
	s_load_dwordx4 s[12:15], s[4:5], 0x48
	s_ashr_i32 s2, s6, 31
	s_mul_i32 s16, s6, 0xc0
	s_movk_i32 s6, 0x60
	v_and_b32_e32 v1, 3, v57
	v_cmp_gt_u32_e32 vcc, s6, v57
	v_lshlrev_b32_e32 v2, 2, v57
	s_and_saveexec_b64 s[0:1], vcc
	s_cbranch_execz .LBB142_4
; %bb.3:
	s_load_dwordx2 s[20:21], s[4:5], 0x8
	s_waitcnt lgkmcnt(0)
	s_mul_i32 s22, s12, s10
	s_ashr_i32 s23, s22, 31
	s_lshl_b64 s[22:23], s[22:23], 1
	v_and_b32_e32 v3, 0x3fc, v57
	s_add_u32 s7, s20, s22
	s_addc_u32 s12, s21, s23
	s_ashr_i32 s17, s16, 31
	s_lshl_b64 s[20:21], s[16:17], 1
	s_add_u32 s20, s7, s20
	s_addc_u32 s21, s12, s21
	global_load_dword v0, v2, s[20:21]
	v_mad_u32_u24 v3, v1, s6, v3
	s_waitcnt vmcnt(0)
	ds_write_b32 v3, v0
.LBB142_4:
	s_or_b64 exec, exec, s[0:1]
	s_waitcnt lgkmcnt(0)
	s_add_i32 s1, s33, 15
	s_ashr_i32 s6, s1, 31
	s_lshr_b32 s6, s6, 28
	s_add_i32 s1, s1, s6
	s_ashr_i32 s17, s1, 4
	s_xor_b32 s1, s2, s3
	s_mul_i32 s2, s19, s11
	s_sub_i32 s2, s18, s2
	s_add_i32 s3, s19, 1
	s_sub_i32 s6, s2, s11
	s_load_dwordx2 s[20:21], s[4:5], 0x28
	s_load_dword s0, s[4:5], 0x38
	s_cmp_ge_u32 s2, s11
	s_cselect_b32 s3, s3, s19
	s_cselect_b32 s2, s6, s2
	s_add_i32 s6, s3, 1
	s_cmp_ge_u32 s2, s11
	s_cselect_b32 s2, s6, s3
	v_lshrrev_b32_e32 v35, 6, v57
	s_xor_b32 s2, s2, s1
	s_waitcnt lgkmcnt(0)
	s_mul_i32 s22, s0, s10
	s_sub_i32 s12, s2, s1
	s_ashr_i32 s23, s22, 31
	v_cmp_gt_i32_e64 s[0:1], s17, v35
	v_cmp_le_i32_e32 vcc, s17, v35
	v_mbcnt_lo_u32_b32 v3, -1, 0
	s_barrier
                                        ; implicit-def: $vgpr12
                                        ; implicit-def: $vgpr8
                                        ; implicit-def: $vgpr13
	s_and_saveexec_b64 s[2:3], vcc
	s_xor_b64 s[2:3], exec, s[2:3]
; %bb.5:
	v_mbcnt_hi_u32_b32 v12, -1, v3
	v_and_b32_e32 v8, 64, v12
	v_add_u32_e32 v13, 64, v8
                                        ; implicit-def: $vgpr2
                                        ; implicit-def: $vgpr1
                                        ; implicit-def: $vgpr3
; %bb.6:
	s_or_saveexec_b64 s[6:7], s[2:3]
	s_load_dwordx2 s[18:19], s[4:5], 0x0
	s_load_dwordx2 s[24:25], s[4:5], 0x18
	s_load_dword s11, s[4:5], 0x88
	v_mov_b32_e32 v56, 0xff7fffff
	s_mul_i32 s14, s12, s14
	v_lshrrev_b32_e32 v11, 4, v57
	s_xor_b64 exec, exec, s[6:7]
	s_cbranch_execz .LBB142_12
; %bb.7:
	v_mul_u32_u24_e32 v0, 0x60, v1
	ds_read_b128 v[4:7], v0
	ds_read_b128 v[19:22], v0 offset:16
	s_load_dwordx2 s[2:3], s[4:5], 0x10
	s_ashr_i32 s15, s14, 31
	s_lshl_b64 s[4:5], s[14:15], 1
	s_waitcnt lgkmcnt(0)
	v_lshlrev_b32_e32 v8, 16, v4
	v_and_b32_e32 v4, 0xffff0000, v4
	buffer_store_dword v4, off, s[36:39], 0 offset:4 ; 4-byte Folded Spill
	v_lshlrev_b32_e32 v4, 16, v5
	buffer_store_dword v4, off, s[36:39], 0 offset:8 ; 4-byte Folded Spill
	v_and_b32_e32 v4, 0xffff0000, v5
	buffer_store_dword v4, off, s[36:39], 0 offset:12 ; 4-byte Folded Spill
	v_lshlrev_b32_e32 v4, 16, v6
	buffer_store_dword v4, off, s[36:39], 0 offset:16 ; 4-byte Folded Spill
	;; [unrolled: 4-line block ×6, first 2 shown]
	ds_read_b128 v[4:7], v0 offset:32
	ds_read_b128 v[36:39], v0 offset:48
	buffer_store_dword v8, off, s[36:39], 0 ; 4-byte Folded Spill
	v_and_b32_e32 v8, 0xffff0000, v21
	buffer_store_dword v8, off, s[36:39], 0 offset:52 ; 4-byte Folded Spill
	v_lshlrev_b32_e32 v8, 16, v22
	buffer_store_dword v8, off, s[36:39], 0 offset:56 ; 4-byte Folded Spill
	v_and_b32_e32 v8, 0xffff0000, v22
	buffer_store_dword v8, off, s[36:39], 0 offset:60 ; 4-byte Folded Spill
	s_waitcnt lgkmcnt(1)
	v_lshlrev_b32_e32 v8, 16, v4
	v_and_b32_e32 v4, 0xffff0000, v4
	buffer_store_dword v4, off, s[36:39], 0 offset:68 ; 4-byte Folded Spill
	v_lshlrev_b32_e32 v4, 16, v5
	buffer_store_dword v4, off, s[36:39], 0 offset:72 ; 4-byte Folded Spill
	v_and_b32_e32 v4, 0xffff0000, v5
	buffer_store_dword v4, off, s[36:39], 0 offset:76 ; 4-byte Folded Spill
	v_lshlrev_b32_e32 v4, 16, v6
	buffer_store_dword v4, off, s[36:39], 0 offset:80 ; 4-byte Folded Spill
	v_and_b32_e32 v4, 0xffff0000, v6
	buffer_store_dword v4, off, s[36:39], 0 offset:84 ; 4-byte Folded Spill
	v_lshlrev_b32_e32 v29, 16, v7
	v_and_b32_e32 v30, 0xffff0000, v7
	ds_read_b128 v[4:7], v0 offset:64
	ds_read_b128 v[52:55], v0 offset:80
	s_add_u32 s2, s2, s4
	v_bfe_u32 v0, v57, 2, 4
	s_addc_u32 s3, s3, s5
	s_waitcnt lgkmcnt(1)
	v_lshlrev_b32_e32 v40, 16, v4
	v_and_b32_e32 v41, 0xffff0000, v4
	v_lshlrev_b32_e32 v4, 4, v0
	v_lshlrev_b32_e32 v42, 16, v5
	v_and_b32_e32 v43, 0xffff0000, v5
	v_mov_b32_e32 v5, s3
	v_add_co_u32_e32 v4, vcc, s2, v4
	s_sub_i32 s12, 1, s33
	s_lshl_b64 s[2:3], s[22:23], 2
	v_addc_co_u32_e32 v5, vcc, 0, v5, vcc
	s_add_u32 s2, s20, s2
	v_cmp_eq_u32_e32 vcc, 0, v1
	s_addc_u32 s3, s21, s3
	v_and_b32_e32 v1, 60, v11
	v_lshlrev_b32_e32 v44, 16, v6
	v_and_b32_e32 v45, 0xffff0000, v6
	v_and_b32_e32 v6, 12, v2
	v_mov_b32_e32 v2, s3
	v_add_co_u32_e64 v1, s[2:3], s2, v1
	v_addc_co_u32_e64 v2, s[2:3], 0, v2, s[2:3]
	buffer_store_dword v57, off, s[36:39], 0 offset:88 ; 4-byte Folded Spill
	v_add_co_u32_e64 v57, s[2:3], v4, v6
	v_mbcnt_hi_u32_b32 v4, -1, v3
	v_and_b32_e32 v3, 64, v4
	v_addc_co_u32_e64 v58, s[2:3], 0, v5, s[2:3]
	buffer_store_dword v3, off, s[36:39], 0 offset:100 ; 4-byte Folded Spill
	v_add_u32_e32 v5, 64, v3
	v_xor_b32_e32 v3, 2, v4
	v_cmp_lt_i32_e64 s[2:3], v3, v5
	v_cndmask_b32_e64 v3, v4, v3, s[2:3]
	v_lshlrev_b32_e32 v59, 2, v3
	v_xor_b32_e32 v3, 1, v4
	v_cmp_lt_i32_e64 s[2:3], v3, v5
	v_lshl_or_b32 v61, v35, 4, v0
	v_lshlrev_b32_e32 v0, 2, v0
	v_cndmask_b32_e64 v3, v4, v3, s[2:3]
	v_lshl_or_b32 v0, v35, 6, v0
	v_lshlrev_b32_e32 v31, 16, v36
	v_and_b32_e32 v32, 0xffff0000, v36
	v_lshlrev_b32_e32 v33, 16, v37
	v_and_b32_e32 v34, 0xffff0000, v37
	;; [unrolled: 2-line block ×5, first 2 shown]
	s_waitcnt lgkmcnt(0)
	v_lshlrev_b32_e32 v48, 16, v52
	v_and_b32_e32 v49, 0xffff0000, v52
	v_lshlrev_b32_e32 v50, 16, v53
	v_and_b32_e32 v51, 0xffff0000, v53
	v_lshlrev_b32_e32 v52, 16, v54
	v_and_b32_e32 v53, 0xffff0000, v54
	v_lshlrev_b32_e32 v54, 16, v55
	v_and_b32_e32 v55, 0xffff0000, v55
	s_mov_b32 s15, s13
	v_lshlrev_b32_e32 v60, 2, v3
	v_cmp_neq_f32_e64 s[2:3], s26, 0
	v_add_u32_e32 v62, 0x190, v0
	s_mov_b64 s[28:29], 0
	s_movk_i32 s34, 0x1000
	v_mov_b32_e32 v56, 0xff7fffff
	v_mov_b32_e32 v63, v35
	buffer_store_dword v8, off, s[36:39], 0 offset:64 ; 4-byte Folded Spill
	buffer_store_dword v11, off, s[36:39], 0 offset:92 ; 4-byte Folded Spill
	;; [unrolled: 1-line block ×3, first 2 shown]
	s_branch .LBB142_9
.LBB142_8:                              ;   in Loop: Header=BB142_9 Depth=1
	s_or_b64 exec, exec, s[30:31]
	v_add_u32_e32 v63, 2, v63
	v_cmp_le_i32_e64 s[4:5], s17, v63
	s_or_b64 s[28:29], s[4:5], s[28:29]
	v_add_co_u32_e64 v1, s[4:5], 8, v1
	v_add_u32_e32 v61, 32, v61
	v_add_u32_e32 v62, 0x80, v62
	v_addc_co_u32_e64 v2, s[4:5], 0, v2, s[4:5]
	s_andn2_b64 exec, exec, s[28:29]
	s_cbranch_execz .LBB142_11
.LBB142_9:                              ; =>This Inner Loop Header: Depth=1
	global_load_dword v0, v[1:2], off
	s_waitcnt vmcnt(0) lgkmcnt(0)
	v_mad_i64_i32 v[3:4], s[4:5], v0, s15, 0
	v_lshlrev_b64 v[3:4], 1, v[3:4]
	v_add_co_u32_e64 v3, s[4:5], v57, v3
	v_addc_co_u32_e64 v4, s[4:5], v58, v4, s[4:5]
	v_add_co_u32_e64 v5, s[4:5], s34, v3
	v_addc_co_u32_e64 v6, s[4:5], 0, v4, s[4:5]
	global_load_dword v11, v[3:4], off offset:256
	global_load_dword v12, v[3:4], off offset:512
	;; [unrolled: 1-line block ×7, first 2 shown]
	global_load_dword v18, v[3:4], off
	global_load_dword v19, v[3:4], off offset:2048
	global_load_dword v20, v[3:4], off offset:2304
	;; [unrolled: 1-line block ×8, first 2 shown]
	global_load_dword v27, v[5:6], off
	global_load_dword v10, v[5:6], off offset:256
	global_load_dword v9, v[5:6], off offset:512
	global_load_dword v8, v[5:6], off offset:768
	global_load_dword v7, v[5:6], off offset:1024
	global_load_dword v4, v[5:6], off offset:1280
	global_load_dword v0, v[5:6], off offset:1536
	s_nop 0
	global_load_dword v5, v[5:6], off offset:1792
	s_waitcnt vmcnt(23)
	v_lshlrev_b32_e32 v3, 16, v11
	buffer_load_dword v6, off, s[36:39], 0 offset:8 ; 4-byte Folded Reload
	buffer_load_dword v28, off, s[36:39], 0 ; 4-byte Folded Reload
	s_waitcnt vmcnt(1)
	v_mul_f32_e32 v3, v6, v3
	v_lshlrev_b32_e32 v6, 16, v18
	s_waitcnt vmcnt(0)
	v_fmac_f32_e32 v3, v28, v6
	v_and_b32_e32 v6, 0xffff0000, v11
	buffer_load_dword v11, off, s[36:39], 0 offset:12 ; 4-byte Folded Reload
	v_and_b32_e32 v18, 0xffff0000, v18
	s_waitcnt vmcnt(0)
	v_mul_f32_e32 v6, v11, v6
	buffer_load_dword v11, off, s[36:39], 0 offset:4 ; 4-byte Folded Reload
	s_waitcnt vmcnt(0)
	v_fmac_f32_e32 v6, v11, v18
	buffer_load_dword v18, off, s[36:39], 0 offset:16 ; 4-byte Folded Reload
	v_lshlrev_b32_e32 v11, 16, v12
	s_waitcnt vmcnt(0)
	v_fmac_f32_e32 v3, v18, v11
	v_and_b32_e32 v11, 0xffff0000, v12
	buffer_load_dword v12, off, s[36:39], 0 offset:20 ; 4-byte Folded Reload
	s_waitcnt vmcnt(0)
	v_fmac_f32_e32 v6, v12, v11
	buffer_load_dword v12, off, s[36:39], 0 offset:24 ; 4-byte Folded Reload
	v_lshlrev_b32_e32 v11, 16, v13
	s_waitcnt vmcnt(0)
	v_fmac_f32_e32 v3, v12, v11
	buffer_load_dword v12, off, s[36:39], 0 offset:28 ; 4-byte Folded Reload
	v_and_b32_e32 v11, 0xffff0000, v13
	s_waitcnt vmcnt(0)
	v_fmac_f32_e32 v6, v12, v11
	buffer_load_dword v12, off, s[36:39], 0 offset:32 ; 4-byte Folded Reload
	v_lshlrev_b32_e32 v11, 16, v14
	s_waitcnt vmcnt(0)
	v_fmac_f32_e32 v3, v12, v11
	buffer_load_dword v12, off, s[36:39], 0 offset:36 ; 4-byte Folded Reload
	v_and_b32_e32 v11, 0xffff0000, v14
	;; [unrolled: 8-line block ×8, first 2 shown]
	s_waitcnt vmcnt(0)
	v_fmac_f32_e32 v6, v12, v11
	v_lshlrev_b32_e32 v11, 16, v22
	v_fmac_f32_e32 v3, v29, v11
	v_and_b32_e32 v11, 0xffff0000, v22
	v_fmac_f32_e32 v6, v30, v11
	v_lshlrev_b32_e32 v11, 16, v23
	v_fmac_f32_e32 v3, v31, v11
	v_and_b32_e32 v11, 0xffff0000, v23
	;; [unrolled: 4-line block ×6, first 2 shown]
	v_fmac_f32_e32 v6, v41, v11
	v_lshlrev_b32_e32 v11, 16, v10
	v_and_b32_e32 v10, 0xffff0000, v10
	v_fmac_f32_e32 v3, v42, v11
	v_fmac_f32_e32 v6, v43, v10
	v_lshlrev_b32_e32 v10, 16, v9
	v_and_b32_e32 v9, 0xffff0000, v9
	v_fmac_f32_e32 v3, v44, v10
	;; [unrolled: 4-line block ×5, first 2 shown]
	v_lshlrev_b32_e32 v7, 16, v0
	v_and_b32_e32 v0, 0xffff0000, v0
	v_fmac_f32_e32 v6, v51, v4
	v_lshlrev_b32_e32 v4, 16, v5
	v_and_b32_e32 v5, 0xffff0000, v5
	v_fmac_f32_e32 v3, v52, v7
	v_fmac_f32_e32 v6, v53, v0
	;; [unrolled: 1-line block ×4, first 2 shown]
	v_add_f32_e32 v0, v3, v6
	ds_bpermute_b32 v3, v59, v0
	s_waitcnt lgkmcnt(0)
	v_add_f32_e32 v0, v0, v3
	ds_bpermute_b32 v3, v60, v0
	s_and_saveexec_b64 s[30:31], vcc
	s_cbranch_execz .LBB142_8
; %bb.10:                               ;   in Loop: Header=BB142_9 Depth=1
	v_add_u32_e32 v4, s12, v61
	v_cvt_f32_i32_e32 v4, v4
	s_waitcnt lgkmcnt(0)
	v_add_f32_e32 v0, v0, v3
	v_cmp_gt_i32_e64 s[4:5], s33, v61
	v_max_f32_e32 v3, v56, v56
	v_mul_f32_e32 v4, s26, v4
	v_cndmask_b32_e64 v4, 0, v4, s[2:3]
	v_fmac_f32_e32 v4, s27, v0
	v_cndmask_b32_e64 v0, 0, v4, s[4:5]
	ds_write_b32 v62, v0
	v_max_f32_e32 v0, v3, v4
	v_cndmask_b32_e64 v56, v56, v0, s[4:5]
	s_branch .LBB142_8
.LBB142_11:
	s_or_b64 exec, exec, s[28:29]
	buffer_load_dword v57, off, s[36:39], 0 offset:88 ; 4-byte Folded Reload
	buffer_load_dword v11, off, s[36:39], 0 offset:92 ; 4-byte Folded Reload
	;; [unrolled: 1-line block ×4, first 2 shown]
	s_waitcnt vmcnt(0)
	v_add_u32_e32 v13, 64, v8
.LBB142_12:
	s_or_b64 exec, exec, s[6:7]
	v_xor_b32_e32 v0, 32, v12
	v_cmp_lt_i32_e32 vcc, v0, v13
	v_cndmask_b32_e32 v0, v12, v0, vcc
	v_lshlrev_b32_e32 v0, 2, v0
	ds_bpermute_b32 v1, v0, v56
	s_waitcnt lgkmcnt(0)
	v_xor_b32_e32 v3, 16, v12
	v_max_f32_e32 v2, v56, v56
	v_cmp_lt_i32_e32 vcc, v3, v13
	v_xor_b32_e32 v4, 8, v12
	v_max_f32_e32 v1, v1, v1
	v_max_f32_e32 v2, v2, v1
	v_cndmask_b32_e32 v1, v12, v3, vcc
	v_lshlrev_b32_e32 v1, 2, v1
	ds_bpermute_b32 v3, v1, v2
	v_cmp_lt_i32_e32 vcc, v4, v13
	v_xor_b32_e32 v5, 4, v12
	v_and_b32_e32 v36, 63, v57
	s_waitcnt lgkmcnt(0)
	v_max_f32_e32 v3, v3, v3
	v_max_f32_e32 v2, v2, v3
	v_cndmask_b32_e32 v3, v12, v4, vcc
	v_lshlrev_b32_e32 v4, 2, v3
	ds_bpermute_b32 v3, v4, v2
	v_cmp_lt_i32_e32 vcc, v5, v13
	s_waitcnt lgkmcnt(0)
	v_max_f32_e32 v3, v3, v3
	v_max_f32_e32 v3, v2, v3
	v_cndmask_b32_e32 v2, v12, v5, vcc
	v_lshlrev_b32_e32 v5, 2, v2
	ds_bpermute_b32 v6, v5, v3
	v_cmp_eq_u32_e32 vcc, 0, v36
	v_lshlrev_b32_e32 v2, 2, v35
	s_and_saveexec_b64 s[2:3], vcc
	s_cbranch_execz .LBB142_14
; %bb.13:
	s_waitcnt lgkmcnt(0)
	v_max_f32_e32 v6, v6, v6
	v_max_f32_e32 v3, v3, v3
	;; [unrolled: 1-line block ×3, first 2 shown]
	ds_write_b32 v2, v3 offset:384
.LBB142_14:
	s_or_b64 exec, exec, s[2:3]
	v_cmp_gt_u32_e64 s[2:3], 2, v36
	s_waitcnt lgkmcnt(0)
	v_mov_b32_e32 v6, 0xff7fffff
	v_lshlrev_b32_e32 v3, 2, v36
	s_barrier
	s_and_saveexec_b64 s[4:5], s[2:3]
; %bb.15:
	ds_read_b32 v6, v3 offset:384
; %bb.16:
	s_or_b64 exec, exec, s[4:5]
	v_xor_b32_e32 v7, 1, v12
	v_cmp_lt_i32_e64 s[4:5], v7, v13
	v_cndmask_b32_e64 v7, v12, v7, s[4:5]
	v_lshlrev_b32_e32 v37, 2, v7
	s_waitcnt lgkmcnt(0)
	ds_bpermute_b32 v7, v37, v6
	v_max_f32_e32 v6, v6, v6
	s_lshl_b32 s4, s17, 4
	s_min_i32 s12, s4, s33
	v_cmp_gt_i32_e64 s[4:5], s12, v57
	s_waitcnt lgkmcnt(0)
	v_max_f32_e32 v7, v7, v7
	v_max_f32_e32 v6, v6, v7
	v_lshlrev_b32_e32 v7, 2, v8
	ds_bpermute_b32 v7, v7, v6
	v_mov_b32_e32 v6, 0
	s_and_saveexec_b64 s[26:27], s[4:5]
	s_cbranch_execz .LBB142_20
; %bb.17:
	v_mov_b32_e32 v6, 0x190
	v_lshl_add_u32 v8, v57, 2, v6
	v_mov_b32_e32 v6, 0
	s_mov_b64 s[28:29], 0
	v_mov_b32_e32 v9, v57
.LBB142_18:                             ; =>This Inner Loop Header: Depth=1
	ds_read_b32 v10, v8
	v_add_u32_e32 v9, 0x80, v9
	v_cmp_le_i32_e64 s[6:7], s12, v9
	s_or_b64 s[28:29], s[6:7], s[28:29]
	s_waitcnt lgkmcnt(0)
	v_sub_f32_e32 v10, v10, v7
	v_mul_f32_e32 v10, 0x3fb8aa3b, v10
	v_exp_f32_e32 v10, v10
	ds_write_b32 v8, v10
	v_add_f32_e32 v6, v6, v10
	v_add_u32_e32 v8, 0x200, v8
	s_andn2_b64 exec, exec, s[28:29]
	s_cbranch_execnz .LBB142_18
; %bb.19:
	s_or_b64 exec, exec, s[28:29]
.LBB142_20:
	s_or_b64 exec, exec, s[26:27]
	ds_bpermute_b32 v0, v0, v6
	s_waitcnt lgkmcnt(0)
	v_add_f32_e32 v0, v6, v0
	ds_bpermute_b32 v1, v1, v0
	s_waitcnt lgkmcnt(0)
	v_add_f32_e32 v0, v0, v1
	ds_bpermute_b32 v1, v4, v0
	v_xor_b32_e32 v4, 2, v12
	v_cmp_lt_i32_e64 s[6:7], v4, v13
	v_cndmask_b32_e64 v4, v12, v4, s[6:7]
	s_waitcnt lgkmcnt(0)
	v_add_f32_e32 v0, v0, v1
	ds_bpermute_b32 v1, v5, v0
	s_waitcnt lgkmcnt(0)
	v_add_f32_e32 v0, v0, v1
	v_lshlrev_b32_e32 v1, 2, v4
	ds_bpermute_b32 v1, v1, v0
	s_waitcnt lgkmcnt(0)
	v_add_f32_e32 v0, v0, v1
	ds_bpermute_b32 v1, v37, v0
	s_waitcnt lgkmcnt(0)
	v_add_f32_e32 v0, v0, v1
	s_and_saveexec_b64 s[6:7], vcc
; %bb.21:
	ds_write_b32 v2, v0 offset:392
; %bb.22:
	s_or_b64 exec, exec, s[6:7]
	s_waitcnt lgkmcnt(0)
	s_barrier
	s_and_saveexec_b64 s[6:7], s[2:3]
; %bb.23:
	ds_read_b32 v0, v3 offset:392
; %bb.24:
	s_or_b64 exec, exec, s[6:7]
	s_waitcnt lgkmcnt(0)
	ds_bpermute_b32 v1, v37, v0
	v_lshlrev_b32_e32 v2, 2, v12
	s_waitcnt lgkmcnt(0)
	v_add_f32_e32 v0, v0, v1
	v_and_b32_e32 v1, 0xffffff00, v2
	ds_bpermute_b32 v0, v1, v0
	s_and_saveexec_b64 s[2:3], s[4:5]
	s_cbranch_execz .LBB142_27
; %bb.25:
	s_waitcnt lgkmcnt(0)
	v_add_f32_e32 v1, 0x358637bd, v0
	v_div_scale_f32 v0, s[4:5], v1, v1, 1.0
	v_div_scale_f32 v2, vcc, 1.0, v1, 1.0
	s_mov_b64 s[4:5], 0
	v_rcp_f32_e32 v3, v0
	v_fma_f32 v4, -v0, v3, 1.0
	v_fmac_f32_e32 v3, v4, v3
	v_mul_f32_e32 v4, v2, v3
	v_fma_f32 v5, -v0, v4, v2
	v_fmac_f32_e32 v4, v5, v3
	v_fma_f32 v0, -v0, v4, v2
	v_div_fmas_f32 v2, v0, v3, v4
	v_mov_b32_e32 v0, 0x190
	v_lshl_add_u32 v0, v57, 2, v0
	v_div_fixup_f32 v1, v2, v1, 1.0
	v_mov_b32_e32 v2, v57
.LBB142_26:                             ; =>This Inner Loop Header: Depth=1
	ds_read_b32 v3, v0
	v_add_u32_e32 v2, 0x80, v2
	v_cmp_le_i32_e32 vcc, s12, v2
	s_or_b64 s[4:5], vcc, s[4:5]
	s_waitcnt lgkmcnt(0)
	v_mul_f32_e32 v3, v1, v3
	ds_write_b32 v0, v3
	v_add_u32_e32 v0, 0x200, v0
	s_andn2_b64 exec, exec, s[4:5]
	s_cbranch_execnz .LBB142_26
.LBB142_27:
	s_or_b64 exec, exec, s[2:3]
	v_mov_b32_e32 v44, 0
	v_and_b32_e32 v38, 1, v57
	v_mov_b32_e32 v43, 0
	v_mov_b32_e32 v42, 0
	;; [unrolled: 1-line block ×5, first 2 shown]
	s_waitcnt lgkmcnt(0)
	s_barrier
	s_and_saveexec_b64 s[4:5], s[0:1]
	s_cbranch_execz .LBB142_43
; %bb.28:
	s_ashr_i32 s15, s14, 31
	s_lshl_b64 s[0:1], s[14:15], 1
	v_lshlrev_b32_e32 v0, 3, v57
	s_add_u32 s0, s24, s0
	v_lshlrev_b32_e32 v1, 4, v57
	v_and_b32_e32 v0, 8, v0
	s_addc_u32 s1, s25, s1
	v_and_b32_e32 v1, 0x3f0, v1
	s_add_i32 s14, s17, -1
	v_mov_b32_e32 v2, s1
	v_add_co_u32_e32 v46, vcc, s0, v1
	v_lshl_or_b32 v48, v35, 4, v0
	v_lshlrev_b32_e32 v0, 5, v38
	s_lshl_b64 s[0:1], s[22:23], 2
	v_lshl_or_b32 v0, v35, 6, v0
	s_add_u32 s0, s20, s0
	v_addc_co_u32_e32 v47, vcc, 0, v2, vcc
	v_add_u32_e32 v49, 0x190, v0
	v_and_b32_e32 v0, 60, v11
	s_addc_u32 s1, s21, s1
	v_mov_b32_e32 v1, s1
	v_add_co_u32_e32 v33, vcc, s0, v0
	s_mov_b32 s26, s13
	v_mov_b32_e32 v45, 0
	s_mov_b32 s15, s33
	v_addc_co_u32_e32 v34, vcc, 0, v1, vcc
	s_mov_b64 s[6:7], 0
	s_mov_b32 s20, 0x5040100
	s_movk_i32 s21, 0x7fff
	v_mov_b32_e32 v39, 0
	v_mov_b32_e32 v40, 0
	;; [unrolled: 1-line block ×6, first 2 shown]
	s_branch .LBB142_30
.LBB142_29:                             ;   in Loop: Header=BB142_30 Depth=1
	s_or_b64 exec, exec, s[2:3]
	s_waitcnt lgkmcnt(1)
	v_bfe_u32 v0, v21, 16, 1
	v_add3_u32 v0, v0, v21, s21
	v_or_b32_e32 v50, 0x400000, v21
	v_cmp_u_f32_e32 vcc, v21, v21
	v_bfe_u32 v21, v22, 16, 1
	v_cndmask_b32_e32 v0, v0, v50, vcc
	v_add3_u32 v21, v21, v22, s21
	v_or_b32_e32 v50, 0x400000, v22
	v_cmp_u_f32_e32 vcc, v22, v22
	v_bfe_u32 v22, v23, 16, 1
	v_cndmask_b32_e32 v21, v21, v50, vcc
	;; [unrolled: 5-line block ×3, first 2 shown]
	v_add3_u32 v23, v23, v24, s21
	v_or_b32_e32 v50, 0x400000, v24
	v_cmp_u_f32_e32 vcc, v24, v24
	s_waitcnt lgkmcnt(0)
	v_bfe_u32 v24, v17, 16, 1
	v_cndmask_b32_e32 v23, v23, v50, vcc
	v_add3_u32 v24, v24, v17, s21
	v_or_b32_e32 v50, 0x400000, v17
	v_cmp_u_f32_e32 vcc, v17, v17
	v_bfe_u32 v17, v18, 16, 1
	v_cndmask_b32_e32 v24, v24, v50, vcc
	v_add3_u32 v17, v17, v18, s21
	v_or_b32_e32 v50, 0x400000, v18
	v_cmp_u_f32_e32 vcc, v18, v18
	v_cndmask_b32_e32 v50, v17, v50, vcc
	v_bfe_u32 v17, v19, 16, 1
	v_add3_u32 v17, v17, v19, s21
	v_or_b32_e32 v18, 0x400000, v19
	v_cmp_u_f32_e32 vcc, v19, v19
	v_cndmask_b32_e32 v51, v17, v18, vcc
	v_bfe_u32 v17, v20, 16, 1
	v_add3_u32 v17, v17, v20, s21
	v_or_b32_e32 v18, 0x400000, v20
	v_cmp_u_f32_e32 vcc, v20, v20
	v_cndmask_b32_e32 v20, v17, v18, vcc
	v_and_b32_e32 v17, 0xffff0000, v21
	s_waitcnt vmcnt(1)
	v_and_b32_e32 v18, 0xffff0000, v29
	v_mul_f32_e32 v18, v17, v18
	v_bfe_u32 v19, v18, 16, 1
	v_add3_u32 v19, v19, v18, s21
	v_or_b32_e32 v21, 0x400000, v18
	v_cmp_u_f32_e32 vcc, v18, v18
	v_cndmask_b32_e32 v52, v19, v21, vcc
	v_and_b32_e32 v21, 0xffff0000, v0
	v_lshlrev_b32_e32 v0, 16, v29
	v_mul_f32_e32 v0, v21, v0
	v_bfe_u32 v18, v0, 16, 1
	v_add3_u32 v18, v18, v0, s21
	v_or_b32_e32 v19, 0x400000, v0
	v_cmp_u_f32_e32 vcc, v0, v0
	v_cndmask_b32_e32 v0, v18, v19, vcc
	v_and_b32_e32 v18, 0xffff0000, v23
	v_and_b32_e32 v19, 0xffff0000, v30
	v_mul_f32_e32 v19, v18, v19
	v_bfe_u32 v23, v19, 16, 1
	v_add3_u32 v23, v23, v19, s21
	v_or_b32_e32 v29, 0x400000, v19
	v_cmp_u_f32_e32 vcc, v19, v19
	v_and_b32_e32 v22, 0xffff0000, v22
	v_lshlrev_b32_e32 v19, 16, v30
	v_mul_f32_e32 v19, v22, v19
	v_cndmask_b32_e32 v29, v23, v29, vcc
	v_bfe_u32 v23, v19, 16, 1
	v_add3_u32 v23, v23, v19, s21
	v_or_b32_e32 v30, 0x400000, v19
	v_cmp_u_f32_e32 vcc, v19, v19
	v_cndmask_b32_e32 v30, v23, v30, vcc
	v_and_b32_e32 v19, 0xffff0000, v50
	v_and_b32_e32 v23, 0xffff0000, v31
	v_mul_f32_e32 v23, v19, v23
	v_bfe_u32 v50, v23, 16, 1
	v_add3_u32 v50, v50, v23, s21
	v_or_b32_e32 v53, 0x400000, v23
	v_cmp_u_f32_e32 vcc, v23, v23
	v_and_b32_e32 v23, 0xffff0000, v24
	v_lshlrev_b32_e32 v24, 16, v31
	v_mul_f32_e32 v24, v23, v24
	v_bfe_u32 v31, v24, 16, 1
	v_cndmask_b32_e32 v50, v50, v53, vcc
	v_add3_u32 v31, v31, v24, s21
	v_or_b32_e32 v53, 0x400000, v24
	v_cmp_u_f32_e32 vcc, v24, v24
	v_and_b32_e32 v20, 0xffff0000, v20
	v_and_b32_e32 v24, 0xffff0000, v32
	v_mul_f32_e32 v24, v20, v24
	v_cndmask_b32_e32 v31, v31, v53, vcc
	v_bfe_u32 v53, v24, 16, 1
	v_add3_u32 v53, v53, v24, s21
	v_or_b32_e32 v54, 0x400000, v24
	v_cmp_u_f32_e32 vcc, v24, v24
	v_and_b32_e32 v24, 0xffff0000, v51
	v_lshlrev_b32_e32 v32, 16, v32
	v_mul_f32_e32 v32, v24, v32
	v_bfe_u32 v51, v32, 16, 1
	v_cndmask_b32_e32 v53, v53, v54, vcc
	v_add3_u32 v51, v51, v32, s21
	v_or_b32_e32 v54, 0x400000, v32
	v_cmp_u_f32_e32 vcc, v32, v32
	v_cndmask_b32_e32 v32, v51, v54, vcc
	v_and_b32_e32 v0, 0xffff0000, v0
	v_and_b32_e32 v51, 0xffff0000, v52
	;; [unrolled: 1-line block ×4, first 2 shown]
	v_add_f32_e32 v0, v0, v51
	v_add_f32_e32 v29, v30, v29
	;; [unrolled: 1-line block ×3, first 2 shown]
	v_and_b32_e32 v29, 0xffff0000, v31
	v_and_b32_e32 v30, 0xffff0000, v50
	v_add_f32_e32 v29, v29, v30
	v_add_f32_e32 v0, v29, v0
	v_and_b32_e32 v29, 0xffff0000, v32
	v_and_b32_e32 v30, 0xffff0000, v53
	v_add_f32_e32 v29, v29, v30
	v_add_f32_e32 v0, v29, v0
	;; [unrolled: 1-line block ×3, first 2 shown]
	v_and_b32_e32 v0, 0xffff0000, v25
	v_mul_f32_e32 v0, v17, v0
	v_bfe_u32 v29, v0, 16, 1
	v_lshlrev_b32_e32 v25, 16, v25
	v_add3_u32 v29, v29, v0, s21
	v_or_b32_e32 v30, 0x400000, v0
	v_cmp_u_f32_e32 vcc, v0, v0
	v_mul_f32_e32 v25, v21, v25
	v_cndmask_b32_e32 v0, v29, v30, vcc
	v_bfe_u32 v29, v25, 16, 1
	v_add3_u32 v29, v29, v25, s21
	v_or_b32_e32 v30, 0x400000, v25
	v_cmp_u_f32_e32 vcc, v25, v25
	v_cndmask_b32_e32 v25, v29, v30, vcc
	v_and_b32_e32 v29, 0xffff0000, v26
	v_mul_f32_e32 v29, v18, v29
	v_bfe_u32 v30, v29, 16, 1
	v_lshlrev_b32_e32 v26, 16, v26
	v_add3_u32 v30, v30, v29, s21
	v_or_b32_e32 v31, 0x400000, v29
	v_cmp_u_f32_e32 vcc, v29, v29
	v_mul_f32_e32 v26, v22, v26
	v_cndmask_b32_e32 v29, v30, v31, vcc
	v_bfe_u32 v30, v26, 16, 1
	v_add3_u32 v30, v30, v26, s21
	v_or_b32_e32 v31, 0x400000, v26
	v_cmp_u_f32_e32 vcc, v26, v26
	v_cndmask_b32_e32 v26, v30, v31, vcc
	;; [unrolled: 14-line block ×3, first 2 shown]
	v_and_b32_e32 v31, 0xffff0000, v28
	v_mul_f32_e32 v31, v20, v31
	v_bfe_u32 v32, v31, 16, 1
	v_lshlrev_b32_e32 v28, 16, v28
	v_and_b32_e32 v25, 0xffff0000, v25
	v_and_b32_e32 v0, 0xffff0000, v0
	v_add3_u32 v32, v32, v31, s21
	v_or_b32_e32 v50, 0x400000, v31
	v_cmp_u_f32_e32 vcc, v31, v31
	v_mul_f32_e32 v28, v24, v28
	v_add_f32_e32 v0, v25, v0
	v_and_b32_e32 v25, 0xffff0000, v26
	v_and_b32_e32 v26, 0xffff0000, v29
	v_cndmask_b32_e32 v31, v32, v50, vcc
	v_bfe_u32 v32, v28, 16, 1
	v_add_f32_e32 v25, v25, v26
	v_add3_u32 v32, v32, v28, s21
	v_or_b32_e32 v50, 0x400000, v28
	v_cmp_u_f32_e32 vcc, v28, v28
	v_add_f32_e32 v0, v25, v0
	v_and_b32_e32 v25, 0xffff0000, v27
	v_and_b32_e32 v26, 0xffff0000, v30
	v_cndmask_b32_e32 v28, v32, v50, vcc
	v_add_f32_e32 v25, v25, v26
	v_add_f32_e32 v0, v25, v0
	v_and_b32_e32 v25, 0xffff0000, v28
	v_and_b32_e32 v26, 0xffff0000, v31
	v_add_f32_e32 v25, v25, v26
	v_add_f32_e32 v0, v25, v0
	;; [unrolled: 1-line block ×3, first 2 shown]
	v_and_b32_e32 v0, 0xffff0000, v13
	v_mul_f32_e32 v0, v17, v0
	v_bfe_u32 v25, v0, 16, 1
	v_lshlrev_b32_e32 v13, 16, v13
	v_add3_u32 v25, v25, v0, s21
	v_or_b32_e32 v26, 0x400000, v0
	v_cmp_u_f32_e32 vcc, v0, v0
	v_mul_f32_e32 v13, v21, v13
	v_cndmask_b32_e32 v0, v25, v26, vcc
	v_bfe_u32 v25, v13, 16, 1
	v_add3_u32 v25, v25, v13, s21
	v_or_b32_e32 v26, 0x400000, v13
	v_cmp_u_f32_e32 vcc, v13, v13
	v_cndmask_b32_e32 v13, v25, v26, vcc
	v_and_b32_e32 v25, 0xffff0000, v14
	v_mul_f32_e32 v25, v18, v25
	v_bfe_u32 v26, v25, 16, 1
	v_lshlrev_b32_e32 v14, 16, v14
	v_add3_u32 v26, v26, v25, s21
	v_or_b32_e32 v27, 0x400000, v25
	v_cmp_u_f32_e32 vcc, v25, v25
	v_mul_f32_e32 v14, v22, v14
	v_cndmask_b32_e32 v25, v26, v27, vcc
	v_bfe_u32 v26, v14, 16, 1
	v_add3_u32 v26, v26, v14, s21
	v_or_b32_e32 v27, 0x400000, v14
	v_cmp_u_f32_e32 vcc, v14, v14
	v_cndmask_b32_e32 v14, v26, v27, vcc
	;; [unrolled: 14-line block ×3, first 2 shown]
	v_and_b32_e32 v27, 0xffff0000, v16
	v_mul_f32_e32 v27, v20, v27
	v_bfe_u32 v28, v27, 16, 1
	v_lshlrev_b32_e32 v16, 16, v16
	v_and_b32_e32 v13, 0xffff0000, v13
	v_and_b32_e32 v0, 0xffff0000, v0
	v_add3_u32 v28, v28, v27, s21
	v_or_b32_e32 v29, 0x400000, v27
	v_cmp_u_f32_e32 vcc, v27, v27
	v_mul_f32_e32 v16, v24, v16
	v_add_f32_e32 v0, v13, v0
	v_and_b32_e32 v13, 0xffff0000, v14
	v_and_b32_e32 v14, 0xffff0000, v25
	v_cndmask_b32_e32 v27, v28, v29, vcc
	v_bfe_u32 v28, v16, 16, 1
	v_add_f32_e32 v13, v13, v14
	v_add3_u32 v28, v28, v16, s21
	v_or_b32_e32 v29, 0x400000, v16
	v_cmp_u_f32_e32 vcc, v16, v16
	v_add_f32_e32 v0, v13, v0
	v_and_b32_e32 v13, 0xffff0000, v15
	v_and_b32_e32 v14, 0xffff0000, v26
	v_cndmask_b32_e32 v16, v28, v29, vcc
	v_add_f32_e32 v13, v13, v14
	v_add_f32_e32 v0, v13, v0
	v_and_b32_e32 v13, 0xffff0000, v16
	v_and_b32_e32 v14, 0xffff0000, v27
	v_add_f32_e32 v13, v13, v14
	v_add_f32_e32 v0, v13, v0
	;; [unrolled: 1-line block ×3, first 2 shown]
	v_and_b32_e32 v0, 0xffff0000, v5
	v_mul_f32_e32 v0, v17, v0
	v_bfe_u32 v13, v0, 16, 1
	v_lshlrev_b32_e32 v5, 16, v5
	v_add3_u32 v13, v13, v0, s21
	v_or_b32_e32 v14, 0x400000, v0
	v_cmp_u_f32_e32 vcc, v0, v0
	v_mul_f32_e32 v5, v21, v5
	v_cndmask_b32_e32 v0, v13, v14, vcc
	v_bfe_u32 v13, v5, 16, 1
	v_add3_u32 v13, v13, v5, s21
	v_or_b32_e32 v14, 0x400000, v5
	v_cmp_u_f32_e32 vcc, v5, v5
	v_cndmask_b32_e32 v5, v13, v14, vcc
	v_and_b32_e32 v13, 0xffff0000, v6
	v_mul_f32_e32 v13, v18, v13
	v_bfe_u32 v14, v13, 16, 1
	v_lshlrev_b32_e32 v6, 16, v6
	v_add3_u32 v14, v14, v13, s21
	v_or_b32_e32 v15, 0x400000, v13
	v_cmp_u_f32_e32 vcc, v13, v13
	v_mul_f32_e32 v6, v22, v6
	v_cndmask_b32_e32 v13, v14, v15, vcc
	v_bfe_u32 v14, v6, 16, 1
	v_add3_u32 v14, v14, v6, s21
	v_or_b32_e32 v15, 0x400000, v6
	v_cmp_u_f32_e32 vcc, v6, v6
	v_cndmask_b32_e32 v6, v14, v15, vcc
	;; [unrolled: 14-line block ×3, first 2 shown]
	v_and_b32_e32 v15, 0xffff0000, v8
	v_mul_f32_e32 v15, v20, v15
	v_bfe_u32 v16, v15, 16, 1
	v_lshlrev_b32_e32 v8, 16, v8
	v_and_b32_e32 v5, 0xffff0000, v5
	v_and_b32_e32 v0, 0xffff0000, v0
	v_add3_u32 v16, v16, v15, s21
	v_or_b32_e32 v25, 0x400000, v15
	v_cmp_u_f32_e32 vcc, v15, v15
	v_mul_f32_e32 v8, v24, v8
	v_add_f32_e32 v0, v5, v0
	v_and_b32_e32 v5, 0xffff0000, v6
	v_and_b32_e32 v6, 0xffff0000, v13
	v_cndmask_b32_e32 v15, v16, v25, vcc
	v_bfe_u32 v16, v8, 16, 1
	v_add_f32_e32 v5, v5, v6
	v_add3_u32 v16, v16, v8, s21
	v_or_b32_e32 v25, 0x400000, v8
	v_cmp_u_f32_e32 vcc, v8, v8
	v_add_f32_e32 v0, v5, v0
	v_and_b32_e32 v5, 0xffff0000, v7
	v_and_b32_e32 v6, 0xffff0000, v14
	v_cndmask_b32_e32 v8, v16, v25, vcc
	v_add_f32_e32 v5, v5, v6
	v_add_f32_e32 v0, v5, v0
	v_and_b32_e32 v5, 0xffff0000, v8
	v_and_b32_e32 v6, 0xffff0000, v15
	v_add_f32_e32 v5, v5, v6
	v_add_f32_e32 v0, v5, v0
	;; [unrolled: 1-line block ×3, first 2 shown]
	v_and_b32_e32 v0, 0xffff0000, v1
	v_mul_f32_e32 v0, v17, v0
	v_bfe_u32 v5, v0, 16, 1
	v_lshlrev_b32_e32 v1, 16, v1
	v_add3_u32 v5, v5, v0, s21
	v_or_b32_e32 v6, 0x400000, v0
	v_cmp_u_f32_e32 vcc, v0, v0
	v_mul_f32_e32 v1, v21, v1
	v_cndmask_b32_e32 v0, v5, v6, vcc
	v_bfe_u32 v5, v1, 16, 1
	v_add3_u32 v5, v5, v1, s21
	v_or_b32_e32 v6, 0x400000, v1
	v_cmp_u_f32_e32 vcc, v1, v1
	v_cndmask_b32_e32 v1, v5, v6, vcc
	v_and_b32_e32 v5, 0xffff0000, v2
	v_mul_f32_e32 v5, v18, v5
	v_bfe_u32 v6, v5, 16, 1
	v_lshlrev_b32_e32 v2, 16, v2
	v_add3_u32 v6, v6, v5, s21
	v_or_b32_e32 v7, 0x400000, v5
	v_cmp_u_f32_e32 vcc, v5, v5
	v_mul_f32_e32 v2, v22, v2
	v_cndmask_b32_e32 v5, v6, v7, vcc
	v_bfe_u32 v6, v2, 16, 1
	v_add3_u32 v6, v6, v2, s21
	v_or_b32_e32 v7, 0x400000, v2
	v_cmp_u_f32_e32 vcc, v2, v2
	v_cndmask_b32_e32 v2, v6, v7, vcc
	v_and_b32_e32 v6, 0xffff0000, v3
	v_mul_f32_e32 v6, v19, v6
	v_bfe_u32 v7, v6, 16, 1
	v_lshlrev_b32_e32 v3, 16, v3
	v_add3_u32 v7, v7, v6, s21
	v_or_b32_e32 v8, 0x400000, v6
	v_cmp_u_f32_e32 vcc, v6, v6
	v_mul_f32_e32 v3, v23, v3
	v_cndmask_b32_e32 v6, v7, v8, vcc
	v_bfe_u32 v7, v3, 16, 1
	v_add3_u32 v7, v7, v3, s21
	v_or_b32_e32 v8, 0x400000, v3
	v_cmp_u_f32_e32 vcc, v3, v3
	v_cndmask_b32_e32 v3, v7, v8, vcc
	v_and_b32_e32 v7, 0xffff0000, v4
	v_mul_f32_e32 v7, v20, v7
	v_bfe_u32 v8, v7, 16, 1
	v_lshlrev_b32_e32 v4, 16, v4
	v_and_b32_e32 v1, 0xffff0000, v1
	v_and_b32_e32 v0, 0xffff0000, v0
	v_add3_u32 v8, v8, v7, s21
	v_or_b32_e32 v13, 0x400000, v7
	v_cmp_u_f32_e32 vcc, v7, v7
	v_mul_f32_e32 v4, v24, v4
	v_add_f32_e32 v0, v1, v0
	v_and_b32_e32 v1, 0xffff0000, v2
	v_and_b32_e32 v2, 0xffff0000, v5
	v_cndmask_b32_e32 v7, v8, v13, vcc
	v_bfe_u32 v8, v4, 16, 1
	v_add_f32_e32 v1, v1, v2
	v_add3_u32 v8, v8, v4, s21
	v_or_b32_e32 v13, 0x400000, v4
	v_cmp_u_f32_e32 vcc, v4, v4
	v_add_f32_e32 v0, v1, v0
	v_and_b32_e32 v1, 0xffff0000, v3
	v_and_b32_e32 v2, 0xffff0000, v6
	v_cndmask_b32_e32 v4, v8, v13, vcc
	v_add_f32_e32 v1, v1, v2
	v_add_f32_e32 v0, v1, v0
	v_and_b32_e32 v1, 0xffff0000, v4
	v_and_b32_e32 v2, 0xffff0000, v7
	v_add_f32_e32 v1, v1, v2
	v_add_f32_e32 v0, v1, v0
	;; [unrolled: 1-line block ×3, first 2 shown]
	s_waitcnt vmcnt(0)
	v_lshlrev_b32_e32 v0, 16, v9
	v_mul_f32_e32 v0, v21, v0
	v_bfe_u32 v1, v0, 16, 1
	v_add3_u32 v1, v1, v0, s21
	v_or_b32_e32 v2, 0x400000, v0
	v_cmp_u_f32_e32 vcc, v0, v0
	v_cndmask_b32_e32 v0, v1, v2, vcc
	v_and_b32_e32 v1, 0xffff0000, v9
	v_mul_f32_e32 v1, v17, v1
	v_bfe_u32 v2, v1, 16, 1
	v_add3_u32 v2, v2, v1, s21
	v_or_b32_e32 v3, 0x400000, v1
	v_cmp_u_f32_e32 vcc, v1, v1
	v_cndmask_b32_e32 v1, v2, v3, vcc
	v_lshlrev_b32_e32 v2, 16, v10
	v_mul_f32_e32 v2, v22, v2
	v_bfe_u32 v3, v2, 16, 1
	v_add3_u32 v3, v3, v2, s21
	v_or_b32_e32 v4, 0x400000, v2
	v_cmp_u_f32_e32 vcc, v2, v2
	v_cndmask_b32_e32 v2, v3, v4, vcc
	v_and_b32_e32 v3, 0xffff0000, v10
	v_mul_f32_e32 v3, v18, v3
	v_bfe_u32 v4, v3, 16, 1
	v_add3_u32 v4, v4, v3, s21
	v_or_b32_e32 v5, 0x400000, v3
	v_cmp_u_f32_e32 vcc, v3, v3
	v_cndmask_b32_e32 v3, v4, v5, vcc
	;; [unrolled: 14-line block ×3, first 2 shown]
	v_lshlrev_b32_e32 v6, 16, v12
	v_mul_f32_e32 v6, v24, v6
	v_bfe_u32 v7, v6, 16, 1
	v_add3_u32 v7, v7, v6, s21
	v_or_b32_e32 v8, 0x400000, v6
	v_cmp_u_f32_e32 vcc, v6, v6
	v_cndmask_b32_e32 v6, v7, v8, vcc
	v_and_b32_e32 v7, 0xffff0000, v12
	v_and_b32_e32 v1, 0xffff0000, v1
	;; [unrolled: 1-line block ×3, first 2 shown]
	v_mul_f32_e32 v7, v20, v7
	v_add_f32_e32 v0, v0, v1
	v_and_b32_e32 v1, 0xffff0000, v3
	v_and_b32_e32 v2, 0xffff0000, v2
	v_bfe_u32 v8, v7, 16, 1
	v_add_f32_e32 v1, v2, v1
	v_add3_u32 v8, v8, v7, s21
	v_or_b32_e32 v9, 0x400000, v7
	v_cmp_u_f32_e32 vcc, v7, v7
	v_add_f32_e32 v0, v1, v0
	v_and_b32_e32 v1, 0xffff0000, v5
	v_and_b32_e32 v2, 0xffff0000, v4
	v_cndmask_b32_e32 v7, v8, v9, vcc
	v_add_f32_e32 v1, v2, v1
	v_add_f32_e32 v0, v1, v0
	v_and_b32_e32 v1, 0xffff0000, v7
	v_and_b32_e32 v2, 0xffff0000, v6
	v_add_u32_e32 v35, 2, v35
	v_add_f32_e32 v1, v2, v1
	v_cmp_le_i32_e32 vcc, s17, v35
	v_add_f32_e32 v0, v1, v0
	s_or_b64 s[6:7], vcc, s[6:7]
	v_add_co_u32_e32 v33, vcc, 8, v33
	v_add_f32_e32 v39, v39, v0
	v_add_u32_e32 v48, 32, v48
	v_add_u32_e32 v49, 0x80, v49
	v_addc_co_u32_e32 v34, vcc, 0, v34, vcc
	s_andn2_b64 exec, exec, s[6:7]
	s_cbranch_execz .LBB142_42
.LBB142_30:                             ; =>This Inner Loop Header: Depth=1
	global_load_dword v0, v[33:34], off
	v_add_u32_e32 v56, 1, v48
	v_or_b32_e32 v54, 3, v48
	v_or_b32_e32 v55, 2, v48
	;; [unrolled: 1-line block ×6, first 2 shown]
	s_waitcnt vmcnt(0)
	v_mad_i64_i32 v[0:1], s[0:1], v0, s26, 0
	v_cmp_eq_u32_e64 s[0:1], s14, v35
	v_lshlrev_b64 v[0:1], 1, v[0:1]
	v_add_co_u32_e32 v9, vcc, v46, v0
	v_addc_co_u32_e32 v10, vcc, v47, v1, vcc
	global_load_dwordx4 v[1:4], v[9:10], off
	ds_read2_b64 v[21:24], v49 offset1:1
	ds_read2_b64 v[17:20], v49 offset0:2 offset1:3
	s_and_saveexec_b64 s[12:13], s[0:1]
	s_cbranch_execnz .LBB142_39
; %bb.31:                               ;   in Loop: Header=BB142_30 Depth=1
	s_or_b64 exec, exec, s[12:13]
	global_load_dwordx4 v[5:8], v[9:10], off offset:1024
	s_and_saveexec_b64 s[12:13], s[0:1]
	s_cbranch_execnz .LBB142_40
.LBB142_32:                             ;   in Loop: Header=BB142_30 Depth=1
	s_or_b64 exec, exec, s[12:13]
	global_load_dwordx4 v[13:16], v[9:10], off offset:2048
	s_and_saveexec_b64 s[12:13], s[0:1]
	s_cbranch_execnz .LBB142_41
.LBB142_33:                             ;   in Loop: Header=BB142_30 Depth=1
	s_or_b64 exec, exec, s[12:13]
	global_load_dwordx4 v[25:28], v[9:10], off offset:3072
	s_and_saveexec_b64 s[12:13], s[0:1]
	s_cbranch_execz .LBB142_35
.LBB142_34:                             ;   in Loop: Header=BB142_30 Depth=1
	v_cmp_gt_i32_e32 vcc, s15, v56
	s_waitcnt vmcnt(0)
	v_cndmask_b32_sdwa v0, v45, v25, vcc dst_sel:DWORD dst_unused:UNUSED_PAD src0_sel:DWORD src1_sel:WORD_1
	v_cmp_gt_i32_e32 vcc, s33, v48
	v_cndmask_b32_e32 v11, 0, v25, vcc
	v_cmp_gt_i32_e32 vcc, s15, v54
	v_cmp_gt_i32_e64 s[2:3], s33, v55
	v_perm_b32 v25, v0, v11, s20
	v_cndmask_b32_e64 v0, 0, v26, s[2:3]
	v_cndmask_b32_sdwa v11, v45, v26, vcc dst_sel:DWORD dst_unused:UNUSED_PAD src0_sel:DWORD src1_sel:WORD_1
	v_cmp_gt_i32_e32 vcc, s15, v52
	v_cmp_gt_i32_e64 s[2:3], s33, v53
	v_perm_b32 v26, v11, v0, s20
	v_cndmask_b32_e64 v0, 0, v27, s[2:3]
	v_cndmask_b32_sdwa v11, v45, v27, vcc dst_sel:DWORD dst_unused:UNUSED_PAD src0_sel:DWORD src1_sel:WORD_1
	v_cmp_gt_i32_e32 vcc, s15, v50
	v_cmp_gt_i32_e64 s[2:3], s33, v51
	v_perm_b32 v27, v11, v0, s20
	v_cndmask_b32_e64 v0, 0, v28, s[2:3]
	v_cndmask_b32_sdwa v11, v45, v28, vcc dst_sel:DWORD dst_unused:UNUSED_PAD src0_sel:DWORD src1_sel:WORD_1
	v_perm_b32 v28, v11, v0, s20
.LBB142_35:                             ;   in Loop: Header=BB142_30 Depth=1
	s_or_b64 exec, exec, s[12:13]
	v_add_co_u32_e32 v11, vcc, 0x1000, v9
	v_addc_co_u32_e32 v12, vcc, 0, v10, vcc
	global_load_dwordx4 v[29:32], v[11:12], off
	s_and_saveexec_b64 s[12:13], s[0:1]
	s_cbranch_execz .LBB142_37
; %bb.36:                               ;   in Loop: Header=BB142_30 Depth=1
	v_cmp_gt_i32_e32 vcc, s15, v56
	s_waitcnt vmcnt(0)
	v_cndmask_b32_sdwa v0, v45, v29, vcc dst_sel:DWORD dst_unused:UNUSED_PAD src0_sel:DWORD src1_sel:WORD_1
	v_cmp_gt_i32_e32 vcc, s33, v48
	v_cndmask_b32_e32 v11, 0, v29, vcc
	v_cmp_gt_i32_e32 vcc, s15, v54
	v_cmp_gt_i32_e64 s[2:3], s33, v55
	v_perm_b32 v29, v0, v11, s20
	v_cndmask_b32_e64 v0, 0, v30, s[2:3]
	v_cndmask_b32_sdwa v11, v45, v30, vcc dst_sel:DWORD dst_unused:UNUSED_PAD src0_sel:DWORD src1_sel:WORD_1
	v_cmp_gt_i32_e32 vcc, s15, v52
	v_cmp_gt_i32_e64 s[2:3], s33, v53
	v_perm_b32 v30, v11, v0, s20
	v_cndmask_b32_e64 v0, 0, v31, s[2:3]
	v_cndmask_b32_sdwa v11, v45, v31, vcc dst_sel:DWORD dst_unused:UNUSED_PAD src0_sel:DWORD src1_sel:WORD_1
	;; [unrolled: 5-line block ×3, first 2 shown]
	v_perm_b32 v32, v11, v0, s20
.LBB142_37:                             ;   in Loop: Header=BB142_30 Depth=1
	s_or_b64 exec, exec, s[12:13]
	v_add_co_u32_e32 v9, vcc, 0x1000, v9
	v_addc_co_u32_e32 v10, vcc, 0, v10, vcc
	global_load_dwordx4 v[9:12], v[9:10], off offset:1024
	s_and_saveexec_b64 s[2:3], s[0:1]
	s_cbranch_execz .LBB142_29
; %bb.38:                               ;   in Loop: Header=BB142_30 Depth=1
	v_cmp_gt_i32_e32 vcc, s15, v56
	s_waitcnt vmcnt(0)
	v_cndmask_b32_sdwa v0, v45, v9, vcc dst_sel:DWORD dst_unused:UNUSED_PAD src0_sel:DWORD src1_sel:WORD_1
	v_cmp_gt_i32_e32 vcc, s33, v48
	v_cndmask_b32_e32 v9, 0, v9, vcc
	v_cmp_gt_i32_e32 vcc, s15, v54
	v_cmp_gt_i32_e64 s[0:1], s33, v55
	v_perm_b32 v9, v0, v9, s20
	v_cndmask_b32_e64 v0, 0, v10, s[0:1]
	v_cndmask_b32_sdwa v10, v45, v10, vcc dst_sel:DWORD dst_unused:UNUSED_PAD src0_sel:DWORD src1_sel:WORD_1
	v_cmp_gt_i32_e32 vcc, s15, v52
	v_cmp_gt_i32_e64 s[0:1], s33, v53
	v_perm_b32 v10, v10, v0, s20
	v_cndmask_b32_e64 v0, 0, v11, s[0:1]
	v_cndmask_b32_sdwa v11, v45, v11, vcc dst_sel:DWORD dst_unused:UNUSED_PAD src0_sel:DWORD src1_sel:WORD_1
	;; [unrolled: 5-line block ×3, first 2 shown]
	v_perm_b32 v12, v12, v0, s20
	s_branch .LBB142_29
.LBB142_39:                             ;   in Loop: Header=BB142_30 Depth=1
	v_cmp_gt_i32_e32 vcc, s15, v56
	s_waitcnt vmcnt(0)
	v_cndmask_b32_sdwa v0, v45, v1, vcc dst_sel:DWORD dst_unused:UNUSED_PAD src0_sel:DWORD src1_sel:WORD_1
	v_cmp_gt_i32_e32 vcc, s33, v48
	v_cndmask_b32_e32 v1, 0, v1, vcc
	v_cmp_gt_i32_e32 vcc, s15, v54
	v_cmp_gt_i32_e64 s[2:3], s33, v55
	v_perm_b32 v1, v0, v1, s20
	v_cndmask_b32_e64 v0, 0, v2, s[2:3]
	v_cndmask_b32_sdwa v2, v45, v2, vcc dst_sel:DWORD dst_unused:UNUSED_PAD src0_sel:DWORD src1_sel:WORD_1
	v_cmp_gt_i32_e32 vcc, s15, v52
	v_cmp_gt_i32_e64 s[2:3], s33, v53
	v_perm_b32 v2, v2, v0, s20
	v_cndmask_b32_e64 v0, 0, v3, s[2:3]
	v_cndmask_b32_sdwa v3, v45, v3, vcc dst_sel:DWORD dst_unused:UNUSED_PAD src0_sel:DWORD src1_sel:WORD_1
	;; [unrolled: 5-line block ×3, first 2 shown]
	v_perm_b32 v4, v4, v0, s20
	s_or_b64 exec, exec, s[12:13]
	global_load_dwordx4 v[5:8], v[9:10], off offset:1024
	s_and_saveexec_b64 s[12:13], s[0:1]
	s_cbranch_execz .LBB142_32
.LBB142_40:                             ;   in Loop: Header=BB142_30 Depth=1
	v_cmp_gt_i32_e32 vcc, s15, v56
	s_waitcnt vmcnt(0)
	v_cndmask_b32_sdwa v0, v45, v5, vcc dst_sel:DWORD dst_unused:UNUSED_PAD src0_sel:DWORD src1_sel:WORD_1
	v_cmp_gt_i32_e32 vcc, s33, v48
	v_cndmask_b32_e32 v5, 0, v5, vcc
	v_cmp_gt_i32_e32 vcc, s15, v54
	v_cmp_gt_i32_e64 s[2:3], s33, v55
	v_perm_b32 v5, v0, v5, s20
	v_cndmask_b32_e64 v0, 0, v6, s[2:3]
	v_cndmask_b32_sdwa v6, v45, v6, vcc dst_sel:DWORD dst_unused:UNUSED_PAD src0_sel:DWORD src1_sel:WORD_1
	v_cmp_gt_i32_e32 vcc, s15, v52
	v_cmp_gt_i32_e64 s[2:3], s33, v53
	v_perm_b32 v6, v6, v0, s20
	v_cndmask_b32_e64 v0, 0, v7, s[2:3]
	v_cndmask_b32_sdwa v7, v45, v7, vcc dst_sel:DWORD dst_unused:UNUSED_PAD src0_sel:DWORD src1_sel:WORD_1
	v_cmp_gt_i32_e32 vcc, s15, v50
	v_cmp_gt_i32_e64 s[2:3], s33, v51
	v_perm_b32 v7, v7, v0, s20
	v_cndmask_b32_e64 v0, 0, v8, s[2:3]
	v_cndmask_b32_sdwa v8, v45, v8, vcc dst_sel:DWORD dst_unused:UNUSED_PAD src0_sel:DWORD src1_sel:WORD_1
	v_perm_b32 v8, v8, v0, s20
	s_or_b64 exec, exec, s[12:13]
	global_load_dwordx4 v[13:16], v[9:10], off offset:2048
	s_and_saveexec_b64 s[12:13], s[0:1]
	s_cbranch_execz .LBB142_33
.LBB142_41:                             ;   in Loop: Header=BB142_30 Depth=1
	v_cmp_gt_i32_e32 vcc, s15, v56
	s_waitcnt vmcnt(0)
	v_cndmask_b32_sdwa v0, v45, v13, vcc dst_sel:DWORD dst_unused:UNUSED_PAD src0_sel:DWORD src1_sel:WORD_1
	v_cmp_gt_i32_e32 vcc, s33, v48
	v_cndmask_b32_e32 v11, 0, v13, vcc
	v_cmp_gt_i32_e32 vcc, s15, v54
	v_cmp_gt_i32_e64 s[2:3], s33, v55
	v_perm_b32 v13, v0, v11, s20
	v_cndmask_b32_e64 v0, 0, v14, s[2:3]
	v_cndmask_b32_sdwa v11, v45, v14, vcc dst_sel:DWORD dst_unused:UNUSED_PAD src0_sel:DWORD src1_sel:WORD_1
	v_cmp_gt_i32_e32 vcc, s15, v52
	v_cmp_gt_i32_e64 s[2:3], s33, v53
	v_perm_b32 v14, v11, v0, s20
	v_cndmask_b32_e64 v0, 0, v15, s[2:3]
	v_cndmask_b32_sdwa v11, v45, v15, vcc dst_sel:DWORD dst_unused:UNUSED_PAD src0_sel:DWORD src1_sel:WORD_1
	;; [unrolled: 5-line block ×3, first 2 shown]
	v_perm_b32 v16, v11, v0, s20
	s_or_b64 exec, exec, s[12:13]
	global_load_dwordx4 v[25:28], v[9:10], off offset:3072
	s_and_saveexec_b64 s[12:13], s[0:1]
	s_cbranch_execnz .LBB142_34
	s_branch .LBB142_35
.LBB142_42:
	s_or_b64 exec, exec, s[6:7]
.LBB142_43:
	s_or_b64 exec, exec, s[4:5]
	ds_bpermute_b32 v0, v37, v44
	ds_bpermute_b32 v2, v37, v42
	;; [unrolled: 1-line block ×5, first 2 shown]
	s_waitcnt lgkmcnt(4)
	v_add_f32_e32 v6, v44, v0
	ds_bpermute_b32 v0, v37, v39
	s_waitcnt lgkmcnt(4)
	v_add_f32_e32 v4, v42, v2
	s_waitcnt lgkmcnt(3)
	v_add_f32_e32 v2, v40, v7
	v_and_b32_e32 v7, 0x3c1, v57
	s_waitcnt lgkmcnt(2)
	v_add_f32_e32 v5, v43, v1
	s_waitcnt lgkmcnt(1)
	v_add_f32_e32 v3, v41, v3
	;; [unrolled: 2-line block ×3, first 2 shown]
	v_cmp_eq_u32_e32 vcc, 64, v7
	s_barrier
	s_and_saveexec_b64 s[0:1], vcc
	s_cbranch_execz .LBB142_45
; %bb.44:
	v_mov_b32_e32 v0, 0x190
	v_lshl_add_u32 v0, v36, 1, v0
	ds_write2_b32 v0, v6, v5 offset1:32
	ds_write2_b32 v0, v4, v3 offset0:64 offset1:96
	ds_write2_b32 v0, v2, v1 offset0:128 offset1:160
.LBB142_45:
	s_or_b64 exec, exec, s[0:1]
	v_cmp_gt_u32_e32 vcc, 64, v57
	v_lshrrev_b32_e32 v0, 1, v57
	s_waitcnt lgkmcnt(0)
	s_barrier
	s_and_saveexec_b64 s[0:1], vcc
	s_cbranch_execz .LBB142_54
; %bb.46:
	v_mov_b32_e32 v8, 0x190
	v_cmp_eq_u32_e32 vcc, 0, v38
	v_lshl_add_u32 v8, v0, 2, v8
	s_and_saveexec_b64 s[2:3], vcc
	s_cbranch_execnz .LBB142_57
; %bb.47:
	s_or_b64 exec, exec, s[2:3]
	s_and_saveexec_b64 s[2:3], vcc
	s_cbranch_execnz .LBB142_58
.LBB142_48:
	s_or_b64 exec, exec, s[2:3]
	s_and_saveexec_b64 s[2:3], vcc
	s_cbranch_execnz .LBB142_59
.LBB142_49:
	s_or_b64 exec, exec, s[2:3]
	s_and_saveexec_b64 s[2:3], vcc
	s_cbranch_execnz .LBB142_60
.LBB142_50:
	s_or_b64 exec, exec, s[2:3]
	s_and_saveexec_b64 s[2:3], vcc
	s_cbranch_execnz .LBB142_61
.LBB142_51:
	s_or_b64 exec, exec, s[2:3]
	s_and_saveexec_b64 s[2:3], vcc
	s_cbranch_execz .LBB142_53
.LBB142_52:
	ds_read_b32 v8, v8 offset:640
	s_waitcnt lgkmcnt(0)
	v_add_f32_e32 v1, v1, v8
.LBB142_53:
	s_or_b64 exec, exec, s[2:3]
.LBB142_54:
	s_or_b64 exec, exec, s[0:1]
	v_cmp_eq_u32_e32 vcc, 0, v7
	s_barrier
	s_and_saveexec_b64 s[0:1], vcc
	s_cbranch_execz .LBB142_56
; %bb.55:
	s_mul_i32 s0, s10, s11
	s_mul_i32 s0, s0, s9
	s_mulk_i32 s0, 0xc0
	s_ashr_i32 s1, s0, 31
	s_lshl_b64 s[0:1], s[0:1], 1
	s_add_u32 s2, s18, s0
	s_mul_i32 s0, s11, s16
	s_addc_u32 s3, s19, s1
	s_ashr_i32 s1, s0, 31
	s_lshl_b64 s[0:1], s[0:1], 1
	s_add_u32 s2, s2, s0
	s_mul_i32 s0, s8, 0xc0
	s_addc_u32 s3, s3, s1
	s_ashr_i32 s1, s0, 31
	s_lshl_b64 s[0:1], s[0:1], 1
	s_add_u32 s0, s2, s0
	v_bfe_u32 v7, v6, 16, 1
	s_movk_i32 s2, 0x7fff
	v_add3_u32 v7, v7, v6, s2
	v_or_b32_e32 v8, 0x400000, v6
	v_cmp_u_f32_e32 vcc, v6, v6
	s_addc_u32 s1, s3, s1
	v_lshlrev_b32_e32 v0, 1, v0
	v_cndmask_b32_e32 v6, v7, v8, vcc
	global_store_short_d16_hi v0, v6, s[0:1]
	v_bfe_u32 v6, v5, 16, 1
	v_add3_u32 v6, v6, v5, s2
	v_or_b32_e32 v7, 0x400000, v5
	v_cmp_u_f32_e32 vcc, v5, v5
	v_cndmask_b32_e32 v5, v6, v7, vcc
	global_store_short_d16_hi v0, v5, s[0:1] offset:64
	v_bfe_u32 v5, v4, 16, 1
	v_add3_u32 v5, v5, v4, s2
	v_or_b32_e32 v6, 0x400000, v4
	v_cmp_u_f32_e32 vcc, v4, v4
	v_cndmask_b32_e32 v4, v5, v6, vcc
	global_store_short_d16_hi v0, v4, s[0:1] offset:128
	;; [unrolled: 6-line block ×5, first 2 shown]
.LBB142_56:
	s_endpgm
.LBB142_57:
	ds_read_b32 v9, v8
	s_waitcnt lgkmcnt(0)
	v_add_f32_e32 v6, v6, v9
	s_or_b64 exec, exec, s[2:3]
	s_and_saveexec_b64 s[2:3], vcc
	s_cbranch_execz .LBB142_48
.LBB142_58:
	ds_read_b32 v9, v8 offset:128
	s_waitcnt lgkmcnt(0)
	v_add_f32_e32 v5, v5, v9
	s_or_b64 exec, exec, s[2:3]
	s_and_saveexec_b64 s[2:3], vcc
	s_cbranch_execz .LBB142_49
.LBB142_59:
	ds_read_b32 v9, v8 offset:256
	s_waitcnt lgkmcnt(0)
	v_add_f32_e32 v4, v4, v9
	s_or_b64 exec, exec, s[2:3]
	s_and_saveexec_b64 s[2:3], vcc
	s_cbranch_execz .LBB142_50
.LBB142_60:
	ds_read_b32 v9, v8 offset:384
	s_waitcnt lgkmcnt(0)
	v_add_f32_e32 v3, v3, v9
	s_or_b64 exec, exec, s[2:3]
	s_and_saveexec_b64 s[2:3], vcc
	s_cbranch_execz .LBB142_51
.LBB142_61:
	ds_read_b32 v9, v8 offset:512
	s_waitcnt lgkmcnt(0)
	v_add_f32_e32 v2, v2, v9
	s_or_b64 exec, exec, s[2:3]
	s_and_saveexec_b64 s[2:3], vcc
	s_cbranch_execnz .LBB142_52
	s_branch .LBB142_53
	.section	.rodata,"a",@progbits
	.p2align	6, 0x0
	.amdhsa_kernel _ZN4vllm25paged_attention_v1_kernelI14__hip_bfloat16S1_Li192ELi16ELi128ELNS_18Fp8KVCacheDataTypeE0ELb0EEEvPT_PKS3_PKT0_S9_ifPKiSB_iPKfiiiSD_SD_iiiii
		.amdhsa_group_segment_fixed_size 400
		.amdhsa_private_segment_fixed_size 108
		.amdhsa_kernarg_size 384
		.amdhsa_user_sgpr_count 6
		.amdhsa_user_sgpr_private_segment_buffer 1
		.amdhsa_user_sgpr_dispatch_ptr 0
		.amdhsa_user_sgpr_queue_ptr 0
		.amdhsa_user_sgpr_kernarg_segment_ptr 1
		.amdhsa_user_sgpr_dispatch_id 0
		.amdhsa_user_sgpr_flat_scratch_init 0
		.amdhsa_user_sgpr_private_segment_size 0
		.amdhsa_uses_dynamic_stack 0
		.amdhsa_system_sgpr_private_segment_wavefront_offset 1
		.amdhsa_system_sgpr_workgroup_id_x 1
		.amdhsa_system_sgpr_workgroup_id_y 1
		.amdhsa_system_sgpr_workgroup_id_z 1
		.amdhsa_system_sgpr_workgroup_info 0
		.amdhsa_system_vgpr_workitem_id 0
		.amdhsa_next_free_vgpr 64
		.amdhsa_next_free_sgpr 40
		.amdhsa_reserve_vcc 1
		.amdhsa_reserve_flat_scratch 0
		.amdhsa_float_round_mode_32 0
		.amdhsa_float_round_mode_16_64 0
		.amdhsa_float_denorm_mode_32 3
		.amdhsa_float_denorm_mode_16_64 3
		.amdhsa_dx10_clamp 1
		.amdhsa_ieee_mode 1
		.amdhsa_fp16_overflow 0
		.amdhsa_exception_fp_ieee_invalid_op 0
		.amdhsa_exception_fp_denorm_src 0
		.amdhsa_exception_fp_ieee_div_zero 0
		.amdhsa_exception_fp_ieee_overflow 0
		.amdhsa_exception_fp_ieee_underflow 0
		.amdhsa_exception_fp_ieee_inexact 0
		.amdhsa_exception_int_div_zero 0
	.end_amdhsa_kernel
	.section	.text._ZN4vllm25paged_attention_v1_kernelI14__hip_bfloat16S1_Li192ELi16ELi128ELNS_18Fp8KVCacheDataTypeE0ELb0EEEvPT_PKS3_PKT0_S9_ifPKiSB_iPKfiiiSD_SD_iiiii,"axG",@progbits,_ZN4vllm25paged_attention_v1_kernelI14__hip_bfloat16S1_Li192ELi16ELi128ELNS_18Fp8KVCacheDataTypeE0ELb0EEEvPT_PKS3_PKT0_S9_ifPKiSB_iPKfiiiSD_SD_iiiii,comdat
.Lfunc_end142:
	.size	_ZN4vllm25paged_attention_v1_kernelI14__hip_bfloat16S1_Li192ELi16ELi128ELNS_18Fp8KVCacheDataTypeE0ELb0EEEvPT_PKS3_PKT0_S9_ifPKiSB_iPKfiiiSD_SD_iiiii, .Lfunc_end142-_ZN4vllm25paged_attention_v1_kernelI14__hip_bfloat16S1_Li192ELi16ELi128ELNS_18Fp8KVCacheDataTypeE0ELb0EEEvPT_PKS3_PKT0_S9_ifPKiSB_iPKfiiiSD_SD_iiiii
                                        ; -- End function
	.set _ZN4vllm25paged_attention_v1_kernelI14__hip_bfloat16S1_Li192ELi16ELi128ELNS_18Fp8KVCacheDataTypeE0ELb0EEEvPT_PKS3_PKT0_S9_ifPKiSB_iPKfiiiSD_SD_iiiii.num_vgpr, 64
	.set _ZN4vllm25paged_attention_v1_kernelI14__hip_bfloat16S1_Li192ELi16ELi128ELNS_18Fp8KVCacheDataTypeE0ELb0EEEvPT_PKS3_PKT0_S9_ifPKiSB_iPKfiiiSD_SD_iiiii.num_agpr, 0
	.set _ZN4vllm25paged_attention_v1_kernelI14__hip_bfloat16S1_Li192ELi16ELi128ELNS_18Fp8KVCacheDataTypeE0ELb0EEEvPT_PKS3_PKT0_S9_ifPKiSB_iPKfiiiSD_SD_iiiii.numbered_sgpr, 40
	.set _ZN4vllm25paged_attention_v1_kernelI14__hip_bfloat16S1_Li192ELi16ELi128ELNS_18Fp8KVCacheDataTypeE0ELb0EEEvPT_PKS3_PKT0_S9_ifPKiSB_iPKfiiiSD_SD_iiiii.num_named_barrier, 0
	.set _ZN4vllm25paged_attention_v1_kernelI14__hip_bfloat16S1_Li192ELi16ELi128ELNS_18Fp8KVCacheDataTypeE0ELb0EEEvPT_PKS3_PKT0_S9_ifPKiSB_iPKfiiiSD_SD_iiiii.private_seg_size, 108
	.set _ZN4vllm25paged_attention_v1_kernelI14__hip_bfloat16S1_Li192ELi16ELi128ELNS_18Fp8KVCacheDataTypeE0ELb0EEEvPT_PKS3_PKT0_S9_ifPKiSB_iPKfiiiSD_SD_iiiii.uses_vcc, 1
	.set _ZN4vllm25paged_attention_v1_kernelI14__hip_bfloat16S1_Li192ELi16ELi128ELNS_18Fp8KVCacheDataTypeE0ELb0EEEvPT_PKS3_PKT0_S9_ifPKiSB_iPKfiiiSD_SD_iiiii.uses_flat_scratch, 0
	.set _ZN4vllm25paged_attention_v1_kernelI14__hip_bfloat16S1_Li192ELi16ELi128ELNS_18Fp8KVCacheDataTypeE0ELb0EEEvPT_PKS3_PKT0_S9_ifPKiSB_iPKfiiiSD_SD_iiiii.has_dyn_sized_stack, 0
	.set _ZN4vllm25paged_attention_v1_kernelI14__hip_bfloat16S1_Li192ELi16ELi128ELNS_18Fp8KVCacheDataTypeE0ELb0EEEvPT_PKS3_PKT0_S9_ifPKiSB_iPKfiiiSD_SD_iiiii.has_recursion, 0
	.set _ZN4vllm25paged_attention_v1_kernelI14__hip_bfloat16S1_Li192ELi16ELi128ELNS_18Fp8KVCacheDataTypeE0ELb0EEEvPT_PKS3_PKT0_S9_ifPKiSB_iPKfiiiSD_SD_iiiii.has_indirect_call, 0
	.section	.AMDGPU.csdata,"",@progbits
; Kernel info:
; codeLenInByte = 8572
; TotalNumSgprs: 44
; NumVgprs: 64
; ScratchSize: 108
; MemoryBound: 0
; FloatMode: 240
; IeeeMode: 1
; LDSByteSize: 400 bytes/workgroup (compile time only)
; SGPRBlocks: 5
; VGPRBlocks: 15
; NumSGPRsForWavesPerEU: 44
; NumVGPRsForWavesPerEU: 64
; Occupancy: 4
; WaveLimiterHint : 1
; COMPUTE_PGM_RSRC2:SCRATCH_EN: 1
; COMPUTE_PGM_RSRC2:USER_SGPR: 6
; COMPUTE_PGM_RSRC2:TRAP_HANDLER: 0
; COMPUTE_PGM_RSRC2:TGID_X_EN: 1
; COMPUTE_PGM_RSRC2:TGID_Y_EN: 1
; COMPUTE_PGM_RSRC2:TGID_Z_EN: 1
; COMPUTE_PGM_RSRC2:TIDIG_COMP_CNT: 0
	.section	.text._ZN4vllm25paged_attention_v1_kernelI14__hip_bfloat16S1_Li256ELi16ELi128ELNS_18Fp8KVCacheDataTypeE0ELb0EEEvPT_PKS3_PKT0_S9_ifPKiSB_iPKfiiiSD_SD_iiiii,"axG",@progbits,_ZN4vllm25paged_attention_v1_kernelI14__hip_bfloat16S1_Li256ELi16ELi128ELNS_18Fp8KVCacheDataTypeE0ELb0EEEvPT_PKS3_PKT0_S9_ifPKiSB_iPKfiiiSD_SD_iiiii,comdat
	.protected	_ZN4vllm25paged_attention_v1_kernelI14__hip_bfloat16S1_Li256ELi16ELi128ELNS_18Fp8KVCacheDataTypeE0ELb0EEEvPT_PKS3_PKT0_S9_ifPKiSB_iPKfiiiSD_SD_iiiii ; -- Begin function _ZN4vllm25paged_attention_v1_kernelI14__hip_bfloat16S1_Li256ELi16ELi128ELNS_18Fp8KVCacheDataTypeE0ELb0EEEvPT_PKS3_PKT0_S9_ifPKiSB_iPKfiiiSD_SD_iiiii
	.globl	_ZN4vllm25paged_attention_v1_kernelI14__hip_bfloat16S1_Li256ELi16ELi128ELNS_18Fp8KVCacheDataTypeE0ELb0EEEvPT_PKS3_PKT0_S9_ifPKiSB_iPKfiiiSD_SD_iiiii
	.p2align	8
	.type	_ZN4vllm25paged_attention_v1_kernelI14__hip_bfloat16S1_Li256ELi16ELi128ELNS_18Fp8KVCacheDataTypeE0ELb0EEEvPT_PKS3_PKT0_S9_ifPKiSB_iPKfiiiSD_SD_iiiii,@function
_ZN4vllm25paged_attention_v1_kernelI14__hip_bfloat16S1_Li256ELi16ELi128ELNS_18Fp8KVCacheDataTypeE0ELb0EEEvPT_PKS3_PKT0_S9_ifPKiSB_iPKfiiiSD_SD_iiiii: ; @_ZN4vllm25paged_attention_v1_kernelI14__hip_bfloat16S1_Li256ELi16ELi128ELNS_18Fp8KVCacheDataTypeE0ELb0EEEvPT_PKS3_PKT0_S9_ifPKiSB_iPKfiiiSD_SD_iiiii
; %bb.0:
	s_mov_b64 s[38:39], s[2:3]
	s_mov_b64 s[36:37], s[0:1]
	s_add_u32 s36, s36, s9
	s_load_dword s9, s[4:5], 0x80
	s_load_dwordx2 s[0:1], s[4:5], 0x30
	s_load_dwordx2 s[26:27], s[4:5], 0x20
	s_addc_u32 s37, s37, 0
	s_mov_b32 s10, s7
	s_ashr_i32 s11, s7, 31
	s_lshl_b64 s[2:3], s[10:11], 2
	s_waitcnt lgkmcnt(0)
	s_add_u32 s0, s0, s2
	s_addc_u32 s1, s1, s3
	s_abs_i32 s2, s26
	v_mov_b32_e32 v11, v0
	v_cvt_f32_u32_e32 v0, s2
	s_sub_i32 s11, 0, s2
	s_abs_i32 s7, s9
	s_xor_b32 s3, s9, s26
	v_rcp_iflag_f32_e32 v0, v0
	s_ashr_i32 s3, s3, 31
	s_mov_b32 s26, 0
	v_mul_f32_e32 v0, 0x4f7ffffe, v0
	v_cvt_u32_f32_e32 v0, v0
	v_readfirstlane_b32 s12, v0
	s_mul_i32 s11, s11, s12
	s_mul_hi_u32 s11, s12, s11
	s_add_i32 s12, s12, s11
	s_mul_hi_u32 s11, s7, s12
	s_mul_i32 s12, s11, s2
	s_sub_i32 s7, s7, s12
	s_add_i32 s12, s11, 1
	s_sub_i32 s13, s7, s2
	s_cmp_ge_u32 s7, s2
	s_cselect_b32 s11, s12, s11
	s_cselect_b32 s7, s13, s7
	s_add_i32 s12, s11, 1
	s_cmp_ge_u32 s7, s2
	s_cselect_b32 s2, s12, s11
	s_xor_b32 s2, s2, s3
	s_sub_i32 s12, s2, s3
	s_abs_i32 s11, s12
	v_cvt_f32_u32_e32 v0, s11
	s_load_dwordx2 s[2:3], s[4:5], 0x40
	s_sub_i32 s7, 0, s11
	s_abs_i32 s18, s6
	v_rcp_iflag_f32_e32 v0, v0
	v_mul_f32_e32 v0, 0x4f7ffffe, v0
	v_cvt_u32_f32_e32 v0, v0
	v_readfirstlane_b32 s13, v0
	s_mul_i32 s7, s7, s13
	s_mul_hi_u32 s7, s13, s7
	s_add_i32 s13, s13, s7
	s_waitcnt lgkmcnt(0)
	s_cmp_eq_u64 s[2:3], 0
	s_mul_hi_u32 s19, s18, s13
	s_cbranch_scc1 .LBB143_2
; %bb.1:
	s_ashr_i32 s7, s6, 31
	s_lshl_b64 s[14:15], s[6:7], 2
	s_add_u32 s2, s2, s14
	s_addc_u32 s3, s3, s15
	s_load_dword s26, s[2:3], 0x0
.LBB143_2:
	s_load_dword s33, s[0:1], 0x0
	s_ashr_i32 s3, s12, 31
	s_load_dwordx4 s[12:15], s[4:5], 0x48
	s_movk_i32 s0, 0x80
	s_ashr_i32 s2, s6, 31
	v_and_b32_e32 v1, 3, v11
	s_lshl_b32 s16, s6, 8
	v_cmp_gt_u32_e32 vcc, s0, v11
	v_lshlrev_b32_e32 v2, 2, v11
	s_and_saveexec_b64 s[0:1], vcc
	s_cbranch_execz .LBB143_4
; %bb.3:
	s_load_dwordx2 s[6:7], s[4:5], 0x8
	s_waitcnt lgkmcnt(0)
	s_mul_i32 s20, s12, s10
	s_ashr_i32 s21, s20, 31
	s_lshl_b64 s[20:21], s[20:21], 1
	v_and_b32_e32 v3, 0x3fc, v11
	s_add_u32 s12, s6, s20
	s_addc_u32 s15, s7, s21
	s_ashr_i32 s17, s16, 31
	s_lshl_b64 s[6:7], s[16:17], 1
	s_add_u32 s6, s12, s6
	s_addc_u32 s7, s15, s7
	global_load_dword v0, v2, s[6:7]
	v_lshl_add_u32 v3, v1, 7, v3
	s_waitcnt vmcnt(0)
	ds_write_b32 v3, v0
.LBB143_4:
	s_or_b64 exec, exec, s[0:1]
	s_waitcnt lgkmcnt(0)
	s_add_i32 s1, s33, 15
	s_ashr_i32 s6, s1, 31
	s_lshr_b32 s6, s6, 28
	s_add_i32 s1, s1, s6
	s_ashr_i32 s17, s1, 4
	s_xor_b32 s1, s2, s3
	s_mul_i32 s2, s19, s11
	s_sub_i32 s2, s18, s2
	s_add_i32 s3, s19, 1
	s_sub_i32 s6, s2, s11
	s_load_dwordx2 s[20:21], s[4:5], 0x28
	s_load_dword s0, s[4:5], 0x38
	s_cmp_ge_u32 s2, s11
	s_cselect_b32 s3, s3, s19
	s_cselect_b32 s2, s6, s2
	s_add_i32 s6, s3, 1
	s_cmp_ge_u32 s2, s11
	s_cselect_b32 s2, s6, s3
	v_lshrrev_b32_e32 v45, 6, v11
	s_xor_b32 s2, s2, s1
	s_waitcnt lgkmcnt(0)
	s_mul_i32 s22, s0, s10
	s_sub_i32 s12, s2, s1
	s_ashr_i32 s23, s22, 31
	v_cmp_gt_i32_e64 s[0:1], s17, v45
	v_cmp_le_i32_e32 vcc, s17, v45
	v_mbcnt_lo_u32_b32 v12, -1, 0
	s_barrier
                                        ; implicit-def: $vgpr14
                                        ; implicit-def: $vgpr8
                                        ; implicit-def: $vgpr15
	s_and_saveexec_b64 s[2:3], vcc
	s_xor_b64 s[2:3], exec, s[2:3]
; %bb.5:
	v_mbcnt_hi_u32_b32 v14, -1, v12
	v_and_b32_e32 v8, 64, v14
	v_add_u32_e32 v15, 64, v8
                                        ; implicit-def: $vgpr2
                                        ; implicit-def: $vgpr1
                                        ; implicit-def: $vgpr12
; %bb.6:
	s_or_saveexec_b64 s[6:7], s[2:3]
	s_load_dwordx2 s[18:19], s[4:5], 0x0
	s_load_dwordx2 s[24:25], s[4:5], 0x18
	s_load_dword s11, s[4:5], 0x88
	v_mov_b32_e32 v10, 0xff7fffff
	s_mul_i32 s14, s12, s14
	v_lshrrev_b32_e32 v13, 4, v11
	buffer_store_dword v11, off, s[36:39], 0 offset:184 ; 4-byte Folded Spill
	s_xor_b64 exec, exec, s[6:7]
	s_cbranch_execz .LBB143_12
; %bb.7:
	v_lshlrev_b32_e32 v0, 7, v1
	ds_read_b128 v[3:6], v0
	ds_read_b128 v[7:10], v0 offset:16
	s_load_dwordx2 s[2:3], s[4:5], 0x10
	s_ashr_i32 s15, s14, 31
	s_lshl_b64 s[4:5], s[14:15], 1
	s_waitcnt lgkmcnt(0)
	v_lshlrev_b32_e32 v14, 16, v3
	v_and_b32_e32 v3, 0xffff0000, v3
	buffer_store_dword v3, off, s[36:39], 0 offset:4 ; 4-byte Folded Spill
	v_lshlrev_b32_e32 v3, 16, v4
	buffer_store_dword v3, off, s[36:39], 0 offset:8 ; 4-byte Folded Spill
	v_and_b32_e32 v3, 0xffff0000, v4
	buffer_store_dword v3, off, s[36:39], 0 offset:12 ; 4-byte Folded Spill
	v_lshlrev_b32_e32 v3, 16, v5
	buffer_store_dword v3, off, s[36:39], 0 offset:16 ; 4-byte Folded Spill
	;; [unrolled: 4-line block ×6, first 2 shown]
	ds_read_b128 v[3:6], v0 offset:32
	v_and_b32_e32 v7, 0xffff0000, v9
	buffer_store_dword v7, off, s[36:39], 0 offset:52 ; 4-byte Folded Spill
	v_lshlrev_b32_e32 v7, 16, v10
	buffer_store_dword v7, off, s[36:39], 0 offset:56 ; 4-byte Folded Spill
	v_and_b32_e32 v7, 0xffff0000, v10
	buffer_store_dword v14, off, s[36:39], 0 ; 4-byte Folded Spill
	buffer_store_dword v7, off, s[36:39], 0 offset:60 ; 4-byte Folded Spill
	ds_read_b128 v[7:10], v0 offset:48
	s_waitcnt lgkmcnt(1)
	v_lshlrev_b32_e32 v14, 16, v3
	v_and_b32_e32 v3, 0xffff0000, v3
	buffer_store_dword v3, off, s[36:39], 0 offset:68 ; 4-byte Folded Spill
	v_lshlrev_b32_e32 v3, 16, v4
	buffer_store_dword v3, off, s[36:39], 0 offset:72 ; 4-byte Folded Spill
	v_and_b32_e32 v3, 0xffff0000, v4
	buffer_store_dword v3, off, s[36:39], 0 offset:76 ; 4-byte Folded Spill
	v_lshlrev_b32_e32 v3, 16, v5
	buffer_store_dword v3, off, s[36:39], 0 offset:80 ; 4-byte Folded Spill
	;; [unrolled: 4-line block ×3, first 2 shown]
	v_and_b32_e32 v3, 0xffff0000, v6
	buffer_store_dword v3, off, s[36:39], 0 offset:92 ; 4-byte Folded Spill
	s_waitcnt lgkmcnt(0)
	v_lshlrev_b32_e32 v3, 16, v7
	buffer_store_dword v3, off, s[36:39], 0 offset:96 ; 4-byte Folded Spill
	v_and_b32_e32 v3, 0xffff0000, v7
	buffer_store_dword v3, off, s[36:39], 0 offset:100 ; 4-byte Folded Spill
	v_lshlrev_b32_e32 v3, 16, v8
	buffer_store_dword v3, off, s[36:39], 0 offset:104 ; 4-byte Folded Spill
	v_and_b32_e32 v3, 0xffff0000, v8
	buffer_store_dword v3, off, s[36:39], 0 offset:108 ; 4-byte Folded Spill
	v_lshlrev_b32_e32 v3, 16, v9
	buffer_store_dword v3, off, s[36:39], 0 offset:112 ; 4-byte Folded Spill
	ds_read_b128 v[3:6], v0 offset:64
	v_and_b32_e32 v7, 0xffff0000, v9
	buffer_store_dword v7, off, s[36:39], 0 offset:116 ; 4-byte Folded Spill
	v_lshlrev_b32_e32 v7, 16, v10
	buffer_store_dword v7, off, s[36:39], 0 offset:120 ; 4-byte Folded Spill
	v_and_b32_e32 v7, 0xffff0000, v10
	buffer_store_dword v14, off, s[36:39], 0 offset:64 ; 4-byte Folded Spill
	buffer_store_dword v7, off, s[36:39], 0 offset:124 ; 4-byte Folded Spill
	ds_read_b128 v[7:10], v0 offset:80
	s_waitcnt lgkmcnt(1)
	v_lshlrev_b32_e32 v14, 16, v3
	v_and_b32_e32 v3, 0xffff0000, v3
	buffer_store_dword v3, off, s[36:39], 0 offset:132 ; 4-byte Folded Spill
	v_lshlrev_b32_e32 v3, 16, v4
	buffer_store_dword v3, off, s[36:39], 0 offset:136 ; 4-byte Folded Spill
	v_and_b32_e32 v3, 0xffff0000, v4
	buffer_store_dword v3, off, s[36:39], 0 offset:140 ; 4-byte Folded Spill
	v_lshlrev_b32_e32 v3, 16, v5
	buffer_store_dword v3, off, s[36:39], 0 offset:144 ; 4-byte Folded Spill
	;; [unrolled: 4-line block ×3, first 2 shown]
	v_and_b32_e32 v3, 0xffff0000, v6
	buffer_store_dword v3, off, s[36:39], 0 offset:156 ; 4-byte Folded Spill
	s_waitcnt lgkmcnt(0)
	v_lshlrev_b32_e32 v3, 16, v7
	buffer_store_dword v3, off, s[36:39], 0 offset:160 ; 4-byte Folded Spill
	v_and_b32_e32 v3, 0xffff0000, v7
	buffer_store_dword v3, off, s[36:39], 0 offset:164 ; 4-byte Folded Spill
	v_lshlrev_b32_e32 v3, 16, v8
	buffer_store_dword v3, off, s[36:39], 0 offset:168 ; 4-byte Folded Spill
	v_and_b32_e32 v3, 0xffff0000, v8
	buffer_store_dword v3, off, s[36:39], 0 offset:172 ; 4-byte Folded Spill
	;; [unrolled: 4-line block ×3, first 2 shown]
	buffer_store_dword v3, off, s[36:39], 0 offset:180 ; 4-byte Folded Spill
	v_lshlrev_b32_e32 v54, 16, v10
	v_and_b32_e32 v55, 0xffff0000, v10
	ds_read_b128 v[3:6], v0 offset:96
	ds_read_b128 v[7:10], v0 offset:112
	s_add_u32 s2, s2, s4
	s_addc_u32 s3, s3, s5
	v_and_b32_e32 v2, 12, v2
	s_waitcnt lgkmcnt(1)
	v_lshlrev_b32_e32 v56, 16, v3
	v_and_b32_e32 v57, 0xffff0000, v3
	v_lshlrev_b32_e32 v60, 16, v5
	v_and_b32_e32 v61, 0xffff0000, v5
	s_waitcnt lgkmcnt(0)
	v_lshlrev_b32_e32 v3, 16, v7
	v_and_b32_e32 v19, 0xffff0000, v7
	v_lshlrev_b32_e32 v5, 16, v8
	v_and_b32_e32 v0, 0xffff0000, v8
	;; [unrolled: 2-line block ×3, first 2 shown]
	v_bfe_u32 v10, v11, 2, 4
	v_lshlrev_b32_e32 v58, 16, v4
	v_and_b32_e32 v59, 0xffff0000, v4
	v_lshlrev_b32_e32 v62, 16, v6
	v_and_b32_e32 v63, 0xffff0000, v6
	v_lshlrev_b32_e32 v4, 16, v9
	v_and_b32_e32 v6, 0xffff0000, v9
	v_lshlrev_b32_e32 v9, 4, v10
	v_mov_b32_e32 v11, s3
	v_add_co_u32_e32 v9, vcc, s2, v9
	v_mbcnt_hi_u32_b32 v14, -1, v12
	v_addc_co_u32_e32 v11, vcc, 0, v11, vcc
	v_add_co_u32_e64 v9, s[2:3], v9, v2
	v_and_b32_e32 v12, 64, v14
	v_addc_co_u32_e64 v11, s[2:3], 0, v11, s[2:3]
	buffer_store_dword v12, off, s[36:39], 0 offset:196 ; 4-byte Folded Spill
	v_add_u32_e32 v15, 64, v12
	v_xor_b32_e32 v12, 2, v14
	v_cmp_eq_u32_e32 vcc, 0, v1
	s_sub_i32 s12, 1, s33
	s_lshl_b64 s[4:5], s[22:23], 2
	buffer_store_dword v13, off, s[36:39], 0 offset:188 ; 4-byte Folded Spill
	v_and_b32_e32 v1, 60, v13
	v_cmp_lt_i32_e64 s[2:3], v12, v15
	v_xor_b32_e32 v13, 1, v14
	s_add_u32 s4, s20, s4
	v_cndmask_b32_e64 v12, v14, v12, s[2:3]
	v_cmp_lt_i32_e64 s[2:3], v13, v15
	s_addc_u32 s5, s21, s5
	buffer_store_dword v14, off, s[36:39], 0 offset:192 ; 4-byte Folded Spill
	v_cndmask_b32_e64 v13, v14, v13, s[2:3]
	v_lshl_or_b32 v14, v45, 4, v10
	v_lshlrev_b32_e32 v10, 2, v10
	v_mov_b32_e32 v2, s5
	v_add_co_u32_e64 v1, s[4:5], s4, v1
	v_lshl_or_b32 v10, v45, 6, v10
	v_addc_co_u32_e64 v2, s[4:5], 0, v2, s[4:5]
	s_mov_b32 s15, s13
	v_lshlrev_b32_e32 v12, 2, v12
	v_lshlrev_b32_e32 v13, 2, v13
	v_cmp_neq_f32_e64 s[2:3], s26, 0
	v_add_u32_e32 v15, 0x210, v10
	s_mov_b64 s[28:29], 0
	s_movk_i32 s34, 0x1000
	v_mov_b32_e32 v10, 0xff7fffff
	v_mov_b32_e32 v43, v45
	s_branch .LBB143_9
.LBB143_8:                              ;   in Loop: Header=BB143_9 Depth=1
	s_or_b64 exec, exec, s[30:31]
	v_add_u32_e32 v43, 2, v43
	v_cmp_le_i32_e64 s[4:5], s17, v43
	s_or_b64 s[28:29], s[4:5], s[28:29]
	v_add_co_u32_e64 v1, s[4:5], 8, v1
	v_add_u32_e32 v14, 32, v14
	v_add_u32_e32 v15, 0x80, v15
	v_addc_co_u32_e64 v2, s[4:5], 0, v2, s[4:5]
	s_andn2_b64 exec, exec, s[28:29]
	s_cbranch_execz .LBB143_11
.LBB143_9:                              ; =>This Inner Loop Header: Depth=1
	global_load_dword v17, v[1:2], off
	s_waitcnt vmcnt(0) lgkmcnt(0)
	v_mad_i64_i32 v[17:18], s[4:5], v17, s15, 0
	v_lshlrev_b64 v[17:18], 1, v[17:18]
	v_add_co_u32_e64 v17, s[4:5], v9, v17
	v_addc_co_u32_e64 v18, s[4:5], v11, v18, s[4:5]
	v_add_co_u32_e64 v36, s[4:5], s34, v17
	v_addc_co_u32_e64 v37, s[4:5], 0, v18, s[4:5]
	global_load_dword v21, v[17:18], off offset:256
	global_load_dword v38, v[17:18], off offset:512
	;; [unrolled: 1-line block ×7, first 2 shown]
	global_load_dword v16, v[17:18], off
	global_load_dword v46, v[17:18], off offset:2048
	global_load_dword v47, v[17:18], off offset:2304
	;; [unrolled: 1-line block ×8, first 2 shown]
	global_load_dword v35, v[36:37], off
	global_load_dword v34, v[36:37], off offset:256
	global_load_dword v33, v[36:37], off offset:512
	;; [unrolled: 1-line block ×15, first 2 shown]
	s_waitcnt vmcnt(31)
	v_lshlrev_b32_e32 v18, 16, v21
	buffer_load_dword v36, off, s[36:39], 0 offset:8 ; 4-byte Folded Reload
	buffer_load_dword v37, off, s[36:39], 0 ; 4-byte Folded Reload
	v_and_b32_e32 v21, 0xffff0000, v21
	s_waitcnt vmcnt(1)
	v_mul_f32_e32 v18, v36, v18
	v_lshlrev_b32_e32 v36, 16, v16
	s_waitcnt vmcnt(0)
	v_fmac_f32_e32 v18, v37, v36
	buffer_load_dword v36, off, s[36:39], 0 offset:12 ; 4-byte Folded Reload
	v_and_b32_e32 v16, 0xffff0000, v16
	s_waitcnt vmcnt(0)
	v_mul_f32_e32 v21, v36, v21
	buffer_load_dword v36, off, s[36:39], 0 offset:4 ; 4-byte Folded Reload
	s_waitcnt vmcnt(0)
	v_fmac_f32_e32 v21, v36, v16
	buffer_load_dword v36, off, s[36:39], 0 offset:16 ; 4-byte Folded Reload
	v_lshlrev_b32_e32 v16, 16, v38
	s_waitcnt vmcnt(0)
	v_fmac_f32_e32 v18, v36, v16
	buffer_load_dword v36, off, s[36:39], 0 offset:20 ; 4-byte Folded Reload
	v_and_b32_e32 v16, 0xffff0000, v38
	s_waitcnt vmcnt(0)
	v_fmac_f32_e32 v21, v36, v16
	buffer_load_dword v36, off, s[36:39], 0 offset:24 ; 4-byte Folded Reload
	v_lshlrev_b32_e32 v16, 16, v39
	s_waitcnt vmcnt(0)
	v_fmac_f32_e32 v18, v36, v16
	buffer_load_dword v36, off, s[36:39], 0 offset:28 ; 4-byte Folded Reload
	v_and_b32_e32 v16, 0xffff0000, v39
	;; [unrolled: 8-line block ×14, first 2 shown]
	s_waitcnt vmcnt(0)
	v_fmac_f32_e32 v21, v36, v16
	buffer_load_dword v36, off, s[36:39], 0 offset:128 ; 4-byte Folded Reload
	v_lshlrev_b32_e32 v16, 16, v35
	s_waitcnt vmcnt(0)
	v_fmac_f32_e32 v18, v36, v16
	v_and_b32_e32 v16, 0xffff0000, v35
	buffer_load_dword v35, off, s[36:39], 0 offset:132 ; 4-byte Folded Reload
	s_waitcnt vmcnt(0)
	v_fmac_f32_e32 v21, v35, v16
	buffer_load_dword v35, off, s[36:39], 0 offset:136 ; 4-byte Folded Reload
	v_lshlrev_b32_e32 v16, 16, v34
	s_waitcnt vmcnt(0)
	v_fmac_f32_e32 v18, v35, v16
	v_and_b32_e32 v16, 0xffff0000, v34
	buffer_load_dword v34, off, s[36:39], 0 offset:140 ; 4-byte Folded Reload
	;; [unrolled: 8-line block ×7, first 2 shown]
	s_waitcnt vmcnt(0)
	v_fmac_f32_e32 v21, v29, v16
	v_lshlrev_b32_e32 v16, 16, v28
	v_fmac_f32_e32 v18, v54, v16
	v_and_b32_e32 v16, 0xffff0000, v28
	v_fmac_f32_e32 v21, v55, v16
	v_lshlrev_b32_e32 v16, 16, v27
	v_fmac_f32_e32 v18, v56, v16
	v_and_b32_e32 v16, 0xffff0000, v27
	;; [unrolled: 4-line block ×9, first 2 shown]
	v_fmac_f32_e32 v21, v8, v16
	v_add_f32_e32 v16, v18, v21
	ds_bpermute_b32 v17, v12, v16
	s_waitcnt lgkmcnt(0)
	v_add_f32_e32 v17, v16, v17
	ds_bpermute_b32 v18, v13, v17
	s_and_saveexec_b64 s[30:31], vcc
	s_cbranch_execz .LBB143_8
; %bb.10:                               ;   in Loop: Header=BB143_9 Depth=1
	v_add_u32_e32 v16, s12, v14
	v_cvt_f32_i32_e32 v16, v16
	s_waitcnt lgkmcnt(0)
	v_add_f32_e32 v17, v17, v18
	v_max_f32_e32 v18, v10, v10
	v_cmp_gt_i32_e64 s[4:5], s33, v14
	v_mul_f32_e32 v16, s26, v16
	v_cndmask_b32_e64 v16, 0, v16, s[2:3]
	v_fmac_f32_e32 v16, s27, v17
	v_cndmask_b32_e64 v17, 0, v16, s[4:5]
	v_max_f32_e32 v16, v18, v16
	v_cndmask_b32_e64 v10, v10, v16, s[4:5]
	ds_write_b32 v15, v17
	s_branch .LBB143_8
.LBB143_11:
	s_or_b64 exec, exec, s[28:29]
	buffer_load_dword v11, off, s[36:39], 0 offset:184 ; 4-byte Folded Reload
	buffer_load_dword v13, off, s[36:39], 0 offset:188 ; 4-byte Folded Reload
	;; [unrolled: 1-line block ×4, first 2 shown]
	s_waitcnt vmcnt(0)
	v_add_u32_e32 v15, 64, v8
.LBB143_12:
	s_or_b64 exec, exec, s[6:7]
	v_xor_b32_e32 v0, 32, v14
	v_cmp_lt_i32_e32 vcc, v0, v15
	v_cndmask_b32_e32 v0, v14, v0, vcc
	v_lshlrev_b32_e32 v0, 2, v0
	ds_bpermute_b32 v1, v0, v10
	v_xor_b32_e32 v3, 16, v14
	v_max_f32_e32 v2, v10, v10
	v_cmp_lt_i32_e32 vcc, v3, v15
	v_xor_b32_e32 v4, 8, v14
	s_waitcnt lgkmcnt(0)
	v_max_f32_e32 v1, v1, v1
	v_max_f32_e32 v2, v2, v1
	v_cndmask_b32_e32 v1, v14, v3, vcc
	v_lshlrev_b32_e32 v1, 2, v1
	ds_bpermute_b32 v3, v1, v2
	v_cmp_lt_i32_e32 vcc, v4, v15
	v_xor_b32_e32 v5, 4, v14
	v_and_b32_e32 v12, 63, v11
	s_waitcnt lgkmcnt(0)
	v_max_f32_e32 v3, v3, v3
	v_max_f32_e32 v2, v2, v3
	v_cndmask_b32_e32 v3, v14, v4, vcc
	v_lshlrev_b32_e32 v4, 2, v3
	ds_bpermute_b32 v3, v4, v2
	v_cmp_lt_i32_e32 vcc, v5, v15
	s_waitcnt lgkmcnt(0)
	v_max_f32_e32 v3, v3, v3
	v_max_f32_e32 v3, v2, v3
	v_cndmask_b32_e32 v2, v14, v5, vcc
	v_lshlrev_b32_e32 v5, 2, v2
	ds_bpermute_b32 v6, v5, v3
	v_cmp_eq_u32_e32 vcc, 0, v12
	v_lshlrev_b32_e32 v2, 2, v45
	s_and_saveexec_b64 s[2:3], vcc
	s_cbranch_execz .LBB143_14
; %bb.13:
	s_waitcnt lgkmcnt(0)
	v_max_f32_e32 v6, v6, v6
	v_max_f32_e32 v3, v3, v3
	;; [unrolled: 1-line block ×3, first 2 shown]
	ds_write_b32 v2, v3 offset:512
.LBB143_14:
	s_or_b64 exec, exec, s[2:3]
	v_cmp_gt_u32_e64 s[2:3], 2, v12
	s_waitcnt lgkmcnt(0)
	v_mov_b32_e32 v6, 0xff7fffff
	v_lshlrev_b32_e32 v3, 2, v12
	s_waitcnt vmcnt(0)
	s_barrier
	s_and_saveexec_b64 s[4:5], s[2:3]
; %bb.15:
	ds_read_b32 v6, v3 offset:512
; %bb.16:
	s_or_b64 exec, exec, s[4:5]
	v_xor_b32_e32 v7, 1, v14
	v_cmp_lt_i32_e64 s[4:5], v7, v15
	v_cndmask_b32_e64 v7, v14, v7, s[4:5]
	v_lshlrev_b32_e32 v43, 2, v7
	s_waitcnt lgkmcnt(0)
	ds_bpermute_b32 v7, v43, v6
	v_max_f32_e32 v6, v6, v6
	s_lshl_b32 s4, s17, 4
	s_min_i32 s12, s4, s33
	v_cmp_gt_i32_e64 s[4:5], s12, v11
	s_waitcnt lgkmcnt(0)
	v_max_f32_e32 v7, v7, v7
	v_max_f32_e32 v6, v6, v7
	v_lshlrev_b32_e32 v7, 2, v8
	ds_bpermute_b32 v7, v7, v6
	v_mov_b32_e32 v6, 0
	s_and_saveexec_b64 s[26:27], s[4:5]
	s_cbranch_execz .LBB143_20
; %bb.17:
	v_mov_b32_e32 v6, 0x210
	v_lshl_add_u32 v8, v11, 2, v6
	v_mov_b32_e32 v6, 0
	s_mov_b64 s[28:29], 0
	v_mov_b32_e32 v9, v11
.LBB143_18:                             ; =>This Inner Loop Header: Depth=1
	ds_read_b32 v10, v8
	v_add_u32_e32 v9, 0x80, v9
	v_cmp_le_i32_e64 s[6:7], s12, v9
	s_or_b64 s[28:29], s[6:7], s[28:29]
	s_waitcnt lgkmcnt(0)
	v_sub_f32_e32 v10, v10, v7
	v_mul_f32_e32 v10, 0x3fb8aa3b, v10
	v_exp_f32_e32 v10, v10
	ds_write_b32 v8, v10
	v_add_f32_e32 v6, v6, v10
	v_add_u32_e32 v8, 0x200, v8
	s_andn2_b64 exec, exec, s[28:29]
	s_cbranch_execnz .LBB143_18
; %bb.19:
	s_or_b64 exec, exec, s[28:29]
.LBB143_20:
	s_or_b64 exec, exec, s[26:27]
	ds_bpermute_b32 v0, v0, v6
	s_waitcnt lgkmcnt(0)
	v_add_f32_e32 v0, v6, v0
	ds_bpermute_b32 v1, v1, v0
	s_waitcnt lgkmcnt(0)
	v_add_f32_e32 v0, v0, v1
	ds_bpermute_b32 v1, v4, v0
	v_xor_b32_e32 v4, 2, v14
	v_cmp_lt_i32_e64 s[6:7], v4, v15
	v_cndmask_b32_e64 v4, v14, v4, s[6:7]
	s_waitcnt lgkmcnt(0)
	v_add_f32_e32 v0, v0, v1
	ds_bpermute_b32 v1, v5, v0
	s_waitcnt lgkmcnt(0)
	v_add_f32_e32 v0, v0, v1
	v_lshlrev_b32_e32 v1, 2, v4
	ds_bpermute_b32 v1, v1, v0
	s_waitcnt lgkmcnt(0)
	v_add_f32_e32 v0, v0, v1
	ds_bpermute_b32 v1, v43, v0
	s_waitcnt lgkmcnt(0)
	v_add_f32_e32 v0, v0, v1
	s_and_saveexec_b64 s[6:7], vcc
; %bb.21:
	ds_write_b32 v2, v0 offset:520
; %bb.22:
	s_or_b64 exec, exec, s[6:7]
	s_waitcnt lgkmcnt(0)
	s_barrier
	s_and_saveexec_b64 s[6:7], s[2:3]
; %bb.23:
	ds_read_b32 v0, v3 offset:520
; %bb.24:
	s_or_b64 exec, exec, s[6:7]
	s_waitcnt lgkmcnt(0)
	ds_bpermute_b32 v1, v43, v0
	v_lshlrev_b32_e32 v2, 2, v14
	s_waitcnt lgkmcnt(0)
	v_add_f32_e32 v0, v0, v1
	v_and_b32_e32 v1, 0xffffff00, v2
	ds_bpermute_b32 v0, v1, v0
	s_and_saveexec_b64 s[2:3], s[4:5]
	s_cbranch_execz .LBB143_27
; %bb.25:
	s_waitcnt lgkmcnt(0)
	v_add_f32_e32 v1, 0x358637bd, v0
	v_div_scale_f32 v0, s[4:5], v1, v1, 1.0
	v_div_scale_f32 v2, vcc, 1.0, v1, 1.0
	s_mov_b64 s[4:5], 0
	v_rcp_f32_e32 v3, v0
	v_fma_f32 v4, -v0, v3, 1.0
	v_fmac_f32_e32 v3, v4, v3
	v_mul_f32_e32 v4, v2, v3
	v_fma_f32 v5, -v0, v4, v2
	v_fmac_f32_e32 v4, v5, v3
	v_fma_f32 v0, -v0, v4, v2
	v_div_fmas_f32 v2, v0, v3, v4
	v_mov_b32_e32 v0, 0x210
	v_lshl_add_u32 v0, v11, 2, v0
	v_div_fixup_f32 v1, v2, v1, 1.0
	v_mov_b32_e32 v2, v11
.LBB143_26:                             ; =>This Inner Loop Header: Depth=1
	ds_read_b32 v3, v0
	v_add_u32_e32 v2, 0x80, v2
	v_cmp_le_i32_e32 vcc, s12, v2
	s_or_b64 s[4:5], vcc, s[4:5]
	s_waitcnt lgkmcnt(0)
	v_mul_f32_e32 v3, v1, v3
	ds_write_b32 v0, v3
	v_add_u32_e32 v0, 0x200, v0
	s_andn2_b64 exec, exec, s[4:5]
	s_cbranch_execnz .LBB143_26
.LBB143_27:
	s_or_b64 exec, exec, s[2:3]
	v_mov_b32_e32 v52, 0
	v_and_b32_e32 v10, 1, v11
	v_mov_b32_e32 v54, 0
	v_mov_b32_e32 v53, 0
	;; [unrolled: 1-line block ×7, first 2 shown]
	s_waitcnt lgkmcnt(0)
	s_barrier
	s_and_saveexec_b64 s[4:5], s[0:1]
	s_cbranch_execz .LBB143_47
; %bb.28:
	s_ashr_i32 s15, s14, 31
	s_lshl_b64 s[0:1], s[14:15], 1
	v_lshlrev_b32_e32 v0, 3, v11
	s_add_u32 s0, s24, s0
	v_lshlrev_b32_e32 v1, 4, v11
	v_and_b32_e32 v0, 8, v0
	s_addc_u32 s1, s25, s1
	v_and_b32_e32 v1, 0x3f0, v1
	s_add_i32 s14, s17, -1
	v_mov_b32_e32 v2, s1
	v_add_co_u32_e32 v56, vcc, s0, v1
	v_lshl_or_b32 v58, v45, 4, v0
	v_lshlrev_b32_e32 v0, 5, v10
	s_lshl_b64 s[0:1], s[22:23], 2
	v_lshl_or_b32 v0, v45, 6, v0
	s_add_u32 s0, s20, s0
	v_addc_co_u32_e32 v57, vcc, 0, v2, vcc
	v_add_u32_e32 v59, 0x210, v0
	v_and_b32_e32 v0, 60, v13
	s_addc_u32 s1, s21, s1
	v_mov_b32_e32 v1, s1
	v_add_co_u32_e32 v41, vcc, s0, v0
	s_mov_b32 s26, s13
	v_mov_b32_e32 v55, 0
	s_mov_b32 s15, s33
	v_addc_co_u32_e32 v42, vcc, 0, v1, vcc
	s_mov_b64 s[6:7], 0
	s_mov_b32 s20, 0x5040100
	s_movk_i32 s21, 0x7fff
	v_mov_b32_e32 v47, 0
	v_mov_b32_e32 v48, 0
	v_mov_b32_e32 v49, 0
	v_mov_b32_e32 v50, 0
	v_mov_b32_e32 v51, 0
	v_mov_b32_e32 v53, 0
	v_mov_b32_e32 v54, 0
	v_mov_b32_e32 v52, 0
	buffer_store_dword v12, off, s[36:39], 0 ; 4-byte Folded Spill
	buffer_store_dword v10, off, s[36:39], 0 offset:4 ; 4-byte Folded Spill
	s_branch .LBB143_30
.LBB143_29:                             ;   in Loop: Header=BB143_30 Depth=1
	s_or_b64 exec, exec, s[2:3]
	s_waitcnt lgkmcnt(1)
	v_bfe_u32 v0, v33, 16, 1
	v_add3_u32 v0, v0, v33, s21
	v_or_b32_e32 v44, 0x400000, v33
	v_cmp_u_f32_e32 vcc, v33, v33
	v_bfe_u32 v33, v34, 16, 1
	v_cndmask_b32_e32 v0, v0, v44, vcc
	v_add3_u32 v33, v33, v34, s21
	v_or_b32_e32 v44, 0x400000, v34
	v_cmp_u_f32_e32 vcc, v34, v34
	v_bfe_u32 v34, v35, 16, 1
	v_cndmask_b32_e32 v33, v33, v44, vcc
	;; [unrolled: 5-line block ×3, first 2 shown]
	v_add3_u32 v35, v35, v36, s21
	v_or_b32_e32 v44, 0x400000, v36
	v_cmp_u_f32_e32 vcc, v36, v36
	s_waitcnt lgkmcnt(0)
	v_bfe_u32 v36, v25, 16, 1
	v_cndmask_b32_e32 v35, v35, v44, vcc
	v_add3_u32 v36, v36, v25, s21
	v_or_b32_e32 v44, 0x400000, v25
	v_cmp_u_f32_e32 vcc, v25, v25
	v_bfe_u32 v25, v26, 16, 1
	v_cndmask_b32_e32 v36, v36, v44, vcc
	v_add3_u32 v25, v25, v26, s21
	v_or_b32_e32 v44, 0x400000, v26
	v_cmp_u_f32_e32 vcc, v26, v26
	v_cndmask_b32_e32 v44, v25, v44, vcc
	v_bfe_u32 v25, v27, 16, 1
	v_add3_u32 v25, v25, v27, s21
	v_or_b32_e32 v26, 0x400000, v27
	v_cmp_u_f32_e32 vcc, v27, v27
	v_cndmask_b32_e32 v46, v25, v26, vcc
	v_bfe_u32 v25, v28, 16, 1
	v_add3_u32 v25, v25, v28, s21
	v_or_b32_e32 v26, 0x400000, v28
	v_cmp_u_f32_e32 vcc, v28, v28
	v_cndmask_b32_e32 v60, v25, v26, vcc
	v_and_b32_e32 v25, 0xffff0000, v33
	s_waitcnt vmcnt(1)
	v_and_b32_e32 v26, 0xffff0000, v37
	v_mul_f32_e32 v26, v25, v26
	v_bfe_u32 v27, v26, 16, 1
	v_add3_u32 v27, v27, v26, s21
	v_or_b32_e32 v28, 0x400000, v26
	v_cmp_u_f32_e32 vcc, v26, v26
	v_cndmask_b32_e32 v61, v27, v28, vcc
	v_and_b32_e32 v27, 0xffff0000, v0
	v_lshlrev_b32_e32 v0, 16, v37
	v_mul_f32_e32 v0, v27, v0
	v_bfe_u32 v26, v0, 16, 1
	v_add3_u32 v26, v26, v0, s21
	v_or_b32_e32 v28, 0x400000, v0
	v_cmp_u_f32_e32 vcc, v0, v0
	v_cndmask_b32_e32 v0, v26, v28, vcc
	v_and_b32_e32 v26, 0xffff0000, v35
	v_and_b32_e32 v28, 0xffff0000, v38
	v_mul_f32_e32 v28, v26, v28
	v_bfe_u32 v33, v28, 16, 1
	v_add3_u32 v33, v33, v28, s21
	v_or_b32_e32 v35, 0x400000, v28
	v_cmp_u_f32_e32 vcc, v28, v28
	v_cndmask_b32_e32 v37, v33, v35, vcc
	v_and_b32_e32 v33, 0xffff0000, v34
	v_lshlrev_b32_e32 v28, 16, v38
	v_mul_f32_e32 v28, v33, v28
	v_bfe_u32 v34, v28, 16, 1
	v_add3_u32 v34, v34, v28, s21
	v_or_b32_e32 v35, 0x400000, v28
	v_cmp_u_f32_e32 vcc, v28, v28
	v_cndmask_b32_e32 v38, v34, v35, vcc
	v_and_b32_e32 v28, 0xffff0000, v44
	;; [unrolled: 16-line block ×3, first 2 shown]
	v_and_b32_e32 v36, 0xffff0000, v40
	v_mul_f32_e32 v36, v34, v36
	v_bfe_u32 v60, v36, 16, 1
	v_add3_u32 v60, v60, v36, s21
	v_or_b32_e32 v62, 0x400000, v36
	v_cmp_u_f32_e32 vcc, v36, v36
	v_and_b32_e32 v36, 0xffff0000, v46
	v_lshlrev_b32_e32 v40, 16, v40
	v_mul_f32_e32 v40, v36, v40
	v_bfe_u32 v46, v40, 16, 1
	v_cndmask_b32_e32 v60, v60, v62, vcc
	v_add3_u32 v46, v46, v40, s21
	v_or_b32_e32 v62, 0x400000, v40
	v_cmp_u_f32_e32 vcc, v40, v40
	v_cndmask_b32_e32 v40, v46, v62, vcc
	v_and_b32_e32 v0, 0xffff0000, v0
	v_and_b32_e32 v46, 0xffff0000, v61
	;; [unrolled: 1-line block ×4, first 2 shown]
	v_add_f32_e32 v0, v0, v46
	v_add_f32_e32 v37, v38, v37
	;; [unrolled: 1-line block ×3, first 2 shown]
	v_and_b32_e32 v37, 0xffff0000, v39
	v_and_b32_e32 v38, 0xffff0000, v44
	v_add_f32_e32 v37, v37, v38
	v_add_f32_e32 v0, v37, v0
	v_and_b32_e32 v37, 0xffff0000, v40
	v_and_b32_e32 v38, 0xffff0000, v60
	v_add_f32_e32 v37, v37, v38
	v_add_f32_e32 v0, v37, v0
	v_add_f32_e32 v48, v48, v0
	v_and_b32_e32 v0, 0xffff0000, v29
	v_mul_f32_e32 v0, v25, v0
	v_bfe_u32 v37, v0, 16, 1
	v_lshlrev_b32_e32 v29, 16, v29
	v_add3_u32 v37, v37, v0, s21
	v_or_b32_e32 v38, 0x400000, v0
	v_cmp_u_f32_e32 vcc, v0, v0
	v_mul_f32_e32 v29, v27, v29
	v_cndmask_b32_e32 v0, v37, v38, vcc
	v_bfe_u32 v37, v29, 16, 1
	v_add3_u32 v37, v37, v29, s21
	v_or_b32_e32 v38, 0x400000, v29
	v_cmp_u_f32_e32 vcc, v29, v29
	v_cndmask_b32_e32 v29, v37, v38, vcc
	v_and_b32_e32 v37, 0xffff0000, v30
	v_mul_f32_e32 v37, v26, v37
	v_bfe_u32 v38, v37, 16, 1
	v_lshlrev_b32_e32 v30, 16, v30
	v_add3_u32 v38, v38, v37, s21
	v_or_b32_e32 v39, 0x400000, v37
	v_cmp_u_f32_e32 vcc, v37, v37
	v_mul_f32_e32 v30, v33, v30
	v_cndmask_b32_e32 v37, v38, v39, vcc
	v_bfe_u32 v38, v30, 16, 1
	v_add3_u32 v38, v38, v30, s21
	v_or_b32_e32 v39, 0x400000, v30
	v_cmp_u_f32_e32 vcc, v30, v30
	v_cndmask_b32_e32 v30, v38, v39, vcc
	;; [unrolled: 14-line block ×3, first 2 shown]
	v_and_b32_e32 v39, 0xffff0000, v32
	v_mul_f32_e32 v39, v34, v39
	v_bfe_u32 v40, v39, 16, 1
	v_lshlrev_b32_e32 v32, 16, v32
	v_and_b32_e32 v29, 0xffff0000, v29
	v_and_b32_e32 v0, 0xffff0000, v0
	v_add3_u32 v40, v40, v39, s21
	v_or_b32_e32 v44, 0x400000, v39
	v_cmp_u_f32_e32 vcc, v39, v39
	v_mul_f32_e32 v32, v36, v32
	v_add_f32_e32 v0, v29, v0
	v_and_b32_e32 v29, 0xffff0000, v30
	v_and_b32_e32 v30, 0xffff0000, v37
	v_cndmask_b32_e32 v39, v40, v44, vcc
	v_bfe_u32 v40, v32, 16, 1
	v_add_f32_e32 v29, v29, v30
	v_add3_u32 v40, v40, v32, s21
	v_or_b32_e32 v44, 0x400000, v32
	v_cmp_u_f32_e32 vcc, v32, v32
	v_add_f32_e32 v0, v29, v0
	v_and_b32_e32 v29, 0xffff0000, v31
	v_and_b32_e32 v30, 0xffff0000, v38
	v_cndmask_b32_e32 v32, v40, v44, vcc
	v_add_f32_e32 v29, v29, v30
	v_add_f32_e32 v0, v29, v0
	v_and_b32_e32 v29, 0xffff0000, v32
	v_and_b32_e32 v30, 0xffff0000, v39
	v_add_f32_e32 v29, v29, v30
	v_add_f32_e32 v0, v29, v0
	;; [unrolled: 1-line block ×3, first 2 shown]
	v_and_b32_e32 v0, 0xffff0000, v21
	v_mul_f32_e32 v0, v25, v0
	v_bfe_u32 v29, v0, 16, 1
	v_lshlrev_b32_e32 v21, 16, v21
	v_add3_u32 v29, v29, v0, s21
	v_or_b32_e32 v30, 0x400000, v0
	v_cmp_u_f32_e32 vcc, v0, v0
	v_mul_f32_e32 v21, v27, v21
	v_cndmask_b32_e32 v0, v29, v30, vcc
	v_bfe_u32 v29, v21, 16, 1
	v_add3_u32 v29, v29, v21, s21
	v_or_b32_e32 v30, 0x400000, v21
	v_cmp_u_f32_e32 vcc, v21, v21
	v_cndmask_b32_e32 v21, v29, v30, vcc
	v_and_b32_e32 v29, 0xffff0000, v22
	v_mul_f32_e32 v29, v26, v29
	v_bfe_u32 v30, v29, 16, 1
	v_lshlrev_b32_e32 v22, 16, v22
	v_add3_u32 v30, v30, v29, s21
	v_or_b32_e32 v31, 0x400000, v29
	v_cmp_u_f32_e32 vcc, v29, v29
	v_mul_f32_e32 v22, v33, v22
	v_cndmask_b32_e32 v29, v30, v31, vcc
	v_bfe_u32 v30, v22, 16, 1
	v_add3_u32 v30, v30, v22, s21
	v_or_b32_e32 v31, 0x400000, v22
	v_cmp_u_f32_e32 vcc, v22, v22
	v_cndmask_b32_e32 v22, v30, v31, vcc
	;; [unrolled: 14-line block ×3, first 2 shown]
	v_and_b32_e32 v31, 0xffff0000, v24
	v_mul_f32_e32 v31, v34, v31
	v_bfe_u32 v32, v31, 16, 1
	v_lshlrev_b32_e32 v24, 16, v24
	v_and_b32_e32 v21, 0xffff0000, v21
	v_and_b32_e32 v0, 0xffff0000, v0
	v_add3_u32 v32, v32, v31, s21
	v_or_b32_e32 v37, 0x400000, v31
	v_cmp_u_f32_e32 vcc, v31, v31
	v_mul_f32_e32 v24, v36, v24
	v_add_f32_e32 v0, v21, v0
	v_and_b32_e32 v21, 0xffff0000, v22
	v_and_b32_e32 v22, 0xffff0000, v29
	v_cndmask_b32_e32 v31, v32, v37, vcc
	v_bfe_u32 v32, v24, 16, 1
	v_add_f32_e32 v21, v21, v22
	v_add3_u32 v32, v32, v24, s21
	v_or_b32_e32 v37, 0x400000, v24
	v_cmp_u_f32_e32 vcc, v24, v24
	v_add_f32_e32 v0, v21, v0
	v_and_b32_e32 v21, 0xffff0000, v23
	v_and_b32_e32 v22, 0xffff0000, v30
	v_cndmask_b32_e32 v24, v32, v37, vcc
	v_add_f32_e32 v21, v21, v22
	v_add_f32_e32 v0, v21, v0
	v_and_b32_e32 v21, 0xffff0000, v24
	v_and_b32_e32 v22, 0xffff0000, v31
	v_add_f32_e32 v21, v21, v22
	v_add_f32_e32 v0, v21, v0
	;; [unrolled: 1-line block ×3, first 2 shown]
	v_and_b32_e32 v0, 0xffff0000, v17
	v_mul_f32_e32 v0, v25, v0
	v_bfe_u32 v21, v0, 16, 1
	v_lshlrev_b32_e32 v17, 16, v17
	v_add3_u32 v21, v21, v0, s21
	v_or_b32_e32 v22, 0x400000, v0
	v_cmp_u_f32_e32 vcc, v0, v0
	v_mul_f32_e32 v17, v27, v17
	v_cndmask_b32_e32 v0, v21, v22, vcc
	v_bfe_u32 v21, v17, 16, 1
	v_add3_u32 v21, v21, v17, s21
	v_or_b32_e32 v22, 0x400000, v17
	v_cmp_u_f32_e32 vcc, v17, v17
	v_cndmask_b32_e32 v17, v21, v22, vcc
	v_and_b32_e32 v21, 0xffff0000, v18
	v_mul_f32_e32 v21, v26, v21
	v_bfe_u32 v22, v21, 16, 1
	v_lshlrev_b32_e32 v18, 16, v18
	v_add3_u32 v22, v22, v21, s21
	v_or_b32_e32 v23, 0x400000, v21
	v_cmp_u_f32_e32 vcc, v21, v21
	v_mul_f32_e32 v18, v33, v18
	v_cndmask_b32_e32 v21, v22, v23, vcc
	v_bfe_u32 v22, v18, 16, 1
	v_add3_u32 v22, v22, v18, s21
	v_or_b32_e32 v23, 0x400000, v18
	v_cmp_u_f32_e32 vcc, v18, v18
	v_cndmask_b32_e32 v18, v22, v23, vcc
	;; [unrolled: 14-line block ×3, first 2 shown]
	v_and_b32_e32 v23, 0xffff0000, v20
	v_mul_f32_e32 v23, v34, v23
	v_bfe_u32 v24, v23, 16, 1
	v_lshlrev_b32_e32 v20, 16, v20
	v_and_b32_e32 v17, 0xffff0000, v17
	v_and_b32_e32 v0, 0xffff0000, v0
	v_add3_u32 v24, v24, v23, s21
	v_or_b32_e32 v29, 0x400000, v23
	v_cmp_u_f32_e32 vcc, v23, v23
	v_mul_f32_e32 v20, v36, v20
	v_add_f32_e32 v0, v17, v0
	v_and_b32_e32 v17, 0xffff0000, v18
	v_and_b32_e32 v18, 0xffff0000, v21
	v_cndmask_b32_e32 v23, v24, v29, vcc
	v_bfe_u32 v24, v20, 16, 1
	v_add_f32_e32 v17, v17, v18
	v_add3_u32 v24, v24, v20, s21
	v_or_b32_e32 v29, 0x400000, v20
	v_cmp_u_f32_e32 vcc, v20, v20
	v_add_f32_e32 v0, v17, v0
	v_and_b32_e32 v17, 0xffff0000, v19
	v_and_b32_e32 v18, 0xffff0000, v22
	v_cndmask_b32_e32 v20, v24, v29, vcc
	v_add_f32_e32 v17, v17, v18
	v_add_f32_e32 v0, v17, v0
	v_and_b32_e32 v17, 0xffff0000, v20
	v_and_b32_e32 v18, 0xffff0000, v23
	v_add_f32_e32 v17, v17, v18
	v_add_f32_e32 v0, v17, v0
	;; [unrolled: 1-line block ×3, first 2 shown]
	v_and_b32_e32 v0, 0xffff0000, v9
	v_mul_f32_e32 v0, v25, v0
	v_bfe_u32 v17, v0, 16, 1
	v_lshlrev_b32_e32 v9, 16, v9
	v_add3_u32 v17, v17, v0, s21
	v_or_b32_e32 v18, 0x400000, v0
	v_cmp_u_f32_e32 vcc, v0, v0
	v_mul_f32_e32 v9, v27, v9
	v_cndmask_b32_e32 v0, v17, v18, vcc
	v_bfe_u32 v17, v9, 16, 1
	v_add3_u32 v17, v17, v9, s21
	v_or_b32_e32 v18, 0x400000, v9
	v_cmp_u_f32_e32 vcc, v9, v9
	v_cndmask_b32_e32 v9, v17, v18, vcc
	v_and_b32_e32 v17, 0xffff0000, v10
	v_mul_f32_e32 v17, v26, v17
	v_bfe_u32 v18, v17, 16, 1
	v_lshlrev_b32_e32 v10, 16, v10
	v_add3_u32 v18, v18, v17, s21
	v_or_b32_e32 v19, 0x400000, v17
	v_cmp_u_f32_e32 vcc, v17, v17
	v_mul_f32_e32 v10, v33, v10
	v_cndmask_b32_e32 v17, v18, v19, vcc
	v_bfe_u32 v18, v10, 16, 1
	v_add3_u32 v18, v18, v10, s21
	v_or_b32_e32 v19, 0x400000, v10
	v_cmp_u_f32_e32 vcc, v10, v10
	v_cndmask_b32_e32 v10, v18, v19, vcc
	;; [unrolled: 14-line block ×3, first 2 shown]
	v_and_b32_e32 v19, 0xffff0000, v12
	v_mul_f32_e32 v19, v34, v19
	v_bfe_u32 v20, v19, 16, 1
	v_lshlrev_b32_e32 v12, 16, v12
	v_and_b32_e32 v9, 0xffff0000, v9
	v_and_b32_e32 v0, 0xffff0000, v0
	v_add3_u32 v20, v20, v19, s21
	v_or_b32_e32 v21, 0x400000, v19
	v_cmp_u_f32_e32 vcc, v19, v19
	v_mul_f32_e32 v12, v36, v12
	v_add_f32_e32 v0, v9, v0
	v_and_b32_e32 v9, 0xffff0000, v10
	v_and_b32_e32 v10, 0xffff0000, v17
	v_cndmask_b32_e32 v19, v20, v21, vcc
	v_bfe_u32 v20, v12, 16, 1
	v_add_f32_e32 v9, v9, v10
	v_add3_u32 v20, v20, v12, s21
	v_or_b32_e32 v21, 0x400000, v12
	v_cmp_u_f32_e32 vcc, v12, v12
	v_add_f32_e32 v0, v9, v0
	v_and_b32_e32 v9, 0xffff0000, v11
	v_and_b32_e32 v10, 0xffff0000, v18
	v_cndmask_b32_e32 v12, v20, v21, vcc
	v_add_f32_e32 v9, v9, v10
	v_add_f32_e32 v0, v9, v0
	v_and_b32_e32 v9, 0xffff0000, v12
	v_and_b32_e32 v10, 0xffff0000, v19
	v_add_f32_e32 v9, v9, v10
	v_add_f32_e32 v0, v9, v0
	;; [unrolled: 1-line block ×3, first 2 shown]
	v_and_b32_e32 v0, 0xffff0000, v5
	v_mul_f32_e32 v0, v25, v0
	v_bfe_u32 v9, v0, 16, 1
	v_lshlrev_b32_e32 v5, 16, v5
	v_add3_u32 v9, v9, v0, s21
	v_or_b32_e32 v10, 0x400000, v0
	v_cmp_u_f32_e32 vcc, v0, v0
	v_mul_f32_e32 v5, v27, v5
	v_cndmask_b32_e32 v0, v9, v10, vcc
	v_bfe_u32 v9, v5, 16, 1
	v_add3_u32 v9, v9, v5, s21
	v_or_b32_e32 v10, 0x400000, v5
	v_cmp_u_f32_e32 vcc, v5, v5
	v_cndmask_b32_e32 v5, v9, v10, vcc
	v_and_b32_e32 v9, 0xffff0000, v6
	v_mul_f32_e32 v9, v26, v9
	v_bfe_u32 v10, v9, 16, 1
	v_lshlrev_b32_e32 v6, 16, v6
	v_add3_u32 v10, v10, v9, s21
	v_or_b32_e32 v11, 0x400000, v9
	v_cmp_u_f32_e32 vcc, v9, v9
	v_mul_f32_e32 v6, v33, v6
	v_cndmask_b32_e32 v9, v10, v11, vcc
	v_bfe_u32 v10, v6, 16, 1
	v_add3_u32 v10, v10, v6, s21
	v_or_b32_e32 v11, 0x400000, v6
	v_cmp_u_f32_e32 vcc, v6, v6
	v_cndmask_b32_e32 v6, v10, v11, vcc
	;; [unrolled: 14-line block ×3, first 2 shown]
	v_and_b32_e32 v11, 0xffff0000, v8
	v_mul_f32_e32 v11, v34, v11
	v_bfe_u32 v12, v11, 16, 1
	v_lshlrev_b32_e32 v8, 16, v8
	v_and_b32_e32 v5, 0xffff0000, v5
	v_and_b32_e32 v0, 0xffff0000, v0
	v_add3_u32 v12, v12, v11, s21
	v_or_b32_e32 v17, 0x400000, v11
	v_cmp_u_f32_e32 vcc, v11, v11
	v_mul_f32_e32 v8, v36, v8
	v_add_f32_e32 v0, v5, v0
	v_and_b32_e32 v5, 0xffff0000, v6
	v_and_b32_e32 v6, 0xffff0000, v9
	v_cndmask_b32_e32 v11, v12, v17, vcc
	v_bfe_u32 v12, v8, 16, 1
	v_add_f32_e32 v5, v5, v6
	v_add3_u32 v12, v12, v8, s21
	v_or_b32_e32 v17, 0x400000, v8
	v_cmp_u_f32_e32 vcc, v8, v8
	v_add_f32_e32 v0, v5, v0
	v_and_b32_e32 v5, 0xffff0000, v7
	v_and_b32_e32 v6, 0xffff0000, v10
	v_cndmask_b32_e32 v8, v12, v17, vcc
	v_add_f32_e32 v5, v5, v6
	v_add_f32_e32 v0, v5, v0
	v_and_b32_e32 v5, 0xffff0000, v8
	v_and_b32_e32 v6, 0xffff0000, v11
	v_add_f32_e32 v5, v5, v6
	v_add_f32_e32 v0, v5, v0
	;; [unrolled: 1-line block ×3, first 2 shown]
	v_and_b32_e32 v0, 0xffff0000, v1
	v_mul_f32_e32 v0, v25, v0
	v_bfe_u32 v5, v0, 16, 1
	v_lshlrev_b32_e32 v1, 16, v1
	v_add3_u32 v5, v5, v0, s21
	v_or_b32_e32 v6, 0x400000, v0
	v_cmp_u_f32_e32 vcc, v0, v0
	v_mul_f32_e32 v1, v27, v1
	v_cndmask_b32_e32 v0, v5, v6, vcc
	v_bfe_u32 v5, v1, 16, 1
	v_add3_u32 v5, v5, v1, s21
	v_or_b32_e32 v6, 0x400000, v1
	v_cmp_u_f32_e32 vcc, v1, v1
	v_cndmask_b32_e32 v1, v5, v6, vcc
	v_and_b32_e32 v5, 0xffff0000, v2
	v_mul_f32_e32 v5, v26, v5
	v_bfe_u32 v6, v5, 16, 1
	v_lshlrev_b32_e32 v2, 16, v2
	v_add3_u32 v6, v6, v5, s21
	v_or_b32_e32 v7, 0x400000, v5
	v_cmp_u_f32_e32 vcc, v5, v5
	v_mul_f32_e32 v2, v33, v2
	v_cndmask_b32_e32 v5, v6, v7, vcc
	v_bfe_u32 v6, v2, 16, 1
	v_add3_u32 v6, v6, v2, s21
	v_or_b32_e32 v7, 0x400000, v2
	v_cmp_u_f32_e32 vcc, v2, v2
	v_cndmask_b32_e32 v2, v6, v7, vcc
	;; [unrolled: 14-line block ×3, first 2 shown]
	v_and_b32_e32 v7, 0xffff0000, v4
	v_mul_f32_e32 v7, v34, v7
	v_bfe_u32 v8, v7, 16, 1
	v_lshlrev_b32_e32 v4, 16, v4
	v_and_b32_e32 v1, 0xffff0000, v1
	v_and_b32_e32 v0, 0xffff0000, v0
	v_add3_u32 v8, v8, v7, s21
	v_or_b32_e32 v9, 0x400000, v7
	v_cmp_u_f32_e32 vcc, v7, v7
	v_mul_f32_e32 v4, v36, v4
	v_add_f32_e32 v0, v1, v0
	v_and_b32_e32 v1, 0xffff0000, v2
	v_and_b32_e32 v2, 0xffff0000, v5
	v_cndmask_b32_e32 v7, v8, v9, vcc
	v_bfe_u32 v8, v4, 16, 1
	v_add_f32_e32 v1, v1, v2
	v_add3_u32 v8, v8, v4, s21
	v_or_b32_e32 v9, 0x400000, v4
	v_cmp_u_f32_e32 vcc, v4, v4
	v_add_f32_e32 v0, v1, v0
	v_and_b32_e32 v1, 0xffff0000, v3
	v_and_b32_e32 v2, 0xffff0000, v6
	v_cndmask_b32_e32 v4, v8, v9, vcc
	v_add_f32_e32 v1, v1, v2
	v_add_f32_e32 v0, v1, v0
	v_and_b32_e32 v1, 0xffff0000, v4
	v_and_b32_e32 v2, 0xffff0000, v7
	v_add_f32_e32 v1, v1, v2
	v_add_f32_e32 v0, v1, v0
	;; [unrolled: 1-line block ×3, first 2 shown]
	s_waitcnt vmcnt(0)
	v_lshlrev_b32_e32 v0, 16, v13
	v_mul_f32_e32 v0, v27, v0
	v_bfe_u32 v1, v0, 16, 1
	v_add3_u32 v1, v1, v0, s21
	v_or_b32_e32 v2, 0x400000, v0
	v_cmp_u_f32_e32 vcc, v0, v0
	v_cndmask_b32_e32 v0, v1, v2, vcc
	v_and_b32_e32 v1, 0xffff0000, v13
	v_mul_f32_e32 v1, v25, v1
	v_bfe_u32 v2, v1, 16, 1
	v_add3_u32 v2, v2, v1, s21
	v_or_b32_e32 v3, 0x400000, v1
	v_cmp_u_f32_e32 vcc, v1, v1
	v_cndmask_b32_e32 v1, v2, v3, vcc
	v_lshlrev_b32_e32 v2, 16, v14
	v_mul_f32_e32 v2, v33, v2
	v_bfe_u32 v3, v2, 16, 1
	v_add3_u32 v3, v3, v2, s21
	v_or_b32_e32 v4, 0x400000, v2
	v_cmp_u_f32_e32 vcc, v2, v2
	v_cndmask_b32_e32 v2, v3, v4, vcc
	v_and_b32_e32 v3, 0xffff0000, v14
	v_mul_f32_e32 v3, v26, v3
	v_bfe_u32 v4, v3, 16, 1
	v_add3_u32 v4, v4, v3, s21
	v_or_b32_e32 v5, 0x400000, v3
	v_cmp_u_f32_e32 vcc, v3, v3
	v_cndmask_b32_e32 v3, v4, v5, vcc
	;; [unrolled: 14-line block ×3, first 2 shown]
	v_lshlrev_b32_e32 v6, 16, v16
	v_mul_f32_e32 v6, v36, v6
	v_bfe_u32 v7, v6, 16, 1
	v_add3_u32 v7, v7, v6, s21
	v_or_b32_e32 v8, 0x400000, v6
	v_cmp_u_f32_e32 vcc, v6, v6
	v_cndmask_b32_e32 v6, v7, v8, vcc
	v_and_b32_e32 v7, 0xffff0000, v16
	v_and_b32_e32 v1, 0xffff0000, v1
	;; [unrolled: 1-line block ×3, first 2 shown]
	v_mul_f32_e32 v7, v34, v7
	v_add_f32_e32 v0, v0, v1
	v_and_b32_e32 v1, 0xffff0000, v3
	v_and_b32_e32 v2, 0xffff0000, v2
	v_bfe_u32 v8, v7, 16, 1
	v_add_f32_e32 v1, v2, v1
	v_add3_u32 v8, v8, v7, s21
	v_or_b32_e32 v9, 0x400000, v7
	v_cmp_u_f32_e32 vcc, v7, v7
	v_add_f32_e32 v0, v1, v0
	v_and_b32_e32 v1, 0xffff0000, v5
	v_and_b32_e32 v2, 0xffff0000, v4
	v_cndmask_b32_e32 v7, v8, v9, vcc
	v_add_f32_e32 v1, v2, v1
	v_add_f32_e32 v0, v1, v0
	v_and_b32_e32 v1, 0xffff0000, v7
	v_and_b32_e32 v2, 0xffff0000, v6
	v_add_u32_e32 v45, 2, v45
	v_add_f32_e32 v1, v2, v1
	v_cmp_le_i32_e32 vcc, s17, v45
	v_add_f32_e32 v0, v1, v0
	s_or_b64 s[6:7], vcc, s[6:7]
	v_add_co_u32_e32 v41, vcc, 8, v41
	v_add_f32_e32 v47, v47, v0
	v_add_u32_e32 v58, 32, v58
	v_add_u32_e32 v59, 0x80, v59
	v_addc_co_u32_e32 v42, vcc, 0, v42, vcc
	s_andn2_b64 exec, exec, s[6:7]
	s_cbranch_execz .LBB143_46
.LBB143_30:                             ; =>This Inner Loop Header: Depth=1
	global_load_dword v0, v[41:42], off
	v_add_u32_e32 v44, 1, v58
	v_or_b32_e32 v63, 3, v58
	v_or_b32_e32 v46, 2, v58
	;; [unrolled: 1-line block ×5, first 2 shown]
	s_waitcnt vmcnt(0)
	v_mad_i64_i32 v[0:1], s[0:1], v0, s26, 0
	v_cmp_eq_u32_e64 s[0:1], s14, v45
	v_lshlrev_b64 v[0:1], 1, v[0:1]
	v_add_co_u32_e32 v13, vcc, v56, v0
	v_addc_co_u32_e32 v14, vcc, v57, v1, vcc
	global_load_dwordx4 v[1:4], v[13:14], off
	ds_read2_b64 v[33:36], v59 offset1:1
	ds_read2_b64 v[25:28], v59 offset0:2 offset1:3
	v_or_b32_e32 v0, 7, v58
	s_and_saveexec_b64 s[12:13], s[0:1]
	s_cbranch_execnz .LBB143_43
; %bb.31:                               ;   in Loop: Header=BB143_30 Depth=1
	s_or_b64 exec, exec, s[12:13]
	global_load_dwordx4 v[5:8], v[13:14], off offset:1024
	s_and_saveexec_b64 s[12:13], s[0:1]
	s_cbranch_execnz .LBB143_44
.LBB143_32:                             ;   in Loop: Header=BB143_30 Depth=1
	s_or_b64 exec, exec, s[12:13]
	global_load_dwordx4 v[9:12], v[13:14], off offset:2048
	s_and_saveexec_b64 s[12:13], s[0:1]
	s_cbranch_execnz .LBB143_45
.LBB143_33:                             ;   in Loop: Header=BB143_30 Depth=1
	s_or_b64 exec, exec, s[12:13]
	global_load_dwordx4 v[17:20], v[13:14], off offset:3072
	s_and_saveexec_b64 s[12:13], s[0:1]
	s_cbranch_execz .LBB143_35
.LBB143_34:                             ;   in Loop: Header=BB143_30 Depth=1
	v_cmp_gt_i32_e32 vcc, s15, v44
	s_waitcnt vmcnt(0)
	v_cndmask_b32_sdwa v15, v55, v17, vcc dst_sel:DWORD dst_unused:UNUSED_PAD src0_sel:DWORD src1_sel:WORD_1
	v_cmp_gt_i32_e32 vcc, s33, v58
	v_cndmask_b32_e32 v16, 0, v17, vcc
	v_cmp_gt_i32_e32 vcc, s15, v63
	v_cmp_gt_i32_e64 s[2:3], s33, v46
	v_perm_b32 v17, v15, v16, s20
	v_cndmask_b32_e64 v15, 0, v18, s[2:3]
	v_cndmask_b32_sdwa v16, v55, v18, vcc dst_sel:DWORD dst_unused:UNUSED_PAD src0_sel:DWORD src1_sel:WORD_1
	v_cmp_gt_i32_e32 vcc, s15, v61
	v_cmp_gt_i32_e64 s[2:3], s33, v62
	v_perm_b32 v18, v16, v15, s20
	v_cndmask_b32_e64 v15, 0, v19, s[2:3]
	v_cndmask_b32_sdwa v16, v55, v19, vcc dst_sel:DWORD dst_unused:UNUSED_PAD src0_sel:DWORD src1_sel:WORD_1
	;; [unrolled: 5-line block ×3, first 2 shown]
	v_perm_b32 v20, v16, v15, s20
.LBB143_35:                             ;   in Loop: Header=BB143_30 Depth=1
	s_or_b64 exec, exec, s[12:13]
	v_add_co_u32_e32 v15, vcc, 0x1000, v13
	v_addc_co_u32_e32 v16, vcc, 0, v14, vcc
	global_load_dwordx4 v[21:24], v[15:16], off
	s_and_saveexec_b64 s[12:13], s[0:1]
	s_cbranch_execz .LBB143_37
; %bb.36:                               ;   in Loop: Header=BB143_30 Depth=1
	v_cmp_gt_i32_e32 vcc, s15, v44
	s_waitcnt vmcnt(0)
	v_cndmask_b32_sdwa v15, v55, v21, vcc dst_sel:DWORD dst_unused:UNUSED_PAD src0_sel:DWORD src1_sel:WORD_1
	v_cmp_gt_i32_e32 vcc, s33, v58
	v_cndmask_b32_e32 v16, 0, v21, vcc
	v_cmp_gt_i32_e32 vcc, s15, v63
	v_cmp_gt_i32_e64 s[2:3], s33, v46
	v_perm_b32 v21, v15, v16, s20
	v_cndmask_b32_e64 v15, 0, v22, s[2:3]
	v_cndmask_b32_sdwa v16, v55, v22, vcc dst_sel:DWORD dst_unused:UNUSED_PAD src0_sel:DWORD src1_sel:WORD_1
	v_cmp_gt_i32_e32 vcc, s15, v61
	v_cmp_gt_i32_e64 s[2:3], s33, v62
	v_perm_b32 v22, v16, v15, s20
	v_cndmask_b32_e64 v15, 0, v23, s[2:3]
	v_cndmask_b32_sdwa v16, v55, v23, vcc dst_sel:DWORD dst_unused:UNUSED_PAD src0_sel:DWORD src1_sel:WORD_1
	v_cmp_gt_i32_e32 vcc, s15, v0
	v_cmp_gt_i32_e64 s[2:3], s33, v60
	v_perm_b32 v23, v16, v15, s20
	v_cndmask_b32_e64 v15, 0, v24, s[2:3]
	v_cndmask_b32_sdwa v16, v55, v24, vcc dst_sel:DWORD dst_unused:UNUSED_PAD src0_sel:DWORD src1_sel:WORD_1
	v_perm_b32 v24, v16, v15, s20
.LBB143_37:                             ;   in Loop: Header=BB143_30 Depth=1
	s_or_b64 exec, exec, s[12:13]
	v_add_co_u32_e32 v15, vcc, 0x1000, v13
	v_addc_co_u32_e32 v16, vcc, 0, v14, vcc
	global_load_dwordx4 v[29:32], v[15:16], off offset:1024
	s_and_saveexec_b64 s[12:13], s[0:1]
	s_cbranch_execz .LBB143_39
; %bb.38:                               ;   in Loop: Header=BB143_30 Depth=1
	v_cmp_gt_i32_e32 vcc, s15, v44
	s_waitcnt vmcnt(0)
	v_cndmask_b32_sdwa v15, v55, v29, vcc dst_sel:DWORD dst_unused:UNUSED_PAD src0_sel:DWORD src1_sel:WORD_1
	v_cmp_gt_i32_e32 vcc, s33, v58
	v_cndmask_b32_e32 v16, 0, v29, vcc
	v_cmp_gt_i32_e32 vcc, s15, v63
	v_cmp_gt_i32_e64 s[2:3], s33, v46
	v_perm_b32 v29, v15, v16, s20
	v_cndmask_b32_e64 v15, 0, v30, s[2:3]
	v_cndmask_b32_sdwa v16, v55, v30, vcc dst_sel:DWORD dst_unused:UNUSED_PAD src0_sel:DWORD src1_sel:WORD_1
	v_cmp_gt_i32_e32 vcc, s15, v61
	v_cmp_gt_i32_e64 s[2:3], s33, v62
	v_perm_b32 v30, v16, v15, s20
	v_cndmask_b32_e64 v15, 0, v31, s[2:3]
	v_cndmask_b32_sdwa v16, v55, v31, vcc dst_sel:DWORD dst_unused:UNUSED_PAD src0_sel:DWORD src1_sel:WORD_1
	v_cmp_gt_i32_e32 vcc, s15, v0
	v_cmp_gt_i32_e64 s[2:3], s33, v60
	v_perm_b32 v31, v16, v15, s20
	v_cndmask_b32_e64 v15, 0, v32, s[2:3]
	v_cndmask_b32_sdwa v16, v55, v32, vcc dst_sel:DWORD dst_unused:UNUSED_PAD src0_sel:DWORD src1_sel:WORD_1
	v_perm_b32 v32, v16, v15, s20
.LBB143_39:                             ;   in Loop: Header=BB143_30 Depth=1
	s_or_b64 exec, exec, s[12:13]
	v_add_co_u32_e32 v15, vcc, 0x1000, v13
	v_addc_co_u32_e32 v16, vcc, 0, v14, vcc
	global_load_dwordx4 v[37:40], v[15:16], off offset:2048
	;; [unrolled: 29-line block ×3, first 2 shown]
	s_and_saveexec_b64 s[2:3], s[0:1]
	s_cbranch_execz .LBB143_29
; %bb.42:                               ;   in Loop: Header=BB143_30 Depth=1
	v_cmp_gt_i32_e32 vcc, s15, v44
	s_waitcnt vmcnt(0)
	v_cndmask_b32_sdwa v44, v55, v13, vcc dst_sel:DWORD dst_unused:UNUSED_PAD src0_sel:DWORD src1_sel:WORD_1
	v_cmp_gt_i32_e32 vcc, s33, v58
	v_cndmask_b32_e32 v13, 0, v13, vcc
	v_cmp_gt_i32_e32 vcc, s15, v63
	v_cmp_gt_i32_e64 s[0:1], s33, v46
	v_perm_b32 v13, v44, v13, s20
	v_cndmask_b32_e64 v44, 0, v14, s[0:1]
	v_cndmask_b32_sdwa v14, v55, v14, vcc dst_sel:DWORD dst_unused:UNUSED_PAD src0_sel:DWORD src1_sel:WORD_1
	v_cmp_gt_i32_e32 vcc, s15, v61
	v_cmp_gt_i32_e64 s[0:1], s33, v62
	v_perm_b32 v14, v14, v44, s20
	v_cndmask_b32_e64 v44, 0, v15, s[0:1]
	v_cndmask_b32_sdwa v15, v55, v15, vcc dst_sel:DWORD dst_unused:UNUSED_PAD src0_sel:DWORD src1_sel:WORD_1
	v_cmp_gt_i32_e32 vcc, s15, v0
	v_cmp_gt_i32_e64 s[0:1], s33, v60
	v_cndmask_b32_e64 v0, 0, v16, s[0:1]
	v_cndmask_b32_sdwa v16, v55, v16, vcc dst_sel:DWORD dst_unused:UNUSED_PAD src0_sel:DWORD src1_sel:WORD_1
	v_perm_b32 v15, v15, v44, s20
	v_perm_b32 v16, v16, v0, s20
	s_branch .LBB143_29
.LBB143_43:                             ;   in Loop: Header=BB143_30 Depth=1
	v_cmp_gt_i32_e32 vcc, s15, v44
	s_waitcnt vmcnt(0)
	v_cndmask_b32_sdwa v5, v55, v1, vcc dst_sel:DWORD dst_unused:UNUSED_PAD src0_sel:DWORD src1_sel:WORD_1
	v_cmp_gt_i32_e32 vcc, s33, v58
	v_cndmask_b32_e32 v1, 0, v1, vcc
	v_cmp_gt_i32_e32 vcc, s15, v63
	v_cmp_gt_i32_e64 s[2:3], s33, v46
	v_perm_b32 v1, v5, v1, s20
	v_cndmask_b32_e64 v5, 0, v2, s[2:3]
	v_cndmask_b32_sdwa v2, v55, v2, vcc dst_sel:DWORD dst_unused:UNUSED_PAD src0_sel:DWORD src1_sel:WORD_1
	v_cmp_gt_i32_e32 vcc, s15, v61
	v_cmp_gt_i32_e64 s[2:3], s33, v62
	v_perm_b32 v2, v2, v5, s20
	v_cndmask_b32_e64 v5, 0, v3, s[2:3]
	v_cndmask_b32_sdwa v3, v55, v3, vcc dst_sel:DWORD dst_unused:UNUSED_PAD src0_sel:DWORD src1_sel:WORD_1
	;; [unrolled: 5-line block ×3, first 2 shown]
	v_perm_b32 v4, v4, v5, s20
	s_or_b64 exec, exec, s[12:13]
	global_load_dwordx4 v[5:8], v[13:14], off offset:1024
	s_and_saveexec_b64 s[12:13], s[0:1]
	s_cbranch_execz .LBB143_32
.LBB143_44:                             ;   in Loop: Header=BB143_30 Depth=1
	v_cmp_gt_i32_e32 vcc, s15, v44
	s_waitcnt vmcnt(0)
	v_cndmask_b32_sdwa v9, v55, v5, vcc dst_sel:DWORD dst_unused:UNUSED_PAD src0_sel:DWORD src1_sel:WORD_1
	v_cmp_gt_i32_e32 vcc, s33, v58
	v_cndmask_b32_e32 v5, 0, v5, vcc
	v_cmp_gt_i32_e32 vcc, s15, v63
	v_cmp_gt_i32_e64 s[2:3], s33, v46
	v_perm_b32 v5, v9, v5, s20
	v_cndmask_b32_e64 v9, 0, v6, s[2:3]
	v_cndmask_b32_sdwa v6, v55, v6, vcc dst_sel:DWORD dst_unused:UNUSED_PAD src0_sel:DWORD src1_sel:WORD_1
	v_cmp_gt_i32_e32 vcc, s15, v61
	v_cmp_gt_i32_e64 s[2:3], s33, v62
	v_perm_b32 v6, v6, v9, s20
	v_cndmask_b32_e64 v9, 0, v7, s[2:3]
	v_cndmask_b32_sdwa v7, v55, v7, vcc dst_sel:DWORD dst_unused:UNUSED_PAD src0_sel:DWORD src1_sel:WORD_1
	;; [unrolled: 5-line block ×3, first 2 shown]
	v_perm_b32 v8, v8, v9, s20
	s_or_b64 exec, exec, s[12:13]
	global_load_dwordx4 v[9:12], v[13:14], off offset:2048
	s_and_saveexec_b64 s[12:13], s[0:1]
	s_cbranch_execz .LBB143_33
.LBB143_45:                             ;   in Loop: Header=BB143_30 Depth=1
	v_cmp_gt_i32_e32 vcc, s15, v44
	s_waitcnt vmcnt(0)
	v_cndmask_b32_sdwa v15, v55, v9, vcc dst_sel:DWORD dst_unused:UNUSED_PAD src0_sel:DWORD src1_sel:WORD_1
	v_cmp_gt_i32_e32 vcc, s33, v58
	v_cndmask_b32_e32 v9, 0, v9, vcc
	v_cmp_gt_i32_e32 vcc, s15, v63
	v_cmp_gt_i32_e64 s[2:3], s33, v46
	v_perm_b32 v9, v15, v9, s20
	v_cndmask_b32_e64 v15, 0, v10, s[2:3]
	v_cndmask_b32_sdwa v10, v55, v10, vcc dst_sel:DWORD dst_unused:UNUSED_PAD src0_sel:DWORD src1_sel:WORD_1
	v_cmp_gt_i32_e32 vcc, s15, v61
	v_cmp_gt_i32_e64 s[2:3], s33, v62
	v_perm_b32 v10, v10, v15, s20
	v_cndmask_b32_e64 v15, 0, v11, s[2:3]
	v_cndmask_b32_sdwa v11, v55, v11, vcc dst_sel:DWORD dst_unused:UNUSED_PAD src0_sel:DWORD src1_sel:WORD_1
	v_cmp_gt_i32_e32 vcc, s15, v0
	v_cmp_gt_i32_e64 s[2:3], s33, v60
	v_perm_b32 v11, v11, v15, s20
	v_cndmask_b32_e64 v15, 0, v12, s[2:3]
	v_cndmask_b32_sdwa v12, v55, v12, vcc dst_sel:DWORD dst_unused:UNUSED_PAD src0_sel:DWORD src1_sel:WORD_1
	v_perm_b32 v12, v12, v15, s20
	s_or_b64 exec, exec, s[12:13]
	global_load_dwordx4 v[17:20], v[13:14], off offset:3072
	s_and_saveexec_b64 s[12:13], s[0:1]
	s_cbranch_execnz .LBB143_34
	s_branch .LBB143_35
.LBB143_46:
	s_or_b64 exec, exec, s[6:7]
	buffer_load_dword v11, off, s[36:39], 0 offset:184 ; 4-byte Folded Reload
	buffer_load_dword v12, off, s[36:39], 0 ; 4-byte Folded Reload
	buffer_load_dword v10, off, s[36:39], 0 offset:4 ; 4-byte Folded Reload
.LBB143_47:
	s_or_b64 exec, exec, s[4:5]
	ds_bpermute_b32 v0, v43, v52
	ds_bpermute_b32 v1, v43, v54
	;; [unrolled: 1-line block ×5, first 2 shown]
	s_waitcnt lgkmcnt(4)
	v_add_f32_e32 v7, v52, v0
	ds_bpermute_b32 v0, v43, v51
	s_waitcnt lgkmcnt(4)
	v_add_f32_e32 v6, v54, v1
	s_waitcnt lgkmcnt(3)
	v_add_f32_e32 v4, v53, v2
	ds_bpermute_b32 v1, v43, v50
	ds_bpermute_b32 v2, v43, v49
	s_waitcnt lgkmcnt(2)
	v_add_f32_e32 v5, v51, v0
	v_add_f32_e32 v0, v47, v9
	s_waitcnt vmcnt(2)
	v_and_b32_e32 v9, 0x3c1, v11
	s_waitcnt lgkmcnt(1)
	v_add_f32_e32 v3, v50, v1
	s_waitcnt lgkmcnt(0)
	v_add_f32_e32 v2, v49, v2
	v_add_f32_e32 v1, v48, v8
	v_cmp_eq_u32_e32 vcc, 64, v9
	s_waitcnt vmcnt(0)
	s_barrier
	s_and_saveexec_b64 s[0:1], vcc
	s_cbranch_execz .LBB143_49
; %bb.48:
	v_mov_b32_e32 v8, 0x210
	v_lshl_add_u32 v8, v12, 1, v8
	ds_write2_b32 v8, v7, v6 offset1:32
	ds_write2_b32 v8, v4, v5 offset0:64 offset1:96
	ds_write2_b32 v8, v3, v2 offset0:128 offset1:160
	;; [unrolled: 1-line block ×3, first 2 shown]
.LBB143_49:
	s_or_b64 exec, exec, s[0:1]
	v_cmp_gt_u32_e32 vcc, 64, v11
	v_lshrrev_b32_e32 v8, 1, v11
	s_waitcnt lgkmcnt(0)
	s_barrier
	s_and_saveexec_b64 s[0:1], vcc
	s_cbranch_execz .LBB143_60
; %bb.50:
	v_cmp_eq_u32_e32 vcc, 0, v10
	v_mov_b32_e32 v10, 0x210
	v_lshl_add_u32 v10, v8, 2, v10
	s_and_saveexec_b64 s[2:3], vcc
	s_cbranch_execnz .LBB143_63
; %bb.51:
	s_or_b64 exec, exec, s[2:3]
	s_and_saveexec_b64 s[2:3], vcc
	s_cbranch_execnz .LBB143_64
.LBB143_52:
	s_or_b64 exec, exec, s[2:3]
	s_and_saveexec_b64 s[2:3], vcc
	s_cbranch_execnz .LBB143_65
.LBB143_53:
	s_or_b64 exec, exec, s[2:3]
	s_and_saveexec_b64 s[2:3], vcc
	s_cbranch_execnz .LBB143_66
.LBB143_54:
	s_or_b64 exec, exec, s[2:3]
	s_and_saveexec_b64 s[2:3], vcc
	s_cbranch_execnz .LBB143_67
.LBB143_55:
	s_or_b64 exec, exec, s[2:3]
	s_and_saveexec_b64 s[2:3], vcc
	s_cbranch_execnz .LBB143_68
.LBB143_56:
	s_or_b64 exec, exec, s[2:3]
	s_and_saveexec_b64 s[2:3], vcc
	s_cbranch_execnz .LBB143_69
.LBB143_57:
	s_or_b64 exec, exec, s[2:3]
	s_and_saveexec_b64 s[2:3], vcc
	s_cbranch_execz .LBB143_59
.LBB143_58:
	ds_read_b32 v10, v10 offset:896
	s_waitcnt lgkmcnt(0)
	v_add_f32_e32 v0, v0, v10
.LBB143_59:
	s_or_b64 exec, exec, s[2:3]
.LBB143_60:
	s_or_b64 exec, exec, s[0:1]
	v_cmp_eq_u32_e32 vcc, 0, v9
	s_barrier
	s_and_saveexec_b64 s[0:1], vcc
	s_cbranch_execz .LBB143_62
; %bb.61:
	s_mul_i32 s0, s10, s11
	s_mul_i32 s0, s0, s9
	s_lshl_b32 s0, s0, 8
	s_ashr_i32 s1, s0, 31
	s_lshl_b64 s[0:1], s[0:1], 1
	s_add_u32 s2, s18, s0
	s_mul_i32 s0, s11, s16
	s_addc_u32 s3, s19, s1
	s_ashr_i32 s1, s0, 31
	s_lshl_b64 s[0:1], s[0:1], 1
	s_add_u32 s2, s2, s0
	s_addc_u32 s3, s3, s1
	s_lshl_b32 s0, s8, 8
	s_ashr_i32 s1, s0, 31
	s_lshl_b64 s[0:1], s[0:1], 1
	s_add_u32 s0, s2, s0
	v_bfe_u32 v9, v7, 16, 1
	s_movk_i32 s2, 0x7fff
	v_add3_u32 v9, v9, v7, s2
	v_or_b32_e32 v10, 0x400000, v7
	v_cmp_u_f32_e32 vcc, v7, v7
	s_addc_u32 s1, s3, s1
	v_lshlrev_b32_e32 v8, 1, v8
	v_cndmask_b32_e32 v7, v9, v10, vcc
	global_store_short_d16_hi v8, v7, s[0:1]
	v_bfe_u32 v7, v6, 16, 1
	v_add3_u32 v7, v7, v6, s2
	v_or_b32_e32 v9, 0x400000, v6
	v_cmp_u_f32_e32 vcc, v6, v6
	v_cndmask_b32_e32 v6, v7, v9, vcc
	global_store_short_d16_hi v8, v6, s[0:1] offset:64
	v_bfe_u32 v6, v4, 16, 1
	v_add3_u32 v6, v6, v4, s2
	v_or_b32_e32 v7, 0x400000, v4
	v_cmp_u_f32_e32 vcc, v4, v4
	v_cndmask_b32_e32 v4, v6, v7, vcc
	global_store_short_d16_hi v8, v4, s[0:1] offset:128
	;; [unrolled: 6-line block ×7, first 2 shown]
.LBB143_62:
	s_endpgm
.LBB143_63:
	ds_read_b32 v11, v10
	s_waitcnt lgkmcnt(0)
	v_add_f32_e32 v7, v7, v11
	s_or_b64 exec, exec, s[2:3]
	s_and_saveexec_b64 s[2:3], vcc
	s_cbranch_execz .LBB143_52
.LBB143_64:
	ds_read_b32 v11, v10 offset:128
	s_waitcnt lgkmcnt(0)
	v_add_f32_e32 v6, v6, v11
	s_or_b64 exec, exec, s[2:3]
	s_and_saveexec_b64 s[2:3], vcc
	s_cbranch_execz .LBB143_53
.LBB143_65:
	ds_read_b32 v11, v10 offset:256
	s_waitcnt lgkmcnt(0)
	v_add_f32_e32 v4, v4, v11
	s_or_b64 exec, exec, s[2:3]
	s_and_saveexec_b64 s[2:3], vcc
	s_cbranch_execz .LBB143_54
.LBB143_66:
	ds_read_b32 v11, v10 offset:384
	s_waitcnt lgkmcnt(0)
	v_add_f32_e32 v5, v5, v11
	s_or_b64 exec, exec, s[2:3]
	s_and_saveexec_b64 s[2:3], vcc
	s_cbranch_execz .LBB143_55
.LBB143_67:
	ds_read_b32 v11, v10 offset:512
	s_waitcnt lgkmcnt(0)
	v_add_f32_e32 v3, v3, v11
	s_or_b64 exec, exec, s[2:3]
	s_and_saveexec_b64 s[2:3], vcc
	s_cbranch_execz .LBB143_56
.LBB143_68:
	ds_read_b32 v11, v10 offset:640
	s_waitcnt lgkmcnt(0)
	v_add_f32_e32 v2, v2, v11
	s_or_b64 exec, exec, s[2:3]
	s_and_saveexec_b64 s[2:3], vcc
	s_cbranch_execz .LBB143_57
.LBB143_69:
	ds_read_b32 v11, v10 offset:768
	s_waitcnt lgkmcnt(0)
	v_add_f32_e32 v1, v1, v11
	s_or_b64 exec, exec, s[2:3]
	s_and_saveexec_b64 s[2:3], vcc
	s_cbranch_execnz .LBB143_58
	s_branch .LBB143_59
	.section	.rodata,"a",@progbits
	.p2align	6, 0x0
	.amdhsa_kernel _ZN4vllm25paged_attention_v1_kernelI14__hip_bfloat16S1_Li256ELi16ELi128ELNS_18Fp8KVCacheDataTypeE0ELb0EEEvPT_PKS3_PKT0_S9_ifPKiSB_iPKfiiiSD_SD_iiiii
		.amdhsa_group_segment_fixed_size 528
		.amdhsa_private_segment_fixed_size 204
		.amdhsa_kernarg_size 384
		.amdhsa_user_sgpr_count 6
		.amdhsa_user_sgpr_private_segment_buffer 1
		.amdhsa_user_sgpr_dispatch_ptr 0
		.amdhsa_user_sgpr_queue_ptr 0
		.amdhsa_user_sgpr_kernarg_segment_ptr 1
		.amdhsa_user_sgpr_dispatch_id 0
		.amdhsa_user_sgpr_flat_scratch_init 0
		.amdhsa_user_sgpr_private_segment_size 0
		.amdhsa_uses_dynamic_stack 0
		.amdhsa_system_sgpr_private_segment_wavefront_offset 1
		.amdhsa_system_sgpr_workgroup_id_x 1
		.amdhsa_system_sgpr_workgroup_id_y 1
		.amdhsa_system_sgpr_workgroup_id_z 1
		.amdhsa_system_sgpr_workgroup_info 0
		.amdhsa_system_vgpr_workitem_id 0
		.amdhsa_next_free_vgpr 64
		.amdhsa_next_free_sgpr 40
		.amdhsa_reserve_vcc 1
		.amdhsa_reserve_flat_scratch 0
		.amdhsa_float_round_mode_32 0
		.amdhsa_float_round_mode_16_64 0
		.amdhsa_float_denorm_mode_32 3
		.amdhsa_float_denorm_mode_16_64 3
		.amdhsa_dx10_clamp 1
		.amdhsa_ieee_mode 1
		.amdhsa_fp16_overflow 0
		.amdhsa_exception_fp_ieee_invalid_op 0
		.amdhsa_exception_fp_denorm_src 0
		.amdhsa_exception_fp_ieee_div_zero 0
		.amdhsa_exception_fp_ieee_overflow 0
		.amdhsa_exception_fp_ieee_underflow 0
		.amdhsa_exception_fp_ieee_inexact 0
		.amdhsa_exception_int_div_zero 0
	.end_amdhsa_kernel
	.section	.text._ZN4vllm25paged_attention_v1_kernelI14__hip_bfloat16S1_Li256ELi16ELi128ELNS_18Fp8KVCacheDataTypeE0ELb0EEEvPT_PKS3_PKT0_S9_ifPKiSB_iPKfiiiSD_SD_iiiii,"axG",@progbits,_ZN4vllm25paged_attention_v1_kernelI14__hip_bfloat16S1_Li256ELi16ELi128ELNS_18Fp8KVCacheDataTypeE0ELb0EEEvPT_PKS3_PKT0_S9_ifPKiSB_iPKfiiiSD_SD_iiiii,comdat
.Lfunc_end143:
	.size	_ZN4vllm25paged_attention_v1_kernelI14__hip_bfloat16S1_Li256ELi16ELi128ELNS_18Fp8KVCacheDataTypeE0ELb0EEEvPT_PKS3_PKT0_S9_ifPKiSB_iPKfiiiSD_SD_iiiii, .Lfunc_end143-_ZN4vllm25paged_attention_v1_kernelI14__hip_bfloat16S1_Li256ELi16ELi128ELNS_18Fp8KVCacheDataTypeE0ELb0EEEvPT_PKS3_PKT0_S9_ifPKiSB_iPKfiiiSD_SD_iiiii
                                        ; -- End function
	.set _ZN4vllm25paged_attention_v1_kernelI14__hip_bfloat16S1_Li256ELi16ELi128ELNS_18Fp8KVCacheDataTypeE0ELb0EEEvPT_PKS3_PKT0_S9_ifPKiSB_iPKfiiiSD_SD_iiiii.num_vgpr, 64
	.set _ZN4vllm25paged_attention_v1_kernelI14__hip_bfloat16S1_Li256ELi16ELi128ELNS_18Fp8KVCacheDataTypeE0ELb0EEEvPT_PKS3_PKT0_S9_ifPKiSB_iPKfiiiSD_SD_iiiii.num_agpr, 0
	.set _ZN4vllm25paged_attention_v1_kernelI14__hip_bfloat16S1_Li256ELi16ELi128ELNS_18Fp8KVCacheDataTypeE0ELb0EEEvPT_PKS3_PKT0_S9_ifPKiSB_iPKfiiiSD_SD_iiiii.numbered_sgpr, 40
	.set _ZN4vllm25paged_attention_v1_kernelI14__hip_bfloat16S1_Li256ELi16ELi128ELNS_18Fp8KVCacheDataTypeE0ELb0EEEvPT_PKS3_PKT0_S9_ifPKiSB_iPKfiiiSD_SD_iiiii.num_named_barrier, 0
	.set _ZN4vllm25paged_attention_v1_kernelI14__hip_bfloat16S1_Li256ELi16ELi128ELNS_18Fp8KVCacheDataTypeE0ELb0EEEvPT_PKS3_PKT0_S9_ifPKiSB_iPKfiiiSD_SD_iiiii.private_seg_size, 204
	.set _ZN4vllm25paged_attention_v1_kernelI14__hip_bfloat16S1_Li256ELi16ELi128ELNS_18Fp8KVCacheDataTypeE0ELb0EEEvPT_PKS3_PKT0_S9_ifPKiSB_iPKfiiiSD_SD_iiiii.uses_vcc, 1
	.set _ZN4vllm25paged_attention_v1_kernelI14__hip_bfloat16S1_Li256ELi16ELi128ELNS_18Fp8KVCacheDataTypeE0ELb0EEEvPT_PKS3_PKT0_S9_ifPKiSB_iPKfiiiSD_SD_iiiii.uses_flat_scratch, 0
	.set _ZN4vllm25paged_attention_v1_kernelI14__hip_bfloat16S1_Li256ELi16ELi128ELNS_18Fp8KVCacheDataTypeE0ELb0EEEvPT_PKS3_PKT0_S9_ifPKiSB_iPKfiiiSD_SD_iiiii.has_dyn_sized_stack, 0
	.set _ZN4vllm25paged_attention_v1_kernelI14__hip_bfloat16S1_Li256ELi16ELi128ELNS_18Fp8KVCacheDataTypeE0ELb0EEEvPT_PKS3_PKT0_S9_ifPKiSB_iPKfiiiSD_SD_iiiii.has_recursion, 0
	.set _ZN4vllm25paged_attention_v1_kernelI14__hip_bfloat16S1_Li256ELi16ELi128ELNS_18Fp8KVCacheDataTypeE0ELb0EEEvPT_PKS3_PKT0_S9_ifPKiSB_iPKfiiiSD_SD_iiiii.has_indirect_call, 0
	.section	.AMDGPU.csdata,"",@progbits
; Kernel info:
; codeLenInByte = 10852
; TotalNumSgprs: 44
; NumVgprs: 64
; ScratchSize: 204
; MemoryBound: 0
; FloatMode: 240
; IeeeMode: 1
; LDSByteSize: 528 bytes/workgroup (compile time only)
; SGPRBlocks: 5
; VGPRBlocks: 15
; NumSGPRsForWavesPerEU: 44
; NumVGPRsForWavesPerEU: 64
; Occupancy: 4
; WaveLimiterHint : 1
; COMPUTE_PGM_RSRC2:SCRATCH_EN: 1
; COMPUTE_PGM_RSRC2:USER_SGPR: 6
; COMPUTE_PGM_RSRC2:TRAP_HANDLER: 0
; COMPUTE_PGM_RSRC2:TGID_X_EN: 1
; COMPUTE_PGM_RSRC2:TGID_Y_EN: 1
; COMPUTE_PGM_RSRC2:TGID_Z_EN: 1
; COMPUTE_PGM_RSRC2:TIDIG_COMP_CNT: 0
	.section	.text._ZN4vllm25paged_attention_v1_kernelI14__hip_bfloat16S1_Li32ELi32ELi128ELNS_18Fp8KVCacheDataTypeE0ELb1EEEvPT_PKS3_PKT0_S9_ifPKiSB_iPKfiiiSD_SD_iiiii,"axG",@progbits,_ZN4vllm25paged_attention_v1_kernelI14__hip_bfloat16S1_Li32ELi32ELi128ELNS_18Fp8KVCacheDataTypeE0ELb1EEEvPT_PKS3_PKT0_S9_ifPKiSB_iPKfiiiSD_SD_iiiii,comdat
	.protected	_ZN4vllm25paged_attention_v1_kernelI14__hip_bfloat16S1_Li32ELi32ELi128ELNS_18Fp8KVCacheDataTypeE0ELb1EEEvPT_PKS3_PKT0_S9_ifPKiSB_iPKfiiiSD_SD_iiiii ; -- Begin function _ZN4vllm25paged_attention_v1_kernelI14__hip_bfloat16S1_Li32ELi32ELi128ELNS_18Fp8KVCacheDataTypeE0ELb1EEEvPT_PKS3_PKT0_S9_ifPKiSB_iPKfiiiSD_SD_iiiii
	.globl	_ZN4vllm25paged_attention_v1_kernelI14__hip_bfloat16S1_Li32ELi32ELi128ELNS_18Fp8KVCacheDataTypeE0ELb1EEEvPT_PKS3_PKT0_S9_ifPKiSB_iPKfiiiSD_SD_iiiii
	.p2align	8
	.type	_ZN4vllm25paged_attention_v1_kernelI14__hip_bfloat16S1_Li32ELi32ELi128ELNS_18Fp8KVCacheDataTypeE0ELb1EEEvPT_PKS3_PKT0_S9_ifPKiSB_iPKfiiiSD_SD_iiiii,@function
_ZN4vllm25paged_attention_v1_kernelI14__hip_bfloat16S1_Li32ELi32ELi128ELNS_18Fp8KVCacheDataTypeE0ELb1EEEvPT_PKS3_PKT0_S9_ifPKiSB_iPKfiiiSD_SD_iiiii: ; @_ZN4vllm25paged_attention_v1_kernelI14__hip_bfloat16S1_Li32ELi32ELi128ELNS_18Fp8KVCacheDataTypeE0ELb1EEEvPT_PKS3_PKT0_S9_ifPKiSB_iPKfiiiSD_SD_iiiii
; %bb.0:
	s_load_dword s9, s[4:5], 0x80
	s_load_dwordx2 s[0:1], s[4:5], 0x30
	s_load_dwordx2 s[30:31], s[4:5], 0x20
	s_mov_b32 s10, s7
	s_ashr_i32 s11, s7, 31
	s_lshl_b64 s[2:3], s[10:11], 2
	s_waitcnt lgkmcnt(0)
	s_add_u32 s0, s0, s2
	s_addc_u32 s1, s1, s3
	s_abs_i32 s2, s30
	v_cvt_f32_u32_e32 v1, s2
	s_sub_i32 s11, 0, s2
	s_abs_i32 s7, s9
	s_xor_b32 s3, s9, s30
	v_rcp_iflag_f32_e32 v1, v1
	s_ashr_i32 s3, s3, 31
	s_mov_b32 s42, 0
	v_mul_f32_e32 v1, 0x4f7ffffe, v1
	v_cvt_u32_f32_e32 v1, v1
	v_readfirstlane_b32 s12, v1
	s_mul_i32 s11, s11, s12
	s_mul_hi_u32 s11, s12, s11
	s_add_i32 s12, s12, s11
	s_mul_hi_u32 s11, s7, s12
	s_mul_i32 s12, s11, s2
	s_sub_i32 s7, s7, s12
	s_add_i32 s12, s11, 1
	s_sub_i32 s13, s7, s2
	s_cmp_ge_u32 s7, s2
	s_cselect_b32 s11, s12, s11
	s_cselect_b32 s7, s13, s7
	s_add_i32 s12, s11, 1
	s_cmp_ge_u32 s7, s2
	s_cselect_b32 s2, s12, s11
	s_xor_b32 s2, s2, s3
	s_sub_i32 s12, s2, s3
	s_abs_i32 s22, s12
	v_cvt_f32_u32_e32 v1, s22
	s_load_dwordx2 s[2:3], s[4:5], 0x40
	s_sub_i32 s7, 0, s22
	s_abs_i32 s23, s6
	v_rcp_iflag_f32_e32 v1, v1
	v_mul_f32_e32 v1, 0x4f7ffffe, v1
	v_cvt_u32_f32_e32 v1, v1
	v_readfirstlane_b32 s11, v1
	s_mul_i32 s7, s7, s11
	s_mul_hi_u32 s7, s11, s7
	s_add_i32 s11, s11, s7
	s_waitcnt lgkmcnt(0)
	s_cmp_eq_u64 s[2:3], 0
	s_mul_hi_u32 s24, s23, s11
	s_cbranch_scc1 .LBB144_2
; %bb.1:
	s_ashr_i32 s7, s6, 31
	s_lshl_b64 s[14:15], s[6:7], 2
	s_add_u32 s2, s2, s14
	s_addc_u32 s3, s3, s15
	s_load_dword s42, s[2:3], 0x0
.LBB144_2:
	s_load_dword s11, s[0:1], 0x0
	s_ashr_i32 s7, s12, 31
	s_load_dwordx4 s[12:15], s[4:5], 0x48
	s_ashr_i32 s2, s6, 31
	v_and_b32_e32 v1, 1, v0
	s_lshl_b32 s20, s6, 5
	v_cmp_gt_u32_e32 vcc, 8, v0
	v_lshlrev_b32_e32 v3, 3, v0
	s_and_saveexec_b64 s[0:1], vcc
	s_cbranch_execz .LBB144_4
; %bb.3:
	s_load_dwordx2 s[16:17], s[4:5], 0x8
	s_waitcnt lgkmcnt(0)
	s_mul_i32 s18, s12, s10
	s_ashr_i32 s19, s18, 31
	s_lshl_b64 s[18:19], s[18:19], 1
	v_lshlrev_b32_e32 v2, 2, v0
	s_add_u32 s3, s16, s18
	s_addc_u32 s12, s17, s19
	s_ashr_i32 s21, s20, 31
	s_lshl_b64 s[16:17], s[20:21], 1
	s_add_u32 s16, s3, s16
	s_addc_u32 s17, s12, s17
	global_load_dwordx2 v[4:5], v3, s[16:17]
	v_and_b32_e32 v2, 0xff8, v2
	v_lshl_add_u32 v2, v1, 5, v2
	s_waitcnt vmcnt(0)
	ds_write_b64 v2, v[4:5]
.LBB144_4:
	s_or_b64 exec, exec, s[0:1]
	s_mul_i32 s1, s24, s22
	s_sub_i32 s1, s23, s1
	s_xor_b32 s0, s2, s7
	s_add_i32 s2, s24, 1
	s_sub_i32 s7, s1, s22
	s_load_dwordx4 s[16:19], s[4:5], 0x68
	s_load_dword s3, s[4:5], 0x78
	s_cmp_ge_u32 s1, s22
	s_cselect_b32 s2, s2, s24
	s_cselect_b32 s1, s7, s1
	s_add_i32 s7, s2, 1
	s_cmp_ge_u32 s1, s22
	s_cselect_b32 s1, s7, s2
	s_waitcnt lgkmcnt(0)
	s_abs_i32 s21, s19
	v_cvt_f32_u32_e32 v2, s21
	s_xor_b32 s1, s1, s0
	s_sub_i32 s2, s1, s0
	s_sub_i32 s0, 0, s21
	v_rcp_iflag_f32_e32 v2, v2
	s_add_i32 s15, s11, -1
	s_abs_i32 s7, s15
	v_mul_f32_e32 v2, 0x4f7ffffe, v2
	v_cvt_u32_f32_e32 v2, v2
	s_barrier
	v_readfirstlane_b32 s33, v2
	s_mul_i32 s0, s0, s33
	s_mul_hi_u32 s0, s33, s0
	s_add_i32 s33, s33, s0
	s_cmp_lt_i32 s3, 0
	s_mul_hi_u32 s12, s7, s33
	s_cbranch_scc0 .LBB144_6
; %bb.5:
	s_mul_i32 s0, s16, s30
	s_add_i32 s0, s2, s0
	s_mul_i32 s0, s0, s3
	s_sub_i32 s40, 1, s0
	s_mov_b64 s[0:1], 0
	s_branch .LBB144_7
.LBB144_6:
	s_mov_b64 s[0:1], -1
                                        ; implicit-def: $sgpr40
.LBB144_7:
	s_load_dwordx2 s[24:25], s[4:5], 0x28
	s_ashr_i32 s15, s15, 31
	s_andn2_b64 vcc, exec, s[0:1]
	s_ashr_i32 s19, s19, 31
	s_cbranch_vccnz .LBB144_9
; %bb.8:
	s_mul_i32 s0, s9, s16
	s_add_i32 s0, s0, s6
	s_mul_i32 s0, s0, s3
	s_add_i32 s40, s0, 1
.LBB144_9:
	s_load_dword s0, s[4:5], 0x38
	s_load_dwordx2 s[22:23], s[4:5], 0x0
	s_load_dwordx2 s[28:29], s[4:5], 0x18
	s_load_dword s16, s[4:5], 0x88
	s_xor_b32 s1, s15, s19
	s_waitcnt lgkmcnt(0)
	s_mul_i32 s26, s0, s10
	s_mul_i32 s0, s12, s21
	s_sub_i32 s0, s7, s0
	s_ashr_i32 s27, s26, 31
	s_add_i32 s3, s12, 1
	s_sub_i32 s6, s0, s21
	s_cmp_ge_u32 s0, s21
	s_cselect_b32 s3, s3, s12
	s_cselect_b32 s0, s6, s0
	s_add_i32 s6, s3, 1
	s_cmp_ge_u32 s0, s21
	s_cselect_b32 s0, s6, s3
	s_xor_b32 s0, s0, s1
	s_sub_i32 s12, s0, s1
	s_add_i32 s0, s11, 31
	s_ashr_i32 s1, s0, 31
	s_lshr_b32 s1, s1, 27
	s_add_i32 s0, s0, s1
	s_ashr_i32 s41, s0, 5
	v_lshrrev_b32_e32 v19, 6, v0
	v_cmp_gt_i32_e64 s[0:1], s41, v19
	v_mov_b32_e32 v8, 0xff7fffff
	s_mul_i32 s14, s2, s14
	v_lshrrev_b32_e32 v4, 4, v0
	v_lshlrev_b32_e32 v20, 5, v19
	v_mbcnt_lo_u32_b32 v5, -1, 0
	s_and_saveexec_b64 s[34:35], s[0:1]
	s_cbranch_execz .LBB144_21
; %bb.10:
	s_load_dwordx2 s[2:3], s[4:5], 0x10
	s_ashr_i32 s15, s14, 31
	s_sub_i32 s30, s12, s17
	s_lshl_b64 s[4:5], s[14:15], 1
	v_bfe_u32 v6, v0, 1, 5
	s_waitcnt lgkmcnt(0)
	s_add_u32 s2, s2, s4
	s_addc_u32 s3, s3, s5
	s_abs_i32 s15, s18
	v_cvt_f32_u32_e32 v2, s15
	v_mov_b32_e32 v9, s3
	s_sub_i32 s3, 0, s15
	v_lshlrev_b32_e32 v8, 4, v6
	v_rcp_iflag_f32_e32 v2, v2
	v_and_b32_e32 v7, 8, v3
	s_lshl_b64 s[4:5], s[26:27], 2
	s_add_u32 s4, s24, s4
	v_mul_f32_e32 v2, 0x4f7ffffe, v2
	v_cvt_u32_f32_e32 v2, v2
	v_cmp_eq_u32_e32 vcc, 0, v1
	s_addc_u32 s5, s25, s5
	v_mbcnt_hi_u32_b32 v16, -1, v5
	v_mul_lo_u32 v10, s3, v2
	v_add_co_u32_e64 v8, s[2:3], s2, v8
	v_addc_co_u32_e64 v9, s[2:3], 0, v9, s[2:3]
	v_mul_hi_u32 v11, v2, v10
	v_add_co_u32_e64 v7, s[2:3], v8, v7
	v_subrev_u32_e32 v8, s11, v6
	v_add_u32_e32 v13, 1, v8
	v_lshlrev_b32_e32 v8, 2, v6
	v_lshlrev_b32_e32 v10, 5, v1
	v_and_b32_e32 v1, 60, v4
	v_lshl_or_b32 v8, v19, 7, v8
	v_addc_co_u32_e64 v9, s[2:3], 0, v9, s[2:3]
	v_add_u32_e32 v11, v2, v11
	v_mov_b32_e32 v2, s5
	v_add_co_u32_e64 v1, s[4:5], s4, v1
	v_add_u32_e32 v14, 0x50, v8
	v_and_b32_e32 v8, 64, v16
	s_mov_b32 s43, s13
	v_cmp_neq_f32_e64 s[2:3], s42, 0
	v_addc_co_u32_e64 v2, s[4:5], 0, v2, s[4:5]
	v_lshlrev_b32_e32 v12, 5, v19
	v_mov_b32_e32 v15, 0xff7fffff
	s_mov_b64 s[36:37], 0
	v_xor_b32_e32 v17, 1, v16
	v_add_u32_e32 v18, 64, v8
	v_mov_b32_e32 v8, 0xff7fffff
	v_mov_b32_e32 v21, v19
	s_branch .LBB144_13
.LBB144_11:                             ;   in Loop: Header=BB144_13 Depth=1
	s_or_b64 exec, exec, s[38:39]
.LBB144_12:                             ;   in Loop: Header=BB144_13 Depth=1
	s_or_b64 exec, exec, s[6:7]
	v_add_co_u32_e64 v1, s[4:5], 8, v1
	v_add_u32_e32 v21, 2, v21
	v_addc_co_u32_e64 v2, s[4:5], 0, v2, s[4:5]
	v_cmp_le_i32_e64 s[4:5], s41, v21
	v_add_u32_e32 v12, 64, v12
	s_or_b64 s[36:37], s[4:5], s[36:37]
	v_add_u32_e32 v14, 0x100, v14
	s_andn2_b64 exec, exec, s[36:37]
	s_cbranch_execz .LBB144_20
.LBB144_13:                             ; =>This Inner Loop Header: Depth=1
	v_mul_hi_u32 v22, v12, s33
	s_waitcnt lgkmcnt(0)
	v_mul_lo_u32 v23, v22, s21
	v_add_u32_e32 v24, 1, v22
	v_sub_u32_e32 v23, v12, v23
	v_cmp_le_u32_e64 s[4:5], s21, v23
	v_cndmask_b32_e64 v22, v22, v24, s[4:5]
	v_subrev_u32_e32 v24, s21, v23
	v_cndmask_b32_e64 v23, v23, v24, s[4:5]
	v_add_u32_e32 v24, 1, v22
	v_cmp_le_u32_e64 s[4:5], s21, v23
	v_cndmask_b32_e64 v22, v22, v24, s[4:5]
	v_xor_b32_e32 v22, s19, v22
	v_subrev_u32_e32 v22, s19, v22
	v_add_u32_e32 v23, s40, v22
	v_sub_u32_e32 v24, 0, v23
	v_max_i32_e32 v24, v23, v24
	v_mul_hi_u32 v25, v24, v11
	v_ashrrev_i32_e32 v23, 31, v23
	v_cmp_ge_i32_e64 s[6:7], s30, v22
	v_mul_lo_u32 v25, v25, s15
	v_sub_u32_e32 v24, v24, v25
	v_subrev_u32_e32 v25, s15, v24
	v_cmp_le_u32_e64 s[4:5], s15, v24
	v_cndmask_b32_e64 v24, v24, v25, s[4:5]
	v_subrev_u32_e32 v25, s15, v24
	v_cmp_le_u32_e64 s[4:5], s15, v24
	v_cndmask_b32_e64 v24, v24, v25, s[4:5]
	v_xor_b32_e32 v24, v24, v23
	v_sub_u32_e32 v23, v24, v23
	v_cmp_ne_u32_e64 s[4:5], 0, v23
	s_and_b64 s[4:5], s[4:5], s[6:7]
	s_and_saveexec_b64 s[6:7], s[4:5]
	s_xor_b64 s[4:5], exec, s[6:7]
	s_cbranch_execz .LBB144_17
; %bb.14:                               ;   in Loop: Header=BB144_13 Depth=1
	s_and_saveexec_b64 s[6:7], vcc
; %bb.15:                               ;   in Loop: Header=BB144_13 Depth=1
	ds_write_b32 v14, v15
; %bb.16:                               ;   in Loop: Header=BB144_13 Depth=1
	s_or_b64 exec, exec, s[6:7]
.LBB144_17:                             ;   in Loop: Header=BB144_13 Depth=1
	s_andn2_saveexec_b64 s[6:7], s[4:5]
	s_cbranch_execz .LBB144_12
; %bb.18:                               ;   in Loop: Header=BB144_13 Depth=1
	global_load_dword v22, v[1:2], off
	s_waitcnt vmcnt(0)
	v_mad_i64_i32 v[22:23], s[4:5], v22, s43, 0
	v_lshlrev_b64 v[22:23], 1, v[22:23]
	v_add_co_u32_e64 v22, s[4:5], v7, v22
	v_addc_co_u32_e64 v23, s[4:5], v9, v23, s[4:5]
	global_load_dwordx2 v[30:31], v[22:23], off offset:512
	global_load_dwordx2 v[32:33], v[22:23], off offset:1024
	;; [unrolled: 1-line block ×3, first 2 shown]
	global_load_dwordx2 v[36:37], v[22:23], off
	ds_read_b128 v[22:25], v10
	ds_read_b128 v[26:29], v10 offset:16
	v_cmp_lt_i32_e64 s[4:5], v17, v18
	v_cndmask_b32_e64 v38, v16, v17, s[4:5]
	v_lshlrev_b32_e32 v38, 2, v38
	s_waitcnt lgkmcnt(1)
	v_lshlrev_b32_e32 v41, 16, v24
	v_and_b32_e32 v24, 0xffff0000, v24
	v_lshlrev_b32_e32 v39, 16, v22
	v_lshlrev_b32_e32 v42, 16, v25
	v_and_b32_e32 v22, 0xffff0000, v22
	v_lshlrev_b32_e32 v40, 16, v23
	s_waitcnt lgkmcnt(0)
	v_lshlrev_b32_e32 v43, 16, v26
	v_and_b32_e32 v25, 0xffff0000, v25
	v_and_b32_e32 v26, 0xffff0000, v26
	v_and_b32_e32 v23, 0xffff0000, v23
	v_lshlrev_b32_e32 v44, 16, v27
	v_lshlrev_b32_e32 v45, 16, v28
	v_and_b32_e32 v28, 0xffff0000, v28
	v_lshlrev_b32_e32 v46, 16, v29
	v_and_b32_e32 v27, 0xffff0000, v27
	v_and_b32_e32 v29, 0xffff0000, v29
	s_waitcnt vmcnt(3)
	v_lshlrev_b32_e32 v47, 16, v30
	v_and_b32_e32 v30, 0xffff0000, v30
	v_lshlrev_b32_e32 v50, 16, v31
	s_waitcnt vmcnt(0)
	v_lshlrev_b32_e32 v48, 16, v36
	v_and_b32_e32 v36, 0xffff0000, v36
	v_mul_f32_e32 v41, v41, v47
	v_mul_f32_e32 v24, v24, v30
	v_lshlrev_b32_e32 v49, 16, v37
	v_and_b32_e32 v31, 0xffff0000, v31
	v_lshlrev_b32_e32 v51, 16, v32
	v_and_b32_e32 v32, 0xffff0000, v32
	v_mul_f32_e32 v30, v42, v50
	v_fmac_f32_e32 v41, v39, v48
	v_fmac_f32_e32 v24, v22, v36
	v_and_b32_e32 v37, 0xffff0000, v37
	v_lshlrev_b32_e32 v52, 16, v33
	v_lshlrev_b32_e32 v53, 16, v34
	v_and_b32_e32 v34, 0xffff0000, v34
	v_mul_f32_e32 v25, v25, v31
	v_fmac_f32_e32 v30, v40, v49
	v_fmac_f32_e32 v41, v43, v51
	;; [unrolled: 1-line block ×3, first 2 shown]
	v_and_b32_e32 v33, 0xffff0000, v33
	v_lshlrev_b32_e32 v54, 16, v35
	v_fmac_f32_e32 v25, v23, v37
	v_fmac_f32_e32 v30, v44, v52
	;; [unrolled: 1-line block ×4, first 2 shown]
	v_and_b32_e32 v35, 0xffff0000, v35
	v_fmac_f32_e32 v25, v27, v33
	v_fmac_f32_e32 v30, v46, v54
	v_add_f32_e32 v22, v41, v24
	v_fmac_f32_e32 v25, v29, v35
	v_add_f32_e32 v22, v22, v30
	v_add_f32_e32 v22, v25, v22
	ds_bpermute_b32 v23, v38, v22
	s_and_saveexec_b64 s[38:39], vcc
	s_cbranch_execz .LBB144_11
; %bb.19:                               ;   in Loop: Header=BB144_13 Depth=1
	v_add_u32_e32 v24, v13, v12
	v_cvt_f32_i32_e32 v24, v24
	s_waitcnt lgkmcnt(0)
	v_add_f32_e32 v22, v22, v23
	v_add_u32_e32 v25, v6, v12
	v_cmp_gt_i32_e64 s[4:5], s11, v25
	v_mul_f32_e32 v23, s42, v24
	v_cndmask_b32_e64 v23, 0, v23, s[2:3]
	v_fmac_f32_e32 v23, s31, v22
	v_cndmask_b32_e64 v22, 0, v23, s[4:5]
	ds_write_b32 v14, v22
	v_max_f32_e32 v22, v8, v8
	v_max_f32_e32 v22, v22, v23
	v_cndmask_b32_e64 v8, v8, v22, s[4:5]
	s_branch .LBB144_11
.LBB144_20:
	s_or_b64 exec, exec, s[36:37]
.LBB144_21:
	s_or_b64 exec, exec, s[34:35]
	v_mbcnt_hi_u32_b32 v1, -1, v5
	v_and_b32_e32 v10, 64, v1
	v_add_u32_e32 v11, 64, v10
	v_xor_b32_e32 v2, 32, v1
	v_cmp_lt_i32_e32 vcc, v2, v11
	v_cndmask_b32_e32 v2, v1, v2, vcc
	v_lshlrev_b32_e32 v2, 2, v2
	ds_bpermute_b32 v5, v2, v8
	v_xor_b32_e32 v7, 16, v1
	v_max_f32_e32 v6, v8, v8
	v_cmp_lt_i32_e32 vcc, v7, v11
	v_xor_b32_e32 v8, 8, v1
	s_waitcnt lgkmcnt(0)
	v_max_f32_e32 v5, v5, v5
	v_max_f32_e32 v6, v6, v5
	v_cndmask_b32_e32 v5, v1, v7, vcc
	v_lshlrev_b32_e32 v5, 2, v5
	ds_bpermute_b32 v7, v5, v6
	v_cmp_lt_i32_e32 vcc, v8, v11
	v_xor_b32_e32 v9, 4, v1
	v_xor_b32_e32 v12, 2, v1
	v_and_b32_e32 v21, 63, v0
	s_waitcnt lgkmcnt(0)
	v_max_f32_e32 v7, v7, v7
	v_max_f32_e32 v7, v6, v7
	v_cndmask_b32_e32 v6, v1, v8, vcc
	v_lshlrev_b32_e32 v6, 2, v6
	ds_bpermute_b32 v8, v6, v7
	v_cmp_lt_i32_e32 vcc, v9, v11
	s_waitcnt lgkmcnt(0)
	v_max_f32_e32 v8, v8, v8
	v_max_f32_e32 v8, v7, v8
	v_cndmask_b32_e32 v7, v1, v9, vcc
	v_lshlrev_b32_e32 v7, 2, v7
	ds_bpermute_b32 v9, v7, v8
	v_cmp_lt_i32_e32 vcc, v12, v11
	s_waitcnt lgkmcnt(0)
	v_max_f32_e32 v9, v9, v9
	v_max_f32_e32 v9, v8, v9
	v_cndmask_b32_e32 v8, v1, v12, vcc
	v_lshlrev_b32_e32 v22, 2, v8
	ds_bpermute_b32 v12, v22, v9
	v_cmp_eq_u32_e32 vcc, 0, v21
	v_lshlrev_b32_e32 v8, 2, v19
	s_and_saveexec_b64 s[2:3], vcc
	s_cbranch_execz .LBB144_23
; %bb.22:
	s_waitcnt lgkmcnt(0)
	v_max_f32_e32 v12, v12, v12
	v_max_f32_e32 v9, v9, v9
	;; [unrolled: 1-line block ×3, first 2 shown]
	ds_write_b32 v8, v9 offset:64
.LBB144_23:
	s_or_b64 exec, exec, s[2:3]
	v_cmp_gt_u32_e64 s[2:3], 2, v21
	s_waitcnt lgkmcnt(0)
	v_mov_b32_e32 v12, 0xff7fffff
	v_lshlrev_b32_e32 v9, 2, v21
	s_barrier
	s_and_saveexec_b64 s[4:5], s[2:3]
; %bb.24:
	ds_read_b32 v12, v9 offset:64
; %bb.25:
	s_or_b64 exec, exec, s[4:5]
	v_xor_b32_e32 v13, 1, v1
	v_cmp_lt_i32_e64 s[4:5], v13, v11
	v_cndmask_b32_e64 v11, v1, v13, s[4:5]
	v_lshlrev_b32_e32 v23, 2, v11
	s_waitcnt lgkmcnt(0)
	ds_bpermute_b32 v11, v23, v12
	v_max_f32_e32 v12, v12, v12
	v_lshlrev_b32_e32 v10, 2, v10
	s_lshl_b32 s4, s41, 5
	s_min_i32 s15, s4, s11
	s_waitcnt lgkmcnt(0)
	v_max_f32_e32 v11, v11, v11
	v_max_f32_e32 v11, v12, v11
	ds_bpermute_b32 v11, v10, v11
	v_cmp_gt_i32_e64 s[4:5], s15, v0
	v_mov_b32_e32 v10, 0
	s_and_saveexec_b64 s[30:31], s[4:5]
	s_cbranch_execz .LBB144_29
; %bb.26:
	v_mov_b32_e32 v10, 0x50
	v_lshl_add_u32 v12, v0, 2, v10
	v_mov_b32_e32 v10, 0
	s_mov_b64 s[34:35], 0
	v_mov_b32_e32 v13, v0
.LBB144_27:                             ; =>This Inner Loop Header: Depth=1
	ds_read_b32 v14, v12
	v_add_u32_e32 v13, 0x80, v13
	v_cmp_le_i32_e64 s[6:7], s15, v13
	s_or_b64 s[34:35], s[6:7], s[34:35]
	s_waitcnt lgkmcnt(0)
	v_sub_f32_e32 v14, v14, v11
	v_mul_f32_e32 v14, 0x3fb8aa3b, v14
	v_exp_f32_e32 v14, v14
	ds_write_b32 v12, v14
	v_add_f32_e32 v10, v10, v14
	v_add_u32_e32 v12, 0x200, v12
	s_andn2_b64 exec, exec, s[34:35]
	s_cbranch_execnz .LBB144_27
; %bb.28:
	s_or_b64 exec, exec, s[34:35]
.LBB144_29:
	s_or_b64 exec, exec, s[30:31]
	ds_bpermute_b32 v2, v2, v10
	s_waitcnt lgkmcnt(0)
	v_add_f32_e32 v2, v10, v2
	ds_bpermute_b32 v5, v5, v2
	s_waitcnt lgkmcnt(0)
	v_add_f32_e32 v2, v2, v5
	ds_bpermute_b32 v5, v6, v2
	s_waitcnt lgkmcnt(0)
	v_add_f32_e32 v2, v2, v5
	ds_bpermute_b32 v5, v7, v2
	s_waitcnt lgkmcnt(0)
	v_add_f32_e32 v2, v2, v5
	ds_bpermute_b32 v5, v22, v2
	s_waitcnt lgkmcnt(0)
	v_add_f32_e32 v2, v2, v5
	ds_bpermute_b32 v5, v23, v2
	s_waitcnt lgkmcnt(0)
	v_add_f32_e32 v2, v2, v5
	s_and_saveexec_b64 s[6:7], vcc
; %bb.30:
	ds_write_b32 v8, v2 offset:72
; %bb.31:
	s_or_b64 exec, exec, s[6:7]
	s_waitcnt lgkmcnt(0)
	s_barrier
	s_and_saveexec_b64 s[6:7], s[2:3]
; %bb.32:
	ds_read_b32 v2, v9 offset:72
; %bb.33:
	s_or_b64 exec, exec, s[6:7]
	s_waitcnt lgkmcnt(0)
	ds_bpermute_b32 v5, v23, v2
	v_lshlrev_b32_e32 v1, 2, v1
	v_and_b32_e32 v1, 0x100, v1
	s_waitcnt lgkmcnt(0)
	v_add_f32_e32 v2, v2, v5
	ds_bpermute_b32 v1, v1, v2
	s_and_saveexec_b64 s[2:3], s[4:5]
	s_cbranch_execz .LBB144_36
; %bb.34:
	s_waitcnt lgkmcnt(0)
	v_add_f32_e32 v2, 0x358637bd, v1
	v_div_scale_f32 v1, s[4:5], v2, v2, 1.0
	v_div_scale_f32 v5, vcc, 1.0, v2, 1.0
	s_mov_b64 s[4:5], 0
	v_rcp_f32_e32 v6, v1
	v_fma_f32 v7, -v1, v6, 1.0
	v_fmac_f32_e32 v6, v7, v6
	v_mul_f32_e32 v7, v5, v6
	v_fma_f32 v8, -v1, v7, v5
	v_fmac_f32_e32 v7, v8, v6
	v_fma_f32 v1, -v1, v7, v5
	v_div_fmas_f32 v5, v1, v6, v7
	v_mov_b32_e32 v1, 0x50
	v_lshl_add_u32 v1, v0, 2, v1
	v_div_fixup_f32 v2, v5, v2, 1.0
	v_mov_b32_e32 v5, v0
.LBB144_35:                             ; =>This Inner Loop Header: Depth=1
	ds_read_b32 v6, v1
	v_add_u32_e32 v5, 0x80, v5
	v_cmp_le_i32_e32 vcc, s15, v5
	s_or_b64 s[4:5], vcc, s[4:5]
	s_waitcnt lgkmcnt(0)
	v_mul_f32_e32 v6, v2, v6
	ds_write_b32 v1, v6
	v_add_u32_e32 v1, 0x200, v1
	s_andn2_b64 exec, exec, s[4:5]
	s_cbranch_execnz .LBB144_35
.LBB144_36:
	s_or_b64 exec, exec, s[2:3]
	v_mov_b32_e32 v27, 0
	v_and_b32_e32 v24, 3, v0
	v_mov_b32_e32 v28, 0
	s_waitcnt lgkmcnt(0)
	s_barrier
	s_and_saveexec_b64 s[4:5], s[0:1]
	s_cbranch_execz .LBB144_46
; %bb.37:
	s_ashr_i32 s15, s14, 31
	s_sub_i32 s17, s12, s17
	s_lshl_b64 s[0:1], s[14:15], 1
	s_add_u32 s0, s28, s0
	s_addc_u32 s1, s29, s1
	s_abs_i32 s18, s18
	v_cvt_f32_u32_e32 v1, s18
	s_sub_i32 s2, 0, s18
	v_and_b32_e32 v25, 24, v3
	v_lshlrev_b32_e32 v2, 4, v0
	v_rcp_iflag_f32_e32 v1, v1
	v_and_b32_e32 v2, 0x3f0, v2
	s_add_i32 s30, s41, -1
	v_mov_b32_e32 v5, s1
	v_mul_f32_e32 v1, 0x4f7ffffe, v1
	v_cvt_u32_f32_e32 v1, v1
	v_add_co_u32_e32 v29, vcc, s0, v2
	s_lshl_b64 s[0:1], s[26:27], 2
	v_mul_lo_u32 v3, s2, v1
	v_addc_co_u32_e32 v30, vcc, 0, v5, vcc
	s_add_u32 s0, s24, s0
	v_mul_hi_u32 v3, v1, v3
	s_addc_u32 s1, s25, s1
	v_mov_b32_e32 v2, s1
	s_mov_b32 s28, s13
	v_add_u32_e32 v31, v1, v3
	v_and_b32_e32 v1, 60, v4
	v_add_co_u32_e32 v17, vcc, s0, v1
	v_lshlrev_b32_e32 v1, 5, v24
	v_lshl_or_b32 v1, v19, 7, v1
	v_mov_b32_e32 v26, 0
	s_mov_b32 s29, s11
	v_addc_co_u32_e32 v18, vcc, 0, v2, vcc
	v_add_u32_e32 v32, 0x50, v1
	s_mov_b64 s[6:7], 0
	s_mov_b32 s24, 0x5040100
	s_movk_i32 s25, 0x7fff
	v_mov_b32_e32 v28, 0
	v_mov_b32_e32 v27, 0
	s_branch .LBB144_40
.LBB144_38:                             ;   in Loop: Header=BB144_40 Depth=1
	s_or_b64 exec, exec, s[2:3]
	s_waitcnt lgkmcnt(1)
	v_bfe_u32 v33, v13, 16, 1
	v_add3_u32 v33, v33, v13, s25
	v_or_b32_e32 v34, 0x400000, v13
	v_cmp_u_f32_e32 vcc, v13, v13
	v_cndmask_b32_e32 v13, v33, v34, vcc
	v_bfe_u32 v33, v14, 16, 1
	v_add3_u32 v33, v33, v14, s25
	v_or_b32_e32 v34, 0x400000, v14
	v_cmp_u_f32_e32 vcc, v14, v14
	v_cndmask_b32_e32 v14, v33, v34, vcc
	;; [unrolled: 5-line block ×4, first 2 shown]
	s_waitcnt lgkmcnt(0)
	v_bfe_u32 v33, v9, 16, 1
	v_add3_u32 v33, v33, v9, s25
	v_or_b32_e32 v34, 0x400000, v9
	v_cmp_u_f32_e32 vcc, v9, v9
	v_cndmask_b32_e32 v9, v33, v34, vcc
	v_bfe_u32 v33, v10, 16, 1
	v_add3_u32 v33, v33, v10, s25
	v_or_b32_e32 v34, 0x400000, v10
	v_cmp_u_f32_e32 vcc, v10, v10
	v_cndmask_b32_e32 v10, v33, v34, vcc
	;; [unrolled: 5-line block ×4, first 2 shown]
	v_and_b32_e32 v13, 0xffff0000, v13
	s_waitcnt vmcnt(1)
	v_lshlrev_b32_e32 v33, 16, v5
	v_mul_f32_e32 v33, v13, v33
	v_bfe_u32 v34, v33, 16, 1
	v_and_b32_e32 v14, 0xffff0000, v14
	v_and_b32_e32 v5, 0xffff0000, v5
	v_add3_u32 v34, v34, v33, s25
	v_or_b32_e32 v35, 0x400000, v33
	v_cmp_u_f32_e32 vcc, v33, v33
	v_mul_f32_e32 v5, v14, v5
	v_cndmask_b32_e32 v33, v34, v35, vcc
	v_bfe_u32 v34, v5, 16, 1
	v_add3_u32 v34, v34, v5, s25
	v_or_b32_e32 v35, 0x400000, v5
	v_cmp_u_f32_e32 vcc, v5, v5
	v_cndmask_b32_e32 v5, v34, v35, vcc
	v_and_b32_e32 v15, 0xffff0000, v15
	v_lshlrev_b32_e32 v34, 16, v6
	v_mul_f32_e32 v34, v15, v34
	v_bfe_u32 v35, v34, 16, 1
	v_and_b32_e32 v16, 0xffff0000, v16
	v_and_b32_e32 v6, 0xffff0000, v6
	v_add3_u32 v35, v35, v34, s25
	v_or_b32_e32 v36, 0x400000, v34
	v_cmp_u_f32_e32 vcc, v34, v34
	v_mul_f32_e32 v6, v16, v6
	v_cndmask_b32_e32 v34, v35, v36, vcc
	v_bfe_u32 v35, v6, 16, 1
	v_add3_u32 v35, v35, v6, s25
	v_or_b32_e32 v36, 0x400000, v6
	v_cmp_u_f32_e32 vcc, v6, v6
	v_cndmask_b32_e32 v6, v35, v36, vcc
	v_and_b32_e32 v9, 0xffff0000, v9
	;; [unrolled: 16-line block ×3, first 2 shown]
	v_lshlrev_b32_e32 v36, 16, v8
	v_mul_f32_e32 v36, v11, v36
	v_bfe_u32 v37, v36, 16, 1
	v_and_b32_e32 v12, 0xffff0000, v12
	v_and_b32_e32 v8, 0xffff0000, v8
	;; [unrolled: 1-line block ×4, first 2 shown]
	v_add3_u32 v37, v37, v36, s25
	v_or_b32_e32 v38, 0x400000, v36
	v_cmp_u_f32_e32 vcc, v36, v36
	v_mul_f32_e32 v8, v12, v8
	v_add_f32_e32 v5, v33, v5
	v_and_b32_e32 v6, 0xffff0000, v6
	v_and_b32_e32 v33, 0xffff0000, v34
	v_cndmask_b32_e32 v36, v37, v38, vcc
	v_bfe_u32 v37, v8, 16, 1
	v_add_f32_e32 v6, v33, v6
	v_add3_u32 v37, v37, v8, s25
	v_or_b32_e32 v38, 0x400000, v8
	v_cmp_u_f32_e32 vcc, v8, v8
	v_add_f32_e32 v5, v6, v5
	v_and_b32_e32 v6, 0xffff0000, v7
	v_and_b32_e32 v7, 0xffff0000, v35
	v_cndmask_b32_e32 v8, v37, v38, vcc
	v_add_f32_e32 v6, v7, v6
	v_add_f32_e32 v5, v6, v5
	v_and_b32_e32 v6, 0xffff0000, v8
	v_and_b32_e32 v7, 0xffff0000, v36
	v_add_f32_e32 v6, v7, v6
	v_add_f32_e32 v5, v6, v5
	;; [unrolled: 1-line block ×3, first 2 shown]
	s_waitcnt vmcnt(0)
	v_lshlrev_b32_e32 v5, 16, v1
	v_mul_f32_e32 v5, v13, v5
	v_bfe_u32 v6, v5, 16, 1
	v_and_b32_e32 v1, 0xffff0000, v1
	v_add3_u32 v6, v6, v5, s25
	v_or_b32_e32 v7, 0x400000, v5
	v_cmp_u_f32_e32 vcc, v5, v5
	v_mul_f32_e32 v1, v14, v1
	v_cndmask_b32_e32 v5, v6, v7, vcc
	v_bfe_u32 v6, v1, 16, 1
	v_add3_u32 v6, v6, v1, s25
	v_or_b32_e32 v7, 0x400000, v1
	v_cmp_u_f32_e32 vcc, v1, v1
	v_cndmask_b32_e32 v1, v6, v7, vcc
	v_lshlrev_b32_e32 v6, 16, v2
	v_mul_f32_e32 v6, v15, v6
	v_bfe_u32 v7, v6, 16, 1
	v_and_b32_e32 v2, 0xffff0000, v2
	v_add3_u32 v7, v7, v6, s25
	v_or_b32_e32 v8, 0x400000, v6
	v_cmp_u_f32_e32 vcc, v6, v6
	v_mul_f32_e32 v2, v16, v2
	v_cndmask_b32_e32 v6, v7, v8, vcc
	v_bfe_u32 v7, v2, 16, 1
	v_add3_u32 v7, v7, v2, s25
	v_or_b32_e32 v8, 0x400000, v2
	v_cmp_u_f32_e32 vcc, v2, v2
	v_cndmask_b32_e32 v2, v7, v8, vcc
	;; [unrolled: 14-line block ×3, first 2 shown]
	v_lshlrev_b32_e32 v8, 16, v4
	v_mul_f32_e32 v8, v11, v8
	v_bfe_u32 v9, v8, 16, 1
	v_and_b32_e32 v4, 0xffff0000, v4
	v_and_b32_e32 v1, 0xffff0000, v1
	;; [unrolled: 1-line block ×3, first 2 shown]
	v_add3_u32 v9, v9, v8, s25
	v_or_b32_e32 v10, 0x400000, v8
	v_cmp_u_f32_e32 vcc, v8, v8
	v_mul_f32_e32 v4, v12, v4
	v_add_f32_e32 v1, v5, v1
	v_and_b32_e32 v2, 0xffff0000, v2
	v_and_b32_e32 v5, 0xffff0000, v6
	v_cndmask_b32_e32 v8, v9, v10, vcc
	v_bfe_u32 v9, v4, 16, 1
	v_add_f32_e32 v2, v5, v2
	v_add3_u32 v9, v9, v4, s25
	v_or_b32_e32 v10, 0x400000, v4
	v_cmp_u_f32_e32 vcc, v4, v4
	v_add_f32_e32 v1, v2, v1
	v_and_b32_e32 v2, 0xffff0000, v3
	v_and_b32_e32 v3, 0xffff0000, v7
	v_cndmask_b32_e32 v4, v9, v10, vcc
	v_add_f32_e32 v2, v3, v2
	v_add_f32_e32 v1, v2, v1
	v_and_b32_e32 v2, 0xffff0000, v4
	v_and_b32_e32 v3, 0xffff0000, v8
	v_add_f32_e32 v2, v3, v2
	v_add_f32_e32 v1, v2, v1
	;; [unrolled: 1-line block ×3, first 2 shown]
.LBB144_39:                             ;   in Loop: Header=BB144_40 Depth=1
	s_or_b64 exec, exec, s[12:13]
	v_add_co_u32_e32 v17, vcc, 8, v17
	v_add_u32_e32 v19, 2, v19
	v_addc_co_u32_e32 v18, vcc, 0, v18, vcc
	v_cmp_le_i32_e32 vcc, s41, v19
	v_add_u32_e32 v20, 64, v20
	s_or_b64 s[6:7], vcc, s[6:7]
	v_add_u32_e32 v32, 0x100, v32
	s_andn2_b64 exec, exec, s[6:7]
	s_cbranch_execz .LBB144_45
.LBB144_40:                             ; =>This Inner Loop Header: Depth=1
	v_mul_hi_u32 v1, v20, s33
	v_mul_lo_u32 v2, v1, s21
	v_add_u32_e32 v3, 1, v1
	v_sub_u32_e32 v2, v20, v2
	v_cmp_le_u32_e32 vcc, s21, v2
	v_cndmask_b32_e32 v1, v1, v3, vcc
	v_subrev_u32_e32 v3, s21, v2
	v_cndmask_b32_e32 v2, v2, v3, vcc
	v_add_u32_e32 v3, 1, v1
	v_cmp_le_u32_e32 vcc, s21, v2
	v_cndmask_b32_e32 v1, v1, v3, vcc
	v_xor_b32_e32 v1, s19, v1
	v_subrev_u32_e32 v1, s19, v1
	v_add_u32_e32 v2, s40, v1
	v_sub_u32_e32 v3, 0, v2
	v_max_i32_e32 v3, v2, v3
	v_mul_hi_u32 v4, v3, v31
	v_ashrrev_i32_e32 v2, 31, v2
	v_cmp_lt_i32_e64 s[0:1], s17, v1
	v_mul_lo_u32 v4, v4, s18
	v_sub_u32_e32 v3, v3, v4
	v_subrev_u32_e32 v4, s18, v3
	v_cmp_le_u32_e32 vcc, s18, v3
	v_cndmask_b32_e32 v3, v3, v4, vcc
	v_subrev_u32_e32 v4, s18, v3
	v_cmp_le_u32_e32 vcc, s18, v3
	v_cndmask_b32_e32 v3, v3, v4, vcc
	v_xor_b32_e32 v3, v3, v2
	v_sub_u32_e32 v2, v3, v2
	v_cmp_eq_u32_e32 vcc, 0, v2
	s_or_b64 s[0:1], vcc, s[0:1]
	s_and_saveexec_b64 s[12:13], s[0:1]
	s_cbranch_execz .LBB144_39
; %bb.41:                               ;   in Loop: Header=BB144_40 Depth=1
	global_load_dword v1, v[17:18], off
	v_add_u32_e32 v35, v25, v20
	v_add_u32_e32 v40, 1, v35
	v_or_b32_e32 v38, 3, v35
	v_or_b32_e32 v39, 2, v35
	;; [unrolled: 1-line block ×6, first 2 shown]
	s_waitcnt vmcnt(0)
	v_mad_i64_i32 v[1:2], s[0:1], v1, s28, 0
	v_cmp_eq_u32_e64 s[0:1], s30, v19
	v_lshlrev_b64 v[1:2], 1, v[1:2]
	v_add_co_u32_e32 v1, vcc, v29, v1
	v_addc_co_u32_e32 v2, vcc, v30, v2, vcc
	global_load_dwordx4 v[5:8], v[1:2], off
	ds_read2_b64 v[13:16], v32 offset1:1
	ds_read2_b64 v[9:12], v32 offset0:2 offset1:3
	s_and_saveexec_b64 s[14:15], s[0:1]
	s_cbranch_execz .LBB144_43
; %bb.42:                               ;   in Loop: Header=BB144_40 Depth=1
	v_cmp_gt_i32_e32 vcc, s29, v40
	s_waitcnt vmcnt(0)
	v_cndmask_b32_sdwa v3, v26, v5, vcc dst_sel:DWORD dst_unused:UNUSED_PAD src0_sel:DWORD src1_sel:WORD_1
	v_cmp_gt_i32_e32 vcc, s11, v35
	v_cndmask_b32_e32 v4, 0, v5, vcc
	v_cmp_gt_i32_e32 vcc, s29, v38
	v_cmp_gt_i32_e64 s[2:3], s11, v39
	v_perm_b32 v5, v3, v4, s24
	v_cndmask_b32_e64 v3, 0, v6, s[2:3]
	v_cndmask_b32_sdwa v4, v26, v6, vcc dst_sel:DWORD dst_unused:UNUSED_PAD src0_sel:DWORD src1_sel:WORD_1
	v_cmp_gt_i32_e32 vcc, s29, v36
	v_cmp_gt_i32_e64 s[2:3], s11, v37
	v_perm_b32 v6, v4, v3, s24
	v_cndmask_b32_e64 v3, 0, v7, s[2:3]
	v_cndmask_b32_sdwa v4, v26, v7, vcc dst_sel:DWORD dst_unused:UNUSED_PAD src0_sel:DWORD src1_sel:WORD_1
	;; [unrolled: 5-line block ×3, first 2 shown]
	v_perm_b32 v8, v4, v3, s24
.LBB144_43:                             ;   in Loop: Header=BB144_40 Depth=1
	s_or_b64 exec, exec, s[14:15]
	global_load_dwordx4 v[1:4], v[1:2], off offset:1024
	s_and_saveexec_b64 s[2:3], s[0:1]
	s_cbranch_execz .LBB144_38
; %bb.44:                               ;   in Loop: Header=BB144_40 Depth=1
	v_cmp_gt_i32_e32 vcc, s29, v40
	s_waitcnt vmcnt(0)
	v_cndmask_b32_sdwa v40, v26, v1, vcc dst_sel:DWORD dst_unused:UNUSED_PAD src0_sel:DWORD src1_sel:WORD_1
	v_cmp_gt_i32_e32 vcc, s11, v35
	v_cndmask_b32_e32 v1, 0, v1, vcc
	v_cmp_gt_i32_e32 vcc, s29, v38
	v_cmp_gt_i32_e64 s[0:1], s11, v39
	v_cndmask_b32_e64 v35, 0, v2, s[0:1]
	v_cndmask_b32_sdwa v2, v26, v2, vcc dst_sel:DWORD dst_unused:UNUSED_PAD src0_sel:DWORD src1_sel:WORD_1
	v_cmp_gt_i32_e32 vcc, s29, v36
	v_cmp_gt_i32_e64 s[0:1], s11, v37
	v_perm_b32 v2, v2, v35, s24
	v_cndmask_b32_e64 v35, 0, v3, s[0:1]
	v_cndmask_b32_sdwa v3, v26, v3, vcc dst_sel:DWORD dst_unused:UNUSED_PAD src0_sel:DWORD src1_sel:WORD_1
	v_cmp_gt_i32_e32 vcc, s29, v33
	v_cmp_gt_i32_e64 s[0:1], s11, v34
	v_cndmask_b32_e64 v33, 0, v4, s[0:1]
	v_cndmask_b32_sdwa v4, v26, v4, vcc dst_sel:DWORD dst_unused:UNUSED_PAD src0_sel:DWORD src1_sel:WORD_1
	v_perm_b32 v1, v40, v1, s24
	v_perm_b32 v3, v3, v35, s24
	;; [unrolled: 1-line block ×3, first 2 shown]
	s_branch .LBB144_38
.LBB144_45:
	s_or_b64 exec, exec, s[6:7]
.LBB144_46:
	s_or_b64 exec, exec, s[4:5]
	ds_bpermute_b32 v1, v22, v28
	ds_bpermute_b32 v2, v22, v27
	v_and_b32_e32 v3, 0x3c3, v0
	v_cmp_eq_u32_e32 vcc, 64, v3
	s_waitcnt lgkmcnt(0)
	v_add_f32_e32 v1, v28, v1
	v_add_f32_e32 v4, v27, v2
	ds_bpermute_b32 v2, v23, v1
	ds_bpermute_b32 v5, v23, v4
	s_waitcnt lgkmcnt(0)
	s_barrier
	v_add_f32_e32 v2, v1, v2
	v_add_f32_e32 v1, v4, v5
	s_and_saveexec_b64 s[0:1], vcc
; %bb.47:
	v_add_u32_e32 v4, 0x50, v21
	ds_write2_b32 v4, v2, v1 offset1:16
; %bb.48:
	s_or_b64 exec, exec, s[0:1]
	v_cmp_gt_u32_e32 vcc, 64, v0
	v_lshrrev_b32_e32 v0, 2, v0
	s_waitcnt lgkmcnt(0)
	s_barrier
	s_and_saveexec_b64 s[0:1], vcc
	s_cbranch_execz .LBB144_54
; %bb.49:
	v_mov_b32_e32 v4, 0x50
	v_cmp_eq_u32_e32 vcc, 0, v24
	v_lshl_add_u32 v4, v0, 2, v4
	s_and_saveexec_b64 s[2:3], vcc
	s_cbranch_execz .LBB144_51
; %bb.50:
	ds_read_b32 v5, v4
	s_waitcnt lgkmcnt(0)
	v_add_f32_e32 v2, v2, v5
.LBB144_51:
	s_or_b64 exec, exec, s[2:3]
	s_and_saveexec_b64 s[2:3], vcc
	s_cbranch_execz .LBB144_53
; %bb.52:
	ds_read_b32 v4, v4 offset:64
	s_waitcnt lgkmcnt(0)
	v_add_f32_e32 v1, v1, v4
.LBB144_53:
	s_or_b64 exec, exec, s[2:3]
.LBB144_54:
	s_or_b64 exec, exec, s[0:1]
	v_cmp_eq_u32_e32 vcc, 0, v3
	s_barrier
	s_and_saveexec_b64 s[0:1], vcc
	s_cbranch_execz .LBB144_56
; %bb.55:
	s_mul_i32 s0, s10, s16
	s_mul_i32 s0, s0, s9
	s_lshl_b32 s0, s0, 5
	s_ashr_i32 s1, s0, 31
	s_lshl_b64 s[0:1], s[0:1], 1
	s_add_u32 s2, s22, s0
	s_mul_i32 s0, s16, s20
	s_addc_u32 s3, s23, s1
	s_ashr_i32 s1, s0, 31
	s_lshl_b64 s[0:1], s[0:1], 1
	s_add_u32 s2, s2, s0
	s_addc_u32 s3, s3, s1
	s_lshl_b32 s0, s8, 5
	s_ashr_i32 s1, s0, 31
	s_lshl_b64 s[0:1], s[0:1], 1
	s_add_u32 s0, s2, s0
	v_bfe_u32 v3, v2, 16, 1
	s_movk_i32 s2, 0x7fff
	v_add3_u32 v3, v3, v2, s2
	v_or_b32_e32 v4, 0x400000, v2
	v_cmp_u_f32_e32 vcc, v2, v2
	s_addc_u32 s1, s3, s1
	v_cndmask_b32_e32 v2, v3, v4, vcc
	v_lshlrev_b32_e32 v0, 1, v0
	global_store_short_d16_hi v0, v2, s[0:1]
	v_bfe_u32 v2, v1, 16, 1
	v_add3_u32 v2, v2, v1, s2
	v_or_b32_e32 v3, 0x400000, v1
	v_cmp_u_f32_e32 vcc, v1, v1
	v_cndmask_b32_e32 v1, v2, v3, vcc
	global_store_short_d16_hi v0, v1, s[0:1] offset:32
.LBB144_56:
	s_endpgm
	.section	.rodata,"a",@progbits
	.p2align	6, 0x0
	.amdhsa_kernel _ZN4vllm25paged_attention_v1_kernelI14__hip_bfloat16S1_Li32ELi32ELi128ELNS_18Fp8KVCacheDataTypeE0ELb1EEEvPT_PKS3_PKT0_S9_ifPKiSB_iPKfiiiSD_SD_iiiii
		.amdhsa_group_segment_fixed_size 80
		.amdhsa_private_segment_fixed_size 0
		.amdhsa_kernarg_size 384
		.amdhsa_user_sgpr_count 6
		.amdhsa_user_sgpr_private_segment_buffer 1
		.amdhsa_user_sgpr_dispatch_ptr 0
		.amdhsa_user_sgpr_queue_ptr 0
		.amdhsa_user_sgpr_kernarg_segment_ptr 1
		.amdhsa_user_sgpr_dispatch_id 0
		.amdhsa_user_sgpr_flat_scratch_init 0
		.amdhsa_user_sgpr_private_segment_size 0
		.amdhsa_uses_dynamic_stack 0
		.amdhsa_system_sgpr_private_segment_wavefront_offset 0
		.amdhsa_system_sgpr_workgroup_id_x 1
		.amdhsa_system_sgpr_workgroup_id_y 1
		.amdhsa_system_sgpr_workgroup_id_z 1
		.amdhsa_system_sgpr_workgroup_info 0
		.amdhsa_system_vgpr_workitem_id 0
		.amdhsa_next_free_vgpr 55
		.amdhsa_next_free_sgpr 44
		.amdhsa_reserve_vcc 1
		.amdhsa_reserve_flat_scratch 0
		.amdhsa_float_round_mode_32 0
		.amdhsa_float_round_mode_16_64 0
		.amdhsa_float_denorm_mode_32 3
		.amdhsa_float_denorm_mode_16_64 3
		.amdhsa_dx10_clamp 1
		.amdhsa_ieee_mode 1
		.amdhsa_fp16_overflow 0
		.amdhsa_exception_fp_ieee_invalid_op 0
		.amdhsa_exception_fp_denorm_src 0
		.amdhsa_exception_fp_ieee_div_zero 0
		.amdhsa_exception_fp_ieee_overflow 0
		.amdhsa_exception_fp_ieee_underflow 0
		.amdhsa_exception_fp_ieee_inexact 0
		.amdhsa_exception_int_div_zero 0
	.end_amdhsa_kernel
	.section	.text._ZN4vllm25paged_attention_v1_kernelI14__hip_bfloat16S1_Li32ELi32ELi128ELNS_18Fp8KVCacheDataTypeE0ELb1EEEvPT_PKS3_PKT0_S9_ifPKiSB_iPKfiiiSD_SD_iiiii,"axG",@progbits,_ZN4vllm25paged_attention_v1_kernelI14__hip_bfloat16S1_Li32ELi32ELi128ELNS_18Fp8KVCacheDataTypeE0ELb1EEEvPT_PKS3_PKT0_S9_ifPKiSB_iPKfiiiSD_SD_iiiii,comdat
.Lfunc_end144:
	.size	_ZN4vllm25paged_attention_v1_kernelI14__hip_bfloat16S1_Li32ELi32ELi128ELNS_18Fp8KVCacheDataTypeE0ELb1EEEvPT_PKS3_PKT0_S9_ifPKiSB_iPKfiiiSD_SD_iiiii, .Lfunc_end144-_ZN4vllm25paged_attention_v1_kernelI14__hip_bfloat16S1_Li32ELi32ELi128ELNS_18Fp8KVCacheDataTypeE0ELb1EEEvPT_PKS3_PKT0_S9_ifPKiSB_iPKfiiiSD_SD_iiiii
                                        ; -- End function
	.set _ZN4vllm25paged_attention_v1_kernelI14__hip_bfloat16S1_Li32ELi32ELi128ELNS_18Fp8KVCacheDataTypeE0ELb1EEEvPT_PKS3_PKT0_S9_ifPKiSB_iPKfiiiSD_SD_iiiii.num_vgpr, 55
	.set _ZN4vllm25paged_attention_v1_kernelI14__hip_bfloat16S1_Li32ELi32ELi128ELNS_18Fp8KVCacheDataTypeE0ELb1EEEvPT_PKS3_PKT0_S9_ifPKiSB_iPKfiiiSD_SD_iiiii.num_agpr, 0
	.set _ZN4vllm25paged_attention_v1_kernelI14__hip_bfloat16S1_Li32ELi32ELi128ELNS_18Fp8KVCacheDataTypeE0ELb1EEEvPT_PKS3_PKT0_S9_ifPKiSB_iPKfiiiSD_SD_iiiii.numbered_sgpr, 44
	.set _ZN4vllm25paged_attention_v1_kernelI14__hip_bfloat16S1_Li32ELi32ELi128ELNS_18Fp8KVCacheDataTypeE0ELb1EEEvPT_PKS3_PKT0_S9_ifPKiSB_iPKfiiiSD_SD_iiiii.num_named_barrier, 0
	.set _ZN4vllm25paged_attention_v1_kernelI14__hip_bfloat16S1_Li32ELi32ELi128ELNS_18Fp8KVCacheDataTypeE0ELb1EEEvPT_PKS3_PKT0_S9_ifPKiSB_iPKfiiiSD_SD_iiiii.private_seg_size, 0
	.set _ZN4vllm25paged_attention_v1_kernelI14__hip_bfloat16S1_Li32ELi32ELi128ELNS_18Fp8KVCacheDataTypeE0ELb1EEEvPT_PKS3_PKT0_S9_ifPKiSB_iPKfiiiSD_SD_iiiii.uses_vcc, 1
	.set _ZN4vllm25paged_attention_v1_kernelI14__hip_bfloat16S1_Li32ELi32ELi128ELNS_18Fp8KVCacheDataTypeE0ELb1EEEvPT_PKS3_PKT0_S9_ifPKiSB_iPKfiiiSD_SD_iiiii.uses_flat_scratch, 0
	.set _ZN4vllm25paged_attention_v1_kernelI14__hip_bfloat16S1_Li32ELi32ELi128ELNS_18Fp8KVCacheDataTypeE0ELb1EEEvPT_PKS3_PKT0_S9_ifPKiSB_iPKfiiiSD_SD_iiiii.has_dyn_sized_stack, 0
	.set _ZN4vllm25paged_attention_v1_kernelI14__hip_bfloat16S1_Li32ELi32ELi128ELNS_18Fp8KVCacheDataTypeE0ELb1EEEvPT_PKS3_PKT0_S9_ifPKiSB_iPKfiiiSD_SD_iiiii.has_recursion, 0
	.set _ZN4vllm25paged_attention_v1_kernelI14__hip_bfloat16S1_Li32ELi32ELi128ELNS_18Fp8KVCacheDataTypeE0ELb1EEEvPT_PKS3_PKT0_S9_ifPKiSB_iPKfiiiSD_SD_iiiii.has_indirect_call, 0
	.section	.AMDGPU.csdata,"",@progbits
; Kernel info:
; codeLenInByte = 5068
; TotalNumSgprs: 48
; NumVgprs: 55
; ScratchSize: 0
; MemoryBound: 0
; FloatMode: 240
; IeeeMode: 1
; LDSByteSize: 80 bytes/workgroup (compile time only)
; SGPRBlocks: 5
; VGPRBlocks: 13
; NumSGPRsForWavesPerEU: 48
; NumVGPRsForWavesPerEU: 55
; Occupancy: 4
; WaveLimiterHint : 1
; COMPUTE_PGM_RSRC2:SCRATCH_EN: 0
; COMPUTE_PGM_RSRC2:USER_SGPR: 6
; COMPUTE_PGM_RSRC2:TRAP_HANDLER: 0
; COMPUTE_PGM_RSRC2:TGID_X_EN: 1
; COMPUTE_PGM_RSRC2:TGID_Y_EN: 1
; COMPUTE_PGM_RSRC2:TGID_Z_EN: 1
; COMPUTE_PGM_RSRC2:TIDIG_COMP_CNT: 0
	.section	.text._ZN4vllm25paged_attention_v1_kernelI14__hip_bfloat16S1_Li64ELi32ELi128ELNS_18Fp8KVCacheDataTypeE0ELb1EEEvPT_PKS3_PKT0_S9_ifPKiSB_iPKfiiiSD_SD_iiiii,"axG",@progbits,_ZN4vllm25paged_attention_v1_kernelI14__hip_bfloat16S1_Li64ELi32ELi128ELNS_18Fp8KVCacheDataTypeE0ELb1EEEvPT_PKS3_PKT0_S9_ifPKiSB_iPKfiiiSD_SD_iiiii,comdat
	.protected	_ZN4vllm25paged_attention_v1_kernelI14__hip_bfloat16S1_Li64ELi32ELi128ELNS_18Fp8KVCacheDataTypeE0ELb1EEEvPT_PKS3_PKT0_S9_ifPKiSB_iPKfiiiSD_SD_iiiii ; -- Begin function _ZN4vllm25paged_attention_v1_kernelI14__hip_bfloat16S1_Li64ELi32ELi128ELNS_18Fp8KVCacheDataTypeE0ELb1EEEvPT_PKS3_PKT0_S9_ifPKiSB_iPKfiiiSD_SD_iiiii
	.globl	_ZN4vllm25paged_attention_v1_kernelI14__hip_bfloat16S1_Li64ELi32ELi128ELNS_18Fp8KVCacheDataTypeE0ELb1EEEvPT_PKS3_PKT0_S9_ifPKiSB_iPKfiiiSD_SD_iiiii
	.p2align	8
	.type	_ZN4vllm25paged_attention_v1_kernelI14__hip_bfloat16S1_Li64ELi32ELi128ELNS_18Fp8KVCacheDataTypeE0ELb1EEEvPT_PKS3_PKT0_S9_ifPKiSB_iPKfiiiSD_SD_iiiii,@function
_ZN4vllm25paged_attention_v1_kernelI14__hip_bfloat16S1_Li64ELi32ELi128ELNS_18Fp8KVCacheDataTypeE0ELb1EEEvPT_PKS3_PKT0_S9_ifPKiSB_iPKfiiiSD_SD_iiiii: ; @_ZN4vllm25paged_attention_v1_kernelI14__hip_bfloat16S1_Li64ELi32ELi128ELNS_18Fp8KVCacheDataTypeE0ELb1EEEvPT_PKS3_PKT0_S9_ifPKiSB_iPKfiiiSD_SD_iiiii
; %bb.0:
	s_load_dword s9, s[4:5], 0x80
	s_load_dwordx2 s[0:1], s[4:5], 0x30
	s_load_dwordx2 s[30:31], s[4:5], 0x20
	s_mov_b32 s10, s7
	s_ashr_i32 s11, s7, 31
	s_lshl_b64 s[2:3], s[10:11], 2
	s_waitcnt lgkmcnt(0)
	s_add_u32 s0, s0, s2
	s_addc_u32 s1, s1, s3
	s_abs_i32 s2, s30
	v_cvt_f32_u32_e32 v1, s2
	s_sub_i32 s11, 0, s2
	s_abs_i32 s7, s9
	s_xor_b32 s3, s9, s30
	v_rcp_iflag_f32_e32 v1, v1
	s_ashr_i32 s3, s3, 31
	s_mov_b32 s42, 0
	v_mul_f32_e32 v1, 0x4f7ffffe, v1
	v_cvt_u32_f32_e32 v1, v1
	v_readfirstlane_b32 s12, v1
	s_mul_i32 s11, s11, s12
	s_mul_hi_u32 s11, s12, s11
	s_add_i32 s12, s12, s11
	s_mul_hi_u32 s11, s7, s12
	s_mul_i32 s12, s11, s2
	s_sub_i32 s7, s7, s12
	s_add_i32 s12, s11, 1
	s_sub_i32 s13, s7, s2
	s_cmp_ge_u32 s7, s2
	s_cselect_b32 s11, s12, s11
	s_cselect_b32 s7, s13, s7
	s_add_i32 s12, s11, 1
	s_cmp_ge_u32 s7, s2
	s_cselect_b32 s2, s12, s11
	s_xor_b32 s2, s2, s3
	s_sub_i32 s12, s2, s3
	s_abs_i32 s11, s12
	v_cvt_f32_u32_e32 v1, s11
	s_load_dwordx2 s[2:3], s[4:5], 0x40
	s_sub_i32 s7, 0, s11
	s_abs_i32 s22, s6
	v_rcp_iflag_f32_e32 v1, v1
	v_mul_f32_e32 v1, 0x4f7ffffe, v1
	v_cvt_u32_f32_e32 v1, v1
	v_readfirstlane_b32 s13, v1
	s_mul_i32 s7, s7, s13
	s_mul_hi_u32 s7, s13, s7
	s_add_i32 s13, s13, s7
	s_waitcnt lgkmcnt(0)
	s_cmp_eq_u64 s[2:3], 0
	s_mul_hi_u32 s23, s22, s13
	s_cbranch_scc1 .LBB145_2
; %bb.1:
	s_ashr_i32 s7, s6, 31
	s_lshl_b64 s[14:15], s[6:7], 2
	s_add_u32 s2, s2, s14
	s_addc_u32 s3, s3, s15
	s_load_dword s42, s[2:3], 0x0
.LBB145_2:
	s_load_dword s33, s[0:1], 0x0
	s_ashr_i32 s7, s12, 31
	s_load_dwordx4 s[12:15], s[4:5], 0x48
	s_ashr_i32 s2, s6, 31
	v_and_b32_e32 v1, 1, v0
	s_lshl_b32 s20, s6, 6
	v_cmp_gt_u32_e32 vcc, 16, v0
	v_lshlrev_b32_e32 v9, 3, v0
	s_and_saveexec_b64 s[0:1], vcc
	s_cbranch_execz .LBB145_4
; %bb.3:
	s_load_dwordx2 s[16:17], s[4:5], 0x8
	s_waitcnt lgkmcnt(0)
	s_mul_i32 s18, s12, s10
	s_ashr_i32 s19, s18, 31
	s_lshl_b64 s[18:19], s[18:19], 1
	v_lshlrev_b32_e32 v4, 2, v0
	s_add_u32 s3, s16, s18
	s_addc_u32 s12, s17, s19
	s_ashr_i32 s21, s20, 31
	s_lshl_b64 s[16:17], s[20:21], 1
	s_add_u32 s16, s3, s16
	s_addc_u32 s17, s12, s17
	global_load_dwordx2 v[2:3], v9, s[16:17]
	v_and_b32_e32 v4, 0xff8, v4
	v_lshl_add_u32 v4, v1, 6, v4
	s_waitcnt vmcnt(0)
	ds_write_b64 v4, v[2:3]
.LBB145_4:
	s_or_b64 exec, exec, s[0:1]
	s_mul_i32 s1, s23, s11
	s_sub_i32 s1, s22, s1
	s_xor_b32 s0, s2, s7
	s_add_i32 s2, s23, 1
	s_sub_i32 s7, s1, s11
	s_load_dwordx4 s[16:19], s[4:5], 0x68
	s_load_dword s3, s[4:5], 0x78
	s_cmp_ge_u32 s1, s11
	s_cselect_b32 s2, s2, s23
	s_cselect_b32 s1, s7, s1
	s_add_i32 s7, s2, 1
	s_cmp_ge_u32 s1, s11
	s_cselect_b32 s1, s7, s2
	s_waitcnt lgkmcnt(0)
	s_abs_i32 s21, s19
	v_cvt_f32_u32_e32 v2, s21
	s_xor_b32 s1, s1, s0
	s_sub_i32 s2, s1, s0
	s_sub_i32 s0, 0, s21
	v_rcp_iflag_f32_e32 v2, v2
	s_add_i32 s11, s33, -1
	s_abs_i32 s7, s11
	v_mul_f32_e32 v2, 0x4f7ffffe, v2
	v_cvt_u32_f32_e32 v2, v2
	s_barrier
	v_readfirstlane_b32 s40, v2
	s_mul_i32 s0, s0, s40
	s_mul_hi_u32 s0, s40, s0
	s_add_i32 s40, s40, s0
	s_cmp_lt_i32 s3, 0
	s_mul_hi_u32 s12, s7, s40
	s_cbranch_scc0 .LBB145_6
; %bb.5:
	s_mul_i32 s0, s16, s30
	s_add_i32 s0, s2, s0
	s_mul_i32 s0, s0, s3
	s_sub_i32 s41, 1, s0
	s_mov_b64 s[0:1], 0
	s_branch .LBB145_7
.LBB145_6:
	s_mov_b64 s[0:1], -1
                                        ; implicit-def: $sgpr41
.LBB145_7:
	s_load_dwordx2 s[24:25], s[4:5], 0x28
	s_ashr_i32 s15, s11, 31
	s_andn2_b64 vcc, exec, s[0:1]
	s_ashr_i32 s19, s19, 31
	s_cbranch_vccnz .LBB145_9
; %bb.8:
	s_mul_i32 s0, s9, s16
	s_add_i32 s0, s0, s6
	s_mul_i32 s0, s0, s3
	s_add_i32 s41, s0, 1
.LBB145_9:
	s_load_dword s0, s[4:5], 0x38
	s_load_dwordx2 s[22:23], s[4:5], 0x0
	s_load_dwordx2 s[28:29], s[4:5], 0x18
	s_load_dword s11, s[4:5], 0x88
	s_xor_b32 s1, s15, s19
	s_waitcnt lgkmcnt(0)
	s_mul_i32 s26, s0, s10
	s_mul_i32 s0, s12, s21
	s_sub_i32 s0, s7, s0
	s_ashr_i32 s27, s26, 31
	s_add_i32 s3, s12, 1
	s_sub_i32 s6, s0, s21
	s_cmp_ge_u32 s0, s21
	s_cselect_b32 s3, s3, s12
	s_cselect_b32 s0, s6, s0
	s_add_i32 s6, s3, 1
	s_cmp_ge_u32 s0, s21
	s_cselect_b32 s0, s6, s3
	s_xor_b32 s0, s0, s1
	s_sub_i32 s12, s0, s1
	s_add_i32 s0, s33, 31
	s_ashr_i32 s1, s0, 31
	s_lshr_b32 s1, s1, 27
	s_add_i32 s0, s0, s1
	s_ashr_i32 s16, s0, 5
	v_lshrrev_b32_e32 v27, 6, v0
	v_cmp_gt_i32_e64 s[0:1], s16, v27
	v_mov_b32_e32 v14, 0xff7fffff
	s_mul_i32 s14, s2, s14
	v_lshrrev_b32_e32 v10, 4, v0
	v_lshlrev_b32_e32 v28, 5, v27
	v_mbcnt_lo_u32_b32 v11, -1, 0
	s_and_saveexec_b64 s[34:35], s[0:1]
	s_cbranch_execz .LBB145_21
; %bb.10:
	s_load_dwordx2 s[2:3], s[4:5], 0x10
	s_ashr_i32 s15, s14, 31
	s_sub_i32 s30, s12, s17
	s_lshl_b64 s[4:5], s[14:15], 1
	v_bfe_u32 v12, v0, 1, 5
	s_waitcnt lgkmcnt(0)
	s_add_u32 s2, s2, s4
	s_addc_u32 s3, s3, s5
	s_abs_i32 s15, s18
	v_cvt_f32_u32_e32 v2, s15
	v_mov_b32_e32 v5, s3
	s_sub_i32 s3, 0, s15
	v_lshlrev_b32_e32 v4, 4, v12
	v_rcp_iflag_f32_e32 v2, v2
	v_and_b32_e32 v3, 8, v9
	s_lshl_b64 s[4:5], s[26:27], 2
	s_add_u32 s4, s24, s4
	v_mul_f32_e32 v2, 0x4f7ffffe, v2
	v_cvt_u32_f32_e32 v2, v2
	v_cmp_eq_u32_e32 vcc, 0, v1
	v_lshlrev_b32_e32 v16, 6, v1
	v_and_b32_e32 v1, 60, v10
	v_mul_lo_u32 v6, s3, v2
	v_add_co_u32_e64 v4, s[2:3], s2, v4
	v_addc_co_u32_e64 v5, s[2:3], 0, v5, s[2:3]
	v_mul_hi_u32 v6, v2, v6
	v_add_co_u32_e64 v13, s[2:3], v4, v3
	v_subrev_u32_e32 v3, s33, v12
	v_add_u32_e32 v19, 1, v3
	v_lshlrev_b32_e32 v3, 2, v12
	s_addc_u32 s5, s25, s5
	v_lshl_or_b32 v3, v27, 7, v3
	v_mbcnt_hi_u32_b32 v21, -1, v11
	v_addc_co_u32_e64 v15, s[2:3], 0, v5, s[2:3]
	v_add_u32_e32 v17, v2, v6
	v_mov_b32_e32 v2, s5
	v_add_co_u32_e64 v1, s[4:5], s4, v1
	v_add_u32_e32 v20, 0x90, v3
	v_and_b32_e32 v3, 64, v21
	s_mov_b32 s43, s13
	v_cmp_neq_f32_e64 s[2:3], s42, 0
	v_addc_co_u32_e64 v2, s[4:5], 0, v2, s[4:5]
	v_lshlrev_b32_e32 v18, 5, v27
	s_mov_b64 s[36:37], 0
	v_xor_b32_e32 v22, 1, v21
	v_add_u32_e32 v23, 64, v3
	v_mov_b32_e32 v14, 0xff7fffff
	v_mov_b32_e32 v24, v27
	s_branch .LBB145_13
.LBB145_11:                             ;   in Loop: Header=BB145_13 Depth=1
	s_or_b64 exec, exec, s[38:39]
.LBB145_12:                             ;   in Loop: Header=BB145_13 Depth=1
	s_or_b64 exec, exec, s[6:7]
	v_add_co_u32_e64 v1, s[4:5], 8, v1
	v_add_u32_e32 v24, 2, v24
	v_addc_co_u32_e64 v2, s[4:5], 0, v2, s[4:5]
	v_cmp_le_i32_e64 s[4:5], s16, v24
	v_add_u32_e32 v18, 64, v18
	s_or_b64 s[36:37], s[4:5], s[36:37]
	v_add_u32_e32 v20, 0x100, v20
	s_andn2_b64 exec, exec, s[36:37]
	s_cbranch_execz .LBB145_20
.LBB145_13:                             ; =>This Inner Loop Header: Depth=1
	v_mul_hi_u32 v3, v18, s40
	s_waitcnt lgkmcnt(0)
	v_mul_lo_u32 v4, v3, s21
	v_add_u32_e32 v5, 1, v3
	v_sub_u32_e32 v4, v18, v4
	v_cmp_le_u32_e64 s[4:5], s21, v4
	v_cndmask_b32_e64 v3, v3, v5, s[4:5]
	v_subrev_u32_e32 v5, s21, v4
	v_cndmask_b32_e64 v4, v4, v5, s[4:5]
	v_add_u32_e32 v5, 1, v3
	v_cmp_le_u32_e64 s[4:5], s21, v4
	v_cndmask_b32_e64 v3, v3, v5, s[4:5]
	v_xor_b32_e32 v3, s19, v3
	v_subrev_u32_e32 v3, s19, v3
	v_add_u32_e32 v4, s41, v3
	v_sub_u32_e32 v5, 0, v4
	v_max_i32_e32 v5, v4, v5
	v_mul_hi_u32 v6, v5, v17
	v_ashrrev_i32_e32 v4, 31, v4
	v_cmp_ge_i32_e64 s[6:7], s30, v3
	v_mul_lo_u32 v6, v6, s15
	v_sub_u32_e32 v5, v5, v6
	v_subrev_u32_e32 v6, s15, v5
	v_cmp_le_u32_e64 s[4:5], s15, v5
	v_cndmask_b32_e64 v5, v5, v6, s[4:5]
	v_subrev_u32_e32 v6, s15, v5
	v_cmp_le_u32_e64 s[4:5], s15, v5
	v_cndmask_b32_e64 v5, v5, v6, s[4:5]
	v_xor_b32_e32 v5, v5, v4
	v_sub_u32_e32 v4, v5, v4
	v_cmp_ne_u32_e64 s[4:5], 0, v4
	s_and_b64 s[4:5], s[4:5], s[6:7]
	s_and_saveexec_b64 s[6:7], s[4:5]
	s_xor_b64 s[4:5], exec, s[6:7]
	s_cbranch_execz .LBB145_17
; %bb.14:                               ;   in Loop: Header=BB145_13 Depth=1
	s_and_saveexec_b64 s[6:7], vcc
; %bb.15:                               ;   in Loop: Header=BB145_13 Depth=1
	v_mov_b32_e32 v3, 0xff7fffff
	ds_write_b32 v20, v3
; %bb.16:                               ;   in Loop: Header=BB145_13 Depth=1
	s_or_b64 exec, exec, s[6:7]
.LBB145_17:                             ;   in Loop: Header=BB145_13 Depth=1
	s_andn2_saveexec_b64 s[6:7], s[4:5]
	s_cbranch_execz .LBB145_12
; %bb.18:                               ;   in Loop: Header=BB145_13 Depth=1
	ds_read_b128 v[3:6], v16
	ds_read_b128 v[29:32], v16 offset:16
	s_waitcnt lgkmcnt(1)
	v_lshlrev_b32_e32 v56, 16, v3
	v_lshlrev_b32_e32 v53, 16, v4
	;; [unrolled: 1-line block ×4, first 2 shown]
	v_and_b32_e32 v57, 0xffff0000, v3
	v_and_b32_e32 v52, 0xffff0000, v4
	;; [unrolled: 1-line block ×4, first 2 shown]
	ds_read_b128 v[3:6], v16 offset:32
	ds_read_b128 v[59:62], v16 offset:48
	s_waitcnt lgkmcnt(2)
	v_lshlrev_b32_e32 v46, 16, v31
	v_lshlrev_b32_e32 v44, 16, v32
	v_and_b32_e32 v47, 0xffff0000, v31
	s_waitcnt lgkmcnt(1)
	v_lshlrev_b32_e32 v42, 16, v3
	v_and_b32_e32 v43, 0xffff0000, v3
	global_load_dword v3, v[1:2], off
	v_lshlrev_b32_e32 v40, 16, v4
	v_and_b32_e32 v41, 0xffff0000, v4
	v_and_b32_e32 v45, 0xffff0000, v32
	v_lshlrev_b32_e32 v38, 16, v5
	v_lshlrev_b32_e32 v34, 16, v6
	v_and_b32_e32 v39, 0xffff0000, v5
	v_and_b32_e32 v36, 0xffff0000, v6
	s_waitcnt lgkmcnt(0)
	v_lshlrev_b32_e32 v35, 16, v59
	v_lshlrev_b32_e32 v32, 16, v60
	v_and_b32_e32 v37, 0xffff0000, v59
	v_and_b32_e32 v31, 0xffff0000, v60
	v_lshlrev_b32_e32 v49, 16, v30
	v_and_b32_e32 v48, 0xffff0000, v30
	v_lshlrev_b32_e32 v26, 16, v61
	;; [unrolled: 2-line block ×4, first 2 shown]
	v_and_b32_e32 v29, 0xffff0000, v62
	s_waitcnt vmcnt(0)
	v_mad_i64_i32 v[3:4], s[4:5], v3, s43, 0
	v_lshlrev_b64 v[3:4], 1, v[3:4]
	v_add_co_u32_e64 v3, s[4:5], v13, v3
	v_addc_co_u32_e64 v4, s[4:5], v15, v4, s[4:5]
	global_load_dwordx2 v[59:60], v[3:4], off offset:512
	global_load_dwordx2 v[7:8], v[3:4], off offset:1024
	;; [unrolled: 1-line block ×3, first 2 shown]
	v_cmp_lt_i32_e64 s[4:5], v22, v23
	s_waitcnt vmcnt(2)
	v_lshlrev_b32_e32 v61, 16, v59
	v_mul_f32_e32 v33, v33, v61
	global_load_dwordx2 v[61:62], v[3:4], off
	s_waitcnt vmcnt(0)
	v_lshlrev_b32_e32 v63, 16, v61
	v_fmac_f32_e32 v33, v56, v63
	v_and_b32_e32 v56, 0xffff0000, v59
	v_mul_f32_e32 v56, v58, v56
	v_and_b32_e32 v58, 0xffff0000, v61
	v_fmac_f32_e32 v56, v57, v58
	v_lshlrev_b32_e32 v57, 16, v60
	v_mul_f32_e32 v55, v55, v57
	v_lshlrev_b32_e32 v57, 16, v62
	v_fmac_f32_e32 v55, v53, v57
	v_and_b32_e32 v53, 0xffff0000, v60
	v_and_b32_e32 v57, 0xffff0000, v62
	v_mul_f32_e32 v53, v54, v53
	v_fmac_f32_e32 v53, v52, v57
	v_lshlrev_b32_e32 v52, 16, v7
	v_and_b32_e32 v7, 0xffff0000, v7
	v_fmac_f32_e32 v56, v51, v7
	v_lshlrev_b32_e32 v7, 16, v8
	v_fmac_f32_e32 v55, v49, v7
	v_and_b32_e32 v7, 0xffff0000, v8
	v_fmac_f32_e32 v53, v48, v7
	v_lshlrev_b32_e32 v7, 16, v5
	v_and_b32_e32 v5, 0xffff0000, v5
	v_fmac_f32_e32 v56, v47, v5
	v_lshlrev_b32_e32 v5, 16, v6
	v_fmac_f32_e32 v33, v50, v52
	v_fmac_f32_e32 v55, v44, v5
	v_and_b32_e32 v5, 0xffff0000, v6
	v_fmac_f32_e32 v33, v46, v7
	v_fmac_f32_e32 v53, v45, v5
	global_load_dwordx2 v[5:6], v[3:4], off offset:2048
	global_load_dwordx2 v[7:8], v[3:4], off offset:2560
	;; [unrolled: 1-line block ×3, first 2 shown]
	s_nop 0
	global_load_dwordx2 v[3:4], v[3:4], off offset:3584
	s_waitcnt vmcnt(3)
	v_lshlrev_b32_e32 v46, 16, v5
	v_and_b32_e32 v5, 0xffff0000, v5
	v_fmac_f32_e32 v56, v43, v5
	v_lshlrev_b32_e32 v5, 16, v6
	v_fmac_f32_e32 v55, v40, v5
	v_and_b32_e32 v5, 0xffff0000, v6
	v_fmac_f32_e32 v33, v42, v46
	v_fmac_f32_e32 v53, v41, v5
	s_waitcnt vmcnt(2)
	v_lshlrev_b32_e32 v5, 16, v7
	v_fmac_f32_e32 v33, v38, v5
	v_and_b32_e32 v5, 0xffff0000, v7
	v_fmac_f32_e32 v56, v39, v5
	v_lshlrev_b32_e32 v5, 16, v8
	v_fmac_f32_e32 v55, v34, v5
	v_and_b32_e32 v5, 0xffff0000, v8
	v_fmac_f32_e32 v53, v36, v5
	s_waitcnt vmcnt(1)
	v_lshlrev_b32_e32 v5, 16, v44
	v_fmac_f32_e32 v33, v35, v5
	v_and_b32_e32 v5, 0xffff0000, v44
	v_fmac_f32_e32 v56, v37, v5
	v_lshlrev_b32_e32 v6, 16, v45
	s_waitcnt vmcnt(0)
	v_lshlrev_b32_e32 v8, 16, v3
	v_and_b32_e32 v3, 0xffff0000, v3
	v_and_b32_e32 v7, 0xffff0000, v45
	v_fmac_f32_e32 v55, v32, v6
	v_lshlrev_b32_e32 v6, 16, v4
	v_fmac_f32_e32 v33, v26, v8
	v_fmac_f32_e32 v56, v30, v3
	v_and_b32_e32 v4, 0xffff0000, v4
	v_fmac_f32_e32 v53, v31, v7
	v_fmac_f32_e32 v55, v25, v6
	v_add_f32_e32 v3, v33, v56
	v_cndmask_b32_e64 v5, v21, v22, s[4:5]
	v_fmac_f32_e32 v53, v29, v4
	v_add_f32_e32 v3, v3, v55
	v_lshlrev_b32_e32 v5, 2, v5
	v_add_f32_e32 v3, v53, v3
	ds_bpermute_b32 v4, v5, v3
	s_and_saveexec_b64 s[38:39], vcc
	s_cbranch_execz .LBB145_11
; %bb.19:                               ;   in Loop: Header=BB145_13 Depth=1
	v_add_u32_e32 v5, v19, v18
	v_cvt_f32_i32_e32 v5, v5
	s_waitcnt lgkmcnt(0)
	v_add_f32_e32 v3, v3, v4
	v_add_u32_e32 v6, v12, v18
	v_cmp_gt_i32_e64 s[4:5], s33, v6
	v_mul_f32_e32 v4, s42, v5
	v_cndmask_b32_e64 v4, 0, v4, s[2:3]
	v_fmac_f32_e32 v4, s31, v3
	v_cndmask_b32_e64 v3, 0, v4, s[4:5]
	ds_write_b32 v20, v3
	v_max_f32_e32 v3, v14, v14
	v_max_f32_e32 v3, v3, v4
	v_cndmask_b32_e64 v14, v14, v3, s[4:5]
	s_branch .LBB145_11
.LBB145_20:
	s_or_b64 exec, exec, s[36:37]
.LBB145_21:
	s_or_b64 exec, exec, s[34:35]
	v_mbcnt_hi_u32_b32 v1, -1, v11
	v_and_b32_e32 v8, 64, v1
	v_add_u32_e32 v11, 64, v8
	v_xor_b32_e32 v2, 32, v1
	v_cmp_lt_i32_e32 vcc, v2, v11
	v_cndmask_b32_e32 v2, v1, v2, vcc
	v_lshlrev_b32_e32 v2, 2, v2
	ds_bpermute_b32 v3, v2, v14
	v_xor_b32_e32 v5, 16, v1
	s_waitcnt lgkmcnt(1)
	v_max_f32_e32 v4, v14, v14
	v_cmp_lt_i32_e32 vcc, v5, v11
	v_xor_b32_e32 v6, 8, v1
	s_waitcnt lgkmcnt(0)
	v_max_f32_e32 v3, v3, v3
	v_max_f32_e32 v4, v4, v3
	v_cndmask_b32_e32 v3, v1, v5, vcc
	v_lshlrev_b32_e32 v3, 2, v3
	ds_bpermute_b32 v5, v3, v4
	v_cmp_lt_i32_e32 vcc, v6, v11
	v_xor_b32_e32 v7, 4, v1
	v_xor_b32_e32 v12, 2, v1
	v_and_b32_e32 v29, 63, v0
	s_waitcnt lgkmcnt(0)
	v_max_f32_e32 v5, v5, v5
	v_max_f32_e32 v5, v4, v5
	v_cndmask_b32_e32 v4, v1, v6, vcc
	v_lshlrev_b32_e32 v4, 2, v4
	ds_bpermute_b32 v6, v4, v5
	v_cmp_lt_i32_e32 vcc, v7, v11
	s_waitcnt lgkmcnt(0)
	v_max_f32_e32 v6, v6, v6
	v_max_f32_e32 v6, v5, v6
	v_cndmask_b32_e32 v5, v1, v7, vcc
	v_lshlrev_b32_e32 v5, 2, v5
	ds_bpermute_b32 v7, v5, v6
	v_cmp_lt_i32_e32 vcc, v12, v11
	s_waitcnt lgkmcnt(0)
	v_max_f32_e32 v7, v7, v7
	v_max_f32_e32 v7, v6, v7
	v_cndmask_b32_e32 v6, v1, v12, vcc
	v_lshlrev_b32_e32 v30, 2, v6
	ds_bpermute_b32 v12, v30, v7
	v_cmp_eq_u32_e32 vcc, 0, v29
	v_lshlrev_b32_e32 v6, 2, v27
	s_and_saveexec_b64 s[2:3], vcc
	s_cbranch_execz .LBB145_23
; %bb.22:
	s_waitcnt lgkmcnt(0)
	v_max_f32_e32 v12, v12, v12
	v_max_f32_e32 v7, v7, v7
	;; [unrolled: 1-line block ×3, first 2 shown]
	ds_write_b32 v6, v7 offset:128
.LBB145_23:
	s_or_b64 exec, exec, s[2:3]
	v_cmp_gt_u32_e64 s[2:3], 2, v29
	s_waitcnt lgkmcnt(0)
	v_mov_b32_e32 v12, 0xff7fffff
	v_lshlrev_b32_e32 v7, 2, v29
	s_barrier
	s_and_saveexec_b64 s[4:5], s[2:3]
; %bb.24:
	ds_read_b32 v12, v7 offset:128
; %bb.25:
	s_or_b64 exec, exec, s[4:5]
	v_xor_b32_e32 v13, 1, v1
	v_cmp_lt_i32_e64 s[4:5], v13, v11
	v_cndmask_b32_e64 v11, v1, v13, s[4:5]
	v_lshlrev_b32_e32 v31, 2, v11
	s_waitcnt lgkmcnt(0)
	ds_bpermute_b32 v11, v31, v12
	v_max_f32_e32 v12, v12, v12
	v_lshlrev_b32_e32 v8, 2, v8
	s_lshl_b32 s4, s16, 5
	s_min_i32 s15, s4, s33
	s_waitcnt lgkmcnt(0)
	v_max_f32_e32 v11, v11, v11
	v_max_f32_e32 v11, v12, v11
	ds_bpermute_b32 v11, v8, v11
	v_cmp_gt_i32_e64 s[4:5], s15, v0
	v_mov_b32_e32 v8, 0
	s_and_saveexec_b64 s[30:31], s[4:5]
	s_cbranch_execz .LBB145_29
; %bb.26:
	v_mov_b32_e32 v8, 0x90
	v_lshl_add_u32 v12, v0, 2, v8
	v_mov_b32_e32 v8, 0
	s_mov_b64 s[34:35], 0
	v_mov_b32_e32 v13, v0
.LBB145_27:                             ; =>This Inner Loop Header: Depth=1
	ds_read_b32 v14, v12
	v_add_u32_e32 v13, 0x80, v13
	v_cmp_le_i32_e64 s[6:7], s15, v13
	s_or_b64 s[34:35], s[6:7], s[34:35]
	s_waitcnt lgkmcnt(0)
	v_sub_f32_e32 v14, v14, v11
	v_mul_f32_e32 v14, 0x3fb8aa3b, v14
	v_exp_f32_e32 v14, v14
	ds_write_b32 v12, v14
	v_add_f32_e32 v8, v8, v14
	v_add_u32_e32 v12, 0x200, v12
	s_andn2_b64 exec, exec, s[34:35]
	s_cbranch_execnz .LBB145_27
; %bb.28:
	s_or_b64 exec, exec, s[34:35]
.LBB145_29:
	s_or_b64 exec, exec, s[30:31]
	ds_bpermute_b32 v2, v2, v8
	s_waitcnt lgkmcnt(0)
	v_add_f32_e32 v2, v8, v2
	ds_bpermute_b32 v3, v3, v2
	s_waitcnt lgkmcnt(0)
	v_add_f32_e32 v2, v2, v3
	;; [unrolled: 3-line block ×6, first 2 shown]
	s_and_saveexec_b64 s[6:7], vcc
; %bb.30:
	ds_write_b32 v6, v2 offset:136
; %bb.31:
	s_or_b64 exec, exec, s[6:7]
	s_waitcnt lgkmcnt(0)
	s_barrier
	s_and_saveexec_b64 s[6:7], s[2:3]
; %bb.32:
	ds_read_b32 v2, v7 offset:136
; %bb.33:
	s_or_b64 exec, exec, s[6:7]
	s_waitcnt lgkmcnt(0)
	ds_bpermute_b32 v3, v31, v2
	v_lshlrev_b32_e32 v1, 2, v1
	v_and_b32_e32 v1, 0x100, v1
	s_waitcnt lgkmcnt(0)
	v_add_f32_e32 v2, v2, v3
	ds_bpermute_b32 v1, v1, v2
	s_and_saveexec_b64 s[2:3], s[4:5]
	s_cbranch_execz .LBB145_36
; %bb.34:
	s_waitcnt lgkmcnt(0)
	v_add_f32_e32 v2, 0x358637bd, v1
	v_div_scale_f32 v1, s[4:5], v2, v2, 1.0
	v_div_scale_f32 v3, vcc, 1.0, v2, 1.0
	s_mov_b64 s[4:5], 0
	v_rcp_f32_e32 v4, v1
	v_fma_f32 v5, -v1, v4, 1.0
	v_fmac_f32_e32 v4, v5, v4
	v_mul_f32_e32 v5, v3, v4
	v_fma_f32 v6, -v1, v5, v3
	v_fmac_f32_e32 v5, v6, v4
	v_fma_f32 v1, -v1, v5, v3
	v_div_fmas_f32 v3, v1, v4, v5
	v_mov_b32_e32 v1, 0x90
	v_lshl_add_u32 v1, v0, 2, v1
	v_div_fixup_f32 v2, v3, v2, 1.0
	v_mov_b32_e32 v3, v0
.LBB145_35:                             ; =>This Inner Loop Header: Depth=1
	ds_read_b32 v4, v1
	v_add_u32_e32 v3, 0x80, v3
	v_cmp_le_i32_e32 vcc, s15, v3
	s_or_b64 s[4:5], vcc, s[4:5]
	s_waitcnt lgkmcnt(0)
	v_mul_f32_e32 v4, v2, v4
	ds_write_b32 v1, v4
	v_add_u32_e32 v1, 0x200, v1
	s_andn2_b64 exec, exec, s[4:5]
	s_cbranch_execnz .LBB145_35
.LBB145_36:
	s_or_b64 exec, exec, s[2:3]
	v_mov_b32_e32 v36, 0
	v_and_b32_e32 v32, 3, v0
	v_mov_b32_e32 v37, 0
	v_mov_b32_e32 v34, 0
	;; [unrolled: 1-line block ×3, first 2 shown]
	s_waitcnt lgkmcnt(0)
	s_barrier
	s_and_saveexec_b64 s[4:5], s[0:1]
	s_cbranch_execz .LBB145_50
; %bb.37:
	s_ashr_i32 s15, s14, 31
	s_sub_i32 s17, s12, s17
	s_lshl_b64 s[0:1], s[14:15], 1
	s_add_u32 s0, s28, s0
	s_addc_u32 s1, s29, s1
	s_abs_i32 s18, s18
	v_cvt_f32_u32_e32 v1, s18
	s_sub_i32 s2, 0, s18
	v_lshlrev_b32_e32 v2, 4, v0
	v_and_b32_e32 v2, 0x3f0, v2
	v_rcp_iflag_f32_e32 v1, v1
	s_add_i32 s30, s16, -1
	v_mov_b32_e32 v4, s1
	v_add_co_u32_e32 v39, vcc, s0, v2
	v_mul_f32_e32 v1, 0x4f7ffffe, v1
	v_cvt_u32_f32_e32 v1, v1
	s_lshl_b64 s[0:1], s[26:27], 2
	v_addc_co_u32_e32 v40, vcc, 0, v4, vcc
	v_mul_lo_u32 v3, s2, v1
	s_add_u32 s0, s24, s0
	s_addc_u32 s1, s25, s1
	v_mov_b32_e32 v2, s1
	v_mul_hi_u32 v3, v1, v3
	v_and_b32_e32 v35, 24, v9
	s_mov_b32 s28, s13
	v_mov_b32_e32 v38, 0
	v_add_u32_e32 v41, v1, v3
	v_and_b32_e32 v1, 60, v10
	v_add_co_u32_e32 v25, vcc, s0, v1
	v_lshlrev_b32_e32 v1, 5, v32
	v_lshl_or_b32 v1, v27, 7, v1
	s_mov_b32 s29, s33
	v_addc_co_u32_e32 v26, vcc, 0, v2, vcc
	v_add_u32_e32 v42, 0x90, v1
	s_mov_b64 s[6:7], 0
	s_mov_b32 s24, 0x5040100
	s_movk_i32 s25, 0x7fff
	v_mov_b32_e32 v33, 0
	v_mov_b32_e32 v34, 0
	v_mov_b32_e32 v37, 0
	v_mov_b32_e32 v36, 0
	s_branch .LBB145_40
.LBB145_38:                             ;   in Loop: Header=BB145_40 Depth=1
	s_or_b64 exec, exec, s[2:3]
	s_waitcnt lgkmcnt(1)
	v_bfe_u32 v43, v17, 16, 1
	v_add3_u32 v43, v43, v17, s25
	v_or_b32_e32 v44, 0x400000, v17
	v_cmp_u_f32_e32 vcc, v17, v17
	v_cndmask_b32_e32 v17, v43, v44, vcc
	v_bfe_u32 v43, v18, 16, 1
	v_add3_u32 v43, v43, v18, s25
	v_or_b32_e32 v44, 0x400000, v18
	v_cmp_u_f32_e32 vcc, v18, v18
	v_cndmask_b32_e32 v18, v43, v44, vcc
	;; [unrolled: 5-line block ×4, first 2 shown]
	s_waitcnt lgkmcnt(0)
	v_bfe_u32 v43, v13, 16, 1
	v_add3_u32 v43, v43, v13, s25
	v_or_b32_e32 v44, 0x400000, v13
	v_cmp_u_f32_e32 vcc, v13, v13
	v_bfe_u32 v13, v14, 16, 1
	v_cndmask_b32_e32 v43, v43, v44, vcc
	v_add3_u32 v13, v13, v14, s25
	v_or_b32_e32 v44, 0x400000, v14
	v_cmp_u_f32_e32 vcc, v14, v14
	v_cndmask_b32_e32 v44, v13, v44, vcc
	v_bfe_u32 v13, v15, 16, 1
	v_add3_u32 v13, v13, v15, s25
	v_or_b32_e32 v14, 0x400000, v15
	v_cmp_u_f32_e32 vcc, v15, v15
	v_cndmask_b32_e32 v45, v13, v14, vcc
	v_bfe_u32 v13, v16, 16, 1
	v_add3_u32 v13, v13, v16, s25
	v_or_b32_e32 v14, 0x400000, v16
	v_cmp_u_f32_e32 vcc, v16, v16
	v_cndmask_b32_e32 v16, v13, v14, vcc
	v_and_b32_e32 v13, 0xffff0000, v18
	s_waitcnt vmcnt(1)
	v_and_b32_e32 v14, 0xffff0000, v21
	v_mul_f32_e32 v14, v13, v14
	v_bfe_u32 v15, v14, 16, 1
	v_add3_u32 v15, v15, v14, s25
	v_or_b32_e32 v18, 0x400000, v14
	v_cmp_u_f32_e32 vcc, v14, v14
	v_and_b32_e32 v17, 0xffff0000, v17
	v_lshlrev_b32_e32 v14, 16, v21
	v_mul_f32_e32 v14, v17, v14
	v_cndmask_b32_e32 v46, v15, v18, vcc
	v_bfe_u32 v15, v14, 16, 1
	v_add3_u32 v15, v15, v14, s25
	v_or_b32_e32 v18, 0x400000, v14
	v_cmp_u_f32_e32 vcc, v14, v14
	v_cndmask_b32_e32 v21, v15, v18, vcc
	v_and_b32_e32 v14, 0xffff0000, v20
	v_and_b32_e32 v15, 0xffff0000, v22
	v_mul_f32_e32 v15, v14, v15
	v_bfe_u32 v18, v15, 16, 1
	v_add3_u32 v18, v18, v15, s25
	v_or_b32_e32 v20, 0x400000, v15
	v_cmp_u_f32_e32 vcc, v15, v15
	v_cndmask_b32_e32 v47, v18, v20, vcc
	v_and_b32_e32 v18, 0xffff0000, v19
	v_lshlrev_b32_e32 v15, 16, v22
	v_mul_f32_e32 v15, v18, v15
	v_bfe_u32 v19, v15, 16, 1
	v_add3_u32 v19, v19, v15, s25
	v_or_b32_e32 v20, 0x400000, v15
	v_cmp_u_f32_e32 vcc, v15, v15
	v_cndmask_b32_e32 v22, v19, v20, vcc
	v_and_b32_e32 v15, 0xffff0000, v44
	v_and_b32_e32 v19, 0xffff0000, v23
	v_mul_f32_e32 v19, v15, v19
	v_bfe_u32 v20, v19, 16, 1
	v_add3_u32 v20, v20, v19, s25
	v_or_b32_e32 v44, 0x400000, v19
	v_cmp_u_f32_e32 vcc, v19, v19
	v_cndmask_b32_e32 v44, v20, v44, vcc
	v_and_b32_e32 v19, 0xffff0000, v43
	v_lshlrev_b32_e32 v20, 16, v23
	v_mul_f32_e32 v20, v19, v20
	v_bfe_u32 v23, v20, 16, 1
	v_add3_u32 v23, v23, v20, s25
	v_or_b32_e32 v43, 0x400000, v20
	v_cmp_u_f32_e32 vcc, v20, v20
	v_and_b32_e32 v16, 0xffff0000, v16
	v_and_b32_e32 v20, 0xffff0000, v24
	v_mul_f32_e32 v20, v16, v20
	v_cndmask_b32_e32 v23, v23, v43, vcc
	v_bfe_u32 v43, v20, 16, 1
	v_add3_u32 v43, v43, v20, s25
	v_or_b32_e32 v48, 0x400000, v20
	v_cmp_u_f32_e32 vcc, v20, v20
	v_and_b32_e32 v20, 0xffff0000, v45
	v_lshlrev_b32_e32 v24, 16, v24
	v_mul_f32_e32 v24, v20, v24
	v_bfe_u32 v45, v24, 16, 1
	v_cndmask_b32_e32 v43, v43, v48, vcc
	v_add3_u32 v45, v45, v24, s25
	v_or_b32_e32 v48, 0x400000, v24
	v_cmp_u_f32_e32 vcc, v24, v24
	v_cndmask_b32_e32 v24, v45, v48, vcc
	v_and_b32_e32 v21, 0xffff0000, v21
	v_and_b32_e32 v45, 0xffff0000, v46
	v_add_f32_e32 v21, v21, v45
	v_and_b32_e32 v22, 0xffff0000, v22
	v_and_b32_e32 v45, 0xffff0000, v47
	v_add_f32_e32 v22, v22, v45
	v_add_f32_e32 v21, v22, v21
	v_and_b32_e32 v22, 0xffff0000, v23
	v_and_b32_e32 v23, 0xffff0000, v44
	v_add_f32_e32 v22, v22, v23
	;; [unrolled: 4-line block ×3, first 2 shown]
	v_add_f32_e32 v21, v22, v21
	v_add_f32_e32 v34, v34, v21
	v_and_b32_e32 v21, 0xffff0000, v9
	v_mul_f32_e32 v21, v13, v21
	v_bfe_u32 v22, v21, 16, 1
	v_lshlrev_b32_e32 v9, 16, v9
	v_add3_u32 v22, v22, v21, s25
	v_or_b32_e32 v23, 0x400000, v21
	v_cmp_u_f32_e32 vcc, v21, v21
	v_mul_f32_e32 v9, v17, v9
	v_cndmask_b32_e32 v21, v22, v23, vcc
	v_bfe_u32 v22, v9, 16, 1
	v_add3_u32 v22, v22, v9, s25
	v_or_b32_e32 v23, 0x400000, v9
	v_cmp_u_f32_e32 vcc, v9, v9
	v_cndmask_b32_e32 v9, v22, v23, vcc
	v_and_b32_e32 v22, 0xffff0000, v10
	v_mul_f32_e32 v22, v14, v22
	v_bfe_u32 v23, v22, 16, 1
	v_lshlrev_b32_e32 v10, 16, v10
	v_add3_u32 v23, v23, v22, s25
	v_or_b32_e32 v24, 0x400000, v22
	v_cmp_u_f32_e32 vcc, v22, v22
	v_mul_f32_e32 v10, v18, v10
	v_cndmask_b32_e32 v22, v23, v24, vcc
	v_bfe_u32 v23, v10, 16, 1
	v_add3_u32 v23, v23, v10, s25
	v_or_b32_e32 v24, 0x400000, v10
	v_cmp_u_f32_e32 vcc, v10, v10
	v_cndmask_b32_e32 v10, v23, v24, vcc
	;; [unrolled: 14-line block ×3, first 2 shown]
	v_and_b32_e32 v24, 0xffff0000, v12
	v_mul_f32_e32 v24, v16, v24
	v_bfe_u32 v43, v24, 16, 1
	v_lshlrev_b32_e32 v12, 16, v12
	v_and_b32_e32 v9, 0xffff0000, v9
	v_and_b32_e32 v21, 0xffff0000, v21
	v_add3_u32 v43, v43, v24, s25
	v_or_b32_e32 v44, 0x400000, v24
	v_cmp_u_f32_e32 vcc, v24, v24
	v_mul_f32_e32 v12, v20, v12
	v_add_f32_e32 v9, v9, v21
	v_and_b32_e32 v10, 0xffff0000, v10
	v_and_b32_e32 v21, 0xffff0000, v22
	v_cndmask_b32_e32 v24, v43, v44, vcc
	v_bfe_u32 v43, v12, 16, 1
	v_add_f32_e32 v10, v10, v21
	v_add3_u32 v43, v43, v12, s25
	v_or_b32_e32 v44, 0x400000, v12
	v_cmp_u_f32_e32 vcc, v12, v12
	v_add_f32_e32 v9, v10, v9
	v_and_b32_e32 v10, 0xffff0000, v11
	v_and_b32_e32 v11, 0xffff0000, v23
	v_cndmask_b32_e32 v12, v43, v44, vcc
	v_add_f32_e32 v10, v10, v11
	v_add_f32_e32 v9, v10, v9
	v_and_b32_e32 v10, 0xffff0000, v12
	v_and_b32_e32 v11, 0xffff0000, v24
	v_add_f32_e32 v10, v10, v11
	v_add_f32_e32 v9, v10, v9
	;; [unrolled: 1-line block ×3, first 2 shown]
	v_and_b32_e32 v9, 0xffff0000, v1
	v_mul_f32_e32 v9, v13, v9
	v_bfe_u32 v10, v9, 16, 1
	v_lshlrev_b32_e32 v1, 16, v1
	v_add3_u32 v10, v10, v9, s25
	v_or_b32_e32 v11, 0x400000, v9
	v_cmp_u_f32_e32 vcc, v9, v9
	v_mul_f32_e32 v1, v17, v1
	v_cndmask_b32_e32 v9, v10, v11, vcc
	v_bfe_u32 v10, v1, 16, 1
	v_add3_u32 v10, v10, v1, s25
	v_or_b32_e32 v11, 0x400000, v1
	v_cmp_u_f32_e32 vcc, v1, v1
	v_cndmask_b32_e32 v1, v10, v11, vcc
	v_and_b32_e32 v10, 0xffff0000, v2
	v_mul_f32_e32 v10, v14, v10
	v_bfe_u32 v11, v10, 16, 1
	v_lshlrev_b32_e32 v2, 16, v2
	v_add3_u32 v11, v11, v10, s25
	v_or_b32_e32 v12, 0x400000, v10
	v_cmp_u_f32_e32 vcc, v10, v10
	v_mul_f32_e32 v2, v18, v2
	v_cndmask_b32_e32 v10, v11, v12, vcc
	v_bfe_u32 v11, v2, 16, 1
	v_add3_u32 v11, v11, v2, s25
	v_or_b32_e32 v12, 0x400000, v2
	v_cmp_u_f32_e32 vcc, v2, v2
	v_cndmask_b32_e32 v2, v11, v12, vcc
	;; [unrolled: 14-line block ×3, first 2 shown]
	v_and_b32_e32 v12, 0xffff0000, v4
	v_mul_f32_e32 v12, v16, v12
	v_bfe_u32 v21, v12, 16, 1
	v_lshlrev_b32_e32 v4, 16, v4
	v_and_b32_e32 v1, 0xffff0000, v1
	v_and_b32_e32 v9, 0xffff0000, v9
	v_add3_u32 v21, v21, v12, s25
	v_or_b32_e32 v22, 0x400000, v12
	v_cmp_u_f32_e32 vcc, v12, v12
	v_mul_f32_e32 v4, v20, v4
	v_add_f32_e32 v1, v1, v9
	v_and_b32_e32 v2, 0xffff0000, v2
	v_and_b32_e32 v9, 0xffff0000, v10
	v_cndmask_b32_e32 v12, v21, v22, vcc
	v_bfe_u32 v21, v4, 16, 1
	v_add_f32_e32 v2, v2, v9
	v_add3_u32 v21, v21, v4, s25
	v_or_b32_e32 v22, 0x400000, v4
	v_cmp_u_f32_e32 vcc, v4, v4
	v_add_f32_e32 v1, v2, v1
	v_and_b32_e32 v2, 0xffff0000, v3
	v_and_b32_e32 v3, 0xffff0000, v11
	v_cndmask_b32_e32 v4, v21, v22, vcc
	v_add_f32_e32 v2, v2, v3
	v_add_f32_e32 v1, v2, v1
	v_and_b32_e32 v2, 0xffff0000, v4
	v_and_b32_e32 v3, 0xffff0000, v12
	v_add_f32_e32 v2, v2, v3
	v_add_f32_e32 v1, v2, v1
	;; [unrolled: 1-line block ×3, first 2 shown]
	s_waitcnt vmcnt(0)
	v_lshlrev_b32_e32 v1, 16, v5
	v_mul_f32_e32 v1, v17, v1
	v_bfe_u32 v2, v1, 16, 1
	v_add3_u32 v2, v2, v1, s25
	v_or_b32_e32 v3, 0x400000, v1
	v_cmp_u_f32_e32 vcc, v1, v1
	v_cndmask_b32_e32 v1, v2, v3, vcc
	v_and_b32_e32 v2, 0xffff0000, v5
	v_mul_f32_e32 v2, v13, v2
	v_bfe_u32 v3, v2, 16, 1
	v_add3_u32 v3, v3, v2, s25
	v_or_b32_e32 v4, 0x400000, v2
	v_cmp_u_f32_e32 vcc, v2, v2
	v_cndmask_b32_e32 v2, v3, v4, vcc
	v_lshlrev_b32_e32 v3, 16, v6
	v_mul_f32_e32 v3, v18, v3
	v_bfe_u32 v4, v3, 16, 1
	v_add3_u32 v4, v4, v3, s25
	v_or_b32_e32 v5, 0x400000, v3
	v_cmp_u_f32_e32 vcc, v3, v3
	v_cndmask_b32_e32 v3, v4, v5, vcc
	v_and_b32_e32 v4, 0xffff0000, v6
	v_mul_f32_e32 v4, v14, v4
	v_bfe_u32 v5, v4, 16, 1
	v_add3_u32 v5, v5, v4, s25
	v_or_b32_e32 v6, 0x400000, v4
	v_cmp_u_f32_e32 vcc, v4, v4
	v_cndmask_b32_e32 v4, v5, v6, vcc
	;; [unrolled: 14-line block ×3, first 2 shown]
	v_lshlrev_b32_e32 v7, 16, v8
	v_mul_f32_e32 v7, v20, v7
	v_bfe_u32 v9, v7, 16, 1
	v_and_b32_e32 v8, 0xffff0000, v8
	v_and_b32_e32 v2, 0xffff0000, v2
	;; [unrolled: 1-line block ×3, first 2 shown]
	v_add3_u32 v9, v9, v7, s25
	v_or_b32_e32 v10, 0x400000, v7
	v_cmp_u_f32_e32 vcc, v7, v7
	v_mul_f32_e32 v8, v16, v8
	v_add_f32_e32 v1, v1, v2
	v_and_b32_e32 v2, 0xffff0000, v4
	v_and_b32_e32 v3, 0xffff0000, v3
	v_cndmask_b32_e32 v7, v9, v10, vcc
	v_bfe_u32 v9, v8, 16, 1
	v_add_f32_e32 v2, v3, v2
	v_add3_u32 v9, v9, v8, s25
	v_or_b32_e32 v10, 0x400000, v8
	v_cmp_u_f32_e32 vcc, v8, v8
	v_add_f32_e32 v1, v2, v1
	v_and_b32_e32 v2, 0xffff0000, v6
	v_and_b32_e32 v3, 0xffff0000, v5
	v_cndmask_b32_e32 v8, v9, v10, vcc
	v_add_f32_e32 v2, v3, v2
	v_add_f32_e32 v1, v2, v1
	v_and_b32_e32 v2, 0xffff0000, v8
	v_and_b32_e32 v3, 0xffff0000, v7
	v_add_f32_e32 v2, v3, v2
	v_add_f32_e32 v1, v2, v1
	;; [unrolled: 1-line block ×3, first 2 shown]
.LBB145_39:                             ;   in Loop: Header=BB145_40 Depth=1
	s_or_b64 exec, exec, s[12:13]
	v_add_co_u32_e32 v25, vcc, 8, v25
	v_add_u32_e32 v27, 2, v27
	v_addc_co_u32_e32 v26, vcc, 0, v26, vcc
	v_cmp_le_i32_e32 vcc, s16, v27
	v_add_u32_e32 v28, 64, v28
	s_or_b64 s[6:7], vcc, s[6:7]
	v_add_u32_e32 v42, 0x100, v42
	s_andn2_b64 exec, exec, s[6:7]
	s_cbranch_execz .LBB145_49
.LBB145_40:                             ; =>This Inner Loop Header: Depth=1
	v_mul_hi_u32 v1, v28, s40
	v_mul_lo_u32 v2, v1, s21
	v_add_u32_e32 v3, 1, v1
	v_sub_u32_e32 v2, v28, v2
	v_cmp_le_u32_e32 vcc, s21, v2
	v_cndmask_b32_e32 v1, v1, v3, vcc
	v_subrev_u32_e32 v3, s21, v2
	v_cndmask_b32_e32 v2, v2, v3, vcc
	v_add_u32_e32 v3, 1, v1
	v_cmp_le_u32_e32 vcc, s21, v2
	v_cndmask_b32_e32 v1, v1, v3, vcc
	v_xor_b32_e32 v1, s19, v1
	v_subrev_u32_e32 v1, s19, v1
	v_add_u32_e32 v2, s41, v1
	v_sub_u32_e32 v3, 0, v2
	v_max_i32_e32 v3, v2, v3
	v_mul_hi_u32 v4, v3, v41
	v_ashrrev_i32_e32 v2, 31, v2
	v_cmp_lt_i32_e64 s[0:1], s17, v1
	v_mul_lo_u32 v4, v4, s18
	v_sub_u32_e32 v3, v3, v4
	v_subrev_u32_e32 v4, s18, v3
	v_cmp_le_u32_e32 vcc, s18, v3
	v_cndmask_b32_e32 v3, v3, v4, vcc
	v_subrev_u32_e32 v4, s18, v3
	v_cmp_le_u32_e32 vcc, s18, v3
	v_cndmask_b32_e32 v3, v3, v4, vcc
	v_xor_b32_e32 v3, v3, v2
	v_sub_u32_e32 v2, v3, v2
	v_cmp_eq_u32_e32 vcc, 0, v2
	s_or_b64 s[0:1], vcc, s[0:1]
	s_and_saveexec_b64 s[12:13], s[0:1]
	s_cbranch_execz .LBB145_39
; %bb.41:                               ;   in Loop: Header=BB145_40 Depth=1
	global_load_dword v1, v[25:26], off
	v_add_u32_e32 v45, v35, v28
	v_add_u32_e32 v50, 1, v45
	v_or_b32_e32 v48, 3, v45
	v_or_b32_e32 v49, 2, v45
	;; [unrolled: 1-line block ×6, first 2 shown]
	s_waitcnt vmcnt(0)
	v_mad_i64_i32 v[1:2], s[0:1], v1, s28, 0
	v_cmp_eq_u32_e64 s[0:1], s30, v27
	v_lshlrev_b64 v[1:2], 1, v[1:2]
	v_add_co_u32_e32 v5, vcc, v39, v1
	v_addc_co_u32_e32 v6, vcc, v40, v2, vcc
	global_load_dwordx4 v[1:4], v[5:6], off
	ds_read2_b64 v[17:20], v42 offset1:1
	ds_read2_b64 v[13:16], v42 offset0:2 offset1:3
	s_and_saveexec_b64 s[14:15], s[0:1]
	s_cbranch_execnz .LBB145_45
; %bb.42:                               ;   in Loop: Header=BB145_40 Depth=1
	s_or_b64 exec, exec, s[14:15]
	global_load_dwordx4 v[9:12], v[5:6], off offset:1024
	s_and_saveexec_b64 s[14:15], s[0:1]
	s_cbranch_execnz .LBB145_46
.LBB145_43:                             ;   in Loop: Header=BB145_40 Depth=1
	s_or_b64 exec, exec, s[14:15]
	global_load_dwordx4 v[21:24], v[5:6], off offset:2048
	s_and_saveexec_b64 s[14:15], s[0:1]
	s_cbranch_execnz .LBB145_47
.LBB145_44:                             ;   in Loop: Header=BB145_40 Depth=1
	s_or_b64 exec, exec, s[14:15]
	global_load_dwordx4 v[5:8], v[5:6], off offset:3072
	s_and_saveexec_b64 s[2:3], s[0:1]
	s_cbranch_execz .LBB145_38
	s_branch .LBB145_48
.LBB145_45:                             ;   in Loop: Header=BB145_40 Depth=1
	v_cmp_gt_i32_e32 vcc, s29, v50
	s_waitcnt vmcnt(0)
	v_cndmask_b32_sdwa v7, v38, v1, vcc dst_sel:DWORD dst_unused:UNUSED_PAD src0_sel:DWORD src1_sel:WORD_1
	v_cmp_gt_i32_e32 vcc, s33, v45
	v_cndmask_b32_e32 v1, 0, v1, vcc
	v_cmp_gt_i32_e32 vcc, s29, v48
	v_cmp_gt_i32_e64 s[2:3], s33, v49
	v_perm_b32 v1, v7, v1, s24
	v_cndmask_b32_e64 v7, 0, v2, s[2:3]
	v_cndmask_b32_sdwa v2, v38, v2, vcc dst_sel:DWORD dst_unused:UNUSED_PAD src0_sel:DWORD src1_sel:WORD_1
	v_cmp_gt_i32_e32 vcc, s29, v46
	v_cmp_gt_i32_e64 s[2:3], s33, v47
	v_perm_b32 v2, v2, v7, s24
	v_cndmask_b32_e64 v7, 0, v3, s[2:3]
	v_cndmask_b32_sdwa v3, v38, v3, vcc dst_sel:DWORD dst_unused:UNUSED_PAD src0_sel:DWORD src1_sel:WORD_1
	;; [unrolled: 5-line block ×3, first 2 shown]
	v_perm_b32 v4, v4, v7, s24
	s_or_b64 exec, exec, s[14:15]
	global_load_dwordx4 v[9:12], v[5:6], off offset:1024
	s_and_saveexec_b64 s[14:15], s[0:1]
	s_cbranch_execz .LBB145_43
.LBB145_46:                             ;   in Loop: Header=BB145_40 Depth=1
	v_cmp_gt_i32_e32 vcc, s29, v50
	s_waitcnt vmcnt(0)
	v_cndmask_b32_sdwa v7, v38, v9, vcc dst_sel:DWORD dst_unused:UNUSED_PAD src0_sel:DWORD src1_sel:WORD_1
	v_cmp_gt_i32_e32 vcc, s33, v45
	v_cndmask_b32_e32 v8, 0, v9, vcc
	v_cmp_gt_i32_e32 vcc, s29, v48
	v_cmp_gt_i32_e64 s[2:3], s33, v49
	v_perm_b32 v9, v7, v8, s24
	v_cndmask_b32_e64 v7, 0, v10, s[2:3]
	v_cndmask_b32_sdwa v8, v38, v10, vcc dst_sel:DWORD dst_unused:UNUSED_PAD src0_sel:DWORD src1_sel:WORD_1
	v_cmp_gt_i32_e32 vcc, s29, v46
	v_cmp_gt_i32_e64 s[2:3], s33, v47
	v_perm_b32 v10, v8, v7, s24
	v_cndmask_b32_e64 v7, 0, v11, s[2:3]
	v_cndmask_b32_sdwa v8, v38, v11, vcc dst_sel:DWORD dst_unused:UNUSED_PAD src0_sel:DWORD src1_sel:WORD_1
	;; [unrolled: 5-line block ×3, first 2 shown]
	v_perm_b32 v12, v8, v7, s24
	s_or_b64 exec, exec, s[14:15]
	global_load_dwordx4 v[21:24], v[5:6], off offset:2048
	s_and_saveexec_b64 s[14:15], s[0:1]
	s_cbranch_execz .LBB145_44
.LBB145_47:                             ;   in Loop: Header=BB145_40 Depth=1
	v_cmp_gt_i32_e32 vcc, s29, v50
	s_waitcnt vmcnt(0)
	v_cndmask_b32_sdwa v7, v38, v21, vcc dst_sel:DWORD dst_unused:UNUSED_PAD src0_sel:DWORD src1_sel:WORD_1
	v_cmp_gt_i32_e32 vcc, s33, v45
	v_cndmask_b32_e32 v8, 0, v21, vcc
	v_cmp_gt_i32_e32 vcc, s29, v48
	v_cmp_gt_i32_e64 s[2:3], s33, v49
	v_perm_b32 v21, v7, v8, s24
	v_cndmask_b32_e64 v7, 0, v22, s[2:3]
	v_cndmask_b32_sdwa v8, v38, v22, vcc dst_sel:DWORD dst_unused:UNUSED_PAD src0_sel:DWORD src1_sel:WORD_1
	v_cmp_gt_i32_e32 vcc, s29, v46
	v_cmp_gt_i32_e64 s[2:3], s33, v47
	v_perm_b32 v22, v8, v7, s24
	v_cndmask_b32_e64 v7, 0, v23, s[2:3]
	v_cndmask_b32_sdwa v8, v38, v23, vcc dst_sel:DWORD dst_unused:UNUSED_PAD src0_sel:DWORD src1_sel:WORD_1
	;; [unrolled: 5-line block ×3, first 2 shown]
	v_perm_b32 v24, v8, v7, s24
	s_or_b64 exec, exec, s[14:15]
	global_load_dwordx4 v[5:8], v[5:6], off offset:3072
	s_and_saveexec_b64 s[2:3], s[0:1]
	s_cbranch_execz .LBB145_38
.LBB145_48:                             ;   in Loop: Header=BB145_40 Depth=1
	v_cmp_gt_i32_e32 vcc, s29, v50
	s_waitcnt vmcnt(0)
	v_cndmask_b32_sdwa v50, v38, v5, vcc dst_sel:DWORD dst_unused:UNUSED_PAD src0_sel:DWORD src1_sel:WORD_1
	v_cmp_gt_i32_e32 vcc, s33, v45
	v_cndmask_b32_e32 v5, 0, v5, vcc
	v_cmp_gt_i32_e32 vcc, s29, v48
	v_cmp_gt_i32_e64 s[0:1], s33, v49
	v_cndmask_b32_e64 v45, 0, v6, s[0:1]
	v_cndmask_b32_sdwa v6, v38, v6, vcc dst_sel:DWORD dst_unused:UNUSED_PAD src0_sel:DWORD src1_sel:WORD_1
	v_cmp_gt_i32_e32 vcc, s29, v46
	v_cmp_gt_i32_e64 s[0:1], s33, v47
	v_perm_b32 v6, v6, v45, s24
	v_cndmask_b32_e64 v45, 0, v7, s[0:1]
	v_cndmask_b32_sdwa v7, v38, v7, vcc dst_sel:DWORD dst_unused:UNUSED_PAD src0_sel:DWORD src1_sel:WORD_1
	v_cmp_gt_i32_e32 vcc, s29, v43
	v_cmp_gt_i32_e64 s[0:1], s33, v44
	v_cndmask_b32_e64 v43, 0, v8, s[0:1]
	v_cndmask_b32_sdwa v8, v38, v8, vcc dst_sel:DWORD dst_unused:UNUSED_PAD src0_sel:DWORD src1_sel:WORD_1
	v_perm_b32 v5, v50, v5, s24
	v_perm_b32 v7, v7, v45, s24
	;; [unrolled: 1-line block ×3, first 2 shown]
	s_branch .LBB145_38
.LBB145_49:
	s_or_b64 exec, exec, s[6:7]
.LBB145_50:
	s_or_b64 exec, exec, s[4:5]
	ds_bpermute_b32 v1, v30, v36
	ds_bpermute_b32 v2, v30, v37
	;; [unrolled: 1-line block ×4, first 2 shown]
	s_waitcnt lgkmcnt(0)
	v_add_f32_e32 v1, v36, v1
	v_add_f32_e32 v2, v37, v2
	ds_bpermute_b32 v5, v31, v1
	v_add_f32_e32 v7, v34, v3
	v_add_f32_e32 v9, v33, v4
	ds_bpermute_b32 v6, v31, v2
	ds_bpermute_b32 v8, v31, v7
	;; [unrolled: 1-line block ×3, first 2 shown]
	s_waitcnt lgkmcnt(3)
	v_add_f32_e32 v4, v1, v5
	v_and_b32_e32 v5, 0x3c3, v0
	s_waitcnt lgkmcnt(2)
	v_add_f32_e32 v3, v2, v6
	s_waitcnt lgkmcnt(1)
	v_add_f32_e32 v2, v7, v8
	;; [unrolled: 2-line block ×3, first 2 shown]
	v_cmp_eq_u32_e32 vcc, 64, v5
	s_barrier
	s_and_saveexec_b64 s[0:1], vcc
	s_cbranch_execz .LBB145_52
; %bb.51:
	v_add_u32_e32 v6, 0x90, v29
	ds_write2_b32 v6, v4, v3 offset1:16
	ds_write2_b32 v6, v2, v1 offset0:32 offset1:48
.LBB145_52:
	s_or_b64 exec, exec, s[0:1]
	v_cmp_gt_u32_e32 vcc, 64, v0
	v_lshrrev_b32_e32 v0, 2, v0
	s_waitcnt lgkmcnt(0)
	s_barrier
	s_and_saveexec_b64 s[0:1], vcc
	s_cbranch_execz .LBB145_59
; %bb.53:
	v_mov_b32_e32 v6, 0x90
	v_cmp_eq_u32_e32 vcc, 0, v32
	v_lshl_add_u32 v6, v0, 2, v6
	s_and_saveexec_b64 s[2:3], vcc
	s_cbranch_execnz .LBB145_62
; %bb.54:
	s_or_b64 exec, exec, s[2:3]
	s_and_saveexec_b64 s[2:3], vcc
	s_cbranch_execnz .LBB145_63
.LBB145_55:
	s_or_b64 exec, exec, s[2:3]
	s_and_saveexec_b64 s[2:3], vcc
	s_cbranch_execnz .LBB145_64
.LBB145_56:
	s_or_b64 exec, exec, s[2:3]
	s_and_saveexec_b64 s[2:3], vcc
	s_cbranch_execz .LBB145_58
.LBB145_57:
	ds_read_b32 v6, v6 offset:192
	s_waitcnt lgkmcnt(0)
	v_add_f32_e32 v1, v1, v6
.LBB145_58:
	s_or_b64 exec, exec, s[2:3]
.LBB145_59:
	s_or_b64 exec, exec, s[0:1]
	v_cmp_eq_u32_e32 vcc, 0, v5
	s_barrier
	s_and_saveexec_b64 s[0:1], vcc
	s_cbranch_execz .LBB145_61
; %bb.60:
	s_mul_i32 s0, s10, s11
	s_mul_i32 s0, s0, s9
	s_lshl_b32 s0, s0, 6
	s_ashr_i32 s1, s0, 31
	s_lshl_b64 s[0:1], s[0:1], 1
	s_add_u32 s2, s22, s0
	s_mul_i32 s0, s11, s20
	s_addc_u32 s3, s23, s1
	s_ashr_i32 s1, s0, 31
	s_lshl_b64 s[0:1], s[0:1], 1
	s_add_u32 s2, s2, s0
	s_addc_u32 s3, s3, s1
	s_lshl_b32 s0, s8, 6
	s_ashr_i32 s1, s0, 31
	s_lshl_b64 s[0:1], s[0:1], 1
	s_add_u32 s0, s2, s0
	v_bfe_u32 v5, v4, 16, 1
	s_movk_i32 s2, 0x7fff
	v_add3_u32 v5, v5, v4, s2
	v_or_b32_e32 v6, 0x400000, v4
	v_cmp_u_f32_e32 vcc, v4, v4
	s_addc_u32 s1, s3, s1
	v_lshlrev_b32_e32 v0, 1, v0
	v_cndmask_b32_e32 v4, v5, v6, vcc
	global_store_short_d16_hi v0, v4, s[0:1]
	v_bfe_u32 v4, v3, 16, 1
	v_add3_u32 v4, v4, v3, s2
	v_or_b32_e32 v5, 0x400000, v3
	v_cmp_u_f32_e32 vcc, v3, v3
	v_cndmask_b32_e32 v3, v4, v5, vcc
	global_store_short_d16_hi v0, v3, s[0:1] offset:32
	v_bfe_u32 v3, v2, 16, 1
	v_add3_u32 v3, v3, v2, s2
	v_or_b32_e32 v4, 0x400000, v2
	v_cmp_u_f32_e32 vcc, v2, v2
	v_cndmask_b32_e32 v2, v3, v4, vcc
	global_store_short_d16_hi v0, v2, s[0:1] offset:64
	;; [unrolled: 6-line block ×3, first 2 shown]
.LBB145_61:
	s_endpgm
.LBB145_62:
	ds_read_b32 v7, v6
	s_waitcnt lgkmcnt(0)
	v_add_f32_e32 v4, v4, v7
	s_or_b64 exec, exec, s[2:3]
	s_and_saveexec_b64 s[2:3], vcc
	s_cbranch_execz .LBB145_55
.LBB145_63:
	ds_read_b32 v7, v6 offset:64
	s_waitcnt lgkmcnt(0)
	v_add_f32_e32 v3, v3, v7
	s_or_b64 exec, exec, s[2:3]
	s_and_saveexec_b64 s[2:3], vcc
	s_cbranch_execz .LBB145_56
.LBB145_64:
	ds_read_b32 v7, v6 offset:128
	s_waitcnt lgkmcnt(0)
	v_add_f32_e32 v2, v2, v7
	s_or_b64 exec, exec, s[2:3]
	s_and_saveexec_b64 s[2:3], vcc
	s_cbranch_execnz .LBB145_57
	s_branch .LBB145_58
	.section	.rodata,"a",@progbits
	.p2align	6, 0x0
	.amdhsa_kernel _ZN4vllm25paged_attention_v1_kernelI14__hip_bfloat16S1_Li64ELi32ELi128ELNS_18Fp8KVCacheDataTypeE0ELb1EEEvPT_PKS3_PKT0_S9_ifPKiSB_iPKfiiiSD_SD_iiiii
		.amdhsa_group_segment_fixed_size 144
		.amdhsa_private_segment_fixed_size 0
		.amdhsa_kernarg_size 384
		.amdhsa_user_sgpr_count 6
		.amdhsa_user_sgpr_private_segment_buffer 1
		.amdhsa_user_sgpr_dispatch_ptr 0
		.amdhsa_user_sgpr_queue_ptr 0
		.amdhsa_user_sgpr_kernarg_segment_ptr 1
		.amdhsa_user_sgpr_dispatch_id 0
		.amdhsa_user_sgpr_flat_scratch_init 0
		.amdhsa_user_sgpr_private_segment_size 0
		.amdhsa_uses_dynamic_stack 0
		.amdhsa_system_sgpr_private_segment_wavefront_offset 0
		.amdhsa_system_sgpr_workgroup_id_x 1
		.amdhsa_system_sgpr_workgroup_id_y 1
		.amdhsa_system_sgpr_workgroup_id_z 1
		.amdhsa_system_sgpr_workgroup_info 0
		.amdhsa_system_vgpr_workitem_id 0
		.amdhsa_next_free_vgpr 64
		.amdhsa_next_free_sgpr 44
		.amdhsa_reserve_vcc 1
		.amdhsa_reserve_flat_scratch 0
		.amdhsa_float_round_mode_32 0
		.amdhsa_float_round_mode_16_64 0
		.amdhsa_float_denorm_mode_32 3
		.amdhsa_float_denorm_mode_16_64 3
		.amdhsa_dx10_clamp 1
		.amdhsa_ieee_mode 1
		.amdhsa_fp16_overflow 0
		.amdhsa_exception_fp_ieee_invalid_op 0
		.amdhsa_exception_fp_denorm_src 0
		.amdhsa_exception_fp_ieee_div_zero 0
		.amdhsa_exception_fp_ieee_overflow 0
		.amdhsa_exception_fp_ieee_underflow 0
		.amdhsa_exception_fp_ieee_inexact 0
		.amdhsa_exception_int_div_zero 0
	.end_amdhsa_kernel
	.section	.text._ZN4vllm25paged_attention_v1_kernelI14__hip_bfloat16S1_Li64ELi32ELi128ELNS_18Fp8KVCacheDataTypeE0ELb1EEEvPT_PKS3_PKT0_S9_ifPKiSB_iPKfiiiSD_SD_iiiii,"axG",@progbits,_ZN4vllm25paged_attention_v1_kernelI14__hip_bfloat16S1_Li64ELi32ELi128ELNS_18Fp8KVCacheDataTypeE0ELb1EEEvPT_PKS3_PKT0_S9_ifPKiSB_iPKfiiiSD_SD_iiiii,comdat
.Lfunc_end145:
	.size	_ZN4vllm25paged_attention_v1_kernelI14__hip_bfloat16S1_Li64ELi32ELi128ELNS_18Fp8KVCacheDataTypeE0ELb1EEEvPT_PKS3_PKT0_S9_ifPKiSB_iPKfiiiSD_SD_iiiii, .Lfunc_end145-_ZN4vllm25paged_attention_v1_kernelI14__hip_bfloat16S1_Li64ELi32ELi128ELNS_18Fp8KVCacheDataTypeE0ELb1EEEvPT_PKS3_PKT0_S9_ifPKiSB_iPKfiiiSD_SD_iiiii
                                        ; -- End function
	.set _ZN4vllm25paged_attention_v1_kernelI14__hip_bfloat16S1_Li64ELi32ELi128ELNS_18Fp8KVCacheDataTypeE0ELb1EEEvPT_PKS3_PKT0_S9_ifPKiSB_iPKfiiiSD_SD_iiiii.num_vgpr, 64
	.set _ZN4vllm25paged_attention_v1_kernelI14__hip_bfloat16S1_Li64ELi32ELi128ELNS_18Fp8KVCacheDataTypeE0ELb1EEEvPT_PKS3_PKT0_S9_ifPKiSB_iPKfiiiSD_SD_iiiii.num_agpr, 0
	.set _ZN4vllm25paged_attention_v1_kernelI14__hip_bfloat16S1_Li64ELi32ELi128ELNS_18Fp8KVCacheDataTypeE0ELb1EEEvPT_PKS3_PKT0_S9_ifPKiSB_iPKfiiiSD_SD_iiiii.numbered_sgpr, 44
	.set _ZN4vllm25paged_attention_v1_kernelI14__hip_bfloat16S1_Li64ELi32ELi128ELNS_18Fp8KVCacheDataTypeE0ELb1EEEvPT_PKS3_PKT0_S9_ifPKiSB_iPKfiiiSD_SD_iiiii.num_named_barrier, 0
	.set _ZN4vllm25paged_attention_v1_kernelI14__hip_bfloat16S1_Li64ELi32ELi128ELNS_18Fp8KVCacheDataTypeE0ELb1EEEvPT_PKS3_PKT0_S9_ifPKiSB_iPKfiiiSD_SD_iiiii.private_seg_size, 0
	.set _ZN4vllm25paged_attention_v1_kernelI14__hip_bfloat16S1_Li64ELi32ELi128ELNS_18Fp8KVCacheDataTypeE0ELb1EEEvPT_PKS3_PKT0_S9_ifPKiSB_iPKfiiiSD_SD_iiiii.uses_vcc, 1
	.set _ZN4vllm25paged_attention_v1_kernelI14__hip_bfloat16S1_Li64ELi32ELi128ELNS_18Fp8KVCacheDataTypeE0ELb1EEEvPT_PKS3_PKT0_S9_ifPKiSB_iPKfiiiSD_SD_iiiii.uses_flat_scratch, 0
	.set _ZN4vllm25paged_attention_v1_kernelI14__hip_bfloat16S1_Li64ELi32ELi128ELNS_18Fp8KVCacheDataTypeE0ELb1EEEvPT_PKS3_PKT0_S9_ifPKiSB_iPKfiiiSD_SD_iiiii.has_dyn_sized_stack, 0
	.set _ZN4vllm25paged_attention_v1_kernelI14__hip_bfloat16S1_Li64ELi32ELi128ELNS_18Fp8KVCacheDataTypeE0ELb1EEEvPT_PKS3_PKT0_S9_ifPKiSB_iPKfiiiSD_SD_iiiii.has_recursion, 0
	.set _ZN4vllm25paged_attention_v1_kernelI14__hip_bfloat16S1_Li64ELi32ELi128ELNS_18Fp8KVCacheDataTypeE0ELb1EEEvPT_PKS3_PKT0_S9_ifPKiSB_iPKfiiiSD_SD_iiiii.has_indirect_call, 0
	.section	.AMDGPU.csdata,"",@progbits
; Kernel info:
; codeLenInByte = 6916
; TotalNumSgprs: 48
; NumVgprs: 64
; ScratchSize: 0
; MemoryBound: 0
; FloatMode: 240
; IeeeMode: 1
; LDSByteSize: 144 bytes/workgroup (compile time only)
; SGPRBlocks: 5
; VGPRBlocks: 15
; NumSGPRsForWavesPerEU: 48
; NumVGPRsForWavesPerEU: 64
; Occupancy: 4
; WaveLimiterHint : 1
; COMPUTE_PGM_RSRC2:SCRATCH_EN: 0
; COMPUTE_PGM_RSRC2:USER_SGPR: 6
; COMPUTE_PGM_RSRC2:TRAP_HANDLER: 0
; COMPUTE_PGM_RSRC2:TGID_X_EN: 1
; COMPUTE_PGM_RSRC2:TGID_Y_EN: 1
; COMPUTE_PGM_RSRC2:TGID_Z_EN: 1
; COMPUTE_PGM_RSRC2:TIDIG_COMP_CNT: 0
	.section	.text._ZN4vllm25paged_attention_v1_kernelI14__hip_bfloat16S1_Li80ELi32ELi128ELNS_18Fp8KVCacheDataTypeE0ELb1EEEvPT_PKS3_PKT0_S9_ifPKiSB_iPKfiiiSD_SD_iiiii,"axG",@progbits,_ZN4vllm25paged_attention_v1_kernelI14__hip_bfloat16S1_Li80ELi32ELi128ELNS_18Fp8KVCacheDataTypeE0ELb1EEEvPT_PKS3_PKT0_S9_ifPKiSB_iPKfiiiSD_SD_iiiii,comdat
	.protected	_ZN4vllm25paged_attention_v1_kernelI14__hip_bfloat16S1_Li80ELi32ELi128ELNS_18Fp8KVCacheDataTypeE0ELb1EEEvPT_PKS3_PKT0_S9_ifPKiSB_iPKfiiiSD_SD_iiiii ; -- Begin function _ZN4vllm25paged_attention_v1_kernelI14__hip_bfloat16S1_Li80ELi32ELi128ELNS_18Fp8KVCacheDataTypeE0ELb1EEEvPT_PKS3_PKT0_S9_ifPKiSB_iPKfiiiSD_SD_iiiii
	.globl	_ZN4vllm25paged_attention_v1_kernelI14__hip_bfloat16S1_Li80ELi32ELi128ELNS_18Fp8KVCacheDataTypeE0ELb1EEEvPT_PKS3_PKT0_S9_ifPKiSB_iPKfiiiSD_SD_iiiii
	.p2align	8
	.type	_ZN4vllm25paged_attention_v1_kernelI14__hip_bfloat16S1_Li80ELi32ELi128ELNS_18Fp8KVCacheDataTypeE0ELb1EEEvPT_PKS3_PKT0_S9_ifPKiSB_iPKfiiiSD_SD_iiiii,@function
_ZN4vllm25paged_attention_v1_kernelI14__hip_bfloat16S1_Li80ELi32ELi128ELNS_18Fp8KVCacheDataTypeE0ELb1EEEvPT_PKS3_PKT0_S9_ifPKiSB_iPKfiiiSD_SD_iiiii: ; @_ZN4vllm25paged_attention_v1_kernelI14__hip_bfloat16S1_Li80ELi32ELi128ELNS_18Fp8KVCacheDataTypeE0ELb1EEEvPT_PKS3_PKT0_S9_ifPKiSB_iPKfiiiSD_SD_iiiii
; %bb.0:
	s_mov_b64 s[50:51], s[2:3]
	s_mov_b64 s[48:49], s[0:1]
	s_add_u32 s48, s48, s9
	s_load_dword s9, s[4:5], 0x80
	s_load_dwordx2 s[0:1], s[4:5], 0x30
	s_load_dwordx2 s[30:31], s[4:5], 0x20
	s_addc_u32 s49, s49, 0
	s_mov_b32 s10, s7
	s_ashr_i32 s11, s7, 31
	s_lshl_b64 s[2:3], s[10:11], 2
	s_waitcnt lgkmcnt(0)
	s_add_u32 s0, s0, s2
	s_addc_u32 s1, s1, s3
	s_abs_i32 s2, s30
	v_cvt_f32_u32_e32 v1, s2
	s_sub_i32 s11, 0, s2
	s_abs_i32 s7, s9
	s_xor_b32 s3, s9, s30
	v_rcp_iflag_f32_e32 v1, v1
	s_ashr_i32 s3, s3, 31
	v_mov_b32_e32 v12, v0
	s_mov_b32 s42, 0
	v_mul_f32_e32 v1, 0x4f7ffffe, v1
	v_cvt_u32_f32_e32 v1, v1
	v_readfirstlane_b32 s12, v1
	s_mul_i32 s11, s11, s12
	s_mul_hi_u32 s11, s12, s11
	s_add_i32 s12, s12, s11
	s_mul_hi_u32 s11, s7, s12
	s_mul_i32 s12, s11, s2
	s_sub_i32 s7, s7, s12
	s_add_i32 s12, s11, 1
	s_sub_i32 s13, s7, s2
	s_cmp_ge_u32 s7, s2
	s_cselect_b32 s11, s12, s11
	s_cselect_b32 s7, s13, s7
	s_add_i32 s12, s11, 1
	s_cmp_ge_u32 s7, s2
	s_cselect_b32 s2, s12, s11
	s_xor_b32 s2, s2, s3
	s_sub_i32 s12, s2, s3
	s_abs_i32 s11, s12
	v_cvt_f32_u32_e32 v1, s11
	s_load_dwordx2 s[2:3], s[4:5], 0x40
	s_sub_i32 s7, 0, s11
	s_abs_i32 s22, s6
	v_rcp_iflag_f32_e32 v1, v1
	v_mul_f32_e32 v1, 0x4f7ffffe, v1
	v_cvt_u32_f32_e32 v1, v1
	v_readfirstlane_b32 s13, v1
	s_mul_i32 s7, s7, s13
	s_mul_hi_u32 s7, s13, s7
	s_add_i32 s13, s13, s7
	s_waitcnt lgkmcnt(0)
	s_cmp_eq_u64 s[2:3], 0
	s_mul_hi_u32 s23, s22, s13
	s_cbranch_scc1 .LBB146_2
; %bb.1:
	s_ashr_i32 s7, s6, 31
	s_lshl_b64 s[14:15], s[6:7], 2
	s_add_u32 s2, s2, s14
	s_addc_u32 s3, s3, s15
	s_load_dword s42, s[2:3], 0x0
.LBB146_2:
	s_load_dword s33, s[0:1], 0x0
	s_ashr_i32 s7, s12, 31
	s_load_dwordx4 s[12:15], s[4:5], 0x48
	s_ashr_i32 s2, s6, 31
	v_and_b32_e32 v1, 1, v12
	s_movk_i32 s3, 0x50
	s_mul_i32 s20, s6, 0x50
	v_cmp_gt_u32_e32 vcc, 20, v12
	v_lshlrev_b32_e32 v13, 3, v12
	s_and_saveexec_b64 s[0:1], vcc
	s_cbranch_execz .LBB146_4
; %bb.3:
	s_load_dwordx2 s[16:17], s[4:5], 0x8
	s_waitcnt lgkmcnt(0)
	s_mul_i32 s18, s12, s10
	s_ashr_i32 s19, s18, 31
	s_lshl_b64 s[18:19], s[18:19], 1
	v_lshlrev_b32_e32 v4, 2, v12
	s_add_u32 s12, s16, s18
	s_addc_u32 s15, s17, s19
	s_ashr_i32 s21, s20, 31
	s_lshl_b64 s[16:17], s[20:21], 1
	s_add_u32 s16, s12, s16
	s_addc_u32 s17, s15, s17
	global_load_dwordx2 v[2:3], v13, s[16:17]
	v_and_b32_e32 v4, 0xff8, v4
	v_mad_u32_u24 v4, v1, s3, v4
	s_waitcnt vmcnt(0)
	ds_write_b64 v4, v[2:3]
.LBB146_4:
	s_or_b64 exec, exec, s[0:1]
	s_mul_i32 s1, s23, s11
	s_sub_i32 s1, s22, s1
	s_xor_b32 s0, s2, s7
	s_add_i32 s2, s23, 1
	s_sub_i32 s7, s1, s11
	s_load_dwordx4 s[16:19], s[4:5], 0x68
	s_load_dword s3, s[4:5], 0x78
	s_cmp_ge_u32 s1, s11
	s_cselect_b32 s2, s2, s23
	s_cselect_b32 s1, s7, s1
	s_add_i32 s7, s2, 1
	s_cmp_ge_u32 s1, s11
	s_cselect_b32 s1, s7, s2
	s_waitcnt lgkmcnt(0)
	s_abs_i32 s21, s19
	v_cvt_f32_u32_e32 v2, s21
	s_xor_b32 s1, s1, s0
	s_sub_i32 s2, s1, s0
	s_sub_i32 s0, 0, s21
	v_rcp_iflag_f32_e32 v2, v2
	s_add_i32 s11, s33, -1
	s_abs_i32 s7, s11
	v_mul_f32_e32 v2, 0x4f7ffffe, v2
	v_cvt_u32_f32_e32 v2, v2
	s_barrier
	v_readfirstlane_b32 s40, v2
	s_mul_i32 s0, s0, s40
	s_mul_hi_u32 s0, s40, s0
	s_add_i32 s40, s40, s0
	s_cmp_lt_i32 s3, 0
	s_mul_hi_u32 s12, s7, s40
	s_cbranch_scc0 .LBB146_6
; %bb.5:
	s_mul_i32 s0, s16, s30
	s_add_i32 s0, s2, s0
	s_mul_i32 s0, s0, s3
	s_sub_i32 s41, 1, s0
	s_mov_b64 s[0:1], 0
	s_branch .LBB146_7
.LBB146_6:
	s_mov_b64 s[0:1], -1
                                        ; implicit-def: $sgpr41
.LBB146_7:
	s_load_dwordx2 s[24:25], s[4:5], 0x28
	s_ashr_i32 s15, s11, 31
	s_andn2_b64 vcc, exec, s[0:1]
	s_ashr_i32 s19, s19, 31
	s_cbranch_vccnz .LBB146_9
; %bb.8:
	s_mul_i32 s0, s9, s16
	s_add_i32 s0, s0, s6
	s_mul_i32 s0, s0, s3
	s_add_i32 s41, s0, 1
.LBB146_9:
	s_load_dword s0, s[4:5], 0x38
	s_load_dwordx2 s[22:23], s[4:5], 0x0
	s_load_dwordx2 s[28:29], s[4:5], 0x18
	s_load_dword s11, s[4:5], 0x88
	s_xor_b32 s1, s15, s19
	s_waitcnt lgkmcnt(0)
	s_mul_i32 s26, s0, s10
	s_mul_i32 s0, s12, s21
	s_sub_i32 s0, s7, s0
	s_ashr_i32 s27, s26, 31
	s_add_i32 s3, s12, 1
	s_sub_i32 s6, s0, s21
	s_cmp_ge_u32 s0, s21
	s_cselect_b32 s3, s3, s12
	s_cselect_b32 s0, s6, s0
	s_add_i32 s6, s3, 1
	s_cmp_ge_u32 s0, s21
	s_cselect_b32 s0, s6, s3
	s_xor_b32 s0, s0, s1
	s_sub_i32 s12, s0, s1
	s_add_i32 s0, s33, 31
	s_ashr_i32 s1, s0, 31
	s_lshr_b32 s1, s1, 27
	s_add_i32 s0, s0, s1
	s_ashr_i32 s16, s0, 5
	v_lshrrev_b32_e32 v31, 6, v12
	v_cmp_gt_i32_e64 s[0:1], s16, v31
	v_mov_b32_e32 v21, 0xff7fffff
	s_mul_i32 s14, s2, s14
	v_lshrrev_b32_e32 v14, 4, v12
	v_lshlrev_b32_e32 v32, 5, v31
	v_mbcnt_lo_u32_b32 v0, -1, 0
	s_and_saveexec_b64 s[34:35], s[0:1]
	s_cbranch_execz .LBB146_21
; %bb.10:
	s_load_dwordx2 s[2:3], s[4:5], 0x10
	s_ashr_i32 s15, s14, 31
	s_sub_i32 s30, s12, s17
	s_lshl_b64 s[4:5], s[14:15], 1
	v_bfe_u32 v7, v12, 1, 5
	s_waitcnt lgkmcnt(0)
	s_add_u32 s2, s2, s4
	s_addc_u32 s3, s3, s5
	s_abs_i32 s15, s18
	v_cvt_f32_u32_e32 v2, s15
	v_lshlrev_b32_e32 v4, 4, v7
	v_mov_b32_e32 v5, s3
	s_sub_i32 s3, 0, s15
	v_rcp_iflag_f32_e32 v2, v2
	v_and_b32_e32 v3, 8, v13
	buffer_store_dword v12, off, s[48:51], 0 offset:12 ; 4-byte Folded Spill
	buffer_store_dword v13, off, s[48:51], 0 offset:16 ; 4-byte Folded Spill
	v_mul_f32_e32 v2, 0x4f7ffffe, v2
	v_cvt_u32_f32_e32 v2, v2
	buffer_store_dword v14, off, s[48:51], 0 offset:20 ; 4-byte Folded Spill
	s_lshl_b64 s[4:5], s[26:27], 2
	s_add_u32 s4, s24, s4
	v_mul_lo_u32 v6, s3, v2
	v_add_co_u32_e64 v4, s[2:3], s2, v4
	v_addc_co_u32_e64 v5, s[2:3], 0, v5, s[2:3]
	v_add_co_u32_e64 v3, s[2:3], v4, v3
	buffer_store_dword v3, off, s[48:51], 0 ; 4-byte Folded Spill
	v_subrev_u32_e32 v3, s33, v7
	v_mul_hi_u32 v6, v2, v6
	v_add_u32_e32 v3, 1, v3
	buffer_store_dword v3, off, s[48:51], 0 offset:8 ; 4-byte Folded Spill
	buffer_store_dword v7, off, s[48:51], 0 offset:4 ; 4-byte Folded Spill
	v_lshlrev_b32_e32 v3, 2, v7
	v_lshl_or_b32 v3, v31, 7, v3
	v_cmp_eq_u32_e32 vcc, 0, v1
	v_mul_u32_u24_e32 v22, 0x50, v1
	v_and_b32_e32 v1, 60, v14
	s_addc_u32 s5, s25, s5
	v_add_u32_e32 v26, 0xb0, v3
	v_mbcnt_hi_u32_b32 v3, -1, v0
	v_addc_co_u32_e64 v27, s[2:3], 0, v5, s[2:3]
	v_add_u32_e32 v23, v2, v6
	v_mov_b32_e32 v2, s5
	v_add_co_u32_e64 v1, s[4:5], s4, v1
	v_xor_b32_e32 v25, 1, v3
	v_mov_b32_e32 v0, v3
	v_and_b32_e32 v3, 64, v3
	s_mov_b32 s43, s13
	v_cmp_neq_f32_e64 s[2:3], s42, 0
	v_addc_co_u32_e64 v2, s[4:5], 0, v2, s[4:5]
	v_lshlrev_b32_e32 v24, 5, v31
	s_mov_b64 s[36:37], 0
	s_movk_i32 s44, 0x1000
	v_add_u32_e32 v29, 64, v3
	v_mov_b32_e32 v21, 0xff7fffff
	v_mov_b32_e32 v30, v31
	s_branch .LBB146_13
.LBB146_11:                             ;   in Loop: Header=BB146_13 Depth=1
	s_or_b64 exec, exec, s[38:39]
.LBB146_12:                             ;   in Loop: Header=BB146_13 Depth=1
	s_or_b64 exec, exec, s[6:7]
	v_add_co_u32_e64 v1, s[4:5], 8, v1
	v_add_u32_e32 v30, 2, v30
	v_addc_co_u32_e64 v2, s[4:5], 0, v2, s[4:5]
	v_cmp_le_i32_e64 s[4:5], s16, v30
	v_add_u32_e32 v24, 64, v24
	s_or_b64 s[36:37], s[4:5], s[36:37]
	v_add_u32_e32 v26, 0x100, v26
	s_andn2_b64 exec, exec, s[36:37]
	s_cbranch_execz .LBB146_20
.LBB146_13:                             ; =>This Inner Loop Header: Depth=1
	v_mul_hi_u32 v3, v24, s40
	s_waitcnt lgkmcnt(0)
	v_mul_lo_u32 v4, v3, s21
	v_add_u32_e32 v5, 1, v3
	v_sub_u32_e32 v4, v24, v4
	v_cmp_le_u32_e64 s[4:5], s21, v4
	v_cndmask_b32_e64 v3, v3, v5, s[4:5]
	v_subrev_u32_e32 v5, s21, v4
	v_cndmask_b32_e64 v4, v4, v5, s[4:5]
	v_add_u32_e32 v5, 1, v3
	v_cmp_le_u32_e64 s[4:5], s21, v4
	v_cndmask_b32_e64 v3, v3, v5, s[4:5]
	v_xor_b32_e32 v3, s19, v3
	v_subrev_u32_e32 v3, s19, v3
	v_add_u32_e32 v4, s41, v3
	v_sub_u32_e32 v5, 0, v4
	v_max_i32_e32 v5, v4, v5
	v_mul_hi_u32 v6, v5, v23
	v_ashrrev_i32_e32 v4, 31, v4
	v_cmp_ge_i32_e64 s[6:7], s30, v3
	v_mul_lo_u32 v6, v6, s15
	v_sub_u32_e32 v5, v5, v6
	v_subrev_u32_e32 v6, s15, v5
	v_cmp_le_u32_e64 s[4:5], s15, v5
	v_cndmask_b32_e64 v5, v5, v6, s[4:5]
	v_subrev_u32_e32 v6, s15, v5
	v_cmp_le_u32_e64 s[4:5], s15, v5
	v_cndmask_b32_e64 v5, v5, v6, s[4:5]
	v_xor_b32_e32 v5, v5, v4
	v_sub_u32_e32 v4, v5, v4
	v_cmp_ne_u32_e64 s[4:5], 0, v4
	s_and_b64 s[4:5], s[4:5], s[6:7]
	s_and_saveexec_b64 s[6:7], s[4:5]
	s_xor_b64 s[4:5], exec, s[6:7]
	s_cbranch_execz .LBB146_17
; %bb.14:                               ;   in Loop: Header=BB146_13 Depth=1
	s_and_saveexec_b64 s[6:7], vcc
; %bb.15:                               ;   in Loop: Header=BB146_13 Depth=1
	v_mov_b32_e32 v3, 0xff7fffff
	ds_write_b32 v26, v3
; %bb.16:                               ;   in Loop: Header=BB146_13 Depth=1
	s_or_b64 exec, exec, s[6:7]
.LBB146_17:                             ;   in Loop: Header=BB146_13 Depth=1
	s_andn2_saveexec_b64 s[6:7], s[4:5]
	s_cbranch_execz .LBB146_12
; %bb.18:                               ;   in Loop: Header=BB146_13 Depth=1
	global_load_dword v4, v[1:2], off
	ds_read_b128 v[6:9], v22
	ds_read_b128 v[33:36], v22 offset:16
	ds_read_b128 v[37:40], v22 offset:32
	;; [unrolled: 1-line block ×4, first 2 shown]
	s_waitcnt lgkmcnt(4)
	v_lshlrev_b32_e32 v15, 16, v6
	v_and_b32_e32 v62, 0xffff0000, v6
	v_lshlrev_b32_e32 v54, 16, v8
	v_lshlrev_b32_e32 v55, 16, v9
	v_and_b32_e32 v28, 0xffff0000, v8
	v_and_b32_e32 v8, 0xffff0000, v9
	s_waitcnt lgkmcnt(3)
	v_lshlrev_b32_e32 v13, 16, v35
	v_and_b32_e32 v14, 0xffff0000, v35
	s_waitcnt lgkmcnt(2)
	v_lshlrev_b32_e32 v59, 16, v37
	v_lshlrev_b32_e32 v47, 16, v39
	;; [unrolled: 1-line block ×3, first 2 shown]
	v_and_b32_e32 v58, 0xffff0000, v37
	v_and_b32_e32 v49, 0xffff0000, v39
	;; [unrolled: 1-line block ×3, first 2 shown]
	s_waitcnt lgkmcnt(1)
	v_lshlrev_b32_e32 v40, 16, v52
	v_and_b32_e32 v41, 0xffff0000, v52
	s_waitcnt lgkmcnt(0)
	v_lshlrev_b32_e32 v37, 16, v17
	v_lshlrev_b32_e32 v35, 16, v18
	v_and_b32_e32 v39, 0xffff0000, v17
	v_and_b32_e32 v52, 0xffff0000, v18
	v_lshlrev_b32_e32 v61, 16, v36
	v_and_b32_e32 v60, 0xffff0000, v36
	v_lshlrev_b32_e32 v57, 16, v38
	;; [unrolled: 2-line block ×7, first 2 shown]
	v_and_b32_e32 v7, 0xffff0000, v7
	v_and_b32_e32 v16, 0xffff0000, v33
	v_lshlrev_b32_e32 v12, 16, v33
	v_lshlrev_b32_e32 v45, 16, v50
	v_and_b32_e32 v48, 0xffff0000, v50
	v_lshlrev_b32_e32 v33, 16, v20
	v_and_b32_e32 v50, 0xffff0000, v20
	s_waitcnt vmcnt(0)
	v_mad_i64_i32 v[4:5], s[4:5], v4, s43, 0
	v_lshlrev_b64 v[5:6], 1, v[4:5]
	buffer_load_dword v4, off, s[48:51], 0  ; 4-byte Folded Reload
	s_waitcnt vmcnt(0)
	v_add_co_u32_e64 v5, s[4:5], v4, v5
	v_addc_co_u32_e64 v6, s[4:5], v27, v6, s[4:5]
	global_load_dwordx2 v[9:10], v[5:6], off offset:512
	global_load_dwordx2 v[17:18], v[5:6], off
	s_waitcnt vmcnt(1)
	v_lshlrev_b32_e32 v4, 16, v9
	v_mul_f32_e32 v53, v54, v4
	s_waitcnt vmcnt(0)
	v_lshlrev_b32_e32 v4, 16, v17
	v_and_b32_e32 v9, 0xffff0000, v9
	v_fmac_f32_e32 v53, v15, v4
	v_and_b32_e32 v4, 0xffff0000, v17
	v_lshlrev_b32_e32 v19, 16, v18
	v_and_b32_e32 v15, 0xffff0000, v18
	v_lshlrev_b32_e32 v18, 16, v10
	v_and_b32_e32 v17, 0xffff0000, v10
	v_mul_f32_e32 v54, v28, v9
	global_load_dwordx2 v[9:10], v[5:6], off offset:1024
	v_mul_f32_e32 v55, v55, v18
	v_fmac_f32_e32 v54, v62, v4
	v_fmac_f32_e32 v55, v3, v19
	global_load_dwordx2 v[3:4], v[5:6], off offset:1536
	v_mul_f32_e32 v62, v8, v17
	v_fmac_f32_e32 v62, v7, v15
	global_load_dwordx2 v[7:8], v[5:6], off offset:2048
	v_add_co_u32_e64 v18, s[4:5], s44, v5
	v_addc_co_u32_e64 v19, s[4:5], 0, v6, s[4:5]
	v_mov_b32_e32 v28, v25
	v_cmp_lt_i32_e64 s[4:5], v28, v29
	s_waitcnt vmcnt(2)
	v_lshlrev_b32_e32 v15, 16, v9
	v_and_b32_e32 v9, 0xffff0000, v9
	v_fmac_f32_e32 v54, v16, v9
	global_load_dwordx2 v[16:17], v[5:6], off offset:2560
	v_lshlrev_b32_e32 v9, 16, v10
	v_fmac_f32_e32 v53, v12, v15
	v_fmac_f32_e32 v55, v11, v9
	global_load_dwordx2 v[11:12], v[5:6], off offset:3072
	v_and_b32_e32 v9, 0xffff0000, v10
	v_fmac_f32_e32 v62, v63, v9
	global_load_dwordx2 v[9:10], v[5:6], off offset:3584
	s_waitcnt vmcnt(4)
	v_lshlrev_b32_e32 v5, 16, v3
	v_and_b32_e32 v3, 0xffff0000, v3
	v_fmac_f32_e32 v53, v13, v5
	v_fmac_f32_e32 v54, v14, v3
	global_load_dwordx2 v[13:14], v[18:19], off
	global_load_dwordx2 v[5:6], v[18:19], off offset:512
	v_lshlrev_b32_e32 v3, 16, v4
	s_waitcnt vmcnt(5)
	v_lshlrev_b32_e32 v15, 16, v7
	v_and_b32_e32 v18, 0xffff0000, v7
	v_and_b32_e32 v4, 0xffff0000, v4
	v_fmac_f32_e32 v55, v61, v3
	v_lshlrev_b32_e32 v19, 16, v8
	v_fmac_f32_e32 v53, v59, v15
	v_fmac_f32_e32 v54, v58, v18
	v_and_b32_e32 v20, 0xffff0000, v8
	v_fmac_f32_e32 v62, v60, v4
	v_fmac_f32_e32 v55, v57, v19
	v_fmac_f32_e32 v62, v56, v20
	s_waitcnt vmcnt(4)
	v_lshlrev_b32_e32 v3, 16, v16
	v_and_b32_e32 v16, 0xffff0000, v16
	v_lshlrev_b32_e32 v8, 16, v17
	v_fmac_f32_e32 v53, v47, v3
	s_waitcnt vmcnt(3)
	v_lshlrev_b32_e32 v4, 16, v11
	v_and_b32_e32 v61, 0xffff0000, v11
	v_fmac_f32_e32 v54, v49, v16
	v_and_b32_e32 v7, 0xffff0000, v17
	v_lshlrev_b32_e32 v60, 16, v12
	v_and_b32_e32 v59, 0xffff0000, v12
	s_waitcnt vmcnt(2)
	v_lshlrev_b32_e32 v12, 16, v9
	v_and_b32_e32 v17, 0xffff0000, v9
	v_fmac_f32_e32 v55, v43, v8
	v_fmac_f32_e32 v53, v45, v4
	;; [unrolled: 1-line block ×3, first 2 shown]
	v_lshlrev_b32_e32 v15, 16, v10
	s_waitcnt vmcnt(1)
	v_lshlrev_b32_e32 v58, 16, v13
	v_and_b32_e32 v57, 0xffff0000, v13
	v_fmac_f32_e32 v62, v46, v7
	v_fmac_f32_e32 v55, v42, v60
	;; [unrolled: 1-line block ×4, first 2 shown]
	v_and_b32_e32 v63, 0xffff0000, v10
	v_lshlrev_b32_e32 v11, 16, v14
	v_and_b32_e32 v9, 0xffff0000, v14
	s_waitcnt vmcnt(0)
	v_lshlrev_b32_e32 v10, 16, v5
	v_and_b32_e32 v14, 0xffff0000, v5
	v_fmac_f32_e32 v62, v44, v59
	v_fmac_f32_e32 v55, v36, v15
	;; [unrolled: 1-line block ×4, first 2 shown]
	v_lshlrev_b32_e32 v13, 16, v6
	v_fmac_f32_e32 v62, v38, v63
	v_fmac_f32_e32 v55, v35, v11
	;; [unrolled: 1-line block ×4, first 2 shown]
	v_and_b32_e32 v6, 0xffff0000, v6
	v_fmac_f32_e32 v62, v52, v9
	v_fmac_f32_e32 v55, v33, v13
	v_add_f32_e32 v3, v53, v54
	v_cndmask_b32_e64 v5, v0, v28, s[4:5]
	v_fmac_f32_e32 v62, v50, v6
	v_add_f32_e32 v3, v3, v55
	v_lshlrev_b32_e32 v5, 2, v5
	v_add_f32_e32 v3, v62, v3
	ds_bpermute_b32 v4, v5, v3
	s_and_saveexec_b64 s[38:39], vcc
	s_cbranch_execz .LBB146_11
; %bb.19:                               ;   in Loop: Header=BB146_13 Depth=1
	buffer_load_dword v5, off, s[48:51], 0 offset:8 ; 4-byte Folded Reload
	buffer_load_dword v6, off, s[48:51], 0 offset:4 ; 4-byte Folded Reload
	s_waitcnt lgkmcnt(0)
	v_add_f32_e32 v3, v3, v4
	s_waitcnt vmcnt(1)
	v_add_u32_e32 v5, v5, v24
	v_cvt_f32_i32_e32 v5, v5
	s_waitcnt vmcnt(0)
	v_add_u32_e32 v6, v6, v24
	v_cmp_gt_i32_e64 s[4:5], s33, v6
	v_mul_f32_e32 v4, s42, v5
	v_cndmask_b32_e64 v4, 0, v4, s[2:3]
	v_fmac_f32_e32 v4, s31, v3
	v_cndmask_b32_e64 v3, 0, v4, s[4:5]
	ds_write_b32 v26, v3
	v_max_f32_e32 v3, v21, v21
	v_max_f32_e32 v3, v3, v4
	v_cndmask_b32_e64 v21, v21, v3, s[4:5]
	s_branch .LBB146_11
.LBB146_20:
	s_or_b64 exec, exec, s[36:37]
	buffer_load_dword v12, off, s[48:51], 0 offset:12 ; 4-byte Folded Reload
	buffer_load_dword v13, off, s[48:51], 0 offset:16 ; 4-byte Folded Reload
	;; [unrolled: 1-line block ×3, first 2 shown]
	v_mbcnt_lo_u32_b32 v0, -1, 0
.LBB146_21:
	s_or_b64 exec, exec, s[34:35]
	v_mbcnt_hi_u32_b32 v1, -1, v0
	v_and_b32_e32 v8, 64, v1
	v_add_u32_e32 v9, 64, v8
	v_xor_b32_e32 v2, 32, v1
	v_cmp_lt_i32_e32 vcc, v2, v9
	v_cndmask_b32_e32 v2, v1, v2, vcc
	v_lshlrev_b32_e32 v2, 2, v2
	ds_bpermute_b32 v3, v2, v21
	v_xor_b32_e32 v5, 16, v1
	s_waitcnt lgkmcnt(1)
	v_max_f32_e32 v4, v21, v21
	v_cmp_lt_i32_e32 vcc, v5, v9
	v_xor_b32_e32 v6, 8, v1
	s_waitcnt lgkmcnt(0)
	v_max_f32_e32 v3, v3, v3
	v_max_f32_e32 v4, v4, v3
	v_cndmask_b32_e32 v3, v1, v5, vcc
	v_lshlrev_b32_e32 v3, 2, v3
	ds_bpermute_b32 v5, v3, v4
	v_cmp_lt_i32_e32 vcc, v6, v9
	v_xor_b32_e32 v7, 4, v1
	v_xor_b32_e32 v10, 2, v1
	s_waitcnt vmcnt(2)
	v_and_b32_e32 v33, 63, v12
	s_waitcnt lgkmcnt(0)
	v_max_f32_e32 v5, v5, v5
	v_max_f32_e32 v5, v4, v5
	v_cndmask_b32_e32 v4, v1, v6, vcc
	v_lshlrev_b32_e32 v4, 2, v4
	ds_bpermute_b32 v6, v4, v5
	v_cmp_lt_i32_e32 vcc, v7, v9
	s_waitcnt lgkmcnt(0)
	v_max_f32_e32 v6, v6, v6
	v_max_f32_e32 v6, v5, v6
	v_cndmask_b32_e32 v5, v1, v7, vcc
	v_lshlrev_b32_e32 v5, 2, v5
	ds_bpermute_b32 v7, v5, v6
	v_cmp_lt_i32_e32 vcc, v10, v9
	s_waitcnt lgkmcnt(0)
	v_max_f32_e32 v7, v7, v7
	v_max_f32_e32 v7, v6, v7
	v_cndmask_b32_e32 v6, v1, v10, vcc
	v_lshlrev_b32_e32 v34, 2, v6
	ds_bpermute_b32 v10, v34, v7
	v_cmp_eq_u32_e32 vcc, 0, v33
	v_lshlrev_b32_e32 v6, 2, v31
	s_and_saveexec_b64 s[2:3], vcc
	s_cbranch_execz .LBB146_23
; %bb.22:
	s_waitcnt lgkmcnt(0)
	v_max_f32_e32 v0, v10, v10
	v_max_f32_e32 v7, v7, v7
	;; [unrolled: 1-line block ×3, first 2 shown]
	ds_write_b32 v6, v0 offset:160
.LBB146_23:
	s_or_b64 exec, exec, s[2:3]
	v_cmp_gt_u32_e64 s[2:3], 2, v33
	s_waitcnt lgkmcnt(0)
	v_mov_b32_e32 v10, 0xff7fffff
	v_lshlrev_b32_e32 v7, 2, v33
	s_waitcnt vmcnt(0)
	s_barrier
	s_and_saveexec_b64 s[4:5], s[2:3]
; %bb.24:
	ds_read_b32 v10, v7 offset:160
; %bb.25:
	s_or_b64 exec, exec, s[4:5]
	v_xor_b32_e32 v0, 1, v1
	v_cmp_lt_i32_e64 s[4:5], v0, v9
	v_cndmask_b32_e64 v0, v1, v0, s[4:5]
	v_lshlrev_b32_e32 v35, 2, v0
	s_waitcnt lgkmcnt(0)
	ds_bpermute_b32 v0, v35, v10
	v_max_f32_e32 v9, v10, v10
	v_lshlrev_b32_e32 v8, 2, v8
	s_lshl_b32 s4, s16, 5
	s_min_i32 s15, s4, s33
	s_waitcnt lgkmcnt(0)
	v_max_f32_e32 v0, v0, v0
	v_max_f32_e32 v0, v9, v0
	ds_bpermute_b32 v9, v8, v0
	v_cmp_gt_i32_e64 s[4:5], s15, v12
	v_mov_b32_e32 v8, 0
	s_and_saveexec_b64 s[30:31], s[4:5]
	s_cbranch_execz .LBB146_29
; %bb.26:
	v_mov_b32_e32 v0, 0xb0
	v_lshl_add_u32 v10, v12, 2, v0
	v_mov_b32_e32 v8, 0
	s_mov_b64 s[34:35], 0
	v_mov_b32_e32 v11, v12
.LBB146_27:                             ; =>This Inner Loop Header: Depth=1
	ds_read_b32 v0, v10
	v_add_u32_e32 v11, 0x80, v11
	v_cmp_le_i32_e64 s[6:7], s15, v11
	s_or_b64 s[34:35], s[6:7], s[34:35]
	s_waitcnt lgkmcnt(0)
	v_sub_f32_e32 v0, v0, v9
	v_mul_f32_e32 v0, 0x3fb8aa3b, v0
	v_exp_f32_e32 v0, v0
	ds_write_b32 v10, v0
	v_add_f32_e32 v8, v8, v0
	v_add_u32_e32 v10, 0x200, v10
	s_andn2_b64 exec, exec, s[34:35]
	s_cbranch_execnz .LBB146_27
; %bb.28:
	s_or_b64 exec, exec, s[34:35]
.LBB146_29:
	s_or_b64 exec, exec, s[30:31]
	ds_bpermute_b32 v0, v2, v8
	s_waitcnt lgkmcnt(0)
	v_add_f32_e32 v0, v8, v0
	ds_bpermute_b32 v2, v3, v0
	s_waitcnt lgkmcnt(0)
	v_add_f32_e32 v0, v0, v2
	ds_bpermute_b32 v2, v4, v0
	s_waitcnt lgkmcnt(0)
	v_add_f32_e32 v0, v0, v2
	ds_bpermute_b32 v2, v5, v0
	s_waitcnt lgkmcnt(0)
	v_add_f32_e32 v0, v0, v2
	ds_bpermute_b32 v2, v34, v0
	s_waitcnt lgkmcnt(0)
	v_add_f32_e32 v0, v0, v2
	ds_bpermute_b32 v2, v35, v0
	s_waitcnt lgkmcnt(0)
	v_add_f32_e32 v2, v0, v2
	s_and_saveexec_b64 s[6:7], vcc
; %bb.30:
	ds_write_b32 v6, v2 offset:168
; %bb.31:
	s_or_b64 exec, exec, s[6:7]
	s_waitcnt lgkmcnt(0)
	s_barrier
	s_and_saveexec_b64 s[6:7], s[2:3]
; %bb.32:
	ds_read_b32 v2, v7 offset:168
; %bb.33:
	s_or_b64 exec, exec, s[6:7]
	s_waitcnt lgkmcnt(0)
	ds_bpermute_b32 v0, v35, v2
	v_lshlrev_b32_e32 v1, 2, v1
	v_and_b32_e32 v1, 0x100, v1
	s_waitcnt lgkmcnt(0)
	v_add_f32_e32 v0, v2, v0
	ds_bpermute_b32 v1, v1, v0
	s_and_saveexec_b64 s[2:3], s[4:5]
	s_cbranch_execz .LBB146_36
; %bb.34:
	s_waitcnt lgkmcnt(0)
	v_add_f32_e32 v0, 0x358637bd, v1
	v_div_scale_f32 v1, s[4:5], v0, v0, 1.0
	v_div_scale_f32 v2, vcc, 1.0, v0, 1.0
	s_mov_b64 s[4:5], 0
	v_rcp_f32_e32 v3, v1
	v_fma_f32 v4, -v1, v3, 1.0
	v_fmac_f32_e32 v3, v4, v3
	v_mul_f32_e32 v4, v2, v3
	v_fma_f32 v5, -v1, v4, v2
	v_fmac_f32_e32 v4, v5, v3
	v_fma_f32 v1, -v1, v4, v2
	v_div_fmas_f32 v2, v1, v3, v4
	v_mov_b32_e32 v1, 0xb0
	v_lshl_add_u32 v1, v12, 2, v1
	v_mov_b32_e32 v3, v12
	v_div_fixup_f32 v2, v2, v0, 1.0
.LBB146_35:                             ; =>This Inner Loop Header: Depth=1
	ds_read_b32 v0, v1
	v_add_u32_e32 v3, 0x80, v3
	v_cmp_le_i32_e32 vcc, s15, v3
	s_or_b64 s[4:5], vcc, s[4:5]
	s_waitcnt lgkmcnt(0)
	v_mul_f32_e32 v0, v2, v0
	ds_write_b32 v1, v0
	v_add_u32_e32 v1, 0x200, v1
	s_andn2_b64 exec, exec, s[4:5]
	s_cbranch_execnz .LBB146_35
.LBB146_36:
	s_or_b64 exec, exec, s[2:3]
	v_mov_b32_e32 v40, 0
	v_and_b32_e32 v36, 3, v12
	v_mov_b32_e32 v41, 0
	v_mov_b32_e32 v39, 0
	;; [unrolled: 1-line block ×4, first 2 shown]
	s_waitcnt lgkmcnt(0)
	s_barrier
	s_and_saveexec_b64 s[4:5], s[0:1]
	s_cbranch_execz .LBB146_52
; %bb.37:
	s_ashr_i32 s15, s14, 31
	s_sub_i32 s17, s12, s17
	s_lshl_b64 s[0:1], s[14:15], 1
	s_add_u32 s0, s28, s0
	s_addc_u32 s1, s29, s1
	s_abs_i32 s18, s18
	v_cvt_f32_u32_e32 v0, s18
	s_sub_i32 s2, 0, s18
	v_lshlrev_b32_e32 v1, 4, v12
	v_and_b32_e32 v1, 0x3f0, v1
	v_rcp_iflag_f32_e32 v0, v0
	s_add_i32 s30, s16, -1
	v_mov_b32_e32 v3, s1
	v_add_co_u32_e32 v44, vcc, s0, v1
	v_mul_f32_e32 v0, 0x4f7ffffe, v0
	v_cvt_u32_f32_e32 v0, v0
	s_lshl_b64 s[0:1], s[26:27], 2
	v_addc_co_u32_e32 v45, vcc, 0, v3, vcc
	v_mul_lo_u32 v2, s2, v0
	s_add_u32 s0, s24, s0
	s_addc_u32 s1, s25, s1
	v_mov_b32_e32 v1, s1
	v_mul_hi_u32 v2, v0, v2
	v_and_b32_e32 v42, 24, v13
	s_mov_b32 s28, s13
	v_mov_b32_e32 v56, v12
	v_add_u32_e32 v46, v0, v2
	v_and_b32_e32 v0, 60, v14
	v_add_co_u32_e32 v29, vcc, s0, v0
	v_lshlrev_b32_e32 v0, 5, v36
	v_lshl_or_b32 v0, v31, 7, v0
	v_mov_b32_e32 v43, 0
	s_mov_b32 s29, s33
	v_addc_co_u32_e32 v30, vcc, 0, v1, vcc
	v_add_u32_e32 v47, 0xb0, v0
	s_mov_b64 s[6:7], 0
	s_mov_b32 s24, 0x5040100
	s_movk_i32 s25, 0x7fff
	v_mov_b32_e32 v37, 0
	v_mov_b32_e32 v38, 0
	;; [unrolled: 1-line block ×5, first 2 shown]
	s_branch .LBB146_40
.LBB146_38:                             ;   in Loop: Header=BB146_40 Depth=1
	s_or_b64 exec, exec, s[2:3]
	s_waitcnt lgkmcnt(1)
	v_bfe_u32 v0, v21, 16, 1
	v_add3_u32 v0, v0, v21, s25
	v_or_b32_e32 v48, 0x400000, v21
	v_cmp_u_f32_e32 vcc, v21, v21
	v_bfe_u32 v21, v22, 16, 1
	v_cndmask_b32_e32 v0, v0, v48, vcc
	v_add3_u32 v21, v21, v22, s25
	v_or_b32_e32 v48, 0x400000, v22
	v_cmp_u_f32_e32 vcc, v22, v22
	v_bfe_u32 v22, v23, 16, 1
	v_cndmask_b32_e32 v21, v21, v48, vcc
	;; [unrolled: 5-line block ×3, first 2 shown]
	v_add3_u32 v23, v23, v24, s25
	v_or_b32_e32 v48, 0x400000, v24
	v_cmp_u_f32_e32 vcc, v24, v24
	s_waitcnt lgkmcnt(0)
	v_bfe_u32 v24, v17, 16, 1
	v_cndmask_b32_e32 v23, v23, v48, vcc
	v_add3_u32 v24, v24, v17, s25
	v_or_b32_e32 v48, 0x400000, v17
	v_cmp_u_f32_e32 vcc, v17, v17
	v_bfe_u32 v17, v18, 16, 1
	v_cndmask_b32_e32 v24, v24, v48, vcc
	v_add3_u32 v17, v17, v18, s25
	v_or_b32_e32 v48, 0x400000, v18
	v_cmp_u_f32_e32 vcc, v18, v18
	v_cndmask_b32_e32 v48, v17, v48, vcc
	v_bfe_u32 v17, v19, 16, 1
	v_add3_u32 v17, v17, v19, s25
	v_or_b32_e32 v18, 0x400000, v19
	v_cmp_u_f32_e32 vcc, v19, v19
	v_cndmask_b32_e32 v49, v17, v18, vcc
	v_bfe_u32 v17, v20, 16, 1
	v_add3_u32 v17, v17, v20, s25
	v_or_b32_e32 v18, 0x400000, v20
	v_cmp_u_f32_e32 vcc, v20, v20
	v_cndmask_b32_e32 v20, v17, v18, vcc
	v_and_b32_e32 v17, 0xffff0000, v21
	s_waitcnt vmcnt(1)
	v_and_b32_e32 v18, 0xffff0000, v25
	v_mul_f32_e32 v18, v17, v18
	v_bfe_u32 v19, v18, 16, 1
	v_add3_u32 v19, v19, v18, s25
	v_or_b32_e32 v21, 0x400000, v18
	v_cmp_u_f32_e32 vcc, v18, v18
	v_cndmask_b32_e32 v50, v19, v21, vcc
	v_and_b32_e32 v21, 0xffff0000, v0
	v_lshlrev_b32_e32 v0, 16, v25
	v_mul_f32_e32 v0, v21, v0
	v_bfe_u32 v18, v0, 16, 1
	v_add3_u32 v18, v18, v0, s25
	v_or_b32_e32 v19, 0x400000, v0
	v_cmp_u_f32_e32 vcc, v0, v0
	v_cndmask_b32_e32 v0, v18, v19, vcc
	v_and_b32_e32 v18, 0xffff0000, v23
	v_and_b32_e32 v19, 0xffff0000, v26
	v_mul_f32_e32 v19, v18, v19
	v_bfe_u32 v23, v19, 16, 1
	v_add3_u32 v23, v23, v19, s25
	v_or_b32_e32 v25, 0x400000, v19
	v_cmp_u_f32_e32 vcc, v19, v19
	v_and_b32_e32 v22, 0xffff0000, v22
	v_lshlrev_b32_e32 v19, 16, v26
	v_mul_f32_e32 v19, v22, v19
	v_cndmask_b32_e32 v25, v23, v25, vcc
	v_bfe_u32 v23, v19, 16, 1
	v_add3_u32 v23, v23, v19, s25
	v_or_b32_e32 v26, 0x400000, v19
	v_cmp_u_f32_e32 vcc, v19, v19
	v_cndmask_b32_e32 v26, v23, v26, vcc
	v_and_b32_e32 v19, 0xffff0000, v48
	v_and_b32_e32 v23, 0xffff0000, v27
	v_mul_f32_e32 v23, v19, v23
	v_bfe_u32 v48, v23, 16, 1
	v_add3_u32 v48, v48, v23, s25
	v_or_b32_e32 v51, 0x400000, v23
	v_cmp_u_f32_e32 vcc, v23, v23
	v_and_b32_e32 v23, 0xffff0000, v24
	v_lshlrev_b32_e32 v24, 16, v27
	v_mul_f32_e32 v24, v23, v24
	v_bfe_u32 v27, v24, 16, 1
	v_cndmask_b32_e32 v48, v48, v51, vcc
	v_add3_u32 v27, v27, v24, s25
	v_or_b32_e32 v51, 0x400000, v24
	v_cmp_u_f32_e32 vcc, v24, v24
	v_and_b32_e32 v20, 0xffff0000, v20
	v_and_b32_e32 v24, 0xffff0000, v28
	v_mul_f32_e32 v24, v20, v24
	v_cndmask_b32_e32 v27, v27, v51, vcc
	v_bfe_u32 v51, v24, 16, 1
	v_add3_u32 v51, v51, v24, s25
	v_or_b32_e32 v52, 0x400000, v24
	v_cmp_u_f32_e32 vcc, v24, v24
	v_and_b32_e32 v24, 0xffff0000, v49
	v_lshlrev_b32_e32 v28, 16, v28
	v_mul_f32_e32 v28, v24, v28
	v_bfe_u32 v49, v28, 16, 1
	v_cndmask_b32_e32 v51, v51, v52, vcc
	v_add3_u32 v49, v49, v28, s25
	v_or_b32_e32 v52, 0x400000, v28
	v_cmp_u_f32_e32 vcc, v28, v28
	v_cndmask_b32_e32 v28, v49, v52, vcc
	v_and_b32_e32 v0, 0xffff0000, v0
	v_and_b32_e32 v49, 0xffff0000, v50
	;; [unrolled: 1-line block ×4, first 2 shown]
	v_add_f32_e32 v0, v0, v49
	v_add_f32_e32 v25, v26, v25
	;; [unrolled: 1-line block ×3, first 2 shown]
	v_and_b32_e32 v25, 0xffff0000, v27
	v_and_b32_e32 v26, 0xffff0000, v48
	v_add_f32_e32 v25, v25, v26
	v_add_f32_e32 v0, v25, v0
	v_and_b32_e32 v25, 0xffff0000, v28
	v_and_b32_e32 v26, 0xffff0000, v51
	v_add_f32_e32 v25, v25, v26
	v_add_f32_e32 v0, v25, v0
	;; [unrolled: 1-line block ×3, first 2 shown]
	v_and_b32_e32 v0, 0xffff0000, v13
	v_mul_f32_e32 v0, v17, v0
	v_bfe_u32 v25, v0, 16, 1
	v_lshlrev_b32_e32 v13, 16, v13
	v_add3_u32 v25, v25, v0, s25
	v_or_b32_e32 v26, 0x400000, v0
	v_cmp_u_f32_e32 vcc, v0, v0
	v_mul_f32_e32 v13, v21, v13
	v_cndmask_b32_e32 v0, v25, v26, vcc
	v_bfe_u32 v25, v13, 16, 1
	v_add3_u32 v25, v25, v13, s25
	v_or_b32_e32 v26, 0x400000, v13
	v_cmp_u_f32_e32 vcc, v13, v13
	v_cndmask_b32_e32 v13, v25, v26, vcc
	v_and_b32_e32 v25, 0xffff0000, v14
	v_mul_f32_e32 v25, v18, v25
	v_bfe_u32 v26, v25, 16, 1
	v_lshlrev_b32_e32 v14, 16, v14
	v_add3_u32 v26, v26, v25, s25
	v_or_b32_e32 v27, 0x400000, v25
	v_cmp_u_f32_e32 vcc, v25, v25
	v_mul_f32_e32 v14, v22, v14
	v_cndmask_b32_e32 v25, v26, v27, vcc
	v_bfe_u32 v26, v14, 16, 1
	v_add3_u32 v26, v26, v14, s25
	v_or_b32_e32 v27, 0x400000, v14
	v_cmp_u_f32_e32 vcc, v14, v14
	v_cndmask_b32_e32 v14, v26, v27, vcc
	v_and_b32_e32 v26, 0xffff0000, v15
	v_mul_f32_e32 v26, v19, v26
	v_bfe_u32 v27, v26, 16, 1
	v_lshlrev_b32_e32 v15, 16, v15
	v_add3_u32 v27, v27, v26, s25
	v_or_b32_e32 v28, 0x400000, v26
	v_cmp_u_f32_e32 vcc, v26, v26
	v_mul_f32_e32 v15, v23, v15
	v_cndmask_b32_e32 v26, v27, v28, vcc
	v_bfe_u32 v27, v15, 16, 1
	v_add3_u32 v27, v27, v15, s25
	v_or_b32_e32 v28, 0x400000, v15
	v_cmp_u_f32_e32 vcc, v15, v15
	v_cndmask_b32_e32 v15, v27, v28, vcc
	v_and_b32_e32 v27, 0xffff0000, v16
	v_mul_f32_e32 v27, v20, v27
	v_bfe_u32 v28, v27, 16, 1
	v_lshlrev_b32_e32 v16, 16, v16
	v_and_b32_e32 v13, 0xffff0000, v13
	v_and_b32_e32 v0, 0xffff0000, v0
	v_add3_u32 v28, v28, v27, s25
	v_or_b32_e32 v48, 0x400000, v27
	v_cmp_u_f32_e32 vcc, v27, v27
	v_mul_f32_e32 v16, v24, v16
	v_add_f32_e32 v0, v13, v0
	v_and_b32_e32 v13, 0xffff0000, v14
	v_and_b32_e32 v14, 0xffff0000, v25
	v_cndmask_b32_e32 v27, v28, v48, vcc
	v_bfe_u32 v28, v16, 16, 1
	v_add_f32_e32 v13, v13, v14
	v_add3_u32 v28, v28, v16, s25
	v_or_b32_e32 v48, 0x400000, v16
	v_cmp_u_f32_e32 vcc, v16, v16
	v_add_f32_e32 v0, v13, v0
	v_and_b32_e32 v13, 0xffff0000, v15
	v_and_b32_e32 v14, 0xffff0000, v26
	v_cndmask_b32_e32 v16, v28, v48, vcc
	v_add_f32_e32 v13, v13, v14
	v_add_f32_e32 v0, v13, v0
	v_and_b32_e32 v13, 0xffff0000, v16
	v_and_b32_e32 v14, 0xffff0000, v27
	v_add_f32_e32 v13, v13, v14
	v_add_f32_e32 v0, v13, v0
	;; [unrolled: 1-line block ×3, first 2 shown]
	v_and_b32_e32 v0, 0xffff0000, v5
	v_mul_f32_e32 v0, v17, v0
	v_bfe_u32 v13, v0, 16, 1
	v_lshlrev_b32_e32 v5, 16, v5
	v_add3_u32 v13, v13, v0, s25
	v_or_b32_e32 v14, 0x400000, v0
	v_cmp_u_f32_e32 vcc, v0, v0
	v_mul_f32_e32 v5, v21, v5
	v_cndmask_b32_e32 v0, v13, v14, vcc
	v_bfe_u32 v13, v5, 16, 1
	v_add3_u32 v13, v13, v5, s25
	v_or_b32_e32 v14, 0x400000, v5
	v_cmp_u_f32_e32 vcc, v5, v5
	v_cndmask_b32_e32 v5, v13, v14, vcc
	v_and_b32_e32 v13, 0xffff0000, v6
	v_mul_f32_e32 v13, v18, v13
	v_bfe_u32 v14, v13, 16, 1
	v_lshlrev_b32_e32 v6, 16, v6
	v_add3_u32 v14, v14, v13, s25
	v_or_b32_e32 v15, 0x400000, v13
	v_cmp_u_f32_e32 vcc, v13, v13
	v_mul_f32_e32 v6, v22, v6
	v_cndmask_b32_e32 v13, v14, v15, vcc
	v_bfe_u32 v14, v6, 16, 1
	v_add3_u32 v14, v14, v6, s25
	v_or_b32_e32 v15, 0x400000, v6
	v_cmp_u_f32_e32 vcc, v6, v6
	v_cndmask_b32_e32 v6, v14, v15, vcc
	;; [unrolled: 14-line block ×3, first 2 shown]
	v_and_b32_e32 v15, 0xffff0000, v8
	v_mul_f32_e32 v15, v20, v15
	v_bfe_u32 v16, v15, 16, 1
	v_lshlrev_b32_e32 v8, 16, v8
	v_and_b32_e32 v5, 0xffff0000, v5
	v_and_b32_e32 v0, 0xffff0000, v0
	v_add3_u32 v16, v16, v15, s25
	v_or_b32_e32 v25, 0x400000, v15
	v_cmp_u_f32_e32 vcc, v15, v15
	v_mul_f32_e32 v8, v24, v8
	v_add_f32_e32 v0, v5, v0
	v_and_b32_e32 v5, 0xffff0000, v6
	v_and_b32_e32 v6, 0xffff0000, v13
	v_cndmask_b32_e32 v15, v16, v25, vcc
	v_bfe_u32 v16, v8, 16, 1
	v_add_f32_e32 v5, v5, v6
	v_add3_u32 v16, v16, v8, s25
	v_or_b32_e32 v25, 0x400000, v8
	v_cmp_u_f32_e32 vcc, v8, v8
	v_add_f32_e32 v0, v5, v0
	v_and_b32_e32 v5, 0xffff0000, v7
	v_and_b32_e32 v6, 0xffff0000, v14
	v_cndmask_b32_e32 v8, v16, v25, vcc
	v_add_f32_e32 v5, v5, v6
	v_add_f32_e32 v0, v5, v0
	v_and_b32_e32 v5, 0xffff0000, v8
	v_and_b32_e32 v6, 0xffff0000, v15
	v_add_f32_e32 v5, v5, v6
	v_add_f32_e32 v0, v5, v0
	;; [unrolled: 1-line block ×3, first 2 shown]
	v_and_b32_e32 v0, 0xffff0000, v1
	v_mul_f32_e32 v0, v17, v0
	v_bfe_u32 v5, v0, 16, 1
	v_lshlrev_b32_e32 v1, 16, v1
	v_add3_u32 v5, v5, v0, s25
	v_or_b32_e32 v6, 0x400000, v0
	v_cmp_u_f32_e32 vcc, v0, v0
	v_mul_f32_e32 v1, v21, v1
	v_cndmask_b32_e32 v0, v5, v6, vcc
	v_bfe_u32 v5, v1, 16, 1
	v_add3_u32 v5, v5, v1, s25
	v_or_b32_e32 v6, 0x400000, v1
	v_cmp_u_f32_e32 vcc, v1, v1
	v_cndmask_b32_e32 v1, v5, v6, vcc
	v_and_b32_e32 v5, 0xffff0000, v2
	v_mul_f32_e32 v5, v18, v5
	v_bfe_u32 v6, v5, 16, 1
	v_lshlrev_b32_e32 v2, 16, v2
	v_add3_u32 v6, v6, v5, s25
	v_or_b32_e32 v7, 0x400000, v5
	v_cmp_u_f32_e32 vcc, v5, v5
	v_mul_f32_e32 v2, v22, v2
	v_cndmask_b32_e32 v5, v6, v7, vcc
	v_bfe_u32 v6, v2, 16, 1
	v_add3_u32 v6, v6, v2, s25
	v_or_b32_e32 v7, 0x400000, v2
	v_cmp_u_f32_e32 vcc, v2, v2
	v_cndmask_b32_e32 v2, v6, v7, vcc
	v_and_b32_e32 v6, 0xffff0000, v3
	v_mul_f32_e32 v6, v19, v6
	v_bfe_u32 v7, v6, 16, 1
	v_lshlrev_b32_e32 v3, 16, v3
	v_add3_u32 v7, v7, v6, s25
	v_or_b32_e32 v8, 0x400000, v6
	v_cmp_u_f32_e32 vcc, v6, v6
	v_mul_f32_e32 v3, v23, v3
	v_cndmask_b32_e32 v6, v7, v8, vcc
	v_bfe_u32 v7, v3, 16, 1
	v_add3_u32 v7, v7, v3, s25
	v_or_b32_e32 v8, 0x400000, v3
	v_cmp_u_f32_e32 vcc, v3, v3
	v_cndmask_b32_e32 v3, v7, v8, vcc
	v_and_b32_e32 v7, 0xffff0000, v4
	v_mul_f32_e32 v7, v20, v7
	v_bfe_u32 v8, v7, 16, 1
	v_lshlrev_b32_e32 v4, 16, v4
	v_and_b32_e32 v1, 0xffff0000, v1
	v_and_b32_e32 v0, 0xffff0000, v0
	v_add3_u32 v8, v8, v7, s25
	v_or_b32_e32 v13, 0x400000, v7
	v_cmp_u_f32_e32 vcc, v7, v7
	v_mul_f32_e32 v4, v24, v4
	v_add_f32_e32 v0, v1, v0
	v_and_b32_e32 v1, 0xffff0000, v2
	v_and_b32_e32 v2, 0xffff0000, v5
	v_cndmask_b32_e32 v7, v8, v13, vcc
	v_bfe_u32 v8, v4, 16, 1
	v_add_f32_e32 v1, v1, v2
	v_add3_u32 v8, v8, v4, s25
	v_or_b32_e32 v13, 0x400000, v4
	v_cmp_u_f32_e32 vcc, v4, v4
	v_add_f32_e32 v0, v1, v0
	v_and_b32_e32 v1, 0xffff0000, v3
	v_and_b32_e32 v2, 0xffff0000, v6
	v_cndmask_b32_e32 v4, v8, v13, vcc
	v_add_f32_e32 v1, v1, v2
	v_add_f32_e32 v0, v1, v0
	v_and_b32_e32 v1, 0xffff0000, v4
	v_and_b32_e32 v2, 0xffff0000, v7
	v_add_f32_e32 v1, v1, v2
	v_add_f32_e32 v0, v1, v0
	;; [unrolled: 1-line block ×3, first 2 shown]
	s_waitcnt vmcnt(0)
	v_lshlrev_b32_e32 v0, 16, v9
	v_mul_f32_e32 v0, v21, v0
	v_bfe_u32 v1, v0, 16, 1
	v_add3_u32 v1, v1, v0, s25
	v_or_b32_e32 v2, 0x400000, v0
	v_cmp_u_f32_e32 vcc, v0, v0
	v_cndmask_b32_e32 v0, v1, v2, vcc
	v_and_b32_e32 v1, 0xffff0000, v9
	v_mul_f32_e32 v1, v17, v1
	v_bfe_u32 v2, v1, 16, 1
	v_add3_u32 v2, v2, v1, s25
	v_or_b32_e32 v3, 0x400000, v1
	v_cmp_u_f32_e32 vcc, v1, v1
	v_cndmask_b32_e32 v1, v2, v3, vcc
	v_lshlrev_b32_e32 v2, 16, v10
	v_mul_f32_e32 v2, v22, v2
	v_bfe_u32 v3, v2, 16, 1
	v_add3_u32 v3, v3, v2, s25
	v_or_b32_e32 v4, 0x400000, v2
	v_cmp_u_f32_e32 vcc, v2, v2
	v_cndmask_b32_e32 v2, v3, v4, vcc
	v_and_b32_e32 v3, 0xffff0000, v10
	v_mul_f32_e32 v3, v18, v3
	v_bfe_u32 v4, v3, 16, 1
	v_add3_u32 v4, v4, v3, s25
	v_or_b32_e32 v5, 0x400000, v3
	v_cmp_u_f32_e32 vcc, v3, v3
	v_cndmask_b32_e32 v3, v4, v5, vcc
	;; [unrolled: 14-line block ×3, first 2 shown]
	v_lshlrev_b32_e32 v6, 16, v12
	v_mul_f32_e32 v6, v24, v6
	v_bfe_u32 v7, v6, 16, 1
	v_add3_u32 v7, v7, v6, s25
	v_or_b32_e32 v8, 0x400000, v6
	v_cmp_u_f32_e32 vcc, v6, v6
	v_cndmask_b32_e32 v6, v7, v8, vcc
	v_and_b32_e32 v7, 0xffff0000, v12
	v_and_b32_e32 v1, 0xffff0000, v1
	;; [unrolled: 1-line block ×3, first 2 shown]
	v_mul_f32_e32 v7, v20, v7
	v_add_f32_e32 v0, v0, v1
	v_and_b32_e32 v1, 0xffff0000, v3
	v_and_b32_e32 v2, 0xffff0000, v2
	v_bfe_u32 v8, v7, 16, 1
	v_add_f32_e32 v1, v2, v1
	v_add3_u32 v8, v8, v7, s25
	v_or_b32_e32 v9, 0x400000, v7
	v_cmp_u_f32_e32 vcc, v7, v7
	v_add_f32_e32 v0, v1, v0
	v_and_b32_e32 v1, 0xffff0000, v5
	v_and_b32_e32 v2, 0xffff0000, v4
	v_cndmask_b32_e32 v7, v8, v9, vcc
	v_add_f32_e32 v1, v2, v1
	v_add_f32_e32 v0, v1, v0
	v_and_b32_e32 v1, 0xffff0000, v7
	v_and_b32_e32 v2, 0xffff0000, v6
	v_add_f32_e32 v1, v2, v1
	v_add_f32_e32 v0, v1, v0
	v_add_f32_e32 v37, v37, v0
.LBB146_39:                             ;   in Loop: Header=BB146_40 Depth=1
	s_or_b64 exec, exec, s[12:13]
	v_add_co_u32_e32 v29, vcc, 8, v29
	v_add_u32_e32 v31, 2, v31
	v_addc_co_u32_e32 v30, vcc, 0, v30, vcc
	v_cmp_le_i32_e32 vcc, s16, v31
	v_add_u32_e32 v32, 64, v32
	s_or_b64 s[6:7], vcc, s[6:7]
	v_add_u32_e32 v47, 0x100, v47
	s_andn2_b64 exec, exec, s[6:7]
	s_cbranch_execz .LBB146_51
.LBB146_40:                             ; =>This Inner Loop Header: Depth=1
	v_mul_hi_u32 v0, v32, s40
	v_mul_lo_u32 v1, v0, s21
	v_add_u32_e32 v2, 1, v0
	v_sub_u32_e32 v1, v32, v1
	v_cmp_le_u32_e32 vcc, s21, v1
	v_cndmask_b32_e32 v0, v0, v2, vcc
	v_subrev_u32_e32 v2, s21, v1
	v_cndmask_b32_e32 v1, v1, v2, vcc
	v_add_u32_e32 v2, 1, v0
	v_cmp_le_u32_e32 vcc, s21, v1
	v_cndmask_b32_e32 v0, v0, v2, vcc
	v_xor_b32_e32 v0, s19, v0
	v_subrev_u32_e32 v0, s19, v0
	v_add_u32_e32 v1, s41, v0
	v_sub_u32_e32 v2, 0, v1
	v_max_i32_e32 v2, v1, v2
	v_mul_hi_u32 v3, v2, v46
	v_ashrrev_i32_e32 v1, 31, v1
	v_cmp_lt_i32_e64 s[0:1], s17, v0
	v_mul_lo_u32 v3, v3, s18
	v_sub_u32_e32 v2, v2, v3
	v_subrev_u32_e32 v3, s18, v2
	v_cmp_le_u32_e32 vcc, s18, v2
	v_cndmask_b32_e32 v2, v2, v3, vcc
	v_subrev_u32_e32 v3, s18, v2
	v_cmp_le_u32_e32 vcc, s18, v2
	v_cndmask_b32_e32 v2, v2, v3, vcc
	v_xor_b32_e32 v2, v2, v1
	v_sub_u32_e32 v1, v2, v1
	v_cmp_eq_u32_e32 vcc, 0, v1
	s_or_b64 s[0:1], vcc, s[0:1]
	s_and_saveexec_b64 s[12:13], s[0:1]
	s_cbranch_execz .LBB146_39
; %bb.41:                               ;   in Loop: Header=BB146_40 Depth=1
	global_load_dword v0, v[29:30], off
	v_add_u32_e32 v50, v42, v32
	v_add_u32_e32 v55, 1, v50
	v_or_b32_e32 v53, 3, v50
	v_or_b32_e32 v54, 2, v50
	;; [unrolled: 1-line block ×6, first 2 shown]
	s_waitcnt vmcnt(0)
	v_mad_i64_i32 v[1:2], s[0:1], v0, s28, 0
	v_cmp_eq_u32_e64 s[0:1], s30, v31
	v_lshlrev_b64 v[1:2], 1, v[1:2]
	v_add_co_u32_e32 v9, vcc, v44, v1
	v_addc_co_u32_e32 v10, vcc, v45, v2, vcc
	global_load_dwordx4 v[1:4], v[9:10], off
	ds_read2_b64 v[21:24], v47 offset1:1
	ds_read2_b64 v[17:20], v47 offset0:2 offset1:3
	s_and_saveexec_b64 s[14:15], s[0:1]
	s_cbranch_execnz .LBB146_48
; %bb.42:                               ;   in Loop: Header=BB146_40 Depth=1
	s_or_b64 exec, exec, s[14:15]
	global_load_dwordx4 v[5:8], v[9:10], off offset:1024
	s_and_saveexec_b64 s[14:15], s[0:1]
	s_cbranch_execnz .LBB146_49
.LBB146_43:                             ;   in Loop: Header=BB146_40 Depth=1
	s_or_b64 exec, exec, s[14:15]
	global_load_dwordx4 v[13:16], v[9:10], off offset:2048
	s_and_saveexec_b64 s[14:15], s[0:1]
	s_cbranch_execnz .LBB146_50
.LBB146_44:                             ;   in Loop: Header=BB146_40 Depth=1
	s_or_b64 exec, exec, s[14:15]
	global_load_dwordx4 v[25:28], v[9:10], off offset:3072
	s_and_saveexec_b64 s[14:15], s[0:1]
	s_cbranch_execz .LBB146_46
.LBB146_45:                             ;   in Loop: Header=BB146_40 Depth=1
	v_cmp_gt_i32_e32 vcc, s29, v55
	s_waitcnt vmcnt(0)
	v_cndmask_b32_sdwa v0, v43, v25, vcc dst_sel:DWORD dst_unused:UNUSED_PAD src0_sel:DWORD src1_sel:WORD_1
	v_cmp_gt_i32_e32 vcc, s33, v50
	v_cndmask_b32_e32 v11, 0, v25, vcc
	v_cmp_gt_i32_e32 vcc, s29, v53
	v_cmp_gt_i32_e64 s[2:3], s33, v54
	v_perm_b32 v25, v0, v11, s24
	v_cndmask_b32_e64 v0, 0, v26, s[2:3]
	v_cndmask_b32_sdwa v11, v43, v26, vcc dst_sel:DWORD dst_unused:UNUSED_PAD src0_sel:DWORD src1_sel:WORD_1
	v_cmp_gt_i32_e32 vcc, s29, v51
	v_cmp_gt_i32_e64 s[2:3], s33, v52
	v_perm_b32 v26, v11, v0, s24
	v_cndmask_b32_e64 v0, 0, v27, s[2:3]
	v_cndmask_b32_sdwa v11, v43, v27, vcc dst_sel:DWORD dst_unused:UNUSED_PAD src0_sel:DWORD src1_sel:WORD_1
	;; [unrolled: 5-line block ×3, first 2 shown]
	v_perm_b32 v28, v11, v0, s24
.LBB146_46:                             ;   in Loop: Header=BB146_40 Depth=1
	s_or_b64 exec, exec, s[14:15]
	v_add_co_u32_e32 v9, vcc, 0x1000, v9
	v_addc_co_u32_e32 v10, vcc, 0, v10, vcc
	global_load_dwordx4 v[9:12], v[9:10], off
	s_and_saveexec_b64 s[2:3], s[0:1]
	s_cbranch_execz .LBB146_38
; %bb.47:                               ;   in Loop: Header=BB146_40 Depth=1
	v_cmp_gt_i32_e32 vcc, s29, v55
	s_waitcnt vmcnt(0)
	v_cndmask_b32_sdwa v0, v43, v9, vcc dst_sel:DWORD dst_unused:UNUSED_PAD src0_sel:DWORD src1_sel:WORD_1
	v_cmp_gt_i32_e32 vcc, s33, v50
	v_cndmask_b32_e32 v9, 0, v9, vcc
	v_cmp_gt_i32_e32 vcc, s29, v53
	v_cmp_gt_i32_e64 s[0:1], s33, v54
	v_perm_b32 v9, v0, v9, s24
	v_cndmask_b32_e64 v0, 0, v10, s[0:1]
	v_cndmask_b32_sdwa v10, v43, v10, vcc dst_sel:DWORD dst_unused:UNUSED_PAD src0_sel:DWORD src1_sel:WORD_1
	v_cmp_gt_i32_e32 vcc, s29, v51
	v_cmp_gt_i32_e64 s[0:1], s33, v52
	v_perm_b32 v10, v10, v0, s24
	v_cndmask_b32_e64 v0, 0, v11, s[0:1]
	v_cndmask_b32_sdwa v11, v43, v11, vcc dst_sel:DWORD dst_unused:UNUSED_PAD src0_sel:DWORD src1_sel:WORD_1
	v_cmp_gt_i32_e32 vcc, s29, v48
	v_cmp_gt_i32_e64 s[0:1], s33, v49
	v_perm_b32 v11, v11, v0, s24
	v_cndmask_b32_e64 v0, 0, v12, s[0:1]
	v_cndmask_b32_sdwa v12, v43, v12, vcc dst_sel:DWORD dst_unused:UNUSED_PAD src0_sel:DWORD src1_sel:WORD_1
	v_perm_b32 v12, v12, v0, s24
	s_branch .LBB146_38
.LBB146_48:                             ;   in Loop: Header=BB146_40 Depth=1
	v_cmp_gt_i32_e32 vcc, s29, v55
	s_waitcnt vmcnt(0)
	v_cndmask_b32_sdwa v0, v43, v1, vcc dst_sel:DWORD dst_unused:UNUSED_PAD src0_sel:DWORD src1_sel:WORD_1
	v_cmp_gt_i32_e32 vcc, s33, v50
	v_cndmask_b32_e32 v1, 0, v1, vcc
	v_cmp_gt_i32_e32 vcc, s29, v53
	v_cmp_gt_i32_e64 s[2:3], s33, v54
	v_perm_b32 v1, v0, v1, s24
	v_cndmask_b32_e64 v0, 0, v2, s[2:3]
	v_cndmask_b32_sdwa v2, v43, v2, vcc dst_sel:DWORD dst_unused:UNUSED_PAD src0_sel:DWORD src1_sel:WORD_1
	v_cmp_gt_i32_e32 vcc, s29, v51
	v_cmp_gt_i32_e64 s[2:3], s33, v52
	v_perm_b32 v2, v2, v0, s24
	v_cndmask_b32_e64 v0, 0, v3, s[2:3]
	v_cndmask_b32_sdwa v3, v43, v3, vcc dst_sel:DWORD dst_unused:UNUSED_PAD src0_sel:DWORD src1_sel:WORD_1
	;; [unrolled: 5-line block ×3, first 2 shown]
	v_perm_b32 v4, v4, v0, s24
	s_or_b64 exec, exec, s[14:15]
	global_load_dwordx4 v[5:8], v[9:10], off offset:1024
	s_and_saveexec_b64 s[14:15], s[0:1]
	s_cbranch_execz .LBB146_43
.LBB146_49:                             ;   in Loop: Header=BB146_40 Depth=1
	v_cmp_gt_i32_e32 vcc, s29, v55
	s_waitcnt vmcnt(0)
	v_cndmask_b32_sdwa v0, v43, v5, vcc dst_sel:DWORD dst_unused:UNUSED_PAD src0_sel:DWORD src1_sel:WORD_1
	v_cmp_gt_i32_e32 vcc, s33, v50
	v_cndmask_b32_e32 v5, 0, v5, vcc
	v_cmp_gt_i32_e32 vcc, s29, v53
	v_cmp_gt_i32_e64 s[2:3], s33, v54
	v_perm_b32 v5, v0, v5, s24
	v_cndmask_b32_e64 v0, 0, v6, s[2:3]
	v_cndmask_b32_sdwa v6, v43, v6, vcc dst_sel:DWORD dst_unused:UNUSED_PAD src0_sel:DWORD src1_sel:WORD_1
	v_cmp_gt_i32_e32 vcc, s29, v51
	v_cmp_gt_i32_e64 s[2:3], s33, v52
	v_perm_b32 v6, v6, v0, s24
	v_cndmask_b32_e64 v0, 0, v7, s[2:3]
	v_cndmask_b32_sdwa v7, v43, v7, vcc dst_sel:DWORD dst_unused:UNUSED_PAD src0_sel:DWORD src1_sel:WORD_1
	;; [unrolled: 5-line block ×3, first 2 shown]
	v_perm_b32 v8, v8, v0, s24
	s_or_b64 exec, exec, s[14:15]
	global_load_dwordx4 v[13:16], v[9:10], off offset:2048
	s_and_saveexec_b64 s[14:15], s[0:1]
	s_cbranch_execz .LBB146_44
.LBB146_50:                             ;   in Loop: Header=BB146_40 Depth=1
	v_cmp_gt_i32_e32 vcc, s29, v55
	s_waitcnt vmcnt(0)
	v_cndmask_b32_sdwa v0, v43, v13, vcc dst_sel:DWORD dst_unused:UNUSED_PAD src0_sel:DWORD src1_sel:WORD_1
	v_cmp_gt_i32_e32 vcc, s33, v50
	v_cndmask_b32_e32 v11, 0, v13, vcc
	v_cmp_gt_i32_e32 vcc, s29, v53
	v_cmp_gt_i32_e64 s[2:3], s33, v54
	v_perm_b32 v13, v0, v11, s24
	v_cndmask_b32_e64 v0, 0, v14, s[2:3]
	v_cndmask_b32_sdwa v11, v43, v14, vcc dst_sel:DWORD dst_unused:UNUSED_PAD src0_sel:DWORD src1_sel:WORD_1
	v_cmp_gt_i32_e32 vcc, s29, v51
	v_cmp_gt_i32_e64 s[2:3], s33, v52
	v_perm_b32 v14, v11, v0, s24
	v_cndmask_b32_e64 v0, 0, v15, s[2:3]
	v_cndmask_b32_sdwa v11, v43, v15, vcc dst_sel:DWORD dst_unused:UNUSED_PAD src0_sel:DWORD src1_sel:WORD_1
	;; [unrolled: 5-line block ×3, first 2 shown]
	v_perm_b32 v16, v11, v0, s24
	s_or_b64 exec, exec, s[14:15]
	global_load_dwordx4 v[25:28], v[9:10], off offset:3072
	s_and_saveexec_b64 s[14:15], s[0:1]
	s_cbranch_execnz .LBB146_45
	s_branch .LBB146_46
.LBB146_51:
	s_or_b64 exec, exec, s[6:7]
	v_mov_b32_e32 v12, v56
.LBB146_52:
	s_or_b64 exec, exec, s[4:5]
	ds_bpermute_b32 v0, v34, v40
	ds_bpermute_b32 v1, v34, v41
	;; [unrolled: 1-line block ×5, first 2 shown]
	s_waitcnt lgkmcnt(4)
	v_add_f32_e32 v0, v40, v0
	s_waitcnt lgkmcnt(3)
	v_add_f32_e32 v1, v41, v1
	ds_bpermute_b32 v4, v35, v0
	ds_bpermute_b32 v6, v35, v1
	s_waitcnt lgkmcnt(4)
	v_add_f32_e32 v2, v39, v2
	s_waitcnt lgkmcnt(3)
	v_add_f32_e32 v8, v38, v3
	;; [unrolled: 2-line block ×3, first 2 shown]
	ds_bpermute_b32 v7, v35, v2
	ds_bpermute_b32 v9, v35, v8
	;; [unrolled: 1-line block ×3, first 2 shown]
	s_waitcnt lgkmcnt(4)
	v_add_f32_e32 v5, v0, v4
	s_waitcnt lgkmcnt(3)
	v_add_f32_e32 v4, v1, v6
	v_and_b32_e32 v6, 0x3c3, v12
	s_waitcnt lgkmcnt(2)
	v_add_f32_e32 v3, v2, v7
	s_waitcnt lgkmcnt(1)
	v_add_f32_e32 v2, v8, v9
	;; [unrolled: 2-line block ×3, first 2 shown]
	v_cmp_eq_u32_e32 vcc, 64, v6
	s_barrier
	s_and_saveexec_b64 s[0:1], vcc
	s_cbranch_execz .LBB146_54
; %bb.53:
	v_add_u32_e32 v0, 0xb0, v33
	ds_write2_b32 v0, v5, v4 offset1:16
	ds_write2_b32 v0, v3, v2 offset0:32 offset1:48
	ds_write_b32 v0, v1 offset:256
.LBB146_54:
	s_or_b64 exec, exec, s[0:1]
	v_cmp_gt_u32_e32 vcc, 64, v12
	v_lshrrev_b32_e32 v0, 2, v12
	s_waitcnt lgkmcnt(0)
	s_barrier
	s_and_saveexec_b64 s[0:1], vcc
	s_cbranch_execz .LBB146_62
; %bb.55:
	v_mov_b32_e32 v7, 0xb0
	v_cmp_eq_u32_e32 vcc, 0, v36
	v_lshl_add_u32 v7, v0, 2, v7
	s_and_saveexec_b64 s[2:3], vcc
	s_cbranch_execnz .LBB146_65
; %bb.56:
	s_or_b64 exec, exec, s[2:3]
	s_and_saveexec_b64 s[2:3], vcc
	s_cbranch_execnz .LBB146_66
.LBB146_57:
	s_or_b64 exec, exec, s[2:3]
	s_and_saveexec_b64 s[2:3], vcc
	s_cbranch_execnz .LBB146_67
.LBB146_58:
	s_or_b64 exec, exec, s[2:3]
	s_and_saveexec_b64 s[2:3], vcc
	s_cbranch_execnz .LBB146_68
.LBB146_59:
	s_or_b64 exec, exec, s[2:3]
	s_and_saveexec_b64 s[2:3], vcc
	s_cbranch_execz .LBB146_61
.LBB146_60:
	ds_read_b32 v7, v7 offset:256
	s_waitcnt lgkmcnt(0)
	v_add_f32_e32 v1, v1, v7
.LBB146_61:
	s_or_b64 exec, exec, s[2:3]
.LBB146_62:
	s_or_b64 exec, exec, s[0:1]
	v_cmp_eq_u32_e32 vcc, 0, v6
	s_barrier
	s_and_saveexec_b64 s[0:1], vcc
	s_cbranch_execz .LBB146_64
; %bb.63:
	s_mul_i32 s0, s10, s11
	s_mul_i32 s0, s0, s9
	s_mulk_i32 s0, 0x50
	s_ashr_i32 s1, s0, 31
	s_lshl_b64 s[0:1], s[0:1], 1
	s_add_u32 s2, s22, s0
	s_mul_i32 s0, s11, s20
	s_addc_u32 s3, s23, s1
	s_ashr_i32 s1, s0, 31
	s_lshl_b64 s[0:1], s[0:1], 1
	s_add_u32 s2, s2, s0
	s_mul_i32 s0, s8, 0x50
	s_addc_u32 s3, s3, s1
	s_ashr_i32 s1, s0, 31
	s_lshl_b64 s[0:1], s[0:1], 1
	s_add_u32 s0, s2, s0
	v_bfe_u32 v6, v5, 16, 1
	s_movk_i32 s2, 0x7fff
	v_add3_u32 v6, v6, v5, s2
	v_or_b32_e32 v7, 0x400000, v5
	v_cmp_u_f32_e32 vcc, v5, v5
	s_addc_u32 s1, s3, s1
	v_lshlrev_b32_e32 v0, 1, v0
	v_cndmask_b32_e32 v5, v6, v7, vcc
	global_store_short_d16_hi v0, v5, s[0:1]
	v_bfe_u32 v5, v4, 16, 1
	v_add3_u32 v5, v5, v4, s2
	v_or_b32_e32 v6, 0x400000, v4
	v_cmp_u_f32_e32 vcc, v4, v4
	v_cndmask_b32_e32 v4, v5, v6, vcc
	global_store_short_d16_hi v0, v4, s[0:1] offset:32
	v_bfe_u32 v4, v3, 16, 1
	v_add3_u32 v4, v4, v3, s2
	v_or_b32_e32 v5, 0x400000, v3
	v_cmp_u_f32_e32 vcc, v3, v3
	v_cndmask_b32_e32 v3, v4, v5, vcc
	global_store_short_d16_hi v0, v3, s[0:1] offset:64
	;; [unrolled: 6-line block ×4, first 2 shown]
.LBB146_64:
	s_endpgm
.LBB146_65:
	ds_read_b32 v8, v7
	s_waitcnt lgkmcnt(0)
	v_add_f32_e32 v5, v5, v8
	s_or_b64 exec, exec, s[2:3]
	s_and_saveexec_b64 s[2:3], vcc
	s_cbranch_execz .LBB146_57
.LBB146_66:
	ds_read_b32 v8, v7 offset:64
	s_waitcnt lgkmcnt(0)
	v_add_f32_e32 v4, v4, v8
	s_or_b64 exec, exec, s[2:3]
	s_and_saveexec_b64 s[2:3], vcc
	s_cbranch_execz .LBB146_58
.LBB146_67:
	ds_read_b32 v8, v7 offset:128
	s_waitcnt lgkmcnt(0)
	v_add_f32_e32 v3, v3, v8
	s_or_b64 exec, exec, s[2:3]
	s_and_saveexec_b64 s[2:3], vcc
	s_cbranch_execz .LBB146_59
.LBB146_68:
	ds_read_b32 v8, v7 offset:192
	s_waitcnt lgkmcnt(0)
	v_add_f32_e32 v2, v2, v8
	s_or_b64 exec, exec, s[2:3]
	s_and_saveexec_b64 s[2:3], vcc
	s_cbranch_execnz .LBB146_60
	s_branch .LBB146_61
	.section	.rodata,"a",@progbits
	.p2align	6, 0x0
	.amdhsa_kernel _ZN4vllm25paged_attention_v1_kernelI14__hip_bfloat16S1_Li80ELi32ELi128ELNS_18Fp8KVCacheDataTypeE0ELb1EEEvPT_PKS3_PKT0_S9_ifPKiSB_iPKfiiiSD_SD_iiiii
		.amdhsa_group_segment_fixed_size 176
		.amdhsa_private_segment_fixed_size 28
		.amdhsa_kernarg_size 384
		.amdhsa_user_sgpr_count 6
		.amdhsa_user_sgpr_private_segment_buffer 1
		.amdhsa_user_sgpr_dispatch_ptr 0
		.amdhsa_user_sgpr_queue_ptr 0
		.amdhsa_user_sgpr_kernarg_segment_ptr 1
		.amdhsa_user_sgpr_dispatch_id 0
		.amdhsa_user_sgpr_flat_scratch_init 0
		.amdhsa_user_sgpr_private_segment_size 0
		.amdhsa_uses_dynamic_stack 0
		.amdhsa_system_sgpr_private_segment_wavefront_offset 1
		.amdhsa_system_sgpr_workgroup_id_x 1
		.amdhsa_system_sgpr_workgroup_id_y 1
		.amdhsa_system_sgpr_workgroup_id_z 1
		.amdhsa_system_sgpr_workgroup_info 0
		.amdhsa_system_vgpr_workitem_id 0
		.amdhsa_next_free_vgpr 64
		.amdhsa_next_free_sgpr 52
		.amdhsa_reserve_vcc 1
		.amdhsa_reserve_flat_scratch 0
		.amdhsa_float_round_mode_32 0
		.amdhsa_float_round_mode_16_64 0
		.amdhsa_float_denorm_mode_32 3
		.amdhsa_float_denorm_mode_16_64 3
		.amdhsa_dx10_clamp 1
		.amdhsa_ieee_mode 1
		.amdhsa_fp16_overflow 0
		.amdhsa_exception_fp_ieee_invalid_op 0
		.amdhsa_exception_fp_denorm_src 0
		.amdhsa_exception_fp_ieee_div_zero 0
		.amdhsa_exception_fp_ieee_overflow 0
		.amdhsa_exception_fp_ieee_underflow 0
		.amdhsa_exception_fp_ieee_inexact 0
		.amdhsa_exception_int_div_zero 0
	.end_amdhsa_kernel
	.section	.text._ZN4vllm25paged_attention_v1_kernelI14__hip_bfloat16S1_Li80ELi32ELi128ELNS_18Fp8KVCacheDataTypeE0ELb1EEEvPT_PKS3_PKT0_S9_ifPKiSB_iPKfiiiSD_SD_iiiii,"axG",@progbits,_ZN4vllm25paged_attention_v1_kernelI14__hip_bfloat16S1_Li80ELi32ELi128ELNS_18Fp8KVCacheDataTypeE0ELb1EEEvPT_PKS3_PKT0_S9_ifPKiSB_iPKfiiiSD_SD_iiiii,comdat
.Lfunc_end146:
	.size	_ZN4vllm25paged_attention_v1_kernelI14__hip_bfloat16S1_Li80ELi32ELi128ELNS_18Fp8KVCacheDataTypeE0ELb1EEEvPT_PKS3_PKT0_S9_ifPKiSB_iPKfiiiSD_SD_iiiii, .Lfunc_end146-_ZN4vllm25paged_attention_v1_kernelI14__hip_bfloat16S1_Li80ELi32ELi128ELNS_18Fp8KVCacheDataTypeE0ELb1EEEvPT_PKS3_PKT0_S9_ifPKiSB_iPKfiiiSD_SD_iiiii
                                        ; -- End function
	.set _ZN4vllm25paged_attention_v1_kernelI14__hip_bfloat16S1_Li80ELi32ELi128ELNS_18Fp8KVCacheDataTypeE0ELb1EEEvPT_PKS3_PKT0_S9_ifPKiSB_iPKfiiiSD_SD_iiiii.num_vgpr, 64
	.set _ZN4vllm25paged_attention_v1_kernelI14__hip_bfloat16S1_Li80ELi32ELi128ELNS_18Fp8KVCacheDataTypeE0ELb1EEEvPT_PKS3_PKT0_S9_ifPKiSB_iPKfiiiSD_SD_iiiii.num_agpr, 0
	.set _ZN4vllm25paged_attention_v1_kernelI14__hip_bfloat16S1_Li80ELi32ELi128ELNS_18Fp8KVCacheDataTypeE0ELb1EEEvPT_PKS3_PKT0_S9_ifPKiSB_iPKfiiiSD_SD_iiiii.numbered_sgpr, 52
	.set _ZN4vllm25paged_attention_v1_kernelI14__hip_bfloat16S1_Li80ELi32ELi128ELNS_18Fp8KVCacheDataTypeE0ELb1EEEvPT_PKS3_PKT0_S9_ifPKiSB_iPKfiiiSD_SD_iiiii.num_named_barrier, 0
	.set _ZN4vllm25paged_attention_v1_kernelI14__hip_bfloat16S1_Li80ELi32ELi128ELNS_18Fp8KVCacheDataTypeE0ELb1EEEvPT_PKS3_PKT0_S9_ifPKiSB_iPKfiiiSD_SD_iiiii.private_seg_size, 28
	.set _ZN4vllm25paged_attention_v1_kernelI14__hip_bfloat16S1_Li80ELi32ELi128ELNS_18Fp8KVCacheDataTypeE0ELb1EEEvPT_PKS3_PKT0_S9_ifPKiSB_iPKfiiiSD_SD_iiiii.uses_vcc, 1
	.set _ZN4vllm25paged_attention_v1_kernelI14__hip_bfloat16S1_Li80ELi32ELi128ELNS_18Fp8KVCacheDataTypeE0ELb1EEEvPT_PKS3_PKT0_S9_ifPKiSB_iPKfiiiSD_SD_iiiii.uses_flat_scratch, 0
	.set _ZN4vllm25paged_attention_v1_kernelI14__hip_bfloat16S1_Li80ELi32ELi128ELNS_18Fp8KVCacheDataTypeE0ELb1EEEvPT_PKS3_PKT0_S9_ifPKiSB_iPKfiiiSD_SD_iiiii.has_dyn_sized_stack, 0
	.set _ZN4vllm25paged_attention_v1_kernelI14__hip_bfloat16S1_Li80ELi32ELi128ELNS_18Fp8KVCacheDataTypeE0ELb1EEEvPT_PKS3_PKT0_S9_ifPKiSB_iPKfiiiSD_SD_iiiii.has_recursion, 0
	.set _ZN4vllm25paged_attention_v1_kernelI14__hip_bfloat16S1_Li80ELi32ELi128ELNS_18Fp8KVCacheDataTypeE0ELb1EEEvPT_PKS3_PKT0_S9_ifPKiSB_iPKfiiiSD_SD_iiiii.has_indirect_call, 0
	.section	.AMDGPU.csdata,"",@progbits
; Kernel info:
; codeLenInByte = 8024
; TotalNumSgprs: 56
; NumVgprs: 64
; ScratchSize: 28
; MemoryBound: 0
; FloatMode: 240
; IeeeMode: 1
; LDSByteSize: 176 bytes/workgroup (compile time only)
; SGPRBlocks: 6
; VGPRBlocks: 15
; NumSGPRsForWavesPerEU: 56
; NumVGPRsForWavesPerEU: 64
; Occupancy: 4
; WaveLimiterHint : 1
; COMPUTE_PGM_RSRC2:SCRATCH_EN: 1
; COMPUTE_PGM_RSRC2:USER_SGPR: 6
; COMPUTE_PGM_RSRC2:TRAP_HANDLER: 0
; COMPUTE_PGM_RSRC2:TGID_X_EN: 1
; COMPUTE_PGM_RSRC2:TGID_Y_EN: 1
; COMPUTE_PGM_RSRC2:TGID_Z_EN: 1
; COMPUTE_PGM_RSRC2:TIDIG_COMP_CNT: 0
	.section	.text._ZN4vllm25paged_attention_v1_kernelI14__hip_bfloat16S1_Li96ELi32ELi128ELNS_18Fp8KVCacheDataTypeE0ELb1EEEvPT_PKS3_PKT0_S9_ifPKiSB_iPKfiiiSD_SD_iiiii,"axG",@progbits,_ZN4vllm25paged_attention_v1_kernelI14__hip_bfloat16S1_Li96ELi32ELi128ELNS_18Fp8KVCacheDataTypeE0ELb1EEEvPT_PKS3_PKT0_S9_ifPKiSB_iPKfiiiSD_SD_iiiii,comdat
	.protected	_ZN4vllm25paged_attention_v1_kernelI14__hip_bfloat16S1_Li96ELi32ELi128ELNS_18Fp8KVCacheDataTypeE0ELb1EEEvPT_PKS3_PKT0_S9_ifPKiSB_iPKfiiiSD_SD_iiiii ; -- Begin function _ZN4vllm25paged_attention_v1_kernelI14__hip_bfloat16S1_Li96ELi32ELi128ELNS_18Fp8KVCacheDataTypeE0ELb1EEEvPT_PKS3_PKT0_S9_ifPKiSB_iPKfiiiSD_SD_iiiii
	.globl	_ZN4vllm25paged_attention_v1_kernelI14__hip_bfloat16S1_Li96ELi32ELi128ELNS_18Fp8KVCacheDataTypeE0ELb1EEEvPT_PKS3_PKT0_S9_ifPKiSB_iPKfiiiSD_SD_iiiii
	.p2align	8
	.type	_ZN4vllm25paged_attention_v1_kernelI14__hip_bfloat16S1_Li96ELi32ELi128ELNS_18Fp8KVCacheDataTypeE0ELb1EEEvPT_PKS3_PKT0_S9_ifPKiSB_iPKfiiiSD_SD_iiiii,@function
_ZN4vllm25paged_attention_v1_kernelI14__hip_bfloat16S1_Li96ELi32ELi128ELNS_18Fp8KVCacheDataTypeE0ELb1EEEvPT_PKS3_PKT0_S9_ifPKiSB_iPKfiiiSD_SD_iiiii: ; @_ZN4vllm25paged_attention_v1_kernelI14__hip_bfloat16S1_Li96ELi32ELi128ELNS_18Fp8KVCacheDataTypeE0ELb1EEEvPT_PKS3_PKT0_S9_ifPKiSB_iPKfiiiSD_SD_iiiii
; %bb.0:
	s_mov_b64 s[50:51], s[2:3]
	s_mov_b64 s[48:49], s[0:1]
	s_add_u32 s48, s48, s9
	s_addc_u32 s49, s49, 0
	buffer_store_dword v0, off, s[48:51], 0 ; 4-byte Folded Spill
	s_load_dword s9, s[4:5], 0x80
	s_load_dwordx2 s[0:1], s[4:5], 0x30
	s_load_dwordx2 s[30:31], s[4:5], 0x20
	s_mov_b32 s10, s7
	s_ashr_i32 s11, s7, 31
	s_lshl_b64 s[2:3], s[10:11], 2
	s_waitcnt lgkmcnt(0)
	s_add_u32 s0, s0, s2
	s_addc_u32 s1, s1, s3
	s_abs_i32 s2, s30
	v_cvt_f32_u32_e32 v0, s2
	s_sub_i32 s11, 0, s2
	s_abs_i32 s7, s9
	s_xor_b32 s3, s9, s30
	v_rcp_iflag_f32_e32 v0, v0
	s_ashr_i32 s3, s3, 31
	s_mov_b32 s42, 0
	v_mul_f32_e32 v0, 0x4f7ffffe, v0
	v_cvt_u32_f32_e32 v0, v0
	v_readfirstlane_b32 s12, v0
	s_mul_i32 s11, s11, s12
	s_mul_hi_u32 s11, s12, s11
	s_add_i32 s12, s12, s11
	s_mul_hi_u32 s11, s7, s12
	s_mul_i32 s12, s11, s2
	s_sub_i32 s7, s7, s12
	s_add_i32 s12, s11, 1
	s_sub_i32 s13, s7, s2
	s_cmp_ge_u32 s7, s2
	s_cselect_b32 s11, s12, s11
	s_cselect_b32 s7, s13, s7
	s_add_i32 s12, s11, 1
	s_cmp_ge_u32 s7, s2
	s_cselect_b32 s2, s12, s11
	s_xor_b32 s2, s2, s3
	s_sub_i32 s12, s2, s3
	s_abs_i32 s11, s12
	v_cvt_f32_u32_e32 v0, s11
	s_load_dwordx2 s[2:3], s[4:5], 0x40
	s_sub_i32 s7, 0, s11
	s_abs_i32 s22, s6
	v_rcp_iflag_f32_e32 v0, v0
	v_mul_f32_e32 v0, 0x4f7ffffe, v0
	v_cvt_u32_f32_e32 v0, v0
	v_readfirstlane_b32 s13, v0
	s_mul_i32 s7, s7, s13
	s_mul_hi_u32 s7, s13, s7
	s_add_i32 s13, s13, s7
	s_waitcnt lgkmcnt(0)
	s_cmp_eq_u64 s[2:3], 0
	s_mul_hi_u32 s23, s22, s13
	s_cbranch_scc1 .LBB147_2
; %bb.1:
	s_ashr_i32 s7, s6, 31
	s_lshl_b64 s[14:15], s[6:7], 2
	s_add_u32 s2, s2, s14
	s_addc_u32 s3, s3, s15
	s_load_dword s42, s[2:3], 0x0
.LBB147_2:
	buffer_load_dword v0, off, s[48:51], 0  ; 4-byte Folded Reload
	s_load_dword s33, s[0:1], 0x0
	s_ashr_i32 s7, s12, 31
	s_load_dwordx4 s[12:15], s[4:5], 0x48
	s_ashr_i32 s2, s6, 31
	s_movk_i32 s3, 0x60
	s_mul_i32 s20, s6, 0x60
	s_waitcnt vmcnt(0)
	v_and_b32_e32 v1, 1, v0
	v_cmp_gt_u32_e32 vcc, 24, v0
	v_lshlrev_b32_e32 v12, 3, v0
	s_and_saveexec_b64 s[0:1], vcc
	s_cbranch_execz .LBB147_4
; %bb.3:
	s_load_dwordx2 s[16:17], s[4:5], 0x8
	s_waitcnt lgkmcnt(0)
	s_mul_i32 s18, s12, s10
	s_ashr_i32 s19, s18, 31
	s_lshl_b64 s[18:19], s[18:19], 1
	buffer_load_dword v0, off, s[48:51], 0  ; 4-byte Folded Reload
	s_add_u32 s12, s16, s18
	s_addc_u32 s15, s17, s19
	s_ashr_i32 s21, s20, 31
	s_lshl_b64 s[16:17], s[20:21], 1
	s_add_u32 s16, s12, s16
	s_addc_u32 s17, s15, s17
	global_load_dwordx2 v[2:3], v12, s[16:17]
	s_waitcnt vmcnt(1)
	v_lshlrev_b32_e32 v0, 2, v0
	v_and_b32_e32 v0, 0xff8, v0
	v_mad_u32_u24 v0, v1, s3, v0
	s_waitcnt vmcnt(0)
	ds_write_b64 v0, v[2:3]
.LBB147_4:
	s_or_b64 exec, exec, s[0:1]
	s_mul_i32 s1, s23, s11
	s_sub_i32 s1, s22, s1
	s_xor_b32 s0, s2, s7
	s_add_i32 s2, s23, 1
	s_sub_i32 s7, s1, s11
	s_load_dwordx4 s[16:19], s[4:5], 0x68
	s_load_dword s3, s[4:5], 0x78
	s_cmp_ge_u32 s1, s11
	s_cselect_b32 s2, s2, s23
	s_cselect_b32 s1, s7, s1
	s_add_i32 s7, s2, 1
	s_cmp_ge_u32 s1, s11
	s_cselect_b32 s1, s7, s2
	s_waitcnt lgkmcnt(0)
	s_abs_i32 s21, s19
	v_cvt_f32_u32_e32 v0, s21
	s_xor_b32 s1, s1, s0
	s_sub_i32 s2, s1, s0
	s_sub_i32 s0, 0, s21
	v_rcp_iflag_f32_e32 v0, v0
	s_add_i32 s11, s33, -1
	s_abs_i32 s7, s11
	v_mul_f32_e32 v0, 0x4f7ffffe, v0
	v_cvt_u32_f32_e32 v0, v0
	s_barrier
	v_readfirstlane_b32 s40, v0
	s_mul_i32 s0, s0, s40
	s_mul_hi_u32 s0, s40, s0
	s_add_i32 s40, s40, s0
	s_cmp_lt_i32 s3, 0
	s_mul_hi_u32 s12, s7, s40
	s_cbranch_scc0 .LBB147_6
; %bb.5:
	s_mul_i32 s0, s16, s30
	s_add_i32 s0, s2, s0
	s_mul_i32 s0, s0, s3
	s_sub_i32 s41, 1, s0
	s_mov_b64 s[0:1], 0
	s_branch .LBB147_7
.LBB147_6:
	s_mov_b64 s[0:1], -1
                                        ; implicit-def: $sgpr41
.LBB147_7:
	s_load_dwordx2 s[24:25], s[4:5], 0x28
	s_ashr_i32 s15, s11, 31
	s_andn2_b64 vcc, exec, s[0:1]
	s_ashr_i32 s19, s19, 31
	s_cbranch_vccnz .LBB147_9
; %bb.8:
	s_mul_i32 s0, s9, s16
	s_add_i32 s0, s0, s6
	s_mul_i32 s0, s0, s3
	s_add_i32 s41, s0, 1
.LBB147_9:
	s_load_dword s0, s[4:5], 0x38
	s_load_dwordx2 s[22:23], s[4:5], 0x0
	s_load_dwordx2 s[28:29], s[4:5], 0x18
	s_load_dword s11, s[4:5], 0x88
	buffer_load_dword v0, off, s[48:51], 0  ; 4-byte Folded Reload
	s_waitcnt lgkmcnt(0)
	s_mul_i32 s26, s0, s10
	s_mul_i32 s0, s12, s21
	s_sub_i32 s0, s7, s0
	s_xor_b32 s1, s15, s19
	s_ashr_i32 s27, s26, 31
	s_add_i32 s3, s12, 1
	s_sub_i32 s6, s0, s21
	s_cmp_ge_u32 s0, s21
	s_cselect_b32 s3, s3, s12
	s_cselect_b32 s0, s6, s0
	s_add_i32 s6, s3, 1
	s_cmp_ge_u32 s0, s21
	s_cselect_b32 s0, s6, s3
	s_xor_b32 s0, s0, s1
	s_sub_i32 s12, s0, s1
	s_add_i32 s0, s33, 31
	s_ashr_i32 s1, s0, 31
	s_lshr_b32 s1, s1, 27
	s_add_i32 s0, s0, s1
	s_ashr_i32 s16, s0, 5
	v_mov_b32_e32 v3, 0xff7fffff
	s_mul_i32 s14, s2, s14
	v_mbcnt_lo_u32_b32 v6, -1, 0
	s_waitcnt vmcnt(0)
	v_lshrrev_b32_e32 v35, 6, v0
	v_cmp_gt_i32_e64 s[0:1], s16, v35
	v_lshrrev_b32_e32 v13, 4, v0
	v_lshlrev_b32_e32 v36, 5, v35
	s_and_saveexec_b64 s[34:35], s[0:1]
	s_cbranch_execz .LBB147_21
; %bb.10:
	buffer_load_dword v2, off, s[48:51], 0  ; 4-byte Folded Reload
	s_load_dwordx2 s[2:3], s[4:5], 0x10
	s_ashr_i32 s15, s14, 31
	s_sub_i32 s30, s12, s17
	s_lshl_b64 s[4:5], s[14:15], 1
	buffer_store_dword v12, off, s[48:51], 0 offset:36 ; 4-byte Folded Spill
	s_waitcnt lgkmcnt(0)
	s_add_u32 s2, s2, s4
	s_addc_u32 s3, s3, s5
	s_abs_i32 s15, s18
	v_cvt_f32_u32_e32 v0, s15
	v_mov_b32_e32 v4, s3
	s_sub_i32 s3, 0, s15
	buffer_store_dword v13, off, s[48:51], 0 offset:40 ; 4-byte Folded Spill
	v_rcp_iflag_f32_e32 v0, v0
	s_lshl_b64 s[4:5], s[26:27], 2
	s_add_u32 s4, s24, s4
	v_cmp_eq_u32_e32 vcc, 0, v1
	v_mul_f32_e32 v0, 0x4f7ffffe, v0
	v_cvt_u32_f32_e32 v3, v0
	v_mul_u32_u24_e32 v19, 0x60, v1
	v_and_b32_e32 v1, 60, v13
	s_addc_u32 s5, s25, s5
	v_mul_lo_u32 v5, s3, v3
	s_mov_b32 s43, s13
	v_lshlrev_b32_e32 v20, 5, v35
	s_mov_b64 s[36:37], 0
	v_mul_hi_u32 v5, v3, v5
	s_movk_i32 s44, 0x1000
	v_mov_b32_e32 v26, v35
	v_add_u32_e32 v25, v3, v5
	s_waitcnt vmcnt(2)
	v_bfe_u32 v7, v2, 1, 5
	v_lshlrev_b32_e32 v0, 4, v7
	v_add_co_u32_e64 v0, s[2:3], s2, v0
	v_and_b32_e32 v2, 8, v12
	v_addc_co_u32_e64 v4, s[2:3], 0, v4, s[2:3]
	v_add_co_u32_e64 v0, s[2:3], v0, v2
	buffer_store_dword v0, off, s[48:51], 0 offset:8 ; 4-byte Folded Spill
	v_addc_co_u32_e64 v0, s[2:3], 0, v4, s[2:3]
	v_subrev_u32_e32 v3, s33, v7
	buffer_store_dword v0, off, s[48:51], 0 offset:12 ; 4-byte Folded Spill
	v_add_u32_e32 v0, 1, v3
	v_lshlrev_b32_e32 v3, 2, v7
	buffer_store_dword v0, off, s[48:51], 0 offset:32 ; 4-byte Folded Spill
	buffer_store_dword v7, off, s[48:51], 0 offset:28 ; 4-byte Folded Spill
	v_lshl_or_b32 v3, v35, 7, v3
	v_mbcnt_hi_u32_b32 v0, -1, v6
	v_add_u32_e32 v22, 0xd0, v3
	v_xor_b32_e32 v3, 1, v0
	buffer_store_dword v3, off, s[48:51], 0 offset:20 ; 4-byte Folded Spill
	buffer_store_dword v0, off, s[48:51], 0 offset:16 ; 4-byte Folded Spill
	v_and_b32_e32 v3, 64, v0
	v_mov_b32_e32 v2, s5
	v_add_co_u32_e64 v1, s[4:5], s4, v1
	v_add_u32_e32 v0, 64, v3
	v_cmp_neq_f32_e64 s[2:3], s42, 0
	v_addc_co_u32_e64 v2, s[4:5], 0, v2, s[4:5]
	buffer_store_dword v0, off, s[48:51], 0 offset:24 ; 4-byte Folded Spill
	v_mov_b32_e32 v0, 0xff7fffff
	buffer_store_dword v0, off, s[48:51], 0 offset:4 ; 4-byte Folded Spill
	s_branch .LBB147_13
.LBB147_11:                             ;   in Loop: Header=BB147_13 Depth=1
	s_or_b64 exec, exec, s[38:39]
.LBB147_12:                             ;   in Loop: Header=BB147_13 Depth=1
	s_or_b64 exec, exec, s[6:7]
	v_add_co_u32_e64 v1, s[4:5], 8, v1
	v_add_u32_e32 v26, 2, v26
	v_addc_co_u32_e64 v2, s[4:5], 0, v2, s[4:5]
	v_cmp_le_i32_e64 s[4:5], s16, v26
	v_add_u32_e32 v20, 64, v20
	s_or_b64 s[36:37], s[4:5], s[36:37]
	v_add_u32_e32 v22, 0x100, v22
	s_andn2_b64 exec, exec, s[36:37]
	s_cbranch_execz .LBB147_20
.LBB147_13:                             ; =>This Inner Loop Header: Depth=1
	v_mul_hi_u32 v3, v20, s40
	s_waitcnt lgkmcnt(0)
	v_mul_lo_u32 v4, v3, s21
	v_add_u32_e32 v5, 1, v3
	v_sub_u32_e32 v4, v20, v4
	v_cmp_le_u32_e64 s[4:5], s21, v4
	v_cndmask_b32_e64 v3, v3, v5, s[4:5]
	v_subrev_u32_e32 v5, s21, v4
	v_cndmask_b32_e64 v4, v4, v5, s[4:5]
	v_add_u32_e32 v5, 1, v3
	v_cmp_le_u32_e64 s[4:5], s21, v4
	v_cndmask_b32_e64 v3, v3, v5, s[4:5]
	v_xor_b32_e32 v3, s19, v3
	v_subrev_u32_e32 v3, s19, v3
	v_add_u32_e32 v4, s41, v3
	v_sub_u32_e32 v5, 0, v4
	v_max_i32_e32 v5, v4, v5
	v_mul_hi_u32 v6, v5, v25
	v_ashrrev_i32_e32 v4, 31, v4
	v_cmp_ge_i32_e64 s[6:7], s30, v3
	v_mul_lo_u32 v6, v6, s15
	v_sub_u32_e32 v5, v5, v6
	v_subrev_u32_e32 v6, s15, v5
	v_cmp_le_u32_e64 s[4:5], s15, v5
	v_cndmask_b32_e64 v5, v5, v6, s[4:5]
	v_subrev_u32_e32 v6, s15, v5
	v_cmp_le_u32_e64 s[4:5], s15, v5
	v_cndmask_b32_e64 v5, v5, v6, s[4:5]
	v_xor_b32_e32 v5, v5, v4
	v_sub_u32_e32 v4, v5, v4
	v_cmp_ne_u32_e64 s[4:5], 0, v4
	s_and_b64 s[4:5], s[4:5], s[6:7]
	s_and_saveexec_b64 s[6:7], s[4:5]
	s_xor_b64 s[4:5], exec, s[6:7]
	s_cbranch_execz .LBB147_17
; %bb.14:                               ;   in Loop: Header=BB147_13 Depth=1
	s_and_saveexec_b64 s[6:7], vcc
; %bb.15:                               ;   in Loop: Header=BB147_13 Depth=1
	v_mov_b32_e32 v3, 0xff7fffff
	ds_write_b32 v22, v3
; %bb.16:                               ;   in Loop: Header=BB147_13 Depth=1
	s_or_b64 exec, exec, s[6:7]
.LBB147_17:                             ;   in Loop: Header=BB147_13 Depth=1
	s_andn2_saveexec_b64 s[6:7], s[4:5]
	s_cbranch_execz .LBB147_12
; %bb.18:                               ;   in Loop: Header=BB147_13 Depth=1
	ds_read_b128 v[3:6], v19
	ds_read_b128 v[27:30], v19 offset:16
	buffer_load_dword v0, off, s[48:51], 0 offset:8 ; 4-byte Folded Reload
	ds_read_b128 v[31:34], v19 offset:32
	ds_read_b128 v[15:18], v19 offset:64
	s_waitcnt lgkmcnt(3)
	v_lshlrev_b32_e32 v56, 16, v3
	v_and_b32_e32 v23, 0xffff0000, v3
	global_load_dword v3, v[1:2], off
	v_lshlrev_b32_e32 v58, 16, v4
	v_and_b32_e32 v14, 0xffff0000, v4
	v_lshlrev_b32_e32 v55, 16, v5
	v_lshlrev_b32_e32 v57, 16, v6
	s_waitcnt lgkmcnt(2)
	v_lshlrev_b32_e32 v63, 16, v27
	v_and_b32_e32 v24, 0xffff0000, v5
	v_and_b32_e32 v21, 0xffff0000, v6
	v_lshlrev_b32_e32 v12, 16, v28
	v_lshlrev_b32_e32 v7, 16, v29
	v_lshlrev_b32_e32 v5, 16, v30
	v_and_b32_e32 v13, 0xffff0000, v27
	v_and_b32_e32 v11, 0xffff0000, v28
	;; [unrolled: 1-line block ×4, first 2 shown]
	ds_read_b128 v[27:30], v19 offset:48
	s_waitcnt lgkmcnt(2)
	v_lshlrev_b32_e32 v9, 16, v31
	v_lshlrev_b32_e32 v62, 16, v32
	v_and_b32_e32 v10, 0xffff0000, v31
	v_and_b32_e32 v61, 0xffff0000, v32
	s_waitcnt lgkmcnt(0)
	v_lshlrev_b32_e32 v52, 16, v27
	v_lshlrev_b32_e32 v50, 16, v28
	;; [unrolled: 1-line block ×3, first 2 shown]
	v_and_b32_e32 v51, 0xffff0000, v27
	v_and_b32_e32 v49, 0xffff0000, v28
	;; [unrolled: 1-line block ×3, first 2 shown]
	v_lshlrev_b32_e32 v38, 16, v15
	v_lshlrev_b32_e32 v32, 16, v16
	;; [unrolled: 1-line block ×4, first 2 shown]
	v_and_b32_e32 v42, 0xffff0000, v15
	v_and_b32_e32 v37, 0xffff0000, v16
	;; [unrolled: 1-line block ×4, first 2 shown]
	ds_read_b128 v[15:18], v19 offset:80
	v_lshlrev_b32_e32 v59, 16, v33
	v_and_b32_e32 v60, 0xffff0000, v33
	v_lshlrev_b32_e32 v54, 16, v34
	v_and_b32_e32 v53, 0xffff0000, v34
	s_waitcnt lgkmcnt(0)
	v_lshlrev_b32_e32 v47, 16, v15
	v_lshlrev_b32_e32 v41, 16, v16
	v_and_b32_e32 v48, 0xffff0000, v15
	v_and_b32_e32 v43, 0xffff0000, v16
	v_lshlrev_b32_e32 v33, 16, v17
	v_and_b32_e32 v40, 0xffff0000, v17
	v_lshlrev_b32_e32 v39, 16, v30
	;; [unrolled: 2-line block ×3, first 2 shown]
	v_and_b32_e32 v34, 0xffff0000, v18
	s_waitcnt vmcnt(0)
	v_mad_i64_i32 v[3:4], s[4:5], v3, s43, 0
	v_lshlrev_b64 v[3:4], 1, v[3:4]
	v_add_co_u32_e64 v3, s[4:5], v0, v3
	buffer_load_dword v0, off, s[48:51], 0 offset:12 ; 4-byte Folded Reload
	s_waitcnt vmcnt(0)
	v_addc_co_u32_e64 v4, s[4:5], v0, v4, s[4:5]
	global_load_dwordx2 v[15:16], v[3:4], off offset:512
	s_waitcnt vmcnt(0)
	v_lshlrev_b32_e32 v17, 16, v15
	v_mul_f32_e32 v55, v55, v17
	global_load_dwordx2 v[17:18], v[3:4], off
	s_waitcnt vmcnt(0)
	v_lshlrev_b32_e32 v0, 16, v17
	v_fmac_f32_e32 v55, v56, v0
	v_and_b32_e32 v0, 0xffff0000, v15
	v_mul_f32_e32 v56, v24, v0
	v_and_b32_e32 v0, 0xffff0000, v17
	v_fmac_f32_e32 v56, v23, v0
	v_lshlrev_b32_e32 v0, 16, v16
	v_mul_f32_e32 v57, v57, v0
	v_lshlrev_b32_e32 v0, 16, v18
	v_and_b32_e32 v15, 0xffff0000, v16
	v_fmac_f32_e32 v57, v58, v0
	v_and_b32_e32 v0, 0xffff0000, v18
	v_mul_f32_e32 v58, v21, v15
	v_fmac_f32_e32 v58, v14, v0
	global_load_dwordx2 v[14:15], v[3:4], off offset:1024
	s_waitcnt vmcnt(0)
	v_lshlrev_b32_e32 v0, 16, v14
	v_fmac_f32_e32 v55, v63, v0
	v_and_b32_e32 v0, 0xffff0000, v14
	v_fmac_f32_e32 v56, v13, v0
	v_lshlrev_b32_e32 v0, 16, v15
	v_fmac_f32_e32 v57, v12, v0
	v_and_b32_e32 v0, 0xffff0000, v15
	v_fmac_f32_e32 v58, v11, v0
	global_load_dwordx2 v[11:12], v[3:4], off offset:1536
	global_load_dwordx2 v[13:14], v[3:4], off offset:2048
	s_waitcnt vmcnt(1)
	v_lshlrev_b32_e32 v0, 16, v11
	v_fmac_f32_e32 v55, v7, v0
	v_and_b32_e32 v0, 0xffff0000, v11
	v_fmac_f32_e32 v56, v8, v0
	global_load_dwordx2 v[7:8], v[3:4], off offset:2560
	v_lshlrev_b32_e32 v0, 16, v12
	v_fmac_f32_e32 v57, v5, v0
	v_and_b32_e32 v0, 0xffff0000, v12
	v_fmac_f32_e32 v58, v6, v0
	s_waitcnt vmcnt(1)
	v_lshlrev_b32_e32 v0, 16, v13
	v_fmac_f32_e32 v55, v9, v0
	v_and_b32_e32 v0, 0xffff0000, v13
	v_fmac_f32_e32 v56, v10, v0
	v_add_co_u32_e64 v11, s[4:5], s44, v3
	v_lshlrev_b32_e32 v0, 16, v14
	v_addc_co_u32_e64 v12, s[4:5], 0, v4, s[4:5]
	v_fmac_f32_e32 v57, v62, v0
	v_and_b32_e32 v0, 0xffff0000, v14
	global_load_dwordx2 v[5:6], v[3:4], off offset:3072
	global_load_dwordx2 v[9:10], v[3:4], off offset:3584
	;; [unrolled: 1-line block ×3, first 2 shown]
	v_fmac_f32_e32 v58, v61, v0
	global_load_dwordx2 v[3:4], v[11:12], off
	s_waitcnt vmcnt(4)
	v_lshlrev_b32_e32 v0, 16, v7
	v_fmac_f32_e32 v55, v59, v0
	v_and_b32_e32 v0, 0xffff0000, v7
	v_fmac_f32_e32 v56, v60, v0
	global_load_dwordx2 v[17:18], v[11:12], off offset:1024
	global_load_dwordx2 v[59:60], v[11:12], off offset:1536
	buffer_load_dword v61, off, s[48:51], 0 offset:20 ; 4-byte Folded Reload
	buffer_load_dword v0, off, s[48:51], 0 offset:24 ; 4-byte Folded Reload
	s_waitcnt vmcnt(7)
	v_lshlrev_b32_e32 v11, 16, v5
	v_lshlrev_b32_e32 v13, 16, v6
	s_waitcnt vmcnt(6)
	v_lshlrev_b32_e32 v7, 16, v9
	v_fmac_f32_e32 v55, v52, v11
	v_and_b32_e32 v6, 0xffff0000, v6
	s_waitcnt vmcnt(4)
	v_and_b32_e32 v21, 0xffff0000, v3
	v_fmac_f32_e32 v55, v44, v7
	v_and_b32_e32 v14, 0xffff0000, v10
	v_lshlrev_b32_e32 v11, 16, v4
	v_and_b32_e32 v52, 0xffff0000, v15
	v_and_b32_e32 v23, 0xffff0000, v16
	s_waitcnt vmcnt(3)
	v_lshlrev_b32_e32 v12, 16, v17
	s_waitcnt vmcnt(2)
	v_lshlrev_b32_e32 v24, 16, v60
	s_waitcnt vmcnt(0)
	v_cmp_lt_i32_e64 s[4:5], v61, v0
	v_lshlrev_b32_e32 v0, 16, v8
	v_fmac_f32_e32 v57, v54, v0
	v_and_b32_e32 v0, 0xffff0000, v5
	v_fmac_f32_e32 v56, v51, v0
	buffer_load_dword v0, off, s[48:51], 0 offset:16 ; 4-byte Folded Reload
	v_and_b32_e32 v8, 0xffff0000, v8
	v_and_b32_e32 v54, 0xffff0000, v9
	v_fmac_f32_e32 v58, v53, v8
	v_lshlrev_b32_e32 v53, 16, v10
	v_lshlrev_b32_e32 v5, 16, v3
	v_fmac_f32_e32 v57, v50, v13
	v_fmac_f32_e32 v56, v46, v54
	v_lshlrev_b32_e32 v8, 16, v15
	v_fmac_f32_e32 v58, v49, v6
	v_fmac_f32_e32 v57, v39, v53
	;; [unrolled: 1-line block ×4, first 2 shown]
	v_and_b32_e32 v9, 0xffff0000, v4
	v_lshlrev_b32_e32 v51, 16, v16
	v_and_b32_e32 v50, 0xffff0000, v17
	v_fmac_f32_e32 v58, v45, v14
	v_fmac_f32_e32 v57, v32, v11
	v_fmac_f32_e32 v55, v29, v8
	v_fmac_f32_e32 v56, v31, v52
	v_lshlrev_b32_e32 v10, 16, v18
	v_lshlrev_b32_e32 v4, 16, v59
	v_and_b32_e32 v49, 0xffff0000, v59
	v_fmac_f32_e32 v58, v37, v9
	v_fmac_f32_e32 v57, v27, v51
	v_fmac_f32_e32 v55, v47, v12
	v_fmac_f32_e32 v56, v48, v50
	v_and_b32_e32 v3, 0xffff0000, v18
	v_fmac_f32_e32 v58, v28, v23
	v_fmac_f32_e32 v57, v41, v10
	v_fmac_f32_e32 v55, v33, v4
	v_fmac_f32_e32 v56, v40, v49
	v_and_b32_e32 v13, 0xffff0000, v60
	v_fmac_f32_e32 v58, v43, v3
	v_fmac_f32_e32 v57, v30, v24
	;; [unrolled: 1-line block ×3, first 2 shown]
	s_waitcnt vmcnt(0)
	v_cndmask_b32_e64 v0, v0, v61, s[4:5]
	v_lshlrev_b32_e32 v6, 2, v0
	v_add_f32_e32 v0, v55, v56
	v_add_f32_e32 v0, v0, v57
	;; [unrolled: 1-line block ×3, first 2 shown]
	ds_bpermute_b32 v4, v6, v3
	s_and_saveexec_b64 s[38:39], vcc
	s_cbranch_execz .LBB147_11
; %bb.19:                               ;   in Loop: Header=BB147_13 Depth=1
	buffer_load_dword v0, off, s[48:51], 0 offset:32 ; 4-byte Folded Reload
	buffer_load_dword v5, off, s[48:51], 0 offset:28 ; 4-byte Folded Reload
	s_waitcnt lgkmcnt(0)
	v_add_f32_e32 v3, v3, v4
	buffer_load_dword v4, off, s[48:51], 0 offset:4 ; 4-byte Folded Reload
	s_waitcnt vmcnt(2)
	v_add_u32_e32 v0, v0, v20
	v_cvt_f32_i32_e32 v0, v0
	s_waitcnt vmcnt(1)
	v_add_u32_e32 v5, v5, v20
	v_cmp_gt_i32_e64 s[4:5], s33, v5
	v_mul_f32_e32 v0, s42, v0
	v_cndmask_b32_e64 v0, 0, v0, s[2:3]
	v_fmac_f32_e32 v0, s31, v3
	v_cndmask_b32_e64 v3, 0, v0, s[4:5]
	ds_write_b32 v22, v3
	s_waitcnt vmcnt(0)
	v_max_f32_e32 v3, v4, v4
	v_max_f32_e32 v0, v3, v0
	v_cndmask_b32_e64 v4, v4, v0, s[4:5]
	buffer_store_dword v4, off, s[48:51], 0 offset:4 ; 4-byte Folded Spill
	s_branch .LBB147_11
.LBB147_20:
	s_or_b64 exec, exec, s[36:37]
	buffer_load_dword v12, off, s[48:51], 0 offset:36 ; 4-byte Folded Reload
	buffer_load_dword v13, off, s[48:51], 0 offset:40 ; 4-byte Folded Reload
	;; [unrolled: 1-line block ×3, first 2 shown]
	v_mbcnt_lo_u32_b32 v6, -1, 0
.LBB147_21:
	s_or_b64 exec, exec, s[34:35]
	v_mbcnt_hi_u32_b32 v0, -1, v6
	v_and_b32_e32 v7, 64, v0
	v_add_u32_e32 v8, 64, v7
	v_xor_b32_e32 v1, 32, v0
	v_cmp_lt_i32_e32 vcc, v1, v8
	v_cndmask_b32_e32 v1, v0, v1, vcc
	v_lshlrev_b32_e32 v1, 2, v1
	s_waitcnt vmcnt(0)
	ds_bpermute_b32 v2, v1, v3
	s_waitcnt lgkmcnt(1)
	v_xor_b32_e32 v4, 16, v0
	v_max_f32_e32 v3, v3, v3
	v_cmp_lt_i32_e32 vcc, v4, v8
	v_xor_b32_e32 v5, 8, v0
	s_waitcnt lgkmcnt(0)
	v_max_f32_e32 v2, v2, v2
	v_max_f32_e32 v3, v3, v2
	v_cndmask_b32_e32 v2, v0, v4, vcc
	v_lshlrev_b32_e32 v2, 2, v2
	ds_bpermute_b32 v4, v2, v3
	v_cmp_lt_i32_e32 vcc, v5, v8
	v_xor_b32_e32 v6, 4, v0
	v_xor_b32_e32 v9, 2, v0
	s_waitcnt lgkmcnt(0)
	v_max_f32_e32 v4, v4, v4
	v_max_f32_e32 v4, v3, v4
	v_cndmask_b32_e32 v3, v0, v5, vcc
	v_lshlrev_b32_e32 v3, 2, v3
	ds_bpermute_b32 v5, v3, v4
	v_cmp_lt_i32_e32 vcc, v6, v8
	s_waitcnt lgkmcnt(0)
	v_max_f32_e32 v5, v5, v5
	v_max_f32_e32 v5, v4, v5
	v_cndmask_b32_e32 v4, v0, v6, vcc
	v_lshlrev_b32_e32 v4, 2, v4
	ds_bpermute_b32 v6, v4, v5
	v_cmp_lt_i32_e32 vcc, v9, v8
	s_waitcnt lgkmcnt(0)
	v_max_f32_e32 v6, v6, v6
	v_max_f32_e32 v6, v5, v6
	v_cndmask_b32_e32 v5, v0, v9, vcc
	v_lshlrev_b32_e32 v38, 2, v5
	buffer_load_dword v5, off, s[48:51], 0  ; 4-byte Folded Reload
	ds_bpermute_b32 v9, v38, v6
	s_waitcnt vmcnt(0)
	v_and_b32_e32 v37, 63, v5
	v_cmp_eq_u32_e32 vcc, 0, v37
	v_lshlrev_b32_e32 v5, 2, v35
	s_and_saveexec_b64 s[2:3], vcc
	s_cbranch_execz .LBB147_23
; %bb.22:
	s_waitcnt lgkmcnt(0)
	v_max_f32_e32 v9, v9, v9
	v_max_f32_e32 v6, v6, v6
	;; [unrolled: 1-line block ×3, first 2 shown]
	ds_write_b32 v5, v6 offset:192
.LBB147_23:
	s_or_b64 exec, exec, s[2:3]
	v_cmp_gt_u32_e64 s[2:3], 2, v37
	s_waitcnt lgkmcnt(0)
	v_mov_b32_e32 v9, 0xff7fffff
	v_lshlrev_b32_e32 v6, 2, v37
	s_barrier
	s_and_saveexec_b64 s[4:5], s[2:3]
; %bb.24:
	ds_read_b32 v9, v6 offset:192
; %bb.25:
	s_or_b64 exec, exec, s[4:5]
	v_xor_b32_e32 v10, 1, v0
	v_cmp_lt_i32_e64 s[4:5], v10, v8
	v_cndmask_b32_e64 v8, v0, v10, s[4:5]
	v_lshlrev_b32_e32 v39, 2, v8
	s_waitcnt lgkmcnt(0)
	ds_bpermute_b32 v8, v39, v9
	v_max_f32_e32 v9, v9, v9
	v_lshlrev_b32_e32 v7, 2, v7
	s_lshl_b32 s4, s16, 5
	s_min_i32 s15, s4, s33
	s_waitcnt lgkmcnt(0)
	v_max_f32_e32 v8, v8, v8
	v_max_f32_e32 v8, v9, v8
	ds_bpermute_b32 v8, v7, v8
	buffer_load_dword v7, off, s[48:51], 0  ; 4-byte Folded Reload
	s_waitcnt vmcnt(0)
	v_cmp_gt_i32_e64 s[4:5], s15, v7
	v_mov_b32_e32 v7, 0
	s_and_saveexec_b64 s[30:31], s[4:5]
	s_cbranch_execz .LBB147_29
; %bb.26:
	buffer_load_dword v10, off, s[48:51], 0 ; 4-byte Folded Reload
	v_mov_b32_e32 v7, 0xd0
	s_mov_b64 s[34:35], 0
	s_waitcnt vmcnt(0)
	v_lshl_add_u32 v9, v10, 2, v7
	v_mov_b32_e32 v7, 0
.LBB147_27:                             ; =>This Inner Loop Header: Depth=1
	ds_read_b32 v11, v9
	v_add_u32_e32 v10, 0x80, v10
	v_cmp_le_i32_e64 s[6:7], s15, v10
	s_or_b64 s[34:35], s[6:7], s[34:35]
	s_waitcnt lgkmcnt(0)
	v_sub_f32_e32 v11, v11, v8
	v_mul_f32_e32 v11, 0x3fb8aa3b, v11
	v_exp_f32_e32 v11, v11
	ds_write_b32 v9, v11
	v_add_f32_e32 v7, v7, v11
	v_add_u32_e32 v9, 0x200, v9
	s_andn2_b64 exec, exec, s[34:35]
	s_cbranch_execnz .LBB147_27
; %bb.28:
	s_or_b64 exec, exec, s[34:35]
.LBB147_29:
	s_or_b64 exec, exec, s[30:31]
	ds_bpermute_b32 v1, v1, v7
	s_waitcnt lgkmcnt(0)
	v_add_f32_e32 v1, v7, v1
	ds_bpermute_b32 v2, v2, v1
	s_waitcnt lgkmcnt(0)
	v_add_f32_e32 v1, v1, v2
	ds_bpermute_b32 v2, v3, v1
	s_waitcnt lgkmcnt(0)
	v_add_f32_e32 v1, v1, v2
	ds_bpermute_b32 v2, v4, v1
	s_waitcnt lgkmcnt(0)
	v_add_f32_e32 v1, v1, v2
	ds_bpermute_b32 v2, v38, v1
	s_waitcnt lgkmcnt(0)
	v_add_f32_e32 v1, v1, v2
	ds_bpermute_b32 v2, v39, v1
	s_waitcnt lgkmcnt(0)
	v_add_f32_e32 v1, v1, v2
	s_and_saveexec_b64 s[6:7], vcc
; %bb.30:
	ds_write_b32 v5, v1 offset:200
; %bb.31:
	s_or_b64 exec, exec, s[6:7]
	s_waitcnt lgkmcnt(0)
	s_barrier
	s_and_saveexec_b64 s[6:7], s[2:3]
; %bb.32:
	ds_read_b32 v1, v6 offset:200
; %bb.33:
	s_or_b64 exec, exec, s[6:7]
	s_waitcnt lgkmcnt(0)
	ds_bpermute_b32 v2, v39, v1
	v_lshlrev_b32_e32 v0, 2, v0
	v_and_b32_e32 v0, 0x100, v0
	s_waitcnt lgkmcnt(0)
	v_add_f32_e32 v1, v1, v2
	ds_bpermute_b32 v0, v0, v1
	s_and_saveexec_b64 s[2:3], s[4:5]
	s_cbranch_execz .LBB147_36
; %bb.34:
	s_waitcnt lgkmcnt(0)
	v_add_f32_e32 v1, 0x358637bd, v0
	v_div_scale_f32 v0, s[4:5], v1, v1, 1.0
	v_div_scale_f32 v2, vcc, 1.0, v1, 1.0
	s_mov_b64 s[4:5], 0
	v_rcp_f32_e32 v3, v0
	v_fma_f32 v4, -v0, v3, 1.0
	v_fmac_f32_e32 v3, v4, v3
	v_mul_f32_e32 v4, v2, v3
	v_fma_f32 v5, -v0, v4, v2
	v_fmac_f32_e32 v4, v5, v3
	v_fma_f32 v0, -v0, v4, v2
	v_div_fmas_f32 v2, v0, v3, v4
	buffer_load_dword v3, off, s[48:51], 0  ; 4-byte Folded Reload
	v_mov_b32_e32 v0, 0xd0
	v_div_fixup_f32 v1, v2, v1, 1.0
	s_waitcnt vmcnt(0)
	v_lshl_add_u32 v0, v3, 2, v0
	v_mov_b32_e32 v2, v3
.LBB147_35:                             ; =>This Inner Loop Header: Depth=1
	ds_read_b32 v3, v0
	v_add_u32_e32 v2, 0x80, v2
	v_cmp_le_i32_e32 vcc, s15, v2
	s_or_b64 s[4:5], vcc, s[4:5]
	s_waitcnt lgkmcnt(0)
	v_mul_f32_e32 v3, v1, v3
	ds_write_b32 v0, v3
	v_add_u32_e32 v0, 0x200, v0
	s_andn2_b64 exec, exec, s[4:5]
	s_cbranch_execnz .LBB147_35
.LBB147_36:
	s_or_b64 exec, exec, s[2:3]
	s_waitcnt lgkmcnt(0)
	s_barrier
	buffer_load_dword v0, off, s[48:51], 0  ; 4-byte Folded Reload
	v_mov_b32_e32 v46, 0
	v_mov_b32_e32 v45, 0
	v_mov_b32_e32 v44, 0
	v_mov_b32_e32 v43, 0
	v_mov_b32_e32 v42, 0
	v_mov_b32_e32 v41, 0
	s_waitcnt vmcnt(0)
	v_and_b32_e32 v40, 3, v0
	s_and_saveexec_b64 s[4:5], s[0:1]
	s_cbranch_execz .LBB147_54
; %bb.37:
	buffer_load_dword v1, off, s[48:51], 0  ; 4-byte Folded Reload
	s_ashr_i32 s15, s14, 31
	s_sub_i32 s17, s12, s17
	s_lshl_b64 s[0:1], s[14:15], 1
	s_add_u32 s0, s28, s0
	s_addc_u32 s1, s29, s1
	s_abs_i32 s18, s18
	v_cvt_f32_u32_e32 v0, s18
	s_sub_i32 s2, 0, s18
	s_add_i32 s30, s16, -1
	v_mov_b32_e32 v3, s1
	v_rcp_iflag_f32_e32 v0, v0
	v_and_b32_e32 v47, 24, v12
	s_mov_b32 s28, s13
	v_mov_b32_e32 v48, 0
	v_mul_f32_e32 v0, 0x4f7ffffe, v0
	v_cvt_u32_f32_e32 v0, v0
	s_mov_b32 s29, s33
	s_mov_b64 s[6:7], 0
	v_mov_b32_e32 v41, 0
	v_mul_lo_u32 v2, s2, v0
	v_mov_b32_e32 v42, 0
	v_mov_b32_e32 v43, 0
	;; [unrolled: 1-line block ×3, first 2 shown]
	v_mul_hi_u32 v2, v0, v2
	v_mov_b32_e32 v45, 0
	v_mov_b32_e32 v46, 0
	v_add_u32_e32 v51, v0, v2
	v_and_b32_e32 v0, 60, v13
	s_waitcnt vmcnt(0)
	v_lshlrev_b32_e32 v1, 4, v1
	v_and_b32_e32 v1, 0x3f0, v1
	v_add_co_u32_e32 v49, vcc, s0, v1
	s_lshl_b64 s[0:1], s[26:27], 2
	v_addc_co_u32_e32 v50, vcc, 0, v3, vcc
	s_add_u32 s0, s24, s0
	s_addc_u32 s1, s25, s1
	v_add_co_u32_e32 v33, vcc, s0, v0
	v_lshlrev_b32_e32 v0, 5, v40
	v_mov_b32_e32 v1, s1
	v_lshl_or_b32 v0, v35, 7, v0
	v_addc_co_u32_e32 v34, vcc, 0, v1, vcc
	v_add_u32_e32 v52, 0xd0, v0
	s_mov_b32 s24, 0x5040100
	s_movk_i32 s25, 0x7fff
	s_branch .LBB147_40
.LBB147_38:                             ;   in Loop: Header=BB147_40 Depth=1
	s_or_b64 exec, exec, s[2:3]
	s_waitcnt lgkmcnt(1)
	v_bfe_u32 v0, v21, 16, 1
	v_add3_u32 v0, v0, v21, s25
	v_or_b32_e32 v53, 0x400000, v21
	v_cmp_u_f32_e32 vcc, v21, v21
	v_bfe_u32 v21, v22, 16, 1
	v_cndmask_b32_e32 v0, v0, v53, vcc
	v_add3_u32 v21, v21, v22, s25
	v_or_b32_e32 v53, 0x400000, v22
	v_cmp_u_f32_e32 vcc, v22, v22
	v_bfe_u32 v22, v23, 16, 1
	v_cndmask_b32_e32 v21, v21, v53, vcc
	;; [unrolled: 5-line block ×3, first 2 shown]
	v_add3_u32 v23, v23, v24, s25
	v_or_b32_e32 v53, 0x400000, v24
	v_cmp_u_f32_e32 vcc, v24, v24
	s_waitcnt lgkmcnt(0)
	v_bfe_u32 v24, v17, 16, 1
	v_cndmask_b32_e32 v23, v23, v53, vcc
	v_add3_u32 v24, v24, v17, s25
	v_or_b32_e32 v53, 0x400000, v17
	v_cmp_u_f32_e32 vcc, v17, v17
	v_bfe_u32 v17, v18, 16, 1
	v_cndmask_b32_e32 v24, v24, v53, vcc
	v_add3_u32 v17, v17, v18, s25
	v_or_b32_e32 v53, 0x400000, v18
	v_cmp_u_f32_e32 vcc, v18, v18
	v_cndmask_b32_e32 v53, v17, v53, vcc
	v_bfe_u32 v17, v19, 16, 1
	v_add3_u32 v17, v17, v19, s25
	v_or_b32_e32 v18, 0x400000, v19
	v_cmp_u_f32_e32 vcc, v19, v19
	v_cndmask_b32_e32 v54, v17, v18, vcc
	v_bfe_u32 v17, v20, 16, 1
	v_add3_u32 v17, v17, v20, s25
	v_or_b32_e32 v18, 0x400000, v20
	v_cmp_u_f32_e32 vcc, v20, v20
	v_cndmask_b32_e32 v20, v17, v18, vcc
	v_and_b32_e32 v17, 0xffff0000, v21
	s_waitcnt vmcnt(1)
	v_and_b32_e32 v18, 0xffff0000, v29
	v_mul_f32_e32 v18, v17, v18
	v_bfe_u32 v19, v18, 16, 1
	v_add3_u32 v19, v19, v18, s25
	v_or_b32_e32 v21, 0x400000, v18
	v_cmp_u_f32_e32 vcc, v18, v18
	v_cndmask_b32_e32 v55, v19, v21, vcc
	v_and_b32_e32 v21, 0xffff0000, v0
	v_lshlrev_b32_e32 v0, 16, v29
	v_mul_f32_e32 v0, v21, v0
	v_bfe_u32 v18, v0, 16, 1
	v_add3_u32 v18, v18, v0, s25
	v_or_b32_e32 v19, 0x400000, v0
	v_cmp_u_f32_e32 vcc, v0, v0
	v_cndmask_b32_e32 v0, v18, v19, vcc
	v_and_b32_e32 v18, 0xffff0000, v23
	v_and_b32_e32 v19, 0xffff0000, v30
	v_mul_f32_e32 v19, v18, v19
	v_bfe_u32 v23, v19, 16, 1
	v_add3_u32 v23, v23, v19, s25
	v_or_b32_e32 v29, 0x400000, v19
	v_cmp_u_f32_e32 vcc, v19, v19
	v_and_b32_e32 v22, 0xffff0000, v22
	v_lshlrev_b32_e32 v19, 16, v30
	v_mul_f32_e32 v19, v22, v19
	v_cndmask_b32_e32 v29, v23, v29, vcc
	v_bfe_u32 v23, v19, 16, 1
	v_add3_u32 v23, v23, v19, s25
	v_or_b32_e32 v30, 0x400000, v19
	v_cmp_u_f32_e32 vcc, v19, v19
	v_cndmask_b32_e32 v30, v23, v30, vcc
	v_and_b32_e32 v19, 0xffff0000, v53
	v_and_b32_e32 v23, 0xffff0000, v31
	v_mul_f32_e32 v23, v19, v23
	v_bfe_u32 v53, v23, 16, 1
	v_add3_u32 v53, v53, v23, s25
	v_or_b32_e32 v56, 0x400000, v23
	v_cmp_u_f32_e32 vcc, v23, v23
	v_and_b32_e32 v23, 0xffff0000, v24
	v_lshlrev_b32_e32 v24, 16, v31
	v_mul_f32_e32 v24, v23, v24
	v_bfe_u32 v31, v24, 16, 1
	v_cndmask_b32_e32 v53, v53, v56, vcc
	v_add3_u32 v31, v31, v24, s25
	v_or_b32_e32 v56, 0x400000, v24
	v_cmp_u_f32_e32 vcc, v24, v24
	v_and_b32_e32 v20, 0xffff0000, v20
	v_and_b32_e32 v24, 0xffff0000, v32
	v_mul_f32_e32 v24, v20, v24
	v_cndmask_b32_e32 v31, v31, v56, vcc
	v_bfe_u32 v56, v24, 16, 1
	v_add3_u32 v56, v56, v24, s25
	v_or_b32_e32 v57, 0x400000, v24
	v_cmp_u_f32_e32 vcc, v24, v24
	v_and_b32_e32 v24, 0xffff0000, v54
	v_lshlrev_b32_e32 v32, 16, v32
	v_mul_f32_e32 v32, v24, v32
	v_bfe_u32 v54, v32, 16, 1
	v_cndmask_b32_e32 v56, v56, v57, vcc
	v_add3_u32 v54, v54, v32, s25
	v_or_b32_e32 v57, 0x400000, v32
	v_cmp_u_f32_e32 vcc, v32, v32
	v_cndmask_b32_e32 v32, v54, v57, vcc
	v_and_b32_e32 v0, 0xffff0000, v0
	v_and_b32_e32 v54, 0xffff0000, v55
	v_and_b32_e32 v30, 0xffff0000, v30
	v_and_b32_e32 v29, 0xffff0000, v29
	v_add_f32_e32 v0, v0, v54
	v_add_f32_e32 v29, v30, v29
	;; [unrolled: 1-line block ×3, first 2 shown]
	v_and_b32_e32 v29, 0xffff0000, v31
	v_and_b32_e32 v30, 0xffff0000, v53
	v_add_f32_e32 v29, v29, v30
	v_add_f32_e32 v0, v29, v0
	v_and_b32_e32 v29, 0xffff0000, v32
	v_and_b32_e32 v30, 0xffff0000, v56
	v_add_f32_e32 v29, v29, v30
	v_add_f32_e32 v0, v29, v0
	;; [unrolled: 1-line block ×3, first 2 shown]
	v_and_b32_e32 v0, 0xffff0000, v25
	v_mul_f32_e32 v0, v17, v0
	v_bfe_u32 v29, v0, 16, 1
	v_lshlrev_b32_e32 v25, 16, v25
	v_add3_u32 v29, v29, v0, s25
	v_or_b32_e32 v30, 0x400000, v0
	v_cmp_u_f32_e32 vcc, v0, v0
	v_mul_f32_e32 v25, v21, v25
	v_cndmask_b32_e32 v0, v29, v30, vcc
	v_bfe_u32 v29, v25, 16, 1
	v_add3_u32 v29, v29, v25, s25
	v_or_b32_e32 v30, 0x400000, v25
	v_cmp_u_f32_e32 vcc, v25, v25
	v_cndmask_b32_e32 v25, v29, v30, vcc
	v_and_b32_e32 v29, 0xffff0000, v26
	v_mul_f32_e32 v29, v18, v29
	v_bfe_u32 v30, v29, 16, 1
	v_lshlrev_b32_e32 v26, 16, v26
	v_add3_u32 v30, v30, v29, s25
	v_or_b32_e32 v31, 0x400000, v29
	v_cmp_u_f32_e32 vcc, v29, v29
	v_mul_f32_e32 v26, v22, v26
	v_cndmask_b32_e32 v29, v30, v31, vcc
	v_bfe_u32 v30, v26, 16, 1
	v_add3_u32 v30, v30, v26, s25
	v_or_b32_e32 v31, 0x400000, v26
	v_cmp_u_f32_e32 vcc, v26, v26
	v_cndmask_b32_e32 v26, v30, v31, vcc
	v_and_b32_e32 v30, 0xffff0000, v27
	v_mul_f32_e32 v30, v19, v30
	v_bfe_u32 v31, v30, 16, 1
	v_lshlrev_b32_e32 v27, 16, v27
	v_add3_u32 v31, v31, v30, s25
	v_or_b32_e32 v32, 0x400000, v30
	v_cmp_u_f32_e32 vcc, v30, v30
	v_mul_f32_e32 v27, v23, v27
	v_cndmask_b32_e32 v30, v31, v32, vcc
	v_bfe_u32 v31, v27, 16, 1
	v_add3_u32 v31, v31, v27, s25
	v_or_b32_e32 v32, 0x400000, v27
	v_cmp_u_f32_e32 vcc, v27, v27
	v_cndmask_b32_e32 v27, v31, v32, vcc
	v_and_b32_e32 v31, 0xffff0000, v28
	v_mul_f32_e32 v31, v20, v31
	v_bfe_u32 v32, v31, 16, 1
	v_lshlrev_b32_e32 v28, 16, v28
	v_and_b32_e32 v25, 0xffff0000, v25
	v_and_b32_e32 v0, 0xffff0000, v0
	v_add3_u32 v32, v32, v31, s25
	v_or_b32_e32 v53, 0x400000, v31
	v_cmp_u_f32_e32 vcc, v31, v31
	v_mul_f32_e32 v28, v24, v28
	v_add_f32_e32 v0, v25, v0
	v_and_b32_e32 v25, 0xffff0000, v26
	v_and_b32_e32 v26, 0xffff0000, v29
	v_cndmask_b32_e32 v31, v32, v53, vcc
	v_bfe_u32 v32, v28, 16, 1
	v_add_f32_e32 v25, v25, v26
	v_add3_u32 v32, v32, v28, s25
	v_or_b32_e32 v53, 0x400000, v28
	v_cmp_u_f32_e32 vcc, v28, v28
	v_add_f32_e32 v0, v25, v0
	v_and_b32_e32 v25, 0xffff0000, v27
	v_and_b32_e32 v26, 0xffff0000, v30
	v_cndmask_b32_e32 v28, v32, v53, vcc
	v_add_f32_e32 v25, v25, v26
	v_add_f32_e32 v0, v25, v0
	v_and_b32_e32 v25, 0xffff0000, v28
	v_and_b32_e32 v26, 0xffff0000, v31
	v_add_f32_e32 v25, v25, v26
	v_add_f32_e32 v0, v25, v0
	;; [unrolled: 1-line block ×3, first 2 shown]
	v_and_b32_e32 v0, 0xffff0000, v13
	v_mul_f32_e32 v0, v17, v0
	v_bfe_u32 v25, v0, 16, 1
	v_lshlrev_b32_e32 v13, 16, v13
	v_add3_u32 v25, v25, v0, s25
	v_or_b32_e32 v26, 0x400000, v0
	v_cmp_u_f32_e32 vcc, v0, v0
	v_mul_f32_e32 v13, v21, v13
	v_cndmask_b32_e32 v0, v25, v26, vcc
	v_bfe_u32 v25, v13, 16, 1
	v_add3_u32 v25, v25, v13, s25
	v_or_b32_e32 v26, 0x400000, v13
	v_cmp_u_f32_e32 vcc, v13, v13
	v_cndmask_b32_e32 v13, v25, v26, vcc
	v_and_b32_e32 v25, 0xffff0000, v14
	v_mul_f32_e32 v25, v18, v25
	v_bfe_u32 v26, v25, 16, 1
	v_lshlrev_b32_e32 v14, 16, v14
	v_add3_u32 v26, v26, v25, s25
	v_or_b32_e32 v27, 0x400000, v25
	v_cmp_u_f32_e32 vcc, v25, v25
	v_mul_f32_e32 v14, v22, v14
	v_cndmask_b32_e32 v25, v26, v27, vcc
	v_bfe_u32 v26, v14, 16, 1
	v_add3_u32 v26, v26, v14, s25
	v_or_b32_e32 v27, 0x400000, v14
	v_cmp_u_f32_e32 vcc, v14, v14
	v_cndmask_b32_e32 v14, v26, v27, vcc
	;; [unrolled: 14-line block ×3, first 2 shown]
	v_and_b32_e32 v27, 0xffff0000, v16
	v_mul_f32_e32 v27, v20, v27
	v_bfe_u32 v28, v27, 16, 1
	v_lshlrev_b32_e32 v16, 16, v16
	v_and_b32_e32 v13, 0xffff0000, v13
	v_and_b32_e32 v0, 0xffff0000, v0
	v_add3_u32 v28, v28, v27, s25
	v_or_b32_e32 v29, 0x400000, v27
	v_cmp_u_f32_e32 vcc, v27, v27
	v_mul_f32_e32 v16, v24, v16
	v_add_f32_e32 v0, v13, v0
	v_and_b32_e32 v13, 0xffff0000, v14
	v_and_b32_e32 v14, 0xffff0000, v25
	v_cndmask_b32_e32 v27, v28, v29, vcc
	v_bfe_u32 v28, v16, 16, 1
	v_add_f32_e32 v13, v13, v14
	v_add3_u32 v28, v28, v16, s25
	v_or_b32_e32 v29, 0x400000, v16
	v_cmp_u_f32_e32 vcc, v16, v16
	v_add_f32_e32 v0, v13, v0
	v_and_b32_e32 v13, 0xffff0000, v15
	v_and_b32_e32 v14, 0xffff0000, v26
	v_cndmask_b32_e32 v16, v28, v29, vcc
	v_add_f32_e32 v13, v13, v14
	v_add_f32_e32 v0, v13, v0
	v_and_b32_e32 v13, 0xffff0000, v16
	v_and_b32_e32 v14, 0xffff0000, v27
	v_add_f32_e32 v13, v13, v14
	v_add_f32_e32 v0, v13, v0
	;; [unrolled: 1-line block ×3, first 2 shown]
	v_and_b32_e32 v0, 0xffff0000, v5
	v_mul_f32_e32 v0, v17, v0
	v_bfe_u32 v13, v0, 16, 1
	v_lshlrev_b32_e32 v5, 16, v5
	v_add3_u32 v13, v13, v0, s25
	v_or_b32_e32 v14, 0x400000, v0
	v_cmp_u_f32_e32 vcc, v0, v0
	v_mul_f32_e32 v5, v21, v5
	v_cndmask_b32_e32 v0, v13, v14, vcc
	v_bfe_u32 v13, v5, 16, 1
	v_add3_u32 v13, v13, v5, s25
	v_or_b32_e32 v14, 0x400000, v5
	v_cmp_u_f32_e32 vcc, v5, v5
	v_cndmask_b32_e32 v5, v13, v14, vcc
	v_and_b32_e32 v13, 0xffff0000, v6
	v_mul_f32_e32 v13, v18, v13
	v_bfe_u32 v14, v13, 16, 1
	v_lshlrev_b32_e32 v6, 16, v6
	v_add3_u32 v14, v14, v13, s25
	v_or_b32_e32 v15, 0x400000, v13
	v_cmp_u_f32_e32 vcc, v13, v13
	v_mul_f32_e32 v6, v22, v6
	v_cndmask_b32_e32 v13, v14, v15, vcc
	v_bfe_u32 v14, v6, 16, 1
	v_add3_u32 v14, v14, v6, s25
	v_or_b32_e32 v15, 0x400000, v6
	v_cmp_u_f32_e32 vcc, v6, v6
	v_cndmask_b32_e32 v6, v14, v15, vcc
	;; [unrolled: 14-line block ×3, first 2 shown]
	v_and_b32_e32 v15, 0xffff0000, v8
	v_mul_f32_e32 v15, v20, v15
	v_bfe_u32 v16, v15, 16, 1
	v_lshlrev_b32_e32 v8, 16, v8
	v_and_b32_e32 v5, 0xffff0000, v5
	v_and_b32_e32 v0, 0xffff0000, v0
	v_add3_u32 v16, v16, v15, s25
	v_or_b32_e32 v25, 0x400000, v15
	v_cmp_u_f32_e32 vcc, v15, v15
	v_mul_f32_e32 v8, v24, v8
	v_add_f32_e32 v0, v5, v0
	v_and_b32_e32 v5, 0xffff0000, v6
	v_and_b32_e32 v6, 0xffff0000, v13
	v_cndmask_b32_e32 v15, v16, v25, vcc
	v_bfe_u32 v16, v8, 16, 1
	v_add_f32_e32 v5, v5, v6
	v_add3_u32 v16, v16, v8, s25
	v_or_b32_e32 v25, 0x400000, v8
	v_cmp_u_f32_e32 vcc, v8, v8
	v_add_f32_e32 v0, v5, v0
	v_and_b32_e32 v5, 0xffff0000, v7
	v_and_b32_e32 v6, 0xffff0000, v14
	v_cndmask_b32_e32 v8, v16, v25, vcc
	v_add_f32_e32 v5, v5, v6
	v_add_f32_e32 v0, v5, v0
	v_and_b32_e32 v5, 0xffff0000, v8
	v_and_b32_e32 v6, 0xffff0000, v15
	v_add_f32_e32 v5, v5, v6
	v_add_f32_e32 v0, v5, v0
	v_add_f32_e32 v45, v45, v0
	v_and_b32_e32 v0, 0xffff0000, v1
	v_mul_f32_e32 v0, v17, v0
	v_bfe_u32 v5, v0, 16, 1
	v_lshlrev_b32_e32 v1, 16, v1
	v_add3_u32 v5, v5, v0, s25
	v_or_b32_e32 v6, 0x400000, v0
	v_cmp_u_f32_e32 vcc, v0, v0
	v_mul_f32_e32 v1, v21, v1
	v_cndmask_b32_e32 v0, v5, v6, vcc
	v_bfe_u32 v5, v1, 16, 1
	v_add3_u32 v5, v5, v1, s25
	v_or_b32_e32 v6, 0x400000, v1
	v_cmp_u_f32_e32 vcc, v1, v1
	v_cndmask_b32_e32 v1, v5, v6, vcc
	v_and_b32_e32 v5, 0xffff0000, v2
	v_mul_f32_e32 v5, v18, v5
	v_bfe_u32 v6, v5, 16, 1
	v_lshlrev_b32_e32 v2, 16, v2
	v_add3_u32 v6, v6, v5, s25
	v_or_b32_e32 v7, 0x400000, v5
	v_cmp_u_f32_e32 vcc, v5, v5
	v_mul_f32_e32 v2, v22, v2
	v_cndmask_b32_e32 v5, v6, v7, vcc
	v_bfe_u32 v6, v2, 16, 1
	v_add3_u32 v6, v6, v2, s25
	v_or_b32_e32 v7, 0x400000, v2
	v_cmp_u_f32_e32 vcc, v2, v2
	v_cndmask_b32_e32 v2, v6, v7, vcc
	;; [unrolled: 14-line block ×3, first 2 shown]
	v_and_b32_e32 v7, 0xffff0000, v4
	v_mul_f32_e32 v7, v20, v7
	v_bfe_u32 v8, v7, 16, 1
	v_lshlrev_b32_e32 v4, 16, v4
	v_and_b32_e32 v1, 0xffff0000, v1
	v_and_b32_e32 v0, 0xffff0000, v0
	v_add3_u32 v8, v8, v7, s25
	v_or_b32_e32 v13, 0x400000, v7
	v_cmp_u_f32_e32 vcc, v7, v7
	v_mul_f32_e32 v4, v24, v4
	v_add_f32_e32 v0, v1, v0
	v_and_b32_e32 v1, 0xffff0000, v2
	v_and_b32_e32 v2, 0xffff0000, v5
	v_cndmask_b32_e32 v7, v8, v13, vcc
	v_bfe_u32 v8, v4, 16, 1
	v_add_f32_e32 v1, v1, v2
	v_add3_u32 v8, v8, v4, s25
	v_or_b32_e32 v13, 0x400000, v4
	v_cmp_u_f32_e32 vcc, v4, v4
	v_add_f32_e32 v0, v1, v0
	v_and_b32_e32 v1, 0xffff0000, v3
	v_and_b32_e32 v2, 0xffff0000, v6
	v_cndmask_b32_e32 v4, v8, v13, vcc
	v_add_f32_e32 v1, v1, v2
	v_add_f32_e32 v0, v1, v0
	v_and_b32_e32 v1, 0xffff0000, v4
	v_and_b32_e32 v2, 0xffff0000, v7
	v_add_f32_e32 v1, v1, v2
	v_add_f32_e32 v0, v1, v0
	;; [unrolled: 1-line block ×3, first 2 shown]
	s_waitcnt vmcnt(0)
	v_lshlrev_b32_e32 v0, 16, v9
	v_mul_f32_e32 v0, v21, v0
	v_bfe_u32 v1, v0, 16, 1
	v_add3_u32 v1, v1, v0, s25
	v_or_b32_e32 v2, 0x400000, v0
	v_cmp_u_f32_e32 vcc, v0, v0
	v_cndmask_b32_e32 v0, v1, v2, vcc
	v_and_b32_e32 v1, 0xffff0000, v9
	v_mul_f32_e32 v1, v17, v1
	v_bfe_u32 v2, v1, 16, 1
	v_add3_u32 v2, v2, v1, s25
	v_or_b32_e32 v3, 0x400000, v1
	v_cmp_u_f32_e32 vcc, v1, v1
	v_cndmask_b32_e32 v1, v2, v3, vcc
	v_lshlrev_b32_e32 v2, 16, v10
	v_mul_f32_e32 v2, v22, v2
	v_bfe_u32 v3, v2, 16, 1
	v_add3_u32 v3, v3, v2, s25
	v_or_b32_e32 v4, 0x400000, v2
	v_cmp_u_f32_e32 vcc, v2, v2
	v_cndmask_b32_e32 v2, v3, v4, vcc
	v_and_b32_e32 v3, 0xffff0000, v10
	v_mul_f32_e32 v3, v18, v3
	v_bfe_u32 v4, v3, 16, 1
	v_add3_u32 v4, v4, v3, s25
	v_or_b32_e32 v5, 0x400000, v3
	v_cmp_u_f32_e32 vcc, v3, v3
	v_cndmask_b32_e32 v3, v4, v5, vcc
	;; [unrolled: 14-line block ×3, first 2 shown]
	v_lshlrev_b32_e32 v6, 16, v12
	v_mul_f32_e32 v6, v24, v6
	v_bfe_u32 v7, v6, 16, 1
	v_add3_u32 v7, v7, v6, s25
	v_or_b32_e32 v8, 0x400000, v6
	v_cmp_u_f32_e32 vcc, v6, v6
	v_cndmask_b32_e32 v6, v7, v8, vcc
	v_and_b32_e32 v7, 0xffff0000, v12
	v_and_b32_e32 v1, 0xffff0000, v1
	;; [unrolled: 1-line block ×3, first 2 shown]
	v_mul_f32_e32 v7, v20, v7
	v_add_f32_e32 v0, v0, v1
	v_and_b32_e32 v1, 0xffff0000, v3
	v_and_b32_e32 v2, 0xffff0000, v2
	v_bfe_u32 v8, v7, 16, 1
	v_add_f32_e32 v1, v2, v1
	v_add3_u32 v8, v8, v7, s25
	v_or_b32_e32 v9, 0x400000, v7
	v_cmp_u_f32_e32 vcc, v7, v7
	v_add_f32_e32 v0, v1, v0
	v_and_b32_e32 v1, 0xffff0000, v5
	v_and_b32_e32 v2, 0xffff0000, v4
	v_cndmask_b32_e32 v7, v8, v9, vcc
	v_add_f32_e32 v1, v2, v1
	v_add_f32_e32 v0, v1, v0
	v_and_b32_e32 v1, 0xffff0000, v7
	v_and_b32_e32 v2, 0xffff0000, v6
	v_add_f32_e32 v1, v2, v1
	v_add_f32_e32 v0, v1, v0
	;; [unrolled: 1-line block ×3, first 2 shown]
.LBB147_39:                             ;   in Loop: Header=BB147_40 Depth=1
	s_or_b64 exec, exec, s[12:13]
	v_add_co_u32_e32 v33, vcc, 8, v33
	v_add_u32_e32 v35, 2, v35
	v_addc_co_u32_e32 v34, vcc, 0, v34, vcc
	v_cmp_le_i32_e32 vcc, s16, v35
	v_add_u32_e32 v36, 64, v36
	s_or_b64 s[6:7], vcc, s[6:7]
	v_add_u32_e32 v52, 0x100, v52
	s_andn2_b64 exec, exec, s[6:7]
	s_cbranch_execz .LBB147_53
.LBB147_40:                             ; =>This Inner Loop Header: Depth=1
	v_mul_hi_u32 v0, v36, s40
	v_mul_lo_u32 v1, v0, s21
	v_add_u32_e32 v2, 1, v0
	v_sub_u32_e32 v1, v36, v1
	v_cmp_le_u32_e32 vcc, s21, v1
	v_cndmask_b32_e32 v0, v0, v2, vcc
	v_subrev_u32_e32 v2, s21, v1
	v_cndmask_b32_e32 v1, v1, v2, vcc
	v_add_u32_e32 v2, 1, v0
	v_cmp_le_u32_e32 vcc, s21, v1
	v_cndmask_b32_e32 v0, v0, v2, vcc
	v_xor_b32_e32 v0, s19, v0
	v_subrev_u32_e32 v0, s19, v0
	v_add_u32_e32 v1, s41, v0
	v_sub_u32_e32 v2, 0, v1
	v_max_i32_e32 v2, v1, v2
	v_mul_hi_u32 v3, v2, v51
	v_ashrrev_i32_e32 v1, 31, v1
	v_cmp_lt_i32_e64 s[0:1], s17, v0
	v_mul_lo_u32 v3, v3, s18
	v_sub_u32_e32 v2, v2, v3
	v_subrev_u32_e32 v3, s18, v2
	v_cmp_le_u32_e32 vcc, s18, v2
	v_cndmask_b32_e32 v2, v2, v3, vcc
	v_subrev_u32_e32 v3, s18, v2
	v_cmp_le_u32_e32 vcc, s18, v2
	v_cndmask_b32_e32 v2, v2, v3, vcc
	v_xor_b32_e32 v2, v2, v1
	v_sub_u32_e32 v1, v2, v1
	v_cmp_eq_u32_e32 vcc, 0, v1
	s_or_b64 s[0:1], vcc, s[0:1]
	s_and_saveexec_b64 s[12:13], s[0:1]
	s_cbranch_execz .LBB147_39
; %bb.41:                               ;   in Loop: Header=BB147_40 Depth=1
	global_load_dword v0, v[33:34], off
	v_add_u32_e32 v55, v47, v36
	v_add_u32_e32 v60, 1, v55
	v_or_b32_e32 v58, 3, v55
	v_or_b32_e32 v59, 2, v55
	;; [unrolled: 1-line block ×6, first 2 shown]
	s_waitcnt vmcnt(0)
	v_mad_i64_i32 v[0:1], s[0:1], v0, s28, 0
	v_cmp_eq_u32_e64 s[0:1], s30, v35
	v_lshlrev_b64 v[0:1], 1, v[0:1]
	v_add_co_u32_e32 v9, vcc, v49, v0
	v_addc_co_u32_e32 v10, vcc, v50, v1, vcc
	global_load_dwordx4 v[1:4], v[9:10], off
	ds_read2_b64 v[21:24], v52 offset1:1
	ds_read2_b64 v[17:20], v52 offset0:2 offset1:3
	s_and_saveexec_b64 s[14:15], s[0:1]
	s_cbranch_execnz .LBB147_50
; %bb.42:                               ;   in Loop: Header=BB147_40 Depth=1
	s_or_b64 exec, exec, s[14:15]
	global_load_dwordx4 v[5:8], v[9:10], off offset:1024
	s_and_saveexec_b64 s[14:15], s[0:1]
	s_cbranch_execnz .LBB147_51
.LBB147_43:                             ;   in Loop: Header=BB147_40 Depth=1
	s_or_b64 exec, exec, s[14:15]
	global_load_dwordx4 v[13:16], v[9:10], off offset:2048
	s_and_saveexec_b64 s[14:15], s[0:1]
	s_cbranch_execnz .LBB147_52
.LBB147_44:                             ;   in Loop: Header=BB147_40 Depth=1
	s_or_b64 exec, exec, s[14:15]
	global_load_dwordx4 v[25:28], v[9:10], off offset:3072
	s_and_saveexec_b64 s[14:15], s[0:1]
	s_cbranch_execz .LBB147_46
.LBB147_45:                             ;   in Loop: Header=BB147_40 Depth=1
	v_cmp_gt_i32_e32 vcc, s29, v60
	s_waitcnt vmcnt(0)
	v_cndmask_b32_sdwa v0, v48, v25, vcc dst_sel:DWORD dst_unused:UNUSED_PAD src0_sel:DWORD src1_sel:WORD_1
	v_cmp_gt_i32_e32 vcc, s33, v55
	v_cndmask_b32_e32 v11, 0, v25, vcc
	v_cmp_gt_i32_e32 vcc, s29, v58
	v_cmp_gt_i32_e64 s[2:3], s33, v59
	v_perm_b32 v25, v0, v11, s24
	v_cndmask_b32_e64 v0, 0, v26, s[2:3]
	v_cndmask_b32_sdwa v11, v48, v26, vcc dst_sel:DWORD dst_unused:UNUSED_PAD src0_sel:DWORD src1_sel:WORD_1
	v_cmp_gt_i32_e32 vcc, s29, v56
	v_cmp_gt_i32_e64 s[2:3], s33, v57
	v_perm_b32 v26, v11, v0, s24
	v_cndmask_b32_e64 v0, 0, v27, s[2:3]
	v_cndmask_b32_sdwa v11, v48, v27, vcc dst_sel:DWORD dst_unused:UNUSED_PAD src0_sel:DWORD src1_sel:WORD_1
	;; [unrolled: 5-line block ×3, first 2 shown]
	v_perm_b32 v28, v11, v0, s24
.LBB147_46:                             ;   in Loop: Header=BB147_40 Depth=1
	s_or_b64 exec, exec, s[14:15]
	v_add_co_u32_e32 v11, vcc, 0x1000, v9
	v_addc_co_u32_e32 v12, vcc, 0, v10, vcc
	global_load_dwordx4 v[29:32], v[11:12], off
	s_and_saveexec_b64 s[14:15], s[0:1]
	s_cbranch_execz .LBB147_48
; %bb.47:                               ;   in Loop: Header=BB147_40 Depth=1
	v_cmp_gt_i32_e32 vcc, s29, v60
	s_waitcnt vmcnt(0)
	v_cndmask_b32_sdwa v0, v48, v29, vcc dst_sel:DWORD dst_unused:UNUSED_PAD src0_sel:DWORD src1_sel:WORD_1
	v_cmp_gt_i32_e32 vcc, s33, v55
	v_cndmask_b32_e32 v11, 0, v29, vcc
	v_cmp_gt_i32_e32 vcc, s29, v58
	v_cmp_gt_i32_e64 s[2:3], s33, v59
	v_perm_b32 v29, v0, v11, s24
	v_cndmask_b32_e64 v0, 0, v30, s[2:3]
	v_cndmask_b32_sdwa v11, v48, v30, vcc dst_sel:DWORD dst_unused:UNUSED_PAD src0_sel:DWORD src1_sel:WORD_1
	v_cmp_gt_i32_e32 vcc, s29, v56
	v_cmp_gt_i32_e64 s[2:3], s33, v57
	v_perm_b32 v30, v11, v0, s24
	v_cndmask_b32_e64 v0, 0, v31, s[2:3]
	v_cndmask_b32_sdwa v11, v48, v31, vcc dst_sel:DWORD dst_unused:UNUSED_PAD src0_sel:DWORD src1_sel:WORD_1
	;; [unrolled: 5-line block ×3, first 2 shown]
	v_perm_b32 v32, v11, v0, s24
.LBB147_48:                             ;   in Loop: Header=BB147_40 Depth=1
	s_or_b64 exec, exec, s[14:15]
	v_add_co_u32_e32 v9, vcc, 0x1000, v9
	v_addc_co_u32_e32 v10, vcc, 0, v10, vcc
	global_load_dwordx4 v[9:12], v[9:10], off offset:1024
	s_and_saveexec_b64 s[2:3], s[0:1]
	s_cbranch_execz .LBB147_38
; %bb.49:                               ;   in Loop: Header=BB147_40 Depth=1
	v_cmp_gt_i32_e32 vcc, s29, v60
	s_waitcnt vmcnt(0)
	v_cndmask_b32_sdwa v0, v48, v9, vcc dst_sel:DWORD dst_unused:UNUSED_PAD src0_sel:DWORD src1_sel:WORD_1
	v_cmp_gt_i32_e32 vcc, s33, v55
	v_cndmask_b32_e32 v9, 0, v9, vcc
	v_cmp_gt_i32_e32 vcc, s29, v58
	v_cmp_gt_i32_e64 s[0:1], s33, v59
	v_perm_b32 v9, v0, v9, s24
	v_cndmask_b32_e64 v0, 0, v10, s[0:1]
	v_cndmask_b32_sdwa v10, v48, v10, vcc dst_sel:DWORD dst_unused:UNUSED_PAD src0_sel:DWORD src1_sel:WORD_1
	v_cmp_gt_i32_e32 vcc, s29, v56
	v_cmp_gt_i32_e64 s[0:1], s33, v57
	v_perm_b32 v10, v10, v0, s24
	v_cndmask_b32_e64 v0, 0, v11, s[0:1]
	v_cndmask_b32_sdwa v11, v48, v11, vcc dst_sel:DWORD dst_unused:UNUSED_PAD src0_sel:DWORD src1_sel:WORD_1
	;; [unrolled: 5-line block ×3, first 2 shown]
	v_perm_b32 v12, v12, v0, s24
	s_branch .LBB147_38
.LBB147_50:                             ;   in Loop: Header=BB147_40 Depth=1
	v_cmp_gt_i32_e32 vcc, s29, v60
	s_waitcnt vmcnt(0)
	v_cndmask_b32_sdwa v0, v48, v1, vcc dst_sel:DWORD dst_unused:UNUSED_PAD src0_sel:DWORD src1_sel:WORD_1
	v_cmp_gt_i32_e32 vcc, s33, v55
	v_cndmask_b32_e32 v1, 0, v1, vcc
	v_cmp_gt_i32_e32 vcc, s29, v58
	v_cmp_gt_i32_e64 s[2:3], s33, v59
	v_perm_b32 v1, v0, v1, s24
	v_cndmask_b32_e64 v0, 0, v2, s[2:3]
	v_cndmask_b32_sdwa v2, v48, v2, vcc dst_sel:DWORD dst_unused:UNUSED_PAD src0_sel:DWORD src1_sel:WORD_1
	v_cmp_gt_i32_e32 vcc, s29, v56
	v_cmp_gt_i32_e64 s[2:3], s33, v57
	v_perm_b32 v2, v2, v0, s24
	v_cndmask_b32_e64 v0, 0, v3, s[2:3]
	v_cndmask_b32_sdwa v3, v48, v3, vcc dst_sel:DWORD dst_unused:UNUSED_PAD src0_sel:DWORD src1_sel:WORD_1
	v_cmp_gt_i32_e32 vcc, s29, v53
	v_cmp_gt_i32_e64 s[2:3], s33, v54
	v_perm_b32 v3, v3, v0, s24
	v_cndmask_b32_e64 v0, 0, v4, s[2:3]
	v_cndmask_b32_sdwa v4, v48, v4, vcc dst_sel:DWORD dst_unused:UNUSED_PAD src0_sel:DWORD src1_sel:WORD_1
	v_perm_b32 v4, v4, v0, s24
	s_or_b64 exec, exec, s[14:15]
	global_load_dwordx4 v[5:8], v[9:10], off offset:1024
	s_and_saveexec_b64 s[14:15], s[0:1]
	s_cbranch_execz .LBB147_43
.LBB147_51:                             ;   in Loop: Header=BB147_40 Depth=1
	v_cmp_gt_i32_e32 vcc, s29, v60
	s_waitcnt vmcnt(0)
	v_cndmask_b32_sdwa v0, v48, v5, vcc dst_sel:DWORD dst_unused:UNUSED_PAD src0_sel:DWORD src1_sel:WORD_1
	v_cmp_gt_i32_e32 vcc, s33, v55
	v_cndmask_b32_e32 v5, 0, v5, vcc
	v_cmp_gt_i32_e32 vcc, s29, v58
	v_cmp_gt_i32_e64 s[2:3], s33, v59
	v_perm_b32 v5, v0, v5, s24
	v_cndmask_b32_e64 v0, 0, v6, s[2:3]
	v_cndmask_b32_sdwa v6, v48, v6, vcc dst_sel:DWORD dst_unused:UNUSED_PAD src0_sel:DWORD src1_sel:WORD_1
	v_cmp_gt_i32_e32 vcc, s29, v56
	v_cmp_gt_i32_e64 s[2:3], s33, v57
	v_perm_b32 v6, v6, v0, s24
	v_cndmask_b32_e64 v0, 0, v7, s[2:3]
	v_cndmask_b32_sdwa v7, v48, v7, vcc dst_sel:DWORD dst_unused:UNUSED_PAD src0_sel:DWORD src1_sel:WORD_1
	;; [unrolled: 5-line block ×3, first 2 shown]
	v_perm_b32 v8, v8, v0, s24
	s_or_b64 exec, exec, s[14:15]
	global_load_dwordx4 v[13:16], v[9:10], off offset:2048
	s_and_saveexec_b64 s[14:15], s[0:1]
	s_cbranch_execz .LBB147_44
.LBB147_52:                             ;   in Loop: Header=BB147_40 Depth=1
	v_cmp_gt_i32_e32 vcc, s29, v60
	s_waitcnt vmcnt(0)
	v_cndmask_b32_sdwa v0, v48, v13, vcc dst_sel:DWORD dst_unused:UNUSED_PAD src0_sel:DWORD src1_sel:WORD_1
	v_cmp_gt_i32_e32 vcc, s33, v55
	v_cndmask_b32_e32 v11, 0, v13, vcc
	v_cmp_gt_i32_e32 vcc, s29, v58
	v_cmp_gt_i32_e64 s[2:3], s33, v59
	v_perm_b32 v13, v0, v11, s24
	v_cndmask_b32_e64 v0, 0, v14, s[2:3]
	v_cndmask_b32_sdwa v11, v48, v14, vcc dst_sel:DWORD dst_unused:UNUSED_PAD src0_sel:DWORD src1_sel:WORD_1
	v_cmp_gt_i32_e32 vcc, s29, v56
	v_cmp_gt_i32_e64 s[2:3], s33, v57
	v_perm_b32 v14, v11, v0, s24
	v_cndmask_b32_e64 v0, 0, v15, s[2:3]
	v_cndmask_b32_sdwa v11, v48, v15, vcc dst_sel:DWORD dst_unused:UNUSED_PAD src0_sel:DWORD src1_sel:WORD_1
	;; [unrolled: 5-line block ×3, first 2 shown]
	v_perm_b32 v16, v11, v0, s24
	s_or_b64 exec, exec, s[14:15]
	global_load_dwordx4 v[25:28], v[9:10], off offset:3072
	s_and_saveexec_b64 s[14:15], s[0:1]
	s_cbranch_execnz .LBB147_45
	s_branch .LBB147_46
.LBB147_53:
	s_or_b64 exec, exec, s[6:7]
.LBB147_54:
	s_or_b64 exec, exec, s[4:5]
	ds_bpermute_b32 v1, v38, v45
	ds_bpermute_b32 v5, v38, v42
	s_waitcnt lgkmcnt(0)
	s_barrier
	v_add_f32_e32 v1, v45, v1
	ds_bpermute_b32 v6, v39, v1
	v_add_f32_e32 v10, v42, v5
	ds_bpermute_b32 v0, v38, v46
	ds_bpermute_b32 v2, v38, v44
	;; [unrolled: 1-line block ×3, first 2 shown]
	s_waitcnt lgkmcnt(3)
	v_add_f32_e32 v5, v1, v6
	buffer_load_dword v6, off, s[48:51], 0  ; 4-byte Folded Reload
	s_waitcnt lgkmcnt(2)
	v_add_f32_e32 v0, v46, v0
	ds_bpermute_b32 v3, v39, v0
	s_waitcnt lgkmcnt(2)
	v_add_f32_e32 v2, v44, v2
	ds_bpermute_b32 v7, v39, v2
	;; [unrolled: 3-line block ×4, first 2 shown]
	ds_bpermute_b32 v11, v39, v10
	s_waitcnt lgkmcnt(3)
	v_add_f32_e32 v4, v2, v7
	s_waitcnt lgkmcnt(2)
	v_add_f32_e32 v2, v8, v9
	;; [unrolled: 2-line block ×3, first 2 shown]
	ds_bpermute_b32 v12, v39, v0
	s_waitcnt lgkmcnt(1)
	v_add_f32_e32 v1, v10, v11
	s_waitcnt lgkmcnt(0)
	v_add_f32_e32 v0, v0, v12
	s_waitcnt vmcnt(0)
	v_and_b32_e32 v7, 0x3c3, v6
	v_cmp_eq_u32_e32 vcc, 64, v7
	s_and_saveexec_b64 s[0:1], vcc
	s_cbranch_execz .LBB147_56
; %bb.55:
	v_add_u32_e32 v6, 0xd0, v37
	ds_write2_b32 v6, v3, v5 offset1:16
	ds_write2_b32 v6, v4, v2 offset0:32 offset1:48
	ds_write2_b32 v6, v1, v0 offset0:64 offset1:80
.LBB147_56:
	s_or_b64 exec, exec, s[0:1]
	buffer_load_dword v6, off, s[48:51], 0  ; 4-byte Folded Reload
	s_waitcnt vmcnt(0) lgkmcnt(0)
	s_barrier
	v_cmp_gt_u32_e32 vcc, 64, v6
	v_lshrrev_b32_e32 v6, 2, v6
	s_and_saveexec_b64 s[0:1], vcc
	s_cbranch_execz .LBB147_65
; %bb.57:
	v_mov_b32_e32 v8, 0xd0
	v_cmp_eq_u32_e32 vcc, 0, v40
	v_lshl_add_u32 v8, v6, 2, v8
	s_and_saveexec_b64 s[2:3], vcc
	s_cbranch_execnz .LBB147_68
; %bb.58:
	s_or_b64 exec, exec, s[2:3]
	s_and_saveexec_b64 s[2:3], vcc
	s_cbranch_execnz .LBB147_69
.LBB147_59:
	s_or_b64 exec, exec, s[2:3]
	s_and_saveexec_b64 s[2:3], vcc
	s_cbranch_execnz .LBB147_70
.LBB147_60:
	s_or_b64 exec, exec, s[2:3]
	s_and_saveexec_b64 s[2:3], vcc
	s_cbranch_execnz .LBB147_71
.LBB147_61:
	s_or_b64 exec, exec, s[2:3]
	s_and_saveexec_b64 s[2:3], vcc
	s_cbranch_execnz .LBB147_72
.LBB147_62:
	s_or_b64 exec, exec, s[2:3]
	s_and_saveexec_b64 s[2:3], vcc
	s_cbranch_execz .LBB147_64
.LBB147_63:
	ds_read_b32 v8, v8 offset:320
	s_waitcnt lgkmcnt(0)
	v_add_f32_e32 v0, v0, v8
.LBB147_64:
	s_or_b64 exec, exec, s[2:3]
.LBB147_65:
	s_or_b64 exec, exec, s[0:1]
	v_cmp_eq_u32_e32 vcc, 0, v7
	s_barrier
	s_and_saveexec_b64 s[0:1], vcc
	s_cbranch_execz .LBB147_67
; %bb.66:
	s_mul_i32 s0, s10, s11
	s_mul_i32 s0, s0, s9
	s_mulk_i32 s0, 0x60
	s_ashr_i32 s1, s0, 31
	s_lshl_b64 s[0:1], s[0:1], 1
	s_add_u32 s2, s22, s0
	s_mul_i32 s0, s11, s20
	s_addc_u32 s3, s23, s1
	s_ashr_i32 s1, s0, 31
	s_lshl_b64 s[0:1], s[0:1], 1
	s_add_u32 s2, s2, s0
	s_mul_i32 s0, s8, 0x60
	s_addc_u32 s3, s3, s1
	s_ashr_i32 s1, s0, 31
	s_lshl_b64 s[0:1], s[0:1], 1
	s_add_u32 s0, s2, s0
	v_bfe_u32 v7, v3, 16, 1
	s_movk_i32 s2, 0x7fff
	v_add3_u32 v7, v7, v3, s2
	v_or_b32_e32 v8, 0x400000, v3
	v_cmp_u_f32_e32 vcc, v3, v3
	s_addc_u32 s1, s3, s1
	v_lshlrev_b32_e32 v6, 1, v6
	v_cndmask_b32_e32 v3, v7, v8, vcc
	global_store_short_d16_hi v6, v3, s[0:1]
	v_bfe_u32 v3, v5, 16, 1
	v_add3_u32 v3, v3, v5, s2
	v_or_b32_e32 v7, 0x400000, v5
	v_cmp_u_f32_e32 vcc, v5, v5
	v_cndmask_b32_e32 v3, v3, v7, vcc
	global_store_short_d16_hi v6, v3, s[0:1] offset:32
	v_bfe_u32 v3, v4, 16, 1
	v_add3_u32 v3, v3, v4, s2
	v_or_b32_e32 v5, 0x400000, v4
	v_cmp_u_f32_e32 vcc, v4, v4
	v_cndmask_b32_e32 v3, v3, v5, vcc
	global_store_short_d16_hi v6, v3, s[0:1] offset:64
	;; [unrolled: 6-line block ×5, first 2 shown]
.LBB147_67:
	s_endpgm
.LBB147_68:
	ds_read_b32 v9, v8
	s_waitcnt lgkmcnt(0)
	v_add_f32_e32 v3, v3, v9
	s_or_b64 exec, exec, s[2:3]
	s_and_saveexec_b64 s[2:3], vcc
	s_cbranch_execz .LBB147_59
.LBB147_69:
	ds_read_b32 v9, v8 offset:64
	s_waitcnt lgkmcnt(0)
	v_add_f32_e32 v5, v5, v9
	s_or_b64 exec, exec, s[2:3]
	s_and_saveexec_b64 s[2:3], vcc
	s_cbranch_execz .LBB147_60
.LBB147_70:
	ds_read_b32 v9, v8 offset:128
	s_waitcnt lgkmcnt(0)
	v_add_f32_e32 v4, v4, v9
	s_or_b64 exec, exec, s[2:3]
	s_and_saveexec_b64 s[2:3], vcc
	s_cbranch_execz .LBB147_61
.LBB147_71:
	ds_read_b32 v9, v8 offset:192
	s_waitcnt lgkmcnt(0)
	v_add_f32_e32 v2, v2, v9
	s_or_b64 exec, exec, s[2:3]
	s_and_saveexec_b64 s[2:3], vcc
	s_cbranch_execz .LBB147_62
.LBB147_72:
	ds_read_b32 v9, v8 offset:256
	s_waitcnt lgkmcnt(0)
	v_add_f32_e32 v1, v1, v9
	s_or_b64 exec, exec, s[2:3]
	s_and_saveexec_b64 s[2:3], vcc
	s_cbranch_execnz .LBB147_63
	s_branch .LBB147_64
	.section	.rodata,"a",@progbits
	.p2align	6, 0x0
	.amdhsa_kernel _ZN4vllm25paged_attention_v1_kernelI14__hip_bfloat16S1_Li96ELi32ELi128ELNS_18Fp8KVCacheDataTypeE0ELb1EEEvPT_PKS3_PKT0_S9_ifPKiSB_iPKfiiiSD_SD_iiiii
		.amdhsa_group_segment_fixed_size 208
		.amdhsa_private_segment_fixed_size 48
		.amdhsa_kernarg_size 384
		.amdhsa_user_sgpr_count 6
		.amdhsa_user_sgpr_private_segment_buffer 1
		.amdhsa_user_sgpr_dispatch_ptr 0
		.amdhsa_user_sgpr_queue_ptr 0
		.amdhsa_user_sgpr_kernarg_segment_ptr 1
		.amdhsa_user_sgpr_dispatch_id 0
		.amdhsa_user_sgpr_flat_scratch_init 0
		.amdhsa_user_sgpr_private_segment_size 0
		.amdhsa_uses_dynamic_stack 0
		.amdhsa_system_sgpr_private_segment_wavefront_offset 1
		.amdhsa_system_sgpr_workgroup_id_x 1
		.amdhsa_system_sgpr_workgroup_id_y 1
		.amdhsa_system_sgpr_workgroup_id_z 1
		.amdhsa_system_sgpr_workgroup_info 0
		.amdhsa_system_vgpr_workitem_id 0
		.amdhsa_next_free_vgpr 64
		.amdhsa_next_free_sgpr 52
		.amdhsa_reserve_vcc 1
		.amdhsa_reserve_flat_scratch 0
		.amdhsa_float_round_mode_32 0
		.amdhsa_float_round_mode_16_64 0
		.amdhsa_float_denorm_mode_32 3
		.amdhsa_float_denorm_mode_16_64 3
		.amdhsa_dx10_clamp 1
		.amdhsa_ieee_mode 1
		.amdhsa_fp16_overflow 0
		.amdhsa_exception_fp_ieee_invalid_op 0
		.amdhsa_exception_fp_denorm_src 0
		.amdhsa_exception_fp_ieee_div_zero 0
		.amdhsa_exception_fp_ieee_overflow 0
		.amdhsa_exception_fp_ieee_underflow 0
		.amdhsa_exception_fp_ieee_inexact 0
		.amdhsa_exception_int_div_zero 0
	.end_amdhsa_kernel
	.section	.text._ZN4vllm25paged_attention_v1_kernelI14__hip_bfloat16S1_Li96ELi32ELi128ELNS_18Fp8KVCacheDataTypeE0ELb1EEEvPT_PKS3_PKT0_S9_ifPKiSB_iPKfiiiSD_SD_iiiii,"axG",@progbits,_ZN4vllm25paged_attention_v1_kernelI14__hip_bfloat16S1_Li96ELi32ELi128ELNS_18Fp8KVCacheDataTypeE0ELb1EEEvPT_PKS3_PKT0_S9_ifPKiSB_iPKfiiiSD_SD_iiiii,comdat
.Lfunc_end147:
	.size	_ZN4vllm25paged_attention_v1_kernelI14__hip_bfloat16S1_Li96ELi32ELi128ELNS_18Fp8KVCacheDataTypeE0ELb1EEEvPT_PKS3_PKT0_S9_ifPKiSB_iPKfiiiSD_SD_iiiii, .Lfunc_end147-_ZN4vllm25paged_attention_v1_kernelI14__hip_bfloat16S1_Li96ELi32ELi128ELNS_18Fp8KVCacheDataTypeE0ELb1EEEvPT_PKS3_PKT0_S9_ifPKiSB_iPKfiiiSD_SD_iiiii
                                        ; -- End function
	.set _ZN4vllm25paged_attention_v1_kernelI14__hip_bfloat16S1_Li96ELi32ELi128ELNS_18Fp8KVCacheDataTypeE0ELb1EEEvPT_PKS3_PKT0_S9_ifPKiSB_iPKfiiiSD_SD_iiiii.num_vgpr, 64
	.set _ZN4vllm25paged_attention_v1_kernelI14__hip_bfloat16S1_Li96ELi32ELi128ELNS_18Fp8KVCacheDataTypeE0ELb1EEEvPT_PKS3_PKT0_S9_ifPKiSB_iPKfiiiSD_SD_iiiii.num_agpr, 0
	.set _ZN4vllm25paged_attention_v1_kernelI14__hip_bfloat16S1_Li96ELi32ELi128ELNS_18Fp8KVCacheDataTypeE0ELb1EEEvPT_PKS3_PKT0_S9_ifPKiSB_iPKfiiiSD_SD_iiiii.numbered_sgpr, 52
	.set _ZN4vllm25paged_attention_v1_kernelI14__hip_bfloat16S1_Li96ELi32ELi128ELNS_18Fp8KVCacheDataTypeE0ELb1EEEvPT_PKS3_PKT0_S9_ifPKiSB_iPKfiiiSD_SD_iiiii.num_named_barrier, 0
	.set _ZN4vllm25paged_attention_v1_kernelI14__hip_bfloat16S1_Li96ELi32ELi128ELNS_18Fp8KVCacheDataTypeE0ELb1EEEvPT_PKS3_PKT0_S9_ifPKiSB_iPKfiiiSD_SD_iiiii.private_seg_size, 48
	.set _ZN4vllm25paged_attention_v1_kernelI14__hip_bfloat16S1_Li96ELi32ELi128ELNS_18Fp8KVCacheDataTypeE0ELb1EEEvPT_PKS3_PKT0_S9_ifPKiSB_iPKfiiiSD_SD_iiiii.uses_vcc, 1
	.set _ZN4vllm25paged_attention_v1_kernelI14__hip_bfloat16S1_Li96ELi32ELi128ELNS_18Fp8KVCacheDataTypeE0ELb1EEEvPT_PKS3_PKT0_S9_ifPKiSB_iPKfiiiSD_SD_iiiii.uses_flat_scratch, 0
	.set _ZN4vllm25paged_attention_v1_kernelI14__hip_bfloat16S1_Li96ELi32ELi128ELNS_18Fp8KVCacheDataTypeE0ELb1EEEvPT_PKS3_PKT0_S9_ifPKiSB_iPKfiiiSD_SD_iiiii.has_dyn_sized_stack, 0
	.set _ZN4vllm25paged_attention_v1_kernelI14__hip_bfloat16S1_Li96ELi32ELi128ELNS_18Fp8KVCacheDataTypeE0ELb1EEEvPT_PKS3_PKT0_S9_ifPKiSB_iPKfiiiSD_SD_iiiii.has_recursion, 0
	.set _ZN4vllm25paged_attention_v1_kernelI14__hip_bfloat16S1_Li96ELi32ELi128ELNS_18Fp8KVCacheDataTypeE0ELb1EEEvPT_PKS3_PKT0_S9_ifPKiSB_iPKfiiiSD_SD_iiiii.has_indirect_call, 0
	.section	.AMDGPU.csdata,"",@progbits
; Kernel info:
; codeLenInByte = 9112
; TotalNumSgprs: 56
; NumVgprs: 64
; ScratchSize: 48
; MemoryBound: 0
; FloatMode: 240
; IeeeMode: 1
; LDSByteSize: 208 bytes/workgroup (compile time only)
; SGPRBlocks: 6
; VGPRBlocks: 15
; NumSGPRsForWavesPerEU: 56
; NumVGPRsForWavesPerEU: 64
; Occupancy: 4
; WaveLimiterHint : 1
; COMPUTE_PGM_RSRC2:SCRATCH_EN: 1
; COMPUTE_PGM_RSRC2:USER_SGPR: 6
; COMPUTE_PGM_RSRC2:TRAP_HANDLER: 0
; COMPUTE_PGM_RSRC2:TGID_X_EN: 1
; COMPUTE_PGM_RSRC2:TGID_Y_EN: 1
; COMPUTE_PGM_RSRC2:TGID_Z_EN: 1
; COMPUTE_PGM_RSRC2:TIDIG_COMP_CNT: 0
	.section	.text._ZN4vllm25paged_attention_v1_kernelI14__hip_bfloat16S1_Li112ELi32ELi128ELNS_18Fp8KVCacheDataTypeE0ELb1EEEvPT_PKS3_PKT0_S9_ifPKiSB_iPKfiiiSD_SD_iiiii,"axG",@progbits,_ZN4vllm25paged_attention_v1_kernelI14__hip_bfloat16S1_Li112ELi32ELi128ELNS_18Fp8KVCacheDataTypeE0ELb1EEEvPT_PKS3_PKT0_S9_ifPKiSB_iPKfiiiSD_SD_iiiii,comdat
	.protected	_ZN4vllm25paged_attention_v1_kernelI14__hip_bfloat16S1_Li112ELi32ELi128ELNS_18Fp8KVCacheDataTypeE0ELb1EEEvPT_PKS3_PKT0_S9_ifPKiSB_iPKfiiiSD_SD_iiiii ; -- Begin function _ZN4vllm25paged_attention_v1_kernelI14__hip_bfloat16S1_Li112ELi32ELi128ELNS_18Fp8KVCacheDataTypeE0ELb1EEEvPT_PKS3_PKT0_S9_ifPKiSB_iPKfiiiSD_SD_iiiii
	.globl	_ZN4vllm25paged_attention_v1_kernelI14__hip_bfloat16S1_Li112ELi32ELi128ELNS_18Fp8KVCacheDataTypeE0ELb1EEEvPT_PKS3_PKT0_S9_ifPKiSB_iPKfiiiSD_SD_iiiii
	.p2align	8
	.type	_ZN4vllm25paged_attention_v1_kernelI14__hip_bfloat16S1_Li112ELi32ELi128ELNS_18Fp8KVCacheDataTypeE0ELb1EEEvPT_PKS3_PKT0_S9_ifPKiSB_iPKfiiiSD_SD_iiiii,@function
_ZN4vllm25paged_attention_v1_kernelI14__hip_bfloat16S1_Li112ELi32ELi128ELNS_18Fp8KVCacheDataTypeE0ELb1EEEvPT_PKS3_PKT0_S9_ifPKiSB_iPKfiiiSD_SD_iiiii: ; @_ZN4vllm25paged_attention_v1_kernelI14__hip_bfloat16S1_Li112ELi32ELi128ELNS_18Fp8KVCacheDataTypeE0ELb1EEEvPT_PKS3_PKT0_S9_ifPKiSB_iPKfiiiSD_SD_iiiii
; %bb.0:
	s_mov_b64 s[50:51], s[2:3]
	s_mov_b64 s[48:49], s[0:1]
	s_add_u32 s48, s48, s9
	s_load_dword s9, s[4:5], 0x80
	s_load_dwordx2 s[0:1], s[4:5], 0x30
	s_load_dwordx2 s[30:31], s[4:5], 0x20
	s_addc_u32 s49, s49, 0
	s_mov_b32 s10, s7
	s_ashr_i32 s11, s7, 31
	s_lshl_b64 s[2:3], s[10:11], 2
	s_waitcnt lgkmcnt(0)
	s_add_u32 s0, s0, s2
	s_addc_u32 s1, s1, s3
	s_abs_i32 s2, s30
	v_mov_b32_e32 v14, v0
	v_cvt_f32_u32_e32 v0, s2
	s_sub_i32 s11, 0, s2
	s_abs_i32 s7, s9
	s_xor_b32 s3, s9, s30
	v_rcp_iflag_f32_e32 v0, v0
	s_ashr_i32 s3, s3, 31
	s_mov_b32 s42, 0
	v_mul_f32_e32 v0, 0x4f7ffffe, v0
	v_cvt_u32_f32_e32 v0, v0
	v_readfirstlane_b32 s12, v0
	s_mul_i32 s11, s11, s12
	s_mul_hi_u32 s11, s12, s11
	s_add_i32 s12, s12, s11
	s_mul_hi_u32 s11, s7, s12
	s_mul_i32 s12, s11, s2
	s_sub_i32 s7, s7, s12
	s_add_i32 s12, s11, 1
	s_sub_i32 s13, s7, s2
	s_cmp_ge_u32 s7, s2
	s_cselect_b32 s11, s12, s11
	s_cselect_b32 s7, s13, s7
	s_add_i32 s12, s11, 1
	s_cmp_ge_u32 s7, s2
	s_cselect_b32 s2, s12, s11
	s_xor_b32 s2, s2, s3
	s_sub_i32 s12, s2, s3
	s_abs_i32 s11, s12
	v_cvt_f32_u32_e32 v0, s11
	s_load_dwordx2 s[2:3], s[4:5], 0x40
	s_sub_i32 s7, 0, s11
	s_abs_i32 s22, s6
	v_rcp_iflag_f32_e32 v0, v0
	v_mul_f32_e32 v0, 0x4f7ffffe, v0
	v_cvt_u32_f32_e32 v0, v0
	v_readfirstlane_b32 s13, v0
	s_mul_i32 s7, s7, s13
	s_mul_hi_u32 s7, s13, s7
	s_add_i32 s13, s13, s7
	s_waitcnt lgkmcnt(0)
	s_cmp_eq_u64 s[2:3], 0
	s_mul_hi_u32 s23, s22, s13
	s_cbranch_scc1 .LBB148_2
; %bb.1:
	s_ashr_i32 s7, s6, 31
	s_lshl_b64 s[14:15], s[6:7], 2
	s_add_u32 s2, s2, s14
	s_addc_u32 s3, s3, s15
	s_load_dword s42, s[2:3], 0x0
.LBB148_2:
	s_load_dword s33, s[0:1], 0x0
	s_ashr_i32 s7, s12, 31
	s_load_dwordx4 s[12:15], s[4:5], 0x48
	s_ashr_i32 s2, s6, 31
	v_and_b32_e32 v0, 1, v14
	s_movk_i32 s3, 0x70
	s_mul_i32 s20, s6, 0x70
	v_cmp_gt_u32_e32 vcc, 28, v14
	v_lshlrev_b32_e32 v12, 3, v14
	s_and_saveexec_b64 s[0:1], vcc
	s_cbranch_execz .LBB148_4
; %bb.3:
	s_load_dwordx2 s[16:17], s[4:5], 0x8
	s_waitcnt lgkmcnt(0)
	s_mul_i32 s18, s12, s10
	s_ashr_i32 s19, s18, 31
	s_lshl_b64 s[18:19], s[18:19], 1
	v_lshlrev_b32_e32 v3, 2, v14
	s_add_u32 s12, s16, s18
	s_addc_u32 s15, s17, s19
	s_ashr_i32 s21, s20, 31
	s_lshl_b64 s[16:17], s[20:21], 1
	s_add_u32 s16, s12, s16
	s_addc_u32 s17, s15, s17
	global_load_dwordx2 v[1:2], v12, s[16:17]
	v_and_b32_e32 v3, 0xff8, v3
	v_mad_u32_u24 v3, v0, s3, v3
	s_waitcnt vmcnt(0)
	ds_write_b64 v3, v[1:2]
.LBB148_4:
	s_or_b64 exec, exec, s[0:1]
	s_mul_i32 s1, s23, s11
	s_sub_i32 s1, s22, s1
	s_xor_b32 s0, s2, s7
	s_add_i32 s2, s23, 1
	s_sub_i32 s7, s1, s11
	s_load_dwordx4 s[16:19], s[4:5], 0x68
	s_load_dword s3, s[4:5], 0x78
	s_cmp_ge_u32 s1, s11
	s_cselect_b32 s2, s2, s23
	s_cselect_b32 s1, s7, s1
	s_add_i32 s7, s2, 1
	s_cmp_ge_u32 s1, s11
	s_cselect_b32 s1, s7, s2
	s_waitcnt lgkmcnt(0)
	s_abs_i32 s21, s19
	v_cvt_f32_u32_e32 v1, s21
	s_xor_b32 s1, s1, s0
	s_sub_i32 s2, s1, s0
	s_sub_i32 s0, 0, s21
	v_rcp_iflag_f32_e32 v1, v1
	s_add_i32 s11, s33, -1
	s_abs_i32 s7, s11
	v_mul_f32_e32 v1, 0x4f7ffffe, v1
	v_cvt_u32_f32_e32 v1, v1
	s_barrier
	v_readfirstlane_b32 s40, v1
	s_mul_i32 s0, s0, s40
	s_mul_hi_u32 s0, s40, s0
	s_add_i32 s40, s40, s0
	s_cmp_lt_i32 s3, 0
	s_mul_hi_u32 s12, s7, s40
	s_cbranch_scc0 .LBB148_6
; %bb.5:
	s_mul_i32 s0, s16, s30
	s_add_i32 s0, s2, s0
	s_mul_i32 s0, s0, s3
	s_sub_i32 s41, 1, s0
	s_mov_b64 s[0:1], 0
	s_branch .LBB148_7
.LBB148_6:
	s_mov_b64 s[0:1], -1
                                        ; implicit-def: $sgpr41
.LBB148_7:
	s_load_dwordx2 s[24:25], s[4:5], 0x28
	s_ashr_i32 s15, s11, 31
	s_andn2_b64 vcc, exec, s[0:1]
	s_ashr_i32 s19, s19, 31
	s_cbranch_vccnz .LBB148_9
; %bb.8:
	s_mul_i32 s0, s9, s16
	s_add_i32 s0, s0, s6
	s_mul_i32 s0, s0, s3
	s_add_i32 s41, s0, 1
.LBB148_9:
	s_load_dword s0, s[4:5], 0x38
	s_load_dwordx2 s[22:23], s[4:5], 0x0
	s_load_dwordx2 s[28:29], s[4:5], 0x18
	s_load_dword s11, s[4:5], 0x88
	s_xor_b32 s1, s15, s19
	s_waitcnt lgkmcnt(0)
	s_mul_i32 s26, s0, s10
	s_mul_i32 s0, s12, s21
	s_sub_i32 s0, s7, s0
	s_ashr_i32 s27, s26, 31
	s_add_i32 s3, s12, 1
	s_sub_i32 s6, s0, s21
	s_cmp_ge_u32 s0, s21
	s_cselect_b32 s3, s3, s12
	s_cselect_b32 s0, s6, s0
	s_add_i32 s6, s3, 1
	s_cmp_ge_u32 s0, s21
	s_cselect_b32 s0, s6, s3
	s_xor_b32 s0, s0, s1
	s_sub_i32 s12, s0, s1
	s_add_i32 s0, s33, 31
	s_ashr_i32 s1, s0, 31
	s_lshr_b32 s1, s1, 27
	s_add_i32 s0, s0, s1
	s_ashr_i32 s16, s0, 5
	v_lshrrev_b32_e32 v45, 6, v14
	v_cmp_gt_i32_e64 s[0:1], s16, v45
	v_mov_b32_e32 v3, 0xff7fffff
	s_mul_i32 s14, s2, s14
	v_lshrrev_b32_e32 v13, 4, v14
	v_lshlrev_b32_e32 v46, 5, v45
	v_mbcnt_lo_u32_b32 v7, -1, 0
	s_mov_b64 s[34:35], exec
	s_and_b64 s[2:3], s[34:35], s[0:1]
	buffer_store_dword v14, off, s[48:51], 0 offset:36 ; 4-byte Folded Spill
	s_mov_b64 exec, s[2:3]
	s_cbranch_execz .LBB148_21
; %bb.10:
	s_load_dwordx2 s[2:3], s[4:5], 0x10
	s_ashr_i32 s15, s14, 31
	s_sub_i32 s30, s12, s17
	s_lshl_b64 s[4:5], s[14:15], 1
	v_bfe_u32 v8, v14, 1, 5
	s_waitcnt lgkmcnt(0)
	s_add_u32 s2, s2, s4
	s_addc_u32 s3, s3, s5
	s_abs_i32 s15, s18
	v_cvt_f32_u32_e32 v1, s15
	v_mov_b32_e32 v4, s3
	s_sub_i32 s3, 0, s15
	v_lshlrev_b32_e32 v3, 4, v8
	v_rcp_iflag_f32_e32 v1, v1
	s_lshl_b64 s[4:5], s[26:27], 2
	v_and_b32_e32 v2, 8, v12
	s_add_u32 s4, s24, s4
	v_mul_f32_e32 v1, 0x4f7ffffe, v1
	v_cvt_u32_f32_e32 v1, v1
	v_cmp_eq_u32_e32 vcc, 0, v0
	v_mul_u32_u24_e32 v30, 0x70, v0
	v_and_b32_e32 v0, 60, v13
	v_mul_lo_u32 v5, s3, v1
	v_add_co_u32_e64 v3, s[2:3], s2, v3
	v_addc_co_u32_e64 v4, s[2:3], 0, v4, s[2:3]
	v_mul_hi_u32 v5, v1, v5
	v_add_co_u32_e64 v2, s[2:3], v3, v2
	s_addc_u32 s5, s25, s5
	buffer_store_dword v2, off, s[48:51], 0 offset:4 ; 4-byte Folded Spill
	v_addc_co_u32_e64 v2, s[2:3], 0, v4, s[2:3]
	v_add_u32_e32 v4, v1, v5
	v_mov_b32_e32 v1, s5
	v_add_co_u32_e64 v5, s[4:5], s4, v0
	v_subrev_u32_e32 v0, s33, v8
	v_add_u32_e32 v0, 1, v0
	buffer_store_dword v12, off, s[48:51], 0 offset:40 ; 4-byte Folded Spill
	buffer_store_dword v2, off, s[48:51], 0 offset:8 ; 4-byte Folded Spill
	;; [unrolled: 1-line block ×5, first 2 shown]
	v_lshlrev_b32_e32 v0, 2, v8
	v_lshl_or_b32 v0, v45, 7, v0
	v_add_u32_e32 v34, 0xf0, v0
	v_mbcnt_hi_u32_b32 v0, -1, v7
	v_addc_co_u32_e64 v6, s[4:5], 0, v1, s[4:5]
	v_xor_b32_e32 v1, 1, v0
	buffer_store_dword v1, off, s[48:51], 0 offset:20 ; 4-byte Folded Spill
	buffer_store_dword v0, off, s[48:51], 0 offset:16 ; 4-byte Folded Spill
	v_and_b32_e32 v0, 64, v0
	v_add_u32_e32 v0, 64, v0
	s_mov_b32 s43, s13
	v_cmp_neq_f32_e64 s[2:3], s42, 0
	v_lshlrev_b32_e32 v32, 5, v45
	s_mov_b64 s[36:37], 0
	s_movk_i32 s44, 0x1000
	buffer_store_dword v0, off, s[48:51], 0 offset:24 ; 4-byte Folded Spill
	v_mov_b32_e32 v0, 0xff7fffff
	v_mov_b32_e32 v38, v45
	buffer_store_dword v0, off, s[48:51], 0 ; 4-byte Folded Spill
	buffer_store_dword v4, off, s[48:51], 0 offset:12 ; 4-byte Folded Spill
	s_branch .LBB148_13
.LBB148_11:                             ;   in Loop: Header=BB148_13 Depth=1
	s_or_b64 exec, exec, s[38:39]
	buffer_load_dword v4, off, s[48:51], 0 offset:12 ; 4-byte Folded Reload
.LBB148_12:                             ;   in Loop: Header=BB148_13 Depth=1
	s_or_b64 exec, exec, s[6:7]
	v_add_co_u32_e64 v5, s[4:5], 8, v5
	v_add_u32_e32 v38, 2, v38
	v_addc_co_u32_e64 v6, s[4:5], 0, v6, s[4:5]
	v_cmp_le_i32_e64 s[4:5], s16, v38
	v_add_u32_e32 v32, 64, v32
	s_or_b64 s[36:37], s[4:5], s[36:37]
	v_add_u32_e32 v34, 0x100, v34
	s_andn2_b64 exec, exec, s[36:37]
	s_cbranch_execz .LBB148_20
.LBB148_13:                             ; =>This Inner Loop Header: Depth=1
	v_mul_hi_u32 v0, v32, s40
	v_mul_lo_u32 v1, v0, s21
	s_waitcnt lgkmcnt(0)
	v_add_u32_e32 v2, 1, v0
	v_sub_u32_e32 v1, v32, v1
	v_cmp_le_u32_e64 s[4:5], s21, v1
	v_cndmask_b32_e64 v0, v0, v2, s[4:5]
	v_subrev_u32_e32 v2, s21, v1
	v_cndmask_b32_e64 v1, v1, v2, s[4:5]
	v_add_u32_e32 v2, 1, v0
	v_cmp_le_u32_e64 s[4:5], s21, v1
	v_cndmask_b32_e64 v0, v0, v2, s[4:5]
	v_xor_b32_e32 v0, s19, v0
	v_subrev_u32_e32 v0, s19, v0
	v_add_u32_e32 v1, s41, v0
	v_sub_u32_e32 v2, 0, v1
	v_max_i32_e32 v2, v1, v2
	s_waitcnt vmcnt(0)
	v_mul_hi_u32 v3, v2, v4
	v_ashrrev_i32_e32 v1, 31, v1
	v_cmp_ge_i32_e64 s[6:7], s30, v0
	v_mul_lo_u32 v3, v3, s15
	v_sub_u32_e32 v2, v2, v3
	v_subrev_u32_e32 v3, s15, v2
	v_cmp_le_u32_e64 s[4:5], s15, v2
	v_cndmask_b32_e64 v2, v2, v3, s[4:5]
	v_subrev_u32_e32 v3, s15, v2
	v_cmp_le_u32_e64 s[4:5], s15, v2
	v_cndmask_b32_e64 v2, v2, v3, s[4:5]
	v_xor_b32_e32 v2, v2, v1
	v_sub_u32_e32 v1, v2, v1
	v_cmp_ne_u32_e64 s[4:5], 0, v1
	s_and_b64 s[4:5], s[4:5], s[6:7]
	s_and_saveexec_b64 s[6:7], s[4:5]
	s_xor_b64 s[4:5], exec, s[6:7]
	s_cbranch_execz .LBB148_17
; %bb.14:                               ;   in Loop: Header=BB148_13 Depth=1
	s_and_saveexec_b64 s[6:7], vcc
; %bb.15:                               ;   in Loop: Header=BB148_13 Depth=1
	v_mov_b32_e32 v0, 0xff7fffff
	ds_write_b32 v34, v0
; %bb.16:                               ;   in Loop: Header=BB148_13 Depth=1
	s_or_b64 exec, exec, s[6:7]
.LBB148_17:                             ;   in Loop: Header=BB148_13 Depth=1
	s_andn2_saveexec_b64 s[6:7], s[4:5]
	s_cbranch_execz .LBB148_12
; %bb.18:                               ;   in Loop: Header=BB148_13 Depth=1
	ds_read_b128 v[1:4], v30
	ds_read_b128 v[7:10], v30 offset:16
	ds_read_b128 v[50:53], v30 offset:64
	;; [unrolled: 1-line block ×3, first 2 shown]
	s_waitcnt lgkmcnt(3)
	v_lshlrev_b32_e32 v63, 16, v1
	v_lshlrev_b32_e32 v25, 16, v2
	;; [unrolled: 1-line block ×4, first 2 shown]
	v_and_b32_e32 v35, 0xffff0000, v1
	v_and_b32_e32 v26, 0xffff0000, v2
	;; [unrolled: 1-line block ×4, first 2 shown]
	ds_read_b128 v[1:4], v30 offset:32
	s_waitcnt lgkmcnt(3)
	v_lshlrev_b32_e32 v16, 16, v9
	v_lshlrev_b32_e32 v11, 16, v10
	v_and_b32_e32 v18, 0xffff0000, v9
	v_and_b32_e32 v12, 0xffff0000, v10
	s_waitcnt lgkmcnt(0)
	v_lshlrev_b32_e32 v13, 16, v1
	v_lshlrev_b32_e32 v15, 16, v2
	;; [unrolled: 1-line block ×3, first 2 shown]
	v_and_b32_e32 v14, 0xffff0000, v1
	v_and_b32_e32 v17, 0xffff0000, v2
	;; [unrolled: 1-line block ×3, first 2 shown]
	ds_read_b128 v[0:3], v30 offset:80
	v_lshlrev_b32_e32 v19, 16, v7
	v_lshlrev_b32_e32 v20, 16, v8
	v_and_b32_e32 v22, 0xffff0000, v7
	v_and_b32_e32 v21, 0xffff0000, v8
	s_waitcnt lgkmcnt(0)
	v_lshlrev_b32_e32 v54, 16, v0
	v_and_b32_e32 v55, 0xffff0000, v0
	global_load_dword v0, v[5:6], off
	v_lshlrev_b32_e32 v8, 16, v4
	v_and_b32_e32 v7, 0xffff0000, v4
	v_lshlrev_b32_e32 v4, 16, v41
	v_lshlrev_b32_e32 v27, 16, v42
	;; [unrolled: 1-line block ×4, first 2 shown]
	v_and_b32_e32 v23, 0xffff0000, v41
	v_and_b32_e32 v61, 0xffff0000, v42
	;; [unrolled: 1-line block ×4, first 2 shown]
	v_lshlrev_b32_e32 v43, 16, v52
	v_lshlrev_b32_e32 v41, 16, v53
	v_and_b32_e32 v44, 0xffff0000, v52
	v_and_b32_e32 v42, 0xffff0000, v53
	v_lshlrev_b32_e32 v52, 16, v1
	v_and_b32_e32 v53, 0xffff0000, v1
	v_lshlrev_b32_e32 v37, 16, v51
	v_and_b32_e32 v48, 0xffff0000, v51
	v_lshlrev_b32_e32 v49, 16, v2
	v_and_b32_e32 v51, 0xffff0000, v2
	v_lshlrev_b32_e32 v47, 16, v3
	v_and_b32_e32 v31, 0xffff0000, v3
	v_lshlrev_b32_e32 v56, 16, v50
	v_and_b32_e32 v50, 0xffff0000, v50
	s_waitcnt vmcnt(0)
	v_mad_i64_i32 v[0:1], s[4:5], v0, s43, 0
	v_lshlrev_b64 v[1:2], 1, v[0:1]
	buffer_load_dword v0, off, s[48:51], 0 offset:4 ; 4-byte Folded Reload
	s_waitcnt vmcnt(0)
	v_add_co_u32_e64 v1, s[4:5], v0, v1
	buffer_load_dword v0, off, s[48:51], 0 offset:8 ; 4-byte Folded Reload
	s_waitcnt vmcnt(0)
	v_addc_co_u32_e64 v2, s[4:5], v0, v2, s[4:5]
	global_load_dwordx2 v[28:29], v[1:2], off offset:512
	global_load_dwordx2 v[39:40], v[1:2], off
	s_waitcnt vmcnt(1)
	v_lshlrev_b32_e32 v0, 16, v28
	v_mul_f32_e32 v62, v62, v0
	s_waitcnt vmcnt(0)
	v_lshlrev_b32_e32 v0, 16, v39
	v_fmac_f32_e32 v62, v63, v0
	v_and_b32_e32 v0, 0xffff0000, v28
	v_mul_f32_e32 v63, v36, v0
	v_and_b32_e32 v0, 0xffff0000, v39
	v_fmac_f32_e32 v63, v35, v0
	v_lshlrev_b32_e32 v0, 16, v29
	v_and_b32_e32 v3, 0xffff0000, v29
	global_load_dwordx2 v[28:29], v[1:2], off offset:1024
	v_mul_f32_e32 v24, v24, v0
	v_lshlrev_b32_e32 v0, 16, v40
	v_fmac_f32_e32 v24, v25, v0
	v_and_b32_e32 v0, 0xffff0000, v40
	v_mul_f32_e32 v25, v33, v3
	v_fmac_f32_e32 v25, v26, v0
	v_add_co_u32_e64 v35, s[4:5], s44, v1
	v_addc_co_u32_e64 v36, s[4:5], 0, v2, s[4:5]
	s_waitcnt vmcnt(0)
	v_lshlrev_b32_e32 v0, 16, v28
	v_fmac_f32_e32 v62, v19, v0
	v_and_b32_e32 v0, 0xffff0000, v28
	v_fmac_f32_e32 v63, v22, v0
	v_lshlrev_b32_e32 v0, 16, v29
	v_fmac_f32_e32 v24, v20, v0
	global_load_dwordx2 v[19:20], v[1:2], off offset:1536
	v_and_b32_e32 v0, 0xffff0000, v29
	v_fmac_f32_e32 v25, v21, v0
	global_load_dwordx2 v[28:29], v[1:2], off offset:2560
	global_load_dwordx2 v[21:22], v[35:36], off offset:1024
	s_waitcnt vmcnt(2)
	v_lshlrev_b32_e32 v0, 16, v19
	v_fmac_f32_e32 v62, v16, v0
	v_and_b32_e32 v0, 0xffff0000, v19
	v_fmac_f32_e32 v63, v18, v0
	global_load_dwordx2 v[18:19], v[1:2], off offset:2048
	v_lshlrev_b32_e32 v0, 16, v20
	v_fmac_f32_e32 v24, v11, v0
	v_and_b32_e32 v0, 0xffff0000, v20
	v_fmac_f32_e32 v25, v12, v0
	global_load_dwordx2 v[11:12], v[1:2], off offset:3072
	s_waitcnt vmcnt(1)
	v_lshlrev_b32_e32 v0, 16, v18
	v_fmac_f32_e32 v62, v13, v0
	v_and_b32_e32 v0, 0xffff0000, v18
	v_fmac_f32_e32 v63, v14, v0
	v_lshlrev_b32_e32 v0, 16, v19
	v_fmac_f32_e32 v24, v15, v0
	v_and_b32_e32 v0, 0xffff0000, v19
	v_fmac_f32_e32 v25, v17, v0
	;; [unrolled: 4-line block ×4, first 2 shown]
	s_waitcnt vmcnt(0)
	v_lshlrev_b32_e32 v0, 16, v11
	global_load_dwordx2 v[13:14], v[1:2], off offset:3584
	global_load_dwordx2 v[15:16], v[35:36], off
	global_load_dwordx2 v[19:20], v[35:36], off offset:512
	global_load_dwordx2 v[17:18], v[35:36], off offset:1536
	v_fmac_f32_e32 v62, v4, v0
	v_and_b32_e32 v0, 0xffff0000, v11
	v_lshlrev_b32_e32 v1, 16, v12
	global_load_dwordx2 v[9:10], v[35:36], off offset:2048
	global_load_dwordx2 v[7:8], v[35:36], off offset:2560
	v_fmac_f32_e32 v63, v23, v0
	v_fmac_f32_e32 v24, v27, v1
	ds_read_b128 v[1:4], v30 offset:96
	buffer_load_dword v23, off, s[48:51], 0 offset:20 ; 4-byte Folded Reload
	buffer_load_dword v0, off, s[48:51], 0 offset:24 ; 4-byte Folded Reload
	;; [unrolled: 1-line block ×3, first 2 shown]
	v_lshlrev_b32_e32 v27, 16, v21
	s_waitcnt lgkmcnt(0)
	v_lshlrev_b32_e32 v29, 16, v2
	s_waitcnt vmcnt(6)
	v_lshlrev_b32_e32 v26, 16, v19
	s_waitcnt vmcnt(5)
	v_lshlrev_b32_e32 v28, 16, v17
	v_and_b32_e32 v17, 0xffff0000, v17
	s_waitcnt vmcnt(1)
	v_cmp_lt_i32_e64 s[4:5], v23, v0
	v_and_b32_e32 v0, 0xffff0000, v12
	v_fmac_f32_e32 v25, v61, v0
	v_lshlrev_b32_e32 v0, 16, v13
	s_waitcnt vmcnt(0)
	v_cndmask_b32_e64 v11, v11, v23, s[4:5]
	v_fmac_f32_e32 v62, v60, v0
	v_and_b32_e32 v0, 0xffff0000, v13
	v_lshlrev_b32_e32 v23, 16, v15
	v_lshlrev_b32_e32 v13, 16, v14
	v_and_b32_e32 v14, 0xffff0000, v14
	v_fmac_f32_e32 v63, v59, v0
	v_and_b32_e32 v0, 0xffff0000, v15
	v_fmac_f32_e32 v62, v56, v23
	v_lshlrev_b32_e32 v15, 16, v16
	v_and_b32_e32 v16, 0xffff0000, v16
	v_fmac_f32_e32 v24, v58, v13
	v_and_b32_e32 v13, 0xffff0000, v19
	v_fmac_f32_e32 v25, v57, v14
	v_fmac_f32_e32 v63, v50, v0
	;; [unrolled: 1-line block ×3, first 2 shown]
	v_lshlrev_b32_e32 v19, 16, v20
	v_and_b32_e32 v20, 0xffff0000, v20
	v_and_b32_e32 v14, 0xffff0000, v21
	v_fmac_f32_e32 v24, v37, v15
	v_fmac_f32_e32 v25, v48, v16
	;; [unrolled: 1-line block ×4, first 2 shown]
	v_lshlrev_b32_e32 v12, 16, v1
	v_lshlrev_b32_e32 v21, 16, v22
	v_and_b32_e32 v22, 0xffff0000, v22
	v_fmac_f32_e32 v24, v41, v19
	v_fmac_f32_e32 v25, v42, v20
	v_fmac_f32_e32 v63, v55, v14
	v_fmac_f32_e32 v62, v49, v28
	v_lshlrev_b32_e32 v0, 16, v9
	v_lshlrev_b32_e32 v23, 16, v18
	v_and_b32_e32 v18, 0xffff0000, v18
	v_fmac_f32_e32 v24, v52, v21
	v_fmac_f32_e32 v25, v53, v22
	v_fmac_f32_e32 v63, v51, v17
	v_fmac_f32_e32 v62, v12, v0
	v_and_b32_e32 v0, 0xffff0000, v1
	v_and_b32_e32 v1, 0xffff0000, v9
	v_fmac_f32_e32 v24, v47, v23
	v_fmac_f32_e32 v25, v31, v18
	;; [unrolled: 1-line block ×3, first 2 shown]
	v_and_b32_e32 v0, 0xffff0000, v2
	v_lshlrev_b32_e32 v1, 16, v10
	v_and_b32_e32 v9, 0xffff0000, v10
	v_fmac_f32_e32 v24, v29, v1
	v_fmac_f32_e32 v25, v0, v9
	v_lshlrev_b32_e32 v0, 16, v3
	v_and_b32_e32 v1, 0xffff0000, v3
	v_lshlrev_b32_e32 v3, 16, v7
	v_and_b32_e32 v7, 0xffff0000, v7
	v_fmac_f32_e32 v62, v3, v0
	v_fmac_f32_e32 v63, v7, v1
	v_lshlrev_b32_e32 v0, 16, v4
	v_lshlrev_b32_e32 v3, 16, v8
	v_and_b32_e32 v1, 0xffff0000, v4
	v_and_b32_e32 v4, 0xffff0000, v8
	v_fmac_f32_e32 v24, v3, v0
	v_add_f32_e32 v0, v62, v63
	v_fmac_f32_e32 v25, v4, v1
	v_add_f32_e32 v0, v0, v24
	v_lshlrev_b32_e32 v2, 2, v11
	v_add_f32_e32 v1, v25, v0
	ds_bpermute_b32 v2, v2, v1
	s_and_saveexec_b64 s[38:39], vcc
	s_cbranch_execz .LBB148_11
; %bb.19:                               ;   in Loop: Header=BB148_13 Depth=1
	buffer_load_dword v0, off, s[48:51], 0 offset:32 ; 4-byte Folded Reload
	buffer_load_dword v3, off, s[48:51], 0 offset:28 ; 4-byte Folded Reload
	s_waitcnt lgkmcnt(0)
	v_add_f32_e32 v1, v1, v2
	buffer_load_dword v2, off, s[48:51], 0  ; 4-byte Folded Reload
	s_waitcnt vmcnt(2)
	v_add_u32_e32 v0, v0, v32
	v_cvt_f32_i32_e32 v0, v0
	s_waitcnt vmcnt(1)
	v_add_u32_e32 v3, v3, v32
	v_cmp_gt_i32_e64 s[4:5], s33, v3
	v_mul_f32_e32 v0, s42, v0
	v_cndmask_b32_e64 v0, 0, v0, s[2:3]
	v_fmac_f32_e32 v0, s31, v1
	v_cndmask_b32_e64 v1, 0, v0, s[4:5]
	ds_write_b32 v34, v1
	s_waitcnt vmcnt(0)
	v_max_f32_e32 v1, v2, v2
	v_max_f32_e32 v0, v1, v0
	v_cndmask_b32_e64 v2, v2, v0, s[4:5]
	buffer_store_dword v2, off, s[48:51], 0 ; 4-byte Folded Spill
	s_branch .LBB148_11
.LBB148_20:
	s_or_b64 exec, exec, s[36:37]
	buffer_load_dword v14, off, s[48:51], 0 offset:36 ; 4-byte Folded Reload
	buffer_load_dword v12, off, s[48:51], 0 offset:40 ; 4-byte Folded Reload
	;; [unrolled: 1-line block ×3, first 2 shown]
	buffer_load_dword v3, off, s[48:51], 0  ; 4-byte Folded Reload
	v_mbcnt_lo_u32_b32 v7, -1, 0
.LBB148_21:
	s_or_b64 exec, exec, s[34:35]
	v_mbcnt_hi_u32_b32 v0, -1, v7
	v_and_b32_e32 v7, 64, v0
	v_add_u32_e32 v8, 64, v7
	v_xor_b32_e32 v1, 32, v0
	v_cmp_lt_i32_e32 vcc, v1, v8
	v_cndmask_b32_e32 v1, v0, v1, vcc
	v_lshlrev_b32_e32 v1, 2, v1
	s_waitcnt vmcnt(0) lgkmcnt(0)
	ds_bpermute_b32 v2, v1, v3
	v_xor_b32_e32 v4, 16, v0
	v_max_f32_e32 v3, v3, v3
	v_cmp_lt_i32_e32 vcc, v4, v8
	v_xor_b32_e32 v5, 8, v0
	s_waitcnt lgkmcnt(0)
	v_max_f32_e32 v2, v2, v2
	v_max_f32_e32 v3, v3, v2
	v_cndmask_b32_e32 v2, v0, v4, vcc
	v_lshlrev_b32_e32 v2, 2, v2
	ds_bpermute_b32 v4, v2, v3
	v_cmp_lt_i32_e32 vcc, v5, v8
	v_xor_b32_e32 v6, 4, v0
	v_xor_b32_e32 v9, 2, v0
	v_and_b32_e32 v15, 63, v14
	s_waitcnt lgkmcnt(0)
	v_max_f32_e32 v4, v4, v4
	v_max_f32_e32 v4, v3, v4
	v_cndmask_b32_e32 v3, v0, v5, vcc
	v_lshlrev_b32_e32 v3, 2, v3
	ds_bpermute_b32 v5, v3, v4
	v_cmp_lt_i32_e32 vcc, v6, v8
	s_waitcnt lgkmcnt(0)
	v_max_f32_e32 v5, v5, v5
	v_max_f32_e32 v5, v4, v5
	v_cndmask_b32_e32 v4, v0, v6, vcc
	v_lshlrev_b32_e32 v4, 2, v4
	ds_bpermute_b32 v6, v4, v5
	v_cmp_lt_i32_e32 vcc, v9, v8
	s_waitcnt lgkmcnt(0)
	v_max_f32_e32 v6, v6, v6
	v_max_f32_e32 v6, v5, v6
	v_cndmask_b32_e32 v5, v0, v9, vcc
	v_lshlrev_b32_e32 v42, 2, v5
	ds_bpermute_b32 v9, v42, v6
	v_cmp_eq_u32_e32 vcc, 0, v15
	v_lshlrev_b32_e32 v5, 2, v45
	s_and_saveexec_b64 s[2:3], vcc
	s_cbranch_execz .LBB148_23
; %bb.22:
	s_waitcnt lgkmcnt(0)
	v_max_f32_e32 v9, v9, v9
	v_max_f32_e32 v6, v6, v6
	v_max_f32_e32 v6, v6, v9
	ds_write_b32 v5, v6 offset:224
.LBB148_23:
	s_or_b64 exec, exec, s[2:3]
	v_cmp_gt_u32_e64 s[2:3], 2, v15
	s_waitcnt lgkmcnt(0)
	v_mov_b32_e32 v9, 0xff7fffff
	v_lshlrev_b32_e32 v6, 2, v15
	s_barrier
	s_and_saveexec_b64 s[4:5], s[2:3]
; %bb.24:
	ds_read_b32 v9, v6 offset:224
; %bb.25:
	s_or_b64 exec, exec, s[4:5]
	v_xor_b32_e32 v10, 1, v0
	v_cmp_lt_i32_e64 s[4:5], v10, v8
	v_cndmask_b32_e64 v8, v0, v10, s[4:5]
	v_lshlrev_b32_e32 v43, 2, v8
	s_waitcnt lgkmcnt(0)
	ds_bpermute_b32 v8, v43, v9
	v_max_f32_e32 v9, v9, v9
	v_lshlrev_b32_e32 v7, 2, v7
	s_lshl_b32 s4, s16, 5
	s_min_i32 s15, s4, s33
	s_waitcnt lgkmcnt(0)
	v_max_f32_e32 v8, v8, v8
	v_max_f32_e32 v8, v9, v8
	ds_bpermute_b32 v8, v7, v8
	v_cmp_gt_i32_e64 s[4:5], s15, v14
	v_mov_b32_e32 v7, 0
	s_and_saveexec_b64 s[30:31], s[4:5]
	s_cbranch_execz .LBB148_29
; %bb.26:
	v_mov_b32_e32 v7, 0xf0
	v_lshl_add_u32 v9, v14, 2, v7
	v_mov_b32_e32 v7, 0
	s_mov_b64 s[34:35], 0
	v_mov_b32_e32 v10, v14
.LBB148_27:                             ; =>This Inner Loop Header: Depth=1
	ds_read_b32 v11, v9
	v_add_u32_e32 v10, 0x80, v10
	v_cmp_le_i32_e64 s[6:7], s15, v10
	s_or_b64 s[34:35], s[6:7], s[34:35]
	s_waitcnt lgkmcnt(0)
	v_sub_f32_e32 v11, v11, v8
	v_mul_f32_e32 v11, 0x3fb8aa3b, v11
	v_exp_f32_e32 v11, v11
	ds_write_b32 v9, v11
	v_add_f32_e32 v7, v7, v11
	v_add_u32_e32 v9, 0x200, v9
	s_andn2_b64 exec, exec, s[34:35]
	s_cbranch_execnz .LBB148_27
; %bb.28:
	s_or_b64 exec, exec, s[34:35]
.LBB148_29:
	s_or_b64 exec, exec, s[30:31]
	ds_bpermute_b32 v1, v1, v7
	s_waitcnt lgkmcnt(0)
	v_add_f32_e32 v1, v7, v1
	ds_bpermute_b32 v2, v2, v1
	s_waitcnt lgkmcnt(0)
	v_add_f32_e32 v1, v1, v2
	;; [unrolled: 3-line block ×6, first 2 shown]
	s_and_saveexec_b64 s[6:7], vcc
; %bb.30:
	ds_write_b32 v5, v1 offset:232
; %bb.31:
	s_or_b64 exec, exec, s[6:7]
	s_waitcnt lgkmcnt(0)
	s_barrier
	s_and_saveexec_b64 s[6:7], s[2:3]
; %bb.32:
	ds_read_b32 v1, v6 offset:232
; %bb.33:
	s_or_b64 exec, exec, s[6:7]
	s_waitcnt lgkmcnt(0)
	ds_bpermute_b32 v2, v43, v1
	v_lshlrev_b32_e32 v0, 2, v0
	v_and_b32_e32 v0, 0x100, v0
	s_waitcnt lgkmcnt(0)
	v_add_f32_e32 v1, v1, v2
	ds_bpermute_b32 v0, v0, v1
	s_and_saveexec_b64 s[2:3], s[4:5]
	s_cbranch_execz .LBB148_36
; %bb.34:
	s_waitcnt lgkmcnt(0)
	v_add_f32_e32 v1, 0x358637bd, v0
	v_div_scale_f32 v0, s[4:5], v1, v1, 1.0
	v_div_scale_f32 v2, vcc, 1.0, v1, 1.0
	s_mov_b64 s[4:5], 0
	v_rcp_f32_e32 v3, v0
	v_fma_f32 v4, -v0, v3, 1.0
	v_fmac_f32_e32 v3, v4, v3
	v_mul_f32_e32 v4, v2, v3
	v_fma_f32 v5, -v0, v4, v2
	v_fmac_f32_e32 v4, v5, v3
	v_fma_f32 v0, -v0, v4, v2
	v_div_fmas_f32 v2, v0, v3, v4
	v_mov_b32_e32 v0, 0xf0
	v_lshl_add_u32 v0, v14, 2, v0
	v_div_fixup_f32 v1, v2, v1, 1.0
	v_mov_b32_e32 v2, v14
.LBB148_35:                             ; =>This Inner Loop Header: Depth=1
	ds_read_b32 v3, v0
	v_add_u32_e32 v2, 0x80, v2
	v_cmp_le_i32_e32 vcc, s15, v2
	s_or_b64 s[4:5], vcc, s[4:5]
	s_waitcnt lgkmcnt(0)
	v_mul_f32_e32 v3, v1, v3
	ds_write_b32 v0, v3
	v_add_u32_e32 v0, 0x200, v0
	s_andn2_b64 exec, exec, s[4:5]
	s_cbranch_execnz .LBB148_35
.LBB148_36:
	s_or_b64 exec, exec, s[2:3]
	v_mov_b32_e32 v50, 0
	v_and_b32_e32 v16, 3, v14
	v_mov_b32_e32 v51, 0
	v_mov_b32_e32 v49, 0
	;; [unrolled: 1-line block ×5, first 2 shown]
	s_waitcnt lgkmcnt(0)
	v_mov_b32_e32 v0, 0
	s_barrier
	s_and_saveexec_b64 s[4:5], s[0:1]
	s_cbranch_execz .LBB148_56
; %bb.37:
	s_ashr_i32 s15, s14, 31
	s_sub_i32 s17, s12, s17
	s_lshl_b64 s[0:1], s[14:15], 1
	s_add_u32 s0, s28, s0
	s_addc_u32 s1, s29, s1
	s_abs_i32 s18, s18
	v_cvt_f32_u32_e32 v0, s18
	s_sub_i32 s2, 0, s18
	v_lshlrev_b32_e32 v1, 4, v14
	v_and_b32_e32 v1, 0x3f0, v1
	v_rcp_iflag_f32_e32 v0, v0
	s_add_i32 s30, s16, -1
	v_mov_b32_e32 v3, s1
	v_add_co_u32_e32 v54, vcc, s0, v1
	v_mul_f32_e32 v0, 0x4f7ffffe, v0
	v_cvt_u32_f32_e32 v0, v0
	s_lshl_b64 s[0:1], s[26:27], 2
	v_addc_co_u32_e32 v55, vcc, 0, v3, vcc
	v_mul_lo_u32 v2, s2, v0
	s_add_u32 s0, s24, s0
	s_addc_u32 s1, s25, s1
	v_mov_b32_e32 v1, s1
	v_mul_hi_u32 v2, v0, v2
	v_and_b32_e32 v52, 24, v12
	s_mov_b32 s28, s13
	v_mov_b32_e32 v53, 0
	v_add_u32_e32 v56, v0, v2
	v_and_b32_e32 v0, 60, v13
	v_add_co_u32_e32 v37, vcc, s0, v0
	v_lshlrev_b32_e32 v0, 5, v16
	v_lshl_or_b32 v0, v45, 7, v0
	s_mov_b32 s29, s33
	v_addc_co_u32_e32 v38, vcc, 0, v1, vcc
	v_add_u32_e32 v57, 0xf0, v0
	s_mov_b64 s[6:7], 0
	s_mov_b32 s24, 0x5040100
	s_movk_i32 s25, 0x7fff
	v_mov_b32_e32 v0, 0
	v_mov_b32_e32 v39, 0
	;; [unrolled: 1-line block ×7, first 2 shown]
	buffer_store_dword v15, off, s[48:51], 0 ; 4-byte Folded Spill
	buffer_store_dword v16, off, s[48:51], 0 offset:4 ; 4-byte Folded Spill
	s_branch .LBB148_40
.LBB148_38:                             ;   in Loop: Header=BB148_40 Depth=1
	s_or_b64 exec, exec, s[2:3]
	s_waitcnt lgkmcnt(1)
	v_bfe_u32 v40, v25, 16, 1
	v_add3_u32 v40, v40, v25, s25
	v_or_b32_e32 v41, 0x400000, v25
	v_cmp_u_f32_e32 vcc, v25, v25
	v_cndmask_b32_e32 v25, v40, v41, vcc
	v_bfe_u32 v40, v26, 16, 1
	v_add3_u32 v40, v40, v26, s25
	v_or_b32_e32 v41, 0x400000, v26
	v_cmp_u_f32_e32 vcc, v26, v26
	v_cndmask_b32_e32 v26, v40, v41, vcc
	v_bfe_u32 v40, v27, 16, 1
	v_add3_u32 v40, v40, v27, s25
	v_or_b32_e32 v41, 0x400000, v27
	v_cmp_u_f32_e32 vcc, v27, v27
	v_cndmask_b32_e32 v27, v40, v41, vcc
	v_bfe_u32 v40, v28, 16, 1
	v_add3_u32 v40, v40, v28, s25
	v_or_b32_e32 v41, 0x400000, v28
	v_cmp_u_f32_e32 vcc, v28, v28
	v_cndmask_b32_e32 v28, v40, v41, vcc
	s_waitcnt lgkmcnt(0)
	v_bfe_u32 v40, v21, 16, 1
	v_add3_u32 v40, v40, v21, s25
	v_or_b32_e32 v41, 0x400000, v21
	v_cmp_u_f32_e32 vcc, v21, v21
	v_bfe_u32 v21, v22, 16, 1
	v_cndmask_b32_e32 v40, v40, v41, vcc
	v_add3_u32 v21, v21, v22, s25
	v_or_b32_e32 v41, 0x400000, v22
	v_cmp_u_f32_e32 vcc, v22, v22
	v_cndmask_b32_e32 v41, v21, v41, vcc
	v_bfe_u32 v21, v23, 16, 1
	v_add3_u32 v21, v21, v23, s25
	v_or_b32_e32 v22, 0x400000, v23
	v_cmp_u_f32_e32 vcc, v23, v23
	v_cndmask_b32_e32 v44, v21, v22, vcc
	v_bfe_u32 v21, v24, 16, 1
	v_add3_u32 v21, v21, v24, s25
	v_or_b32_e32 v22, 0x400000, v24
	v_cmp_u_f32_e32 vcc, v24, v24
	v_cndmask_b32_e32 v24, v21, v22, vcc
	v_and_b32_e32 v21, 0xffff0000, v26
	s_waitcnt vmcnt(1)
	v_and_b32_e32 v22, 0xffff0000, v33
	v_mul_f32_e32 v22, v21, v22
	v_bfe_u32 v23, v22, 16, 1
	v_add3_u32 v23, v23, v22, s25
	v_or_b32_e32 v26, 0x400000, v22
	v_cmp_u_f32_e32 vcc, v22, v22
	v_and_b32_e32 v25, 0xffff0000, v25
	v_lshlrev_b32_e32 v22, 16, v33
	v_mul_f32_e32 v22, v25, v22
	v_cndmask_b32_e32 v58, v23, v26, vcc
	v_bfe_u32 v23, v22, 16, 1
	v_add3_u32 v23, v23, v22, s25
	v_or_b32_e32 v26, 0x400000, v22
	v_cmp_u_f32_e32 vcc, v22, v22
	v_cndmask_b32_e32 v33, v23, v26, vcc
	v_and_b32_e32 v22, 0xffff0000, v28
	v_and_b32_e32 v23, 0xffff0000, v34
	v_mul_f32_e32 v23, v22, v23
	v_bfe_u32 v26, v23, 16, 1
	v_add3_u32 v26, v26, v23, s25
	v_or_b32_e32 v28, 0x400000, v23
	v_cmp_u_f32_e32 vcc, v23, v23
	v_cndmask_b32_e32 v59, v26, v28, vcc
	v_and_b32_e32 v26, 0xffff0000, v27
	v_lshlrev_b32_e32 v23, 16, v34
	v_mul_f32_e32 v23, v26, v23
	v_bfe_u32 v27, v23, 16, 1
	v_add3_u32 v27, v27, v23, s25
	v_or_b32_e32 v28, 0x400000, v23
	v_cmp_u_f32_e32 vcc, v23, v23
	v_cndmask_b32_e32 v34, v27, v28, vcc
	v_and_b32_e32 v23, 0xffff0000, v41
	v_and_b32_e32 v27, 0xffff0000, v35
	v_mul_f32_e32 v27, v23, v27
	v_bfe_u32 v28, v27, 16, 1
	v_add3_u32 v28, v28, v27, s25
	v_or_b32_e32 v41, 0x400000, v27
	v_cmp_u_f32_e32 vcc, v27, v27
	v_cndmask_b32_e32 v41, v28, v41, vcc
	v_and_b32_e32 v27, 0xffff0000, v40
	v_lshlrev_b32_e32 v28, 16, v35
	v_mul_f32_e32 v28, v27, v28
	v_bfe_u32 v35, v28, 16, 1
	v_add3_u32 v35, v35, v28, s25
	v_or_b32_e32 v40, 0x400000, v28
	v_cmp_u_f32_e32 vcc, v28, v28
	v_and_b32_e32 v24, 0xffff0000, v24
	v_and_b32_e32 v28, 0xffff0000, v36
	v_mul_f32_e32 v28, v24, v28
	v_cndmask_b32_e32 v35, v35, v40, vcc
	v_bfe_u32 v40, v28, 16, 1
	v_add3_u32 v40, v40, v28, s25
	v_or_b32_e32 v60, 0x400000, v28
	v_cmp_u_f32_e32 vcc, v28, v28
	v_and_b32_e32 v28, 0xffff0000, v44
	v_lshlrev_b32_e32 v36, 16, v36
	v_mul_f32_e32 v36, v28, v36
	v_bfe_u32 v44, v36, 16, 1
	v_cndmask_b32_e32 v40, v40, v60, vcc
	v_add3_u32 v44, v44, v36, s25
	v_or_b32_e32 v60, 0x400000, v36
	v_cmp_u_f32_e32 vcc, v36, v36
	v_cndmask_b32_e32 v36, v44, v60, vcc
	v_and_b32_e32 v33, 0xffff0000, v33
	v_and_b32_e32 v44, 0xffff0000, v58
	v_add_f32_e32 v33, v33, v44
	v_and_b32_e32 v34, 0xffff0000, v34
	v_and_b32_e32 v44, 0xffff0000, v59
	v_add_f32_e32 v34, v34, v44
	v_add_f32_e32 v33, v34, v33
	v_and_b32_e32 v34, 0xffff0000, v35
	v_and_b32_e32 v35, 0xffff0000, v41
	v_add_f32_e32 v34, v34, v35
	;; [unrolled: 4-line block ×3, first 2 shown]
	v_add_f32_e32 v33, v34, v33
	v_add_f32_e32 v39, v39, v33
	v_and_b32_e32 v33, 0xffff0000, v29
	v_mul_f32_e32 v33, v21, v33
	v_bfe_u32 v34, v33, 16, 1
	v_lshlrev_b32_e32 v29, 16, v29
	v_add3_u32 v34, v34, v33, s25
	v_or_b32_e32 v35, 0x400000, v33
	v_cmp_u_f32_e32 vcc, v33, v33
	v_mul_f32_e32 v29, v25, v29
	v_cndmask_b32_e32 v33, v34, v35, vcc
	v_bfe_u32 v34, v29, 16, 1
	v_add3_u32 v34, v34, v29, s25
	v_or_b32_e32 v35, 0x400000, v29
	v_cmp_u_f32_e32 vcc, v29, v29
	v_cndmask_b32_e32 v29, v34, v35, vcc
	v_and_b32_e32 v34, 0xffff0000, v30
	v_mul_f32_e32 v34, v22, v34
	v_bfe_u32 v35, v34, 16, 1
	v_lshlrev_b32_e32 v30, 16, v30
	v_add3_u32 v35, v35, v34, s25
	v_or_b32_e32 v36, 0x400000, v34
	v_cmp_u_f32_e32 vcc, v34, v34
	v_mul_f32_e32 v30, v26, v30
	v_cndmask_b32_e32 v34, v35, v36, vcc
	v_bfe_u32 v35, v30, 16, 1
	v_add3_u32 v35, v35, v30, s25
	v_or_b32_e32 v36, 0x400000, v30
	v_cmp_u_f32_e32 vcc, v30, v30
	v_cndmask_b32_e32 v30, v35, v36, vcc
	;; [unrolled: 14-line block ×3, first 2 shown]
	v_and_b32_e32 v36, 0xffff0000, v32
	v_mul_f32_e32 v36, v24, v36
	v_bfe_u32 v40, v36, 16, 1
	v_lshlrev_b32_e32 v32, 16, v32
	v_and_b32_e32 v29, 0xffff0000, v29
	v_and_b32_e32 v33, 0xffff0000, v33
	v_add3_u32 v40, v40, v36, s25
	v_or_b32_e32 v41, 0x400000, v36
	v_cmp_u_f32_e32 vcc, v36, v36
	v_mul_f32_e32 v32, v28, v32
	v_add_f32_e32 v29, v29, v33
	v_and_b32_e32 v30, 0xffff0000, v30
	v_and_b32_e32 v33, 0xffff0000, v34
	v_cndmask_b32_e32 v36, v40, v41, vcc
	v_bfe_u32 v40, v32, 16, 1
	v_add_f32_e32 v30, v30, v33
	v_add3_u32 v40, v40, v32, s25
	v_or_b32_e32 v41, 0x400000, v32
	v_cmp_u_f32_e32 vcc, v32, v32
	v_add_f32_e32 v29, v30, v29
	v_and_b32_e32 v30, 0xffff0000, v31
	v_and_b32_e32 v31, 0xffff0000, v35
	v_cndmask_b32_e32 v32, v40, v41, vcc
	v_add_f32_e32 v30, v30, v31
	v_add_f32_e32 v29, v30, v29
	v_and_b32_e32 v30, 0xffff0000, v32
	v_and_b32_e32 v31, 0xffff0000, v36
	v_add_f32_e32 v30, v30, v31
	v_add_f32_e32 v29, v30, v29
	v_add_f32_e32 v47, v47, v29
	v_and_b32_e32 v29, 0xffff0000, v17
	v_mul_f32_e32 v29, v21, v29
	v_bfe_u32 v30, v29, 16, 1
	v_lshlrev_b32_e32 v17, 16, v17
	v_add3_u32 v30, v30, v29, s25
	v_or_b32_e32 v31, 0x400000, v29
	v_cmp_u_f32_e32 vcc, v29, v29
	v_mul_f32_e32 v17, v25, v17
	v_cndmask_b32_e32 v29, v30, v31, vcc
	v_bfe_u32 v30, v17, 16, 1
	v_add3_u32 v30, v30, v17, s25
	v_or_b32_e32 v31, 0x400000, v17
	v_cmp_u_f32_e32 vcc, v17, v17
	v_cndmask_b32_e32 v17, v30, v31, vcc
	v_and_b32_e32 v30, 0xffff0000, v18
	v_mul_f32_e32 v30, v22, v30
	v_bfe_u32 v31, v30, 16, 1
	v_lshlrev_b32_e32 v18, 16, v18
	v_add3_u32 v31, v31, v30, s25
	v_or_b32_e32 v32, 0x400000, v30
	v_cmp_u_f32_e32 vcc, v30, v30
	v_mul_f32_e32 v18, v26, v18
	v_cndmask_b32_e32 v30, v31, v32, vcc
	v_bfe_u32 v31, v18, 16, 1
	v_add3_u32 v31, v31, v18, s25
	v_or_b32_e32 v32, 0x400000, v18
	v_cmp_u_f32_e32 vcc, v18, v18
	v_cndmask_b32_e32 v18, v31, v32, vcc
	;; [unrolled: 14-line block ×3, first 2 shown]
	v_and_b32_e32 v32, 0xffff0000, v20
	v_mul_f32_e32 v32, v24, v32
	v_bfe_u32 v33, v32, 16, 1
	v_lshlrev_b32_e32 v20, 16, v20
	v_and_b32_e32 v17, 0xffff0000, v17
	v_and_b32_e32 v29, 0xffff0000, v29
	v_add3_u32 v33, v33, v32, s25
	v_or_b32_e32 v34, 0x400000, v32
	v_cmp_u_f32_e32 vcc, v32, v32
	v_mul_f32_e32 v20, v28, v20
	v_add_f32_e32 v17, v17, v29
	v_and_b32_e32 v18, 0xffff0000, v18
	v_and_b32_e32 v29, 0xffff0000, v30
	v_cndmask_b32_e32 v32, v33, v34, vcc
	v_bfe_u32 v33, v20, 16, 1
	v_add_f32_e32 v18, v18, v29
	v_add3_u32 v33, v33, v20, s25
	v_or_b32_e32 v34, 0x400000, v20
	v_cmp_u_f32_e32 vcc, v20, v20
	v_add_f32_e32 v17, v18, v17
	v_and_b32_e32 v18, 0xffff0000, v19
	v_and_b32_e32 v19, 0xffff0000, v31
	v_cndmask_b32_e32 v20, v33, v34, vcc
	v_add_f32_e32 v18, v18, v19
	v_add_f32_e32 v17, v18, v17
	v_and_b32_e32 v18, 0xffff0000, v20
	v_and_b32_e32 v19, 0xffff0000, v32
	v_add_f32_e32 v18, v18, v19
	v_add_f32_e32 v17, v18, v17
	;; [unrolled: 1-line block ×3, first 2 shown]
	v_and_b32_e32 v17, 0xffff0000, v9
	v_mul_f32_e32 v17, v21, v17
	v_bfe_u32 v18, v17, 16, 1
	v_lshlrev_b32_e32 v9, 16, v9
	v_add3_u32 v18, v18, v17, s25
	v_or_b32_e32 v19, 0x400000, v17
	v_cmp_u_f32_e32 vcc, v17, v17
	v_mul_f32_e32 v9, v25, v9
	v_cndmask_b32_e32 v17, v18, v19, vcc
	v_bfe_u32 v18, v9, 16, 1
	v_add3_u32 v18, v18, v9, s25
	v_or_b32_e32 v19, 0x400000, v9
	v_cmp_u_f32_e32 vcc, v9, v9
	v_cndmask_b32_e32 v9, v18, v19, vcc
	v_and_b32_e32 v18, 0xffff0000, v10
	v_mul_f32_e32 v18, v22, v18
	v_bfe_u32 v19, v18, 16, 1
	v_lshlrev_b32_e32 v10, 16, v10
	v_add3_u32 v19, v19, v18, s25
	v_or_b32_e32 v20, 0x400000, v18
	v_cmp_u_f32_e32 vcc, v18, v18
	v_mul_f32_e32 v10, v26, v10
	v_cndmask_b32_e32 v18, v19, v20, vcc
	v_bfe_u32 v19, v10, 16, 1
	v_add3_u32 v19, v19, v10, s25
	v_or_b32_e32 v20, 0x400000, v10
	v_cmp_u_f32_e32 vcc, v10, v10
	v_cndmask_b32_e32 v10, v19, v20, vcc
	;; [unrolled: 14-line block ×3, first 2 shown]
	v_and_b32_e32 v20, 0xffff0000, v12
	v_mul_f32_e32 v20, v24, v20
	v_bfe_u32 v29, v20, 16, 1
	v_lshlrev_b32_e32 v12, 16, v12
	v_and_b32_e32 v9, 0xffff0000, v9
	v_and_b32_e32 v17, 0xffff0000, v17
	v_add3_u32 v29, v29, v20, s25
	v_or_b32_e32 v30, 0x400000, v20
	v_cmp_u_f32_e32 vcc, v20, v20
	v_mul_f32_e32 v12, v28, v12
	v_add_f32_e32 v9, v9, v17
	v_and_b32_e32 v10, 0xffff0000, v10
	v_and_b32_e32 v17, 0xffff0000, v18
	v_cndmask_b32_e32 v20, v29, v30, vcc
	v_bfe_u32 v29, v12, 16, 1
	v_add_f32_e32 v10, v10, v17
	v_add3_u32 v29, v29, v12, s25
	v_or_b32_e32 v30, 0x400000, v12
	v_cmp_u_f32_e32 vcc, v12, v12
	v_add_f32_e32 v9, v10, v9
	v_and_b32_e32 v10, 0xffff0000, v11
	v_and_b32_e32 v11, 0xffff0000, v19
	v_cndmask_b32_e32 v12, v29, v30, vcc
	v_add_f32_e32 v10, v10, v11
	v_add_f32_e32 v9, v10, v9
	v_and_b32_e32 v10, 0xffff0000, v12
	v_and_b32_e32 v11, 0xffff0000, v20
	v_add_f32_e32 v10, v10, v11
	v_add_f32_e32 v9, v10, v9
	;; [unrolled: 1-line block ×3, first 2 shown]
	v_and_b32_e32 v9, 0xffff0000, v5
	v_mul_f32_e32 v9, v21, v9
	v_bfe_u32 v10, v9, 16, 1
	v_lshlrev_b32_e32 v5, 16, v5
	v_add3_u32 v10, v10, v9, s25
	v_or_b32_e32 v11, 0x400000, v9
	v_cmp_u_f32_e32 vcc, v9, v9
	v_mul_f32_e32 v5, v25, v5
	v_cndmask_b32_e32 v9, v10, v11, vcc
	v_bfe_u32 v10, v5, 16, 1
	v_add3_u32 v10, v10, v5, s25
	v_or_b32_e32 v11, 0x400000, v5
	v_cmp_u_f32_e32 vcc, v5, v5
	v_cndmask_b32_e32 v5, v10, v11, vcc
	v_and_b32_e32 v10, 0xffff0000, v6
	v_mul_f32_e32 v10, v22, v10
	v_bfe_u32 v11, v10, 16, 1
	v_lshlrev_b32_e32 v6, 16, v6
	v_add3_u32 v11, v11, v10, s25
	v_or_b32_e32 v12, 0x400000, v10
	v_cmp_u_f32_e32 vcc, v10, v10
	v_mul_f32_e32 v6, v26, v6
	v_cndmask_b32_e32 v10, v11, v12, vcc
	v_bfe_u32 v11, v6, 16, 1
	v_add3_u32 v11, v11, v6, s25
	v_or_b32_e32 v12, 0x400000, v6
	v_cmp_u_f32_e32 vcc, v6, v6
	v_cndmask_b32_e32 v6, v11, v12, vcc
	;; [unrolled: 14-line block ×3, first 2 shown]
	v_and_b32_e32 v12, 0xffff0000, v8
	v_mul_f32_e32 v12, v24, v12
	v_bfe_u32 v17, v12, 16, 1
	v_lshlrev_b32_e32 v8, 16, v8
	v_and_b32_e32 v5, 0xffff0000, v5
	v_and_b32_e32 v9, 0xffff0000, v9
	v_add3_u32 v17, v17, v12, s25
	v_or_b32_e32 v18, 0x400000, v12
	v_cmp_u_f32_e32 vcc, v12, v12
	v_mul_f32_e32 v8, v28, v8
	v_add_f32_e32 v5, v5, v9
	v_and_b32_e32 v6, 0xffff0000, v6
	v_and_b32_e32 v9, 0xffff0000, v10
	v_cndmask_b32_e32 v12, v17, v18, vcc
	v_bfe_u32 v17, v8, 16, 1
	v_add_f32_e32 v6, v6, v9
	v_add3_u32 v17, v17, v8, s25
	v_or_b32_e32 v18, 0x400000, v8
	v_cmp_u_f32_e32 vcc, v8, v8
	v_add_f32_e32 v5, v6, v5
	v_and_b32_e32 v6, 0xffff0000, v7
	v_and_b32_e32 v7, 0xffff0000, v11
	v_cndmask_b32_e32 v8, v17, v18, vcc
	v_add_f32_e32 v6, v6, v7
	v_add_f32_e32 v5, v6, v5
	v_and_b32_e32 v6, 0xffff0000, v8
	v_and_b32_e32 v7, 0xffff0000, v12
	v_add_f32_e32 v6, v6, v7
	v_add_f32_e32 v5, v6, v5
	;; [unrolled: 1-line block ×3, first 2 shown]
	v_and_b32_e32 v5, 0xffff0000, v1
	v_mul_f32_e32 v5, v21, v5
	v_bfe_u32 v6, v5, 16, 1
	v_lshlrev_b32_e32 v1, 16, v1
	v_add3_u32 v6, v6, v5, s25
	v_or_b32_e32 v7, 0x400000, v5
	v_cmp_u_f32_e32 vcc, v5, v5
	v_mul_f32_e32 v1, v25, v1
	v_cndmask_b32_e32 v5, v6, v7, vcc
	v_bfe_u32 v6, v1, 16, 1
	v_add3_u32 v6, v6, v1, s25
	v_or_b32_e32 v7, 0x400000, v1
	v_cmp_u_f32_e32 vcc, v1, v1
	v_cndmask_b32_e32 v1, v6, v7, vcc
	v_and_b32_e32 v6, 0xffff0000, v2
	v_mul_f32_e32 v6, v22, v6
	v_bfe_u32 v7, v6, 16, 1
	v_lshlrev_b32_e32 v2, 16, v2
	v_add3_u32 v7, v7, v6, s25
	v_or_b32_e32 v8, 0x400000, v6
	v_cmp_u_f32_e32 vcc, v6, v6
	v_mul_f32_e32 v2, v26, v2
	v_cndmask_b32_e32 v6, v7, v8, vcc
	v_bfe_u32 v7, v2, 16, 1
	v_add3_u32 v7, v7, v2, s25
	v_or_b32_e32 v8, 0x400000, v2
	v_cmp_u_f32_e32 vcc, v2, v2
	v_cndmask_b32_e32 v2, v7, v8, vcc
	;; [unrolled: 14-line block ×3, first 2 shown]
	v_and_b32_e32 v8, 0xffff0000, v4
	v_mul_f32_e32 v8, v24, v8
	v_bfe_u32 v9, v8, 16, 1
	v_lshlrev_b32_e32 v4, 16, v4
	v_and_b32_e32 v1, 0xffff0000, v1
	v_and_b32_e32 v5, 0xffff0000, v5
	v_add3_u32 v9, v9, v8, s25
	v_or_b32_e32 v10, 0x400000, v8
	v_cmp_u_f32_e32 vcc, v8, v8
	v_mul_f32_e32 v4, v28, v4
	v_add_f32_e32 v1, v1, v5
	v_and_b32_e32 v2, 0xffff0000, v2
	v_and_b32_e32 v5, 0xffff0000, v6
	v_cndmask_b32_e32 v8, v9, v10, vcc
	v_bfe_u32 v9, v4, 16, 1
	v_add_f32_e32 v2, v2, v5
	v_add3_u32 v9, v9, v4, s25
	v_or_b32_e32 v10, 0x400000, v4
	v_cmp_u_f32_e32 vcc, v4, v4
	v_add_f32_e32 v1, v2, v1
	v_and_b32_e32 v2, 0xffff0000, v3
	v_and_b32_e32 v3, 0xffff0000, v7
	v_cndmask_b32_e32 v4, v9, v10, vcc
	v_add_f32_e32 v2, v2, v3
	v_add_f32_e32 v1, v2, v1
	v_and_b32_e32 v2, 0xffff0000, v4
	v_and_b32_e32 v3, 0xffff0000, v8
	v_add_f32_e32 v2, v2, v3
	v_add_f32_e32 v1, v2, v1
	;; [unrolled: 1-line block ×3, first 2 shown]
	s_waitcnt vmcnt(0)
	v_lshlrev_b32_e32 v1, 16, v13
	v_mul_f32_e32 v1, v25, v1
	v_bfe_u32 v2, v1, 16, 1
	v_add3_u32 v2, v2, v1, s25
	v_or_b32_e32 v3, 0x400000, v1
	v_cmp_u_f32_e32 vcc, v1, v1
	v_cndmask_b32_e32 v1, v2, v3, vcc
	v_and_b32_e32 v2, 0xffff0000, v13
	v_mul_f32_e32 v2, v21, v2
	v_bfe_u32 v3, v2, 16, 1
	v_add3_u32 v3, v3, v2, s25
	v_or_b32_e32 v4, 0x400000, v2
	v_cmp_u_f32_e32 vcc, v2, v2
	v_cndmask_b32_e32 v2, v3, v4, vcc
	v_lshlrev_b32_e32 v3, 16, v14
	v_mul_f32_e32 v3, v26, v3
	v_bfe_u32 v4, v3, 16, 1
	v_add3_u32 v4, v4, v3, s25
	v_or_b32_e32 v5, 0x400000, v3
	v_cmp_u_f32_e32 vcc, v3, v3
	v_cndmask_b32_e32 v3, v4, v5, vcc
	v_and_b32_e32 v4, 0xffff0000, v14
	v_mul_f32_e32 v4, v22, v4
	v_bfe_u32 v5, v4, 16, 1
	v_add3_u32 v5, v5, v4, s25
	v_or_b32_e32 v6, 0x400000, v4
	v_cmp_u_f32_e32 vcc, v4, v4
	v_cndmask_b32_e32 v4, v5, v6, vcc
	;; [unrolled: 14-line block ×3, first 2 shown]
	v_lshlrev_b32_e32 v7, 16, v16
	v_mul_f32_e32 v7, v28, v7
	v_bfe_u32 v8, v7, 16, 1
	v_add3_u32 v8, v8, v7, s25
	v_or_b32_e32 v9, 0x400000, v7
	v_cmp_u_f32_e32 vcc, v7, v7
	v_cndmask_b32_e32 v7, v8, v9, vcc
	v_and_b32_e32 v8, 0xffff0000, v16
	v_and_b32_e32 v2, 0xffff0000, v2
	;; [unrolled: 1-line block ×3, first 2 shown]
	v_mul_f32_e32 v8, v24, v8
	v_add_f32_e32 v1, v1, v2
	v_and_b32_e32 v2, 0xffff0000, v4
	v_and_b32_e32 v3, 0xffff0000, v3
	v_bfe_u32 v9, v8, 16, 1
	v_add_f32_e32 v2, v3, v2
	v_add3_u32 v9, v9, v8, s25
	v_or_b32_e32 v10, 0x400000, v8
	v_cmp_u_f32_e32 vcc, v8, v8
	v_add_f32_e32 v1, v2, v1
	v_and_b32_e32 v2, 0xffff0000, v6
	v_and_b32_e32 v3, 0xffff0000, v5
	v_cndmask_b32_e32 v8, v9, v10, vcc
	v_add_f32_e32 v2, v3, v2
	v_add_f32_e32 v1, v2, v1
	v_and_b32_e32 v2, 0xffff0000, v8
	v_and_b32_e32 v3, 0xffff0000, v7
	v_add_f32_e32 v2, v3, v2
	v_add_f32_e32 v1, v2, v1
	;; [unrolled: 1-line block ×3, first 2 shown]
.LBB148_39:                             ;   in Loop: Header=BB148_40 Depth=1
	s_or_b64 exec, exec, s[12:13]
	v_add_co_u32_e32 v37, vcc, 8, v37
	v_add_u32_e32 v45, 2, v45
	v_addc_co_u32_e32 v38, vcc, 0, v38, vcc
	v_cmp_le_i32_e32 vcc, s16, v45
	v_add_u32_e32 v46, 64, v46
	s_or_b64 s[6:7], vcc, s[6:7]
	v_add_u32_e32 v57, 0x100, v57
	s_andn2_b64 exec, exec, s[6:7]
	s_cbranch_execz .LBB148_55
.LBB148_40:                             ; =>This Inner Loop Header: Depth=1
	v_mul_hi_u32 v1, v46, s40
	v_mul_lo_u32 v2, v1, s21
	v_add_u32_e32 v3, 1, v1
	v_sub_u32_e32 v2, v46, v2
	v_cmp_le_u32_e32 vcc, s21, v2
	v_cndmask_b32_e32 v1, v1, v3, vcc
	v_subrev_u32_e32 v3, s21, v2
	v_cndmask_b32_e32 v2, v2, v3, vcc
	v_add_u32_e32 v3, 1, v1
	v_cmp_le_u32_e32 vcc, s21, v2
	v_cndmask_b32_e32 v1, v1, v3, vcc
	v_xor_b32_e32 v1, s19, v1
	v_subrev_u32_e32 v1, s19, v1
	v_add_u32_e32 v2, s41, v1
	v_sub_u32_e32 v3, 0, v2
	v_max_i32_e32 v3, v2, v3
	v_mul_hi_u32 v4, v3, v56
	v_ashrrev_i32_e32 v2, 31, v2
	v_cmp_lt_i32_e64 s[0:1], s17, v1
	v_mul_lo_u32 v4, v4, s18
	v_sub_u32_e32 v3, v3, v4
	v_subrev_u32_e32 v4, s18, v3
	v_cmp_le_u32_e32 vcc, s18, v3
	v_cndmask_b32_e32 v3, v3, v4, vcc
	v_subrev_u32_e32 v4, s18, v3
	v_cmp_le_u32_e32 vcc, s18, v3
	v_cndmask_b32_e32 v3, v3, v4, vcc
	v_xor_b32_e32 v3, v3, v2
	v_sub_u32_e32 v2, v3, v2
	v_cmp_eq_u32_e32 vcc, 0, v2
	s_or_b64 s[0:1], vcc, s[0:1]
	s_and_saveexec_b64 s[12:13], s[0:1]
	s_cbranch_execz .LBB148_39
; %bb.41:                               ;   in Loop: Header=BB148_40 Depth=1
	global_load_dword v1, v[37:38], off
	v_add_u32_e32 v60, v52, v46
	v_add_u32_e32 v44, 1, v60
	v_or_b32_e32 v63, 3, v60
	v_or_b32_e32 v41, 2, v60
	;; [unrolled: 1-line block ×6, first 2 shown]
	s_waitcnt vmcnt(0)
	v_mad_i64_i32 v[1:2], s[0:1], v1, s28, 0
	v_cmp_eq_u32_e64 s[0:1], s30, v45
	v_lshlrev_b64 v[1:2], 1, v[1:2]
	v_add_co_u32_e32 v13, vcc, v54, v1
	v_addc_co_u32_e32 v14, vcc, v55, v2, vcc
	global_load_dwordx4 v[1:4], v[13:14], off
	ds_read2_b64 v[25:28], v57 offset1:1
	ds_read2_b64 v[21:24], v57 offset0:2 offset1:3
	s_and_saveexec_b64 s[14:15], s[0:1]
	s_cbranch_execnz .LBB148_52
; %bb.42:                               ;   in Loop: Header=BB148_40 Depth=1
	s_or_b64 exec, exec, s[14:15]
	global_load_dwordx4 v[5:8], v[13:14], off offset:1024
	s_and_saveexec_b64 s[14:15], s[0:1]
	s_cbranch_execnz .LBB148_53
.LBB148_43:                             ;   in Loop: Header=BB148_40 Depth=1
	s_or_b64 exec, exec, s[14:15]
	global_load_dwordx4 v[9:12], v[13:14], off offset:2048
	s_and_saveexec_b64 s[14:15], s[0:1]
	s_cbranch_execnz .LBB148_54
.LBB148_44:                             ;   in Loop: Header=BB148_40 Depth=1
	s_or_b64 exec, exec, s[14:15]
	global_load_dwordx4 v[17:20], v[13:14], off offset:3072
	s_and_saveexec_b64 s[14:15], s[0:1]
	s_cbranch_execz .LBB148_46
.LBB148_45:                             ;   in Loop: Header=BB148_40 Depth=1
	v_cmp_gt_i32_e32 vcc, s29, v44
	s_waitcnt vmcnt(0)
	v_cndmask_b32_sdwa v15, v53, v17, vcc dst_sel:DWORD dst_unused:UNUSED_PAD src0_sel:DWORD src1_sel:WORD_1
	v_cmp_gt_i32_e32 vcc, s33, v60
	v_cndmask_b32_e32 v16, 0, v17, vcc
	v_cmp_gt_i32_e32 vcc, s29, v63
	v_cmp_gt_i32_e64 s[2:3], s33, v41
	v_perm_b32 v17, v15, v16, s24
	v_cndmask_b32_e64 v15, 0, v18, s[2:3]
	v_cndmask_b32_sdwa v16, v53, v18, vcc dst_sel:DWORD dst_unused:UNUSED_PAD src0_sel:DWORD src1_sel:WORD_1
	v_cmp_gt_i32_e32 vcc, s29, v61
	v_cmp_gt_i32_e64 s[2:3], s33, v62
	v_perm_b32 v18, v16, v15, s24
	v_cndmask_b32_e64 v15, 0, v19, s[2:3]
	v_cndmask_b32_sdwa v16, v53, v19, vcc dst_sel:DWORD dst_unused:UNUSED_PAD src0_sel:DWORD src1_sel:WORD_1
	;; [unrolled: 5-line block ×3, first 2 shown]
	v_perm_b32 v20, v16, v15, s24
.LBB148_46:                             ;   in Loop: Header=BB148_40 Depth=1
	s_or_b64 exec, exec, s[14:15]
	v_add_co_u32_e32 v15, vcc, 0x1000, v13
	v_addc_co_u32_e32 v16, vcc, 0, v14, vcc
	global_load_dwordx4 v[29:32], v[15:16], off
	s_and_saveexec_b64 s[14:15], s[0:1]
	s_cbranch_execz .LBB148_48
; %bb.47:                               ;   in Loop: Header=BB148_40 Depth=1
	v_cmp_gt_i32_e32 vcc, s29, v44
	s_waitcnt vmcnt(0)
	v_cndmask_b32_sdwa v15, v53, v29, vcc dst_sel:DWORD dst_unused:UNUSED_PAD src0_sel:DWORD src1_sel:WORD_1
	v_cmp_gt_i32_e32 vcc, s33, v60
	v_cndmask_b32_e32 v16, 0, v29, vcc
	v_cmp_gt_i32_e32 vcc, s29, v63
	v_cmp_gt_i32_e64 s[2:3], s33, v41
	v_perm_b32 v29, v15, v16, s24
	v_cndmask_b32_e64 v15, 0, v30, s[2:3]
	v_cndmask_b32_sdwa v16, v53, v30, vcc dst_sel:DWORD dst_unused:UNUSED_PAD src0_sel:DWORD src1_sel:WORD_1
	v_cmp_gt_i32_e32 vcc, s29, v61
	v_cmp_gt_i32_e64 s[2:3], s33, v62
	v_perm_b32 v30, v16, v15, s24
	v_cndmask_b32_e64 v15, 0, v31, s[2:3]
	v_cndmask_b32_sdwa v16, v53, v31, vcc dst_sel:DWORD dst_unused:UNUSED_PAD src0_sel:DWORD src1_sel:WORD_1
	v_cmp_gt_i32_e32 vcc, s29, v58
	v_cmp_gt_i32_e64 s[2:3], s33, v59
	v_perm_b32 v31, v16, v15, s24
	v_cndmask_b32_e64 v15, 0, v32, s[2:3]
	v_cndmask_b32_sdwa v16, v53, v32, vcc dst_sel:DWORD dst_unused:UNUSED_PAD src0_sel:DWORD src1_sel:WORD_1
	v_perm_b32 v32, v16, v15, s24
.LBB148_48:                             ;   in Loop: Header=BB148_40 Depth=1
	s_or_b64 exec, exec, s[14:15]
	v_add_co_u32_e32 v15, vcc, 0x1000, v13
	v_addc_co_u32_e32 v16, vcc, 0, v14, vcc
	global_load_dwordx4 v[33:36], v[15:16], off offset:1024
	s_and_saveexec_b64 s[14:15], s[0:1]
	s_cbranch_execz .LBB148_50
; %bb.49:                               ;   in Loop: Header=BB148_40 Depth=1
	v_cmp_gt_i32_e32 vcc, s29, v44
	s_waitcnt vmcnt(0)
	v_cndmask_b32_sdwa v15, v53, v33, vcc dst_sel:DWORD dst_unused:UNUSED_PAD src0_sel:DWORD src1_sel:WORD_1
	v_cmp_gt_i32_e32 vcc, s33, v60
	v_cndmask_b32_e32 v16, 0, v33, vcc
	v_cmp_gt_i32_e32 vcc, s29, v63
	v_cmp_gt_i32_e64 s[2:3], s33, v41
	v_perm_b32 v33, v15, v16, s24
	v_cndmask_b32_e64 v15, 0, v34, s[2:3]
	v_cndmask_b32_sdwa v16, v53, v34, vcc dst_sel:DWORD dst_unused:UNUSED_PAD src0_sel:DWORD src1_sel:WORD_1
	v_cmp_gt_i32_e32 vcc, s29, v61
	v_cmp_gt_i32_e64 s[2:3], s33, v62
	v_perm_b32 v34, v16, v15, s24
	v_cndmask_b32_e64 v15, 0, v35, s[2:3]
	v_cndmask_b32_sdwa v16, v53, v35, vcc dst_sel:DWORD dst_unused:UNUSED_PAD src0_sel:DWORD src1_sel:WORD_1
	;; [unrolled: 5-line block ×3, first 2 shown]
	v_perm_b32 v36, v16, v15, s24
.LBB148_50:                             ;   in Loop: Header=BB148_40 Depth=1
	s_or_b64 exec, exec, s[14:15]
	v_add_co_u32_e32 v13, vcc, 0x1000, v13
	v_addc_co_u32_e32 v14, vcc, 0, v14, vcc
	global_load_dwordx4 v[13:16], v[13:14], off offset:2048
	s_and_saveexec_b64 s[2:3], s[0:1]
	s_cbranch_execz .LBB148_38
; %bb.51:                               ;   in Loop: Header=BB148_40 Depth=1
	v_cmp_gt_i32_e32 vcc, s29, v44
	s_waitcnt vmcnt(0)
	v_cndmask_b32_sdwa v40, v53, v13, vcc dst_sel:DWORD dst_unused:UNUSED_PAD src0_sel:DWORD src1_sel:WORD_1
	v_cmp_gt_i32_e32 vcc, s33, v60
	v_cndmask_b32_e32 v13, 0, v13, vcc
	v_cmp_gt_i32_e32 vcc, s29, v63
	v_cmp_gt_i32_e64 s[0:1], s33, v41
	v_perm_b32 v13, v40, v13, s24
	v_cndmask_b32_e64 v40, 0, v14, s[0:1]
	v_cndmask_b32_sdwa v14, v53, v14, vcc dst_sel:DWORD dst_unused:UNUSED_PAD src0_sel:DWORD src1_sel:WORD_1
	v_cmp_gt_i32_e32 vcc, s29, v61
	v_cmp_gt_i32_e64 s[0:1], s33, v62
	v_perm_b32 v14, v14, v40, s24
	v_cndmask_b32_e64 v40, 0, v15, s[0:1]
	v_cndmask_b32_sdwa v15, v53, v15, vcc dst_sel:DWORD dst_unused:UNUSED_PAD src0_sel:DWORD src1_sel:WORD_1
	;; [unrolled: 5-line block ×3, first 2 shown]
	v_perm_b32 v16, v16, v40, s24
	s_branch .LBB148_38
.LBB148_52:                             ;   in Loop: Header=BB148_40 Depth=1
	v_cmp_gt_i32_e32 vcc, s29, v44
	s_waitcnt vmcnt(0)
	v_cndmask_b32_sdwa v5, v53, v1, vcc dst_sel:DWORD dst_unused:UNUSED_PAD src0_sel:DWORD src1_sel:WORD_1
	v_cmp_gt_i32_e32 vcc, s33, v60
	v_cndmask_b32_e32 v1, 0, v1, vcc
	v_cmp_gt_i32_e32 vcc, s29, v63
	v_cmp_gt_i32_e64 s[2:3], s33, v41
	v_perm_b32 v1, v5, v1, s24
	v_cndmask_b32_e64 v5, 0, v2, s[2:3]
	v_cndmask_b32_sdwa v2, v53, v2, vcc dst_sel:DWORD dst_unused:UNUSED_PAD src0_sel:DWORD src1_sel:WORD_1
	v_cmp_gt_i32_e32 vcc, s29, v61
	v_cmp_gt_i32_e64 s[2:3], s33, v62
	v_perm_b32 v2, v2, v5, s24
	v_cndmask_b32_e64 v5, 0, v3, s[2:3]
	v_cndmask_b32_sdwa v3, v53, v3, vcc dst_sel:DWORD dst_unused:UNUSED_PAD src0_sel:DWORD src1_sel:WORD_1
	;; [unrolled: 5-line block ×3, first 2 shown]
	v_perm_b32 v4, v4, v5, s24
	s_or_b64 exec, exec, s[14:15]
	global_load_dwordx4 v[5:8], v[13:14], off offset:1024
	s_and_saveexec_b64 s[14:15], s[0:1]
	s_cbranch_execz .LBB148_43
.LBB148_53:                             ;   in Loop: Header=BB148_40 Depth=1
	v_cmp_gt_i32_e32 vcc, s29, v44
	s_waitcnt vmcnt(0)
	v_cndmask_b32_sdwa v9, v53, v5, vcc dst_sel:DWORD dst_unused:UNUSED_PAD src0_sel:DWORD src1_sel:WORD_1
	v_cmp_gt_i32_e32 vcc, s33, v60
	v_cndmask_b32_e32 v5, 0, v5, vcc
	v_cmp_gt_i32_e32 vcc, s29, v63
	v_cmp_gt_i32_e64 s[2:3], s33, v41
	v_perm_b32 v5, v9, v5, s24
	v_cndmask_b32_e64 v9, 0, v6, s[2:3]
	v_cndmask_b32_sdwa v6, v53, v6, vcc dst_sel:DWORD dst_unused:UNUSED_PAD src0_sel:DWORD src1_sel:WORD_1
	v_cmp_gt_i32_e32 vcc, s29, v61
	v_cmp_gt_i32_e64 s[2:3], s33, v62
	v_perm_b32 v6, v6, v9, s24
	v_cndmask_b32_e64 v9, 0, v7, s[2:3]
	v_cndmask_b32_sdwa v7, v53, v7, vcc dst_sel:DWORD dst_unused:UNUSED_PAD src0_sel:DWORD src1_sel:WORD_1
	;; [unrolled: 5-line block ×3, first 2 shown]
	v_perm_b32 v8, v8, v9, s24
	s_or_b64 exec, exec, s[14:15]
	global_load_dwordx4 v[9:12], v[13:14], off offset:2048
	s_and_saveexec_b64 s[14:15], s[0:1]
	s_cbranch_execz .LBB148_44
.LBB148_54:                             ;   in Loop: Header=BB148_40 Depth=1
	v_cmp_gt_i32_e32 vcc, s29, v44
	s_waitcnt vmcnt(0)
	v_cndmask_b32_sdwa v15, v53, v9, vcc dst_sel:DWORD dst_unused:UNUSED_PAD src0_sel:DWORD src1_sel:WORD_1
	v_cmp_gt_i32_e32 vcc, s33, v60
	v_cndmask_b32_e32 v9, 0, v9, vcc
	v_cmp_gt_i32_e32 vcc, s29, v63
	v_cmp_gt_i32_e64 s[2:3], s33, v41
	v_perm_b32 v9, v15, v9, s24
	v_cndmask_b32_e64 v15, 0, v10, s[2:3]
	v_cndmask_b32_sdwa v10, v53, v10, vcc dst_sel:DWORD dst_unused:UNUSED_PAD src0_sel:DWORD src1_sel:WORD_1
	v_cmp_gt_i32_e32 vcc, s29, v61
	v_cmp_gt_i32_e64 s[2:3], s33, v62
	v_perm_b32 v10, v10, v15, s24
	v_cndmask_b32_e64 v15, 0, v11, s[2:3]
	v_cndmask_b32_sdwa v11, v53, v11, vcc dst_sel:DWORD dst_unused:UNUSED_PAD src0_sel:DWORD src1_sel:WORD_1
	;; [unrolled: 5-line block ×3, first 2 shown]
	v_perm_b32 v12, v12, v15, s24
	s_or_b64 exec, exec, s[14:15]
	global_load_dwordx4 v[17:20], v[13:14], off offset:3072
	s_and_saveexec_b64 s[14:15], s[0:1]
	s_cbranch_execnz .LBB148_45
	s_branch .LBB148_46
.LBB148_55:
	s_or_b64 exec, exec, s[6:7]
	buffer_load_dword v14, off, s[48:51], 0 offset:36 ; 4-byte Folded Reload
	buffer_load_dword v15, off, s[48:51], 0 ; 4-byte Folded Reload
	buffer_load_dword v16, off, s[48:51], 0 offset:4 ; 4-byte Folded Reload
.LBB148_56:
	s_or_b64 exec, exec, s[4:5]
	ds_bpermute_b32 v1, v42, v50
	ds_bpermute_b32 v2, v42, v51
	;; [unrolled: 1-line block ×4, first 2 shown]
	s_waitcnt lgkmcnt(0)
	v_add_f32_e32 v1, v50, v1
	v_add_f32_e32 v2, v51, v2
	ds_bpermute_b32 v4, v43, v1
	ds_bpermute_b32 v5, v43, v2
	v_add_f32_e32 v7, v49, v3
	ds_bpermute_b32 v8, v43, v7
	s_waitcnt vmcnt(0) lgkmcnt(0)
	s_barrier
	v_add_f32_e32 v3, v1, v4
	v_add_f32_e32 v1, v2, v5
	ds_bpermute_b32 v2, v42, v47
	v_add_f32_e32 v4, v48, v6
	ds_bpermute_b32 v5, v42, v39
	ds_bpermute_b32 v6, v42, v0
	;; [unrolled: 1-line block ×3, first 2 shown]
	s_waitcnt lgkmcnt(3)
	v_add_f32_e32 v2, v47, v2
	ds_bpermute_b32 v10, v43, v2
	s_waitcnt lgkmcnt(3)
	v_add_f32_e32 v11, v39, v5
	s_waitcnt lgkmcnt(2)
	v_add_f32_e32 v0, v0, v6
	ds_bpermute_b32 v12, v43, v11
	ds_bpermute_b32 v13, v43, v0
	v_add_f32_e32 v6, v7, v8
	v_and_b32_e32 v8, 0x3c3, v14
	s_waitcnt lgkmcnt(3)
	v_add_f32_e32 v5, v4, v9
	s_waitcnt lgkmcnt(2)
	v_add_f32_e32 v4, v2, v10
	;; [unrolled: 2-line block ×4, first 2 shown]
	v_cmp_eq_u32_e32 vcc, 64, v8
	s_and_saveexec_b64 s[0:1], vcc
	s_cbranch_execz .LBB148_58
; %bb.57:
	v_add_u32_e32 v7, 0xf0, v15
	ds_write2_b32 v7, v3, v1 offset1:16
	ds_write2_b32 v7, v6, v5 offset0:32 offset1:48
	ds_write2_b32 v7, v4, v2 offset0:64 offset1:80
	ds_write_b32 v7, v0 offset:384
.LBB148_58:
	s_or_b64 exec, exec, s[0:1]
	v_cmp_gt_u32_e32 vcc, 64, v14
	v_lshrrev_b32_e32 v7, 2, v14
	s_waitcnt lgkmcnt(0)
	s_barrier
	s_and_saveexec_b64 s[0:1], vcc
	s_cbranch_execz .LBB148_68
; %bb.59:
	v_mov_b32_e32 v9, 0xf0
	v_cmp_eq_u32_e32 vcc, 0, v16
	v_lshl_add_u32 v9, v7, 2, v9
	s_and_saveexec_b64 s[2:3], vcc
	s_cbranch_execnz .LBB148_71
; %bb.60:
	s_or_b64 exec, exec, s[2:3]
	s_and_saveexec_b64 s[2:3], vcc
	s_cbranch_execnz .LBB148_72
.LBB148_61:
	s_or_b64 exec, exec, s[2:3]
	s_and_saveexec_b64 s[2:3], vcc
	s_cbranch_execnz .LBB148_73
.LBB148_62:
	s_or_b64 exec, exec, s[2:3]
	s_and_saveexec_b64 s[2:3], vcc
	s_cbranch_execnz .LBB148_74
.LBB148_63:
	s_or_b64 exec, exec, s[2:3]
	s_and_saveexec_b64 s[2:3], vcc
	s_cbranch_execnz .LBB148_75
.LBB148_64:
	s_or_b64 exec, exec, s[2:3]
	s_and_saveexec_b64 s[2:3], vcc
	s_cbranch_execnz .LBB148_76
.LBB148_65:
	s_or_b64 exec, exec, s[2:3]
	s_and_saveexec_b64 s[2:3], vcc
	s_cbranch_execz .LBB148_67
.LBB148_66:
	ds_read_b32 v9, v9 offset:384
	s_waitcnt lgkmcnt(0)
	v_add_f32_e32 v0, v0, v9
.LBB148_67:
	s_or_b64 exec, exec, s[2:3]
.LBB148_68:
	s_or_b64 exec, exec, s[0:1]
	v_cmp_eq_u32_e32 vcc, 0, v8
	s_barrier
	s_and_saveexec_b64 s[0:1], vcc
	s_cbranch_execz .LBB148_70
; %bb.69:
	s_mul_i32 s0, s10, s11
	s_mul_i32 s0, s0, s9
	s_mulk_i32 s0, 0x70
	s_ashr_i32 s1, s0, 31
	s_lshl_b64 s[0:1], s[0:1], 1
	s_add_u32 s2, s22, s0
	s_mul_i32 s0, s11, s20
	s_addc_u32 s3, s23, s1
	s_ashr_i32 s1, s0, 31
	s_lshl_b64 s[0:1], s[0:1], 1
	s_add_u32 s2, s2, s0
	s_mul_i32 s0, s8, 0x70
	s_addc_u32 s3, s3, s1
	s_ashr_i32 s1, s0, 31
	s_lshl_b64 s[0:1], s[0:1], 1
	s_add_u32 s0, s2, s0
	v_bfe_u32 v8, v3, 16, 1
	s_movk_i32 s2, 0x7fff
	v_add3_u32 v8, v8, v3, s2
	v_or_b32_e32 v9, 0x400000, v3
	v_cmp_u_f32_e32 vcc, v3, v3
	s_addc_u32 s1, s3, s1
	v_lshlrev_b32_e32 v7, 1, v7
	v_cndmask_b32_e32 v3, v8, v9, vcc
	global_store_short_d16_hi v7, v3, s[0:1]
	v_bfe_u32 v3, v1, 16, 1
	v_add3_u32 v3, v3, v1, s2
	v_or_b32_e32 v8, 0x400000, v1
	v_cmp_u_f32_e32 vcc, v1, v1
	v_cndmask_b32_e32 v1, v3, v8, vcc
	global_store_short_d16_hi v7, v1, s[0:1] offset:32
	v_bfe_u32 v1, v6, 16, 1
	v_add3_u32 v1, v1, v6, s2
	v_or_b32_e32 v3, 0x400000, v6
	v_cmp_u_f32_e32 vcc, v6, v6
	v_cndmask_b32_e32 v1, v1, v3, vcc
	global_store_short_d16_hi v7, v1, s[0:1] offset:64
	;; [unrolled: 6-line block ×6, first 2 shown]
.LBB148_70:
	s_endpgm
.LBB148_71:
	ds_read_b32 v10, v9
	s_waitcnt lgkmcnt(0)
	v_add_f32_e32 v3, v3, v10
	s_or_b64 exec, exec, s[2:3]
	s_and_saveexec_b64 s[2:3], vcc
	s_cbranch_execz .LBB148_61
.LBB148_72:
	ds_read_b32 v10, v9 offset:64
	s_waitcnt lgkmcnt(0)
	v_add_f32_e32 v1, v1, v10
	s_or_b64 exec, exec, s[2:3]
	s_and_saveexec_b64 s[2:3], vcc
	s_cbranch_execz .LBB148_62
.LBB148_73:
	ds_read_b32 v10, v9 offset:128
	s_waitcnt lgkmcnt(0)
	v_add_f32_e32 v6, v6, v10
	s_or_b64 exec, exec, s[2:3]
	s_and_saveexec_b64 s[2:3], vcc
	s_cbranch_execz .LBB148_63
.LBB148_74:
	ds_read_b32 v10, v9 offset:192
	s_waitcnt lgkmcnt(0)
	v_add_f32_e32 v5, v5, v10
	s_or_b64 exec, exec, s[2:3]
	s_and_saveexec_b64 s[2:3], vcc
	s_cbranch_execz .LBB148_64
.LBB148_75:
	ds_read_b32 v10, v9 offset:256
	s_waitcnt lgkmcnt(0)
	v_add_f32_e32 v4, v4, v10
	s_or_b64 exec, exec, s[2:3]
	s_and_saveexec_b64 s[2:3], vcc
	s_cbranch_execz .LBB148_65
.LBB148_76:
	ds_read_b32 v10, v9 offset:320
	s_waitcnt lgkmcnt(0)
	v_add_f32_e32 v2, v2, v10
	s_or_b64 exec, exec, s[2:3]
	s_and_saveexec_b64 s[2:3], vcc
	s_cbranch_execnz .LBB148_66
	s_branch .LBB148_67
	.section	.rodata,"a",@progbits
	.p2align	6, 0x0
	.amdhsa_kernel _ZN4vllm25paged_attention_v1_kernelI14__hip_bfloat16S1_Li112ELi32ELi128ELNS_18Fp8KVCacheDataTypeE0ELb1EEEvPT_PKS3_PKT0_S9_ifPKiSB_iPKfiiiSD_SD_iiiii
		.amdhsa_group_segment_fixed_size 240
		.amdhsa_private_segment_fixed_size 52
		.amdhsa_kernarg_size 384
		.amdhsa_user_sgpr_count 6
		.amdhsa_user_sgpr_private_segment_buffer 1
		.amdhsa_user_sgpr_dispatch_ptr 0
		.amdhsa_user_sgpr_queue_ptr 0
		.amdhsa_user_sgpr_kernarg_segment_ptr 1
		.amdhsa_user_sgpr_dispatch_id 0
		.amdhsa_user_sgpr_flat_scratch_init 0
		.amdhsa_user_sgpr_private_segment_size 0
		.amdhsa_uses_dynamic_stack 0
		.amdhsa_system_sgpr_private_segment_wavefront_offset 1
		.amdhsa_system_sgpr_workgroup_id_x 1
		.amdhsa_system_sgpr_workgroup_id_y 1
		.amdhsa_system_sgpr_workgroup_id_z 1
		.amdhsa_system_sgpr_workgroup_info 0
		.amdhsa_system_vgpr_workitem_id 0
		.amdhsa_next_free_vgpr 64
		.amdhsa_next_free_sgpr 52
		.amdhsa_reserve_vcc 1
		.amdhsa_reserve_flat_scratch 0
		.amdhsa_float_round_mode_32 0
		.amdhsa_float_round_mode_16_64 0
		.amdhsa_float_denorm_mode_32 3
		.amdhsa_float_denorm_mode_16_64 3
		.amdhsa_dx10_clamp 1
		.amdhsa_ieee_mode 1
		.amdhsa_fp16_overflow 0
		.amdhsa_exception_fp_ieee_invalid_op 0
		.amdhsa_exception_fp_denorm_src 0
		.amdhsa_exception_fp_ieee_div_zero 0
		.amdhsa_exception_fp_ieee_overflow 0
		.amdhsa_exception_fp_ieee_underflow 0
		.amdhsa_exception_fp_ieee_inexact 0
		.amdhsa_exception_int_div_zero 0
	.end_amdhsa_kernel
	.section	.text._ZN4vllm25paged_attention_v1_kernelI14__hip_bfloat16S1_Li112ELi32ELi128ELNS_18Fp8KVCacheDataTypeE0ELb1EEEvPT_PKS3_PKT0_S9_ifPKiSB_iPKfiiiSD_SD_iiiii,"axG",@progbits,_ZN4vllm25paged_attention_v1_kernelI14__hip_bfloat16S1_Li112ELi32ELi128ELNS_18Fp8KVCacheDataTypeE0ELb1EEEvPT_PKS3_PKT0_S9_ifPKiSB_iPKfiiiSD_SD_iiiii,comdat
.Lfunc_end148:
	.size	_ZN4vllm25paged_attention_v1_kernelI14__hip_bfloat16S1_Li112ELi32ELi128ELNS_18Fp8KVCacheDataTypeE0ELb1EEEvPT_PKS3_PKT0_S9_ifPKiSB_iPKfiiiSD_SD_iiiii, .Lfunc_end148-_ZN4vllm25paged_attention_v1_kernelI14__hip_bfloat16S1_Li112ELi32ELi128ELNS_18Fp8KVCacheDataTypeE0ELb1EEEvPT_PKS3_PKT0_S9_ifPKiSB_iPKfiiiSD_SD_iiiii
                                        ; -- End function
	.set _ZN4vllm25paged_attention_v1_kernelI14__hip_bfloat16S1_Li112ELi32ELi128ELNS_18Fp8KVCacheDataTypeE0ELb1EEEvPT_PKS3_PKT0_S9_ifPKiSB_iPKfiiiSD_SD_iiiii.num_vgpr, 64
	.set _ZN4vllm25paged_attention_v1_kernelI14__hip_bfloat16S1_Li112ELi32ELi128ELNS_18Fp8KVCacheDataTypeE0ELb1EEEvPT_PKS3_PKT0_S9_ifPKiSB_iPKfiiiSD_SD_iiiii.num_agpr, 0
	.set _ZN4vllm25paged_attention_v1_kernelI14__hip_bfloat16S1_Li112ELi32ELi128ELNS_18Fp8KVCacheDataTypeE0ELb1EEEvPT_PKS3_PKT0_S9_ifPKiSB_iPKfiiiSD_SD_iiiii.numbered_sgpr, 52
	.set _ZN4vllm25paged_attention_v1_kernelI14__hip_bfloat16S1_Li112ELi32ELi128ELNS_18Fp8KVCacheDataTypeE0ELb1EEEvPT_PKS3_PKT0_S9_ifPKiSB_iPKfiiiSD_SD_iiiii.num_named_barrier, 0
	.set _ZN4vllm25paged_attention_v1_kernelI14__hip_bfloat16S1_Li112ELi32ELi128ELNS_18Fp8KVCacheDataTypeE0ELb1EEEvPT_PKS3_PKT0_S9_ifPKiSB_iPKfiiiSD_SD_iiiii.private_seg_size, 52
	.set _ZN4vllm25paged_attention_v1_kernelI14__hip_bfloat16S1_Li112ELi32ELi128ELNS_18Fp8KVCacheDataTypeE0ELb1EEEvPT_PKS3_PKT0_S9_ifPKiSB_iPKfiiiSD_SD_iiiii.uses_vcc, 1
	.set _ZN4vllm25paged_attention_v1_kernelI14__hip_bfloat16S1_Li112ELi32ELi128ELNS_18Fp8KVCacheDataTypeE0ELb1EEEvPT_PKS3_PKT0_S9_ifPKiSB_iPKfiiiSD_SD_iiiii.uses_flat_scratch, 0
	.set _ZN4vllm25paged_attention_v1_kernelI14__hip_bfloat16S1_Li112ELi32ELi128ELNS_18Fp8KVCacheDataTypeE0ELb1EEEvPT_PKS3_PKT0_S9_ifPKiSB_iPKfiiiSD_SD_iiiii.has_dyn_sized_stack, 0
	.set _ZN4vllm25paged_attention_v1_kernelI14__hip_bfloat16S1_Li112ELi32ELi128ELNS_18Fp8KVCacheDataTypeE0ELb1EEEvPT_PKS3_PKT0_S9_ifPKiSB_iPKfiiiSD_SD_iiiii.has_recursion, 0
	.set _ZN4vllm25paged_attention_v1_kernelI14__hip_bfloat16S1_Li112ELi32ELi128ELNS_18Fp8KVCacheDataTypeE0ELb1EEEvPT_PKS3_PKT0_S9_ifPKiSB_iPKfiiiSD_SD_iiiii.has_indirect_call, 0
	.section	.AMDGPU.csdata,"",@progbits
; Kernel info:
; codeLenInByte = 9912
; TotalNumSgprs: 56
; NumVgprs: 64
; ScratchSize: 52
; MemoryBound: 0
; FloatMode: 240
; IeeeMode: 1
; LDSByteSize: 240 bytes/workgroup (compile time only)
; SGPRBlocks: 6
; VGPRBlocks: 15
; NumSGPRsForWavesPerEU: 56
; NumVGPRsForWavesPerEU: 64
; Occupancy: 4
; WaveLimiterHint : 1
; COMPUTE_PGM_RSRC2:SCRATCH_EN: 1
; COMPUTE_PGM_RSRC2:USER_SGPR: 6
; COMPUTE_PGM_RSRC2:TRAP_HANDLER: 0
; COMPUTE_PGM_RSRC2:TGID_X_EN: 1
; COMPUTE_PGM_RSRC2:TGID_Y_EN: 1
; COMPUTE_PGM_RSRC2:TGID_Z_EN: 1
; COMPUTE_PGM_RSRC2:TIDIG_COMP_CNT: 0
	.section	.text._ZN4vllm25paged_attention_v1_kernelI14__hip_bfloat16S1_Li120ELi32ELi128ELNS_18Fp8KVCacheDataTypeE0ELb1EEEvPT_PKS3_PKT0_S9_ifPKiSB_iPKfiiiSD_SD_iiiii,"axG",@progbits,_ZN4vllm25paged_attention_v1_kernelI14__hip_bfloat16S1_Li120ELi32ELi128ELNS_18Fp8KVCacheDataTypeE0ELb1EEEvPT_PKS3_PKT0_S9_ifPKiSB_iPKfiiiSD_SD_iiiii,comdat
	.protected	_ZN4vllm25paged_attention_v1_kernelI14__hip_bfloat16S1_Li120ELi32ELi128ELNS_18Fp8KVCacheDataTypeE0ELb1EEEvPT_PKS3_PKT0_S9_ifPKiSB_iPKfiiiSD_SD_iiiii ; -- Begin function _ZN4vllm25paged_attention_v1_kernelI14__hip_bfloat16S1_Li120ELi32ELi128ELNS_18Fp8KVCacheDataTypeE0ELb1EEEvPT_PKS3_PKT0_S9_ifPKiSB_iPKfiiiSD_SD_iiiii
	.globl	_ZN4vllm25paged_attention_v1_kernelI14__hip_bfloat16S1_Li120ELi32ELi128ELNS_18Fp8KVCacheDataTypeE0ELb1EEEvPT_PKS3_PKT0_S9_ifPKiSB_iPKfiiiSD_SD_iiiii
	.p2align	8
	.type	_ZN4vllm25paged_attention_v1_kernelI14__hip_bfloat16S1_Li120ELi32ELi128ELNS_18Fp8KVCacheDataTypeE0ELb1EEEvPT_PKS3_PKT0_S9_ifPKiSB_iPKfiiiSD_SD_iiiii,@function
_ZN4vllm25paged_attention_v1_kernelI14__hip_bfloat16S1_Li120ELi32ELi128ELNS_18Fp8KVCacheDataTypeE0ELb1EEEvPT_PKS3_PKT0_S9_ifPKiSB_iPKfiiiSD_SD_iiiii: ; @_ZN4vllm25paged_attention_v1_kernelI14__hip_bfloat16S1_Li120ELi32ELi128ELNS_18Fp8KVCacheDataTypeE0ELb1EEEvPT_PKS3_PKT0_S9_ifPKiSB_iPKfiiiSD_SD_iiiii
; %bb.0:
	s_mov_b64 s[50:51], s[2:3]
	s_mov_b64 s[48:49], s[0:1]
	s_add_u32 s48, s48, s9
	s_load_dword s9, s[4:5], 0x80
	s_load_dwordx2 s[0:1], s[4:5], 0x30
	s_load_dwordx2 s[30:31], s[4:5], 0x20
	s_addc_u32 s49, s49, 0
	s_mov_b32 s10, s7
	s_ashr_i32 s11, s7, 31
	s_lshl_b64 s[2:3], s[10:11], 2
	s_waitcnt lgkmcnt(0)
	s_add_u32 s0, s0, s2
	s_addc_u32 s1, s1, s3
	s_abs_i32 s2, s30
	v_mov_b32_e32 v11, v0
	v_cvt_f32_u32_e32 v0, s2
	s_sub_i32 s11, 0, s2
	s_abs_i32 s7, s9
	s_xor_b32 s3, s9, s30
	v_rcp_iflag_f32_e32 v0, v0
	s_ashr_i32 s3, s3, 31
	s_mov_b32 s43, 0
	v_mul_f32_e32 v0, 0x4f7ffffe, v0
	v_cvt_u32_f32_e32 v0, v0
	v_readfirstlane_b32 s12, v0
	s_mul_i32 s11, s11, s12
	s_mul_hi_u32 s11, s12, s11
	s_add_i32 s12, s12, s11
	s_mul_hi_u32 s11, s7, s12
	s_mul_i32 s12, s11, s2
	s_sub_i32 s7, s7, s12
	s_add_i32 s12, s11, 1
	s_sub_i32 s13, s7, s2
	s_cmp_ge_u32 s7, s2
	s_cselect_b32 s11, s12, s11
	s_cselect_b32 s7, s13, s7
	s_add_i32 s12, s11, 1
	s_cmp_ge_u32 s7, s2
	s_cselect_b32 s2, s12, s11
	s_xor_b32 s2, s2, s3
	s_sub_i32 s12, s2, s3
	s_abs_i32 s11, s12
	v_cvt_f32_u32_e32 v0, s11
	s_load_dwordx2 s[2:3], s[4:5], 0x40
	s_sub_i32 s7, 0, s11
	s_abs_i32 s22, s6
	v_rcp_iflag_f32_e32 v0, v0
	v_mul_f32_e32 v0, 0x4f7ffffe, v0
	v_cvt_u32_f32_e32 v0, v0
	v_readfirstlane_b32 s13, v0
	s_mul_i32 s7, s7, s13
	s_mul_hi_u32 s7, s13, s7
	s_add_i32 s13, s13, s7
	s_waitcnt lgkmcnt(0)
	s_cmp_eq_u64 s[2:3], 0
	s_mul_hi_u32 s23, s22, s13
	s_cbranch_scc1 .LBB149_2
; %bb.1:
	s_ashr_i32 s7, s6, 31
	s_lshl_b64 s[14:15], s[6:7], 2
	s_add_u32 s2, s2, s14
	s_addc_u32 s3, s3, s15
	s_load_dword s43, s[2:3], 0x0
.LBB149_2:
	s_load_dword s33, s[0:1], 0x0
	s_ashr_i32 s7, s12, 31
	s_load_dwordx4 s[12:15], s[4:5], 0x48
	s_ashr_i32 s2, s6, 31
	v_and_b32_e32 v0, 1, v11
	s_movk_i32 s3, 0x78
	s_mul_i32 s20, s6, 0x78
	v_cmp_gt_u32_e32 vcc, 30, v11
	v_lshlrev_b32_e32 v13, 3, v11
	s_and_saveexec_b64 s[0:1], vcc
	s_cbranch_execz .LBB149_4
; %bb.3:
	s_load_dwordx2 s[16:17], s[4:5], 0x8
	s_waitcnt lgkmcnt(0)
	s_mul_i32 s18, s12, s10
	s_ashr_i32 s19, s18, 31
	s_lshl_b64 s[18:19], s[18:19], 1
	v_lshlrev_b32_e32 v3, 2, v11
	s_add_u32 s12, s16, s18
	s_addc_u32 s15, s17, s19
	s_ashr_i32 s21, s20, 31
	s_lshl_b64 s[16:17], s[20:21], 1
	s_add_u32 s16, s12, s16
	s_addc_u32 s17, s15, s17
	global_load_dwordx2 v[1:2], v13, s[16:17]
	v_and_b32_e32 v3, 0xff8, v3
	v_mad_u32_u24 v3, v0, s3, v3
	s_waitcnt vmcnt(0)
	ds_write_b64 v3, v[1:2]
.LBB149_4:
	s_or_b64 exec, exec, s[0:1]
	s_mul_i32 s1, s23, s11
	s_sub_i32 s1, s22, s1
	s_xor_b32 s0, s2, s7
	s_add_i32 s2, s23, 1
	s_sub_i32 s7, s1, s11
	s_load_dwordx4 s[16:19], s[4:5], 0x68
	s_load_dword s3, s[4:5], 0x78
	s_cmp_ge_u32 s1, s11
	s_cselect_b32 s2, s2, s23
	s_cselect_b32 s1, s7, s1
	s_add_i32 s7, s2, 1
	s_cmp_ge_u32 s1, s11
	s_cselect_b32 s1, s7, s2
	s_waitcnt lgkmcnt(0)
	s_abs_i32 s21, s19
	v_cvt_f32_u32_e32 v1, s21
	s_xor_b32 s1, s1, s0
	s_sub_i32 s2, s1, s0
	s_sub_i32 s0, 0, s21
	v_rcp_iflag_f32_e32 v1, v1
	s_add_i32 s11, s33, -1
	s_abs_i32 s7, s11
	v_mul_f32_e32 v1, 0x4f7ffffe, v1
	v_cvt_u32_f32_e32 v1, v1
	s_barrier
	v_readfirstlane_b32 s40, v1
	s_mul_i32 s0, s0, s40
	s_mul_hi_u32 s0, s40, s0
	s_add_i32 s40, s40, s0
	s_cmp_lt_i32 s3, 0
	s_mul_hi_u32 s12, s7, s40
	s_cbranch_scc0 .LBB149_6
; %bb.5:
	s_mul_i32 s0, s16, s30
	s_add_i32 s0, s2, s0
	s_mul_i32 s0, s0, s3
	s_sub_i32 s41, 1, s0
	s_mov_b64 s[0:1], 0
	s_branch .LBB149_7
.LBB149_6:
	s_mov_b64 s[0:1], -1
                                        ; implicit-def: $sgpr41
.LBB149_7:
	s_load_dwordx2 s[24:25], s[4:5], 0x28
	s_ashr_i32 s15, s11, 31
	s_andn2_b64 vcc, exec, s[0:1]
	s_ashr_i32 s19, s19, 31
	s_cbranch_vccnz .LBB149_9
; %bb.8:
	s_mul_i32 s0, s9, s16
	s_add_i32 s0, s0, s6
	s_mul_i32 s0, s0, s3
	s_add_i32 s41, s0, 1
.LBB149_9:
	s_load_dword s0, s[4:5], 0x38
	s_load_dwordx2 s[22:23], s[4:5], 0x0
	s_load_dwordx2 s[28:29], s[4:5], 0x18
	s_load_dword s11, s[4:5], 0x88
	s_xor_b32 s1, s15, s19
	s_waitcnt lgkmcnt(0)
	s_mul_i32 s26, s0, s10
	s_mul_i32 s0, s12, s21
	s_sub_i32 s0, s7, s0
	s_ashr_i32 s27, s26, 31
	s_add_i32 s3, s12, 1
	s_sub_i32 s6, s0, s21
	s_cmp_ge_u32 s0, s21
	s_cselect_b32 s3, s3, s12
	s_cselect_b32 s0, s6, s0
	s_add_i32 s6, s3, 1
	s_cmp_ge_u32 s0, s21
	s_cselect_b32 s0, s6, s3
	s_xor_b32 s0, s0, s1
	s_sub_i32 s12, s0, s1
	s_add_i32 s0, s33, 31
	s_ashr_i32 s1, s0, 31
	s_lshr_b32 s1, s1, 27
	s_add_i32 s0, s0, s1
	s_ashr_i32 s42, s0, 5
	v_lshrrev_b32_e32 v41, 6, v11
	v_cmp_le_i32_e64 s[0:1], s42, v41
	v_mov_b32_e32 v3, 0xff7fffff
	s_mul_i32 s14, s2, s14
	v_lshrrev_b32_e32 v14, 4, v11
	v_lshlrev_b32_e32 v55, 5, v41
	v_mbcnt_lo_u32_b32 v7, -1, 0
	v_cmp_gt_i32_e32 vcc, s42, v41
	s_mov_b64 s[34:35], exec
	s_and_b64 s[2:3], s[34:35], vcc
	buffer_store_dword v11, off, s[48:51], 0 offset:28 ; 4-byte Folded Spill
	s_mov_b64 exec, s[2:3]
	s_cbranch_execz .LBB149_21
; %bb.10:
	s_load_dwordx2 s[2:3], s[4:5], 0x10
	s_ashr_i32 s15, s14, 31
	s_sub_i32 s16, s12, s17
	s_lshl_b64 s[4:5], s[14:15], 1
	v_bfe_u32 v8, v11, 1, 5
	s_waitcnt lgkmcnt(0)
	s_add_u32 s2, s2, s4
	s_addc_u32 s3, s3, s5
	s_abs_i32 s15, s18
	v_cvt_f32_u32_e32 v1, s15
	v_mov_b32_e32 v4, s3
	s_sub_i32 s3, 0, s15
	v_lshlrev_b32_e32 v3, 4, v8
	v_rcp_iflag_f32_e32 v1, v1
	s_lshl_b64 s[4:5], s[26:27], 2
	v_and_b32_e32 v2, 8, v13
	s_add_u32 s4, s24, s4
	v_mul_f32_e32 v1, 0x4f7ffffe, v1
	v_cvt_u32_f32_e32 v1, v1
	v_cmp_eq_u32_e32 vcc, 0, v0
	v_mul_u32_u24_e32 v32, 0x78, v0
	v_and_b32_e32 v0, 60, v14
	v_mul_lo_u32 v5, s3, v1
	v_add_co_u32_e64 v3, s[2:3], s2, v3
	v_addc_co_u32_e64 v4, s[2:3], 0, v4, s[2:3]
	v_mul_hi_u32 v5, v1, v5
	v_add_co_u32_e64 v2, s[2:3], v3, v2
	s_addc_u32 s5, s25, s5
	buffer_store_dword v2, off, s[48:51], 0 offset:4 ; 4-byte Folded Spill
	v_addc_co_u32_e64 v2, s[2:3], 0, v4, s[2:3]
	v_add_u32_e32 v4, v1, v5
	v_mov_b32_e32 v1, s5
	v_add_co_u32_e64 v5, s[4:5], s4, v0
	v_subrev_u32_e32 v0, s33, v8
	v_add_u32_e32 v0, 1, v0
	buffer_store_dword v13, off, s[48:51], 0 offset:40 ; 4-byte Folded Spill
	buffer_store_dword v2, off, s[48:51], 0 offset:8 ; 4-byte Folded Spill
	;; [unrolled: 1-line block ×5, first 2 shown]
	v_lshlrev_b32_e32 v0, 2, v8
	v_lshl_or_b32 v0, v41, 7, v0
	v_add_u32_e32 v36, 0x100, v0
	v_mbcnt_hi_u32_b32 v0, -1, v7
	v_addc_co_u32_e64 v6, s[4:5], 0, v1, s[4:5]
	v_xor_b32_e32 v1, 1, v0
	buffer_store_dword v1, off, s[48:51], 0 offset:20 ; 4-byte Folded Spill
	buffer_store_dword v0, off, s[48:51], 0 offset:16 ; 4-byte Folded Spill
	v_and_b32_e32 v0, 64, v0
	v_add_u32_e32 v0, 64, v0
	s_mov_b32 s30, s13
	v_cmp_neq_f32_e64 s[2:3], s43, 0
	v_lshlrev_b32_e32 v34, 5, v41
	s_mov_b64 s[36:37], 0
	s_movk_i32 s44, 0x1000
	buffer_store_dword v0, off, s[48:51], 0 offset:24 ; 4-byte Folded Spill
	v_mov_b32_e32 v0, 0xff7fffff
	v_mov_b32_e32 v42, v41
	buffer_store_dword v0, off, s[48:51], 0 ; 4-byte Folded Spill
	buffer_store_dword v4, off, s[48:51], 0 offset:12 ; 4-byte Folded Spill
	s_branch .LBB149_13
.LBB149_11:                             ;   in Loop: Header=BB149_13 Depth=1
	s_or_b64 exec, exec, s[38:39]
	buffer_load_dword v4, off, s[48:51], 0 offset:12 ; 4-byte Folded Reload
.LBB149_12:                             ;   in Loop: Header=BB149_13 Depth=1
	s_or_b64 exec, exec, s[6:7]
	v_add_co_u32_e64 v5, s[4:5], 8, v5
	v_add_u32_e32 v42, 2, v42
	v_addc_co_u32_e64 v6, s[4:5], 0, v6, s[4:5]
	v_cmp_le_i32_e64 s[4:5], s42, v42
	v_add_u32_e32 v34, 64, v34
	s_or_b64 s[36:37], s[4:5], s[36:37]
	v_add_u32_e32 v36, 0x100, v36
	s_andn2_b64 exec, exec, s[36:37]
	s_cbranch_execz .LBB149_20
.LBB149_13:                             ; =>This Inner Loop Header: Depth=1
	v_mul_hi_u32 v0, v34, s40
	v_mul_lo_u32 v1, v0, s21
	s_waitcnt lgkmcnt(0)
	v_add_u32_e32 v2, 1, v0
	v_sub_u32_e32 v1, v34, v1
	v_cmp_le_u32_e64 s[4:5], s21, v1
	v_cndmask_b32_e64 v0, v0, v2, s[4:5]
	v_subrev_u32_e32 v2, s21, v1
	v_cndmask_b32_e64 v1, v1, v2, s[4:5]
	v_add_u32_e32 v2, 1, v0
	v_cmp_le_u32_e64 s[4:5], s21, v1
	v_cndmask_b32_e64 v0, v0, v2, s[4:5]
	v_xor_b32_e32 v0, s19, v0
	v_subrev_u32_e32 v0, s19, v0
	v_add_u32_e32 v1, s41, v0
	v_sub_u32_e32 v2, 0, v1
	v_max_i32_e32 v2, v1, v2
	s_waitcnt vmcnt(0)
	v_mul_hi_u32 v3, v2, v4
	v_ashrrev_i32_e32 v1, 31, v1
	v_cmp_ge_i32_e64 s[6:7], s16, v0
	v_mul_lo_u32 v3, v3, s15
	v_sub_u32_e32 v2, v2, v3
	v_subrev_u32_e32 v3, s15, v2
	v_cmp_le_u32_e64 s[4:5], s15, v2
	v_cndmask_b32_e64 v2, v2, v3, s[4:5]
	v_subrev_u32_e32 v3, s15, v2
	v_cmp_le_u32_e64 s[4:5], s15, v2
	v_cndmask_b32_e64 v2, v2, v3, s[4:5]
	v_xor_b32_e32 v2, v2, v1
	v_sub_u32_e32 v1, v2, v1
	v_cmp_ne_u32_e64 s[4:5], 0, v1
	s_and_b64 s[4:5], s[4:5], s[6:7]
	s_and_saveexec_b64 s[6:7], s[4:5]
	s_xor_b64 s[4:5], exec, s[6:7]
	s_cbranch_execz .LBB149_17
; %bb.14:                               ;   in Loop: Header=BB149_13 Depth=1
	s_and_saveexec_b64 s[6:7], vcc
; %bb.15:                               ;   in Loop: Header=BB149_13 Depth=1
	v_mov_b32_e32 v0, 0xff7fffff
	ds_write_b32 v36, v0
; %bb.16:                               ;   in Loop: Header=BB149_13 Depth=1
	s_or_b64 exec, exec, s[6:7]
.LBB149_17:                             ;   in Loop: Header=BB149_13 Depth=1
	s_andn2_saveexec_b64 s[6:7], s[4:5]
	s_cbranch_execz .LBB149_12
; %bb.18:                               ;   in Loop: Header=BB149_13 Depth=1
	ds_read2_b64 v[1:4], v32 offset1:1
	ds_read2_b64 v[7:10], v32 offset0:2 offset1:3
	ds_read2_b64 v[43:46], v32 offset0:4 offset1:5
	;; [unrolled: 1-line block ×4, first 2 shown]
	s_waitcnt lgkmcnt(4)
	v_lshlrev_b32_e32 v62, 16, v1
	v_lshlrev_b32_e32 v27, 16, v2
	v_lshlrev_b32_e32 v61, 16, v3
	v_and_b32_e32 v37, 0xffff0000, v1
	v_and_b32_e32 v28, 0xffff0000, v2
	;; [unrolled: 1-line block ×3, first 2 shown]
	ds_read2_b64 v[0:3], v32 offset0:10 offset1:11
	v_lshlrev_b32_e32 v63, 16, v4
	v_and_b32_e32 v35, 0xffff0000, v4
	s_waitcnt lgkmcnt(4)
	v_lshlrev_b32_e32 v13, 16, v9
	v_lshlrev_b32_e32 v29, 16, v10
	v_and_b32_e32 v14, 0xffff0000, v9
	v_and_b32_e32 v4, 0xffff0000, v10
	s_waitcnt lgkmcnt(3)
	v_lshlrev_b32_e32 v9, 16, v43
	v_lshlrev_b32_e32 v15, 16, v44
	v_and_b32_e32 v10, 0xffff0000, v43
	v_and_b32_e32 v21, 0xffff0000, v44
	s_waitcnt lgkmcnt(1)
	v_lshlrev_b32_e32 v43, 16, v54
	v_and_b32_e32 v44, 0xffff0000, v54
	s_waitcnt lgkmcnt(0)
	v_lshlrev_b32_e32 v54, 16, v0
	v_and_b32_e32 v33, 0xffff0000, v0
	global_load_dword v0, v[5:6], off
	v_lshlrev_b32_e32 v16, 16, v7
	v_lshlrev_b32_e32 v22, 16, v8
	v_and_b32_e32 v24, 0xffff0000, v7
	v_and_b32_e32 v23, 0xffff0000, v8
	v_lshlrev_b32_e32 v19, 16, v45
	v_lshlrev_b32_e32 v8, 16, v46
	v_and_b32_e32 v20, 0xffff0000, v45
	v_and_b32_e32 v7, 0xffff0000, v46
	v_lshlrev_b32_e32 v26, 16, v48
	v_and_b32_e32 v25, 0xffff0000, v48
	v_lshlrev_b32_e32 v56, 16, v52
	v_lshlrev_b32_e32 v45, 16, v53
	v_and_b32_e32 v48, 0xffff0000, v52
	v_and_b32_e32 v46, 0xffff0000, v53
	v_lshlrev_b32_e32 v53, 16, v1
	v_and_b32_e32 v52, 0xffff0000, v1
	v_lshlrev_b32_e32 v60, 16, v50
	;; [unrolled: 2-line block ×5, first 2 shown]
	v_lshlrev_b32_e32 v17, 16, v49
	v_and_b32_e32 v12, 0xffff0000, v47
	v_and_b32_e32 v18, 0xffff0000, v49
	v_lshlrev_b32_e32 v47, 16, v3
	v_and_b32_e32 v49, 0xffff0000, v3
	s_waitcnt vmcnt(0)
	v_mad_i64_i32 v[0:1], s[4:5], v0, s30, 0
	v_lshlrev_b64 v[1:2], 1, v[0:1]
	buffer_load_dword v0, off, s[48:51], 0 offset:4 ; 4-byte Folded Reload
	s_waitcnt vmcnt(0)
	v_add_co_u32_e64 v1, s[4:5], v0, v1
	buffer_load_dword v0, off, s[48:51], 0 offset:8 ; 4-byte Folded Reload
	s_waitcnt vmcnt(0)
	v_addc_co_u32_e64 v2, s[4:5], v0, v2, s[4:5]
	global_load_dwordx2 v[30:31], v[1:2], off offset:512
	global_load_dwordx2 v[39:40], v[1:2], off
	s_waitcnt vmcnt(1)
	v_lshlrev_b32_e32 v0, 16, v30
	v_mul_f32_e32 v61, v61, v0
	s_waitcnt vmcnt(0)
	v_lshlrev_b32_e32 v0, 16, v39
	v_fmac_f32_e32 v61, v62, v0
	v_and_b32_e32 v0, 0xffff0000, v30
	v_mul_f32_e32 v62, v38, v0
	v_and_b32_e32 v0, 0xffff0000, v39
	v_fmac_f32_e32 v62, v37, v0
	v_lshlrev_b32_e32 v0, 16, v31
	v_and_b32_e32 v3, 0xffff0000, v31
	global_load_dwordx2 v[30:31], v[1:2], off offset:1024
	v_mul_f32_e32 v63, v63, v0
	v_lshlrev_b32_e32 v0, 16, v40
	v_fmac_f32_e32 v63, v27, v0
	v_and_b32_e32 v0, 0xffff0000, v40
	v_mul_f32_e32 v27, v35, v3
	v_fmac_f32_e32 v27, v28, v0
	s_waitcnt vmcnt(0)
	v_lshlrev_b32_e32 v0, 16, v30
	v_fmac_f32_e32 v61, v16, v0
	v_and_b32_e32 v0, 0xffff0000, v30
	v_fmac_f32_e32 v62, v24, v0
	v_lshlrev_b32_e32 v0, 16, v31
	v_fmac_f32_e32 v63, v22, v0
	v_and_b32_e32 v0, 0xffff0000, v31
	v_fmac_f32_e32 v27, v23, v0
	global_load_dwordx2 v[22:23], v[1:2], off offset:1536
	global_load_dwordx2 v[30:31], v[1:2], off offset:2048
	s_waitcnt vmcnt(1)
	v_lshlrev_b32_e32 v0, 16, v22
	v_fmac_f32_e32 v61, v13, v0
	v_and_b32_e32 v0, 0xffff0000, v22
	v_fmac_f32_e32 v62, v14, v0
	v_lshlrev_b32_e32 v0, 16, v23
	v_fmac_f32_e32 v63, v29, v0
	global_load_dwordx2 v[28:29], v[1:2], off offset:2560
	global_load_dwordx2 v[13:14], v[1:2], off offset:3584
	v_and_b32_e32 v0, 0xffff0000, v23
	v_fmac_f32_e32 v27, v4, v0
	global_load_dwordx2 v[3:4], v[1:2], off offset:3072
	s_waitcnt vmcnt(3)
	v_lshlrev_b32_e32 v0, 16, v30
	v_fmac_f32_e32 v61, v9, v0
	v_and_b32_e32 v0, 0xffff0000, v30
	v_fmac_f32_e32 v62, v10, v0
	v_add_co_u32_e64 v9, s[4:5], s44, v1
	v_lshlrev_b32_e32 v0, 16, v31
	v_addc_co_u32_e64 v10, s[4:5], 0, v2, s[4:5]
	v_fmac_f32_e32 v63, v15, v0
	v_and_b32_e32 v0, 0xffff0000, v31
	global_load_dwordx2 v[15:16], v[9:10], off
	v_fmac_f32_e32 v27, v21, v0
	global_load_dwordx2 v[23:24], v[9:10], off offset:512
	global_load_dwordx2 v[21:22], v[9:10], off offset:1024
	s_waitcnt vmcnt(5)
	v_lshlrev_b32_e32 v0, 16, v28
	v_fmac_f32_e32 v61, v19, v0
	v_and_b32_e32 v0, 0xffff0000, v28
	v_fmac_f32_e32 v62, v20, v0
	v_lshlrev_b32_e32 v0, 16, v29
	v_fmac_f32_e32 v63, v8, v0
	global_load_dwordx2 v[19:20], v[9:10], off offset:1536
	v_and_b32_e32 v0, 0xffff0000, v29
	v_fmac_f32_e32 v27, v7, v0
	global_load_dwordx2 v[7:8], v[9:10], off offset:2048
	s_waitcnt vmcnt(5)
	v_lshlrev_b32_e32 v0, 16, v3
	v_fmac_f32_e32 v61, v11, v0
	v_and_b32_e32 v0, 0xffff0000, v3
	v_fmac_f32_e32 v62, v12, v0
	global_load_dwordx2 v[11:12], v[9:10], off offset:2560
	s_nop 0
	global_load_dwordx2 v[9:10], v[9:10], off offset:3072
	v_lshlrev_b32_e32 v0, 16, v4
	v_fmac_f32_e32 v63, v26, v0
	v_lshlrev_b32_e32 v0, 16, v13
	v_and_b32_e32 v1, 0xffff0000, v4
	v_fmac_f32_e32 v61, v17, v0
	v_and_b32_e32 v0, 0xffff0000, v13
	v_fmac_f32_e32 v27, v25, v1
	ds_read2_b64 v[1:4], v32 offset0:12 offset1:13
	v_fmac_f32_e32 v62, v18, v0
	v_lshlrev_b32_e32 v0, 16, v14
	v_and_b32_e32 v13, 0xffff0000, v14
	v_fmac_f32_e32 v63, v60, v0
	s_waitcnt vmcnt(6)
	v_and_b32_e32 v0, 0xffff0000, v15
	v_lshlrev_b32_e32 v14, 16, v15
	v_lshlrev_b32_e32 v15, 16, v16
	v_fmac_f32_e32 v27, v59, v13
	s_waitcnt vmcnt(5)
	v_and_b32_e32 v13, 0xffff0000, v23
	v_fmac_f32_e32 v62, v57, v0
	v_and_b32_e32 v16, 0xffff0000, v16
	v_lshlrev_b32_e32 v25, 16, v23
	v_lshlrev_b32_e32 v23, 16, v24
	v_fmac_f32_e32 v61, v58, v14
	s_waitcnt vmcnt(4)
	v_and_b32_e32 v14, 0xffff0000, v21
	v_fmac_f32_e32 v63, v56, v15
	v_fmac_f32_e32 v62, v46, v13
	v_and_b32_e32 v24, 0xffff0000, v24
	v_lshlrev_b32_e32 v26, 16, v21
	v_lshlrev_b32_e32 v21, 16, v22
	v_fmac_f32_e32 v27, v48, v16
	v_fmac_f32_e32 v63, v43, v23
	v_fmac_f32_e32 v62, v33, v14
	ds_read_b64 v[17:18], v32 offset:112
	v_and_b32_e32 v22, 0xffff0000, v22
	s_waitcnt lgkmcnt(1)
	v_lshlrev_b32_e32 v29, 16, v1
	v_fmac_f32_e32 v61, v45, v25
	v_fmac_f32_e32 v27, v44, v24
	;; [unrolled: 1-line block ×5, first 2 shown]
	s_waitcnt vmcnt(3)
	v_and_b32_e32 v0, 0xffff0000, v19
	v_lshlrev_b32_e32 v28, 16, v19
	v_lshlrev_b32_e32 v19, 16, v20
	v_fmac_f32_e32 v62, v51, v0
	v_and_b32_e32 v0, 0xffff0000, v1
	s_waitcnt vmcnt(2)
	v_and_b32_e32 v1, 0xffff0000, v7
	v_and_b32_e32 v20, 0xffff0000, v20
	v_fmac_f32_e32 v63, v47, v19
	v_fmac_f32_e32 v62, v0, v1
	v_lshlrev_b32_e32 v0, 16, v2
	v_lshlrev_b32_e32 v1, 16, v8
	;; [unrolled: 1-line block ×3, first 2 shown]
	v_fmac_f32_e32 v61, v50, v28
	v_fmac_f32_e32 v27, v49, v20
	;; [unrolled: 1-line block ×3, first 2 shown]
	v_and_b32_e32 v0, 0xffff0000, v8
	v_and_b32_e32 v1, 0xffff0000, v2
	v_fmac_f32_e32 v61, v29, v15
	v_fmac_f32_e32 v27, v1, v0
	v_lshlrev_b32_e32 v0, 16, v3
	s_waitcnt vmcnt(1)
	v_lshlrev_b32_e32 v1, 16, v11
	v_fmac_f32_e32 v61, v1, v0
	v_and_b32_e32 v0, 0xffff0000, v3
	v_and_b32_e32 v1, 0xffff0000, v11
	v_fmac_f32_e32 v62, v1, v0
	buffer_load_dword v1, off, s[48:51], 0 offset:20 ; 4-byte Folded Reload
	buffer_load_dword v0, off, s[48:51], 0 offset:24 ; 4-byte Folded Reload
	v_and_b32_e32 v2, 0xffff0000, v4
	v_lshlrev_b32_e32 v3, 16, v12
	s_waitcnt vmcnt(0)
	v_cmp_lt_i32_e64 s[4:5], v1, v0
	buffer_load_dword v0, off, s[48:51], 0 offset:16 ; 4-byte Folded Reload
	s_waitcnt vmcnt(0)
	v_cndmask_b32_e64 v0, v0, v1, s[4:5]
	v_lshlrev_b32_e32 v1, 16, v4
	v_and_b32_e32 v4, 0xffff0000, v12
	v_fmac_f32_e32 v63, v3, v1
	v_fmac_f32_e32 v27, v4, v2
	s_waitcnt lgkmcnt(0)
	v_lshlrev_b32_e32 v1, 16, v17
	v_and_b32_e32 v2, 0xffff0000, v17
	v_lshlrev_b32_e32 v3, 16, v9
	v_and_b32_e32 v4, 0xffff0000, v9
	v_fmac_f32_e32 v61, v3, v1
	v_fmac_f32_e32 v62, v4, v2
	v_lshlrev_b32_e32 v1, 16, v18
	v_lshlrev_b32_e32 v3, 16, v10
	v_and_b32_e32 v2, 0xffff0000, v18
	v_and_b32_e32 v4, 0xffff0000, v10
	v_fmac_f32_e32 v63, v3, v1
	v_add_f32_e32 v1, v61, v62
	v_fmac_f32_e32 v27, v4, v2
	v_add_f32_e32 v1, v1, v63
	v_lshlrev_b32_e32 v0, 2, v0
	v_add_f32_e32 v1, v27, v1
	ds_bpermute_b32 v2, v0, v1
	s_and_saveexec_b64 s[38:39], vcc
	s_cbranch_execz .LBB149_11
; %bb.19:                               ;   in Loop: Header=BB149_13 Depth=1
	buffer_load_dword v0, off, s[48:51], 0 offset:36 ; 4-byte Folded Reload
	buffer_load_dword v3, off, s[48:51], 0 offset:32 ; 4-byte Folded Reload
	s_waitcnt lgkmcnt(0)
	v_add_f32_e32 v1, v1, v2
	buffer_load_dword v2, off, s[48:51], 0  ; 4-byte Folded Reload
	s_waitcnt vmcnt(2)
	v_add_u32_e32 v0, v0, v34
	v_cvt_f32_i32_e32 v0, v0
	s_waitcnt vmcnt(1)
	v_add_u32_e32 v3, v3, v34
	v_cmp_gt_i32_e64 s[4:5], s33, v3
	v_mul_f32_e32 v0, s43, v0
	v_cndmask_b32_e64 v0, 0, v0, s[2:3]
	v_fmac_f32_e32 v0, s31, v1
	v_cndmask_b32_e64 v1, 0, v0, s[4:5]
	ds_write_b32 v36, v1
	s_waitcnt vmcnt(0)
	v_max_f32_e32 v1, v2, v2
	v_max_f32_e32 v0, v1, v0
	v_cndmask_b32_e64 v2, v2, v0, s[4:5]
	buffer_store_dword v2, off, s[48:51], 0 ; 4-byte Folded Spill
	s_branch .LBB149_11
.LBB149_20:
	s_or_b64 exec, exec, s[36:37]
	buffer_load_dword v11, off, s[48:51], 0 offset:28 ; 4-byte Folded Reload
	buffer_load_dword v13, off, s[48:51], 0 offset:40 ; 4-byte Folded Reload
	;; [unrolled: 1-line block ×3, first 2 shown]
	buffer_load_dword v3, off, s[48:51], 0  ; 4-byte Folded Reload
	v_mbcnt_lo_u32_b32 v7, -1, 0
.LBB149_21:
	s_or_b64 exec, exec, s[34:35]
	v_mbcnt_hi_u32_b32 v1, -1, v7
	v_and_b32_e32 v8, 64, v1
	v_add_u32_e32 v9, 64, v8
	v_xor_b32_e32 v0, 32, v1
	v_cmp_lt_i32_e32 vcc, v0, v9
	v_cndmask_b32_e32 v0, v1, v0, vcc
	s_waitcnt lgkmcnt(0)
	v_lshlrev_b32_e32 v2, 2, v0
	s_waitcnt vmcnt(0)
	ds_bpermute_b32 v0, v2, v3
	v_xor_b32_e32 v4, 16, v1
	v_max_f32_e32 v3, v3, v3
	v_cmp_lt_i32_e32 vcc, v4, v9
	v_xor_b32_e32 v5, 8, v1
	s_waitcnt lgkmcnt(0)
	v_max_f32_e32 v0, v0, v0
	v_max_f32_e32 v0, v3, v0
	v_cndmask_b32_e32 v3, v1, v4, vcc
	v_lshlrev_b32_e32 v3, 2, v3
	ds_bpermute_b32 v4, v3, v0
	v_cmp_lt_i32_e32 vcc, v5, v9
	v_xor_b32_e32 v6, 4, v1
	v_xor_b32_e32 v10, 2, v1
	s_waitcnt lgkmcnt(0)
	v_max_f32_e32 v4, v4, v4
	v_max_f32_e32 v0, v0, v4
	v_cndmask_b32_e32 v4, v1, v5, vcc
	v_lshlrev_b32_e32 v4, 2, v4
	ds_bpermute_b32 v5, v4, v0
	v_cmp_lt_i32_e32 vcc, v6, v9
	s_waitcnt lgkmcnt(0)
	v_max_f32_e32 v5, v5, v5
	v_max_f32_e32 v0, v0, v5
	v_cndmask_b32_e32 v5, v1, v6, vcc
	v_lshlrev_b32_e32 v5, 2, v5
	ds_bpermute_b32 v6, v5, v0
	v_cmp_lt_i32_e32 vcc, v10, v9
	s_waitcnt lgkmcnt(0)
	v_max_f32_e32 v6, v6, v6
	v_max_f32_e32 v7, v0, v6
	v_cndmask_b32_e32 v0, v1, v10, vcc
	v_lshlrev_b32_e32 v39, 2, v0
	ds_bpermute_b32 v10, v39, v7
	v_and_b32_e32 v0, 63, v11
	v_cmp_eq_u32_e32 vcc, 0, v0
	v_lshlrev_b32_e32 v6, 2, v41
	s_and_saveexec_b64 s[2:3], vcc
	s_cbranch_execz .LBB149_23
; %bb.22:
	s_waitcnt lgkmcnt(0)
	v_max_f32_e32 v10, v10, v10
	v_max_f32_e32 v7, v7, v7
	;; [unrolled: 1-line block ×3, first 2 shown]
	ds_write_b32 v6, v7 offset:240
.LBB149_23:
	s_or_b64 exec, exec, s[2:3]
	v_cmp_gt_u32_e64 s[2:3], 2, v0
	s_waitcnt lgkmcnt(0)
	v_mov_b32_e32 v10, 0xff7fffff
	v_lshlrev_b32_e32 v7, 2, v0
	s_barrier
	s_and_saveexec_b64 s[4:5], s[2:3]
; %bb.24:
	ds_read_b32 v10, v7 offset:240
; %bb.25:
	s_or_b64 exec, exec, s[4:5]
	v_xor_b32_e32 v11, 1, v1
	v_cmp_lt_i32_e64 s[4:5], v11, v9
	v_cndmask_b32_e64 v9, v1, v11, s[4:5]
	v_lshlrev_b32_e32 v42, 2, v9
	s_waitcnt lgkmcnt(0)
	ds_bpermute_b32 v9, v42, v10
	v_max_f32_e32 v10, v10, v10
	v_lshlrev_b32_e32 v8, 2, v8
	s_lshl_b32 s4, s42, 5
	s_min_i32 s15, s4, s33
	s_waitcnt lgkmcnt(0)
	v_max_f32_e32 v9, v9, v9
	v_max_f32_e32 v9, v10, v9
	ds_bpermute_b32 v9, v8, v9
	buffer_load_dword v8, off, s[48:51], 0 offset:28 ; 4-byte Folded Reload
	s_waitcnt vmcnt(0)
	v_cmp_gt_i32_e64 s[4:5], s15, v8
	v_mov_b32_e32 v8, 0
	s_and_saveexec_b64 s[30:31], s[4:5]
	s_cbranch_execz .LBB149_29
; %bb.26:
	buffer_load_dword v11, off, s[48:51], 0 offset:28 ; 4-byte Folded Reload
	v_mov_b32_e32 v8, 0x100
	s_mov_b64 s[34:35], 0
	s_waitcnt vmcnt(0)
	v_lshl_add_u32 v10, v11, 2, v8
	v_mov_b32_e32 v8, 0
.LBB149_27:                             ; =>This Inner Loop Header: Depth=1
	ds_read_b32 v12, v10
	v_add_u32_e32 v11, 0x80, v11
	v_cmp_le_i32_e64 s[6:7], s15, v11
	s_or_b64 s[34:35], s[6:7], s[34:35]
	s_waitcnt lgkmcnt(0)
	v_sub_f32_e32 v12, v12, v9
	v_mul_f32_e32 v12, 0x3fb8aa3b, v12
	v_exp_f32_e32 v12, v12
	ds_write_b32 v10, v12
	v_add_f32_e32 v8, v8, v12
	v_add_u32_e32 v10, 0x200, v10
	s_andn2_b64 exec, exec, s[34:35]
	s_cbranch_execnz .LBB149_27
; %bb.28:
	s_or_b64 exec, exec, s[34:35]
.LBB149_29:
	s_or_b64 exec, exec, s[30:31]
	ds_bpermute_b32 v2, v2, v8
	s_waitcnt lgkmcnt(0)
	v_add_f32_e32 v2, v8, v2
	ds_bpermute_b32 v3, v3, v2
	s_waitcnt lgkmcnt(0)
	v_add_f32_e32 v2, v2, v3
	;; [unrolled: 3-line block ×6, first 2 shown]
	s_and_saveexec_b64 s[6:7], vcc
; %bb.30:
	ds_write_b32 v6, v2 offset:248
; %bb.31:
	s_or_b64 exec, exec, s[6:7]
	s_waitcnt lgkmcnt(0)
	s_barrier
	s_and_saveexec_b64 s[6:7], s[2:3]
; %bb.32:
	ds_read_b32 v2, v7 offset:248
; %bb.33:
	s_or_b64 exec, exec, s[6:7]
	s_waitcnt lgkmcnt(0)
	ds_bpermute_b32 v3, v42, v2
	v_lshlrev_b32_e32 v1, 2, v1
	v_and_b32_e32 v1, 0x100, v1
	s_waitcnt lgkmcnt(0)
	v_add_f32_e32 v2, v2, v3
	ds_bpermute_b32 v1, v1, v2
	s_and_saveexec_b64 s[2:3], s[4:5]
	s_cbranch_execz .LBB149_36
; %bb.34:
	s_waitcnt lgkmcnt(0)
	v_add_f32_e32 v2, 0x358637bd, v1
	v_div_scale_f32 v1, s[4:5], v2, v2, 1.0
	v_div_scale_f32 v3, vcc, 1.0, v2, 1.0
	s_mov_b64 s[4:5], 0
	v_rcp_f32_e32 v4, v1
	v_fma_f32 v5, -v1, v4, 1.0
	v_fmac_f32_e32 v4, v5, v4
	v_mul_f32_e32 v5, v3, v4
	v_fma_f32 v6, -v1, v5, v3
	v_fmac_f32_e32 v5, v6, v4
	v_fma_f32 v1, -v1, v5, v3
	v_div_fmas_f32 v3, v1, v4, v5
	buffer_load_dword v4, off, s[48:51], 0 offset:28 ; 4-byte Folded Reload
	v_mov_b32_e32 v1, 0x100
	v_div_fixup_f32 v2, v3, v2, 1.0
	s_waitcnt vmcnt(0)
	v_lshl_add_u32 v1, v4, 2, v1
	v_mov_b32_e32 v3, v4
.LBB149_35:                             ; =>This Inner Loop Header: Depth=1
	ds_read_b32 v4, v1
	v_add_u32_e32 v3, 0x80, v3
	v_cmp_le_i32_e32 vcc, s15, v3
	s_or_b64 s[4:5], vcc, s[4:5]
	s_waitcnt lgkmcnt(0)
	v_mul_f32_e32 v4, v2, v4
	ds_write_b32 v1, v4
	v_add_u32_e32 v1, 0x200, v1
	s_andn2_b64 exec, exec, s[4:5]
	s_cbranch_execnz .LBB149_35
.LBB149_36:
	s_or_b64 exec, exec, s[2:3]
	v_lshrrev_b32_e32 v43, 2, v0
	s_waitcnt lgkmcnt(0)
	s_barrier
	s_and_saveexec_b64 s[2:3], s[0:1]
	s_xor_b64 s[0:1], exec, s[2:3]
; %bb.37:
	v_lshrrev_b32_e32 v43, 2, v0
                                        ; implicit-def: $vgpr55
                                        ; implicit-def: $vgpr41
                                        ; implicit-def: $vgpr13
                                        ; implicit-def: $vgpr14
; %bb.38:
	s_or_saveexec_b64 s[6:7], s[0:1]
	buffer_load_dword v0, off, s[48:51], 0 offset:28 ; 4-byte Folded Reload
	v_mov_b32_e32 v51, 0
	v_mov_b32_e32 v53, 0
	v_mov_b32_e32 v50, 0
	v_mov_b32_e32 v49, 0
	v_mov_b32_e32 v48, 0
	v_mov_b32_e32 v47, 0
	v_mov_b32_e32 v45, 0
	v_mov_b32_e32 v46, 0
	s_waitcnt vmcnt(0)
	v_and_b32_e32 v44, 3, v0
	s_xor_b64 exec, exec, s[6:7]
	s_cbranch_execz .LBB149_62
; %bb.39:
	s_ashr_i32 s15, s14, 31
	s_sub_i32 s30, s12, s17
	s_lshl_b64 s[0:1], s[14:15], 1
	s_add_u32 s28, s28, s0
	s_addc_u32 s29, s29, s1
	s_abs_i32 s18, s18
	v_cvt_f32_u32_e32 v0, s18
	s_sub_i32 s1, 0, s18
	s_add_i32 s35, s42, -1
	s_lshl_b64 s[2:3], s[26:27], 2
	v_rcp_iflag_f32_e32 v0, v0
	s_add_u32 s2, s24, s2
	v_and_b32_e32 v3, 60, v14
	s_addc_u32 s3, s25, s3
	v_mul_f32_e32 v0, 0x4f7ffffe, v0
	v_cvt_u32_f32_e32 v0, v0
	v_add_co_u32_e32 v37, vcc, s2, v3
	v_and_b32_e32 v52, 24, v13
	v_mul_lo_u32 v2, s1, v0
	v_or_b32_e32 v1, 0x70, v43
	s_movk_i32 s0, 0x78
	v_lshl_or_b32 v4, v43, 5, v52
	v_mul_hi_u32 v2, v0, v2
	v_cmp_gt_u32_e64 s[0:1], s0, v1
	v_lshl_or_b32 v1, v1, 5, v52
	s_mov_b32 s31, s13
	v_add_u32_e32 v40, v0, v2
	v_mov_b32_e32 v0, s3
	v_addc_co_u32_e32 v38, vcc, 0, v0, vcc
	v_lshlrev_b32_e32 v0, 5, v44
	v_lshl_or_b32 v0, v41, 7, v0
	v_mov_b32_e32 v54, 0
	s_mov_b32 s34, s33
	v_add_u32_e32 v56, 0x100, v0
	s_mov_b64 s[12:13], 0
	v_lshlrev_b32_e32 v57, 1, v4
	s_mov_b32 s24, 0x5040100
	s_movk_i32 s25, 0x7fff
	s_mov_b32 s26, 0x7060302
	v_lshlrev_b32_e32 v58, 1, v1
	v_mov_b32_e32 v46, 0
	v_mov_b32_e32 v45, 0
	;; [unrolled: 1-line block ×8, first 2 shown]
	s_branch .LBB149_43
.LBB149_40:                             ;   in Loop: Header=BB149_43 Depth=1
	s_or_b64 exec, exec, s[16:17]
	s_waitcnt vmcnt(0)
	v_lshlrev_b32_e32 v32, 16, v21
	v_lshlrev_b32_e32 v59, 16, v31
	v_mul_f32_e32 v32, v59, v32
	v_bfe_u32 v59, v32, 16, 1
	v_add3_u32 v59, v59, v32, s25
	v_or_b32_e32 v60, 0x400000, v32
	v_cmp_u_f32_e32 vcc, v32, v32
	v_cndmask_b32_e32 v32, v59, v60, vcc
	v_and_b32_e32 v21, 0xffff0000, v21
	v_and_b32_e32 v59, 0xffff0000, v31
	v_mul_f32_e32 v21, v59, v21
	v_bfe_u32 v59, v21, 16, 1
	v_add3_u32 v59, v59, v21, s25
	v_or_b32_e32 v60, 0x400000, v21
	v_cmp_u_f32_e32 vcc, v21, v21
	v_cndmask_b32_e32 v21, v59, v60, vcc
	v_lshlrev_b32_e32 v59, 16, v22
	v_lshlrev_b32_e32 v60, 16, v29
	v_mul_f32_e32 v59, v60, v59
	v_bfe_u32 v60, v59, 16, 1
	v_add3_u32 v60, v60, v59, s25
	v_or_b32_e32 v61, 0x400000, v59
	v_cmp_u_f32_e32 vcc, v59, v59
	v_cndmask_b32_e32 v59, v60, v61, vcc
	v_and_b32_e32 v22, 0xffff0000, v22
	v_and_b32_e32 v60, 0xffff0000, v29
	v_mul_f32_e32 v22, v60, v22
	v_bfe_u32 v60, v22, 16, 1
	v_add3_u32 v60, v60, v22, s25
	v_or_b32_e32 v61, 0x400000, v22
	v_cmp_u_f32_e32 vcc, v22, v22
	v_cndmask_b32_e32 v22, v60, v61, vcc
	;; [unrolled: 16-line block ×3, first 2 shown]
	v_lshlrev_b32_e32 v61, 16, v24
	v_lshlrev_b32_e32 v62, 16, v0
	v_mul_f32_e32 v61, v62, v61
	v_bfe_u32 v62, v61, 16, 1
	v_add3_u32 v62, v62, v61, s25
	v_or_b32_e32 v63, 0x400000, v61
	v_cmp_u_f32_e32 vcc, v61, v61
	v_cndmask_b32_e32 v61, v62, v63, vcc
	v_and_b32_e32 v24, 0xffff0000, v24
	v_and_b32_e32 v62, 0xffff0000, v0
	v_and_b32_e32 v21, 0xffff0000, v21
	v_and_b32_e32 v32, 0xffff0000, v32
	v_mul_f32_e32 v24, v62, v24
	v_add_f32_e32 v21, v32, v21
	v_and_b32_e32 v22, 0xffff0000, v22
	v_and_b32_e32 v32, 0xffff0000, v59
	v_bfe_u32 v62, v24, 16, 1
	v_add_f32_e32 v22, v32, v22
	v_add3_u32 v62, v62, v24, s25
	v_or_b32_e32 v63, 0x400000, v24
	v_cmp_u_f32_e32 vcc, v24, v24
	v_add_f32_e32 v21, v22, v21
	v_and_b32_e32 v22, 0xffff0000, v23
	v_and_b32_e32 v23, 0xffff0000, v60
	v_cndmask_b32_e32 v24, v62, v63, vcc
	v_add_f32_e32 v22, v23, v22
	v_add_f32_e32 v21, v22, v21
	v_and_b32_e32 v22, 0xffff0000, v24
	v_and_b32_e32 v23, 0xffff0000, v61
	v_add_f32_e32 v22, v23, v22
	v_add_f32_e32 v21, v22, v21
	;; [unrolled: 1-line block ×3, first 2 shown]
.LBB149_41:                             ;   in Loop: Header=BB149_43 Depth=1
	s_or_b64 exec, exec, s[4:5]
	s_waitcnt vmcnt(0)
	v_and_b32_e32 v22, 0xffff0000, v33
	v_and_b32_e32 v21, 0xffff0000, v31
	v_mul_f32_e32 v22, v21, v22
	v_bfe_u32 v23, v22, 16, 1
	v_add3_u32 v23, v23, v22, s25
	v_or_b32_e32 v24, 0x400000, v22
	v_cmp_u_f32_e32 vcc, v22, v22
	v_cndmask_b32_e32 v59, v23, v24, vcc
	v_lshlrev_b32_e32 v23, 16, v33
	v_lshlrev_b32_e32 v22, 16, v31
	v_mul_f32_e32 v23, v22, v23
	v_bfe_u32 v24, v23, 16, 1
	v_add3_u32 v24, v24, v23, s25
	v_or_b32_e32 v31, 0x400000, v23
	v_cmp_u_f32_e32 vcc, v23, v23
	v_cndmask_b32_e32 v33, v24, v31, vcc
	v_and_b32_e32 v24, 0xffff0000, v34
	v_and_b32_e32 v23, 0xffff0000, v29
	v_mul_f32_e32 v24, v23, v24
	v_bfe_u32 v31, v24, 16, 1
	v_add3_u32 v31, v31, v24, s25
	v_or_b32_e32 v32, 0x400000, v24
	v_cmp_u_f32_e32 vcc, v24, v24
	v_cndmask_b32_e32 v60, v31, v32, vcc
	v_lshlrev_b32_e32 v31, 16, v34
	v_lshlrev_b32_e32 v24, 16, v29
	v_mul_f32_e32 v29, v24, v31
	v_bfe_u32 v31, v29, 16, 1
	v_add3_u32 v31, v31, v29, s25
	v_or_b32_e32 v32, 0x400000, v29
	v_cmp_u_f32_e32 vcc, v29, v29
	v_cndmask_b32_e32 v34, v31, v32, vcc
	v_and_b32_e32 v31, 0xffff0000, v35
	v_and_b32_e32 v29, 0xffff0000, v30
	v_mul_f32_e32 v31, v29, v31
	v_bfe_u32 v32, v31, 16, 1
	v_add3_u32 v32, v32, v31, s25
	v_or_b32_e32 v61, 0x400000, v31
	v_cmp_u_f32_e32 vcc, v31, v31
	v_lshlrev_b32_e32 v31, 16, v35
	v_lshlrev_b32_e32 v30, 16, v30
	v_mul_f32_e32 v31, v30, v31
	v_cndmask_b32_e32 v61, v32, v61, vcc
	v_bfe_u32 v32, v31, 16, 1
	v_add3_u32 v32, v32, v31, s25
	v_or_b32_e32 v35, 0x400000, v31
	v_cmp_u_f32_e32 vcc, v31, v31
	v_cndmask_b32_e32 v35, v32, v35, vcc
	v_and_b32_e32 v32, 0xffff0000, v36
	v_and_b32_e32 v31, 0xffff0000, v0
	v_mul_f32_e32 v32, v31, v32
	v_bfe_u32 v62, v32, 16, 1
	v_add3_u32 v62, v62, v32, s25
	v_or_b32_e32 v63, 0x400000, v32
	v_cmp_u_f32_e32 vcc, v32, v32
	v_lshlrev_b32_e32 v36, 16, v36
	v_lshlrev_b32_e32 v32, 16, v0
	v_mul_f32_e32 v0, v32, v36
	v_bfe_u32 v36, v0, 16, 1
	v_cndmask_b32_e32 v62, v62, v63, vcc
	v_add3_u32 v36, v36, v0, s25
	v_or_b32_e32 v63, 0x400000, v0
	v_cmp_u_f32_e32 vcc, v0, v0
	v_cndmask_b32_e32 v0, v36, v63, vcc
	v_and_b32_e32 v33, 0xffff0000, v33
	v_and_b32_e32 v36, 0xffff0000, v59
	v_add_f32_e32 v33, v33, v36
	v_and_b32_e32 v34, 0xffff0000, v34
	v_and_b32_e32 v36, 0xffff0000, v60
	v_add_f32_e32 v34, v34, v36
	v_add_f32_e32 v33, v34, v33
	v_and_b32_e32 v34, 0xffff0000, v35
	v_and_b32_e32 v35, 0xffff0000, v61
	v_add_f32_e32 v34, v34, v35
	;; [unrolled: 4-line block ×3, first 2 shown]
	v_add_f32_e32 v0, v0, v33
	v_add_f32_e32 v45, v45, v0
	v_and_b32_e32 v0, 0xffff0000, v25
	v_mul_f32_e32 v0, v21, v0
	v_bfe_u32 v33, v0, 16, 1
	v_lshlrev_b32_e32 v25, 16, v25
	v_add3_u32 v33, v33, v0, s25
	v_or_b32_e32 v34, 0x400000, v0
	v_cmp_u_f32_e32 vcc, v0, v0
	v_mul_f32_e32 v25, v22, v25
	v_cndmask_b32_e32 v0, v33, v34, vcc
	v_bfe_u32 v33, v25, 16, 1
	v_add3_u32 v33, v33, v25, s25
	v_or_b32_e32 v34, 0x400000, v25
	v_cmp_u_f32_e32 vcc, v25, v25
	v_cndmask_b32_e32 v25, v33, v34, vcc
	v_and_b32_e32 v33, 0xffff0000, v26
	v_mul_f32_e32 v33, v23, v33
	v_bfe_u32 v34, v33, 16, 1
	v_lshlrev_b32_e32 v26, 16, v26
	v_add3_u32 v34, v34, v33, s25
	v_or_b32_e32 v35, 0x400000, v33
	v_cmp_u_f32_e32 vcc, v33, v33
	v_mul_f32_e32 v26, v24, v26
	v_cndmask_b32_e32 v33, v34, v35, vcc
	v_bfe_u32 v34, v26, 16, 1
	v_add3_u32 v34, v34, v26, s25
	v_or_b32_e32 v35, 0x400000, v26
	v_cmp_u_f32_e32 vcc, v26, v26
	v_cndmask_b32_e32 v26, v34, v35, vcc
	;; [unrolled: 14-line block ×3, first 2 shown]
	v_and_b32_e32 v35, 0xffff0000, v28
	v_mul_f32_e32 v35, v31, v35
	v_bfe_u32 v36, v35, 16, 1
	v_lshlrev_b32_e32 v28, 16, v28
	v_and_b32_e32 v25, 0xffff0000, v25
	v_and_b32_e32 v0, 0xffff0000, v0
	v_add3_u32 v36, v36, v35, s25
	v_or_b32_e32 v59, 0x400000, v35
	v_cmp_u_f32_e32 vcc, v35, v35
	v_mul_f32_e32 v28, v32, v28
	v_add_f32_e32 v0, v25, v0
	v_and_b32_e32 v25, 0xffff0000, v26
	v_and_b32_e32 v26, 0xffff0000, v33
	v_cndmask_b32_e32 v35, v36, v59, vcc
	v_bfe_u32 v36, v28, 16, 1
	v_add_f32_e32 v25, v25, v26
	v_add3_u32 v36, v36, v28, s25
	v_or_b32_e32 v59, 0x400000, v28
	v_cmp_u_f32_e32 vcc, v28, v28
	v_add_f32_e32 v0, v25, v0
	v_and_b32_e32 v25, 0xffff0000, v27
	v_and_b32_e32 v26, 0xffff0000, v34
	v_cndmask_b32_e32 v28, v36, v59, vcc
	v_add_f32_e32 v25, v25, v26
	v_add_f32_e32 v0, v25, v0
	v_and_b32_e32 v25, 0xffff0000, v28
	v_and_b32_e32 v26, 0xffff0000, v35
	v_add_f32_e32 v25, v25, v26
	v_add_f32_e32 v0, v25, v0
	;; [unrolled: 1-line block ×3, first 2 shown]
	v_and_b32_e32 v0, 0xffff0000, v17
	v_mul_f32_e32 v0, v21, v0
	v_bfe_u32 v25, v0, 16, 1
	v_lshlrev_b32_e32 v17, 16, v17
	v_add3_u32 v25, v25, v0, s25
	v_or_b32_e32 v26, 0x400000, v0
	v_cmp_u_f32_e32 vcc, v0, v0
	v_mul_f32_e32 v17, v22, v17
	v_cndmask_b32_e32 v0, v25, v26, vcc
	v_bfe_u32 v25, v17, 16, 1
	v_add3_u32 v25, v25, v17, s25
	v_or_b32_e32 v26, 0x400000, v17
	v_cmp_u_f32_e32 vcc, v17, v17
	v_cndmask_b32_e32 v17, v25, v26, vcc
	v_and_b32_e32 v25, 0xffff0000, v18
	v_mul_f32_e32 v25, v23, v25
	v_bfe_u32 v26, v25, 16, 1
	v_lshlrev_b32_e32 v18, 16, v18
	v_add3_u32 v26, v26, v25, s25
	v_or_b32_e32 v27, 0x400000, v25
	v_cmp_u_f32_e32 vcc, v25, v25
	v_mul_f32_e32 v18, v24, v18
	v_cndmask_b32_e32 v25, v26, v27, vcc
	v_bfe_u32 v26, v18, 16, 1
	v_add3_u32 v26, v26, v18, s25
	v_or_b32_e32 v27, 0x400000, v18
	v_cmp_u_f32_e32 vcc, v18, v18
	v_cndmask_b32_e32 v18, v26, v27, vcc
	v_and_b32_e32 v26, 0xffff0000, v19
	v_mul_f32_e32 v26, v29, v26
	v_bfe_u32 v27, v26, 16, 1
	v_lshlrev_b32_e32 v19, 16, v19
	v_add3_u32 v27, v27, v26, s25
	v_or_b32_e32 v28, 0x400000, v26
	v_cmp_u_f32_e32 vcc, v26, v26
	v_mul_f32_e32 v19, v30, v19
	v_cndmask_b32_e32 v26, v27, v28, vcc
	v_bfe_u32 v27, v19, 16, 1
	v_add3_u32 v27, v27, v19, s25
	v_or_b32_e32 v28, 0x400000, v19
	v_cmp_u_f32_e32 vcc, v19, v19
	v_cndmask_b32_e32 v19, v27, v28, vcc
	v_and_b32_e32 v27, 0xffff0000, v20
	v_mul_f32_e32 v27, v31, v27
	v_bfe_u32 v28, v27, 16, 1
	v_lshlrev_b32_e32 v20, 16, v20
	v_and_b32_e32 v17, 0xffff0000, v17
	v_and_b32_e32 v0, 0xffff0000, v0
	v_add3_u32 v28, v28, v27, s25
	v_or_b32_e32 v33, 0x400000, v27
	v_cmp_u_f32_e32 vcc, v27, v27
	v_mul_f32_e32 v20, v32, v20
	v_add_f32_e32 v0, v17, v0
	v_and_b32_e32 v17, 0xffff0000, v18
	v_and_b32_e32 v18, 0xffff0000, v25
	v_cndmask_b32_e32 v27, v28, v33, vcc
	v_bfe_u32 v28, v20, 16, 1
	v_add_f32_e32 v17, v17, v18
	v_add3_u32 v28, v28, v20, s25
	v_or_b32_e32 v33, 0x400000, v20
	v_cmp_u_f32_e32 vcc, v20, v20
	v_add_f32_e32 v0, v17, v0
	v_and_b32_e32 v17, 0xffff0000, v19
	v_and_b32_e32 v18, 0xffff0000, v26
	v_cndmask_b32_e32 v20, v28, v33, vcc
	v_add_f32_e32 v17, v17, v18
	v_add_f32_e32 v0, v17, v0
	v_and_b32_e32 v17, 0xffff0000, v20
	v_and_b32_e32 v18, 0xffff0000, v27
	v_add_f32_e32 v17, v17, v18
	v_add_f32_e32 v0, v17, v0
	;; [unrolled: 1-line block ×3, first 2 shown]
	v_and_b32_e32 v0, 0xffff0000, v13
	v_mul_f32_e32 v0, v21, v0
	v_bfe_u32 v17, v0, 16, 1
	v_lshlrev_b32_e32 v13, 16, v13
	v_add3_u32 v17, v17, v0, s25
	v_or_b32_e32 v18, 0x400000, v0
	v_cmp_u_f32_e32 vcc, v0, v0
	v_mul_f32_e32 v13, v22, v13
	v_cndmask_b32_e32 v0, v17, v18, vcc
	v_bfe_u32 v17, v13, 16, 1
	v_add3_u32 v17, v17, v13, s25
	v_or_b32_e32 v18, 0x400000, v13
	v_cmp_u_f32_e32 vcc, v13, v13
	v_cndmask_b32_e32 v13, v17, v18, vcc
	v_and_b32_e32 v17, 0xffff0000, v14
	v_mul_f32_e32 v17, v23, v17
	v_bfe_u32 v18, v17, 16, 1
	v_lshlrev_b32_e32 v14, 16, v14
	v_add3_u32 v18, v18, v17, s25
	v_or_b32_e32 v19, 0x400000, v17
	v_cmp_u_f32_e32 vcc, v17, v17
	v_mul_f32_e32 v14, v24, v14
	v_cndmask_b32_e32 v17, v18, v19, vcc
	v_bfe_u32 v18, v14, 16, 1
	v_add3_u32 v18, v18, v14, s25
	v_or_b32_e32 v19, 0x400000, v14
	v_cmp_u_f32_e32 vcc, v14, v14
	v_cndmask_b32_e32 v14, v18, v19, vcc
	;; [unrolled: 14-line block ×3, first 2 shown]
	v_and_b32_e32 v19, 0xffff0000, v16
	v_mul_f32_e32 v19, v31, v19
	v_bfe_u32 v20, v19, 16, 1
	v_lshlrev_b32_e32 v16, 16, v16
	v_and_b32_e32 v13, 0xffff0000, v13
	v_and_b32_e32 v0, 0xffff0000, v0
	v_add3_u32 v20, v20, v19, s25
	v_or_b32_e32 v25, 0x400000, v19
	v_cmp_u_f32_e32 vcc, v19, v19
	v_mul_f32_e32 v16, v32, v16
	v_add_f32_e32 v0, v13, v0
	v_and_b32_e32 v13, 0xffff0000, v14
	v_and_b32_e32 v14, 0xffff0000, v17
	v_cndmask_b32_e32 v19, v20, v25, vcc
	v_bfe_u32 v20, v16, 16, 1
	v_add_f32_e32 v13, v13, v14
	v_add3_u32 v20, v20, v16, s25
	v_or_b32_e32 v25, 0x400000, v16
	v_cmp_u_f32_e32 vcc, v16, v16
	v_add_f32_e32 v0, v13, v0
	v_and_b32_e32 v13, 0xffff0000, v15
	v_and_b32_e32 v14, 0xffff0000, v18
	v_cndmask_b32_e32 v16, v20, v25, vcc
	v_add_f32_e32 v13, v13, v14
	v_add_f32_e32 v0, v13, v0
	v_and_b32_e32 v13, 0xffff0000, v16
	v_and_b32_e32 v14, 0xffff0000, v19
	v_add_f32_e32 v13, v13, v14
	v_add_f32_e32 v0, v13, v0
	;; [unrolled: 1-line block ×3, first 2 shown]
	v_and_b32_e32 v0, 0xffff0000, v9
	v_mul_f32_e32 v0, v21, v0
	v_bfe_u32 v13, v0, 16, 1
	v_lshlrev_b32_e32 v9, 16, v9
	v_add3_u32 v13, v13, v0, s25
	v_or_b32_e32 v14, 0x400000, v0
	v_cmp_u_f32_e32 vcc, v0, v0
	v_mul_f32_e32 v9, v22, v9
	v_cndmask_b32_e32 v0, v13, v14, vcc
	v_bfe_u32 v13, v9, 16, 1
	v_add3_u32 v13, v13, v9, s25
	v_or_b32_e32 v14, 0x400000, v9
	v_cmp_u_f32_e32 vcc, v9, v9
	v_cndmask_b32_e32 v9, v13, v14, vcc
	v_and_b32_e32 v13, 0xffff0000, v10
	v_mul_f32_e32 v13, v23, v13
	v_bfe_u32 v14, v13, 16, 1
	v_lshlrev_b32_e32 v10, 16, v10
	v_add3_u32 v14, v14, v13, s25
	v_or_b32_e32 v15, 0x400000, v13
	v_cmp_u_f32_e32 vcc, v13, v13
	v_mul_f32_e32 v10, v24, v10
	v_cndmask_b32_e32 v13, v14, v15, vcc
	v_bfe_u32 v14, v10, 16, 1
	v_add3_u32 v14, v14, v10, s25
	v_or_b32_e32 v15, 0x400000, v10
	v_cmp_u_f32_e32 vcc, v10, v10
	v_cndmask_b32_e32 v10, v14, v15, vcc
	;; [unrolled: 14-line block ×3, first 2 shown]
	v_and_b32_e32 v15, 0xffff0000, v12
	v_mul_f32_e32 v15, v31, v15
	v_bfe_u32 v16, v15, 16, 1
	v_lshlrev_b32_e32 v12, 16, v12
	v_and_b32_e32 v9, 0xffff0000, v9
	v_and_b32_e32 v0, 0xffff0000, v0
	v_add3_u32 v16, v16, v15, s25
	v_or_b32_e32 v17, 0x400000, v15
	v_cmp_u_f32_e32 vcc, v15, v15
	v_mul_f32_e32 v12, v32, v12
	v_add_f32_e32 v0, v9, v0
	v_and_b32_e32 v9, 0xffff0000, v10
	v_and_b32_e32 v10, 0xffff0000, v13
	v_cndmask_b32_e32 v15, v16, v17, vcc
	v_bfe_u32 v16, v12, 16, 1
	v_add_f32_e32 v9, v9, v10
	v_add3_u32 v16, v16, v12, s25
	v_or_b32_e32 v17, 0x400000, v12
	v_cmp_u_f32_e32 vcc, v12, v12
	v_add_f32_e32 v0, v9, v0
	v_and_b32_e32 v9, 0xffff0000, v11
	v_and_b32_e32 v10, 0xffff0000, v14
	v_cndmask_b32_e32 v12, v16, v17, vcc
	v_add_f32_e32 v9, v9, v10
	v_add_f32_e32 v0, v9, v0
	v_and_b32_e32 v9, 0xffff0000, v12
	v_and_b32_e32 v10, 0xffff0000, v15
	v_add_f32_e32 v9, v9, v10
	v_add_f32_e32 v0, v9, v0
	;; [unrolled: 1-line block ×3, first 2 shown]
	v_and_b32_e32 v0, 0xffff0000, v5
	v_mul_f32_e32 v0, v21, v0
	v_bfe_u32 v9, v0, 16, 1
	v_lshlrev_b32_e32 v5, 16, v5
	v_add3_u32 v9, v9, v0, s25
	v_or_b32_e32 v10, 0x400000, v0
	v_cmp_u_f32_e32 vcc, v0, v0
	v_mul_f32_e32 v5, v22, v5
	v_cndmask_b32_e32 v0, v9, v10, vcc
	v_bfe_u32 v9, v5, 16, 1
	v_add3_u32 v9, v9, v5, s25
	v_or_b32_e32 v10, 0x400000, v5
	v_cmp_u_f32_e32 vcc, v5, v5
	v_cndmask_b32_e32 v5, v9, v10, vcc
	v_and_b32_e32 v9, 0xffff0000, v6
	v_mul_f32_e32 v9, v23, v9
	v_bfe_u32 v10, v9, 16, 1
	v_lshlrev_b32_e32 v6, 16, v6
	v_add3_u32 v10, v10, v9, s25
	v_or_b32_e32 v11, 0x400000, v9
	v_cmp_u_f32_e32 vcc, v9, v9
	v_mul_f32_e32 v6, v24, v6
	v_cndmask_b32_e32 v9, v10, v11, vcc
	v_bfe_u32 v10, v6, 16, 1
	v_add3_u32 v10, v10, v6, s25
	v_or_b32_e32 v11, 0x400000, v6
	v_cmp_u_f32_e32 vcc, v6, v6
	v_cndmask_b32_e32 v6, v10, v11, vcc
	;; [unrolled: 14-line block ×3, first 2 shown]
	v_and_b32_e32 v11, 0xffff0000, v8
	v_mul_f32_e32 v11, v31, v11
	v_bfe_u32 v12, v11, 16, 1
	v_lshlrev_b32_e32 v8, 16, v8
	v_and_b32_e32 v5, 0xffff0000, v5
	v_and_b32_e32 v0, 0xffff0000, v0
	v_add3_u32 v12, v12, v11, s25
	v_or_b32_e32 v13, 0x400000, v11
	v_cmp_u_f32_e32 vcc, v11, v11
	v_mul_f32_e32 v8, v32, v8
	v_add_f32_e32 v0, v5, v0
	v_and_b32_e32 v5, 0xffff0000, v6
	v_and_b32_e32 v6, 0xffff0000, v9
	v_cndmask_b32_e32 v11, v12, v13, vcc
	v_bfe_u32 v12, v8, 16, 1
	v_add_f32_e32 v5, v5, v6
	v_add3_u32 v12, v12, v8, s25
	v_or_b32_e32 v13, 0x400000, v8
	v_cmp_u_f32_e32 vcc, v8, v8
	v_add_f32_e32 v0, v5, v0
	v_and_b32_e32 v5, 0xffff0000, v7
	v_and_b32_e32 v6, 0xffff0000, v10
	v_cndmask_b32_e32 v8, v12, v13, vcc
	v_add_f32_e32 v5, v5, v6
	v_add_f32_e32 v0, v5, v0
	v_and_b32_e32 v5, 0xffff0000, v8
	v_and_b32_e32 v6, 0xffff0000, v11
	v_add_f32_e32 v5, v5, v6
	v_add_f32_e32 v0, v5, v0
	;; [unrolled: 1-line block ×3, first 2 shown]
	v_and_b32_e32 v0, 0xffff0000, v1
	v_mul_f32_e32 v0, v21, v0
	v_bfe_u32 v5, v0, 16, 1
	v_lshlrev_b32_e32 v1, 16, v1
	v_add3_u32 v5, v5, v0, s25
	v_or_b32_e32 v6, 0x400000, v0
	v_cmp_u_f32_e32 vcc, v0, v0
	v_mul_f32_e32 v1, v22, v1
	v_cndmask_b32_e32 v0, v5, v6, vcc
	v_bfe_u32 v5, v1, 16, 1
	v_add3_u32 v5, v5, v1, s25
	v_or_b32_e32 v6, 0x400000, v1
	v_cmp_u_f32_e32 vcc, v1, v1
	v_cndmask_b32_e32 v1, v5, v6, vcc
	v_and_b32_e32 v5, 0xffff0000, v2
	v_mul_f32_e32 v5, v23, v5
	v_bfe_u32 v6, v5, 16, 1
	v_lshlrev_b32_e32 v2, 16, v2
	v_add3_u32 v6, v6, v5, s25
	v_or_b32_e32 v7, 0x400000, v5
	v_cmp_u_f32_e32 vcc, v5, v5
	v_mul_f32_e32 v2, v24, v2
	v_cndmask_b32_e32 v5, v6, v7, vcc
	v_bfe_u32 v6, v2, 16, 1
	v_add3_u32 v6, v6, v2, s25
	v_or_b32_e32 v7, 0x400000, v2
	v_cmp_u_f32_e32 vcc, v2, v2
	v_cndmask_b32_e32 v2, v6, v7, vcc
	;; [unrolled: 14-line block ×3, first 2 shown]
	v_and_b32_e32 v7, 0xffff0000, v4
	v_mul_f32_e32 v7, v31, v7
	v_bfe_u32 v8, v7, 16, 1
	v_lshlrev_b32_e32 v4, 16, v4
	v_and_b32_e32 v1, 0xffff0000, v1
	v_and_b32_e32 v0, 0xffff0000, v0
	v_add3_u32 v8, v8, v7, s25
	v_or_b32_e32 v9, 0x400000, v7
	v_cmp_u_f32_e32 vcc, v7, v7
	v_mul_f32_e32 v4, v32, v4
	v_add_f32_e32 v0, v1, v0
	v_and_b32_e32 v1, 0xffff0000, v2
	v_and_b32_e32 v2, 0xffff0000, v5
	v_cndmask_b32_e32 v7, v8, v9, vcc
	v_bfe_u32 v8, v4, 16, 1
	v_add_f32_e32 v1, v1, v2
	v_add3_u32 v8, v8, v4, s25
	v_or_b32_e32 v9, 0x400000, v4
	v_cmp_u_f32_e32 vcc, v4, v4
	v_add_f32_e32 v0, v1, v0
	v_and_b32_e32 v1, 0xffff0000, v3
	v_and_b32_e32 v2, 0xffff0000, v6
	v_cndmask_b32_e32 v4, v8, v9, vcc
	v_add_f32_e32 v1, v1, v2
	v_add_f32_e32 v0, v1, v0
	v_and_b32_e32 v1, 0xffff0000, v4
	v_and_b32_e32 v2, 0xffff0000, v7
	v_add_f32_e32 v1, v1, v2
	v_add_f32_e32 v0, v1, v0
	v_add_f32_e32 v51, v51, v0
.LBB149_42:                             ;   in Loop: Header=BB149_43 Depth=1
	s_or_b64 exec, exec, s[14:15]
	v_add_co_u32_e32 v37, vcc, 8, v37
	v_add_u32_e32 v41, 2, v41
	v_addc_co_u32_e32 v38, vcc, 0, v38, vcc
	v_cmp_le_i32_e32 vcc, s42, v41
	v_add_u32_e32 v55, 64, v55
	s_or_b64 s[12:13], vcc, s[12:13]
	v_add_u32_e32 v56, 0x100, v56
	s_andn2_b64 exec, exec, s[12:13]
	s_cbranch_execz .LBB149_61
.LBB149_43:                             ; =>This Inner Loop Header: Depth=1
	v_mul_hi_u32 v0, v55, s40
	v_mul_lo_u32 v1, v0, s21
	v_add_u32_e32 v2, 1, v0
	v_sub_u32_e32 v1, v55, v1
	v_cmp_le_u32_e32 vcc, s21, v1
	v_cndmask_b32_e32 v0, v0, v2, vcc
	v_subrev_u32_e32 v2, s21, v1
	v_cndmask_b32_e32 v1, v1, v2, vcc
	v_add_u32_e32 v2, 1, v0
	v_cmp_le_u32_e32 vcc, s21, v1
	v_cndmask_b32_e32 v0, v0, v2, vcc
	v_xor_b32_e32 v0, s19, v0
	v_subrev_u32_e32 v0, s19, v0
	v_add_u32_e32 v1, s41, v0
	v_sub_u32_e32 v2, 0, v1
	v_max_i32_e32 v2, v1, v2
	v_mul_hi_u32 v3, v2, v40
	v_ashrrev_i32_e32 v1, 31, v1
	v_cmp_lt_i32_e64 s[2:3], s30, v0
	v_mul_lo_u32 v3, v3, s18
	v_sub_u32_e32 v2, v2, v3
	v_subrev_u32_e32 v3, s18, v2
	v_cmp_le_u32_e32 vcc, s18, v2
	v_cndmask_b32_e32 v2, v2, v3, vcc
	v_subrev_u32_e32 v3, s18, v2
	v_cmp_le_u32_e32 vcc, s18, v2
	v_cndmask_b32_e32 v2, v2, v3, vcc
	v_xor_b32_e32 v2, v2, v1
	v_sub_u32_e32 v1, v2, v1
	v_cmp_eq_u32_e32 vcc, 0, v1
	s_or_b64 s[2:3], vcc, s[2:3]
	s_and_saveexec_b64 s[14:15], s[2:3]
	s_cbranch_execz .LBB149_42
; %bb.44:                               ;   in Loop: Header=BB149_43 Depth=1
	global_load_dword v0, v[37:38], off
	v_mov_b32_e32 v2, s29
	v_add_u32_e32 v59, v52, v55
	s_waitcnt vmcnt(0)
	v_mad_i64_i32 v[0:1], s[2:3], v0, s31, 0
	v_cmp_eq_u32_e64 s[2:3], s35, v41
	v_lshlrev_b64 v[0:1], 1, v[0:1]
	v_add_co_u32_e32 v60, vcc, s28, v0
	v_addc_co_u32_e32 v61, vcc, v2, v1, vcc
	v_add_co_u32_e32 v33, vcc, v60, v57
	v_addc_co_u32_e32 v34, vcc, 0, v61, vcc
	global_load_dwordx4 v[1:4], v[33:34], off
	ds_read2_b64 v[29:32], v56 offset1:1
	ds_read2_b64 v[21:24], v56 offset0:2 offset1:3
	s_and_saveexec_b64 s[16:17], s[2:3]
	s_cbranch_execnz .LBB149_58
; %bb.45:                               ;   in Loop: Header=BB149_43 Depth=1
	s_or_b64 exec, exec, s[16:17]
	global_load_dwordx4 v[5:8], v[33:34], off offset:1024
	s_and_saveexec_b64 s[16:17], s[2:3]
	s_cbranch_execnz .LBB149_59
.LBB149_46:                             ;   in Loop: Header=BB149_43 Depth=1
	s_or_b64 exec, exec, s[16:17]
	global_load_dwordx4 v[9:12], v[33:34], off offset:2048
	s_and_saveexec_b64 s[16:17], s[2:3]
	s_cbranch_execnz .LBB149_60
.LBB149_47:                             ;   in Loop: Header=BB149_43 Depth=1
	s_or_b64 exec, exec, s[16:17]
	global_load_dwordx4 v[13:16], v[33:34], off offset:3072
	s_and_saveexec_b64 s[16:17], s[2:3]
	s_cbranch_execz .LBB149_49
.LBB149_48:                             ;   in Loop: Header=BB149_43 Depth=1
	v_add_u32_e32 v0, 1, v59
	v_cmp_gt_i32_e32 vcc, s34, v0
	s_waitcnt vmcnt(0)
	v_cndmask_b32_sdwa v0, v54, v13, vcc dst_sel:DWORD dst_unused:UNUSED_PAD src0_sel:DWORD src1_sel:WORD_1
	v_cmp_gt_i32_e32 vcc, s33, v59
	v_cndmask_b32_e32 v13, 0, v13, vcc
	v_perm_b32 v13, v0, v13, s24
	v_or_b32_e32 v0, 3, v59
	v_or_b32_e32 v17, 2, v59
	v_cmp_gt_i32_e32 vcc, s34, v0
	v_cmp_gt_i32_e64 s[4:5], s33, v17
	v_cndmask_b32_e64 v0, 0, v14, s[4:5]
	v_cndmask_b32_sdwa v14, v54, v14, vcc dst_sel:DWORD dst_unused:UNUSED_PAD src0_sel:DWORD src1_sel:WORD_1
	v_perm_b32 v14, v14, v0, s24
	v_or_b32_e32 v0, 5, v59
	v_or_b32_e32 v17, 4, v59
	v_cmp_gt_i32_e32 vcc, s34, v0
	v_cmp_gt_i32_e64 s[4:5], s33, v17
	v_cndmask_b32_e64 v0, 0, v15, s[4:5]
	v_cndmask_b32_sdwa v15, v54, v15, vcc dst_sel:DWORD dst_unused:UNUSED_PAD src0_sel:DWORD src1_sel:WORD_1
	;; [unrolled: 7-line block ×3, first 2 shown]
	v_perm_b32 v16, v16, v0, s24
.LBB149_49:                             ;   in Loop: Header=BB149_43 Depth=1
	s_or_b64 exec, exec, s[16:17]
	v_add_co_u32_e32 v17, vcc, 0x1000, v33
	v_addc_co_u32_e32 v18, vcc, 0, v34, vcc
	global_load_dwordx4 v[17:20], v[17:18], off
	s_and_saveexec_b64 s[16:17], s[2:3]
	s_cbranch_execz .LBB149_51
; %bb.50:                               ;   in Loop: Header=BB149_43 Depth=1
	v_add_u32_e32 v0, 1, v59
	v_cmp_gt_i32_e32 vcc, s34, v0
	s_waitcnt vmcnt(0)
	v_cndmask_b32_sdwa v0, v54, v17, vcc dst_sel:DWORD dst_unused:UNUSED_PAD src0_sel:DWORD src1_sel:WORD_1
	v_cmp_gt_i32_e32 vcc, s33, v59
	v_cndmask_b32_e32 v17, 0, v17, vcc
	v_perm_b32 v17, v0, v17, s24
	v_or_b32_e32 v0, 3, v59
	v_or_b32_e32 v25, 2, v59
	v_cmp_gt_i32_e32 vcc, s34, v0
	v_cmp_gt_i32_e64 s[4:5], s33, v25
	v_cndmask_b32_e64 v0, 0, v18, s[4:5]
	v_cndmask_b32_sdwa v18, v54, v18, vcc dst_sel:DWORD dst_unused:UNUSED_PAD src0_sel:DWORD src1_sel:WORD_1
	v_perm_b32 v18, v18, v0, s24
	v_or_b32_e32 v0, 5, v59
	v_or_b32_e32 v25, 4, v59
	v_cmp_gt_i32_e32 vcc, s34, v0
	v_cmp_gt_i32_e64 s[4:5], s33, v25
	v_cndmask_b32_e64 v0, 0, v19, s[4:5]
	v_cndmask_b32_sdwa v19, v54, v19, vcc dst_sel:DWORD dst_unused:UNUSED_PAD src0_sel:DWORD src1_sel:WORD_1
	;; [unrolled: 7-line block ×3, first 2 shown]
	v_perm_b32 v20, v20, v0, s24
.LBB149_51:                             ;   in Loop: Header=BB149_43 Depth=1
	s_or_b64 exec, exec, s[16:17]
	v_add_co_u32_e32 v25, vcc, 0x1000, v33
	v_addc_co_u32_e32 v26, vcc, 0, v34, vcc
	global_load_dwordx4 v[25:28], v[25:26], off offset:1024
	s_and_saveexec_b64 s[16:17], s[2:3]
	s_cbranch_execz .LBB149_53
; %bb.52:                               ;   in Loop: Header=BB149_43 Depth=1
	v_add_u32_e32 v0, 1, v59
	v_cmp_gt_i32_e32 vcc, s34, v0
	s_waitcnt vmcnt(0)
	v_cndmask_b32_sdwa v0, v54, v25, vcc dst_sel:DWORD dst_unused:UNUSED_PAD src0_sel:DWORD src1_sel:WORD_1
	v_cmp_gt_i32_e32 vcc, s33, v59
	v_cndmask_b32_e32 v25, 0, v25, vcc
	v_perm_b32 v25, v0, v25, s24
	v_or_b32_e32 v0, 3, v59
	v_or_b32_e32 v35, 2, v59
	v_cmp_gt_i32_e32 vcc, s34, v0
	v_cmp_gt_i32_e64 s[4:5], s33, v35
	v_cndmask_b32_e64 v0, 0, v26, s[4:5]
	v_cndmask_b32_sdwa v26, v54, v26, vcc dst_sel:DWORD dst_unused:UNUSED_PAD src0_sel:DWORD src1_sel:WORD_1
	v_perm_b32 v26, v26, v0, s24
	v_or_b32_e32 v0, 5, v59
	v_or_b32_e32 v35, 4, v59
	v_cmp_gt_i32_e32 vcc, s34, v0
	v_cmp_gt_i32_e64 s[4:5], s33, v35
	v_cndmask_b32_e64 v0, 0, v27, s[4:5]
	v_cndmask_b32_sdwa v27, v54, v27, vcc dst_sel:DWORD dst_unused:UNUSED_PAD src0_sel:DWORD src1_sel:WORD_1
	;; [unrolled: 7-line block ×3, first 2 shown]
	v_perm_b32 v28, v28, v0, s24
.LBB149_53:                             ;   in Loop: Header=BB149_43 Depth=1
	s_or_b64 exec, exec, s[16:17]
	v_add_co_u32_e32 v33, vcc, 0x1000, v33
	v_addc_co_u32_e32 v34, vcc, 0, v34, vcc
	global_load_dwordx4 v[33:36], v[33:34], off offset:2048
	s_and_saveexec_b64 s[16:17], s[2:3]
	s_cbranch_execz .LBB149_55
; %bb.54:                               ;   in Loop: Header=BB149_43 Depth=1
	v_add_u32_e32 v0, 1, v59
	v_cmp_gt_i32_e32 vcc, s34, v0
	s_waitcnt vmcnt(0)
	v_cndmask_b32_sdwa v0, v54, v33, vcc dst_sel:DWORD dst_unused:UNUSED_PAD src0_sel:DWORD src1_sel:WORD_1
	v_cmp_gt_i32_e32 vcc, s33, v59
	v_cndmask_b32_e32 v33, 0, v33, vcc
	v_perm_b32 v33, v0, v33, s24
	v_or_b32_e32 v0, 3, v59
	v_or_b32_e32 v62, 2, v59
	v_cmp_gt_i32_e32 vcc, s34, v0
	v_cmp_gt_i32_e64 s[4:5], s33, v62
	v_cndmask_b32_e64 v0, 0, v34, s[4:5]
	v_cndmask_b32_sdwa v34, v54, v34, vcc dst_sel:DWORD dst_unused:UNUSED_PAD src0_sel:DWORD src1_sel:WORD_1
	v_perm_b32 v34, v34, v0, s24
	v_or_b32_e32 v0, 5, v59
	v_or_b32_e32 v62, 4, v59
	v_cmp_gt_i32_e32 vcc, s34, v0
	v_cmp_gt_i32_e64 s[4:5], s33, v62
	v_cndmask_b32_e64 v0, 0, v35, s[4:5]
	v_cndmask_b32_sdwa v35, v54, v35, vcc dst_sel:DWORD dst_unused:UNUSED_PAD src0_sel:DWORD src1_sel:WORD_1
	;; [unrolled: 7-line block ×3, first 2 shown]
	v_perm_b32 v36, v36, v0, s24
.LBB149_55:                             ;   in Loop: Header=BB149_43 Depth=1
	s_or_b64 exec, exec, s[16:17]
	s_waitcnt lgkmcnt(1)
	v_bfe_u32 v0, v29, 16, 1
	v_add3_u32 v0, v0, v29, s25
	v_or_b32_e32 v62, 0x400000, v29
	v_cmp_u_f32_e32 vcc, v29, v29
	v_bfe_u32 v29, v30, 16, 1
	v_cndmask_b32_e32 v0, v0, v62, vcc
	v_add3_u32 v29, v29, v30, s25
	v_or_b32_e32 v62, 0x400000, v30
	v_cmp_u_f32_e32 vcc, v30, v30
	v_bfe_u32 v30, v31, 16, 1
	v_cndmask_b32_e32 v29, v29, v62, vcc
	v_add3_u32 v30, v30, v31, s25
	v_or_b32_e32 v62, 0x400000, v31
	v_cmp_u_f32_e32 vcc, v31, v31
	v_bfe_u32 v31, v32, 16, 1
	v_cndmask_b32_e32 v30, v30, v62, vcc
	v_add3_u32 v31, v31, v32, s25
	v_or_b32_e32 v62, 0x400000, v32
	v_cmp_u_f32_e32 vcc, v32, v32
	v_cndmask_b32_e32 v32, v31, v62, vcc
	s_waitcnt lgkmcnt(0)
	v_bfe_u32 v31, v21, 16, 1
	v_add3_u32 v31, v31, v21, s25
	v_or_b32_e32 v62, 0x400000, v21
	v_cmp_u_f32_e32 vcc, v21, v21
	v_cndmask_b32_e32 v21, v31, v62, vcc
	v_bfe_u32 v31, v22, 16, 1
	v_add3_u32 v31, v31, v22, s25
	v_or_b32_e32 v62, 0x400000, v22
	v_cmp_u_f32_e32 vcc, v22, v22
	v_cndmask_b32_e32 v22, v31, v62, vcc
	;; [unrolled: 5-line block ×4, first 2 shown]
	v_perm_b32 v31, v29, v0, s26
	v_perm_b32 v29, v32, v30, s26
	;; [unrolled: 1-line block ×4, first 2 shown]
	s_and_saveexec_b64 s[4:5], s[0:1]
	s_cbranch_execz .LBB149_41
; %bb.56:                               ;   in Loop: Header=BB149_43 Depth=1
	v_add_co_u32_e32 v21, vcc, v60, v58
	v_addc_co_u32_e32 v22, vcc, 0, v61, vcc
	global_load_dwordx4 v[21:24], v[21:22], off
	s_and_saveexec_b64 s[16:17], s[2:3]
	s_cbranch_execz .LBB149_40
; %bb.57:                               ;   in Loop: Header=BB149_43 Depth=1
	v_add_u32_e32 v32, 1, v59
	v_cmp_gt_i32_e32 vcc, s34, v32
	s_waitcnt vmcnt(0)
	v_cndmask_b32_sdwa v32, v54, v21, vcc dst_sel:DWORD dst_unused:UNUSED_PAD src0_sel:DWORD src1_sel:WORD_1
	v_cmp_gt_i32_e32 vcc, s33, v59
	v_cndmask_b32_e32 v21, 0, v21, vcc
	v_perm_b32 v21, v32, v21, s24
	v_or_b32_e32 v32, 3, v59
	v_or_b32_e32 v60, 2, v59
	v_cmp_gt_i32_e32 vcc, s34, v32
	v_cmp_gt_i32_e64 s[2:3], s33, v60
	v_cndmask_b32_e64 v32, 0, v22, s[2:3]
	v_cndmask_b32_sdwa v22, v54, v22, vcc dst_sel:DWORD dst_unused:UNUSED_PAD src0_sel:DWORD src1_sel:WORD_1
	v_perm_b32 v22, v22, v32, s24
	v_or_b32_e32 v32, 5, v59
	v_or_b32_e32 v60, 4, v59
	v_cmp_gt_i32_e32 vcc, s34, v32
	v_cmp_gt_i32_e64 s[2:3], s33, v60
	v_cndmask_b32_e64 v32, 0, v23, s[2:3]
	v_cndmask_b32_sdwa v23, v54, v23, vcc dst_sel:DWORD dst_unused:UNUSED_PAD src0_sel:DWORD src1_sel:WORD_1
	;; [unrolled: 7-line block ×3, first 2 shown]
	v_perm_b32 v24, v24, v32, s24
	s_branch .LBB149_40
.LBB149_58:                             ;   in Loop: Header=BB149_43 Depth=1
	v_add_u32_e32 v0, 1, v59
	v_cmp_gt_i32_e32 vcc, s34, v0
	s_waitcnt vmcnt(0)
	v_cndmask_b32_sdwa v0, v54, v1, vcc dst_sel:DWORD dst_unused:UNUSED_PAD src0_sel:DWORD src1_sel:WORD_1
	v_cmp_gt_i32_e32 vcc, s33, v59
	v_cndmask_b32_e32 v1, 0, v1, vcc
	v_perm_b32 v1, v0, v1, s24
	v_or_b32_e32 v0, 3, v59
	v_or_b32_e32 v5, 2, v59
	v_cmp_gt_i32_e32 vcc, s34, v0
	v_cmp_gt_i32_e64 s[4:5], s33, v5
	v_cndmask_b32_e64 v0, 0, v2, s[4:5]
	v_cndmask_b32_sdwa v2, v54, v2, vcc dst_sel:DWORD dst_unused:UNUSED_PAD src0_sel:DWORD src1_sel:WORD_1
	v_perm_b32 v2, v2, v0, s24
	v_or_b32_e32 v0, 5, v59
	v_or_b32_e32 v5, 4, v59
	v_cmp_gt_i32_e32 vcc, s34, v0
	v_cmp_gt_i32_e64 s[4:5], s33, v5
	v_cndmask_b32_e64 v0, 0, v3, s[4:5]
	v_cndmask_b32_sdwa v3, v54, v3, vcc dst_sel:DWORD dst_unused:UNUSED_PAD src0_sel:DWORD src1_sel:WORD_1
	v_perm_b32 v3, v3, v0, s24
	v_or_b32_e32 v0, 7, v59
	v_or_b32_e32 v5, 6, v59
	v_cmp_gt_i32_e32 vcc, s34, v0
	v_cmp_gt_i32_e64 s[4:5], s33, v5
	v_cndmask_b32_e64 v0, 0, v4, s[4:5]
	v_cndmask_b32_sdwa v4, v54, v4, vcc dst_sel:DWORD dst_unused:UNUSED_PAD src0_sel:DWORD src1_sel:WORD_1
	v_perm_b32 v4, v4, v0, s24
	s_or_b64 exec, exec, s[16:17]
	global_load_dwordx4 v[5:8], v[33:34], off offset:1024
	s_and_saveexec_b64 s[16:17], s[2:3]
	s_cbranch_execz .LBB149_46
.LBB149_59:                             ;   in Loop: Header=BB149_43 Depth=1
	v_add_u32_e32 v0, 1, v59
	v_cmp_gt_i32_e32 vcc, s34, v0
	s_waitcnt vmcnt(0)
	v_cndmask_b32_sdwa v0, v54, v5, vcc dst_sel:DWORD dst_unused:UNUSED_PAD src0_sel:DWORD src1_sel:WORD_1
	v_cmp_gt_i32_e32 vcc, s33, v59
	v_cndmask_b32_e32 v5, 0, v5, vcc
	v_perm_b32 v5, v0, v5, s24
	v_or_b32_e32 v0, 3, v59
	v_or_b32_e32 v9, 2, v59
	v_cmp_gt_i32_e32 vcc, s34, v0
	v_cmp_gt_i32_e64 s[4:5], s33, v9
	v_cndmask_b32_e64 v0, 0, v6, s[4:5]
	v_cndmask_b32_sdwa v6, v54, v6, vcc dst_sel:DWORD dst_unused:UNUSED_PAD src0_sel:DWORD src1_sel:WORD_1
	v_perm_b32 v6, v6, v0, s24
	v_or_b32_e32 v0, 5, v59
	v_or_b32_e32 v9, 4, v59
	v_cmp_gt_i32_e32 vcc, s34, v0
	v_cmp_gt_i32_e64 s[4:5], s33, v9
	v_cndmask_b32_e64 v0, 0, v7, s[4:5]
	v_cndmask_b32_sdwa v7, v54, v7, vcc dst_sel:DWORD dst_unused:UNUSED_PAD src0_sel:DWORD src1_sel:WORD_1
	;; [unrolled: 7-line block ×3, first 2 shown]
	v_perm_b32 v8, v8, v0, s24
	s_or_b64 exec, exec, s[16:17]
	global_load_dwordx4 v[9:12], v[33:34], off offset:2048
	s_and_saveexec_b64 s[16:17], s[2:3]
	s_cbranch_execz .LBB149_47
.LBB149_60:                             ;   in Loop: Header=BB149_43 Depth=1
	v_add_u32_e32 v0, 1, v59
	v_cmp_gt_i32_e32 vcc, s34, v0
	s_waitcnt vmcnt(0)
	v_cndmask_b32_sdwa v0, v54, v9, vcc dst_sel:DWORD dst_unused:UNUSED_PAD src0_sel:DWORD src1_sel:WORD_1
	v_cmp_gt_i32_e32 vcc, s33, v59
	v_cndmask_b32_e32 v9, 0, v9, vcc
	v_perm_b32 v9, v0, v9, s24
	v_or_b32_e32 v0, 3, v59
	v_or_b32_e32 v13, 2, v59
	v_cmp_gt_i32_e32 vcc, s34, v0
	v_cmp_gt_i32_e64 s[4:5], s33, v13
	v_cndmask_b32_e64 v0, 0, v10, s[4:5]
	v_cndmask_b32_sdwa v10, v54, v10, vcc dst_sel:DWORD dst_unused:UNUSED_PAD src0_sel:DWORD src1_sel:WORD_1
	v_perm_b32 v10, v10, v0, s24
	v_or_b32_e32 v0, 5, v59
	v_or_b32_e32 v13, 4, v59
	v_cmp_gt_i32_e32 vcc, s34, v0
	v_cmp_gt_i32_e64 s[4:5], s33, v13
	v_cndmask_b32_e64 v0, 0, v11, s[4:5]
	v_cndmask_b32_sdwa v11, v54, v11, vcc dst_sel:DWORD dst_unused:UNUSED_PAD src0_sel:DWORD src1_sel:WORD_1
	v_perm_b32 v11, v11, v0, s24
	v_or_b32_e32 v0, 7, v59
	v_or_b32_e32 v13, 6, v59
	v_cmp_gt_i32_e32 vcc, s34, v0
	v_cmp_gt_i32_e64 s[4:5], s33, v13
	v_cndmask_b32_e64 v0, 0, v12, s[4:5]
	v_cndmask_b32_sdwa v12, v54, v12, vcc dst_sel:DWORD dst_unused:UNUSED_PAD src0_sel:DWORD src1_sel:WORD_1
	v_perm_b32 v12, v12, v0, s24
	s_or_b64 exec, exec, s[16:17]
	global_load_dwordx4 v[13:16], v[33:34], off offset:3072
	s_and_saveexec_b64 s[16:17], s[2:3]
	s_cbranch_execnz .LBB149_48
	s_branch .LBB149_49
.LBB149_61:
	s_or_b64 exec, exec, s[12:13]
.LBB149_62:
	s_or_b64 exec, exec, s[6:7]
	ds_bpermute_b32 v0, v39, v51
	ds_bpermute_b32 v1, v39, v53
	s_waitcnt lgkmcnt(0)
	s_barrier
	v_add_f32_e32 v0, v51, v0
	ds_bpermute_b32 v3, v42, v0
	v_add_f32_e32 v1, v53, v1
	ds_bpermute_b32 v4, v42, v1
	ds_bpermute_b32 v2, v39, v50
	;; [unrolled: 1-line block ×3, first 2 shown]
	s_waitcnt lgkmcnt(3)
	v_add_f32_e32 v8, v0, v3
	ds_bpermute_b32 v0, v39, v48
	s_waitcnt lgkmcnt(3)
	v_add_f32_e32 v7, v1, v4
	ds_bpermute_b32 v4, v39, v45
	s_waitcnt lgkmcnt(3)
	v_add_f32_e32 v2, v50, v2
	s_waitcnt lgkmcnt(2)
	v_add_f32_e32 v1, v49, v6
	;; [unrolled: 2-line block ×3, first 2 shown]
	ds_bpermute_b32 v9, v42, v0
	s_waitcnt lgkmcnt(1)
	v_add_f32_e32 v11, v45, v4
	ds_bpermute_b32 v3, v39, v47
	ds_bpermute_b32 v6, v39, v46
	;; [unrolled: 1-line block ×3, first 2 shown]
	s_waitcnt lgkmcnt(3)
	v_add_f32_e32 v4, v0, v9
	buffer_load_dword v9, off, s[48:51], 0 offset:28 ; 4-byte Folded Reload
	s_waitcnt lgkmcnt(2)
	v_add_f32_e32 v3, v47, v3
	s_waitcnt lgkmcnt(1)
	v_add_f32_e32 v13, v46, v6
	;; [unrolled: 2-line block ×3, first 2 shown]
	ds_bpermute_b32 v2, v42, v1
	ds_bpermute_b32 v10, v42, v3
	;; [unrolled: 1-line block ×4, first 2 shown]
	v_cmp_eq_u32_e32 vcc, 0, v44
	s_waitcnt lgkmcnt(3)
	v_add_f32_e32 v6, v1, v2
	s_waitcnt lgkmcnt(2)
	v_add_f32_e32 v3, v3, v10
	;; [unrolled: 2-line block ×4, first 2 shown]
	s_waitcnt vmcnt(0)
	v_and_b32_e32 v0, 0x3c0, v9
	v_cmp_eq_u32_e64 s[0:1], 64, v0
	s_and_saveexec_b64 s[2:3], s[0:1]
	s_cbranch_execz .LBB149_67
; %bb.63:
	s_and_saveexec_b64 s[0:1], vcc
	s_cbranch_execz .LBB149_65
; %bb.64:
	v_mov_b32_e32 v0, 0x100
	v_lshl_add_u32 v0, v43, 2, v0
	ds_write2_b32 v0, v8, v7 offset1:16
	ds_write2_b32 v0, v5, v6 offset0:32 offset1:48
	ds_write2_b32 v0, v4, v3 offset0:64 offset1:80
	ds_write_b32 v0, v2 offset:384
.LBB149_65:
	s_or_b64 exec, exec, s[0:1]
	v_or_b32_e32 v0, 0x70, v43
	s_movk_i32 s0, 0x78
	v_cmp_gt_u32_e64 s[0:1], s0, v0
	s_and_b64 s[0:1], vcc, s[0:1]
	s_and_b64 exec, exec, s[0:1]
; %bb.66:
	v_mov_b32_e32 v0, 0x100
	v_lshl_add_u32 v0, v43, 2, v0
	ds_write_b32 v0, v1 offset:448
.LBB149_67:
	s_or_b64 exec, exec, s[2:3]
	v_cmp_gt_u32_e64 s[0:1], 64, v9
	v_lshrrev_b32_e32 v0, 2, v9
	s_waitcnt lgkmcnt(0)
	s_barrier
	s_and_saveexec_b64 s[4:5], s[0:1]
	s_cbranch_execz .LBB149_85
; %bb.68:
	s_and_saveexec_b64 s[2:3], vcc
	s_cbranch_execz .LBB149_70
; %bb.69:
	v_mov_b32_e32 v9, 0x100
	v_lshl_add_u32 v9, v0, 2, v9
	ds_read_b32 v9, v9
	s_waitcnt lgkmcnt(0)
	v_add_f32_e32 v8, v8, v9
.LBB149_70:
	s_or_b64 exec, exec, s[2:3]
	v_or_b32_e32 v9, 16, v0
	s_movk_i32 s6, 0x78
	v_cmp_gt_u32_e64 s[2:3], s6, v9
	s_and_b64 s[12:13], vcc, s[2:3]
	s_and_saveexec_b64 s[2:3], s[12:13]
	s_cbranch_execz .LBB149_72
; %bb.71:
	v_mov_b32_e32 v9, 0x100
	v_lshl_add_u32 v9, v0, 2, v9
	ds_read_b32 v9, v9 offset:64
	s_waitcnt lgkmcnt(0)
	v_add_f32_e32 v7, v7, v9
.LBB149_72:
	s_or_b64 exec, exec, s[2:3]
	v_or_b32_e32 v9, 32, v0
	v_cmp_gt_u32_e64 s[2:3], s6, v9
	s_and_b64 s[6:7], vcc, s[2:3]
	s_and_saveexec_b64 s[2:3], s[6:7]
	s_cbranch_execz .LBB149_74
; %bb.73:
	v_mov_b32_e32 v9, 0x100
	v_lshl_add_u32 v9, v0, 2, v9
	ds_read_b32 v9, v9 offset:128
	s_waitcnt lgkmcnt(0)
	v_add_f32_e32 v5, v5, v9
.LBB149_74:
	s_or_b64 exec, exec, s[2:3]
	v_or_b32_e32 v9, 48, v0
	s_movk_i32 s6, 0x78
	v_cmp_gt_u32_e64 s[2:3], s6, v9
	s_and_b64 s[12:13], vcc, s[2:3]
	s_and_saveexec_b64 s[2:3], s[12:13]
	s_cbranch_execz .LBB149_76
; %bb.75:
	v_mov_b32_e32 v9, 0x100
	v_lshl_add_u32 v9, v0, 2, v9
	ds_read_b32 v9, v9 offset:192
	s_waitcnt lgkmcnt(0)
	v_add_f32_e32 v6, v6, v9
.LBB149_76:
	s_or_b64 exec, exec, s[2:3]
	v_or_b32_e32 v9, 64, v0
	v_cmp_gt_u32_e64 s[2:3], s6, v9
	s_and_b64 s[6:7], vcc, s[2:3]
	s_and_saveexec_b64 s[2:3], s[6:7]
	s_cbranch_execz .LBB149_78
; %bb.77:
	v_mov_b32_e32 v9, 0x100
	v_lshl_add_u32 v9, v0, 2, v9
	ds_read_b32 v9, v9 offset:256
	s_waitcnt lgkmcnt(0)
	v_add_f32_e32 v4, v4, v9
.LBB149_78:
	;; [unrolled: 27-line block ×3, first 2 shown]
	s_or_b64 exec, exec, s[2:3]
	v_or_b32_e32 v9, 0x70, v0
	s_movk_i32 s2, 0x78
	v_cmp_gt_u32_e64 s[2:3], s2, v9
	s_and_b64 s[6:7], vcc, s[2:3]
	s_and_saveexec_b64 s[2:3], s[6:7]
	s_cbranch_execz .LBB149_84
; %bb.83:
	v_mov_b32_e32 v9, 0x100
	v_lshl_add_u32 v9, v0, 2, v9
	ds_read_b32 v9, v9 offset:448
	s_waitcnt lgkmcnt(0)
	v_add_f32_e32 v1, v1, v9
.LBB149_84:
	s_or_b64 exec, exec, s[2:3]
.LBB149_85:
	s_or_b64 exec, exec, s[4:5]
	s_barrier
	s_and_saveexec_b64 s[2:3], s[0:1]
	s_cbranch_execz .LBB149_102
; %bb.86:
	s_mul_i32 s0, s10, s11
	s_mul_i32 s0, s0, s9
	s_mulk_i32 s0, 0x78
	s_ashr_i32 s1, s0, 31
	s_lshl_b64 s[0:1], s[0:1], 1
	s_add_u32 s2, s22, s0
	s_mul_i32 s0, s11, s20
	s_addc_u32 s3, s23, s1
	s_ashr_i32 s1, s0, 31
	s_lshl_b64 s[0:1], s[0:1], 1
	s_add_u32 s2, s2, s0
	s_mul_i32 s0, s8, 0x78
	s_addc_u32 s3, s3, s1
	s_ashr_i32 s1, s0, 31
	s_lshl_b64 s[0:1], s[0:1], 1
	s_add_u32 s2, s2, s0
	s_movk_i32 s6, 0x78
	s_addc_u32 s3, s3, s1
	v_lshlrev_b32_e32 v9, 1, v0
	s_and_saveexec_b64 s[4:5], vcc
	s_cbranch_execz .LBB149_88
; %bb.87:
	v_bfe_u32 v10, v8, 16, 1
	s_movk_i32 s0, 0x7fff
	v_add3_u32 v10, v10, v8, s0
	v_or_b32_e32 v11, 0x400000, v8
	v_cmp_u_f32_e64 s[0:1], v8, v8
	v_cndmask_b32_e64 v8, v10, v11, s[0:1]
	global_store_short_d16_hi v9, v8, s[2:3]
.LBB149_88:
	s_or_b64 exec, exec, s[4:5]
	v_or_b32_e32 v8, 16, v0
	v_cmp_gt_u32_e64 s[0:1], s6, v8
	s_and_b64 s[0:1], vcc, s[0:1]
	s_and_saveexec_b64 s[4:5], s[0:1]
	s_cbranch_execz .LBB149_90
; %bb.89:
	v_bfe_u32 v8, v7, 16, 1
	s_movk_i32 s0, 0x7fff
	v_add3_u32 v8, v8, v7, s0
	v_or_b32_e32 v10, 0x400000, v7
	v_cmp_u_f32_e64 s[0:1], v7, v7
	v_cndmask_b32_e64 v7, v8, v10, s[0:1]
	global_store_short_d16_hi v9, v7, s[2:3] offset:32
.LBB149_90:
	s_or_b64 exec, exec, s[4:5]
	v_or_b32_e32 v7, 32, v0
	v_cmp_gt_u32_e64 s[0:1], s6, v7
	s_and_b64 s[0:1], vcc, s[0:1]
	s_and_saveexec_b64 s[4:5], s[0:1]
	s_cbranch_execz .LBB149_92
; %bb.91:
	v_bfe_u32 v7, v5, 16, 1
	s_movk_i32 s0, 0x7fff
	v_add3_u32 v7, v7, v5, s0
	v_or_b32_e32 v8, 0x400000, v5
	v_cmp_u_f32_e64 s[0:1], v5, v5
	v_cndmask_b32_e64 v5, v7, v8, s[0:1]
	global_store_short_d16_hi v9, v5, s[2:3] offset:64
.LBB149_92:
	;; [unrolled: 15-line block ×6, first 2 shown]
	s_or_b64 exec, exec, s[4:5]
	v_or_b32_e32 v0, 0x70, v0
	v_cmp_gt_u32_e64 s[0:1], s6, v0
	s_and_b64 s[0:1], vcc, s[0:1]
	s_and_b64 exec, exec, s[0:1]
	s_cbranch_execz .LBB149_102
; %bb.101:
	v_bfe_u32 v0, v1, 16, 1
	s_movk_i32 s0, 0x7fff
	v_add3_u32 v0, v0, v1, s0
	v_or_b32_e32 v2, 0x400000, v1
	v_cmp_u_f32_e32 vcc, v1, v1
	v_cndmask_b32_e32 v0, v0, v2, vcc
	global_store_short_d16_hi v9, v0, s[2:3] offset:224
.LBB149_102:
	s_endpgm
	.section	.rodata,"a",@progbits
	.p2align	6, 0x0
	.amdhsa_kernel _ZN4vllm25paged_attention_v1_kernelI14__hip_bfloat16S1_Li120ELi32ELi128ELNS_18Fp8KVCacheDataTypeE0ELb1EEEvPT_PKS3_PKT0_S9_ifPKiSB_iPKfiiiSD_SD_iiiii
		.amdhsa_group_segment_fixed_size 256
		.amdhsa_private_segment_fixed_size 52
		.amdhsa_kernarg_size 384
		.amdhsa_user_sgpr_count 6
		.amdhsa_user_sgpr_private_segment_buffer 1
		.amdhsa_user_sgpr_dispatch_ptr 0
		.amdhsa_user_sgpr_queue_ptr 0
		.amdhsa_user_sgpr_kernarg_segment_ptr 1
		.amdhsa_user_sgpr_dispatch_id 0
		.amdhsa_user_sgpr_flat_scratch_init 0
		.amdhsa_user_sgpr_private_segment_size 0
		.amdhsa_uses_dynamic_stack 0
		.amdhsa_system_sgpr_private_segment_wavefront_offset 1
		.amdhsa_system_sgpr_workgroup_id_x 1
		.amdhsa_system_sgpr_workgroup_id_y 1
		.amdhsa_system_sgpr_workgroup_id_z 1
		.amdhsa_system_sgpr_workgroup_info 0
		.amdhsa_system_vgpr_workitem_id 0
		.amdhsa_next_free_vgpr 64
		.amdhsa_next_free_sgpr 52
		.amdhsa_reserve_vcc 1
		.amdhsa_reserve_flat_scratch 0
		.amdhsa_float_round_mode_32 0
		.amdhsa_float_round_mode_16_64 0
		.amdhsa_float_denorm_mode_32 3
		.amdhsa_float_denorm_mode_16_64 3
		.amdhsa_dx10_clamp 1
		.amdhsa_ieee_mode 1
		.amdhsa_fp16_overflow 0
		.amdhsa_exception_fp_ieee_invalid_op 0
		.amdhsa_exception_fp_denorm_src 0
		.amdhsa_exception_fp_ieee_div_zero 0
		.amdhsa_exception_fp_ieee_overflow 0
		.amdhsa_exception_fp_ieee_underflow 0
		.amdhsa_exception_fp_ieee_inexact 0
		.amdhsa_exception_int_div_zero 0
	.end_amdhsa_kernel
	.section	.text._ZN4vllm25paged_attention_v1_kernelI14__hip_bfloat16S1_Li120ELi32ELi128ELNS_18Fp8KVCacheDataTypeE0ELb1EEEvPT_PKS3_PKT0_S9_ifPKiSB_iPKfiiiSD_SD_iiiii,"axG",@progbits,_ZN4vllm25paged_attention_v1_kernelI14__hip_bfloat16S1_Li120ELi32ELi128ELNS_18Fp8KVCacheDataTypeE0ELb1EEEvPT_PKS3_PKT0_S9_ifPKiSB_iPKfiiiSD_SD_iiiii,comdat
.Lfunc_end149:
	.size	_ZN4vllm25paged_attention_v1_kernelI14__hip_bfloat16S1_Li120ELi32ELi128ELNS_18Fp8KVCacheDataTypeE0ELb1EEEvPT_PKS3_PKT0_S9_ifPKiSB_iPKfiiiSD_SD_iiiii, .Lfunc_end149-_ZN4vllm25paged_attention_v1_kernelI14__hip_bfloat16S1_Li120ELi32ELi128ELNS_18Fp8KVCacheDataTypeE0ELb1EEEvPT_PKS3_PKT0_S9_ifPKiSB_iPKfiiiSD_SD_iiiii
                                        ; -- End function
	.set _ZN4vllm25paged_attention_v1_kernelI14__hip_bfloat16S1_Li120ELi32ELi128ELNS_18Fp8KVCacheDataTypeE0ELb1EEEvPT_PKS3_PKT0_S9_ifPKiSB_iPKfiiiSD_SD_iiiii.num_vgpr, 64
	.set _ZN4vllm25paged_attention_v1_kernelI14__hip_bfloat16S1_Li120ELi32ELi128ELNS_18Fp8KVCacheDataTypeE0ELb1EEEvPT_PKS3_PKT0_S9_ifPKiSB_iPKfiiiSD_SD_iiiii.num_agpr, 0
	.set _ZN4vllm25paged_attention_v1_kernelI14__hip_bfloat16S1_Li120ELi32ELi128ELNS_18Fp8KVCacheDataTypeE0ELb1EEEvPT_PKS3_PKT0_S9_ifPKiSB_iPKfiiiSD_SD_iiiii.numbered_sgpr, 52
	.set _ZN4vllm25paged_attention_v1_kernelI14__hip_bfloat16S1_Li120ELi32ELi128ELNS_18Fp8KVCacheDataTypeE0ELb1EEEvPT_PKS3_PKT0_S9_ifPKiSB_iPKfiiiSD_SD_iiiii.num_named_barrier, 0
	.set _ZN4vllm25paged_attention_v1_kernelI14__hip_bfloat16S1_Li120ELi32ELi128ELNS_18Fp8KVCacheDataTypeE0ELb1EEEvPT_PKS3_PKT0_S9_ifPKiSB_iPKfiiiSD_SD_iiiii.private_seg_size, 52
	.set _ZN4vllm25paged_attention_v1_kernelI14__hip_bfloat16S1_Li120ELi32ELi128ELNS_18Fp8KVCacheDataTypeE0ELb1EEEvPT_PKS3_PKT0_S9_ifPKiSB_iPKfiiiSD_SD_iiiii.uses_vcc, 1
	.set _ZN4vllm25paged_attention_v1_kernelI14__hip_bfloat16S1_Li120ELi32ELi128ELNS_18Fp8KVCacheDataTypeE0ELb1EEEvPT_PKS3_PKT0_S9_ifPKiSB_iPKfiiiSD_SD_iiiii.uses_flat_scratch, 0
	.set _ZN4vllm25paged_attention_v1_kernelI14__hip_bfloat16S1_Li120ELi32ELi128ELNS_18Fp8KVCacheDataTypeE0ELb1EEEvPT_PKS3_PKT0_S9_ifPKiSB_iPKfiiiSD_SD_iiiii.has_dyn_sized_stack, 0
	.set _ZN4vllm25paged_attention_v1_kernelI14__hip_bfloat16S1_Li120ELi32ELi128ELNS_18Fp8KVCacheDataTypeE0ELb1EEEvPT_PKS3_PKT0_S9_ifPKiSB_iPKfiiiSD_SD_iiiii.has_recursion, 0
	.set _ZN4vllm25paged_attention_v1_kernelI14__hip_bfloat16S1_Li120ELi32ELi128ELNS_18Fp8KVCacheDataTypeE0ELb1EEEvPT_PKS3_PKT0_S9_ifPKiSB_iPKfiiiSD_SD_iiiii.has_indirect_call, 0
	.section	.AMDGPU.csdata,"",@progbits
; Kernel info:
; codeLenInByte = 11660
; TotalNumSgprs: 56
; NumVgprs: 64
; ScratchSize: 52
; MemoryBound: 0
; FloatMode: 240
; IeeeMode: 1
; LDSByteSize: 256 bytes/workgroup (compile time only)
; SGPRBlocks: 6
; VGPRBlocks: 15
; NumSGPRsForWavesPerEU: 56
; NumVGPRsForWavesPerEU: 64
; Occupancy: 4
; WaveLimiterHint : 1
; COMPUTE_PGM_RSRC2:SCRATCH_EN: 1
; COMPUTE_PGM_RSRC2:USER_SGPR: 6
; COMPUTE_PGM_RSRC2:TRAP_HANDLER: 0
; COMPUTE_PGM_RSRC2:TGID_X_EN: 1
; COMPUTE_PGM_RSRC2:TGID_Y_EN: 1
; COMPUTE_PGM_RSRC2:TGID_Z_EN: 1
; COMPUTE_PGM_RSRC2:TIDIG_COMP_CNT: 0
	.section	.text._ZN4vllm25paged_attention_v1_kernelI14__hip_bfloat16S1_Li128ELi32ELi128ELNS_18Fp8KVCacheDataTypeE0ELb1EEEvPT_PKS3_PKT0_S9_ifPKiSB_iPKfiiiSD_SD_iiiii,"axG",@progbits,_ZN4vllm25paged_attention_v1_kernelI14__hip_bfloat16S1_Li128ELi32ELi128ELNS_18Fp8KVCacheDataTypeE0ELb1EEEvPT_PKS3_PKT0_S9_ifPKiSB_iPKfiiiSD_SD_iiiii,comdat
	.protected	_ZN4vllm25paged_attention_v1_kernelI14__hip_bfloat16S1_Li128ELi32ELi128ELNS_18Fp8KVCacheDataTypeE0ELb1EEEvPT_PKS3_PKT0_S9_ifPKiSB_iPKfiiiSD_SD_iiiii ; -- Begin function _ZN4vllm25paged_attention_v1_kernelI14__hip_bfloat16S1_Li128ELi32ELi128ELNS_18Fp8KVCacheDataTypeE0ELb1EEEvPT_PKS3_PKT0_S9_ifPKiSB_iPKfiiiSD_SD_iiiii
	.globl	_ZN4vllm25paged_attention_v1_kernelI14__hip_bfloat16S1_Li128ELi32ELi128ELNS_18Fp8KVCacheDataTypeE0ELb1EEEvPT_PKS3_PKT0_S9_ifPKiSB_iPKfiiiSD_SD_iiiii
	.p2align	8
	.type	_ZN4vllm25paged_attention_v1_kernelI14__hip_bfloat16S1_Li128ELi32ELi128ELNS_18Fp8KVCacheDataTypeE0ELb1EEEvPT_PKS3_PKT0_S9_ifPKiSB_iPKfiiiSD_SD_iiiii,@function
_ZN4vllm25paged_attention_v1_kernelI14__hip_bfloat16S1_Li128ELi32ELi128ELNS_18Fp8KVCacheDataTypeE0ELb1EEEvPT_PKS3_PKT0_S9_ifPKiSB_iPKfiiiSD_SD_iiiii: ; @_ZN4vllm25paged_attention_v1_kernelI14__hip_bfloat16S1_Li128ELi32ELi128ELNS_18Fp8KVCacheDataTypeE0ELb1EEEvPT_PKS3_PKT0_S9_ifPKiSB_iPKfiiiSD_SD_iiiii
; %bb.0:
	s_mov_b64 s[50:51], s[2:3]
	s_mov_b64 s[48:49], s[0:1]
	s_add_u32 s48, s48, s9
	s_addc_u32 s49, s49, 0
	buffer_store_dword v0, off, s[48:51], 0 offset:24 ; 4-byte Folded Spill
	s_load_dword s9, s[4:5], 0x80
	s_load_dwordx2 s[0:1], s[4:5], 0x30
	s_load_dwordx2 s[30:31], s[4:5], 0x20
	s_mov_b32 s10, s7
	s_ashr_i32 s11, s7, 31
	s_lshl_b64 s[2:3], s[10:11], 2
	s_waitcnt lgkmcnt(0)
	s_add_u32 s0, s0, s2
	s_addc_u32 s1, s1, s3
	s_abs_i32 s2, s30
	v_cvt_f32_u32_e32 v0, s2
	s_sub_i32 s11, 0, s2
	s_abs_i32 s7, s9
	s_xor_b32 s3, s9, s30
	v_rcp_iflag_f32_e32 v0, v0
	s_ashr_i32 s3, s3, 31
	s_mov_b32 s42, 0
	v_mul_f32_e32 v0, 0x4f7ffffe, v0
	v_cvt_u32_f32_e32 v0, v0
	v_readfirstlane_b32 s12, v0
	s_mul_i32 s11, s11, s12
	s_mul_hi_u32 s11, s12, s11
	s_add_i32 s12, s12, s11
	s_mul_hi_u32 s11, s7, s12
	s_mul_i32 s12, s11, s2
	s_sub_i32 s7, s7, s12
	s_add_i32 s12, s11, 1
	s_sub_i32 s13, s7, s2
	s_cmp_ge_u32 s7, s2
	s_cselect_b32 s11, s12, s11
	s_cselect_b32 s7, s13, s7
	s_add_i32 s12, s11, 1
	s_cmp_ge_u32 s7, s2
	s_cselect_b32 s2, s12, s11
	s_xor_b32 s2, s2, s3
	s_sub_i32 s12, s2, s3
	s_abs_i32 s11, s12
	v_cvt_f32_u32_e32 v0, s11
	s_load_dwordx2 s[2:3], s[4:5], 0x40
	s_sub_i32 s7, 0, s11
	s_abs_i32 s22, s6
	v_rcp_iflag_f32_e32 v0, v0
	v_mul_f32_e32 v0, 0x4f7ffffe, v0
	v_cvt_u32_f32_e32 v0, v0
	v_readfirstlane_b32 s13, v0
	s_mul_i32 s7, s7, s13
	s_mul_hi_u32 s7, s13, s7
	s_add_i32 s13, s13, s7
	s_waitcnt lgkmcnt(0)
	s_cmp_eq_u64 s[2:3], 0
	s_mul_hi_u32 s23, s22, s13
	s_cbranch_scc1 .LBB150_2
; %bb.1:
	s_ashr_i32 s7, s6, 31
	s_lshl_b64 s[14:15], s[6:7], 2
	s_add_u32 s2, s2, s14
	s_addc_u32 s3, s3, s15
	s_load_dword s42, s[2:3], 0x0
.LBB150_2:
	buffer_load_dword v1, off, s[48:51], 0 offset:24 ; 4-byte Folded Reload
	s_load_dword s33, s[0:1], 0x0
	s_ashr_i32 s7, s12, 31
	s_load_dwordx4 s[12:15], s[4:5], 0x48
	s_ashr_i32 s2, s6, 31
	s_lshl_b32 s20, s6, 7
	s_waitcnt vmcnt(0)
	v_and_b32_e32 v0, 1, v1
	v_cmp_gt_u32_e32 vcc, 32, v1
	v_lshlrev_b32_e32 v13, 3, v1
	s_and_saveexec_b64 s[0:1], vcc
	s_cbranch_execz .LBB150_4
; %bb.3:
	s_load_dwordx2 s[16:17], s[4:5], 0x8
	s_waitcnt lgkmcnt(0)
	s_mul_i32 s18, s12, s10
	s_ashr_i32 s19, s18, 31
	s_lshl_b64 s[18:19], s[18:19], 1
	buffer_load_dword v3, off, s[48:51], 0 offset:24 ; 4-byte Folded Reload
	s_add_u32 s3, s16, s18
	s_addc_u32 s12, s17, s19
	s_ashr_i32 s21, s20, 31
	s_lshl_b64 s[16:17], s[20:21], 1
	s_add_u32 s16, s3, s16
	s_addc_u32 s17, s12, s17
	global_load_dwordx2 v[1:2], v13, s[16:17]
	s_waitcnt vmcnt(1)
	v_lshlrev_b32_e32 v3, 2, v3
	v_and_b32_e32 v3, 0xff8, v3
	v_lshl_add_u32 v3, v0, 7, v3
	s_waitcnt vmcnt(0)
	ds_write_b64 v3, v[1:2]
.LBB150_4:
	s_or_b64 exec, exec, s[0:1]
	s_mul_i32 s1, s23, s11
	s_sub_i32 s1, s22, s1
	s_xor_b32 s0, s2, s7
	s_add_i32 s2, s23, 1
	s_sub_i32 s7, s1, s11
	s_load_dwordx4 s[16:19], s[4:5], 0x68
	s_load_dword s3, s[4:5], 0x78
	s_cmp_ge_u32 s1, s11
	s_cselect_b32 s2, s2, s23
	s_cselect_b32 s1, s7, s1
	s_add_i32 s7, s2, 1
	s_cmp_ge_u32 s1, s11
	s_cselect_b32 s1, s7, s2
	s_waitcnt lgkmcnt(0)
	s_abs_i32 s21, s19
	v_cvt_f32_u32_e32 v1, s21
	s_xor_b32 s1, s1, s0
	s_sub_i32 s2, s1, s0
	s_sub_i32 s0, 0, s21
	v_rcp_iflag_f32_e32 v1, v1
	s_add_i32 s11, s33, -1
	s_abs_i32 s7, s11
	v_mul_f32_e32 v1, 0x4f7ffffe, v1
	v_cvt_u32_f32_e32 v1, v1
	s_barrier
	v_readfirstlane_b32 s40, v1
	s_mul_i32 s0, s0, s40
	s_mul_hi_u32 s0, s40, s0
	s_add_i32 s40, s40, s0
	s_cmp_lt_i32 s3, 0
	s_mul_hi_u32 s12, s7, s40
	s_cbranch_scc0 .LBB150_6
; %bb.5:
	s_mul_i32 s0, s16, s30
	s_add_i32 s0, s2, s0
	s_mul_i32 s0, s0, s3
	s_sub_i32 s41, 1, s0
	s_mov_b64 s[0:1], 0
	s_branch .LBB150_7
.LBB150_6:
	s_mov_b64 s[0:1], -1
                                        ; implicit-def: $sgpr41
.LBB150_7:
	s_load_dwordx2 s[24:25], s[4:5], 0x28
	s_ashr_i32 s15, s11, 31
	s_andn2_b64 vcc, exec, s[0:1]
	s_ashr_i32 s19, s19, 31
	s_cbranch_vccnz .LBB150_9
; %bb.8:
	s_mul_i32 s0, s9, s16
	s_add_i32 s0, s0, s6
	s_mul_i32 s0, s0, s3
	s_add_i32 s41, s0, 1
.LBB150_9:
	s_load_dword s0, s[4:5], 0x38
	s_load_dwordx2 s[22:23], s[4:5], 0x0
	s_load_dwordx2 s[28:29], s[4:5], 0x18
	s_load_dword s11, s[4:5], 0x88
	buffer_load_dword v1, off, s[48:51], 0 offset:24 ; 4-byte Folded Reload
	s_waitcnt lgkmcnt(0)
	s_mul_i32 s26, s0, s10
	s_mul_i32 s0, s12, s21
	s_sub_i32 s0, s7, s0
	s_xor_b32 s1, s15, s19
	s_ashr_i32 s27, s26, 31
	s_add_i32 s3, s12, 1
	s_sub_i32 s6, s0, s21
	s_cmp_ge_u32 s0, s21
	s_cselect_b32 s3, s3, s12
	s_cselect_b32 s0, s6, s0
	s_add_i32 s6, s3, 1
	s_cmp_ge_u32 s0, s21
	s_cselect_b32 s0, s6, s3
	s_xor_b32 s0, s0, s1
	s_sub_i32 s12, s0, s1
	s_add_i32 s0, s33, 31
	s_ashr_i32 s1, s0, 31
	s_lshr_b32 s1, s1, 27
	s_add_i32 s0, s0, s1
	s_ashr_i32 s16, s0, 5
	v_mov_b32_e32 v3, 0xff7fffff
	s_mul_i32 s14, s2, s14
	v_mbcnt_lo_u32_b32 v7, -1, 0
	s_waitcnt vmcnt(0)
	v_lshrrev_b32_e32 v61, 6, v1
	v_cmp_gt_i32_e64 s[0:1], s16, v61
	v_lshrrev_b32_e32 v17, 4, v1
	v_lshlrev_b32_e32 v1, 5, v61
	buffer_store_dword v1, off, s[48:51], 0 offset:68 ; 4-byte Folded Spill
	s_and_saveexec_b64 s[34:35], s[0:1]
	s_cbranch_execz .LBB150_21
; %bb.10:
	buffer_load_dword v2, off, s[48:51], 0 offset:24 ; 4-byte Folded Reload
	s_load_dwordx2 s[2:3], s[4:5], 0x10
	s_ashr_i32 s15, s14, 31
	s_sub_i32 s30, s12, s17
	s_lshl_b64 s[4:5], s[14:15], 1
	v_cmp_eq_u32_e32 vcc, 0, v0
	s_waitcnt lgkmcnt(0)
	s_add_u32 s2, s2, s4
	s_addc_u32 s3, s3, s5
	s_abs_i32 s15, s18
	v_cvt_f32_u32_e32 v1, s15
	v_mov_b32_e32 v4, s3
	s_sub_i32 s3, 0, s15
	s_lshl_b64 s[4:5], s[26:27], 2
	v_rcp_iflag_f32_e32 v1, v1
	s_add_u32 s4, s24, s4
	v_lshlrev_b32_e32 v31, 7, v0
	v_and_b32_e32 v0, 60, v17
	v_mul_f32_e32 v1, 0x4f7ffffe, v1
	v_cvt_u32_f32_e32 v1, v1
	s_addc_u32 s5, s25, s5
	buffer_store_dword v13, off, s[48:51], 0 offset:72 ; 4-byte Folded Spill
	buffer_store_dword v17, off, s[48:51], 0 offset:76 ; 4-byte Folded Spill
	v_mul_lo_u32 v5, s3, v1
	s_mov_b32 s43, s13
	v_lshlrev_b32_e32 v32, 5, v61
	s_mov_b64 s[36:37], 0
	v_mul_hi_u32 v5, v1, v5
	s_movk_i32 s44, 0x1000
	v_mov_b32_e32 v38, v61
	s_waitcnt vmcnt(2)
	v_bfe_u32 v8, v2, 1, 5
	v_lshlrev_b32_e32 v3, 4, v8
	v_add_co_u32_e64 v3, s[2:3], s2, v3
	v_and_b32_e32 v2, 8, v13
	v_addc_co_u32_e64 v4, s[2:3], 0, v4, s[2:3]
	v_add_co_u32_e64 v2, s[2:3], v3, v2
	buffer_store_dword v2, off, s[48:51], 0 offset:36 ; 4-byte Folded Spill
	v_addc_co_u32_e64 v2, s[2:3], 0, v4, s[2:3]
	v_add_u32_e32 v4, v1, v5
	v_mov_b32_e32 v1, s5
	v_add_co_u32_e64 v5, s[4:5], s4, v0
	v_subrev_u32_e32 v0, s33, v8
	v_add_u32_e32 v0, 1, v0
	buffer_store_dword v2, off, s[48:51], 0 offset:40 ; 4-byte Folded Spill
	buffer_store_dword v0, off, s[48:51], 0 offset:64 ; 4-byte Folded Spill
	;; [unrolled: 1-line block ×3, first 2 shown]
	v_lshlrev_b32_e32 v0, 2, v8
	v_lshl_or_b32 v0, v61, 7, v0
	v_add_u32_e32 v34, 0x110, v0
	v_mbcnt_hi_u32_b32 v0, -1, v7
	v_addc_co_u32_e64 v6, s[4:5], 0, v1, s[4:5]
	v_xor_b32_e32 v1, 1, v0
	buffer_store_dword v1, off, s[48:51], 0 offset:52 ; 4-byte Folded Spill
	buffer_store_dword v0, off, s[48:51], 0 offset:48 ; 4-byte Folded Spill
	v_and_b32_e32 v0, 64, v0
	v_add_u32_e32 v0, 64, v0
	v_cmp_neq_f32_e64 s[2:3], s42, 0
	buffer_store_dword v0, off, s[48:51], 0 offset:56 ; 4-byte Folded Spill
	v_mov_b32_e32 v0, 0xff7fffff
	buffer_store_dword v0, off, s[48:51], 0 offset:28 ; 4-byte Folded Spill
	buffer_store_dword v61, off, s[48:51], 0 offset:32 ; 4-byte Folded Spill
	;; [unrolled: 1-line block ×3, first 2 shown]
	s_branch .LBB150_13
.LBB150_11:                             ;   in Loop: Header=BB150_13 Depth=1
	s_or_b64 exec, exec, s[38:39]
	buffer_load_dword v61, off, s[48:51], 0 offset:32 ; 4-byte Folded Reload
	buffer_load_dword v4, off, s[48:51], 0 offset:44 ; 4-byte Folded Reload
.LBB150_12:                             ;   in Loop: Header=BB150_13 Depth=1
	s_or_b64 exec, exec, s[6:7]
	v_add_co_u32_e64 v5, s[4:5], 8, v5
	v_add_u32_e32 v38, 2, v38
	v_addc_co_u32_e64 v6, s[4:5], 0, v6, s[4:5]
	v_cmp_le_i32_e64 s[4:5], s16, v38
	v_add_u32_e32 v32, 64, v32
	s_or_b64 s[36:37], s[4:5], s[36:37]
	v_add_u32_e32 v34, 0x100, v34
	s_andn2_b64 exec, exec, s[36:37]
	s_cbranch_execz .LBB150_20
.LBB150_13:                             ; =>This Inner Loop Header: Depth=1
	v_mul_hi_u32 v0, v32, s40
	s_waitcnt lgkmcnt(0)
	v_mul_lo_u32 v1, v0, s21
	v_add_u32_e32 v2, 1, v0
	v_sub_u32_e32 v1, v32, v1
	v_cmp_le_u32_e64 s[4:5], s21, v1
	v_cndmask_b32_e64 v0, v0, v2, s[4:5]
	v_subrev_u32_e32 v2, s21, v1
	v_cndmask_b32_e64 v1, v1, v2, s[4:5]
	v_add_u32_e32 v2, 1, v0
	v_cmp_le_u32_e64 s[4:5], s21, v1
	v_cndmask_b32_e64 v0, v0, v2, s[4:5]
	v_xor_b32_e32 v0, s19, v0
	v_subrev_u32_e32 v0, s19, v0
	v_add_u32_e32 v1, s41, v0
	v_sub_u32_e32 v2, 0, v1
	v_max_i32_e32 v2, v1, v2
	s_waitcnt vmcnt(0)
	v_mul_hi_u32 v3, v2, v4
	v_ashrrev_i32_e32 v1, 31, v1
	v_cmp_ge_i32_e64 s[6:7], s30, v0
	v_mul_lo_u32 v3, v3, s15
	v_sub_u32_e32 v2, v2, v3
	v_subrev_u32_e32 v3, s15, v2
	v_cmp_le_u32_e64 s[4:5], s15, v2
	v_cndmask_b32_e64 v2, v2, v3, s[4:5]
	v_subrev_u32_e32 v3, s15, v2
	v_cmp_le_u32_e64 s[4:5], s15, v2
	v_cndmask_b32_e64 v2, v2, v3, s[4:5]
	v_xor_b32_e32 v2, v2, v1
	v_sub_u32_e32 v1, v2, v1
	v_cmp_ne_u32_e64 s[4:5], 0, v1
	s_and_b64 s[4:5], s[4:5], s[6:7]
	s_and_saveexec_b64 s[6:7], s[4:5]
	s_xor_b64 s[4:5], exec, s[6:7]
	s_cbranch_execz .LBB150_17
; %bb.14:                               ;   in Loop: Header=BB150_13 Depth=1
	s_and_saveexec_b64 s[6:7], vcc
; %bb.15:                               ;   in Loop: Header=BB150_13 Depth=1
	v_mov_b32_e32 v0, 0xff7fffff
	ds_write_b32 v34, v0
; %bb.16:                               ;   in Loop: Header=BB150_13 Depth=1
	s_or_b64 exec, exec, s[6:7]
.LBB150_17:                             ;   in Loop: Header=BB150_13 Depth=1
	s_andn2_saveexec_b64 s[6:7], s[4:5]
	s_cbranch_execz .LBB150_12
; %bb.18:                               ;   in Loop: Header=BB150_13 Depth=1
	ds_read_b128 v[7:10], v31
	ds_read_b128 v[11:14], v31 offset:16
	ds_read_b128 v[45:48], v31 offset:64
	;; [unrolled: 1-line block ×4, first 2 shown]
	s_waitcnt lgkmcnt(4)
	v_lshlrev_b32_e32 v3, 16, v7
	v_lshlrev_b32_e32 v1, 16, v8
	v_lshlrev_b32_e32 v4, 16, v9
	v_lshlrev_b32_e32 v2, 16, v10
	v_and_b32_e32 v41, 0xffff0000, v7
	v_and_b32_e32 v35, 0xffff0000, v8
	;; [unrolled: 1-line block ×4, first 2 shown]
	ds_read_b128 v[7:10], v31 offset:32
	ds_read_b128 v[21:24], v31 offset:48
	s_waitcnt lgkmcnt(5)
	v_lshlrev_b32_e32 v37, 16, v12
	v_and_b32_e32 v49, 0xffff0000, v12
	s_waitcnt lgkmcnt(4)
	v_lshlrev_b32_e32 v25, 16, v46
	s_waitcnt lgkmcnt(1)
	v_lshlrev_b32_e32 v56, 16, v7
	;; [unrolled: 2-line block ×3, first 2 shown]
	v_and_b32_e32 v18, 0xffff0000, v21
	v_lshlrev_b32_e32 v21, 16, v47
	buffer_store_dword v21, off, s[48:51], 0 offset:20 ; 4-byte Folded Spill
	v_lshlrev_b32_e32 v21, 16, v48
	buffer_store_dword v21, off, s[48:51], 0 ; 4-byte Folded Spill
	v_and_b32_e32 v21, 0xffff0000, v47
	buffer_store_dword v21, off, s[48:51], 0 offset:8 ; 4-byte Folded Spill
	v_and_b32_e32 v21, 0xffff0000, v48
	buffer_store_dword v21, off, s[48:51], 0 offset:4 ; 4-byte Folded Spill
	v_lshlrev_b32_e32 v21, 16, v30
	buffer_store_dword v21, off, s[48:51], 0 offset:16 ; 4-byte Folded Spill
	v_and_b32_e32 v21, 0xffff0000, v30
	buffer_store_dword v21, off, s[48:51], 0 offset:12 ; 4-byte Folded Spill
	global_load_dword v21, v[5:6], off
	v_lshlrev_b32_e32 v17, 16, v9
	v_and_b32_e32 v44, 0xffff0000, v7
	v_and_b32_e32 v19, 0xffff0000, v9
	v_lshlrev_b32_e32 v7, 16, v24
	v_and_b32_e32 v9, 0xffff0000, v24
	v_and_b32_e32 v24, 0xffff0000, v46
	v_lshlrev_b32_e32 v57, 16, v55
	v_and_b32_e32 v46, 0xffff0000, v55
	v_lshlrev_b32_e32 v55, 16, v27
	v_and_b32_e32 v47, 0xffff0000, v27
	buffer_load_dword v27, off, s[48:51], 0 offset:36 ; 4-byte Folded Reload
	v_lshlrev_b32_e32 v20, 16, v13
	v_lshlrev_b32_e32 v16, 16, v14
	v_and_b32_e32 v50, 0xffff0000, v13
	v_and_b32_e32 v51, 0xffff0000, v14
	v_lshlrev_b32_e32 v14, 16, v10
	v_and_b32_e32 v13, 0xffff0000, v10
	v_lshlrev_b32_e32 v10, 16, v22
	;; [unrolled: 2-line block ×3, first 2 shown]
	v_lshlrev_b32_e32 v59, 16, v54
	v_and_b32_e32 v62, 0xffff0000, v53
	v_and_b32_e32 v60, 0xffff0000, v54
	v_lshlrev_b32_e32 v53, 16, v28
	v_and_b32_e32 v54, 0xffff0000, v28
	v_lshlrev_b32_e32 v0, 16, v11
	;; [unrolled: 2-line block ×7, first 2 shown]
	v_and_b32_e32 v33, 0xffff0000, v45
	s_waitcnt vmcnt(1)
	v_mad_i64_i32 v[21:22], s[4:5], v21, s43, 0
	v_lshlrev_b64 v[21:22], 1, v[21:22]
	s_waitcnt vmcnt(0)
	v_add_co_u32_e64 v21, s[4:5], v27, v21
	buffer_load_dword v27, off, s[48:51], 0 offset:40 ; 4-byte Folded Reload
	s_waitcnt vmcnt(0)
	v_addc_co_u32_e64 v22, s[4:5], v27, v22, s[4:5]
	global_load_dwordx2 v[27:28], v[21:22], off offset:512
	s_waitcnt vmcnt(0)
	v_lshlrev_b32_e32 v29, 16, v27
	v_mul_f32_e32 v39, v4, v29
	global_load_dwordx2 v[29:30], v[21:22], off
	s_waitcnt vmcnt(0)
	v_lshlrev_b32_e32 v4, 16, v29
	v_fmac_f32_e32 v39, v3, v4
	v_and_b32_e32 v3, 0xffff0000, v27
	v_mul_f32_e32 v40, v40, v3
	v_and_b32_e32 v3, 0xffff0000, v29
	v_fmac_f32_e32 v40, v41, v3
	v_lshlrev_b32_e32 v3, 16, v28
	v_mul_f32_e32 v41, v2, v3
	v_lshlrev_b32_e32 v2, 16, v30
	v_fmac_f32_e32 v41, v1, v2
	v_and_b32_e32 v2, 0xffff0000, v28
	v_and_b32_e32 v1, 0xffff0000, v30
	v_mul_f32_e32 v45, v36, v2
	v_fmac_f32_e32 v45, v35, v1
	global_load_dwordx2 v[1:2], v[21:22], off offset:1024
	global_load_dwordx2 v[29:30], v[21:22], off offset:3584
	v_add_co_u32_e64 v27, s[4:5], s44, v21
	v_addc_co_u32_e64 v28, s[4:5], 0, v22, s[4:5]
	s_waitcnt vmcnt(1)
	v_lshlrev_b32_e32 v3, 16, v1
	v_fmac_f32_e32 v39, v0, v3
	v_and_b32_e32 v0, 0xffff0000, v1
	v_fmac_f32_e32 v40, v43, v0
	v_lshlrev_b32_e32 v0, 16, v2
	v_fmac_f32_e32 v41, v37, v0
	v_and_b32_e32 v0, 0xffff0000, v2
	v_fmac_f32_e32 v45, v49, v0
	global_load_dwordx2 v[0:1], v[21:22], off offset:1536
	s_waitcnt vmcnt(0)
	v_lshlrev_b32_e32 v2, 16, v0
	v_and_b32_e32 v0, 0xffff0000, v0
	v_fmac_f32_e32 v40, v50, v0
	v_lshlrev_b32_e32 v0, 16, v1
	v_fmac_f32_e32 v41, v16, v0
	v_and_b32_e32 v0, 0xffff0000, v1
	v_fmac_f32_e32 v45, v51, v0
	global_load_dwordx2 v[0:1], v[21:22], off offset:2048
	v_fmac_f32_e32 v39, v20, v2
	s_waitcnt vmcnt(0)
	v_lshlrev_b32_e32 v2, 16, v0
	v_and_b32_e32 v0, 0xffff0000, v0
	v_fmac_f32_e32 v40, v44, v0
	v_lshlrev_b32_e32 v0, 16, v1
	v_fmac_f32_e32 v41, v61, v0
	v_and_b32_e32 v0, 0xffff0000, v1
	v_fmac_f32_e32 v45, v58, v0
	global_load_dwordx2 v[0:1], v[21:22], off offset:2560
	v_fmac_f32_e32 v39, v56, v2
	s_waitcnt vmcnt(0)
	v_lshlrev_b32_e32 v2, 16, v0
	v_fmac_f32_e32 v39, v17, v2
	global_load_dwordx2 v[2:3], v[21:22], off offset:3072
	v_and_b32_e32 v0, 0xffff0000, v0
	v_fmac_f32_e32 v40, v19, v0
	v_lshlrev_b32_e32 v0, 16, v1
	v_fmac_f32_e32 v41, v14, v0
	v_and_b32_e32 v0, 0xffff0000, v1
	v_fmac_f32_e32 v45, v13, v0
	global_load_dwordx2 v[19:20], v[27:28], off offset:512
	global_load_dwordx2 v[13:14], v[27:28], off offset:2048
	global_load_dwordx2 v[21:22], v[27:28], off
	s_waitcnt vmcnt(3)
	v_lshlrev_b32_e32 v0, 16, v2
	v_fmac_f32_e32 v39, v12, v0
	v_and_b32_e32 v0, 0xffff0000, v2
	v_fmac_f32_e32 v40, v18, v0
	v_lshlrev_b32_e32 v0, 16, v3
	v_fmac_f32_e32 v41, v10, v0
	v_and_b32_e32 v0, 0xffff0000, v3
	v_fmac_f32_e32 v45, v15, v0
	;; [unrolled: 4-line block ×3, first 2 shown]
	v_lshlrev_b32_e32 v0, 16, v30
	v_fmac_f32_e32 v41, v7, v0
	v_and_b32_e32 v0, 0xffff0000, v30
	global_load_dwordx2 v[17:18], v[27:28], off offset:1024
	global_load_dwordx2 v[15:16], v[27:28], off offset:1536
	;; [unrolled: 1-line block ×3, first 2 shown]
	v_fmac_f32_e32 v45, v9, v0
	s_waitcnt vmcnt(3)
	v_lshlrev_b32_e32 v0, 16, v21
	v_fmac_f32_e32 v39, v26, v0
	v_and_b32_e32 v0, 0xffff0000, v21
	v_fmac_f32_e32 v40, v33, v0
	v_and_b32_e32 v0, 0xffff0000, v22
	global_load_dwordx2 v[9:10], v[27:28], off offset:3072
	global_load_dwordx2 v[7:8], v[27:28], off offset:3584
	v_fmac_f32_e32 v45, v24, v0
	buffer_load_dword v24, off, s[48:51], 0 offset:20 ; 4-byte Folded Reload
	v_lshlrev_b32_e32 v21, 16, v19
	v_and_b32_e32 v0, 0xffff0000, v19
	v_lshlrev_b32_e32 v1, 16, v22
	v_fmac_f32_e32 v41, v25, v1
	v_lshlrev_b32_e32 v19, 16, v20
	v_and_b32_e32 v20, 0xffff0000, v20
	ds_read_b128 v[1:4], v31 offset:112
	s_waitcnt vmcnt(5)
	v_lshlrev_b32_e32 v22, 16, v17
	v_and_b32_e32 v17, 0xffff0000, v17
	s_waitcnt vmcnt(0)
	v_fmac_f32_e32 v39, v24, v21
	buffer_load_dword v24, off, s[48:51], 0 offset:8 ; 4-byte Folded Reload
	v_fmac_f32_e32 v39, v63, v22
	v_lshlrev_b32_e32 v21, 16, v18
	v_and_b32_e32 v18, 0xffff0000, v18
	s_waitcnt vmcnt(0)
	v_fmac_f32_e32 v40, v24, v0
	buffer_load_dword v0, off, s[48:51], 0  ; 4-byte Folded Reload
	v_fmac_f32_e32 v40, v23, v17
	s_waitcnt vmcnt(0)
	v_fmac_f32_e32 v41, v0, v19
	buffer_load_dword v0, off, s[48:51], 0 offset:4 ; 4-byte Folded Reload
	v_fmac_f32_e32 v41, v42, v21
	s_waitcnt vmcnt(0)
	v_fmac_f32_e32 v45, v0, v20
	v_lshlrev_b32_e32 v0, 16, v15
	v_fmac_f32_e32 v39, v59, v0
	v_and_b32_e32 v0, 0xffff0000, v15
	v_fmac_f32_e32 v40, v60, v0
	v_lshlrev_b32_e32 v0, 16, v16
	v_fmac_f32_e32 v45, v62, v18
	v_fmac_f32_e32 v41, v57, v0
	v_and_b32_e32 v0, 0xffff0000, v16
	v_fmac_f32_e32 v45, v46, v0
	v_lshlrev_b32_e32 v0, 16, v13
	v_fmac_f32_e32 v39, v55, v0
	v_and_b32_e32 v0, 0xffff0000, v13
	v_fmac_f32_e32 v40, v47, v0
	v_lshlrev_b32_e32 v0, 16, v14
	;; [unrolled: 4-line block ×3, first 2 shown]
	v_fmac_f32_e32 v39, v0, v52
	v_and_b32_e32 v0, 0xffff0000, v11
	buffer_load_dword v11, off, s[48:51], 0 offset:16 ; 4-byte Folded Reload
	v_fmac_f32_e32 v40, v0, v48
	v_lshlrev_b32_e32 v0, 16, v12
	s_waitcnt vmcnt(0)
	v_fmac_f32_e32 v41, v0, v11
	buffer_load_dword v11, off, s[48:51], 0 offset:52 ; 4-byte Folded Reload
	buffer_load_dword v0, off, s[48:51], 0 offset:56 ; 4-byte Folded Reload
	s_waitcnt vmcnt(0)
	v_cmp_lt_i32_e64 s[4:5], v11, v0
	buffer_load_dword v0, off, s[48:51], 0 offset:48 ; 4-byte Folded Reload
	s_waitcnt vmcnt(0)
	v_cndmask_b32_e64 v0, v0, v11, s[4:5]
	v_lshlrev_b32_e32 v11, 2, v0
	v_and_b32_e32 v0, 0xffff0000, v12
	buffer_load_dword v12, off, s[48:51], 0 offset:12 ; 4-byte Folded Reload
	s_waitcnt vmcnt(0)
	v_fmac_f32_e32 v45, v0, v12
	s_waitcnt lgkmcnt(0)
	v_lshlrev_b32_e32 v0, 16, v1
	v_lshlrev_b32_e32 v12, 16, v9
	v_and_b32_e32 v1, 0xffff0000, v1
	v_fmac_f32_e32 v39, v12, v0
	v_and_b32_e32 v0, 0xffff0000, v9
	v_fmac_f32_e32 v40, v0, v1
	v_lshlrev_b32_e32 v0, 16, v2
	v_and_b32_e32 v1, 0xffff0000, v2
	v_lshlrev_b32_e32 v2, 16, v10
	v_and_b32_e32 v9, 0xffff0000, v10
	v_fmac_f32_e32 v41, v2, v0
	v_fmac_f32_e32 v45, v9, v1
	v_lshlrev_b32_e32 v0, 16, v3
	v_and_b32_e32 v1, 0xffff0000, v3
	v_lshlrev_b32_e32 v2, 16, v7
	v_and_b32_e32 v3, 0xffff0000, v7
	v_fmac_f32_e32 v39, v2, v0
	v_fmac_f32_e32 v40, v3, v1
	v_lshlrev_b32_e32 v0, 16, v4
	v_lshlrev_b32_e32 v2, 16, v8
	v_and_b32_e32 v1, 0xffff0000, v4
	v_and_b32_e32 v3, 0xffff0000, v8
	v_fmac_f32_e32 v41, v2, v0
	v_add_f32_e32 v0, v39, v40
	v_fmac_f32_e32 v45, v3, v1
	v_add_f32_e32 v0, v0, v41
	v_add_f32_e32 v0, v45, v0
	ds_bpermute_b32 v1, v11, v0
	s_and_saveexec_b64 s[38:39], vcc
	s_cbranch_execz .LBB150_11
; %bb.19:                               ;   in Loop: Header=BB150_13 Depth=1
	buffer_load_dword v2, off, s[48:51], 0 offset:64 ; 4-byte Folded Reload
	buffer_load_dword v3, off, s[48:51], 0 offset:60 ; 4-byte Folded Reload
	s_waitcnt lgkmcnt(0)
	v_add_f32_e32 v0, v0, v1
	s_waitcnt vmcnt(1)
	v_add_u32_e32 v2, v2, v32
	v_cvt_f32_i32_e32 v2, v2
	v_mul_f32_e32 v1, s42, v2
	buffer_load_dword v2, off, s[48:51], 0 offset:28 ; 4-byte Folded Reload
	s_waitcnt vmcnt(1)
	v_add_u32_e32 v3, v3, v32
	v_cndmask_b32_e64 v1, 0, v1, s[2:3]
	v_fmac_f32_e32 v1, s31, v0
	v_cmp_gt_i32_e64 s[4:5], s33, v3
	v_cndmask_b32_e64 v0, 0, v1, s[4:5]
	ds_write_b32 v34, v0
	s_waitcnt vmcnt(0)
	v_max_f32_e32 v0, v2, v2
	v_max_f32_e32 v0, v0, v1
	v_cndmask_b32_e64 v2, v2, v0, s[4:5]
	buffer_store_dword v2, off, s[48:51], 0 offset:28 ; 4-byte Folded Spill
	s_branch .LBB150_11
.LBB150_20:
	s_or_b64 exec, exec, s[36:37]
	buffer_load_dword v13, off, s[48:51], 0 offset:72 ; 4-byte Folded Reload
	buffer_load_dword v17, off, s[48:51], 0 offset:76 ; 4-byte Folded Reload
	;; [unrolled: 1-line block ×3, first 2 shown]
	v_mbcnt_lo_u32_b32 v7, -1, 0
.LBB150_21:
	s_or_b64 exec, exec, s[34:35]
	v_mbcnt_hi_u32_b32 v0, -1, v7
	v_and_b32_e32 v7, 64, v0
	v_add_u32_e32 v8, 64, v7
	s_waitcnt lgkmcnt(0)
	v_xor_b32_e32 v1, 32, v0
	v_cmp_lt_i32_e32 vcc, v1, v8
	v_cndmask_b32_e32 v1, v0, v1, vcc
	v_lshlrev_b32_e32 v1, 2, v1
	s_waitcnt vmcnt(0)
	ds_bpermute_b32 v2, v1, v3
	v_xor_b32_e32 v4, 16, v0
	v_max_f32_e32 v3, v3, v3
	v_cmp_lt_i32_e32 vcc, v4, v8
	v_xor_b32_e32 v5, 8, v0
	s_waitcnt lgkmcnt(0)
	v_max_f32_e32 v2, v2, v2
	v_max_f32_e32 v3, v3, v2
	v_cndmask_b32_e32 v2, v0, v4, vcc
	v_lshlrev_b32_e32 v2, 2, v2
	ds_bpermute_b32 v4, v2, v3
	v_cmp_lt_i32_e32 vcc, v5, v8
	v_xor_b32_e32 v6, 4, v0
	v_xor_b32_e32 v9, 2, v0
	s_waitcnt lgkmcnt(0)
	v_max_f32_e32 v4, v4, v4
	v_max_f32_e32 v4, v3, v4
	v_cndmask_b32_e32 v3, v0, v5, vcc
	v_lshlrev_b32_e32 v3, 2, v3
	ds_bpermute_b32 v5, v3, v4
	v_cmp_lt_i32_e32 vcc, v6, v8
	s_waitcnt lgkmcnt(0)
	v_max_f32_e32 v5, v5, v5
	v_max_f32_e32 v5, v4, v5
	v_cndmask_b32_e32 v4, v0, v6, vcc
	v_lshlrev_b32_e32 v4, 2, v4
	ds_bpermute_b32 v6, v4, v5
	v_cmp_lt_i32_e32 vcc, v9, v8
	s_waitcnt lgkmcnt(0)
	v_max_f32_e32 v6, v6, v6
	v_max_f32_e32 v6, v5, v6
	v_cndmask_b32_e32 v5, v0, v9, vcc
	v_lshlrev_b32_e32 v12, 2, v5
	buffer_load_dword v5, off, s[48:51], 0 offset:24 ; 4-byte Folded Reload
	ds_bpermute_b32 v9, v12, v6
	s_waitcnt vmcnt(0)
	v_and_b32_e32 v15, 63, v5
	v_cmp_eq_u32_e32 vcc, 0, v15
	v_lshlrev_b32_e32 v5, 2, v61
	s_and_saveexec_b64 s[2:3], vcc
	s_cbranch_execz .LBB150_23
; %bb.22:
	s_waitcnt lgkmcnt(0)
	v_max_f32_e32 v9, v9, v9
	v_max_f32_e32 v6, v6, v6
	;; [unrolled: 1-line block ×3, first 2 shown]
	ds_write_b32 v5, v6 offset:256
.LBB150_23:
	s_or_b64 exec, exec, s[2:3]
	v_cmp_gt_u32_e64 s[2:3], 2, v15
	s_waitcnt lgkmcnt(0)
	v_mov_b32_e32 v9, 0xff7fffff
	v_lshlrev_b32_e32 v6, 2, v15
	s_barrier
	s_and_saveexec_b64 s[4:5], s[2:3]
; %bb.24:
	ds_read_b32 v9, v6 offset:256
; %bb.25:
	s_or_b64 exec, exec, s[4:5]
	v_xor_b32_e32 v10, 1, v0
	v_cmp_lt_i32_e64 s[4:5], v10, v8
	v_cndmask_b32_e64 v8, v0, v10, s[4:5]
	v_lshlrev_b32_e32 v14, 2, v8
	s_waitcnt lgkmcnt(0)
	ds_bpermute_b32 v8, v14, v9
	v_max_f32_e32 v9, v9, v9
	v_lshlrev_b32_e32 v7, 2, v7
	s_lshl_b32 s4, s16, 5
	s_min_i32 s15, s4, s33
	s_waitcnt lgkmcnt(0)
	v_max_f32_e32 v8, v8, v8
	v_max_f32_e32 v8, v9, v8
	ds_bpermute_b32 v8, v7, v8
	buffer_load_dword v7, off, s[48:51], 0 offset:24 ; 4-byte Folded Reload
	s_waitcnt vmcnt(0)
	v_cmp_gt_i32_e64 s[4:5], s15, v7
	v_mov_b32_e32 v7, 0
	s_and_saveexec_b64 s[30:31], s[4:5]
	s_cbranch_execz .LBB150_29
; %bb.26:
	buffer_load_dword v10, off, s[48:51], 0 offset:24 ; 4-byte Folded Reload
	v_mov_b32_e32 v7, 0x110
	s_mov_b64 s[34:35], 0
	s_waitcnt vmcnt(0)
	v_lshl_add_u32 v9, v10, 2, v7
	v_mov_b32_e32 v7, 0
.LBB150_27:                             ; =>This Inner Loop Header: Depth=1
	ds_read_b32 v11, v9
	v_add_u32_e32 v10, 0x80, v10
	v_cmp_le_i32_e64 s[6:7], s15, v10
	s_or_b64 s[34:35], s[6:7], s[34:35]
	s_waitcnt lgkmcnt(0)
	v_sub_f32_e32 v11, v11, v8
	v_mul_f32_e32 v11, 0x3fb8aa3b, v11
	v_exp_f32_e32 v11, v11
	ds_write_b32 v9, v11
	v_add_f32_e32 v7, v7, v11
	v_add_u32_e32 v9, 0x200, v9
	s_andn2_b64 exec, exec, s[34:35]
	s_cbranch_execnz .LBB150_27
; %bb.28:
	s_or_b64 exec, exec, s[34:35]
.LBB150_29:
	s_or_b64 exec, exec, s[30:31]
	ds_bpermute_b32 v1, v1, v7
	s_waitcnt lgkmcnt(0)
	v_add_f32_e32 v1, v7, v1
	ds_bpermute_b32 v2, v2, v1
	s_waitcnt lgkmcnt(0)
	v_add_f32_e32 v1, v1, v2
	;; [unrolled: 3-line block ×6, first 2 shown]
	s_and_saveexec_b64 s[6:7], vcc
; %bb.30:
	ds_write_b32 v5, v1 offset:264
; %bb.31:
	s_or_b64 exec, exec, s[6:7]
	s_waitcnt lgkmcnt(0)
	s_barrier
	s_and_saveexec_b64 s[6:7], s[2:3]
; %bb.32:
	ds_read_b32 v1, v6 offset:264
; %bb.33:
	s_or_b64 exec, exec, s[6:7]
	s_waitcnt lgkmcnt(0)
	ds_bpermute_b32 v2, v14, v1
	v_lshlrev_b32_e32 v0, 2, v0
	v_and_b32_e32 v0, 0x100, v0
	s_waitcnt lgkmcnt(0)
	v_add_f32_e32 v1, v1, v2
	ds_bpermute_b32 v0, v0, v1
	s_and_saveexec_b64 s[2:3], s[4:5]
	s_cbranch_execz .LBB150_36
; %bb.34:
	s_waitcnt lgkmcnt(0)
	v_add_f32_e32 v1, 0x358637bd, v0
	v_div_scale_f32 v0, s[4:5], v1, v1, 1.0
	v_div_scale_f32 v2, vcc, 1.0, v1, 1.0
	s_mov_b64 s[4:5], 0
	v_rcp_f32_e32 v3, v0
	v_fma_f32 v4, -v0, v3, 1.0
	v_fmac_f32_e32 v3, v4, v3
	v_mul_f32_e32 v4, v2, v3
	v_fma_f32 v5, -v0, v4, v2
	v_fmac_f32_e32 v4, v5, v3
	v_fma_f32 v0, -v0, v4, v2
	v_div_fmas_f32 v2, v0, v3, v4
	buffer_load_dword v3, off, s[48:51], 0 offset:24 ; 4-byte Folded Reload
	v_mov_b32_e32 v0, 0x110
	v_div_fixup_f32 v1, v2, v1, 1.0
	s_waitcnt vmcnt(0)
	v_lshl_add_u32 v0, v3, 2, v0
	v_mov_b32_e32 v2, v3
.LBB150_35:                             ; =>This Inner Loop Header: Depth=1
	ds_read_b32 v3, v0
	v_add_u32_e32 v2, 0x80, v2
	v_cmp_le_i32_e32 vcc, s15, v2
	s_or_b64 s[4:5], vcc, s[4:5]
	s_waitcnt lgkmcnt(0)
	v_mul_f32_e32 v3, v1, v3
	ds_write_b32 v0, v3
	v_add_u32_e32 v0, 0x200, v0
	s_andn2_b64 exec, exec, s[4:5]
	s_cbranch_execnz .LBB150_35
.LBB150_36:
	s_or_b64 exec, exec, s[2:3]
	s_waitcnt lgkmcnt(0)
	s_barrier
	buffer_load_dword v0, off, s[48:51], 0 offset:24 ; 4-byte Folded Reload
	v_mov_b32_e32 v55, 0
	v_mov_b32_e32 v51, 0
	;; [unrolled: 1-line block ×8, first 2 shown]
	s_waitcnt vmcnt(0)
	v_and_b32_e32 v16, 3, v0
	s_and_saveexec_b64 s[4:5], s[0:1]
	s_cbranch_execz .LBB150_58
; %bb.37:
	buffer_store_dword v14, off, s[48:51], 0 offset:20 ; 4-byte Folded Spill
	buffer_store_dword v12, off, s[48:51], 0 offset:16 ; 4-byte Folded Spill
	;; [unrolled: 1-line block ×3, first 2 shown]
	v_and_b32_e32 v1, 24, v13
	buffer_store_dword v1, off, s[48:51], 0 ; 4-byte Folded Spill
	buffer_load_dword v1, off, s[48:51], 0 offset:24 ; 4-byte Folded Reload
	s_ashr_i32 s15, s14, 31
	s_sub_i32 s17, s12, s17
	s_lshl_b64 s[0:1], s[14:15], 1
	s_add_u32 s0, s28, s0
	s_addc_u32 s1, s29, s1
	v_mov_b32_e32 v3, s1
	s_abs_i32 s18, s18
	v_cvt_f32_u32_e32 v0, s18
	s_sub_i32 s2, 0, s18
	s_add_i32 s30, s16, -1
	s_mov_b32 s28, s13
	v_rcp_iflag_f32_e32 v0, v0
	v_mov_b32_e32 v44, 0
	s_mov_b32 s29, s33
	s_mov_b64 s[6:7], 0
	v_mul_f32_e32 v0, 0x4f7ffffe, v0
	v_cvt_u32_f32_e32 v0, v0
	v_mov_b32_e32 v43, 0
	v_mov_b32_e32 v49, 0
	;; [unrolled: 1-line block ×3, first 2 shown]
	v_mul_lo_u32 v2, s2, v0
	v_mov_b32_e32 v52, 0
	v_mov_b32_e32 v53, 0
	;; [unrolled: 1-line block ×3, first 2 shown]
	v_mul_hi_u32 v2, v0, v2
	v_mov_b32_e32 v51, 0
	v_mov_b32_e32 v55, 0
	buffer_store_dword v16, off, s[48:51], 0 offset:28 ; 4-byte Folded Spill
	v_add_u32_e32 v56, v0, v2
	v_and_b32_e32 v0, 60, v17
	s_waitcnt vmcnt(1)
	v_lshlrev_b32_e32 v1, 4, v1
	v_and_b32_e32 v1, 0x3f0, v1
	v_add_co_u32_e32 v1, vcc, s0, v1
	buffer_store_dword v1, off, s[48:51], 0 offset:4 ; 4-byte Folded Spill
	v_addc_co_u32_e32 v1, vcc, 0, v3, vcc
	buffer_load_dword v3, off, s[48:51], 0 offset:68 ; 4-byte Folded Reload
	s_lshl_b64 s[0:1], s[26:27], 2
	s_add_u32 s0, s24, s0
	s_addc_u32 s1, s25, s1
	v_add_co_u32_e32 v41, vcc, s0, v0
	v_lshlrev_b32_e32 v0, 5, v16
	buffer_store_dword v1, off, s[48:51], 0 offset:8 ; 4-byte Folded Spill
	v_mov_b32_e32 v1, s1
	v_lshl_or_b32 v0, v61, 7, v0
	v_addc_co_u32_e32 v42, vcc, 0, v1, vcc
	v_add_u32_e32 v62, 0x110, v0
	s_mov_b32 s24, 0x5040100
	s_movk_i32 s25, 0x7fff
	s_branch .LBB150_40
.LBB150_38:                             ;   in Loop: Header=BB150_40 Depth=1
	s_or_b64 exec, exec, s[2:3]
	s_waitcnt lgkmcnt(1)
	v_bfe_u32 v0, v33, 16, 1
	v_add3_u32 v0, v0, v33, s25
	v_or_b32_e32 v45, 0x400000, v33
	v_cmp_u_f32_e32 vcc, v33, v33
	v_cndmask_b32_e32 v33, v0, v45, vcc
	v_bfe_u32 v0, v34, 16, 1
	v_add3_u32 v0, v0, v34, s25
	v_or_b32_e32 v45, 0x400000, v34
	v_cmp_u_f32_e32 vcc, v34, v34
	v_bfe_u32 v34, v35, 16, 1
	v_cndmask_b32_e32 v0, v0, v45, vcc
	v_add3_u32 v34, v34, v35, s25
	v_or_b32_e32 v45, 0x400000, v35
	v_cmp_u_f32_e32 vcc, v35, v35
	v_bfe_u32 v35, v36, 16, 1
	v_cndmask_b32_e32 v34, v34, v45, vcc
	v_add3_u32 v35, v35, v36, s25
	v_or_b32_e32 v45, 0x400000, v36
	v_cmp_u_f32_e32 vcc, v36, v36
	s_waitcnt lgkmcnt(0)
	v_bfe_u32 v36, v25, 16, 1
	v_cndmask_b32_e32 v35, v35, v45, vcc
	v_add3_u32 v36, v36, v25, s25
	v_or_b32_e32 v45, 0x400000, v25
	v_cmp_u_f32_e32 vcc, v25, v25
	v_bfe_u32 v25, v26, 16, 1
	v_cndmask_b32_e32 v36, v36, v45, vcc
	v_add3_u32 v25, v25, v26, s25
	v_or_b32_e32 v45, 0x400000, v26
	v_cmp_u_f32_e32 vcc, v26, v26
	v_cndmask_b32_e32 v46, v25, v45, vcc
	v_bfe_u32 v25, v27, 16, 1
	v_add3_u32 v25, v25, v27, s25
	v_or_b32_e32 v26, 0x400000, v27
	v_cmp_u_f32_e32 vcc, v27, v27
	v_cndmask_b32_e32 v48, v25, v26, vcc
	v_bfe_u32 v25, v28, 16, 1
	v_add3_u32 v25, v25, v28, s25
	v_or_b32_e32 v26, 0x400000, v28
	v_cmp_u_f32_e32 vcc, v28, v28
	v_cndmask_b32_e32 v57, v25, v26, vcc
	v_and_b32_e32 v25, 0xffff0000, v0
	s_waitcnt vmcnt(1)
	v_and_b32_e32 v0, 0xffff0000, v37
	v_mul_f32_e32 v0, v25, v0
	v_bfe_u32 v26, v0, 16, 1
	v_add3_u32 v26, v26, v0, s25
	v_or_b32_e32 v27, 0x400000, v0
	v_cmp_u_f32_e32 vcc, v0, v0
	v_cndmask_b32_e32 v0, v26, v27, vcc
	v_and_b32_e32 v27, 0xffff0000, v33
	v_lshlrev_b32_e32 v26, 16, v37
	v_mul_f32_e32 v26, v27, v26
	v_bfe_u32 v28, v26, 16, 1
	v_add3_u32 v28, v28, v26, s25
	v_or_b32_e32 v33, 0x400000, v26
	v_cmp_u_f32_e32 vcc, v26, v26
	v_cndmask_b32_e32 v37, v28, v33, vcc
	v_and_b32_e32 v26, 0xffff0000, v35
	v_and_b32_e32 v28, 0xffff0000, v38
	v_mul_f32_e32 v28, v26, v28
	v_bfe_u32 v33, v28, 16, 1
	v_add3_u32 v33, v33, v28, s25
	v_or_b32_e32 v35, 0x400000, v28
	v_cmp_u_f32_e32 vcc, v28, v28
	v_cndmask_b32_e32 v45, v33, v35, vcc
	v_and_b32_e32 v33, 0xffff0000, v34
	v_lshlrev_b32_e32 v28, 16, v38
	v_mul_f32_e32 v28, v33, v28
	v_bfe_u32 v34, v28, 16, 1
	v_add3_u32 v34, v34, v28, s25
	v_or_b32_e32 v35, 0x400000, v28
	v_cmp_u_f32_e32 vcc, v28, v28
	v_cndmask_b32_e32 v38, v34, v35, vcc
	v_and_b32_e32 v28, 0xffff0000, v46
	;; [unrolled: 16-line block ×3, first 2 shown]
	v_and_b32_e32 v36, 0xffff0000, v40
	v_mul_f32_e32 v36, v34, v36
	v_bfe_u32 v57, v36, 16, 1
	v_add3_u32 v57, v57, v36, s25
	v_or_b32_e32 v58, 0x400000, v36
	v_cmp_u_f32_e32 vcc, v36, v36
	v_and_b32_e32 v36, 0xffff0000, v48
	v_lshlrev_b32_e32 v40, 16, v40
	v_and_b32_e32 v37, 0xffff0000, v37
	v_and_b32_e32 v0, 0xffff0000, v0
	v_mul_f32_e32 v40, v36, v40
	v_add_f32_e32 v0, v37, v0
	v_and_b32_e32 v37, 0xffff0000, v38
	v_and_b32_e32 v38, 0xffff0000, v45
	v_bfe_u32 v48, v40, 16, 1
	v_add_f32_e32 v37, v37, v38
	v_cndmask_b32_e32 v57, v57, v58, vcc
	v_add3_u32 v48, v48, v40, s25
	v_or_b32_e32 v58, 0x400000, v40
	v_cmp_u_f32_e32 vcc, v40, v40
	v_add_f32_e32 v0, v37, v0
	v_and_b32_e32 v37, 0xffff0000, v39
	v_and_b32_e32 v38, 0xffff0000, v46
	v_cndmask_b32_e32 v40, v48, v58, vcc
	v_add_f32_e32 v37, v37, v38
	v_add_f32_e32 v0, v37, v0
	v_and_b32_e32 v37, 0xffff0000, v40
	v_and_b32_e32 v38, 0xffff0000, v57
	v_add_f32_e32 v37, v37, v38
	v_add_f32_e32 v0, v37, v0
	;; [unrolled: 1-line block ×3, first 2 shown]
	v_and_b32_e32 v0, 0xffff0000, v29
	v_mul_f32_e32 v0, v25, v0
	v_bfe_u32 v37, v0, 16, 1
	v_lshlrev_b32_e32 v29, 16, v29
	v_add3_u32 v37, v37, v0, s25
	v_or_b32_e32 v38, 0x400000, v0
	v_cmp_u_f32_e32 vcc, v0, v0
	v_mul_f32_e32 v29, v27, v29
	v_cndmask_b32_e32 v0, v37, v38, vcc
	v_bfe_u32 v37, v29, 16, 1
	v_add3_u32 v37, v37, v29, s25
	v_or_b32_e32 v38, 0x400000, v29
	v_cmp_u_f32_e32 vcc, v29, v29
	v_cndmask_b32_e32 v29, v37, v38, vcc
	v_and_b32_e32 v37, 0xffff0000, v30
	v_mul_f32_e32 v37, v26, v37
	v_bfe_u32 v38, v37, 16, 1
	v_lshlrev_b32_e32 v30, 16, v30
	v_add3_u32 v38, v38, v37, s25
	v_or_b32_e32 v39, 0x400000, v37
	v_cmp_u_f32_e32 vcc, v37, v37
	v_mul_f32_e32 v30, v33, v30
	v_cndmask_b32_e32 v37, v38, v39, vcc
	v_bfe_u32 v38, v30, 16, 1
	v_add3_u32 v38, v38, v30, s25
	v_or_b32_e32 v39, 0x400000, v30
	v_cmp_u_f32_e32 vcc, v30, v30
	v_cndmask_b32_e32 v30, v38, v39, vcc
	;; [unrolled: 14-line block ×3, first 2 shown]
	v_and_b32_e32 v39, 0xffff0000, v32
	v_mul_f32_e32 v39, v34, v39
	v_bfe_u32 v40, v39, 16, 1
	v_lshlrev_b32_e32 v32, 16, v32
	v_and_b32_e32 v29, 0xffff0000, v29
	v_and_b32_e32 v0, 0xffff0000, v0
	v_add3_u32 v40, v40, v39, s25
	v_or_b32_e32 v45, 0x400000, v39
	v_cmp_u_f32_e32 vcc, v39, v39
	v_mul_f32_e32 v32, v36, v32
	v_add_f32_e32 v0, v29, v0
	v_and_b32_e32 v29, 0xffff0000, v30
	v_and_b32_e32 v30, 0xffff0000, v37
	v_cndmask_b32_e32 v39, v40, v45, vcc
	v_bfe_u32 v40, v32, 16, 1
	v_add_f32_e32 v29, v29, v30
	v_add3_u32 v40, v40, v32, s25
	v_or_b32_e32 v45, 0x400000, v32
	v_cmp_u_f32_e32 vcc, v32, v32
	v_add_f32_e32 v0, v29, v0
	v_and_b32_e32 v29, 0xffff0000, v31
	v_and_b32_e32 v30, 0xffff0000, v38
	v_cndmask_b32_e32 v32, v40, v45, vcc
	v_add_f32_e32 v29, v29, v30
	v_add_f32_e32 v0, v29, v0
	v_and_b32_e32 v29, 0xffff0000, v32
	v_and_b32_e32 v30, 0xffff0000, v39
	v_add_f32_e32 v29, v29, v30
	v_add_f32_e32 v0, v29, v0
	;; [unrolled: 1-line block ×3, first 2 shown]
	v_and_b32_e32 v0, 0xffff0000, v21
	v_mul_f32_e32 v0, v25, v0
	v_bfe_u32 v29, v0, 16, 1
	v_lshlrev_b32_e32 v21, 16, v21
	v_add3_u32 v29, v29, v0, s25
	v_or_b32_e32 v30, 0x400000, v0
	v_cmp_u_f32_e32 vcc, v0, v0
	v_mul_f32_e32 v21, v27, v21
	v_cndmask_b32_e32 v0, v29, v30, vcc
	v_bfe_u32 v29, v21, 16, 1
	v_add3_u32 v29, v29, v21, s25
	v_or_b32_e32 v30, 0x400000, v21
	v_cmp_u_f32_e32 vcc, v21, v21
	v_cndmask_b32_e32 v21, v29, v30, vcc
	v_and_b32_e32 v29, 0xffff0000, v22
	v_mul_f32_e32 v29, v26, v29
	v_bfe_u32 v30, v29, 16, 1
	v_lshlrev_b32_e32 v22, 16, v22
	v_add3_u32 v30, v30, v29, s25
	v_or_b32_e32 v31, 0x400000, v29
	v_cmp_u_f32_e32 vcc, v29, v29
	v_mul_f32_e32 v22, v33, v22
	v_cndmask_b32_e32 v29, v30, v31, vcc
	v_bfe_u32 v30, v22, 16, 1
	v_add3_u32 v30, v30, v22, s25
	v_or_b32_e32 v31, 0x400000, v22
	v_cmp_u_f32_e32 vcc, v22, v22
	v_cndmask_b32_e32 v22, v30, v31, vcc
	;; [unrolled: 14-line block ×3, first 2 shown]
	v_and_b32_e32 v31, 0xffff0000, v24
	v_mul_f32_e32 v31, v34, v31
	v_bfe_u32 v32, v31, 16, 1
	v_lshlrev_b32_e32 v24, 16, v24
	v_and_b32_e32 v21, 0xffff0000, v21
	v_and_b32_e32 v0, 0xffff0000, v0
	v_add3_u32 v32, v32, v31, s25
	v_or_b32_e32 v37, 0x400000, v31
	v_cmp_u_f32_e32 vcc, v31, v31
	v_mul_f32_e32 v24, v36, v24
	v_add_f32_e32 v0, v21, v0
	v_and_b32_e32 v21, 0xffff0000, v22
	v_and_b32_e32 v22, 0xffff0000, v29
	v_cndmask_b32_e32 v31, v32, v37, vcc
	v_bfe_u32 v32, v24, 16, 1
	v_add_f32_e32 v21, v21, v22
	v_add3_u32 v32, v32, v24, s25
	v_or_b32_e32 v37, 0x400000, v24
	v_cmp_u_f32_e32 vcc, v24, v24
	v_add_f32_e32 v0, v21, v0
	v_and_b32_e32 v21, 0xffff0000, v23
	v_and_b32_e32 v22, 0xffff0000, v30
	v_cndmask_b32_e32 v24, v32, v37, vcc
	v_add_f32_e32 v21, v21, v22
	v_add_f32_e32 v0, v21, v0
	v_and_b32_e32 v21, 0xffff0000, v24
	v_and_b32_e32 v22, 0xffff0000, v31
	v_add_f32_e32 v21, v21, v22
	v_add_f32_e32 v0, v21, v0
	;; [unrolled: 1-line block ×3, first 2 shown]
	v_and_b32_e32 v0, 0xffff0000, v17
	v_mul_f32_e32 v0, v25, v0
	v_bfe_u32 v21, v0, 16, 1
	v_lshlrev_b32_e32 v17, 16, v17
	v_add3_u32 v21, v21, v0, s25
	v_or_b32_e32 v22, 0x400000, v0
	v_cmp_u_f32_e32 vcc, v0, v0
	v_mul_f32_e32 v17, v27, v17
	v_cndmask_b32_e32 v0, v21, v22, vcc
	v_bfe_u32 v21, v17, 16, 1
	v_add3_u32 v21, v21, v17, s25
	v_or_b32_e32 v22, 0x400000, v17
	v_cmp_u_f32_e32 vcc, v17, v17
	v_cndmask_b32_e32 v17, v21, v22, vcc
	v_and_b32_e32 v21, 0xffff0000, v18
	v_mul_f32_e32 v21, v26, v21
	v_bfe_u32 v22, v21, 16, 1
	v_lshlrev_b32_e32 v18, 16, v18
	v_add3_u32 v22, v22, v21, s25
	v_or_b32_e32 v23, 0x400000, v21
	v_cmp_u_f32_e32 vcc, v21, v21
	v_mul_f32_e32 v18, v33, v18
	v_cndmask_b32_e32 v21, v22, v23, vcc
	v_bfe_u32 v22, v18, 16, 1
	v_add3_u32 v22, v22, v18, s25
	v_or_b32_e32 v23, 0x400000, v18
	v_cmp_u_f32_e32 vcc, v18, v18
	v_cndmask_b32_e32 v18, v22, v23, vcc
	;; [unrolled: 14-line block ×3, first 2 shown]
	v_and_b32_e32 v23, 0xffff0000, v20
	v_mul_f32_e32 v23, v34, v23
	v_bfe_u32 v24, v23, 16, 1
	v_lshlrev_b32_e32 v20, 16, v20
	v_and_b32_e32 v17, 0xffff0000, v17
	v_and_b32_e32 v0, 0xffff0000, v0
	v_add3_u32 v24, v24, v23, s25
	v_or_b32_e32 v29, 0x400000, v23
	v_cmp_u_f32_e32 vcc, v23, v23
	v_mul_f32_e32 v20, v36, v20
	v_add_f32_e32 v0, v17, v0
	v_and_b32_e32 v17, 0xffff0000, v18
	v_and_b32_e32 v18, 0xffff0000, v21
	v_cndmask_b32_e32 v23, v24, v29, vcc
	v_bfe_u32 v24, v20, 16, 1
	v_add_f32_e32 v17, v17, v18
	v_add3_u32 v24, v24, v20, s25
	v_or_b32_e32 v29, 0x400000, v20
	v_cmp_u_f32_e32 vcc, v20, v20
	v_add_f32_e32 v0, v17, v0
	v_and_b32_e32 v17, 0xffff0000, v19
	v_and_b32_e32 v18, 0xffff0000, v22
	v_cndmask_b32_e32 v20, v24, v29, vcc
	v_add_f32_e32 v17, v17, v18
	v_add_f32_e32 v0, v17, v0
	v_and_b32_e32 v17, 0xffff0000, v20
	v_and_b32_e32 v18, 0xffff0000, v23
	v_add_f32_e32 v17, v17, v18
	v_add_f32_e32 v0, v17, v0
	;; [unrolled: 1-line block ×3, first 2 shown]
	v_and_b32_e32 v0, 0xffff0000, v9
	v_mul_f32_e32 v0, v25, v0
	v_bfe_u32 v17, v0, 16, 1
	v_lshlrev_b32_e32 v9, 16, v9
	v_add3_u32 v17, v17, v0, s25
	v_or_b32_e32 v18, 0x400000, v0
	v_cmp_u_f32_e32 vcc, v0, v0
	v_mul_f32_e32 v9, v27, v9
	v_cndmask_b32_e32 v0, v17, v18, vcc
	v_bfe_u32 v17, v9, 16, 1
	v_add3_u32 v17, v17, v9, s25
	v_or_b32_e32 v18, 0x400000, v9
	v_cmp_u_f32_e32 vcc, v9, v9
	v_cndmask_b32_e32 v9, v17, v18, vcc
	v_and_b32_e32 v17, 0xffff0000, v10
	v_mul_f32_e32 v17, v26, v17
	v_bfe_u32 v18, v17, 16, 1
	v_lshlrev_b32_e32 v10, 16, v10
	v_add3_u32 v18, v18, v17, s25
	v_or_b32_e32 v19, 0x400000, v17
	v_cmp_u_f32_e32 vcc, v17, v17
	v_mul_f32_e32 v10, v33, v10
	v_cndmask_b32_e32 v17, v18, v19, vcc
	v_bfe_u32 v18, v10, 16, 1
	v_add3_u32 v18, v18, v10, s25
	v_or_b32_e32 v19, 0x400000, v10
	v_cmp_u_f32_e32 vcc, v10, v10
	v_cndmask_b32_e32 v10, v18, v19, vcc
	;; [unrolled: 14-line block ×3, first 2 shown]
	v_and_b32_e32 v19, 0xffff0000, v12
	v_mul_f32_e32 v19, v34, v19
	v_bfe_u32 v20, v19, 16, 1
	v_lshlrev_b32_e32 v12, 16, v12
	v_and_b32_e32 v9, 0xffff0000, v9
	v_and_b32_e32 v0, 0xffff0000, v0
	v_add3_u32 v20, v20, v19, s25
	v_or_b32_e32 v21, 0x400000, v19
	v_cmp_u_f32_e32 vcc, v19, v19
	v_mul_f32_e32 v12, v36, v12
	v_add_f32_e32 v0, v9, v0
	v_and_b32_e32 v9, 0xffff0000, v10
	v_and_b32_e32 v10, 0xffff0000, v17
	v_cndmask_b32_e32 v19, v20, v21, vcc
	v_bfe_u32 v20, v12, 16, 1
	v_add_f32_e32 v9, v9, v10
	v_add3_u32 v20, v20, v12, s25
	v_or_b32_e32 v21, 0x400000, v12
	v_cmp_u_f32_e32 vcc, v12, v12
	v_add_f32_e32 v0, v9, v0
	v_and_b32_e32 v9, 0xffff0000, v11
	v_and_b32_e32 v10, 0xffff0000, v18
	v_cndmask_b32_e32 v12, v20, v21, vcc
	v_add_f32_e32 v9, v9, v10
	v_add_f32_e32 v0, v9, v0
	v_and_b32_e32 v9, 0xffff0000, v12
	v_and_b32_e32 v10, 0xffff0000, v19
	v_add_f32_e32 v9, v9, v10
	v_add_f32_e32 v0, v9, v0
	;; [unrolled: 1-line block ×3, first 2 shown]
	v_and_b32_e32 v0, 0xffff0000, v5
	v_mul_f32_e32 v0, v25, v0
	v_bfe_u32 v9, v0, 16, 1
	v_lshlrev_b32_e32 v5, 16, v5
	v_add3_u32 v9, v9, v0, s25
	v_or_b32_e32 v10, 0x400000, v0
	v_cmp_u_f32_e32 vcc, v0, v0
	v_mul_f32_e32 v5, v27, v5
	v_cndmask_b32_e32 v0, v9, v10, vcc
	v_bfe_u32 v9, v5, 16, 1
	v_add3_u32 v9, v9, v5, s25
	v_or_b32_e32 v10, 0x400000, v5
	v_cmp_u_f32_e32 vcc, v5, v5
	v_cndmask_b32_e32 v5, v9, v10, vcc
	v_and_b32_e32 v9, 0xffff0000, v6
	v_mul_f32_e32 v9, v26, v9
	v_bfe_u32 v10, v9, 16, 1
	v_lshlrev_b32_e32 v6, 16, v6
	v_add3_u32 v10, v10, v9, s25
	v_or_b32_e32 v11, 0x400000, v9
	v_cmp_u_f32_e32 vcc, v9, v9
	v_mul_f32_e32 v6, v33, v6
	v_cndmask_b32_e32 v9, v10, v11, vcc
	v_bfe_u32 v10, v6, 16, 1
	v_add3_u32 v10, v10, v6, s25
	v_or_b32_e32 v11, 0x400000, v6
	v_cmp_u_f32_e32 vcc, v6, v6
	v_cndmask_b32_e32 v6, v10, v11, vcc
	v_and_b32_e32 v10, 0xffff0000, v7
	v_mul_f32_e32 v10, v28, v10
	v_bfe_u32 v11, v10, 16, 1
	v_lshlrev_b32_e32 v7, 16, v7
	v_add3_u32 v11, v11, v10, s25
	v_or_b32_e32 v12, 0x400000, v10
	v_cmp_u_f32_e32 vcc, v10, v10
	v_mul_f32_e32 v7, v35, v7
	v_cndmask_b32_e32 v10, v11, v12, vcc
	v_bfe_u32 v11, v7, 16, 1
	v_add3_u32 v11, v11, v7, s25
	v_or_b32_e32 v12, 0x400000, v7
	v_cmp_u_f32_e32 vcc, v7, v7
	v_cndmask_b32_e32 v7, v11, v12, vcc
	v_and_b32_e32 v11, 0xffff0000, v8
	v_mul_f32_e32 v11, v34, v11
	v_bfe_u32 v12, v11, 16, 1
	v_lshlrev_b32_e32 v8, 16, v8
	v_and_b32_e32 v5, 0xffff0000, v5
	v_and_b32_e32 v0, 0xffff0000, v0
	v_add3_u32 v12, v12, v11, s25
	v_or_b32_e32 v17, 0x400000, v11
	v_cmp_u_f32_e32 vcc, v11, v11
	v_mul_f32_e32 v8, v36, v8
	v_add_f32_e32 v0, v5, v0
	v_and_b32_e32 v5, 0xffff0000, v6
	v_and_b32_e32 v6, 0xffff0000, v9
	v_cndmask_b32_e32 v11, v12, v17, vcc
	v_bfe_u32 v12, v8, 16, 1
	v_add_f32_e32 v5, v5, v6
	v_add3_u32 v12, v12, v8, s25
	v_or_b32_e32 v17, 0x400000, v8
	v_cmp_u_f32_e32 vcc, v8, v8
	v_add_f32_e32 v0, v5, v0
	v_and_b32_e32 v5, 0xffff0000, v7
	v_and_b32_e32 v6, 0xffff0000, v10
	v_cndmask_b32_e32 v8, v12, v17, vcc
	v_add_f32_e32 v5, v5, v6
	v_add_f32_e32 v0, v5, v0
	v_and_b32_e32 v5, 0xffff0000, v8
	v_and_b32_e32 v6, 0xffff0000, v11
	v_add_f32_e32 v5, v5, v6
	v_add_f32_e32 v0, v5, v0
	;; [unrolled: 1-line block ×3, first 2 shown]
	v_and_b32_e32 v0, 0xffff0000, v1
	v_mul_f32_e32 v0, v25, v0
	v_bfe_u32 v5, v0, 16, 1
	v_lshlrev_b32_e32 v1, 16, v1
	v_add3_u32 v5, v5, v0, s25
	v_or_b32_e32 v6, 0x400000, v0
	v_cmp_u_f32_e32 vcc, v0, v0
	v_mul_f32_e32 v1, v27, v1
	v_cndmask_b32_e32 v0, v5, v6, vcc
	v_bfe_u32 v5, v1, 16, 1
	v_add3_u32 v5, v5, v1, s25
	v_or_b32_e32 v6, 0x400000, v1
	v_cmp_u_f32_e32 vcc, v1, v1
	v_cndmask_b32_e32 v1, v5, v6, vcc
	v_and_b32_e32 v5, 0xffff0000, v2
	v_mul_f32_e32 v5, v26, v5
	v_bfe_u32 v6, v5, 16, 1
	v_lshlrev_b32_e32 v2, 16, v2
	v_add3_u32 v6, v6, v5, s25
	v_or_b32_e32 v7, 0x400000, v5
	v_cmp_u_f32_e32 vcc, v5, v5
	v_mul_f32_e32 v2, v33, v2
	v_cndmask_b32_e32 v5, v6, v7, vcc
	v_bfe_u32 v6, v2, 16, 1
	v_add3_u32 v6, v6, v2, s25
	v_or_b32_e32 v7, 0x400000, v2
	v_cmp_u_f32_e32 vcc, v2, v2
	v_cndmask_b32_e32 v2, v6, v7, vcc
	;; [unrolled: 14-line block ×3, first 2 shown]
	v_and_b32_e32 v7, 0xffff0000, v4
	v_mul_f32_e32 v7, v34, v7
	v_bfe_u32 v8, v7, 16, 1
	v_lshlrev_b32_e32 v4, 16, v4
	v_and_b32_e32 v1, 0xffff0000, v1
	v_and_b32_e32 v0, 0xffff0000, v0
	v_add3_u32 v8, v8, v7, s25
	v_or_b32_e32 v9, 0x400000, v7
	v_cmp_u_f32_e32 vcc, v7, v7
	v_mul_f32_e32 v4, v36, v4
	v_add_f32_e32 v0, v1, v0
	v_and_b32_e32 v1, 0xffff0000, v2
	v_and_b32_e32 v2, 0xffff0000, v5
	v_cndmask_b32_e32 v7, v8, v9, vcc
	v_bfe_u32 v8, v4, 16, 1
	v_add_f32_e32 v1, v1, v2
	v_add3_u32 v8, v8, v4, s25
	v_or_b32_e32 v9, 0x400000, v4
	v_cmp_u_f32_e32 vcc, v4, v4
	v_add_f32_e32 v0, v1, v0
	v_and_b32_e32 v1, 0xffff0000, v3
	v_and_b32_e32 v2, 0xffff0000, v6
	v_cndmask_b32_e32 v4, v8, v9, vcc
	v_add_f32_e32 v1, v1, v2
	v_add_f32_e32 v0, v1, v0
	v_and_b32_e32 v1, 0xffff0000, v4
	v_and_b32_e32 v2, 0xffff0000, v7
	v_add_f32_e32 v1, v1, v2
	v_add_f32_e32 v0, v1, v0
	;; [unrolled: 1-line block ×3, first 2 shown]
	s_waitcnt vmcnt(0)
	v_lshlrev_b32_e32 v0, 16, v13
	v_mul_f32_e32 v0, v27, v0
	v_bfe_u32 v1, v0, 16, 1
	v_add3_u32 v1, v1, v0, s25
	v_or_b32_e32 v2, 0x400000, v0
	v_cmp_u_f32_e32 vcc, v0, v0
	v_cndmask_b32_e32 v0, v1, v2, vcc
	v_and_b32_e32 v1, 0xffff0000, v13
	v_mul_f32_e32 v1, v25, v1
	v_bfe_u32 v2, v1, 16, 1
	v_add3_u32 v2, v2, v1, s25
	v_or_b32_e32 v3, 0x400000, v1
	v_cmp_u_f32_e32 vcc, v1, v1
	v_cndmask_b32_e32 v1, v2, v3, vcc
	v_lshlrev_b32_e32 v2, 16, v14
	v_mul_f32_e32 v2, v33, v2
	v_bfe_u32 v3, v2, 16, 1
	v_add3_u32 v3, v3, v2, s25
	v_or_b32_e32 v4, 0x400000, v2
	v_cmp_u_f32_e32 vcc, v2, v2
	v_cndmask_b32_e32 v2, v3, v4, vcc
	v_and_b32_e32 v3, 0xffff0000, v14
	v_mul_f32_e32 v3, v26, v3
	v_bfe_u32 v4, v3, 16, 1
	v_add3_u32 v4, v4, v3, s25
	v_or_b32_e32 v5, 0x400000, v3
	v_cmp_u_f32_e32 vcc, v3, v3
	v_cndmask_b32_e32 v3, v4, v5, vcc
	;; [unrolled: 14-line block ×3, first 2 shown]
	v_lshlrev_b32_e32 v6, 16, v16
	v_mul_f32_e32 v6, v36, v6
	v_bfe_u32 v7, v6, 16, 1
	v_add3_u32 v7, v7, v6, s25
	v_or_b32_e32 v8, 0x400000, v6
	v_cmp_u_f32_e32 vcc, v6, v6
	v_cndmask_b32_e32 v6, v7, v8, vcc
	v_and_b32_e32 v7, 0xffff0000, v16
	v_and_b32_e32 v1, 0xffff0000, v1
	;; [unrolled: 1-line block ×3, first 2 shown]
	v_mul_f32_e32 v7, v34, v7
	v_add_f32_e32 v0, v0, v1
	v_and_b32_e32 v1, 0xffff0000, v3
	v_and_b32_e32 v2, 0xffff0000, v2
	v_bfe_u32 v8, v7, 16, 1
	v_add_f32_e32 v1, v2, v1
	v_add3_u32 v8, v8, v7, s25
	v_or_b32_e32 v9, 0x400000, v7
	v_cmp_u_f32_e32 vcc, v7, v7
	v_add_f32_e32 v0, v1, v0
	v_and_b32_e32 v1, 0xffff0000, v5
	v_and_b32_e32 v2, 0xffff0000, v4
	v_cndmask_b32_e32 v7, v8, v9, vcc
	v_add_f32_e32 v1, v2, v1
	v_add_f32_e32 v0, v1, v0
	v_and_b32_e32 v1, 0xffff0000, v7
	v_and_b32_e32 v2, 0xffff0000, v6
	v_add_f32_e32 v1, v2, v1
	v_add_f32_e32 v0, v1, v0
	;; [unrolled: 1-line block ×3, first 2 shown]
.LBB150_39:                             ;   in Loop: Header=BB150_40 Depth=1
	s_or_b64 exec, exec, s[12:13]
	v_add_co_u32_e32 v41, vcc, 8, v41
	v_add_u32_e32 v61, 2, v61
	v_addc_co_u32_e32 v42, vcc, 0, v42, vcc
	v_mov_b32_e32 v3, v47
	v_cmp_le_i32_e32 vcc, s16, v61
	v_add_u32_e32 v3, 64, v3
	s_or_b64 s[6:7], vcc, s[6:7]
	v_add_u32_e32 v62, 0x100, v62
	s_andn2_b64 exec, exec, s[6:7]
	s_cbranch_execz .LBB150_57
.LBB150_40:                             ; =>This Inner Loop Header: Depth=1
	s_waitcnt vmcnt(1)
	v_mul_hi_u32 v0, v3, s40
	v_mov_b32_e32 v47, v3
	v_mul_lo_u32 v1, v0, s21
	v_add_u32_e32 v2, 1, v0
	v_sub_u32_e32 v1, v3, v1
	v_cmp_le_u32_e32 vcc, s21, v1
	v_cndmask_b32_e32 v0, v0, v2, vcc
	v_subrev_u32_e32 v2, s21, v1
	v_cndmask_b32_e32 v1, v1, v2, vcc
	v_add_u32_e32 v2, 1, v0
	v_cmp_le_u32_e32 vcc, s21, v1
	v_cndmask_b32_e32 v0, v0, v2, vcc
	v_xor_b32_e32 v0, s19, v0
	v_subrev_u32_e32 v0, s19, v0
	v_add_u32_e32 v1, s41, v0
	v_sub_u32_e32 v2, 0, v1
	v_max_i32_e32 v2, v1, v2
	v_mul_hi_u32 v3, v2, v56
	v_ashrrev_i32_e32 v1, 31, v1
	v_cmp_lt_i32_e64 s[0:1], s17, v0
	v_mul_lo_u32 v3, v3, s18
	v_sub_u32_e32 v2, v2, v3
	v_subrev_u32_e32 v3, s18, v2
	v_cmp_le_u32_e32 vcc, s18, v2
	v_cndmask_b32_e32 v2, v2, v3, vcc
	v_subrev_u32_e32 v3, s18, v2
	v_cmp_le_u32_e32 vcc, s18, v2
	v_cndmask_b32_e32 v2, v2, v3, vcc
	v_xor_b32_e32 v2, v2, v1
	v_sub_u32_e32 v1, v2, v1
	v_cmp_eq_u32_e32 vcc, 0, v1
	s_or_b64 s[0:1], vcc, s[0:1]
	s_and_saveexec_b64 s[12:13], s[0:1]
	s_cbranch_execz .LBB150_39
; %bb.41:                               ;   in Loop: Header=BB150_40 Depth=1
	global_load_dword v0, v[41:42], off
	buffer_load_dword v2, off, s[48:51], 0 offset:4 ; 4-byte Folded Reload
	s_waitcnt vmcnt(1)
	v_mad_i64_i32 v[0:1], s[0:1], v0, s28, 0
	v_cmp_eq_u32_e64 s[0:1], s30, v61
	v_lshlrev_b64 v[0:1], 1, v[0:1]
	s_waitcnt vmcnt(0)
	v_add_co_u32_e32 v13, vcc, v2, v0
	buffer_load_dword v0, off, s[48:51], 0 offset:8 ; 4-byte Folded Reload
	s_waitcnt vmcnt(0)
	v_addc_co_u32_e32 v14, vcc, v0, v1, vcc
	buffer_load_dword v0, off, s[48:51], 0  ; 4-byte Folded Reload
	global_load_dwordx4 v[1:4], v[13:14], off
	ds_read2_b64 v[33:36], v62 offset1:1
	ds_read2_b64 v[25:28], v62 offset0:2 offset1:3
	s_waitcnt vmcnt(1)
	v_add_u32_e32 v45, v0, v47
	v_add_u32_e32 v46, 1, v45
	v_or_b32_e32 v59, 3, v45
	v_or_b32_e32 v60, 2, v45
	;; [unrolled: 1-line block ×6, first 2 shown]
	s_and_saveexec_b64 s[14:15], s[0:1]
	s_cbranch_execnz .LBB150_54
; %bb.42:                               ;   in Loop: Header=BB150_40 Depth=1
	s_or_b64 exec, exec, s[14:15]
	global_load_dwordx4 v[5:8], v[13:14], off offset:1024
	s_and_saveexec_b64 s[14:15], s[0:1]
	s_cbranch_execnz .LBB150_55
.LBB150_43:                             ;   in Loop: Header=BB150_40 Depth=1
	s_or_b64 exec, exec, s[14:15]
	global_load_dwordx4 v[9:12], v[13:14], off offset:2048
	s_and_saveexec_b64 s[14:15], s[0:1]
	s_cbranch_execnz .LBB150_56
.LBB150_44:                             ;   in Loop: Header=BB150_40 Depth=1
	s_or_b64 exec, exec, s[14:15]
	global_load_dwordx4 v[17:20], v[13:14], off offset:3072
	s_and_saveexec_b64 s[14:15], s[0:1]
	s_cbranch_execz .LBB150_46
.LBB150_45:                             ;   in Loop: Header=BB150_40 Depth=1
	v_cmp_gt_i32_e32 vcc, s29, v46
	s_waitcnt vmcnt(0)
	v_cndmask_b32_sdwa v15, v44, v17, vcc dst_sel:DWORD dst_unused:UNUSED_PAD src0_sel:DWORD src1_sel:WORD_1
	v_cmp_gt_i32_e32 vcc, s33, v45
	v_cndmask_b32_e32 v16, 0, v17, vcc
	v_cmp_gt_i32_e32 vcc, s29, v59
	v_cmp_gt_i32_e64 s[2:3], s33, v60
	v_perm_b32 v17, v15, v16, s24
	v_cndmask_b32_e64 v15, 0, v18, s[2:3]
	v_cndmask_b32_sdwa v16, v44, v18, vcc dst_sel:DWORD dst_unused:UNUSED_PAD src0_sel:DWORD src1_sel:WORD_1
	v_cmp_gt_i32_e32 vcc, s29, v57
	v_cmp_gt_i32_e64 s[2:3], s33, v0
	v_perm_b32 v18, v16, v15, s24
	v_cndmask_b32_e64 v15, 0, v19, s[2:3]
	v_cndmask_b32_sdwa v16, v44, v19, vcc dst_sel:DWORD dst_unused:UNUSED_PAD src0_sel:DWORD src1_sel:WORD_1
	;; [unrolled: 5-line block ×3, first 2 shown]
	v_perm_b32 v20, v16, v15, s24
.LBB150_46:                             ;   in Loop: Header=BB150_40 Depth=1
	s_or_b64 exec, exec, s[14:15]
	v_add_co_u32_e32 v15, vcc, 0x1000, v13
	v_addc_co_u32_e32 v16, vcc, 0, v14, vcc
	global_load_dwordx4 v[21:24], v[15:16], off
	s_and_saveexec_b64 s[14:15], s[0:1]
	s_cbranch_execz .LBB150_48
; %bb.47:                               ;   in Loop: Header=BB150_40 Depth=1
	v_cmp_gt_i32_e32 vcc, s29, v46
	s_waitcnt vmcnt(0)
	v_cndmask_b32_sdwa v15, v44, v21, vcc dst_sel:DWORD dst_unused:UNUSED_PAD src0_sel:DWORD src1_sel:WORD_1
	v_cmp_gt_i32_e32 vcc, s33, v45
	v_cndmask_b32_e32 v16, 0, v21, vcc
	v_cmp_gt_i32_e32 vcc, s29, v59
	v_cmp_gt_i32_e64 s[2:3], s33, v60
	v_perm_b32 v21, v15, v16, s24
	v_cndmask_b32_e64 v15, 0, v22, s[2:3]
	v_cndmask_b32_sdwa v16, v44, v22, vcc dst_sel:DWORD dst_unused:UNUSED_PAD src0_sel:DWORD src1_sel:WORD_1
	v_cmp_gt_i32_e32 vcc, s29, v57
	v_cmp_gt_i32_e64 s[2:3], s33, v0
	v_perm_b32 v22, v16, v15, s24
	v_cndmask_b32_e64 v15, 0, v23, s[2:3]
	v_cndmask_b32_sdwa v16, v44, v23, vcc dst_sel:DWORD dst_unused:UNUSED_PAD src0_sel:DWORD src1_sel:WORD_1
	v_cmp_gt_i32_e32 vcc, s29, v63
	v_cmp_gt_i32_e64 s[2:3], s33, v48
	v_perm_b32 v23, v16, v15, s24
	v_cndmask_b32_e64 v15, 0, v24, s[2:3]
	v_cndmask_b32_sdwa v16, v44, v24, vcc dst_sel:DWORD dst_unused:UNUSED_PAD src0_sel:DWORD src1_sel:WORD_1
	v_perm_b32 v24, v16, v15, s24
.LBB150_48:                             ;   in Loop: Header=BB150_40 Depth=1
	s_or_b64 exec, exec, s[14:15]
	v_add_co_u32_e32 v15, vcc, 0x1000, v13
	v_addc_co_u32_e32 v16, vcc, 0, v14, vcc
	global_load_dwordx4 v[29:32], v[15:16], off offset:1024
	s_and_saveexec_b64 s[14:15], s[0:1]
	s_cbranch_execz .LBB150_50
; %bb.49:                               ;   in Loop: Header=BB150_40 Depth=1
	v_cmp_gt_i32_e32 vcc, s29, v46
	s_waitcnt vmcnt(0)
	v_cndmask_b32_sdwa v15, v44, v29, vcc dst_sel:DWORD dst_unused:UNUSED_PAD src0_sel:DWORD src1_sel:WORD_1
	v_cmp_gt_i32_e32 vcc, s33, v45
	v_cndmask_b32_e32 v16, 0, v29, vcc
	v_cmp_gt_i32_e32 vcc, s29, v59
	v_cmp_gt_i32_e64 s[2:3], s33, v60
	v_perm_b32 v29, v15, v16, s24
	v_cndmask_b32_e64 v15, 0, v30, s[2:3]
	v_cndmask_b32_sdwa v16, v44, v30, vcc dst_sel:DWORD dst_unused:UNUSED_PAD src0_sel:DWORD src1_sel:WORD_1
	v_cmp_gt_i32_e32 vcc, s29, v57
	v_cmp_gt_i32_e64 s[2:3], s33, v0
	v_perm_b32 v30, v16, v15, s24
	v_cndmask_b32_e64 v15, 0, v31, s[2:3]
	v_cndmask_b32_sdwa v16, v44, v31, vcc dst_sel:DWORD dst_unused:UNUSED_PAD src0_sel:DWORD src1_sel:WORD_1
	v_cmp_gt_i32_e32 vcc, s29, v63
	v_cmp_gt_i32_e64 s[2:3], s33, v48
	v_perm_b32 v31, v16, v15, s24
	v_cndmask_b32_e64 v15, 0, v32, s[2:3]
	v_cndmask_b32_sdwa v16, v44, v32, vcc dst_sel:DWORD dst_unused:UNUSED_PAD src0_sel:DWORD src1_sel:WORD_1
	v_perm_b32 v32, v16, v15, s24
.LBB150_50:                             ;   in Loop: Header=BB150_40 Depth=1
	s_or_b64 exec, exec, s[14:15]
	v_add_co_u32_e32 v15, vcc, 0x1000, v13
	v_addc_co_u32_e32 v16, vcc, 0, v14, vcc
	global_load_dwordx4 v[37:40], v[15:16], off offset:2048
	;; [unrolled: 29-line block ×3, first 2 shown]
	s_and_saveexec_b64 s[2:3], s[0:1]
	s_cbranch_execz .LBB150_38
; %bb.53:                               ;   in Loop: Header=BB150_40 Depth=1
	v_cmp_gt_i32_e32 vcc, s29, v46
	s_waitcnt vmcnt(0)
	v_cndmask_b32_sdwa v46, v44, v13, vcc dst_sel:DWORD dst_unused:UNUSED_PAD src0_sel:DWORD src1_sel:WORD_1
	v_cmp_gt_i32_e32 vcc, s33, v45
	v_cndmask_b32_e32 v13, 0, v13, vcc
	v_cmp_gt_i32_e32 vcc, s29, v59
	v_cmp_gt_i32_e64 s[0:1], s33, v60
	v_cndmask_b32_e64 v45, 0, v14, s[0:1]
	v_cndmask_b32_sdwa v14, v44, v14, vcc dst_sel:DWORD dst_unused:UNUSED_PAD src0_sel:DWORD src1_sel:WORD_1
	v_cmp_gt_i32_e32 vcc, s29, v57
	v_cmp_gt_i32_e64 s[0:1], s33, v0
	v_cndmask_b32_e64 v0, 0, v15, s[0:1]
	v_cndmask_b32_sdwa v15, v44, v15, vcc dst_sel:DWORD dst_unused:UNUSED_PAD src0_sel:DWORD src1_sel:WORD_1
	v_cmp_gt_i32_e32 vcc, s29, v63
	v_cmp_gt_i32_e64 s[0:1], s33, v48
	v_perm_b32 v15, v15, v0, s24
	v_cndmask_b32_e64 v0, 0, v16, s[0:1]
	v_cndmask_b32_sdwa v16, v44, v16, vcc dst_sel:DWORD dst_unused:UNUSED_PAD src0_sel:DWORD src1_sel:WORD_1
	v_perm_b32 v13, v46, v13, s24
	v_perm_b32 v14, v14, v45, s24
	v_perm_b32 v16, v16, v0, s24
	s_branch .LBB150_38
.LBB150_54:                             ;   in Loop: Header=BB150_40 Depth=1
	v_cmp_gt_i32_e32 vcc, s29, v46
	s_waitcnt vmcnt(0)
	v_cndmask_b32_sdwa v5, v44, v1, vcc dst_sel:DWORD dst_unused:UNUSED_PAD src0_sel:DWORD src1_sel:WORD_1
	v_cmp_gt_i32_e32 vcc, s33, v45
	v_cndmask_b32_e32 v1, 0, v1, vcc
	v_cmp_gt_i32_e32 vcc, s29, v59
	v_cmp_gt_i32_e64 s[2:3], s33, v60
	v_perm_b32 v1, v5, v1, s24
	v_cndmask_b32_e64 v5, 0, v2, s[2:3]
	v_cndmask_b32_sdwa v2, v44, v2, vcc dst_sel:DWORD dst_unused:UNUSED_PAD src0_sel:DWORD src1_sel:WORD_1
	v_cmp_gt_i32_e32 vcc, s29, v57
	v_cmp_gt_i32_e64 s[2:3], s33, v0
	v_perm_b32 v2, v2, v5, s24
	v_cndmask_b32_e64 v5, 0, v3, s[2:3]
	v_cndmask_b32_sdwa v3, v44, v3, vcc dst_sel:DWORD dst_unused:UNUSED_PAD src0_sel:DWORD src1_sel:WORD_1
	;; [unrolled: 5-line block ×3, first 2 shown]
	v_perm_b32 v4, v4, v5, s24
	s_or_b64 exec, exec, s[14:15]
	global_load_dwordx4 v[5:8], v[13:14], off offset:1024
	s_and_saveexec_b64 s[14:15], s[0:1]
	s_cbranch_execz .LBB150_43
.LBB150_55:                             ;   in Loop: Header=BB150_40 Depth=1
	v_cmp_gt_i32_e32 vcc, s29, v46
	s_waitcnt vmcnt(0)
	v_cndmask_b32_sdwa v9, v44, v5, vcc dst_sel:DWORD dst_unused:UNUSED_PAD src0_sel:DWORD src1_sel:WORD_1
	v_cmp_gt_i32_e32 vcc, s33, v45
	v_cndmask_b32_e32 v5, 0, v5, vcc
	v_cmp_gt_i32_e32 vcc, s29, v59
	v_cmp_gt_i32_e64 s[2:3], s33, v60
	v_perm_b32 v5, v9, v5, s24
	v_cndmask_b32_e64 v9, 0, v6, s[2:3]
	v_cndmask_b32_sdwa v6, v44, v6, vcc dst_sel:DWORD dst_unused:UNUSED_PAD src0_sel:DWORD src1_sel:WORD_1
	v_cmp_gt_i32_e32 vcc, s29, v57
	v_cmp_gt_i32_e64 s[2:3], s33, v0
	v_perm_b32 v6, v6, v9, s24
	v_cndmask_b32_e64 v9, 0, v7, s[2:3]
	v_cndmask_b32_sdwa v7, v44, v7, vcc dst_sel:DWORD dst_unused:UNUSED_PAD src0_sel:DWORD src1_sel:WORD_1
	;; [unrolled: 5-line block ×3, first 2 shown]
	v_perm_b32 v8, v8, v9, s24
	s_or_b64 exec, exec, s[14:15]
	global_load_dwordx4 v[9:12], v[13:14], off offset:2048
	s_and_saveexec_b64 s[14:15], s[0:1]
	s_cbranch_execz .LBB150_44
.LBB150_56:                             ;   in Loop: Header=BB150_40 Depth=1
	v_cmp_gt_i32_e32 vcc, s29, v46
	s_waitcnt vmcnt(0)
	v_cndmask_b32_sdwa v15, v44, v9, vcc dst_sel:DWORD dst_unused:UNUSED_PAD src0_sel:DWORD src1_sel:WORD_1
	v_cmp_gt_i32_e32 vcc, s33, v45
	v_cndmask_b32_e32 v9, 0, v9, vcc
	v_cmp_gt_i32_e32 vcc, s29, v59
	v_cmp_gt_i32_e64 s[2:3], s33, v60
	v_perm_b32 v9, v15, v9, s24
	v_cndmask_b32_e64 v15, 0, v10, s[2:3]
	v_cndmask_b32_sdwa v10, v44, v10, vcc dst_sel:DWORD dst_unused:UNUSED_PAD src0_sel:DWORD src1_sel:WORD_1
	v_cmp_gt_i32_e32 vcc, s29, v57
	v_cmp_gt_i32_e64 s[2:3], s33, v0
	v_perm_b32 v10, v10, v15, s24
	v_cndmask_b32_e64 v15, 0, v11, s[2:3]
	v_cndmask_b32_sdwa v11, v44, v11, vcc dst_sel:DWORD dst_unused:UNUSED_PAD src0_sel:DWORD src1_sel:WORD_1
	;; [unrolled: 5-line block ×3, first 2 shown]
	v_perm_b32 v12, v12, v15, s24
	s_or_b64 exec, exec, s[14:15]
	global_load_dwordx4 v[17:20], v[13:14], off offset:3072
	s_and_saveexec_b64 s[14:15], s[0:1]
	s_cbranch_execnz .LBB150_45
	s_branch .LBB150_46
.LBB150_57:
	s_or_b64 exec, exec, s[6:7]
	buffer_load_dword v15, off, s[48:51], 0 offset:12 ; 4-byte Folded Reload
	buffer_load_dword v12, off, s[48:51], 0 offset:16 ; 4-byte Folded Reload
	;; [unrolled: 1-line block ×4, first 2 shown]
.LBB150_58:
	s_or_b64 exec, exec, s[4:5]
	s_waitcnt vmcnt(2)
	ds_bpermute_b32 v0, v12, v55
	ds_bpermute_b32 v1, v12, v51
	ds_bpermute_b32 v2, v12, v54
	ds_bpermute_b32 v8, v12, v53
	s_waitcnt lgkmcnt(0)
	v_add_f32_e32 v0, v55, v0
	s_waitcnt vmcnt(1)
	ds_bpermute_b32 v3, v14, v0
	v_add_f32_e32 v1, v51, v1
	v_add_f32_e32 v6, v54, v2
	ds_bpermute_b32 v5, v14, v1
	ds_bpermute_b32 v7, v14, v6
	s_waitcnt lgkmcnt(2)
	v_add_f32_e32 v4, v0, v3
	ds_bpermute_b32 v0, v12, v52
	v_add_f32_e32 v3, v53, v8
	s_waitcnt lgkmcnt(2)
	v_add_f32_e32 v2, v1, v5
	s_waitcnt lgkmcnt(1)
	v_add_f32_e32 v1, v6, v7
	ds_bpermute_b32 v6, v12, v50
	s_waitcnt lgkmcnt(1)
	v_add_f32_e32 v0, v52, v0
	ds_bpermute_b32 v8, v14, v0
	s_waitcnt vmcnt(0) lgkmcnt(0)
	s_barrier
	v_add_f32_e32 v10, v50, v6
	ds_bpermute_b32 v7, v12, v49
	v_add_f32_e32 v6, v0, v8
	buffer_load_dword v8, off, s[48:51], 0 offset:24 ; 4-byte Folded Reload
	ds_bpermute_b32 v9, v12, v43
	ds_bpermute_b32 v5, v14, v3
	s_waitcnt lgkmcnt(2)
	v_add_f32_e32 v12, v49, v7
	ds_bpermute_b32 v11, v14, v10
	ds_bpermute_b32 v13, v14, v12
	s_waitcnt lgkmcnt(3)
	v_add_f32_e32 v9, v43, v9
	ds_bpermute_b32 v14, v14, v9
	s_waitcnt lgkmcnt(3)
	v_add_f32_e32 v7, v3, v5
	s_waitcnt lgkmcnt(2)
	v_add_f32_e32 v5, v10, v11
	;; [unrolled: 2-line block ×4, first 2 shown]
	s_waitcnt vmcnt(0)
	v_and_b32_e32 v9, 0x3c3, v8
	v_cmp_eq_u32_e32 vcc, 64, v9
	s_and_saveexec_b64 s[0:1], vcc
	s_cbranch_execz .LBB150_60
; %bb.59:
	v_add_u32_e32 v8, 0x110, v15
	ds_write2_b32 v8, v4, v2 offset1:16
	ds_write2_b32 v8, v1, v7 offset0:32 offset1:48
	ds_write2_b32 v8, v6, v5 offset0:64 offset1:80
	;; [unrolled: 1-line block ×3, first 2 shown]
.LBB150_60:
	s_or_b64 exec, exec, s[0:1]
	buffer_load_dword v8, off, s[48:51], 0 offset:24 ; 4-byte Folded Reload
	s_waitcnt vmcnt(0) lgkmcnt(0)
	s_barrier
	v_cmp_gt_u32_e32 vcc, 64, v8
	v_lshrrev_b32_e32 v8, 2, v8
	s_and_saveexec_b64 s[0:1], vcc
	s_cbranch_execz .LBB150_71
; %bb.61:
	v_mov_b32_e32 v10, 0x110
	v_cmp_eq_u32_e32 vcc, 0, v16
	v_lshl_add_u32 v10, v8, 2, v10
	s_and_saveexec_b64 s[2:3], vcc
	s_cbranch_execnz .LBB150_74
; %bb.62:
	s_or_b64 exec, exec, s[2:3]
	s_and_saveexec_b64 s[2:3], vcc
	s_cbranch_execnz .LBB150_75
.LBB150_63:
	s_or_b64 exec, exec, s[2:3]
	s_and_saveexec_b64 s[2:3], vcc
	s_cbranch_execnz .LBB150_76
.LBB150_64:
	s_or_b64 exec, exec, s[2:3]
	s_and_saveexec_b64 s[2:3], vcc
	s_cbranch_execnz .LBB150_77
.LBB150_65:
	s_or_b64 exec, exec, s[2:3]
	s_and_saveexec_b64 s[2:3], vcc
	s_cbranch_execnz .LBB150_78
.LBB150_66:
	s_or_b64 exec, exec, s[2:3]
	s_and_saveexec_b64 s[2:3], vcc
	s_cbranch_execnz .LBB150_79
.LBB150_67:
	s_or_b64 exec, exec, s[2:3]
	s_and_saveexec_b64 s[2:3], vcc
	s_cbranch_execnz .LBB150_80
.LBB150_68:
	s_or_b64 exec, exec, s[2:3]
	s_and_saveexec_b64 s[2:3], vcc
	s_cbranch_execz .LBB150_70
.LBB150_69:
	ds_read_b32 v10, v10 offset:448
	s_waitcnt lgkmcnt(0)
	v_add_f32_e32 v0, v0, v10
.LBB150_70:
	s_or_b64 exec, exec, s[2:3]
.LBB150_71:
	s_or_b64 exec, exec, s[0:1]
	v_cmp_eq_u32_e32 vcc, 0, v9
	s_barrier
	s_and_saveexec_b64 s[0:1], vcc
	s_cbranch_execz .LBB150_73
; %bb.72:
	s_mul_i32 s0, s10, s11
	s_mul_i32 s0, s0, s9
	s_lshl_b32 s0, s0, 7
	s_ashr_i32 s1, s0, 31
	s_lshl_b64 s[0:1], s[0:1], 1
	s_add_u32 s2, s22, s0
	s_mul_i32 s0, s11, s20
	s_addc_u32 s3, s23, s1
	s_ashr_i32 s1, s0, 31
	s_lshl_b64 s[0:1], s[0:1], 1
	s_add_u32 s2, s2, s0
	s_addc_u32 s3, s3, s1
	s_lshl_b32 s0, s8, 7
	s_ashr_i32 s1, s0, 31
	s_lshl_b64 s[0:1], s[0:1], 1
	s_add_u32 s0, s2, s0
	v_bfe_u32 v9, v4, 16, 1
	s_movk_i32 s2, 0x7fff
	v_add3_u32 v9, v9, v4, s2
	v_or_b32_e32 v10, 0x400000, v4
	v_cmp_u_f32_e32 vcc, v4, v4
	s_addc_u32 s1, s3, s1
	v_lshlrev_b32_e32 v8, 1, v8
	v_cndmask_b32_e32 v4, v9, v10, vcc
	global_store_short_d16_hi v8, v4, s[0:1]
	v_bfe_u32 v4, v2, 16, 1
	v_add3_u32 v4, v4, v2, s2
	v_or_b32_e32 v9, 0x400000, v2
	v_cmp_u_f32_e32 vcc, v2, v2
	v_cndmask_b32_e32 v2, v4, v9, vcc
	global_store_short_d16_hi v8, v2, s[0:1] offset:32
	v_bfe_u32 v2, v1, 16, 1
	v_add3_u32 v2, v2, v1, s2
	v_or_b32_e32 v4, 0x400000, v1
	v_cmp_u_f32_e32 vcc, v1, v1
	v_cndmask_b32_e32 v1, v2, v4, vcc
	global_store_short_d16_hi v8, v1, s[0:1] offset:64
	v_bfe_u32 v1, v7, 16, 1
	v_add3_u32 v1, v1, v7, s2
	v_or_b32_e32 v2, 0x400000, v7
	v_cmp_u_f32_e32 vcc, v7, v7
	v_cndmask_b32_e32 v1, v1, v2, vcc
	global_store_short_d16_hi v8, v1, s[0:1] offset:96
	v_bfe_u32 v1, v6, 16, 1
	v_add3_u32 v1, v1, v6, s2
	v_or_b32_e32 v2, 0x400000, v6
	v_cmp_u_f32_e32 vcc, v6, v6
	v_cndmask_b32_e32 v1, v1, v2, vcc
	global_store_short_d16_hi v8, v1, s[0:1] offset:128
	v_bfe_u32 v1, v5, 16, 1
	v_add3_u32 v1, v1, v5, s2
	v_or_b32_e32 v2, 0x400000, v5
	v_cmp_u_f32_e32 vcc, v5, v5
	v_cndmask_b32_e32 v1, v1, v2, vcc
	global_store_short_d16_hi v8, v1, s[0:1] offset:160
	v_bfe_u32 v1, v3, 16, 1
	v_add3_u32 v1, v1, v3, s2
	v_or_b32_e32 v2, 0x400000, v3
	v_cmp_u_f32_e32 vcc, v3, v3
	v_cndmask_b32_e32 v1, v1, v2, vcc
	global_store_short_d16_hi v8, v1, s[0:1] offset:192
	v_bfe_u32 v1, v0, 16, 1
	v_add3_u32 v1, v1, v0, s2
	v_or_b32_e32 v2, 0x400000, v0
	v_cmp_u_f32_e32 vcc, v0, v0
	v_cndmask_b32_e32 v0, v1, v2, vcc
	global_store_short_d16_hi v8, v0, s[0:1] offset:224
.LBB150_73:
	s_endpgm
.LBB150_74:
	ds_read_b32 v11, v10
	s_waitcnt lgkmcnt(0)
	v_add_f32_e32 v4, v4, v11
	s_or_b64 exec, exec, s[2:3]
	s_and_saveexec_b64 s[2:3], vcc
	s_cbranch_execz .LBB150_63
.LBB150_75:
	ds_read_b32 v11, v10 offset:64
	s_waitcnt lgkmcnt(0)
	v_add_f32_e32 v2, v2, v11
	s_or_b64 exec, exec, s[2:3]
	s_and_saveexec_b64 s[2:3], vcc
	s_cbranch_execz .LBB150_64
.LBB150_76:
	ds_read_b32 v11, v10 offset:128
	s_waitcnt lgkmcnt(0)
	v_add_f32_e32 v1, v1, v11
	s_or_b64 exec, exec, s[2:3]
	s_and_saveexec_b64 s[2:3], vcc
	s_cbranch_execz .LBB150_65
.LBB150_77:
	ds_read_b32 v11, v10 offset:192
	s_waitcnt lgkmcnt(0)
	v_add_f32_e32 v7, v7, v11
	s_or_b64 exec, exec, s[2:3]
	s_and_saveexec_b64 s[2:3], vcc
	s_cbranch_execz .LBB150_66
.LBB150_78:
	ds_read_b32 v11, v10 offset:256
	s_waitcnt lgkmcnt(0)
	v_add_f32_e32 v6, v6, v11
	s_or_b64 exec, exec, s[2:3]
	s_and_saveexec_b64 s[2:3], vcc
	s_cbranch_execz .LBB150_67
.LBB150_79:
	ds_read_b32 v11, v10 offset:320
	s_waitcnt lgkmcnt(0)
	v_add_f32_e32 v5, v5, v11
	s_or_b64 exec, exec, s[2:3]
	s_and_saveexec_b64 s[2:3], vcc
	s_cbranch_execz .LBB150_68
.LBB150_80:
	ds_read_b32 v11, v10 offset:384
	s_waitcnt lgkmcnt(0)
	v_add_f32_e32 v3, v3, v11
	s_or_b64 exec, exec, s[2:3]
	s_and_saveexec_b64 s[2:3], vcc
	s_cbranch_execnz .LBB150_69
	s_branch .LBB150_70
	.section	.rodata,"a",@progbits
	.p2align	6, 0x0
	.amdhsa_kernel _ZN4vllm25paged_attention_v1_kernelI14__hip_bfloat16S1_Li128ELi32ELi128ELNS_18Fp8KVCacheDataTypeE0ELb1EEEvPT_PKS3_PKT0_S9_ifPKiSB_iPKfiiiSD_SD_iiiii
		.amdhsa_group_segment_fixed_size 272
		.amdhsa_private_segment_fixed_size 84
		.amdhsa_kernarg_size 384
		.amdhsa_user_sgpr_count 6
		.amdhsa_user_sgpr_private_segment_buffer 1
		.amdhsa_user_sgpr_dispatch_ptr 0
		.amdhsa_user_sgpr_queue_ptr 0
		.amdhsa_user_sgpr_kernarg_segment_ptr 1
		.amdhsa_user_sgpr_dispatch_id 0
		.amdhsa_user_sgpr_flat_scratch_init 0
		.amdhsa_user_sgpr_private_segment_size 0
		.amdhsa_uses_dynamic_stack 0
		.amdhsa_system_sgpr_private_segment_wavefront_offset 1
		.amdhsa_system_sgpr_workgroup_id_x 1
		.amdhsa_system_sgpr_workgroup_id_y 1
		.amdhsa_system_sgpr_workgroup_id_z 1
		.amdhsa_system_sgpr_workgroup_info 0
		.amdhsa_system_vgpr_workitem_id 0
		.amdhsa_next_free_vgpr 64
		.amdhsa_next_free_sgpr 52
		.amdhsa_reserve_vcc 1
		.amdhsa_reserve_flat_scratch 0
		.amdhsa_float_round_mode_32 0
		.amdhsa_float_round_mode_16_64 0
		.amdhsa_float_denorm_mode_32 3
		.amdhsa_float_denorm_mode_16_64 3
		.amdhsa_dx10_clamp 1
		.amdhsa_ieee_mode 1
		.amdhsa_fp16_overflow 0
		.amdhsa_exception_fp_ieee_invalid_op 0
		.amdhsa_exception_fp_denorm_src 0
		.amdhsa_exception_fp_ieee_div_zero 0
		.amdhsa_exception_fp_ieee_overflow 0
		.amdhsa_exception_fp_ieee_underflow 0
		.amdhsa_exception_fp_ieee_inexact 0
		.amdhsa_exception_int_div_zero 0
	.end_amdhsa_kernel
	.section	.text._ZN4vllm25paged_attention_v1_kernelI14__hip_bfloat16S1_Li128ELi32ELi128ELNS_18Fp8KVCacheDataTypeE0ELb1EEEvPT_PKS3_PKT0_S9_ifPKiSB_iPKfiiiSD_SD_iiiii,"axG",@progbits,_ZN4vllm25paged_attention_v1_kernelI14__hip_bfloat16S1_Li128ELi32ELi128ELNS_18Fp8KVCacheDataTypeE0ELb1EEEvPT_PKS3_PKT0_S9_ifPKiSB_iPKfiiiSD_SD_iiiii,comdat
.Lfunc_end150:
	.size	_ZN4vllm25paged_attention_v1_kernelI14__hip_bfloat16S1_Li128ELi32ELi128ELNS_18Fp8KVCacheDataTypeE0ELb1EEEvPT_PKS3_PKT0_S9_ifPKiSB_iPKfiiiSD_SD_iiiii, .Lfunc_end150-_ZN4vllm25paged_attention_v1_kernelI14__hip_bfloat16S1_Li128ELi32ELi128ELNS_18Fp8KVCacheDataTypeE0ELb1EEEvPT_PKS3_PKT0_S9_ifPKiSB_iPKfiiiSD_SD_iiiii
                                        ; -- End function
	.set _ZN4vllm25paged_attention_v1_kernelI14__hip_bfloat16S1_Li128ELi32ELi128ELNS_18Fp8KVCacheDataTypeE0ELb1EEEvPT_PKS3_PKT0_S9_ifPKiSB_iPKfiiiSD_SD_iiiii.num_vgpr, 64
	.set _ZN4vllm25paged_attention_v1_kernelI14__hip_bfloat16S1_Li128ELi32ELi128ELNS_18Fp8KVCacheDataTypeE0ELb1EEEvPT_PKS3_PKT0_S9_ifPKiSB_iPKfiiiSD_SD_iiiii.num_agpr, 0
	.set _ZN4vllm25paged_attention_v1_kernelI14__hip_bfloat16S1_Li128ELi32ELi128ELNS_18Fp8KVCacheDataTypeE0ELb1EEEvPT_PKS3_PKT0_S9_ifPKiSB_iPKfiiiSD_SD_iiiii.numbered_sgpr, 52
	.set _ZN4vllm25paged_attention_v1_kernelI14__hip_bfloat16S1_Li128ELi32ELi128ELNS_18Fp8KVCacheDataTypeE0ELb1EEEvPT_PKS3_PKT0_S9_ifPKiSB_iPKfiiiSD_SD_iiiii.num_named_barrier, 0
	.set _ZN4vllm25paged_attention_v1_kernelI14__hip_bfloat16S1_Li128ELi32ELi128ELNS_18Fp8KVCacheDataTypeE0ELb1EEEvPT_PKS3_PKT0_S9_ifPKiSB_iPKfiiiSD_SD_iiiii.private_seg_size, 84
	.set _ZN4vllm25paged_attention_v1_kernelI14__hip_bfloat16S1_Li128ELi32ELi128ELNS_18Fp8KVCacheDataTypeE0ELb1EEEvPT_PKS3_PKT0_S9_ifPKiSB_iPKfiiiSD_SD_iiiii.uses_vcc, 1
	.set _ZN4vllm25paged_attention_v1_kernelI14__hip_bfloat16S1_Li128ELi32ELi128ELNS_18Fp8KVCacheDataTypeE0ELb1EEEvPT_PKS3_PKT0_S9_ifPKiSB_iPKfiiiSD_SD_iiiii.uses_flat_scratch, 0
	.set _ZN4vllm25paged_attention_v1_kernelI14__hip_bfloat16S1_Li128ELi32ELi128ELNS_18Fp8KVCacheDataTypeE0ELb1EEEvPT_PKS3_PKT0_S9_ifPKiSB_iPKfiiiSD_SD_iiiii.has_dyn_sized_stack, 0
	.set _ZN4vllm25paged_attention_v1_kernelI14__hip_bfloat16S1_Li128ELi32ELi128ELNS_18Fp8KVCacheDataTypeE0ELb1EEEvPT_PKS3_PKT0_S9_ifPKiSB_iPKfiiiSD_SD_iiiii.has_recursion, 0
	.set _ZN4vllm25paged_attention_v1_kernelI14__hip_bfloat16S1_Li128ELi32ELi128ELNS_18Fp8KVCacheDataTypeE0ELb1EEEvPT_PKS3_PKT0_S9_ifPKiSB_iPKfiiiSD_SD_iiiii.has_indirect_call, 0
	.section	.AMDGPU.csdata,"",@progbits
; Kernel info:
; codeLenInByte = 11160
; TotalNumSgprs: 56
; NumVgprs: 64
; ScratchSize: 84
; MemoryBound: 0
; FloatMode: 240
; IeeeMode: 1
; LDSByteSize: 272 bytes/workgroup (compile time only)
; SGPRBlocks: 6
; VGPRBlocks: 15
; NumSGPRsForWavesPerEU: 56
; NumVGPRsForWavesPerEU: 64
; Occupancy: 4
; WaveLimiterHint : 1
; COMPUTE_PGM_RSRC2:SCRATCH_EN: 1
; COMPUTE_PGM_RSRC2:USER_SGPR: 6
; COMPUTE_PGM_RSRC2:TRAP_HANDLER: 0
; COMPUTE_PGM_RSRC2:TGID_X_EN: 1
; COMPUTE_PGM_RSRC2:TGID_Y_EN: 1
; COMPUTE_PGM_RSRC2:TGID_Z_EN: 1
; COMPUTE_PGM_RSRC2:TIDIG_COMP_CNT: 0
	.section	.text._ZN4vllm25paged_attention_v1_kernelI14__hip_bfloat16S1_Li192ELi32ELi128ELNS_18Fp8KVCacheDataTypeE0ELb1EEEvPT_PKS3_PKT0_S9_ifPKiSB_iPKfiiiSD_SD_iiiii,"axG",@progbits,_ZN4vllm25paged_attention_v1_kernelI14__hip_bfloat16S1_Li192ELi32ELi128ELNS_18Fp8KVCacheDataTypeE0ELb1EEEvPT_PKS3_PKT0_S9_ifPKiSB_iPKfiiiSD_SD_iiiii,comdat
	.protected	_ZN4vllm25paged_attention_v1_kernelI14__hip_bfloat16S1_Li192ELi32ELi128ELNS_18Fp8KVCacheDataTypeE0ELb1EEEvPT_PKS3_PKT0_S9_ifPKiSB_iPKfiiiSD_SD_iiiii ; -- Begin function _ZN4vllm25paged_attention_v1_kernelI14__hip_bfloat16S1_Li192ELi32ELi128ELNS_18Fp8KVCacheDataTypeE0ELb1EEEvPT_PKS3_PKT0_S9_ifPKiSB_iPKfiiiSD_SD_iiiii
	.globl	_ZN4vllm25paged_attention_v1_kernelI14__hip_bfloat16S1_Li192ELi32ELi128ELNS_18Fp8KVCacheDataTypeE0ELb1EEEvPT_PKS3_PKT0_S9_ifPKiSB_iPKfiiiSD_SD_iiiii
	.p2align	8
	.type	_ZN4vllm25paged_attention_v1_kernelI14__hip_bfloat16S1_Li192ELi32ELi128ELNS_18Fp8KVCacheDataTypeE0ELb1EEEvPT_PKS3_PKT0_S9_ifPKiSB_iPKfiiiSD_SD_iiiii,@function
_ZN4vllm25paged_attention_v1_kernelI14__hip_bfloat16S1_Li192ELi32ELi128ELNS_18Fp8KVCacheDataTypeE0ELb1EEEvPT_PKS3_PKT0_S9_ifPKiSB_iPKfiiiSD_SD_iiiii: ; @_ZN4vllm25paged_attention_v1_kernelI14__hip_bfloat16S1_Li192ELi32ELi128ELNS_18Fp8KVCacheDataTypeE0ELb1EEEvPT_PKS3_PKT0_S9_ifPKiSB_iPKfiiiSD_SD_iiiii
; %bb.0:
	s_mov_b64 s[50:51], s[2:3]
	s_mov_b64 s[48:49], s[0:1]
	s_add_u32 s48, s48, s9
	s_addc_u32 s49, s49, 0
	buffer_store_dword v0, off, s[48:51], 0 offset:168 ; 4-byte Folded Spill
	s_load_dword s9, s[4:5], 0x80
	s_load_dwordx2 s[0:1], s[4:5], 0x30
	s_load_dwordx2 s[30:31], s[4:5], 0x20
	s_mov_b32 s10, s7
	s_ashr_i32 s11, s7, 31
	s_lshl_b64 s[2:3], s[10:11], 2
	s_waitcnt lgkmcnt(0)
	s_add_u32 s0, s0, s2
	s_addc_u32 s1, s1, s3
	s_abs_i32 s2, s30
	v_cvt_f32_u32_e32 v0, s2
	s_sub_i32 s11, 0, s2
	s_abs_i32 s7, s9
	s_xor_b32 s3, s9, s30
	v_rcp_iflag_f32_e32 v0, v0
	s_ashr_i32 s3, s3, 31
	s_mov_b32 s42, 0
	v_mul_f32_e32 v0, 0x4f7ffffe, v0
	v_cvt_u32_f32_e32 v0, v0
	v_readfirstlane_b32 s12, v0
	s_mul_i32 s11, s11, s12
	s_mul_hi_u32 s11, s12, s11
	s_add_i32 s12, s12, s11
	s_mul_hi_u32 s11, s7, s12
	s_mul_i32 s12, s11, s2
	s_sub_i32 s7, s7, s12
	s_add_i32 s12, s11, 1
	s_sub_i32 s13, s7, s2
	s_cmp_ge_u32 s7, s2
	s_cselect_b32 s11, s12, s11
	s_cselect_b32 s7, s13, s7
	s_add_i32 s12, s11, 1
	s_cmp_ge_u32 s7, s2
	s_cselect_b32 s2, s12, s11
	s_xor_b32 s2, s2, s3
	s_sub_i32 s12, s2, s3
	s_abs_i32 s11, s12
	v_cvt_f32_u32_e32 v0, s11
	s_load_dwordx2 s[2:3], s[4:5], 0x40
	s_sub_i32 s7, 0, s11
	s_abs_i32 s22, s6
	v_rcp_iflag_f32_e32 v0, v0
	v_mul_f32_e32 v0, 0x4f7ffffe, v0
	v_cvt_u32_f32_e32 v0, v0
	v_readfirstlane_b32 s13, v0
	s_mul_i32 s7, s7, s13
	s_mul_hi_u32 s7, s13, s7
	s_add_i32 s13, s13, s7
	s_waitcnt lgkmcnt(0)
	s_cmp_eq_u64 s[2:3], 0
	s_mul_hi_u32 s23, s22, s13
	s_cbranch_scc1 .LBB151_2
; %bb.1:
	s_ashr_i32 s7, s6, 31
	s_lshl_b64 s[14:15], s[6:7], 2
	s_add_u32 s2, s2, s14
	s_addc_u32 s3, s3, s15
	s_load_dword s42, s[2:3], 0x0
.LBB151_2:
	buffer_load_dword v1, off, s[48:51], 0 offset:168 ; 4-byte Folded Reload
	s_load_dword s33, s[0:1], 0x0
	s_ashr_i32 s7, s12, 31
	s_load_dwordx4 s[12:15], s[4:5], 0x48
	s_ashr_i32 s2, s6, 31
	s_movk_i32 s3, 0xc0
	s_mul_i32 s20, s6, 0xc0
	s_waitcnt vmcnt(0)
	v_and_b32_e32 v0, 1, v1
	v_cmp_gt_u32_e32 vcc, 48, v1
	v_lshlrev_b32_e32 v15, 3, v1
	s_and_saveexec_b64 s[0:1], vcc
	s_cbranch_execz .LBB151_4
; %bb.3:
	s_load_dwordx2 s[16:17], s[4:5], 0x8
	s_waitcnt lgkmcnt(0)
	s_mul_i32 s18, s12, s10
	s_ashr_i32 s19, s18, 31
	s_lshl_b64 s[18:19], s[18:19], 1
	buffer_load_dword v3, off, s[48:51], 0 offset:168 ; 4-byte Folded Reload
	s_add_u32 s12, s16, s18
	s_addc_u32 s15, s17, s19
	s_ashr_i32 s21, s20, 31
	s_lshl_b64 s[16:17], s[20:21], 1
	s_add_u32 s16, s12, s16
	s_addc_u32 s17, s15, s17
	global_load_dwordx2 v[1:2], v15, s[16:17]
	s_waitcnt vmcnt(1)
	v_lshlrev_b32_e32 v3, 2, v3
	v_and_b32_e32 v3, 0xff8, v3
	v_mad_u32_u24 v3, v0, s3, v3
	s_waitcnt vmcnt(0)
	ds_write_b64 v3, v[1:2]
.LBB151_4:
	s_or_b64 exec, exec, s[0:1]
	s_mul_i32 s1, s23, s11
	s_sub_i32 s1, s22, s1
	s_xor_b32 s0, s2, s7
	s_add_i32 s2, s23, 1
	s_sub_i32 s7, s1, s11
	s_load_dwordx4 s[16:19], s[4:5], 0x68
	s_load_dword s3, s[4:5], 0x78
	s_cmp_ge_u32 s1, s11
	s_cselect_b32 s2, s2, s23
	s_cselect_b32 s1, s7, s1
	s_add_i32 s7, s2, 1
	s_cmp_ge_u32 s1, s11
	s_cselect_b32 s1, s7, s2
	s_waitcnt lgkmcnt(0)
	s_abs_i32 s21, s19
	v_cvt_f32_u32_e32 v1, s21
	s_xor_b32 s1, s1, s0
	s_sub_i32 s2, s1, s0
	s_sub_i32 s0, 0, s21
	v_rcp_iflag_f32_e32 v1, v1
	s_add_i32 s11, s33, -1
	s_abs_i32 s7, s11
	v_mul_f32_e32 v1, 0x4f7ffffe, v1
	v_cvt_u32_f32_e32 v1, v1
	s_barrier
	v_readfirstlane_b32 s40, v1
	s_mul_i32 s0, s0, s40
	s_mul_hi_u32 s0, s40, s0
	s_add_i32 s40, s40, s0
	s_cmp_lt_i32 s3, 0
	s_mul_hi_u32 s12, s7, s40
	s_cbranch_scc0 .LBB151_6
; %bb.5:
	s_mul_i32 s0, s16, s30
	s_add_i32 s0, s2, s0
	s_mul_i32 s0, s0, s3
	s_sub_i32 s41, 1, s0
	s_mov_b64 s[0:1], 0
	s_branch .LBB151_7
.LBB151_6:
	s_mov_b64 s[0:1], -1
                                        ; implicit-def: $sgpr41
.LBB151_7:
	s_load_dwordx2 s[24:25], s[4:5], 0x28
	s_ashr_i32 s15, s11, 31
	s_andn2_b64 vcc, exec, s[0:1]
	s_ashr_i32 s19, s19, 31
	s_cbranch_vccnz .LBB151_9
; %bb.8:
	s_mul_i32 s0, s9, s16
	s_add_i32 s0, s0, s6
	s_mul_i32 s0, s0, s3
	s_add_i32 s41, s0, 1
.LBB151_9:
	s_load_dword s0, s[4:5], 0x38
	s_load_dwordx2 s[22:23], s[4:5], 0x0
	s_load_dwordx2 s[28:29], s[4:5], 0x18
	s_load_dword s11, s[4:5], 0x88
	buffer_load_dword v1, off, s[48:51], 0 offset:168 ; 4-byte Folded Reload
	s_waitcnt lgkmcnt(0)
	s_mul_i32 s26, s0, s10
	s_mul_i32 s0, s12, s21
	s_sub_i32 s0, s7, s0
	s_xor_b32 s1, s15, s19
	s_ashr_i32 s27, s26, 31
	s_add_i32 s3, s12, 1
	s_sub_i32 s6, s0, s21
	s_cmp_ge_u32 s0, s21
	s_cselect_b32 s3, s3, s12
	s_cselect_b32 s0, s6, s0
	s_add_i32 s6, s3, 1
	s_cmp_ge_u32 s0, s21
	s_cselect_b32 s0, s6, s3
	s_xor_b32 s0, s0, s1
	s_sub_i32 s12, s0, s1
	s_add_i32 s0, s33, 31
	s_ashr_i32 s1, s0, 31
	s_lshr_b32 s1, s1, 27
	s_add_i32 s0, s0, s1
	s_ashr_i32 s16, s0, 5
	v_mov_b32_e32 v3, 0xff7fffff
	s_mul_i32 s14, s2, s14
	s_waitcnt vmcnt(0)
	v_lshrrev_b32_e32 v2, 6, v1
	v_lshrrev_b32_e32 v16, 4, v1
	v_lshlrev_b32_e32 v1, 5, v2
	v_cmp_gt_i32_e64 s[0:1], s16, v2
	buffer_store_dword v1, off, s[48:51], 0 offset:4 ; 4-byte Folded Spill
	v_mbcnt_lo_u32_b32 v1, -1, 0
	buffer_store_dword v2, off, s[48:51], 0 ; 4-byte Folded Spill
	s_and_saveexec_b64 s[34:35], s[0:1]
	s_cbranch_execz .LBB151_21
; %bb.10:
	buffer_load_dword v2, off, s[48:51], 0 offset:168 ; 4-byte Folded Reload
	buffer_load_dword v37, off, s[48:51], 0 ; 4-byte Folded Reload
	s_load_dwordx2 s[2:3], s[4:5], 0x10
	s_ashr_i32 s15, s14, 31
	s_sub_i32 s30, s12, s17
	s_lshl_b64 s[4:5], s[14:15], 1
	v_mov_b32_e32 v6, v1
	s_waitcnt lgkmcnt(0)
	s_add_u32 s2, s2, s4
	s_addc_u32 s3, s3, s5
	s_abs_i32 s15, s18
	v_cvt_f32_u32_e32 v1, s15
	v_mov_b32_e32 v4, s3
	s_sub_i32 s3, 0, s15
	s_lshl_b64 s[4:5], s[26:27], 2
	v_rcp_iflag_f32_e32 v1, v1
	s_add_u32 s4, s24, s4
	v_cmp_eq_u32_e32 vcc, 0, v0
	v_mul_u32_u24_e32 v28, 0xc0, v0
	v_mul_f32_e32 v1, 0x4f7ffffe, v1
	v_cvt_u32_f32_e32 v1, v1
	v_and_b32_e32 v0, 60, v16
	s_addc_u32 s5, s25, s5
	buffer_store_dword v15, off, s[48:51], 0 offset:208 ; 4-byte Folded Spill
	v_mul_lo_u32 v5, s3, v1
	buffer_store_dword v16, off, s[48:51], 0 offset:212 ; 4-byte Folded Spill
	s_mov_b32 s43, s13
	s_mov_b64 s[36:37], 0
	v_mul_hi_u32 v5, v1, v5
	s_movk_i32 s44, 0x1000
	s_movk_i32 s45, 0x2000
	s_waitcnt vmcnt(3)
	v_bfe_u32 v7, v2, 1, 5
	v_lshlrev_b32_e32 v3, 4, v7
	v_add_co_u32_e64 v3, s[2:3], s2, v3
	v_and_b32_e32 v2, 8, v15
	v_addc_co_u32_e64 v4, s[2:3], 0, v4, s[2:3]
	v_add_co_u32_e64 v2, s[2:3], v3, v2
	buffer_store_dword v2, off, s[48:51], 0 offset:176 ; 4-byte Folded Spill
	v_addc_co_u32_e64 v2, s[2:3], 0, v4, s[2:3]
	v_add_u32_e32 v4, v1, v5
	v_mov_b32_e32 v1, s5
	v_add_co_u32_e64 v62, s[4:5], s4, v0
	v_subrev_u32_e32 v0, s33, v7
	v_add_u32_e32 v0, 1, v0
	buffer_store_dword v2, off, s[48:51], 0 offset:180 ; 4-byte Folded Spill
	buffer_store_dword v0, off, s[48:51], 0 offset:204 ; 4-byte Folded Spill
	;; [unrolled: 1-line block ×3, first 2 shown]
	v_lshlrev_b32_e32 v0, 2, v7
	s_waitcnt vmcnt(6)
	v_lshl_or_b32 v0, v37, 7, v0
	v_add_u32_e32 v33, 0x190, v0
	v_mbcnt_hi_u32_b32 v0, -1, v6
	v_addc_co_u32_e64 v63, s[4:5], 0, v1, s[4:5]
	v_xor_b32_e32 v1, 1, v0
	buffer_store_dword v1, off, s[48:51], 0 offset:192 ; 4-byte Folded Spill
	buffer_store_dword v0, off, s[48:51], 0 offset:188 ; 4-byte Folded Spill
	v_and_b32_e32 v0, 64, v0
	v_add_u32_e32 v0, 64, v0
	v_cmp_neq_f32_e64 s[2:3], s42, 0
	v_lshlrev_b32_e32 v31, 5, v37
	buffer_store_dword v0, off, s[48:51], 0 offset:196 ; 4-byte Folded Spill
	v_mov_b32_e32 v0, 0xff7fffff
	buffer_store_dword v0, off, s[48:51], 0 offset:172 ; 4-byte Folded Spill
	buffer_store_dword v4, off, s[48:51], 0 offset:184 ; 4-byte Folded Spill
	s_branch .LBB151_13
.LBB151_11:                             ;   in Loop: Header=BB151_13 Depth=1
	s_or_b64 exec, exec, s[38:39]
	buffer_load_dword v4, off, s[48:51], 0 offset:184 ; 4-byte Folded Reload
.LBB151_12:                             ;   in Loop: Header=BB151_13 Depth=1
	s_or_b64 exec, exec, s[6:7]
	v_add_co_u32_e64 v62, s[4:5], 8, v62
	v_add_u32_e32 v37, 2, v37
	v_addc_co_u32_e64 v63, s[4:5], 0, v63, s[4:5]
	v_cmp_le_i32_e64 s[4:5], s16, v37
	v_add_u32_e32 v31, 64, v31
	s_or_b64 s[36:37], s[4:5], s[36:37]
	v_add_u32_e32 v33, 0x100, v33
	s_andn2_b64 exec, exec, s[36:37]
	s_cbranch_execz .LBB151_20
.LBB151_13:                             ; =>This Inner Loop Header: Depth=1
	v_mul_hi_u32 v0, v31, s40
	s_waitcnt lgkmcnt(0)
	v_mul_lo_u32 v1, v0, s21
	v_add_u32_e32 v2, 1, v0
	v_sub_u32_e32 v1, v31, v1
	v_cmp_le_u32_e64 s[4:5], s21, v1
	v_cndmask_b32_e64 v0, v0, v2, s[4:5]
	v_subrev_u32_e32 v2, s21, v1
	v_cndmask_b32_e64 v1, v1, v2, s[4:5]
	v_add_u32_e32 v2, 1, v0
	v_cmp_le_u32_e64 s[4:5], s21, v1
	v_cndmask_b32_e64 v0, v0, v2, s[4:5]
	v_xor_b32_e32 v0, s19, v0
	v_subrev_u32_e32 v0, s19, v0
	v_add_u32_e32 v1, s41, v0
	v_sub_u32_e32 v2, 0, v1
	v_max_i32_e32 v2, v1, v2
	s_waitcnt vmcnt(0)
	v_mul_hi_u32 v3, v2, v4
	v_ashrrev_i32_e32 v1, 31, v1
	v_cmp_ge_i32_e64 s[6:7], s30, v0
	v_mul_lo_u32 v3, v3, s15
	v_sub_u32_e32 v2, v2, v3
	v_subrev_u32_e32 v3, s15, v2
	v_cmp_le_u32_e64 s[4:5], s15, v2
	v_cndmask_b32_e64 v2, v2, v3, s[4:5]
	v_subrev_u32_e32 v3, s15, v2
	v_cmp_le_u32_e64 s[4:5], s15, v2
	v_cndmask_b32_e64 v2, v2, v3, s[4:5]
	v_xor_b32_e32 v2, v2, v1
	v_sub_u32_e32 v1, v2, v1
	v_cmp_ne_u32_e64 s[4:5], 0, v1
	s_and_b64 s[4:5], s[4:5], s[6:7]
	s_and_saveexec_b64 s[6:7], s[4:5]
	s_xor_b64 s[4:5], exec, s[6:7]
	s_cbranch_execz .LBB151_17
; %bb.14:                               ;   in Loop: Header=BB151_13 Depth=1
	s_and_saveexec_b64 s[6:7], vcc
; %bb.15:                               ;   in Loop: Header=BB151_13 Depth=1
	v_mov_b32_e32 v0, 0xff7fffff
	ds_write_b32 v33, v0
; %bb.16:                               ;   in Loop: Header=BB151_13 Depth=1
	s_or_b64 exec, exec, s[6:7]
.LBB151_17:                             ;   in Loop: Header=BB151_13 Depth=1
	s_andn2_saveexec_b64 s[6:7], s[4:5]
	s_cbranch_execz .LBB151_12
; %bb.18:                               ;   in Loop: Header=BB151_13 Depth=1
	ds_read_b128 v[0:3], v28
	ds_read_b128 v[7:10], v28 offset:16
	s_waitcnt lgkmcnt(1)
	v_lshlrev_b32_e32 v4, 16, v1
	v_lshlrev_b32_e32 v44, 16, v0
	buffer_store_dword v4, off, s[48:51], 0 offset:108 ; 4-byte Folded Spill
	v_lshlrev_b32_e32 v43, 16, v2
	v_lshlrev_b32_e32 v45, 16, v3
	s_waitcnt lgkmcnt(0)
	v_lshlrev_b32_e32 v4, 16, v7
	v_and_b32_e32 v16, 0xffff0000, v0
	v_and_b32_e32 v24, 0xffff0000, v1
	;; [unrolled: 1-line block ×4, first 2 shown]
	v_lshlrev_b32_e32 v32, 16, v8
	v_lshlrev_b32_e32 v49, 16, v9
	;; [unrolled: 1-line block ×3, first 2 shown]
	v_and_b32_e32 v23, 0xffff0000, v7
	ds_read_b128 v[0:3], v28 offset:32
	v_and_b32_e32 v20, 0xffff0000, v8
	v_and_b32_e32 v26, 0xffff0000, v9
	;; [unrolled: 1-line block ×3, first 2 shown]
	ds_read_b128 v[7:10], v28 offset:48
	s_waitcnt lgkmcnt(1)
	v_lshlrev_b32_e32 v34, 16, v0
	v_and_b32_e32 v30, 0xffff0000, v0
	v_lshlrev_b32_e32 v42, 16, v1
	v_lshlrev_b32_e32 v59, 16, v2
	s_waitcnt lgkmcnt(0)
	v_lshlrev_b32_e32 v0, 16, v7
	buffer_store_dword v0, off, s[48:51], 0 offset:164 ; 4-byte Folded Spill
	v_lshlrev_b32_e32 v0, 16, v8
	buffer_store_dword v0, off, s[48:51], 0 offset:156 ; 4-byte Folded Spill
	;; [unrolled: 2-line block ×3, first 2 shown]
	v_lshlrev_b32_e32 v0, 16, v10
	v_lshlrev_b32_e32 v57, 16, v3
	v_and_b32_e32 v39, 0xffff0000, v1
	v_and_b32_e32 v50, 0xffff0000, v2
	;; [unrolled: 1-line block ×3, first 2 shown]
	buffer_store_dword v0, off, s[48:51], 0 offset:124 ; 4-byte Folded Spill
	ds_read_b128 v[0:3], v28 offset:64
	buffer_store_dword v4, off, s[48:51], 0 offset:104 ; 4-byte Folded Spill
	v_and_b32_e32 v4, 0xffff0000, v9
	buffer_store_dword v4, off, s[48:51], 0 offset:160 ; 4-byte Folded Spill
	v_and_b32_e32 v4, 0xffff0000, v10
	buffer_store_dword v4, off, s[48:51], 0 offset:148 ; 4-byte Folded Spill
	s_waitcnt lgkmcnt(0)
	v_lshlrev_b32_e32 v4, 16, v0
	v_and_b32_e32 v0, 0xffff0000, v0
	buffer_store_dword v0, off, s[48:51], 0 offset:152 ; 4-byte Folded Spill
	v_and_b32_e32 v0, 0xffff0000, v1
	buffer_store_dword v4, off, s[48:51], 0 offset:144 ; 4-byte Folded Spill
	v_lshlrev_b32_e32 v4, 16, v1
	buffer_store_dword v0, off, s[48:51], 0 offset:140 ; 4-byte Folded Spill
	v_and_b32_e32 v0, 0xffff0000, v2
	buffer_store_dword v4, off, s[48:51], 0 offset:136 ; 4-byte Folded Spill
	v_lshlrev_b32_e32 v4, 16, v2
	;; [unrolled: 4-line block ×3, first 2 shown]
	buffer_store_dword v0, off, s[48:51], 0 offset:116 ; 4-byte Folded Spill
	ds_read_b128 v[0:3], v28 offset:80
	v_and_b32_e32 v51, 0xffff0000, v8
	buffer_store_dword v4, off, s[48:51], 0 offset:112 ; 4-byte Folded Spill
	v_and_b32_e32 v40, 0xffff0000, v7
	s_waitcnt lgkmcnt(0)
	v_lshlrev_b32_e32 v22, 16, v0
	v_lshlrev_b32_e32 v25, 16, v1
	;; [unrolled: 1-line block ×4, first 2 shown]
	v_and_b32_e32 v19, 0xffff0000, v0
	v_and_b32_e32 v21, 0xffff0000, v1
	;; [unrolled: 1-line block ×4, first 2 shown]
	ds_read_b128 v[0:3], v28 offset:96
	s_waitcnt lgkmcnt(0)
	v_lshlrev_b32_e32 v41, 16, v0
	v_lshlrev_b32_e32 v52, 16, v1
	v_and_b32_e32 v48, 0xffff0000, v0
	v_and_b32_e32 v53, 0xffff0000, v1
	v_lshlrev_b32_e32 v55, 16, v2
	v_and_b32_e32 v56, 0xffff0000, v2
	v_lshlrev_b32_e32 v60, 16, v3
	v_and_b32_e32 v61, 0xffff0000, v3
	ds_read_b128 v[0:3], v28 offset:112
	s_waitcnt lgkmcnt(0)
	v_lshlrev_b32_e32 v13, 16, v0
	v_and_b32_e32 v14, 0xffff0000, v0
	v_lshlrev_b32_e32 v11, 16, v1
	v_and_b32_e32 v12, 0xffff0000, v1
	;; [unrolled: 2-line block ×4, first 2 shown]
	ds_read_b128 v[0:3], v28 offset:128
	s_waitcnt lgkmcnt(0)
	v_lshlrev_b32_e32 v18, 16, v0
	v_and_b32_e32 v17, 0xffff0000, v0
	v_and_b32_e32 v0, 0xffff0000, v1
	buffer_store_dword v0, off, s[48:51], 0 offset:36 ; 4-byte Folded Spill
	v_lshlrev_b32_e32 v0, 16, v2
	buffer_store_dword v0, off, s[48:51], 0 offset:32 ; 4-byte Folded Spill
	v_and_b32_e32 v0, 0xffff0000, v2
	buffer_store_dword v0, off, s[48:51], 0 offset:28 ; 4-byte Folded Spill
	v_lshlrev_b32_e32 v0, 16, v3
	buffer_store_dword v0, off, s[48:51], 0 offset:12 ; 4-byte Folded Spill
	v_and_b32_e32 v0, 0xffff0000, v3
	v_lshlrev_b32_e32 v7, 16, v1
	buffer_store_dword v0, off, s[48:51], 0 offset:8 ; 4-byte Folded Spill
	ds_read_b128 v[0:3], v28 offset:144
	s_waitcnt lgkmcnt(0)
	v_lshlrev_b32_e32 v5, 16, v0
	v_and_b32_e32 v0, 0xffff0000, v0
	buffer_store_dword v0, off, s[48:51], 0 offset:40 ; 4-byte Folded Spill
	v_lshlrev_b32_e32 v0, 16, v1
	buffer_store_dword v0, off, s[48:51], 0 offset:56 ; 4-byte Folded Spill
	v_and_b32_e32 v0, 0xffff0000, v1
	buffer_store_dword v0, off, s[48:51], 0 offset:48 ; 4-byte Folded Spill
	v_lshlrev_b32_e32 v0, 16, v2
	buffer_store_dword v0, off, s[48:51], 0 offset:68 ; 4-byte Folded Spill
	v_and_b32_e32 v0, 0xffff0000, v2
	buffer_store_dword v0, off, s[48:51], 0 offset:60 ; 4-byte Folded Spill
	v_lshlrev_b32_e32 v0, 16, v3
	buffer_store_dword v0, off, s[48:51], 0 offset:92 ; 4-byte Folded Spill
	v_and_b32_e32 v0, 0xffff0000, v3
	buffer_store_dword v0, off, s[48:51], 0 offset:84 ; 4-byte Folded Spill
	ds_read_b128 v[0:3], v28 offset:160
	buffer_store_dword v5, off, s[48:51], 0 offset:44 ; 4-byte Folded Spill
	s_waitcnt lgkmcnt(0)
	v_lshlrev_b32_e32 v5, 16, v0
	v_and_b32_e32 v0, 0xffff0000, v0
	buffer_store_dword v0, off, s[48:51], 0 offset:96 ; 4-byte Folded Spill
	v_lshlrev_b32_e32 v0, 16, v1
	buffer_store_dword v0, off, s[48:51], 0 offset:88 ; 4-byte Folded Spill
	v_and_b32_e32 v0, 0xffff0000, v1
	buffer_store_dword v0, off, s[48:51], 0 offset:80 ; 4-byte Folded Spill
	v_lshlrev_b32_e32 v0, 16, v2
	buffer_store_dword v0, off, s[48:51], 0 offset:76 ; 4-byte Folded Spill
	;; [unrolled: 4-line block ×3, first 2 shown]
	v_and_b32_e32 v0, 0xffff0000, v3
	buffer_store_dword v0, off, s[48:51], 0 offset:52 ; 4-byte Folded Spill
	global_load_dword v0, v[62:63], off
	s_waitcnt vmcnt(0)
	v_mad_i64_i32 v[0:1], s[4:5], v0, s43, 0
	buffer_load_dword v2, off, s[48:51], 0 offset:176 ; 4-byte Folded Reload
	v_lshlrev_b64 v[0:1], 1, v[0:1]
	buffer_store_dword v5, off, s[48:51], 0 offset:100 ; 4-byte Folded Spill
	s_waitcnt vmcnt(1)
	v_add_co_u32_e64 v0, s[4:5], v2, v0
	buffer_load_dword v2, off, s[48:51], 0 offset:180 ; 4-byte Folded Reload
	s_waitcnt vmcnt(0)
	v_addc_co_u32_e64 v1, s[4:5], v2, v1, s[4:5]
	global_load_dwordx2 v[2:3], v[0:1], off offset:512
	s_waitcnt vmcnt(0)
	v_lshlrev_b32_e32 v5, 16, v2
	v_mul_f32_e32 v43, v43, v5
	global_load_dwordx2 v[5:6], v[0:1], off
	v_and_b32_e32 v2, 0xffff0000, v2
	s_waitcnt vmcnt(0)
	v_lshlrev_b32_e32 v46, 16, v5
	v_fmac_f32_e32 v43, v44, v46
	v_mul_f32_e32 v44, v15, v2
	v_and_b32_e32 v2, 0xffff0000, v5
	buffer_load_dword v5, off, s[48:51], 0 offset:108 ; 4-byte Folded Reload
	v_fmac_f32_e32 v44, v16, v2
	v_lshlrev_b32_e32 v2, 16, v3
	v_mul_f32_e32 v45, v45, v2
	v_lshlrev_b32_e32 v2, 16, v6
	v_and_b32_e32 v3, 0xffff0000, v3
	v_mul_f32_e32 v46, v29, v3
	buffer_load_dword v16, off, s[48:51], 0 offset:132 ; 4-byte Folded Reload
	s_waitcnt vmcnt(1)
	v_fmac_f32_e32 v45, v5, v2
	v_and_b32_e32 v2, 0xffff0000, v6
	v_fmac_f32_e32 v46, v24, v2
	global_load_dwordx2 v[2:3], v[0:1], off offset:1024
	buffer_load_dword v6, off, s[48:51], 0 offset:104 ; 4-byte Folded Reload
	s_waitcnt vmcnt(1)
	v_lshlrev_b32_e32 v5, 16, v2
	v_and_b32_e32 v2, 0xffff0000, v2
	v_fmac_f32_e32 v44, v23, v2
	v_lshlrev_b32_e32 v2, 16, v3
	v_fmac_f32_e32 v45, v32, v2
	v_and_b32_e32 v2, 0xffff0000, v3
	v_fmac_f32_e32 v46, v20, v2
	global_load_dwordx2 v[2:3], v[0:1], off offset:1536
	s_waitcnt vmcnt(1)
	v_fmac_f32_e32 v43, v6, v5
	buffer_load_dword v6, off, s[48:51], 0 offset:164 ; 4-byte Folded Reload
	s_waitcnt vmcnt(1)
	v_lshlrev_b32_e32 v5, 16, v2
	v_and_b32_e32 v2, 0xffff0000, v2
	v_fmac_f32_e32 v44, v26, v2
	v_lshlrev_b32_e32 v2, 16, v3
	v_fmac_f32_e32 v45, v54, v2
	v_and_b32_e32 v2, 0xffff0000, v3
	v_fmac_f32_e32 v46, v35, v2
	global_load_dwordx2 v[2:3], v[0:1], off offset:2048
	v_fmac_f32_e32 v43, v49, v5
	s_waitcnt vmcnt(0)
	v_lshlrev_b32_e32 v5, 16, v2
	v_and_b32_e32 v2, 0xffff0000, v2
	v_fmac_f32_e32 v44, v30, v2
	v_lshlrev_b32_e32 v2, 16, v3
	v_fmac_f32_e32 v45, v42, v2
	v_and_b32_e32 v2, 0xffff0000, v3
	v_fmac_f32_e32 v46, v39, v2
	global_load_dwordx2 v[2:3], v[0:1], off offset:2560
	v_fmac_f32_e32 v43, v34, v5
	;; [unrolled: 10-line block ×3, first 2 shown]
	s_waitcnt vmcnt(0)
	v_lshlrev_b32_e32 v5, 16, v2
	v_fmac_f32_e32 v43, v6, v5
	buffer_load_dword v5, off, s[48:51], 0 offset:156 ; 4-byte Folded Reload
	v_and_b32_e32 v2, 0xffff0000, v2
	v_fmac_f32_e32 v44, v40, v2
	v_lshlrev_b32_e32 v2, 16, v3
	s_waitcnt vmcnt(0)
	v_fmac_f32_e32 v45, v5, v2
	v_and_b32_e32 v2, 0xffff0000, v3
	v_fmac_f32_e32 v46, v51, v2
	v_add_co_u32_e64 v2, s[4:5], s44, v0
	v_addc_co_u32_e64 v3, s[4:5], 0, v1, s[4:5]
	v_add_co_u32_e64 v5, s[4:5], s45, v0
	v_addc_co_u32_e64 v6, s[4:5], 0, v1, s[4:5]
	global_load_dwordx2 v[0:1], v[0:1], off offset:3584
	s_waitcnt vmcnt(0)
	v_lshlrev_b32_e32 v15, 16, v0
	v_fmac_f32_e32 v43, v16, v15
	buffer_load_dword v15, off, s[48:51], 0 offset:160 ; 4-byte Folded Reload
	v_and_b32_e32 v0, 0xffff0000, v0
	buffer_load_dword v16, off, s[48:51], 0 offset:144 ; 4-byte Folded Reload
	s_waitcnt vmcnt(1)
	v_fmac_f32_e32 v44, v15, v0
	buffer_load_dword v15, off, s[48:51], 0 offset:124 ; 4-byte Folded Reload
	v_lshlrev_b32_e32 v0, 16, v1
	s_waitcnt vmcnt(0)
	v_fmac_f32_e32 v45, v15, v0
	v_and_b32_e32 v0, 0xffff0000, v1
	buffer_load_dword v1, off, s[48:51], 0 offset:148 ; 4-byte Folded Reload
	s_waitcnt vmcnt(0)
	v_fmac_f32_e32 v46, v1, v0
	global_load_dwordx2 v[0:1], v[5:6], off offset:-4096
	s_waitcnt vmcnt(0)
	v_lshlrev_b32_e32 v15, 16, v0
	v_fmac_f32_e32 v43, v16, v15
	buffer_load_dword v15, off, s[48:51], 0 offset:152 ; 4-byte Folded Reload
	v_and_b32_e32 v0, 0xffff0000, v0
	buffer_load_dword v16, off, s[48:51], 0 offset:120 ; 4-byte Folded Reload
	s_waitcnt vmcnt(1)
	v_fmac_f32_e32 v44, v15, v0
	buffer_load_dword v15, off, s[48:51], 0 offset:136 ; 4-byte Folded Reload
	v_lshlrev_b32_e32 v0, 16, v1
	s_waitcnt vmcnt(0)
	v_fmac_f32_e32 v45, v15, v0
	v_and_b32_e32 v0, 0xffff0000, v1
	buffer_load_dword v1, off, s[48:51], 0 offset:140 ; 4-byte Folded Reload
	s_waitcnt vmcnt(0)
	v_fmac_f32_e32 v46, v1, v0
	global_load_dwordx2 v[0:1], v[2:3], off offset:512
	s_waitcnt vmcnt(0)
	v_lshlrev_b32_e32 v15, 16, v0
	v_fmac_f32_e32 v43, v16, v15
	buffer_load_dword v15, off, s[48:51], 0 offset:128 ; 4-byte Folded Reload
	v_and_b32_e32 v0, 0xffff0000, v0
	s_waitcnt vmcnt(0)
	v_fmac_f32_e32 v44, v15, v0
	buffer_load_dword v15, off, s[48:51], 0 offset:112 ; 4-byte Folded Reload
	v_lshlrev_b32_e32 v0, 16, v1
	s_waitcnt vmcnt(0)
	v_fmac_f32_e32 v45, v15, v0
	v_and_b32_e32 v0, 0xffff0000, v1
	buffer_load_dword v1, off, s[48:51], 0 offset:116 ; 4-byte Folded Reload
	s_waitcnt vmcnt(0)
	v_fmac_f32_e32 v46, v1, v0
	global_load_dwordx2 v[0:1], v[2:3], off offset:1024
	s_waitcnt vmcnt(0)
	v_lshlrev_b32_e32 v15, 16, v0
	v_and_b32_e32 v0, 0xffff0000, v0
	v_fmac_f32_e32 v44, v19, v0
	v_lshlrev_b32_e32 v0, 16, v1
	v_fmac_f32_e32 v45, v25, v0
	v_and_b32_e32 v0, 0xffff0000, v1
	v_fmac_f32_e32 v46, v21, v0
	global_load_dwordx2 v[0:1], v[2:3], off offset:1536
	v_fmac_f32_e32 v43, v22, v15
	s_waitcnt vmcnt(0)
	v_lshlrev_b32_e32 v15, 16, v0
	v_and_b32_e32 v0, 0xffff0000, v0
	v_fmac_f32_e32 v44, v27, v0
	v_lshlrev_b32_e32 v0, 16, v1
	v_fmac_f32_e32 v45, v47, v0
	v_and_b32_e32 v0, 0xffff0000, v1
	v_fmac_f32_e32 v46, v36, v0
	global_load_dwordx2 v[0:1], v[2:3], off offset:2048
	v_fmac_f32_e32 v43, v38, v15
	;; [unrolled: 10-line block ×3, first 2 shown]
	s_waitcnt vmcnt(0)
	v_lshlrev_b32_e32 v15, 16, v0
	v_fmac_f32_e32 v43, v15, v55
	global_load_dwordx2 v[15:16], v[2:3], off offset:3072
	s_nop 0
	global_load_dwordx2 v[2:3], v[2:3], off offset:3584
	v_and_b32_e32 v0, 0xffff0000, v0
	v_fmac_f32_e32 v44, v0, v56
	v_lshlrev_b32_e32 v0, 16, v1
	v_fmac_f32_e32 v45, v0, v60
	v_and_b32_e32 v0, 0xffff0000, v1
	v_fmac_f32_e32 v46, v0, v61
	global_load_dwordx2 v[21:22], v[5:6], off
	global_load_dwordx2 v[19:20], v[5:6], off offset:512
	global_load_dwordx2 v[23:24], v[5:6], off offset:1024
	s_waitcnt vmcnt(4)
	v_lshlrev_b32_e32 v0, 16, v15
	v_fmac_f32_e32 v43, v0, v13
	v_and_b32_e32 v0, 0xffff0000, v15
	v_fmac_f32_e32 v44, v0, v14
	v_lshlrev_b32_e32 v0, 16, v16
	v_fmac_f32_e32 v45, v0, v11
	v_and_b32_e32 v0, 0xffff0000, v16
	v_fmac_f32_e32 v46, v0, v12
	s_waitcnt vmcnt(3)
	v_lshlrev_b32_e32 v0, 16, v2
	v_fmac_f32_e32 v43, v0, v9
	v_and_b32_e32 v0, 0xffff0000, v2
	global_load_dwordx2 v[15:16], v[5:6], off offset:1536
	v_fmac_f32_e32 v44, v0, v10
	global_load_dwordx2 v[13:14], v[5:6], off offset:2048
	global_load_dwordx2 v[11:12], v[5:6], off offset:2560
	;; [unrolled: 1-line block ×4, first 2 shown]
	v_lshlrev_b32_e32 v0, 16, v3
	buffer_load_dword v5, off, s[48:51], 0 offset:36 ; 4-byte Folded Reload
	v_fmac_f32_e32 v45, v0, v4
	v_and_b32_e32 v0, 0xffff0000, v3
	v_fmac_f32_e32 v46, v0, v8
	s_waitcnt vmcnt(8)
	v_lshlrev_b32_e32 v0, 16, v21
	v_fmac_f32_e32 v43, v0, v18
	v_and_b32_e32 v0, 0xffff0000, v21
	v_fmac_f32_e32 v44, v0, v17
	v_lshlrev_b32_e32 v0, 16, v22
	v_fmac_f32_e32 v45, v0, v7
	v_and_b32_e32 v0, 0xffff0000, v22
	ds_read_b128 v[1:4], v28 offset:176
	s_waitcnt vmcnt(0)
	v_fmac_f32_e32 v46, v0, v5
	buffer_load_dword v5, off, s[48:51], 0 offset:32 ; 4-byte Folded Reload
	v_lshlrev_b32_e32 v0, 16, v19
	s_waitcnt vmcnt(0)
	v_fmac_f32_e32 v43, v0, v5
	buffer_load_dword v5, off, s[48:51], 0 offset:28 ; 4-byte Folded Reload
	v_and_b32_e32 v0, 0xffff0000, v19
	s_waitcnt vmcnt(0)
	v_fmac_f32_e32 v44, v0, v5
	buffer_load_dword v5, off, s[48:51], 0 offset:12 ; 4-byte Folded Reload
	v_lshlrev_b32_e32 v0, 16, v20
	s_waitcnt vmcnt(0)
	v_fmac_f32_e32 v45, v0, v5
	buffer_load_dword v5, off, s[48:51], 0 offset:8 ; 4-byte Folded Reload
	v_and_b32_e32 v0, 0xffff0000, v20
	;; [unrolled: 8-line block ×9, first 2 shown]
	s_waitcnt vmcnt(0)
	v_fmac_f32_e32 v44, v0, v5
	buffer_load_dword v5, off, s[48:51], 0 offset:64 ; 4-byte Folded Reload
	v_lshlrev_b32_e32 v0, 16, v12
	s_waitcnt vmcnt(0)
	v_fmac_f32_e32 v45, v0, v5
	buffer_load_dword v5, off, s[48:51], 0 offset:192 ; 4-byte Folded Reload
	buffer_load_dword v0, off, s[48:51], 0 offset:196 ; 4-byte Folded Reload
	;; [unrolled: 1-line block ×3, first 2 shown]
	s_waitcnt vmcnt(1)
	v_cmp_lt_i32_e64 s[4:5], v5, v0
	buffer_load_dword v0, off, s[48:51], 0 offset:188 ; 4-byte Folded Reload
	s_waitcnt vmcnt(0)
	v_cndmask_b32_e64 v0, v0, v5, s[4:5]
	v_lshlrev_b32_e32 v5, 2, v0
	v_and_b32_e32 v0, 0xffff0000, v12
	v_fmac_f32_e32 v46, v0, v6
	s_waitcnt lgkmcnt(0)
	v_lshlrev_b32_e32 v0, 16, v1
	v_lshlrev_b32_e32 v6, 16, v9
	v_and_b32_e32 v1, 0xffff0000, v1
	v_fmac_f32_e32 v43, v6, v0
	v_and_b32_e32 v0, 0xffff0000, v9
	v_fmac_f32_e32 v44, v0, v1
	v_lshlrev_b32_e32 v0, 16, v2
	v_and_b32_e32 v1, 0xffff0000, v2
	v_lshlrev_b32_e32 v2, 16, v10
	v_and_b32_e32 v6, 0xffff0000, v10
	v_fmac_f32_e32 v45, v2, v0
	v_fmac_f32_e32 v46, v6, v1
	v_lshlrev_b32_e32 v0, 16, v3
	v_and_b32_e32 v1, 0xffff0000, v3
	v_lshlrev_b32_e32 v2, 16, v25
	v_and_b32_e32 v3, 0xffff0000, v25
	v_fmac_f32_e32 v43, v2, v0
	v_fmac_f32_e32 v44, v3, v1
	v_lshlrev_b32_e32 v0, 16, v4
	v_lshlrev_b32_e32 v2, 16, v26
	v_and_b32_e32 v1, 0xffff0000, v4
	v_and_b32_e32 v3, 0xffff0000, v26
	v_fmac_f32_e32 v45, v2, v0
	v_add_f32_e32 v0, v43, v44
	v_fmac_f32_e32 v46, v3, v1
	v_add_f32_e32 v0, v0, v45
	v_add_f32_e32 v0, v46, v0
	ds_bpermute_b32 v1, v5, v0
	s_and_saveexec_b64 s[38:39], vcc
	s_cbranch_execz .LBB151_11
; %bb.19:                               ;   in Loop: Header=BB151_13 Depth=1
	buffer_load_dword v2, off, s[48:51], 0 offset:204 ; 4-byte Folded Reload
	buffer_load_dword v3, off, s[48:51], 0 offset:200 ; 4-byte Folded Reload
	s_waitcnt lgkmcnt(0)
	v_add_f32_e32 v0, v0, v1
	s_waitcnt vmcnt(1)
	v_add_u32_e32 v2, v2, v31
	v_cvt_f32_i32_e32 v2, v2
	v_mul_f32_e32 v1, s42, v2
	buffer_load_dword v2, off, s[48:51], 0 offset:172 ; 4-byte Folded Reload
	s_waitcnt vmcnt(1)
	v_add_u32_e32 v3, v3, v31
	v_cndmask_b32_e64 v1, 0, v1, s[2:3]
	v_fmac_f32_e32 v1, s31, v0
	v_cmp_gt_i32_e64 s[4:5], s33, v3
	v_cndmask_b32_e64 v0, 0, v1, s[4:5]
	ds_write_b32 v33, v0
	s_waitcnt vmcnt(0)
	v_max_f32_e32 v0, v2, v2
	v_max_f32_e32 v0, v0, v1
	v_cndmask_b32_e64 v2, v2, v0, s[4:5]
	buffer_store_dword v2, off, s[48:51], 0 offset:172 ; 4-byte Folded Spill
	s_branch .LBB151_11
.LBB151_20:
	s_or_b64 exec, exec, s[36:37]
	buffer_load_dword v15, off, s[48:51], 0 offset:208 ; 4-byte Folded Reload
	buffer_load_dword v16, off, s[48:51], 0 offset:212 ; 4-byte Folded Reload
	;; [unrolled: 1-line block ×3, first 2 shown]
	s_waitcnt lgkmcnt(0)
	v_mbcnt_lo_u32_b32 v1, -1, 0
.LBB151_21:
	s_or_b64 exec, exec, s[34:35]
	v_mbcnt_hi_u32_b32 v0, -1, v1
	v_and_b32_e32 v7, 64, v0
	v_add_u32_e32 v8, 64, v7
	v_xor_b32_e32 v1, 32, v0
	v_cmp_lt_i32_e32 vcc, v1, v8
	v_cndmask_b32_e32 v1, v0, v1, vcc
	v_lshlrev_b32_e32 v1, 2, v1
	s_waitcnt vmcnt(0)
	ds_bpermute_b32 v2, v1, v3
	v_xor_b32_e32 v4, 16, v0
	v_max_f32_e32 v3, v3, v3
	v_cmp_lt_i32_e32 vcc, v4, v8
	v_xor_b32_e32 v5, 8, v0
	s_waitcnt lgkmcnt(0)
	v_max_f32_e32 v2, v2, v2
	v_max_f32_e32 v3, v3, v2
	v_cndmask_b32_e32 v2, v0, v4, vcc
	v_lshlrev_b32_e32 v2, 2, v2
	ds_bpermute_b32 v4, v2, v3
	v_cmp_lt_i32_e32 vcc, v5, v8
	v_xor_b32_e32 v6, 4, v0
	v_xor_b32_e32 v9, 2, v0
	s_waitcnt lgkmcnt(0)
	v_max_f32_e32 v4, v4, v4
	v_max_f32_e32 v4, v3, v4
	v_cndmask_b32_e32 v3, v0, v5, vcc
	v_lshlrev_b32_e32 v3, 2, v3
	ds_bpermute_b32 v5, v3, v4
	v_cmp_lt_i32_e32 vcc, v6, v8
	s_waitcnt lgkmcnt(0)
	v_max_f32_e32 v5, v5, v5
	v_max_f32_e32 v5, v4, v5
	v_cndmask_b32_e32 v4, v0, v6, vcc
	v_lshlrev_b32_e32 v4, 2, v4
	ds_bpermute_b32 v6, v4, v5
	v_cmp_lt_i32_e32 vcc, v9, v8
	s_waitcnt lgkmcnt(0)
	v_max_f32_e32 v6, v6, v6
	v_max_f32_e32 v6, v5, v6
	v_cndmask_b32_e32 v5, v0, v9, vcc
	v_lshlrev_b32_e32 v13, 2, v5
	buffer_load_dword v5, off, s[48:51], 0 offset:168 ; 4-byte Folded Reload
	ds_bpermute_b32 v9, v13, v6
	s_waitcnt vmcnt(0)
	v_and_b32_e32 v19, 63, v5
	buffer_load_dword v5, off, s[48:51], 0  ; 4-byte Folded Reload
	v_cmp_eq_u32_e32 vcc, 0, v19
	s_waitcnt vmcnt(0)
	v_lshlrev_b32_e32 v5, 2, v5
	s_and_saveexec_b64 s[2:3], vcc
	s_cbranch_execz .LBB151_23
; %bb.22:
	s_waitcnt lgkmcnt(0)
	v_max_f32_e32 v9, v9, v9
	v_max_f32_e32 v6, v6, v6
	;; [unrolled: 1-line block ×3, first 2 shown]
	ds_write_b32 v5, v6 offset:384
.LBB151_23:
	s_or_b64 exec, exec, s[2:3]
	v_cmp_gt_u32_e64 s[2:3], 2, v19
	s_waitcnt lgkmcnt(0)
	v_mov_b32_e32 v9, 0xff7fffff
	v_lshlrev_b32_e32 v6, 2, v19
	s_barrier
	s_and_saveexec_b64 s[4:5], s[2:3]
; %bb.24:
	ds_read_b32 v9, v6 offset:384
; %bb.25:
	s_or_b64 exec, exec, s[4:5]
	v_xor_b32_e32 v10, 1, v0
	v_cmp_lt_i32_e64 s[4:5], v10, v8
	v_cndmask_b32_e64 v8, v0, v10, s[4:5]
	v_lshlrev_b32_e32 v18, 2, v8
	s_waitcnt lgkmcnt(0)
	ds_bpermute_b32 v8, v18, v9
	v_max_f32_e32 v9, v9, v9
	v_lshlrev_b32_e32 v7, 2, v7
	s_lshl_b32 s4, s16, 5
	s_min_i32 s15, s4, s33
	s_waitcnt lgkmcnt(0)
	v_max_f32_e32 v8, v8, v8
	v_max_f32_e32 v8, v9, v8
	ds_bpermute_b32 v8, v7, v8
	buffer_load_dword v7, off, s[48:51], 0 offset:168 ; 4-byte Folded Reload
	s_waitcnt vmcnt(0)
	v_cmp_gt_i32_e64 s[4:5], s15, v7
	v_mov_b32_e32 v7, 0
	s_and_saveexec_b64 s[30:31], s[4:5]
	s_cbranch_execz .LBB151_29
; %bb.26:
	buffer_load_dword v10, off, s[48:51], 0 offset:168 ; 4-byte Folded Reload
	v_mov_b32_e32 v7, 0x190
	s_mov_b64 s[34:35], 0
	s_waitcnt vmcnt(0)
	v_lshl_add_u32 v9, v10, 2, v7
	v_mov_b32_e32 v7, 0
.LBB151_27:                             ; =>This Inner Loop Header: Depth=1
	ds_read_b32 v11, v9
	v_add_u32_e32 v10, 0x80, v10
	v_cmp_le_i32_e64 s[6:7], s15, v10
	s_or_b64 s[34:35], s[6:7], s[34:35]
	s_waitcnt lgkmcnt(0)
	v_sub_f32_e32 v11, v11, v8
	v_mul_f32_e32 v11, 0x3fb8aa3b, v11
	v_exp_f32_e32 v11, v11
	ds_write_b32 v9, v11
	v_add_f32_e32 v7, v7, v11
	v_add_u32_e32 v9, 0x200, v9
	s_andn2_b64 exec, exec, s[34:35]
	s_cbranch_execnz .LBB151_27
; %bb.28:
	s_or_b64 exec, exec, s[34:35]
.LBB151_29:
	s_or_b64 exec, exec, s[30:31]
	ds_bpermute_b32 v1, v1, v7
	s_waitcnt lgkmcnt(0)
	v_add_f32_e32 v1, v7, v1
	ds_bpermute_b32 v2, v2, v1
	s_waitcnt lgkmcnt(0)
	v_add_f32_e32 v1, v1, v2
	;; [unrolled: 3-line block ×6, first 2 shown]
	s_and_saveexec_b64 s[6:7], vcc
; %bb.30:
	ds_write_b32 v5, v1 offset:392
; %bb.31:
	s_or_b64 exec, exec, s[6:7]
	s_waitcnt lgkmcnt(0)
	s_barrier
	s_and_saveexec_b64 s[6:7], s[2:3]
; %bb.32:
	ds_read_b32 v1, v6 offset:392
; %bb.33:
	s_or_b64 exec, exec, s[6:7]
	s_waitcnt lgkmcnt(0)
	ds_bpermute_b32 v2, v18, v1
	v_lshlrev_b32_e32 v0, 2, v0
	v_and_b32_e32 v0, 0x100, v0
	s_waitcnt lgkmcnt(0)
	v_add_f32_e32 v1, v1, v2
	ds_bpermute_b32 v0, v0, v1
	s_and_saveexec_b64 s[2:3], s[4:5]
	s_cbranch_execz .LBB151_36
; %bb.34:
	s_waitcnt lgkmcnt(0)
	v_add_f32_e32 v1, 0x358637bd, v0
	v_div_scale_f32 v0, s[4:5], v1, v1, 1.0
	v_div_scale_f32 v2, vcc, 1.0, v1, 1.0
	s_mov_b64 s[4:5], 0
	v_rcp_f32_e32 v3, v0
	v_fma_f32 v4, -v0, v3, 1.0
	v_fmac_f32_e32 v3, v4, v3
	v_mul_f32_e32 v4, v2, v3
	v_fma_f32 v5, -v0, v4, v2
	v_fmac_f32_e32 v4, v5, v3
	v_fma_f32 v0, -v0, v4, v2
	v_div_fmas_f32 v2, v0, v3, v4
	buffer_load_dword v3, off, s[48:51], 0 offset:168 ; 4-byte Folded Reload
	v_mov_b32_e32 v0, 0x190
	v_div_fixup_f32 v1, v2, v1, 1.0
	s_waitcnt vmcnt(0)
	v_lshl_add_u32 v0, v3, 2, v0
	v_mov_b32_e32 v2, v3
.LBB151_35:                             ; =>This Inner Loop Header: Depth=1
	ds_read_b32 v3, v0
	v_add_u32_e32 v2, 0x80, v2
	v_cmp_le_i32_e32 vcc, s15, v2
	s_or_b64 s[4:5], vcc, s[4:5]
	s_waitcnt lgkmcnt(0)
	v_mul_f32_e32 v3, v1, v3
	ds_write_b32 v0, v3
	v_add_u32_e32 v0, 0x200, v0
	s_andn2_b64 exec, exec, s[4:5]
	s_cbranch_execnz .LBB151_35
.LBB151_36:
	s_or_b64 exec, exec, s[2:3]
	s_waitcnt lgkmcnt(0)
	s_barrier
	buffer_load_dword v0, off, s[48:51], 0 offset:168 ; 4-byte Folded Reload
	v_mov_b32_e32 v11, 0
	v_mov_b32_e32 v12, 0
	;; [unrolled: 1-line block ×12, first 2 shown]
	s_waitcnt vmcnt(0)
	v_and_b32_e32 v0, 3, v0
	buffer_store_dword v0, off, s[48:51], 0 offset:92 ; 4-byte Folded Spill
	s_and_saveexec_b64 s[4:5], s[0:1]
	s_cbranch_execz .LBB151_66
; %bb.37:
	buffer_store_dword v18, off, s[48:51], 0 offset:104 ; 4-byte Folded Spill
	buffer_store_dword v13, off, s[48:51], 0 offset:100 ; 4-byte Folded Spill
	;; [unrolled: 1-line block ×3, first 2 shown]
	v_and_b32_e32 v1, 24, v15
	buffer_store_dword v1, off, s[48:51], 0 offset:80 ; 4-byte Folded Spill
	buffer_load_dword v1, off, s[48:51], 0 offset:168 ; 4-byte Folded Reload
	s_ashr_i32 s15, s14, 31
	s_sub_i32 s17, s12, s17
	s_lshl_b64 s[0:1], s[14:15], 1
	s_add_u32 s0, s28, s0
	s_addc_u32 s1, s29, s1
	s_abs_i32 s18, s18
	v_cvt_f32_u32_e32 v0, s18
	s_sub_i32 s2, 0, s18
	s_add_i32 s30, s16, -1
	v_mov_b32_e32 v3, s1
	v_rcp_iflag_f32_e32 v0, v0
	s_mov_b32 s28, s13
	s_mov_b32 s29, s33
	s_mov_b64 s[6:7], 0
	v_mul_f32_e32 v0, 0x4f7ffffe, v0
	v_cvt_u32_f32_e32 v0, v0
	v_mov_b32_e32 v20, 0
	v_mov_b32_e32 v54, 0
	;; [unrolled: 1-line block ×3, first 2 shown]
	v_mul_lo_u32 v2, s2, v0
	v_mov_b32_e32 v38, 0
	v_mov_b32_e32 v34, 0
	;; [unrolled: 1-line block ×3, first 2 shown]
	v_mul_hi_u32 v2, v0, v2
	v_mov_b32_e32 v26, 0
	v_mov_b32_e32 v25, 0
	;; [unrolled: 1-line block ×3, first 2 shown]
	v_add_u32_e32 v0, v0, v2
	buffer_store_dword v0, off, s[48:51], 0 offset:28 ; 4-byte Folded Spill
	v_and_b32_e32 v0, 60, v16
	v_mov_b32_e32 v10, 0
	v_mov_b32_e32 v12, 0
	;; [unrolled: 1-line block ×3, first 2 shown]
	s_waitcnt vmcnt(1)
	v_lshlrev_b32_e32 v1, 4, v1
	v_and_b32_e32 v1, 0x3f0, v1
	v_add_co_u32_e32 v1, vcc, s0, v1
	s_lshl_b64 s[0:1], s[26:27], 2
	s_add_u32 s0, s24, s0
	buffer_store_dword v1, off, s[48:51], 0 offset:84 ; 4-byte Folded Spill
	v_addc_co_u32_e32 v1, vcc, 0, v3, vcc
	s_addc_u32 s1, s25, s1
	buffer_store_dword v1, off, s[48:51], 0 offset:88 ; 4-byte Folded Spill
	v_mov_b32_e32 v1, s1
	v_add_co_u32_e32 v57, vcc, s0, v0
	buffer_load_dword v0, off, s[48:51], 0 offset:92 ; 4-byte Folded Reload
	v_addc_co_u32_e32 v58, vcc, 0, v1, vcc
	buffer_load_dword v1, off, s[48:51], 0  ; 4-byte Folded Reload
	s_mov_b32 s24, 0x5040100
	s_movk_i32 s25, 0x7fff
	s_waitcnt vmcnt(1)
	v_lshlrev_b32_e32 v0, 5, v0
	s_waitcnt vmcnt(0)
	v_lshl_or_b32 v0, v1, 7, v0
	buffer_load_dword v1, off, s[48:51], 0 offset:4 ; 4-byte Folded Reload
	v_add_u32_e32 v0, 0x190, v0
	buffer_store_dword v0, off, s[48:51], 0 offset:8 ; 4-byte Folded Spill
	s_branch .LBB151_40
.LBB151_38:                             ;   in Loop: Header=BB151_40 Depth=1
	s_or_b64 exec, exec, s[2:3]
	s_waitcnt lgkmcnt(1)
	v_bfe_u32 v0, v49, 16, 1
	v_add3_u32 v0, v0, v49, s25
	v_or_b32_e32 v1, 0x400000, v49
	v_cmp_u_f32_e32 vcc, v49, v49
	v_cndmask_b32_e32 v2, v0, v1, vcc
	v_bfe_u32 v0, v50, 16, 1
	v_add3_u32 v0, v0, v50, s25
	v_or_b32_e32 v1, 0x400000, v50
	v_cmp_u_f32_e32 vcc, v50, v50
	v_cndmask_b32_e32 v0, v0, v1, vcc
	;; [unrolled: 5-line block ×4, first 2 shown]
	s_waitcnt lgkmcnt(0)
	v_bfe_u32 v1, v41, 16, 1
	v_add3_u32 v1, v1, v41, s25
	v_or_b32_e32 v3, 0x400000, v41
	v_cmp_u_f32_e32 vcc, v41, v41
	v_cndmask_b32_e32 v4, v1, v3, vcc
	v_bfe_u32 v1, v42, 16, 1
	v_add3_u32 v1, v1, v42, s25
	v_or_b32_e32 v3, 0x400000, v42
	v_cmp_u_f32_e32 vcc, v42, v42
	v_cndmask_b32_e32 v51, v1, v3, vcc
	;; [unrolled: 5-line block ×4, first 2 shown]
	v_and_b32_e32 v41, 0xffff0000, v0
	s_waitcnt vmcnt(1)
	v_and_b32_e32 v0, 0xffff0000, v53
	v_mul_f32_e32 v0, v41, v0
	v_bfe_u32 v42, v0, 16, 1
	v_add3_u32 v42, v42, v0, s25
	v_or_b32_e32 v43, 0x400000, v0
	v_cmp_u_f32_e32 vcc, v0, v0
	v_cndmask_b32_e32 v0, v42, v43, vcc
	v_and_b32_e32 v42, 0xffff0000, v2
	v_lshlrev_b32_e32 v2, 16, v53
	v_mul_f32_e32 v2, v42, v2
	v_bfe_u32 v43, v2, 16, 1
	v_add3_u32 v43, v43, v2, s25
	v_or_b32_e32 v44, 0x400000, v2
	v_cmp_u_f32_e32 vcc, v2, v2
	v_cndmask_b32_e32 v2, v43, v44, vcc
	v_and_b32_e32 v43, 0xffff0000, v50
	v_and_b32_e32 v44, 0xffff0000, v54
	v_mul_f32_e32 v44, v43, v44
	v_bfe_u32 v50, v44, 16, 1
	v_add3_u32 v50, v50, v44, s25
	v_or_b32_e32 v52, 0x400000, v44
	v_cmp_u_f32_e32 vcc, v44, v44
	v_and_b32_e32 v44, 0xffff0000, v49
	v_lshlrev_b32_e32 v49, 16, v54
	v_mul_f32_e32 v49, v44, v49
	v_cndmask_b32_e32 v53, v50, v52, vcc
	v_bfe_u32 v50, v49, 16, 1
	v_add3_u32 v50, v50, v49, s25
	v_or_b32_e32 v52, 0x400000, v49
	v_cmp_u_f32_e32 vcc, v49, v49
	v_cndmask_b32_e32 v54, v50, v52, vcc
	v_and_b32_e32 v2, 0xffff0000, v2
	v_and_b32_e32 v0, 0xffff0000, v0
	v_add_f32_e32 v0, v2, v0
	v_and_b32_e32 v2, 0xffff0000, v54
	buffer_load_dword v54, off, s[48:51], 0 offset:36 ; 4-byte Folded Reload
	v_and_b32_e32 v49, 0xffff0000, v51
	v_and_b32_e32 v50, 0xffff0000, v55
	v_mul_f32_e32 v50, v49, v50
	v_bfe_u32 v51, v50, 16, 1
	v_add3_u32 v51, v51, v50, s25
	v_or_b32_e32 v52, 0x400000, v50
	v_cmp_u_f32_e32 vcc, v50, v50
	v_and_b32_e32 v50, 0xffff0000, v4
	v_lshlrev_b32_e32 v4, 16, v55
	v_mul_f32_e32 v4, v50, v4
	v_cndmask_b32_e32 v59, v51, v52, vcc
	v_bfe_u32 v51, v4, 16, 1
	v_add3_u32 v51, v51, v4, s25
	v_or_b32_e32 v52, 0x400000, v4
	v_cmp_u_f32_e32 vcc, v4, v4
	v_cndmask_b32_e32 v4, v51, v52, vcc
	v_and_b32_e32 v51, 0xffff0000, v3
	v_and_b32_e32 v3, 0xffff0000, v56
	v_mul_f32_e32 v3, v51, v3
	v_bfe_u32 v52, v3, 16, 1
	v_add3_u32 v52, v52, v3, s25
	v_or_b32_e32 v55, 0x400000, v3
	v_cmp_u_f32_e32 vcc, v3, v3
	v_cndmask_b32_e32 v3, v52, v55, vcc
	v_and_b32_e32 v52, 0xffff0000, v1
	v_lshlrev_b32_e32 v1, 16, v56
	v_mul_f32_e32 v1, v52, v1
	v_and_b32_e32 v53, 0xffff0000, v53
	v_bfe_u32 v55, v1, 16, 1
	v_add_f32_e32 v2, v2, v53
	v_add3_u32 v55, v55, v1, s25
	v_or_b32_e32 v56, 0x400000, v1
	v_cmp_u_f32_e32 vcc, v1, v1
	v_add_f32_e32 v0, v2, v0
	v_and_b32_e32 v2, 0xffff0000, v4
	v_and_b32_e32 v4, 0xffff0000, v59
	v_cndmask_b32_e32 v1, v55, v56, vcc
	v_add_f32_e32 v2, v2, v4
	v_add_f32_e32 v0, v2, v0
	v_and_b32_e32 v1, 0xffff0000, v1
	v_and_b32_e32 v2, 0xffff0000, v3
	v_add_f32_e32 v1, v1, v2
	v_add_f32_e32 v0, v1, v0
	s_waitcnt vmcnt(0)
	v_add_f32_e32 v54, v54, v0
	v_and_b32_e32 v0, 0xffff0000, v45
	v_mul_f32_e32 v0, v41, v0
	v_bfe_u32 v1, v0, 16, 1
	v_add3_u32 v1, v1, v0, s25
	v_or_b32_e32 v2, 0x400000, v0
	v_cmp_u_f32_e32 vcc, v0, v0
	v_cndmask_b32_e32 v0, v1, v2, vcc
	v_lshlrev_b32_e32 v1, 16, v45
	v_mul_f32_e32 v1, v42, v1
	v_bfe_u32 v2, v1, 16, 1
	v_add3_u32 v2, v2, v1, s25
	v_or_b32_e32 v3, 0x400000, v1
	v_cmp_u_f32_e32 vcc, v1, v1
	v_cndmask_b32_e32 v1, v2, v3, vcc
	v_and_b32_e32 v2, 0xffff0000, v46
	v_mul_f32_e32 v2, v43, v2
	v_bfe_u32 v3, v2, 16, 1
	v_add3_u32 v3, v3, v2, s25
	v_or_b32_e32 v4, 0x400000, v2
	v_cmp_u_f32_e32 vcc, v2, v2
	v_cndmask_b32_e32 v2, v3, v4, vcc
	v_lshlrev_b32_e32 v3, 16, v46
	v_mul_f32_e32 v3, v44, v3
	v_bfe_u32 v4, v3, 16, 1
	v_add3_u32 v4, v4, v3, s25
	v_or_b32_e32 v45, 0x400000, v3
	v_cmp_u_f32_e32 vcc, v3, v3
	v_cndmask_b32_e32 v3, v4, v45, vcc
	v_and_b32_e32 v4, 0xffff0000, v47
	v_mul_f32_e32 v4, v49, v4
	v_bfe_u32 v45, v4, 16, 1
	v_add3_u32 v45, v45, v4, s25
	v_or_b32_e32 v46, 0x400000, v4
	v_cmp_u_f32_e32 vcc, v4, v4
	v_cndmask_b32_e32 v4, v45, v46, vcc
	v_lshlrev_b32_e32 v45, 16, v47
	v_mul_f32_e32 v45, v50, v45
	v_bfe_u32 v46, v45, 16, 1
	v_add3_u32 v46, v46, v45, s25
	v_or_b32_e32 v47, 0x400000, v45
	v_cmp_u_f32_e32 vcc, v45, v45
	v_cndmask_b32_e32 v45, v46, v47, vcc
	v_and_b32_e32 v46, 0xffff0000, v48
	v_mul_f32_e32 v46, v51, v46
	v_and_b32_e32 v1, 0xffff0000, v1
	v_and_b32_e32 v0, 0xffff0000, v0
	v_bfe_u32 v47, v46, 16, 1
	v_add_f32_e32 v0, v1, v0
	v_and_b32_e32 v1, 0xffff0000, v3
	v_and_b32_e32 v2, 0xffff0000, v2
	v_add3_u32 v47, v47, v46, s25
	v_or_b32_e32 v53, 0x400000, v46
	v_cmp_u_f32_e32 vcc, v46, v46
	v_add_f32_e32 v1, v1, v2
	v_cndmask_b32_e32 v46, v47, v53, vcc
	v_add_f32_e32 v0, v1, v0
	v_and_b32_e32 v1, 0xffff0000, v45
	v_and_b32_e32 v2, 0xffff0000, v4
	v_add_f32_e32 v1, v1, v2
	v_and_b32_e32 v2, 0xffff0000, v46
	buffer_load_dword v46, off, s[48:51], 0 offset:40 ; 4-byte Folded Reload
	v_lshlrev_b32_e32 v47, 16, v48
	v_mul_f32_e32 v47, v52, v47
	v_bfe_u32 v48, v47, 16, 1
	v_add3_u32 v48, v48, v47, s25
	v_or_b32_e32 v53, 0x400000, v47
	v_cmp_u_f32_e32 vcc, v47, v47
	v_cndmask_b32_e32 v47, v48, v53, vcc
	v_add_f32_e32 v0, v1, v0
	v_and_b32_e32 v1, 0xffff0000, v47
	v_add_f32_e32 v1, v1, v2
	v_add_f32_e32 v0, v1, v0
	s_waitcnt vmcnt(0)
	v_add_f32_e32 v46, v46, v0
	v_and_b32_e32 v0, 0xffff0000, v37
	v_mul_f32_e32 v0, v41, v0
	v_bfe_u32 v1, v0, 16, 1
	v_add3_u32 v1, v1, v0, s25
	v_or_b32_e32 v2, 0x400000, v0
	v_cmp_u_f32_e32 vcc, v0, v0
	v_cndmask_b32_e32 v0, v1, v2, vcc
	v_lshlrev_b32_e32 v1, 16, v37
	v_mul_f32_e32 v1, v42, v1
	v_bfe_u32 v2, v1, 16, 1
	v_add3_u32 v2, v2, v1, s25
	v_or_b32_e32 v3, 0x400000, v1
	v_cmp_u_f32_e32 vcc, v1, v1
	v_cndmask_b32_e32 v1, v2, v3, vcc
	v_and_b32_e32 v2, 0xffff0000, v38
	v_mul_f32_e32 v2, v43, v2
	v_bfe_u32 v3, v2, 16, 1
	v_add3_u32 v3, v3, v2, s25
	v_or_b32_e32 v4, 0x400000, v2
	v_cmp_u_f32_e32 vcc, v2, v2
	v_cndmask_b32_e32 v2, v3, v4, vcc
	v_lshlrev_b32_e32 v3, 16, v38
	v_mul_f32_e32 v3, v44, v3
	v_bfe_u32 v4, v3, 16, 1
	v_add3_u32 v4, v4, v3, s25
	v_or_b32_e32 v37, 0x400000, v3
	v_cmp_u_f32_e32 vcc, v3, v3
	v_cndmask_b32_e32 v3, v4, v37, vcc
	;; [unrolled: 14-line block ×3, first 2 shown]
	v_and_b32_e32 v38, 0xffff0000, v40
	v_mul_f32_e32 v38, v51, v38
	v_and_b32_e32 v1, 0xffff0000, v1
	v_and_b32_e32 v0, 0xffff0000, v0
	v_bfe_u32 v39, v38, 16, 1
	v_add_f32_e32 v0, v1, v0
	v_and_b32_e32 v1, 0xffff0000, v3
	v_and_b32_e32 v2, 0xffff0000, v2
	v_add3_u32 v39, v39, v38, s25
	v_or_b32_e32 v45, 0x400000, v38
	v_cmp_u_f32_e32 vcc, v38, v38
	v_add_f32_e32 v1, v1, v2
	v_cndmask_b32_e32 v38, v39, v45, vcc
	v_add_f32_e32 v0, v1, v0
	v_and_b32_e32 v1, 0xffff0000, v37
	v_and_b32_e32 v2, 0xffff0000, v4
	v_add_f32_e32 v1, v1, v2
	v_and_b32_e32 v2, 0xffff0000, v38
	buffer_load_dword v38, off, s[48:51], 0 offset:44 ; 4-byte Folded Reload
	v_lshlrev_b32_e32 v39, 16, v40
	v_mul_f32_e32 v39, v52, v39
	v_bfe_u32 v40, v39, 16, 1
	v_add3_u32 v40, v40, v39, s25
	v_or_b32_e32 v45, 0x400000, v39
	v_cmp_u_f32_e32 vcc, v39, v39
	v_cndmask_b32_e32 v39, v40, v45, vcc
	v_add_f32_e32 v0, v1, v0
	v_and_b32_e32 v1, 0xffff0000, v39
	v_add_f32_e32 v1, v1, v2
	v_add_f32_e32 v0, v1, v0
	s_waitcnt vmcnt(0)
	v_add_f32_e32 v38, v38, v0
	v_and_b32_e32 v0, 0xffff0000, v33
	v_mul_f32_e32 v0, v41, v0
	v_bfe_u32 v1, v0, 16, 1
	v_add3_u32 v1, v1, v0, s25
	v_or_b32_e32 v2, 0x400000, v0
	v_cmp_u_f32_e32 vcc, v0, v0
	v_cndmask_b32_e32 v0, v1, v2, vcc
	v_lshlrev_b32_e32 v1, 16, v33
	v_mul_f32_e32 v1, v42, v1
	v_bfe_u32 v2, v1, 16, 1
	v_add3_u32 v2, v2, v1, s25
	v_or_b32_e32 v3, 0x400000, v1
	v_cmp_u_f32_e32 vcc, v1, v1
	v_cndmask_b32_e32 v1, v2, v3, vcc
	v_and_b32_e32 v2, 0xffff0000, v34
	v_mul_f32_e32 v2, v43, v2
	v_bfe_u32 v3, v2, 16, 1
	v_add3_u32 v3, v3, v2, s25
	v_or_b32_e32 v4, 0x400000, v2
	v_cmp_u_f32_e32 vcc, v2, v2
	v_cndmask_b32_e32 v2, v3, v4, vcc
	v_lshlrev_b32_e32 v3, 16, v34
	v_mul_f32_e32 v3, v44, v3
	v_bfe_u32 v4, v3, 16, 1
	v_add3_u32 v4, v4, v3, s25
	v_or_b32_e32 v33, 0x400000, v3
	v_cmp_u_f32_e32 vcc, v3, v3
	v_cndmask_b32_e32 v3, v4, v33, vcc
	;; [unrolled: 14-line block ×3, first 2 shown]
	v_and_b32_e32 v34, 0xffff0000, v36
	v_mul_f32_e32 v34, v51, v34
	v_and_b32_e32 v1, 0xffff0000, v1
	v_and_b32_e32 v0, 0xffff0000, v0
	v_bfe_u32 v35, v34, 16, 1
	v_add_f32_e32 v0, v1, v0
	v_and_b32_e32 v1, 0xffff0000, v3
	v_and_b32_e32 v2, 0xffff0000, v2
	v_add3_u32 v35, v35, v34, s25
	v_or_b32_e32 v37, 0x400000, v34
	v_cmp_u_f32_e32 vcc, v34, v34
	v_add_f32_e32 v1, v1, v2
	v_cndmask_b32_e32 v34, v35, v37, vcc
	v_add_f32_e32 v0, v1, v0
	v_and_b32_e32 v1, 0xffff0000, v33
	v_and_b32_e32 v2, 0xffff0000, v4
	v_add_f32_e32 v1, v1, v2
	v_and_b32_e32 v2, 0xffff0000, v34
	buffer_load_dword v34, off, s[48:51], 0 offset:48 ; 4-byte Folded Reload
	v_lshlrev_b32_e32 v35, 16, v36
	v_mul_f32_e32 v35, v52, v35
	v_bfe_u32 v36, v35, 16, 1
	v_add3_u32 v36, v36, v35, s25
	v_or_b32_e32 v37, 0x400000, v35
	v_cmp_u_f32_e32 vcc, v35, v35
	v_cndmask_b32_e32 v35, v36, v37, vcc
	v_add_f32_e32 v0, v1, v0
	v_and_b32_e32 v1, 0xffff0000, v35
	v_add_f32_e32 v1, v1, v2
	v_add_f32_e32 v0, v1, v0
	s_waitcnt vmcnt(0)
	v_add_f32_e32 v34, v34, v0
	v_and_b32_e32 v0, 0xffff0000, v29
	v_mul_f32_e32 v0, v41, v0
	v_bfe_u32 v1, v0, 16, 1
	v_add3_u32 v1, v1, v0, s25
	v_or_b32_e32 v2, 0x400000, v0
	v_cmp_u_f32_e32 vcc, v0, v0
	v_cndmask_b32_e32 v0, v1, v2, vcc
	v_lshlrev_b32_e32 v1, 16, v29
	v_mul_f32_e32 v1, v42, v1
	v_bfe_u32 v2, v1, 16, 1
	v_add3_u32 v2, v2, v1, s25
	v_or_b32_e32 v3, 0x400000, v1
	v_cmp_u_f32_e32 vcc, v1, v1
	v_cndmask_b32_e32 v1, v2, v3, vcc
	v_and_b32_e32 v2, 0xffff0000, v30
	v_mul_f32_e32 v2, v43, v2
	v_bfe_u32 v3, v2, 16, 1
	v_add3_u32 v3, v3, v2, s25
	v_or_b32_e32 v4, 0x400000, v2
	v_cmp_u_f32_e32 vcc, v2, v2
	v_cndmask_b32_e32 v2, v3, v4, vcc
	v_lshlrev_b32_e32 v3, 16, v30
	v_mul_f32_e32 v3, v44, v3
	v_bfe_u32 v4, v3, 16, 1
	v_add3_u32 v4, v4, v3, s25
	v_or_b32_e32 v29, 0x400000, v3
	v_cmp_u_f32_e32 vcc, v3, v3
	v_cndmask_b32_e32 v3, v4, v29, vcc
	v_and_b32_e32 v4, 0xffff0000, v31
	v_mul_f32_e32 v4, v49, v4
	v_bfe_u32 v29, v4, 16, 1
	v_add3_u32 v29, v29, v4, s25
	v_or_b32_e32 v30, 0x400000, v4
	v_cmp_u_f32_e32 vcc, v4, v4
	v_cndmask_b32_e32 v4, v29, v30, vcc
	v_lshlrev_b32_e32 v29, 16, v31
	v_mul_f32_e32 v29, v50, v29
	v_bfe_u32 v30, v29, 16, 1
	v_add3_u32 v30, v30, v29, s25
	v_or_b32_e32 v31, 0x400000, v29
	v_cmp_u_f32_e32 vcc, v29, v29
	v_cndmask_b32_e32 v29, v30, v31, vcc
	v_and_b32_e32 v30, 0xffff0000, v32
	v_mul_f32_e32 v30, v51, v30
	v_and_b32_e32 v1, 0xffff0000, v1
	v_and_b32_e32 v0, 0xffff0000, v0
	v_bfe_u32 v31, v30, 16, 1
	v_add_f32_e32 v0, v1, v0
	v_and_b32_e32 v1, 0xffff0000, v3
	v_and_b32_e32 v2, 0xffff0000, v2
	v_add3_u32 v31, v31, v30, s25
	v_or_b32_e32 v33, 0x400000, v30
	v_cmp_u_f32_e32 vcc, v30, v30
	v_add_f32_e32 v1, v1, v2
	v_cndmask_b32_e32 v30, v31, v33, vcc
	v_add_f32_e32 v0, v1, v0
	v_and_b32_e32 v1, 0xffff0000, v29
	v_and_b32_e32 v2, 0xffff0000, v4
	v_add_f32_e32 v1, v1, v2
	v_and_b32_e32 v2, 0xffff0000, v30
	buffer_load_dword v30, off, s[48:51], 0 offset:52 ; 4-byte Folded Reload
	v_lshlrev_b32_e32 v31, 16, v32
	v_mul_f32_e32 v31, v52, v31
	v_bfe_u32 v32, v31, 16, 1
	v_add3_u32 v32, v32, v31, s25
	v_or_b32_e32 v33, 0x400000, v31
	v_cmp_u_f32_e32 vcc, v31, v31
	v_cndmask_b32_e32 v31, v32, v33, vcc
	v_add_f32_e32 v0, v1, v0
	v_and_b32_e32 v1, 0xffff0000, v31
	v_add_f32_e32 v1, v1, v2
	v_add_f32_e32 v0, v1, v0
	s_waitcnt vmcnt(0)
	v_add_f32_e32 v30, v30, v0
	v_and_b32_e32 v0, 0xffff0000, v25
	v_mul_f32_e32 v0, v41, v0
	v_bfe_u32 v1, v0, 16, 1
	v_add3_u32 v1, v1, v0, s25
	v_or_b32_e32 v2, 0x400000, v0
	v_cmp_u_f32_e32 vcc, v0, v0
	v_cndmask_b32_e32 v0, v1, v2, vcc
	v_lshlrev_b32_e32 v1, 16, v25
	v_mul_f32_e32 v1, v42, v1
	v_bfe_u32 v2, v1, 16, 1
	v_add3_u32 v2, v2, v1, s25
	v_or_b32_e32 v3, 0x400000, v1
	v_cmp_u_f32_e32 vcc, v1, v1
	v_cndmask_b32_e32 v1, v2, v3, vcc
	v_and_b32_e32 v2, 0xffff0000, v26
	v_mul_f32_e32 v2, v43, v2
	v_bfe_u32 v3, v2, 16, 1
	v_add3_u32 v3, v3, v2, s25
	v_or_b32_e32 v4, 0x400000, v2
	v_cmp_u_f32_e32 vcc, v2, v2
	v_cndmask_b32_e32 v2, v3, v4, vcc
	v_lshlrev_b32_e32 v3, 16, v26
	v_mul_f32_e32 v3, v44, v3
	v_bfe_u32 v4, v3, 16, 1
	v_add3_u32 v4, v4, v3, s25
	v_or_b32_e32 v25, 0x400000, v3
	v_cmp_u_f32_e32 vcc, v3, v3
	v_cndmask_b32_e32 v3, v4, v25, vcc
	;; [unrolled: 14-line block ×3, first 2 shown]
	v_and_b32_e32 v26, 0xffff0000, v28
	v_mul_f32_e32 v26, v51, v26
	v_and_b32_e32 v1, 0xffff0000, v1
	v_and_b32_e32 v0, 0xffff0000, v0
	v_bfe_u32 v27, v26, 16, 1
	v_add_f32_e32 v0, v1, v0
	v_and_b32_e32 v1, 0xffff0000, v3
	v_and_b32_e32 v2, 0xffff0000, v2
	v_add3_u32 v27, v27, v26, s25
	v_or_b32_e32 v29, 0x400000, v26
	v_cmp_u_f32_e32 vcc, v26, v26
	v_add_f32_e32 v1, v1, v2
	v_cndmask_b32_e32 v26, v27, v29, vcc
	v_add_f32_e32 v0, v1, v0
	v_and_b32_e32 v1, 0xffff0000, v25
	v_and_b32_e32 v2, 0xffff0000, v4
	v_add_f32_e32 v1, v1, v2
	v_and_b32_e32 v2, 0xffff0000, v26
	buffer_load_dword v26, off, s[48:51], 0 offset:56 ; 4-byte Folded Reload
	v_lshlrev_b32_e32 v27, 16, v28
	v_mul_f32_e32 v27, v52, v27
	v_bfe_u32 v28, v27, 16, 1
	v_add3_u32 v28, v28, v27, s25
	v_or_b32_e32 v29, 0x400000, v27
	v_cmp_u_f32_e32 vcc, v27, v27
	v_cndmask_b32_e32 v27, v28, v29, vcc
	v_add_f32_e32 v0, v1, v0
	v_and_b32_e32 v1, 0xffff0000, v27
	v_add_f32_e32 v1, v1, v2
	v_add_f32_e32 v0, v1, v0
	s_waitcnt vmcnt(0)
	v_add_f32_e32 v26, v26, v0
	v_and_b32_e32 v0, 0xffff0000, v17
	v_mul_f32_e32 v0, v41, v0
	v_bfe_u32 v1, v0, 16, 1
	v_add3_u32 v1, v1, v0, s25
	v_or_b32_e32 v2, 0x400000, v0
	v_cmp_u_f32_e32 vcc, v0, v0
	v_cndmask_b32_e32 v0, v1, v2, vcc
	v_lshlrev_b32_e32 v1, 16, v17
	v_mul_f32_e32 v1, v42, v1
	v_bfe_u32 v2, v1, 16, 1
	v_add3_u32 v2, v2, v1, s25
	v_or_b32_e32 v3, 0x400000, v1
	v_cmp_u_f32_e32 vcc, v1, v1
	v_cndmask_b32_e32 v1, v2, v3, vcc
	v_and_b32_e32 v2, 0xffff0000, v18
	v_mul_f32_e32 v2, v43, v2
	v_bfe_u32 v3, v2, 16, 1
	v_add3_u32 v3, v3, v2, s25
	v_or_b32_e32 v4, 0x400000, v2
	v_cmp_u_f32_e32 vcc, v2, v2
	v_cndmask_b32_e32 v2, v3, v4, vcc
	v_lshlrev_b32_e32 v3, 16, v18
	v_mul_f32_e32 v3, v44, v3
	v_bfe_u32 v4, v3, 16, 1
	v_add3_u32 v4, v4, v3, s25
	v_or_b32_e32 v17, 0x400000, v3
	v_cmp_u_f32_e32 vcc, v3, v3
	v_cndmask_b32_e32 v3, v4, v17, vcc
	v_and_b32_e32 v4, 0xffff0000, v19
	v_mul_f32_e32 v4, v49, v4
	v_bfe_u32 v17, v4, 16, 1
	v_add3_u32 v17, v17, v4, s25
	v_or_b32_e32 v18, 0x400000, v4
	v_cmp_u_f32_e32 vcc, v4, v4
	v_cndmask_b32_e32 v4, v17, v18, vcc
	v_lshlrev_b32_e32 v17, 16, v19
	v_mul_f32_e32 v17, v50, v17
	v_bfe_u32 v18, v17, 16, 1
	v_add3_u32 v18, v18, v17, s25
	v_or_b32_e32 v19, 0x400000, v17
	v_cmp_u_f32_e32 vcc, v17, v17
	v_cndmask_b32_e32 v17, v18, v19, vcc
	v_and_b32_e32 v18, 0xffff0000, v20
	v_mul_f32_e32 v18, v51, v18
	v_bfe_u32 v19, v18, 16, 1
	v_add3_u32 v19, v19, v18, s25
	v_or_b32_e32 v25, 0x400000, v18
	v_cmp_u_f32_e32 vcc, v18, v18
	v_cndmask_b32_e32 v18, v19, v25, vcc
	v_lshlrev_b32_e32 v19, 16, v20
	v_mul_f32_e32 v19, v52, v19
	v_bfe_u32 v20, v19, 16, 1
	v_add3_u32 v20, v20, v19, s25
	v_or_b32_e32 v25, 0x400000, v19
	v_cmp_u_f32_e32 vcc, v19, v19
	v_cndmask_b32_e32 v19, v20, v25, vcc
	buffer_load_dword v25, off, s[48:51], 0 offset:60 ; 4-byte Folded Reload
	v_and_b32_e32 v1, 0xffff0000, v1
	v_and_b32_e32 v0, 0xffff0000, v0
	v_add_f32_e32 v0, v1, v0
	v_and_b32_e32 v1, 0xffff0000, v3
	v_and_b32_e32 v2, 0xffff0000, v2
	v_add_f32_e32 v1, v1, v2
	v_add_f32_e32 v0, v1, v0
	v_and_b32_e32 v1, 0xffff0000, v17
	v_and_b32_e32 v2, 0xffff0000, v4
	v_add_f32_e32 v1, v1, v2
	;; [unrolled: 4-line block ×3, first 2 shown]
	v_add_f32_e32 v0, v1, v0
	s_waitcnt vmcnt(0)
	v_add_f32_e32 v25, v25, v0
	v_and_b32_e32 v0, 0xffff0000, v13
	v_mul_f32_e32 v0, v41, v0
	v_bfe_u32 v1, v0, 16, 1
	v_add3_u32 v1, v1, v0, s25
	v_or_b32_e32 v2, 0x400000, v0
	v_cmp_u_f32_e32 vcc, v0, v0
	v_cndmask_b32_e32 v0, v1, v2, vcc
	v_lshlrev_b32_e32 v1, 16, v13
	v_mul_f32_e32 v1, v42, v1
	v_bfe_u32 v2, v1, 16, 1
	v_add3_u32 v2, v2, v1, s25
	v_or_b32_e32 v3, 0x400000, v1
	v_cmp_u_f32_e32 vcc, v1, v1
	v_cndmask_b32_e32 v1, v2, v3, vcc
	v_and_b32_e32 v2, 0xffff0000, v14
	v_mul_f32_e32 v2, v43, v2
	v_bfe_u32 v3, v2, 16, 1
	v_add3_u32 v3, v3, v2, s25
	v_or_b32_e32 v4, 0x400000, v2
	v_cmp_u_f32_e32 vcc, v2, v2
	v_cndmask_b32_e32 v2, v3, v4, vcc
	v_lshlrev_b32_e32 v3, 16, v14
	v_mul_f32_e32 v3, v44, v3
	v_bfe_u32 v4, v3, 16, 1
	v_add3_u32 v4, v4, v3, s25
	v_or_b32_e32 v13, 0x400000, v3
	v_cmp_u_f32_e32 vcc, v3, v3
	v_cndmask_b32_e32 v3, v4, v13, vcc
	;; [unrolled: 14-line block ×3, first 2 shown]
	v_and_b32_e32 v14, 0xffff0000, v16
	v_mul_f32_e32 v14, v51, v14
	v_and_b32_e32 v1, 0xffff0000, v1
	v_and_b32_e32 v0, 0xffff0000, v0
	v_bfe_u32 v15, v14, 16, 1
	v_add_f32_e32 v0, v1, v0
	v_and_b32_e32 v1, 0xffff0000, v3
	v_and_b32_e32 v2, 0xffff0000, v2
	v_add3_u32 v15, v15, v14, s25
	v_or_b32_e32 v17, 0x400000, v14
	v_cmp_u_f32_e32 vcc, v14, v14
	v_add_f32_e32 v1, v1, v2
	v_cndmask_b32_e32 v14, v15, v17, vcc
	v_add_f32_e32 v0, v1, v0
	v_and_b32_e32 v1, 0xffff0000, v13
	v_and_b32_e32 v2, 0xffff0000, v4
	v_add_f32_e32 v1, v1, v2
	v_and_b32_e32 v2, 0xffff0000, v14
	buffer_load_dword v14, off, s[48:51], 0 offset:64 ; 4-byte Folded Reload
	v_lshlrev_b32_e32 v15, 16, v16
	v_mul_f32_e32 v15, v52, v15
	v_bfe_u32 v16, v15, 16, 1
	v_add3_u32 v16, v16, v15, s25
	v_or_b32_e32 v17, 0x400000, v15
	v_cmp_u_f32_e32 vcc, v15, v15
	v_cndmask_b32_e32 v15, v16, v17, vcc
	v_add_f32_e32 v0, v1, v0
	v_and_b32_e32 v1, 0xffff0000, v15
	v_add_f32_e32 v1, v1, v2
	v_add_f32_e32 v0, v1, v0
	s_waitcnt vmcnt(0)
	v_add_f32_e32 v14, v14, v0
	v_and_b32_e32 v0, 0xffff0000, v9
	v_mul_f32_e32 v0, v41, v0
	v_bfe_u32 v1, v0, 16, 1
	v_add3_u32 v1, v1, v0, s25
	v_or_b32_e32 v2, 0x400000, v0
	v_cmp_u_f32_e32 vcc, v0, v0
	v_cndmask_b32_e32 v0, v1, v2, vcc
	v_lshlrev_b32_e32 v1, 16, v9
	v_mul_f32_e32 v1, v42, v1
	v_bfe_u32 v2, v1, 16, 1
	v_add3_u32 v2, v2, v1, s25
	v_or_b32_e32 v3, 0x400000, v1
	v_cmp_u_f32_e32 vcc, v1, v1
	v_cndmask_b32_e32 v1, v2, v3, vcc
	v_and_b32_e32 v2, 0xffff0000, v10
	v_mul_f32_e32 v2, v43, v2
	v_bfe_u32 v3, v2, 16, 1
	v_add3_u32 v3, v3, v2, s25
	v_or_b32_e32 v4, 0x400000, v2
	v_cmp_u_f32_e32 vcc, v2, v2
	v_cndmask_b32_e32 v2, v3, v4, vcc
	v_lshlrev_b32_e32 v3, 16, v10
	v_mul_f32_e32 v3, v44, v3
	v_bfe_u32 v4, v3, 16, 1
	v_add3_u32 v4, v4, v3, s25
	v_or_b32_e32 v9, 0x400000, v3
	v_cmp_u_f32_e32 vcc, v3, v3
	v_cndmask_b32_e32 v3, v4, v9, vcc
	;; [unrolled: 14-line block ×3, first 2 shown]
	v_and_b32_e32 v10, 0xffff0000, v12
	v_mul_f32_e32 v10, v51, v10
	v_and_b32_e32 v1, 0xffff0000, v1
	v_and_b32_e32 v0, 0xffff0000, v0
	v_bfe_u32 v11, v10, 16, 1
	v_add_f32_e32 v0, v1, v0
	v_and_b32_e32 v1, 0xffff0000, v3
	v_and_b32_e32 v2, 0xffff0000, v2
	v_add3_u32 v11, v11, v10, s25
	v_or_b32_e32 v13, 0x400000, v10
	v_cmp_u_f32_e32 vcc, v10, v10
	v_add_f32_e32 v1, v1, v2
	v_cndmask_b32_e32 v10, v11, v13, vcc
	v_add_f32_e32 v0, v1, v0
	v_and_b32_e32 v1, 0xffff0000, v9
	v_and_b32_e32 v2, 0xffff0000, v4
	v_add_f32_e32 v1, v1, v2
	v_and_b32_e32 v2, 0xffff0000, v10
	buffer_load_dword v10, off, s[48:51], 0 offset:68 ; 4-byte Folded Reload
	v_lshlrev_b32_e32 v11, 16, v12
	v_mul_f32_e32 v11, v52, v11
	v_bfe_u32 v12, v11, 16, 1
	v_add3_u32 v12, v12, v11, s25
	v_or_b32_e32 v13, 0x400000, v11
	v_cmp_u_f32_e32 vcc, v11, v11
	v_cndmask_b32_e32 v11, v12, v13, vcc
	v_add_f32_e32 v0, v1, v0
	v_and_b32_e32 v1, 0xffff0000, v11
	v_add_f32_e32 v1, v1, v2
	v_add_f32_e32 v0, v1, v0
	buffer_load_dword v12, off, s[48:51], 0 offset:76 ; 4-byte Folded Reload
	s_waitcnt vmcnt(1)
	v_add_f32_e32 v10, v10, v0
	v_and_b32_e32 v0, 0xffff0000, v5
	v_mul_f32_e32 v0, v41, v0
	v_bfe_u32 v1, v0, 16, 1
	v_add3_u32 v1, v1, v0, s25
	v_or_b32_e32 v2, 0x400000, v0
	v_cmp_u_f32_e32 vcc, v0, v0
	v_cndmask_b32_e32 v0, v1, v2, vcc
	v_lshlrev_b32_e32 v1, 16, v5
	v_mul_f32_e32 v1, v42, v1
	v_bfe_u32 v2, v1, 16, 1
	v_add3_u32 v2, v2, v1, s25
	v_or_b32_e32 v3, 0x400000, v1
	v_cmp_u_f32_e32 vcc, v1, v1
	v_cndmask_b32_e32 v1, v2, v3, vcc
	v_and_b32_e32 v2, 0xffff0000, v6
	v_mul_f32_e32 v2, v43, v2
	v_bfe_u32 v3, v2, 16, 1
	v_add3_u32 v3, v3, v2, s25
	v_or_b32_e32 v4, 0x400000, v2
	v_cmp_u_f32_e32 vcc, v2, v2
	v_cndmask_b32_e32 v2, v3, v4, vcc
	v_lshlrev_b32_e32 v3, 16, v6
	v_mul_f32_e32 v3, v44, v3
	v_bfe_u32 v4, v3, 16, 1
	v_add3_u32 v4, v4, v3, s25
	v_or_b32_e32 v5, 0x400000, v3
	v_cmp_u_f32_e32 vcc, v3, v3
	v_cndmask_b32_e32 v3, v4, v5, vcc
	;; [unrolled: 14-line block ×3, first 2 shown]
	v_and_b32_e32 v6, 0xffff0000, v8
	v_mul_f32_e32 v6, v51, v6
	v_bfe_u32 v7, v6, 16, 1
	v_add3_u32 v7, v7, v6, s25
	v_or_b32_e32 v9, 0x400000, v6
	v_cmp_u_f32_e32 vcc, v6, v6
	v_cndmask_b32_e32 v6, v7, v9, vcc
	v_lshlrev_b32_e32 v7, 16, v8
	v_and_b32_e32 v1, 0xffff0000, v1
	v_and_b32_e32 v0, 0xffff0000, v0
	v_mul_f32_e32 v7, v52, v7
	v_add_f32_e32 v0, v1, v0
	v_and_b32_e32 v1, 0xffff0000, v3
	v_and_b32_e32 v2, 0xffff0000, v2
	v_bfe_u32 v8, v7, 16, 1
	v_add_f32_e32 v1, v1, v2
	v_add3_u32 v8, v8, v7, s25
	v_or_b32_e32 v9, 0x400000, v7
	v_cmp_u_f32_e32 vcc, v7, v7
	v_add_f32_e32 v0, v1, v0
	v_and_b32_e32 v1, 0xffff0000, v5
	v_and_b32_e32 v2, 0xffff0000, v4
	v_cndmask_b32_e32 v7, v8, v9, vcc
	v_add_f32_e32 v1, v1, v2
	v_add_f32_e32 v0, v1, v0
	v_and_b32_e32 v1, 0xffff0000, v7
	v_and_b32_e32 v2, 0xffff0000, v6
	buffer_load_dword v6, off, s[48:51], 0 offset:12 ; 4-byte Folded Reload
	buffer_load_dword v7, off, s[48:51], 0 offset:16 ; 4-byte Folded Reload
	;; [unrolled: 1-line block ×6, first 2 shown]
	v_add_f32_e32 v1, v1, v2
	v_add_f32_e32 v0, v1, v0
	s_waitcnt vmcnt(6)
	v_add_f32_e32 v12, v12, v0
	s_waitcnt vmcnt(5)
	v_and_b32_e32 v0, 0xffff0000, v6
	v_mul_f32_e32 v0, v41, v0
	v_bfe_u32 v1, v0, 16, 1
	v_add3_u32 v1, v1, v0, s25
	v_or_b32_e32 v2, 0x400000, v0
	v_cmp_u_f32_e32 vcc, v0, v0
	v_cndmask_b32_e32 v0, v1, v2, vcc
	v_lshlrev_b32_e32 v1, 16, v6
	v_mul_f32_e32 v1, v42, v1
	v_bfe_u32 v2, v1, 16, 1
	v_add3_u32 v2, v2, v1, s25
	v_or_b32_e32 v3, 0x400000, v1
	v_cmp_u_f32_e32 vcc, v1, v1
	v_cndmask_b32_e32 v1, v2, v3, vcc
	s_waitcnt vmcnt(4)
	v_and_b32_e32 v2, 0xffff0000, v7
	v_mul_f32_e32 v2, v43, v2
	v_bfe_u32 v3, v2, 16, 1
	v_add3_u32 v3, v3, v2, s25
	v_or_b32_e32 v4, 0x400000, v2
	v_cmp_u_f32_e32 vcc, v2, v2
	v_cndmask_b32_e32 v2, v3, v4, vcc
	v_lshlrev_b32_e32 v3, 16, v7
	v_mul_f32_e32 v3, v44, v3
	v_bfe_u32 v4, v3, 16, 1
	v_add3_u32 v4, v4, v3, s25
	v_or_b32_e32 v5, 0x400000, v3
	v_cmp_u_f32_e32 vcc, v3, v3
	v_cndmask_b32_e32 v3, v4, v5, vcc
	s_waitcnt vmcnt(3)
	v_and_b32_e32 v4, 0xffff0000, v8
	v_mul_f32_e32 v4, v49, v4
	v_bfe_u32 v5, v4, 16, 1
	v_add3_u32 v5, v5, v4, s25
	v_or_b32_e32 v6, 0x400000, v4
	v_cmp_u_f32_e32 vcc, v4, v4
	v_cndmask_b32_e32 v4, v5, v6, vcc
	v_lshlrev_b32_e32 v5, 16, v8
	v_mul_f32_e32 v5, v50, v5
	v_bfe_u32 v6, v5, 16, 1
	v_add3_u32 v6, v6, v5, s25
	v_or_b32_e32 v7, 0x400000, v5
	v_cmp_u_f32_e32 vcc, v5, v5
	v_cndmask_b32_e32 v5, v6, v7, vcc
	s_waitcnt vmcnt(2)
	v_and_b32_e32 v6, 0xffff0000, v9
	v_mul_f32_e32 v6, v51, v6
	v_bfe_u32 v7, v6, 16, 1
	v_add3_u32 v7, v7, v6, s25
	v_or_b32_e32 v8, 0x400000, v6
	v_cmp_u_f32_e32 vcc, v6, v6
	v_cndmask_b32_e32 v6, v7, v8, vcc
	v_lshlrev_b32_e32 v7, 16, v9
	v_and_b32_e32 v1, 0xffff0000, v1
	v_and_b32_e32 v0, 0xffff0000, v0
	v_mul_f32_e32 v7, v52, v7
	v_add_f32_e32 v0, v1, v0
	v_and_b32_e32 v1, 0xffff0000, v3
	v_and_b32_e32 v2, 0xffff0000, v2
	v_bfe_u32 v8, v7, 16, 1
	v_add_f32_e32 v1, v1, v2
	v_add3_u32 v8, v8, v7, s25
	v_or_b32_e32 v9, 0x400000, v7
	v_cmp_u_f32_e32 vcc, v7, v7
	v_add_f32_e32 v0, v1, v0
	v_and_b32_e32 v1, 0xffff0000, v5
	v_and_b32_e32 v2, 0xffff0000, v4
	v_cndmask_b32_e32 v7, v8, v9, vcc
	v_add_f32_e32 v1, v1, v2
	v_add_f32_e32 v0, v1, v0
	v_and_b32_e32 v1, 0xffff0000, v7
	v_and_b32_e32 v2, 0xffff0000, v6
	v_add_f32_e32 v1, v1, v2
	v_add_f32_e32 v0, v1, v0
	s_waitcnt vmcnt(1)
	v_add_f32_e32 v11, v11, v0
	v_lshlrev_b32_e32 v0, 16, v21
	v_mul_f32_e32 v0, v42, v0
	v_bfe_u32 v1, v0, 16, 1
	v_add3_u32 v1, v1, v0, s25
	v_or_b32_e32 v2, 0x400000, v0
	v_cmp_u_f32_e32 vcc, v0, v0
	v_cndmask_b32_e32 v0, v1, v2, vcc
	v_and_b32_e32 v1, 0xffff0000, v21
	v_mul_f32_e32 v1, v41, v1
	v_bfe_u32 v2, v1, 16, 1
	v_add3_u32 v2, v2, v1, s25
	v_or_b32_e32 v3, 0x400000, v1
	v_cmp_u_f32_e32 vcc, v1, v1
	v_cndmask_b32_e32 v1, v2, v3, vcc
	v_lshlrev_b32_e32 v2, 16, v22
	v_mul_f32_e32 v2, v44, v2
	v_bfe_u32 v3, v2, 16, 1
	v_add3_u32 v3, v3, v2, s25
	v_or_b32_e32 v4, 0x400000, v2
	v_cmp_u_f32_e32 vcc, v2, v2
	v_cndmask_b32_e32 v2, v3, v4, vcc
	v_and_b32_e32 v3, 0xffff0000, v22
	v_mul_f32_e32 v3, v43, v3
	v_bfe_u32 v4, v3, 16, 1
	v_add3_u32 v4, v4, v3, s25
	v_or_b32_e32 v5, 0x400000, v3
	v_cmp_u_f32_e32 vcc, v3, v3
	v_cndmask_b32_e32 v3, v4, v5, vcc
	;; [unrolled: 14-line block ×3, first 2 shown]
	v_lshlrev_b32_e32 v6, 16, v24
	v_mul_f32_e32 v6, v52, v6
	v_bfe_u32 v7, v6, 16, 1
	v_add3_u32 v7, v7, v6, s25
	v_or_b32_e32 v8, 0x400000, v6
	v_cmp_u_f32_e32 vcc, v6, v6
	v_cndmask_b32_e32 v6, v7, v8, vcc
	v_and_b32_e32 v7, 0xffff0000, v24
	v_and_b32_e32 v1, 0xffff0000, v1
	;; [unrolled: 1-line block ×3, first 2 shown]
	v_mul_f32_e32 v7, v51, v7
	v_add_f32_e32 v0, v0, v1
	v_and_b32_e32 v1, 0xffff0000, v3
	v_and_b32_e32 v2, 0xffff0000, v2
	v_bfe_u32 v8, v7, 16, 1
	v_add_f32_e32 v1, v2, v1
	v_add3_u32 v8, v8, v7, s25
	v_or_b32_e32 v9, 0x400000, v7
	v_cmp_u_f32_e32 vcc, v7, v7
	v_add_f32_e32 v0, v1, v0
	v_and_b32_e32 v1, 0xffff0000, v5
	v_and_b32_e32 v2, 0xffff0000, v4
	v_cndmask_b32_e32 v7, v8, v9, vcc
	v_add_f32_e32 v1, v2, v1
	v_add_f32_e32 v0, v1, v0
	v_and_b32_e32 v1, 0xffff0000, v7
	v_and_b32_e32 v2, 0xffff0000, v6
	v_add_f32_e32 v1, v2, v1
	v_add_f32_e32 v0, v1, v0
	s_waitcnt vmcnt(0)
	v_add_f32_e32 v20, v20, v0
.LBB151_39:                             ;   in Loop: Header=BB151_40 Depth=1
	s_or_b64 exec, exec, s[12:13]
	buffer_load_dword v0, off, s[48:51], 0  ; 4-byte Folded Reload
	buffer_load_dword v1, off, s[48:51], 0 offset:4 ; 4-byte Folded Reload
	v_add_co_u32_e32 v57, vcc, 8, v57
	v_addc_co_u32_e32 v58, vcc, 0, v58, vcc
	s_waitcnt vmcnt(1)
	v_add_u32_e32 v0, 2, v0
	buffer_store_dword v0, off, s[48:51], 0 ; 4-byte Folded Spill
	v_cmp_le_i32_e32 vcc, s16, v0
	buffer_load_dword v0, off, s[48:51], 0 offset:8 ; 4-byte Folded Reload
	s_waitcnt vmcnt(2)
	v_add_u32_e32 v1, 64, v1
	s_or_b64 s[6:7], vcc, s[6:7]
	s_waitcnt vmcnt(0)
	v_add_u32_e32 v0, 0x100, v0
	buffer_store_dword v0, off, s[48:51], 0 offset:8 ; 4-byte Folded Spill
	s_andn2_b64 exec, exec, s[6:7]
	s_cbranch_execz .LBB151_65
.LBB151_40:                             ; =>This Inner Loop Header: Depth=1
	s_waitcnt vmcnt(1)
	v_mul_hi_u32 v0, v1, s40
	v_mov_b32_e32 v3, v1
	buffer_store_dword v3, off, s[48:51], 0 offset:4 ; 4-byte Folded Spill
	v_mul_lo_u32 v1, v0, s21
	v_add_u32_e32 v2, 1, v0
	v_sub_u32_e32 v1, v3, v1
	buffer_load_dword v3, off, s[48:51], 0 offset:28 ; 4-byte Folded Reload
	v_cmp_le_u32_e32 vcc, s21, v1
	v_cndmask_b32_e32 v0, v0, v2, vcc
	v_subrev_u32_e32 v2, s21, v1
	v_cndmask_b32_e32 v1, v1, v2, vcc
	v_add_u32_e32 v2, 1, v0
	v_cmp_le_u32_e32 vcc, s21, v1
	v_cndmask_b32_e32 v0, v0, v2, vcc
	v_xor_b32_e32 v0, s19, v0
	v_subrev_u32_e32 v0, s19, v0
	v_add_u32_e32 v1, s41, v0
	v_sub_u32_e32 v2, 0, v1
	v_max_i32_e32 v2, v1, v2
	v_ashrrev_i32_e32 v1, 31, v1
	v_cmp_lt_i32_e64 s[0:1], s17, v0
	s_waitcnt vmcnt(0)
	v_mul_hi_u32 v3, v2, v3
	v_mul_lo_u32 v3, v3, s18
	v_sub_u32_e32 v2, v2, v3
	v_subrev_u32_e32 v3, s18, v2
	v_cmp_le_u32_e32 vcc, s18, v2
	v_cndmask_b32_e32 v2, v2, v3, vcc
	v_subrev_u32_e32 v3, s18, v2
	v_cmp_le_u32_e32 vcc, s18, v2
	v_cndmask_b32_e32 v2, v2, v3, vcc
	v_xor_b32_e32 v2, v2, v1
	v_sub_u32_e32 v1, v2, v1
	v_cmp_eq_u32_e32 vcc, 0, v1
	s_or_b64 s[0:1], vcc, s[0:1]
	s_and_saveexec_b64 s[12:13], s[0:1]
	s_cbranch_execz .LBB151_39
; %bb.41:                               ;   in Loop: Header=BB151_40 Depth=1
	buffer_store_dword v12, off, s[48:51], 0 offset:76 ; 4-byte Folded Spill
	buffer_store_dword v11, off, s[48:51], 0 offset:72 ; 4-byte Folded Spill
	;; [unrolled: 1-line block ×12, first 2 shown]
	global_load_dword v0, v[57:58], off
	buffer_load_dword v2, off, s[48:51], 0 offset:84 ; 4-byte Folded Reload
	s_waitcnt vmcnt(1)
	v_mad_i64_i32 v[0:1], s[0:1], v0, s28, 0
	v_lshlrev_b64 v[0:1], 1, v[0:1]
	s_waitcnt vmcnt(0)
	v_add_co_u32_e32 v21, vcc, v2, v0
	buffer_load_dword v0, off, s[48:51], 0 offset:88 ; 4-byte Folded Reload
	s_waitcnt vmcnt(0)
	v_addc_co_u32_e32 v22, vcc, v0, v1, vcc
	global_load_dwordx4 v[0:3], v[21:22], off
	s_waitcnt vmcnt(0)
	buffer_store_dword v0, off, s[48:51], 0 offset:12 ; 4-byte Folded Spill
	s_nop 0
	buffer_store_dword v1, off, s[48:51], 0 offset:16 ; 4-byte Folded Spill
	buffer_store_dword v2, off, s[48:51], 0 offset:20 ; 4-byte Folded Spill
	;; [unrolled: 1-line block ×3, first 2 shown]
	buffer_load_dword v0, off, s[48:51], 0 offset:4 ; 4-byte Folded Reload
	s_nop 0
	buffer_load_dword v1, off, s[48:51], 0 offset:80 ; 4-byte Folded Reload
	s_waitcnt vmcnt(0)
	v_add_u32_e32 v59, v1, v0
	buffer_load_dword v0, off, s[48:51], 0 offset:8 ; 4-byte Folded Reload
	v_add_u32_e32 v2, 1, v59
	v_or_b32_e32 v62, 3, v59
	v_or_b32_e32 v1, 2, v59
	;; [unrolled: 1-line block ×5, first 2 shown]
	s_waitcnt vmcnt(0)
	ds_read2_b64 v[49:52], v0 offset1:1
	ds_read2_b64 v[41:44], v0 offset0:2 offset1:3
	buffer_load_dword v0, off, s[48:51], 0  ; 4-byte Folded Reload
	s_waitcnt vmcnt(0)
	v_cmp_eq_u32_e64 s[0:1], s30, v0
	v_or_b32_e32 v0, 7, v59
	s_and_saveexec_b64 s[14:15], s[0:1]
	s_cbranch_execnz .LBB151_62
; %bb.42:                               ;   in Loop: Header=BB151_40 Depth=1
	s_or_b64 exec, exec, s[14:15]
	global_load_dwordx4 v[5:8], v[21:22], off offset:1024
	s_and_saveexec_b64 s[14:15], s[0:1]
	s_cbranch_execnz .LBB151_63
.LBB151_43:                             ;   in Loop: Header=BB151_40 Depth=1
	s_or_b64 exec, exec, s[14:15]
	global_load_dwordx4 v[9:12], v[21:22], off offset:2048
	s_and_saveexec_b64 s[14:15], s[0:1]
	s_cbranch_execnz .LBB151_64
.LBB151_44:                             ;   in Loop: Header=BB151_40 Depth=1
	s_or_b64 exec, exec, s[14:15]
	global_load_dwordx4 v[13:16], v[21:22], off offset:3072
	s_and_saveexec_b64 s[14:15], s[0:1]
	s_cbranch_execz .LBB151_46
.LBB151_45:                             ;   in Loop: Header=BB151_40 Depth=1
	v_cmp_gt_i32_e32 vcc, s29, v2
	v_mov_b32_e32 v17, 0
	s_waitcnt vmcnt(0)
	v_cndmask_b32_sdwa v3, v17, v13, vcc dst_sel:DWORD dst_unused:UNUSED_PAD src0_sel:DWORD src1_sel:WORD_1
	v_cmp_gt_i32_e32 vcc, s33, v59
	v_cndmask_b32_e32 v4, 0, v13, vcc
	v_cmp_gt_i32_e32 vcc, s29, v62
	v_cmp_gt_i32_e64 s[2:3], s33, v1
	v_perm_b32 v13, v3, v4, s24
	v_cndmask_b32_e64 v3, 0, v14, s[2:3]
	v_cndmask_b32_sdwa v4, v17, v14, vcc dst_sel:DWORD dst_unused:UNUSED_PAD src0_sel:DWORD src1_sel:WORD_1
	v_cmp_gt_i32_e32 vcc, s29, v60
	v_cmp_gt_i32_e64 s[2:3], s33, v61
	v_perm_b32 v14, v4, v3, s24
	v_cndmask_b32_e64 v3, 0, v15, s[2:3]
	v_cndmask_b32_sdwa v4, v17, v15, vcc dst_sel:DWORD dst_unused:UNUSED_PAD src0_sel:DWORD src1_sel:WORD_1
	;; [unrolled: 5-line block ×3, first 2 shown]
	v_perm_b32 v16, v4, v3, s24
.LBB151_46:                             ;   in Loop: Header=BB151_40 Depth=1
	s_or_b64 exec, exec, s[14:15]
	v_add_co_u32_e32 v3, vcc, 0x1000, v21
	v_addc_co_u32_e32 v4, vcc, 0, v22, vcc
	global_load_dwordx4 v[17:20], v[3:4], off
	s_and_saveexec_b64 s[14:15], s[0:1]
	s_cbranch_execz .LBB151_48
; %bb.47:                               ;   in Loop: Header=BB151_40 Depth=1
	v_cmp_gt_i32_e32 vcc, s29, v2
	v_mov_b32_e32 v23, 0
	s_waitcnt vmcnt(0)
	v_cndmask_b32_sdwa v3, v23, v17, vcc dst_sel:DWORD dst_unused:UNUSED_PAD src0_sel:DWORD src1_sel:WORD_1
	v_cmp_gt_i32_e32 vcc, s33, v59
	v_cndmask_b32_e32 v4, 0, v17, vcc
	v_cmp_gt_i32_e32 vcc, s29, v62
	v_cmp_gt_i32_e64 s[2:3], s33, v1
	v_perm_b32 v17, v3, v4, s24
	v_cndmask_b32_e64 v3, 0, v18, s[2:3]
	v_cndmask_b32_sdwa v4, v23, v18, vcc dst_sel:DWORD dst_unused:UNUSED_PAD src0_sel:DWORD src1_sel:WORD_1
	v_cmp_gt_i32_e32 vcc, s29, v60
	v_cmp_gt_i32_e64 s[2:3], s33, v61
	v_perm_b32 v18, v4, v3, s24
	v_cndmask_b32_e64 v3, 0, v19, s[2:3]
	v_cndmask_b32_sdwa v4, v23, v19, vcc dst_sel:DWORD dst_unused:UNUSED_PAD src0_sel:DWORD src1_sel:WORD_1
	v_cmp_gt_i32_e32 vcc, s29, v0
	v_cmp_gt_i32_e64 s[2:3], s33, v63
	v_perm_b32 v19, v4, v3, s24
	v_cndmask_b32_e64 v3, 0, v20, s[2:3]
	v_cndmask_b32_sdwa v4, v23, v20, vcc dst_sel:DWORD dst_unused:UNUSED_PAD src0_sel:DWORD src1_sel:WORD_1
	v_perm_b32 v20, v4, v3, s24
.LBB151_48:                             ;   in Loop: Header=BB151_40 Depth=1
	s_or_b64 exec, exec, s[14:15]
	v_add_co_u32_e32 v3, vcc, 0x1000, v21
	v_addc_co_u32_e32 v4, vcc, 0, v22, vcc
	global_load_dwordx4 v[25:28], v[3:4], off offset:1024
	s_and_saveexec_b64 s[14:15], s[0:1]
	s_cbranch_execz .LBB151_50
; %bb.49:                               ;   in Loop: Header=BB151_40 Depth=1
	v_cmp_gt_i32_e32 vcc, s29, v2
	v_mov_b32_e32 v23, 0
	s_waitcnt vmcnt(0)
	v_cndmask_b32_sdwa v3, v23, v25, vcc dst_sel:DWORD dst_unused:UNUSED_PAD src0_sel:DWORD src1_sel:WORD_1
	v_cmp_gt_i32_e32 vcc, s33, v59
	v_cndmask_b32_e32 v4, 0, v25, vcc
	v_cmp_gt_i32_e32 vcc, s29, v62
	v_cmp_gt_i32_e64 s[2:3], s33, v1
	v_perm_b32 v25, v3, v4, s24
	v_cndmask_b32_e64 v3, 0, v26, s[2:3]
	v_cndmask_b32_sdwa v4, v23, v26, vcc dst_sel:DWORD dst_unused:UNUSED_PAD src0_sel:DWORD src1_sel:WORD_1
	v_cmp_gt_i32_e32 vcc, s29, v60
	v_cmp_gt_i32_e64 s[2:3], s33, v61
	v_perm_b32 v26, v4, v3, s24
	v_cndmask_b32_e64 v3, 0, v27, s[2:3]
	v_cndmask_b32_sdwa v4, v23, v27, vcc dst_sel:DWORD dst_unused:UNUSED_PAD src0_sel:DWORD src1_sel:WORD_1
	v_cmp_gt_i32_e32 vcc, s29, v0
	v_cmp_gt_i32_e64 s[2:3], s33, v63
	v_perm_b32 v27, v4, v3, s24
	v_cndmask_b32_e64 v3, 0, v28, s[2:3]
	v_cndmask_b32_sdwa v4, v23, v28, vcc dst_sel:DWORD dst_unused:UNUSED_PAD src0_sel:DWORD src1_sel:WORD_1
	v_perm_b32 v28, v4, v3, s24
.LBB151_50:                             ;   in Loop: Header=BB151_40 Depth=1
	s_or_b64 exec, exec, s[14:15]
	v_add_co_u32_e32 v3, vcc, 0x1000, v21
	v_addc_co_u32_e32 v4, vcc, 0, v22, vcc
	global_load_dwordx4 v[29:32], v[3:4], off offset:2048
	;; [unrolled: 30-line block ×3, first 2 shown]
	s_and_saveexec_b64 s[14:15], s[0:1]
	s_cbranch_execz .LBB151_54
; %bb.53:                               ;   in Loop: Header=BB151_40 Depth=1
	v_cmp_gt_i32_e32 vcc, s29, v2
	v_mov_b32_e32 v23, 0
	s_waitcnt vmcnt(0)
	v_cndmask_b32_sdwa v3, v23, v33, vcc dst_sel:DWORD dst_unused:UNUSED_PAD src0_sel:DWORD src1_sel:WORD_1
	v_cmp_gt_i32_e32 vcc, s33, v59
	v_cndmask_b32_e32 v4, 0, v33, vcc
	v_cmp_gt_i32_e32 vcc, s29, v62
	v_cmp_gt_i32_e64 s[2:3], s33, v1
	v_perm_b32 v33, v3, v4, s24
	v_cndmask_b32_e64 v3, 0, v34, s[2:3]
	v_cndmask_b32_sdwa v4, v23, v34, vcc dst_sel:DWORD dst_unused:UNUSED_PAD src0_sel:DWORD src1_sel:WORD_1
	v_cmp_gt_i32_e32 vcc, s29, v60
	v_cmp_gt_i32_e64 s[2:3], s33, v61
	v_perm_b32 v34, v4, v3, s24
	v_cndmask_b32_e64 v3, 0, v35, s[2:3]
	v_cndmask_b32_sdwa v4, v23, v35, vcc dst_sel:DWORD dst_unused:UNUSED_PAD src0_sel:DWORD src1_sel:WORD_1
	;; [unrolled: 5-line block ×3, first 2 shown]
	v_perm_b32 v36, v4, v3, s24
.LBB151_54:                             ;   in Loop: Header=BB151_40 Depth=1
	s_or_b64 exec, exec, s[14:15]
	v_add_co_u32_e32 v3, vcc, 0x2000, v21
	v_addc_co_u32_e32 v4, vcc, 0, v22, vcc
	global_load_dwordx4 v[37:40], v[3:4], off
	s_and_saveexec_b64 s[14:15], s[0:1]
	s_cbranch_execz .LBB151_56
; %bb.55:                               ;   in Loop: Header=BB151_40 Depth=1
	v_cmp_gt_i32_e32 vcc, s29, v2
	v_mov_b32_e32 v23, 0
	s_waitcnt vmcnt(0)
	v_cndmask_b32_sdwa v3, v23, v37, vcc dst_sel:DWORD dst_unused:UNUSED_PAD src0_sel:DWORD src1_sel:WORD_1
	v_cmp_gt_i32_e32 vcc, s33, v59
	v_cndmask_b32_e32 v4, 0, v37, vcc
	v_cmp_gt_i32_e32 vcc, s29, v62
	v_cmp_gt_i32_e64 s[2:3], s33, v1
	v_perm_b32 v37, v3, v4, s24
	v_cndmask_b32_e64 v3, 0, v38, s[2:3]
	v_cndmask_b32_sdwa v4, v23, v38, vcc dst_sel:DWORD dst_unused:UNUSED_PAD src0_sel:DWORD src1_sel:WORD_1
	v_cmp_gt_i32_e32 vcc, s29, v60
	v_cmp_gt_i32_e64 s[2:3], s33, v61
	v_perm_b32 v38, v4, v3, s24
	v_cndmask_b32_e64 v3, 0, v39, s[2:3]
	v_cndmask_b32_sdwa v4, v23, v39, vcc dst_sel:DWORD dst_unused:UNUSED_PAD src0_sel:DWORD src1_sel:WORD_1
	v_cmp_gt_i32_e32 vcc, s29, v0
	v_cmp_gt_i32_e64 s[2:3], s33, v63
	v_perm_b32 v39, v4, v3, s24
	v_cndmask_b32_e64 v3, 0, v40, s[2:3]
	v_cndmask_b32_sdwa v4, v23, v40, vcc dst_sel:DWORD dst_unused:UNUSED_PAD src0_sel:DWORD src1_sel:WORD_1
	v_perm_b32 v40, v4, v3, s24
.LBB151_56:                             ;   in Loop: Header=BB151_40 Depth=1
	s_or_b64 exec, exec, s[14:15]
	v_add_co_u32_e32 v3, vcc, 0x2000, v21
	v_addc_co_u32_e32 v4, vcc, 0, v22, vcc
	global_load_dwordx4 v[45:48], v[3:4], off offset:1024
	s_and_saveexec_b64 s[14:15], s[0:1]
	s_cbranch_execz .LBB151_58
; %bb.57:                               ;   in Loop: Header=BB151_40 Depth=1
	v_cmp_gt_i32_e32 vcc, s29, v2
	v_mov_b32_e32 v23, 0
	s_waitcnt vmcnt(0)
	v_cndmask_b32_sdwa v3, v23, v45, vcc dst_sel:DWORD dst_unused:UNUSED_PAD src0_sel:DWORD src1_sel:WORD_1
	v_cmp_gt_i32_e32 vcc, s33, v59
	v_cndmask_b32_e32 v4, 0, v45, vcc
	v_cmp_gt_i32_e32 vcc, s29, v62
	v_cmp_gt_i32_e64 s[2:3], s33, v1
	v_perm_b32 v45, v3, v4, s24
	v_cndmask_b32_e64 v3, 0, v46, s[2:3]
	v_cndmask_b32_sdwa v4, v23, v46, vcc dst_sel:DWORD dst_unused:UNUSED_PAD src0_sel:DWORD src1_sel:WORD_1
	v_cmp_gt_i32_e32 vcc, s29, v60
	v_cmp_gt_i32_e64 s[2:3], s33, v61
	v_perm_b32 v46, v4, v3, s24
	v_cndmask_b32_e64 v3, 0, v47, s[2:3]
	v_cndmask_b32_sdwa v4, v23, v47, vcc dst_sel:DWORD dst_unused:UNUSED_PAD src0_sel:DWORD src1_sel:WORD_1
	v_cmp_gt_i32_e32 vcc, s29, v0
	v_cmp_gt_i32_e64 s[2:3], s33, v63
	v_perm_b32 v47, v4, v3, s24
	v_cndmask_b32_e64 v3, 0, v48, s[2:3]
	v_cndmask_b32_sdwa v4, v23, v48, vcc dst_sel:DWORD dst_unused:UNUSED_PAD src0_sel:DWORD src1_sel:WORD_1
	v_perm_b32 v48, v4, v3, s24
.LBB151_58:                             ;   in Loop: Header=BB151_40 Depth=1
	s_or_b64 exec, exec, s[14:15]
	v_add_co_u32_e32 v3, vcc, 0x2000, v21
	v_addc_co_u32_e32 v4, vcc, 0, v22, vcc
	global_load_dwordx4 v[53:56], v[3:4], off offset:2048
	;; [unrolled: 30-line block ×3, first 2 shown]
	s_and_saveexec_b64 s[2:3], s[0:1]
	s_cbranch_execz .LBB151_38
; %bb.61:                               ;   in Loop: Header=BB151_40 Depth=1
	v_cmp_gt_i32_e32 vcc, s29, v2
	v_mov_b32_e32 v4, 0
	s_waitcnt vmcnt(0)
	v_cndmask_b32_sdwa v2, v4, v21, vcc dst_sel:DWORD dst_unused:UNUSED_PAD src0_sel:DWORD src1_sel:WORD_1
	v_cmp_gt_i32_e32 vcc, s33, v59
	v_cndmask_b32_e32 v3, 0, v21, vcc
	v_cmp_gt_i32_e32 vcc, s29, v62
	v_cmp_gt_i32_e64 s[0:1], s33, v1
	v_perm_b32 v21, v2, v3, s24
	v_cndmask_b32_e64 v1, 0, v22, s[0:1]
	v_cndmask_b32_sdwa v2, v4, v22, vcc dst_sel:DWORD dst_unused:UNUSED_PAD src0_sel:DWORD src1_sel:WORD_1
	v_cmp_gt_i32_e32 vcc, s29, v60
	v_cmp_gt_i32_e64 s[0:1], s33, v61
	v_perm_b32 v22, v2, v1, s24
	v_cndmask_b32_e64 v1, 0, v23, s[0:1]
	v_cndmask_b32_sdwa v2, v4, v23, vcc dst_sel:DWORD dst_unused:UNUSED_PAD src0_sel:DWORD src1_sel:WORD_1
	;; [unrolled: 5-line block ×3, first 2 shown]
	v_perm_b32 v24, v1, v0, s24
	s_branch .LBB151_38
.LBB151_62:                             ;   in Loop: Header=BB151_40 Depth=1
	buffer_load_dword v6, off, s[48:51], 0 offset:12 ; 4-byte Folded Reload
	buffer_load_dword v7, off, s[48:51], 0 offset:16 ; 4-byte Folded Reload
	;; [unrolled: 1-line block ×4, first 2 shown]
	v_cmp_gt_i32_e32 vcc, s29, v2
	v_mov_b32_e32 v5, 0
	v_cmp_gt_i32_e64 s[2:3], s33, v1
	s_waitcnt vmcnt(3)
	v_cndmask_b32_sdwa v3, v5, v6, vcc dst_sel:DWORD dst_unused:UNUSED_PAD src0_sel:DWORD src1_sel:WORD_1
	v_cmp_gt_i32_e32 vcc, s33, v59
	v_cndmask_b32_e32 v4, 0, v6, vcc
	v_cmp_gt_i32_e32 vcc, s29, v62
	v_perm_b32 v6, v3, v4, s24
	s_waitcnt vmcnt(2)
	v_cndmask_b32_e64 v3, 0, v7, s[2:3]
	v_cndmask_b32_sdwa v4, v5, v7, vcc dst_sel:DWORD dst_unused:UNUSED_PAD src0_sel:DWORD src1_sel:WORD_1
	v_cmp_gt_i32_e32 vcc, s29, v60
	v_cmp_gt_i32_e64 s[2:3], s33, v61
	v_perm_b32 v7, v4, v3, s24
	s_waitcnt vmcnt(1)
	v_cndmask_b32_e64 v3, 0, v8, s[2:3]
	v_cndmask_b32_sdwa v4, v5, v8, vcc dst_sel:DWORD dst_unused:UNUSED_PAD src0_sel:DWORD src1_sel:WORD_1
	v_cmp_gt_i32_e32 vcc, s29, v0
	v_cmp_gt_i32_e64 s[2:3], s33, v63
	v_perm_b32 v8, v4, v3, s24
	s_waitcnt vmcnt(0)
	v_cndmask_b32_e64 v3, 0, v9, s[2:3]
	v_cndmask_b32_sdwa v4, v5, v9, vcc dst_sel:DWORD dst_unused:UNUSED_PAD src0_sel:DWORD src1_sel:WORD_1
	v_perm_b32 v9, v4, v3, s24
	buffer_store_dword v6, off, s[48:51], 0 offset:12 ; 4-byte Folded Spill
	s_nop 0
	buffer_store_dword v7, off, s[48:51], 0 offset:16 ; 4-byte Folded Spill
	buffer_store_dword v8, off, s[48:51], 0 offset:20 ; 4-byte Folded Spill
	;; [unrolled: 1-line block ×3, first 2 shown]
	s_or_b64 exec, exec, s[14:15]
	global_load_dwordx4 v[5:8], v[21:22], off offset:1024
	s_and_saveexec_b64 s[14:15], s[0:1]
	s_cbranch_execz .LBB151_43
.LBB151_63:                             ;   in Loop: Header=BB151_40 Depth=1
	v_cmp_gt_i32_e32 vcc, s29, v2
	v_mov_b32_e32 v9, 0
	s_waitcnt vmcnt(0)
	v_cndmask_b32_sdwa v3, v9, v5, vcc dst_sel:DWORD dst_unused:UNUSED_PAD src0_sel:DWORD src1_sel:WORD_1
	v_cmp_gt_i32_e32 vcc, s33, v59
	v_cndmask_b32_e32 v4, 0, v5, vcc
	v_cmp_gt_i32_e32 vcc, s29, v62
	v_cmp_gt_i32_e64 s[2:3], s33, v1
	v_perm_b32 v5, v3, v4, s24
	v_cndmask_b32_e64 v3, 0, v6, s[2:3]
	v_cndmask_b32_sdwa v4, v9, v6, vcc dst_sel:DWORD dst_unused:UNUSED_PAD src0_sel:DWORD src1_sel:WORD_1
	v_cmp_gt_i32_e32 vcc, s29, v60
	v_cmp_gt_i32_e64 s[2:3], s33, v61
	v_perm_b32 v6, v4, v3, s24
	v_cndmask_b32_e64 v3, 0, v7, s[2:3]
	v_cndmask_b32_sdwa v4, v9, v7, vcc dst_sel:DWORD dst_unused:UNUSED_PAD src0_sel:DWORD src1_sel:WORD_1
	;; [unrolled: 5-line block ×3, first 2 shown]
	v_perm_b32 v8, v4, v3, s24
	s_or_b64 exec, exec, s[14:15]
	global_load_dwordx4 v[9:12], v[21:22], off offset:2048
	s_and_saveexec_b64 s[14:15], s[0:1]
	s_cbranch_execz .LBB151_44
.LBB151_64:                             ;   in Loop: Header=BB151_40 Depth=1
	v_cmp_gt_i32_e32 vcc, s29, v2
	v_mov_b32_e32 v13, 0
	s_waitcnt vmcnt(0)
	v_cndmask_b32_sdwa v3, v13, v9, vcc dst_sel:DWORD dst_unused:UNUSED_PAD src0_sel:DWORD src1_sel:WORD_1
	v_cmp_gt_i32_e32 vcc, s33, v59
	v_cndmask_b32_e32 v4, 0, v9, vcc
	v_cmp_gt_i32_e32 vcc, s29, v62
	v_cmp_gt_i32_e64 s[2:3], s33, v1
	v_perm_b32 v9, v3, v4, s24
	v_cndmask_b32_e64 v3, 0, v10, s[2:3]
	v_cndmask_b32_sdwa v4, v13, v10, vcc dst_sel:DWORD dst_unused:UNUSED_PAD src0_sel:DWORD src1_sel:WORD_1
	v_cmp_gt_i32_e32 vcc, s29, v60
	v_cmp_gt_i32_e64 s[2:3], s33, v61
	v_perm_b32 v10, v4, v3, s24
	v_cndmask_b32_e64 v3, 0, v11, s[2:3]
	v_cndmask_b32_sdwa v4, v13, v11, vcc dst_sel:DWORD dst_unused:UNUSED_PAD src0_sel:DWORD src1_sel:WORD_1
	;; [unrolled: 5-line block ×3, first 2 shown]
	v_perm_b32 v12, v4, v3, s24
	s_or_b64 exec, exec, s[14:15]
	global_load_dwordx4 v[13:16], v[21:22], off offset:3072
	s_and_saveexec_b64 s[14:15], s[0:1]
	s_cbranch_execnz .LBB151_45
	s_branch .LBB151_46
.LBB151_65:
	s_or_b64 exec, exec, s[6:7]
	buffer_load_dword v19, off, s[48:51], 0 offset:96 ; 4-byte Folded Reload
	buffer_load_dword v13, off, s[48:51], 0 offset:100 ; 4-byte Folded Reload
	;; [unrolled: 1-line block ×3, first 2 shown]
.LBB151_66:
	s_or_b64 exec, exec, s[4:5]
	s_waitcnt vmcnt(1)
	ds_bpermute_b32 v0, v13, v11
	ds_bpermute_b32 v1, v13, v12
	;; [unrolled: 1-line block ×4, first 2 shown]
	s_waitcnt lgkmcnt(0)
	v_add_f32_e32 v0, v11, v0
	v_add_f32_e32 v1, v12, v1
	s_waitcnt vmcnt(0)
	ds_bpermute_b32 v4, v18, v0
	ds_bpermute_b32 v5, v18, v1
	v_add_f32_e32 v3, v14, v3
	v_add_f32_e32 v2, v10, v2
	ds_bpermute_b32 v7, v18, v2
	s_waitcnt lgkmcnt(2)
	v_add_f32_e32 v8, v0, v4
	ds_bpermute_b32 v0, v18, v3
	s_waitcnt lgkmcnt(2)
	v_add_f32_e32 v6, v1, v5
	ds_bpermute_b32 v4, v13, v25
	ds_bpermute_b32 v5, v13, v26
	s_waitcnt lgkmcnt(3)
	v_add_f32_e32 v2, v2, v7
	s_waitcnt lgkmcnt(2)
	v_add_f32_e32 v1, v3, v0
	ds_bpermute_b32 v0, v13, v30
	s_waitcnt lgkmcnt(2)
	v_add_f32_e32 v3, v25, v4
	s_waitcnt lgkmcnt(1)
	v_add_f32_e32 v5, v26, v5
	ds_bpermute_b32 v4, v18, v3
	ds_bpermute_b32 v9, v18, v5
	s_waitcnt lgkmcnt(2)
	v_add_f32_e32 v0, v30, v0
	ds_bpermute_b32 v10, v18, v0
	s_waitcnt lgkmcnt(0)
	s_barrier
	v_add_f32_e32 v7, v3, v4
	v_add_f32_e32 v4, v5, v9
	ds_bpermute_b32 v5, v13, v38
	v_add_f32_e32 v3, v0, v10
	ds_bpermute_b32 v10, v13, v46
	s_waitcnt lgkmcnt(0)
	ds_bpermute_b32 v11, v13, v34
	v_add_f32_e32 v5, v38, v5
	ds_bpermute_b32 v12, v18, v5
	v_add_f32_e32 v14, v46, v10
	ds_bpermute_b32 v15, v18, v14
	s_waitcnt lgkmcnt(2)
	v_add_f32_e32 v0, v34, v11
	ds_bpermute_b32 v11, v13, v54
	s_waitcnt lgkmcnt(2)
	v_add_f32_e32 v10, v5, v12
	buffer_load_dword v12, off, s[48:51], 0 offset:168 ; 4-byte Folded Reload
	ds_bpermute_b32 v13, v13, v20
	ds_bpermute_b32 v9, v18, v0
	s_waitcnt lgkmcnt(2)
	v_add_f32_e32 v16, v54, v11
	ds_bpermute_b32 v17, v18, v16
	s_waitcnt lgkmcnt(2)
	v_add_f32_e32 v13, v20, v13
	;; [unrolled: 3-line block ×3, first 2 shown]
	v_add_f32_e32 v9, v14, v15
	s_waitcnt lgkmcnt(1)
	v_add_f32_e32 v5, v16, v17
	s_waitcnt lgkmcnt(0)
	v_add_f32_e32 v0, v13, v18
	s_waitcnt vmcnt(0)
	v_and_b32_e32 v13, 0x3c3, v12
	v_cmp_eq_u32_e32 vcc, 64, v13
	s_and_saveexec_b64 s[0:1], vcc
	s_cbranch_execz .LBB151_68
; %bb.67:
	v_add_u32_e32 v12, 0x190, v19
	ds_write2_b32 v12, v8, v6 offset1:16
	ds_write2_b32 v12, v2, v1 offset0:32 offset1:48
	ds_write2_b32 v12, v7, v4 offset0:64 offset1:80
	;; [unrolled: 1-line block ×5, first 2 shown]
.LBB151_68:
	s_or_b64 exec, exec, s[0:1]
	buffer_load_dword v12, off, s[48:51], 0 offset:168 ; 4-byte Folded Reload
	s_waitcnt vmcnt(0) lgkmcnt(0)
	s_barrier
	v_cmp_gt_u32_e32 vcc, 64, v12
	v_lshrrev_b32_e32 v12, 2, v12
	s_and_saveexec_b64 s[0:1], vcc
	s_cbranch_execz .LBB151_83
; %bb.69:
	buffer_load_dword v14, off, s[48:51], 0 offset:92 ; 4-byte Folded Reload
	s_waitcnt vmcnt(0)
	v_cmp_eq_u32_e32 vcc, 0, v14
	v_mov_b32_e32 v14, 0x190
	v_lshl_add_u32 v14, v12, 2, v14
	s_and_saveexec_b64 s[2:3], vcc
	s_cbranch_execnz .LBB151_86
; %bb.70:
	s_or_b64 exec, exec, s[2:3]
	s_and_saveexec_b64 s[2:3], vcc
	s_cbranch_execnz .LBB151_87
.LBB151_71:
	s_or_b64 exec, exec, s[2:3]
	s_and_saveexec_b64 s[2:3], vcc
	s_cbranch_execnz .LBB151_88
.LBB151_72:
	s_or_b64 exec, exec, s[2:3]
	s_and_saveexec_b64 s[2:3], vcc
	s_cbranch_execnz .LBB151_89
.LBB151_73:
	s_or_b64 exec, exec, s[2:3]
	s_and_saveexec_b64 s[2:3], vcc
	s_cbranch_execnz .LBB151_90
.LBB151_74:
	s_or_b64 exec, exec, s[2:3]
	s_and_saveexec_b64 s[2:3], vcc
	s_cbranch_execnz .LBB151_91
.LBB151_75:
	s_or_b64 exec, exec, s[2:3]
	s_and_saveexec_b64 s[2:3], vcc
	s_cbranch_execnz .LBB151_92
.LBB151_76:
	s_or_b64 exec, exec, s[2:3]
	s_and_saveexec_b64 s[2:3], vcc
	s_cbranch_execnz .LBB151_93
.LBB151_77:
	s_or_b64 exec, exec, s[2:3]
	s_and_saveexec_b64 s[2:3], vcc
	s_cbranch_execnz .LBB151_94
.LBB151_78:
	s_or_b64 exec, exec, s[2:3]
	s_and_saveexec_b64 s[2:3], vcc
	s_cbranch_execnz .LBB151_95
.LBB151_79:
	s_or_b64 exec, exec, s[2:3]
	s_and_saveexec_b64 s[2:3], vcc
	s_cbranch_execnz .LBB151_96
.LBB151_80:
	s_or_b64 exec, exec, s[2:3]
	s_and_saveexec_b64 s[2:3], vcc
	s_cbranch_execz .LBB151_82
.LBB151_81:
	ds_read_b32 v14, v14 offset:704
	s_waitcnt lgkmcnt(0)
	v_add_f32_e32 v0, v0, v14
.LBB151_82:
	s_or_b64 exec, exec, s[2:3]
.LBB151_83:
	s_or_b64 exec, exec, s[0:1]
	v_cmp_eq_u32_e32 vcc, 0, v13
	s_barrier
	s_and_saveexec_b64 s[0:1], vcc
	s_cbranch_execz .LBB151_85
; %bb.84:
	s_mul_i32 s0, s10, s11
	s_mul_i32 s0, s0, s9
	s_mulk_i32 s0, 0xc0
	s_ashr_i32 s1, s0, 31
	s_lshl_b64 s[0:1], s[0:1], 1
	s_add_u32 s2, s22, s0
	s_mul_i32 s0, s11, s20
	s_addc_u32 s3, s23, s1
	s_ashr_i32 s1, s0, 31
	s_lshl_b64 s[0:1], s[0:1], 1
	s_add_u32 s2, s2, s0
	s_mul_i32 s0, s8, 0xc0
	s_addc_u32 s3, s3, s1
	s_ashr_i32 s1, s0, 31
	s_lshl_b64 s[0:1], s[0:1], 1
	s_add_u32 s0, s2, s0
	v_bfe_u32 v13, v8, 16, 1
	s_movk_i32 s2, 0x7fff
	v_add3_u32 v13, v13, v8, s2
	v_or_b32_e32 v14, 0x400000, v8
	v_cmp_u_f32_e32 vcc, v8, v8
	s_addc_u32 s1, s3, s1
	v_lshlrev_b32_e32 v12, 1, v12
	v_cndmask_b32_e32 v8, v13, v14, vcc
	global_store_short_d16_hi v12, v8, s[0:1]
	v_bfe_u32 v8, v6, 16, 1
	v_add3_u32 v8, v8, v6, s2
	v_or_b32_e32 v13, 0x400000, v6
	v_cmp_u_f32_e32 vcc, v6, v6
	v_cndmask_b32_e32 v6, v8, v13, vcc
	global_store_short_d16_hi v12, v6, s[0:1] offset:32
	v_bfe_u32 v6, v2, 16, 1
	v_add3_u32 v6, v6, v2, s2
	v_or_b32_e32 v8, 0x400000, v2
	v_cmp_u_f32_e32 vcc, v2, v2
	v_cndmask_b32_e32 v2, v6, v8, vcc
	global_store_short_d16_hi v12, v2, s[0:1] offset:64
	;; [unrolled: 6-line block ×11, first 2 shown]
.LBB151_85:
	s_endpgm
.LBB151_86:
	ds_read_b32 v15, v14
	s_waitcnt lgkmcnt(0)
	v_add_f32_e32 v8, v8, v15
	s_or_b64 exec, exec, s[2:3]
	s_and_saveexec_b64 s[2:3], vcc
	s_cbranch_execz .LBB151_71
.LBB151_87:
	ds_read_b32 v15, v14 offset:64
	s_waitcnt lgkmcnt(0)
	v_add_f32_e32 v6, v6, v15
	s_or_b64 exec, exec, s[2:3]
	s_and_saveexec_b64 s[2:3], vcc
	s_cbranch_execz .LBB151_72
.LBB151_88:
	ds_read_b32 v15, v14 offset:128
	s_waitcnt lgkmcnt(0)
	v_add_f32_e32 v2, v2, v15
	s_or_b64 exec, exec, s[2:3]
	s_and_saveexec_b64 s[2:3], vcc
	s_cbranch_execz .LBB151_73
.LBB151_89:
	ds_read_b32 v15, v14 offset:192
	s_waitcnt lgkmcnt(0)
	v_add_f32_e32 v1, v1, v15
	s_or_b64 exec, exec, s[2:3]
	s_and_saveexec_b64 s[2:3], vcc
	s_cbranch_execz .LBB151_74
.LBB151_90:
	ds_read_b32 v15, v14 offset:256
	s_waitcnt lgkmcnt(0)
	v_add_f32_e32 v7, v7, v15
	s_or_b64 exec, exec, s[2:3]
	s_and_saveexec_b64 s[2:3], vcc
	s_cbranch_execz .LBB151_75
.LBB151_91:
	ds_read_b32 v15, v14 offset:320
	s_waitcnt lgkmcnt(0)
	v_add_f32_e32 v4, v4, v15
	s_or_b64 exec, exec, s[2:3]
	s_and_saveexec_b64 s[2:3], vcc
	s_cbranch_execz .LBB151_76
.LBB151_92:
	ds_read_b32 v15, v14 offset:384
	s_waitcnt lgkmcnt(0)
	v_add_f32_e32 v3, v3, v15
	s_or_b64 exec, exec, s[2:3]
	s_and_saveexec_b64 s[2:3], vcc
	s_cbranch_execz .LBB151_77
.LBB151_93:
	ds_read_b32 v15, v14 offset:448
	s_waitcnt lgkmcnt(0)
	v_add_f32_e32 v11, v11, v15
	s_or_b64 exec, exec, s[2:3]
	s_and_saveexec_b64 s[2:3], vcc
	s_cbranch_execz .LBB151_78
.LBB151_94:
	ds_read_b32 v15, v14 offset:512
	s_waitcnt lgkmcnt(0)
	v_add_f32_e32 v10, v10, v15
	s_or_b64 exec, exec, s[2:3]
	s_and_saveexec_b64 s[2:3], vcc
	s_cbranch_execz .LBB151_79
.LBB151_95:
	ds_read_b32 v15, v14 offset:576
	s_waitcnt lgkmcnt(0)
	v_add_f32_e32 v9, v9, v15
	s_or_b64 exec, exec, s[2:3]
	s_and_saveexec_b64 s[2:3], vcc
	s_cbranch_execz .LBB151_80
.LBB151_96:
	ds_read_b32 v15, v14 offset:640
	s_waitcnt lgkmcnt(0)
	v_add_f32_e32 v5, v5, v15
	s_or_b64 exec, exec, s[2:3]
	s_and_saveexec_b64 s[2:3], vcc
	s_cbranch_execnz .LBB151_81
	s_branch .LBB151_82
	.section	.rodata,"a",@progbits
	.p2align	6, 0x0
	.amdhsa_kernel _ZN4vllm25paged_attention_v1_kernelI14__hip_bfloat16S1_Li192ELi32ELi128ELNS_18Fp8KVCacheDataTypeE0ELb1EEEvPT_PKS3_PKT0_S9_ifPKiSB_iPKfiiiSD_SD_iiiii
		.amdhsa_group_segment_fixed_size 400
		.amdhsa_private_segment_fixed_size 220
		.amdhsa_kernarg_size 384
		.amdhsa_user_sgpr_count 6
		.amdhsa_user_sgpr_private_segment_buffer 1
		.amdhsa_user_sgpr_dispatch_ptr 0
		.amdhsa_user_sgpr_queue_ptr 0
		.amdhsa_user_sgpr_kernarg_segment_ptr 1
		.amdhsa_user_sgpr_dispatch_id 0
		.amdhsa_user_sgpr_flat_scratch_init 0
		.amdhsa_user_sgpr_private_segment_size 0
		.amdhsa_uses_dynamic_stack 0
		.amdhsa_system_sgpr_private_segment_wavefront_offset 1
		.amdhsa_system_sgpr_workgroup_id_x 1
		.amdhsa_system_sgpr_workgroup_id_y 1
		.amdhsa_system_sgpr_workgroup_id_z 1
		.amdhsa_system_sgpr_workgroup_info 0
		.amdhsa_system_vgpr_workitem_id 0
		.amdhsa_next_free_vgpr 64
		.amdhsa_next_free_sgpr 52
		.amdhsa_reserve_vcc 1
		.amdhsa_reserve_flat_scratch 0
		.amdhsa_float_round_mode_32 0
		.amdhsa_float_round_mode_16_64 0
		.amdhsa_float_denorm_mode_32 3
		.amdhsa_float_denorm_mode_16_64 3
		.amdhsa_dx10_clamp 1
		.amdhsa_ieee_mode 1
		.amdhsa_fp16_overflow 0
		.amdhsa_exception_fp_ieee_invalid_op 0
		.amdhsa_exception_fp_denorm_src 0
		.amdhsa_exception_fp_ieee_div_zero 0
		.amdhsa_exception_fp_ieee_overflow 0
		.amdhsa_exception_fp_ieee_underflow 0
		.amdhsa_exception_fp_ieee_inexact 0
		.amdhsa_exception_int_div_zero 0
	.end_amdhsa_kernel
	.section	.text._ZN4vllm25paged_attention_v1_kernelI14__hip_bfloat16S1_Li192ELi32ELi128ELNS_18Fp8KVCacheDataTypeE0ELb1EEEvPT_PKS3_PKT0_S9_ifPKiSB_iPKfiiiSD_SD_iiiii,"axG",@progbits,_ZN4vllm25paged_attention_v1_kernelI14__hip_bfloat16S1_Li192ELi32ELi128ELNS_18Fp8KVCacheDataTypeE0ELb1EEEvPT_PKS3_PKT0_S9_ifPKiSB_iPKfiiiSD_SD_iiiii,comdat
.Lfunc_end151:
	.size	_ZN4vllm25paged_attention_v1_kernelI14__hip_bfloat16S1_Li192ELi32ELi128ELNS_18Fp8KVCacheDataTypeE0ELb1EEEvPT_PKS3_PKT0_S9_ifPKiSB_iPKfiiiSD_SD_iiiii, .Lfunc_end151-_ZN4vllm25paged_attention_v1_kernelI14__hip_bfloat16S1_Li192ELi32ELi128ELNS_18Fp8KVCacheDataTypeE0ELb1EEEvPT_PKS3_PKT0_S9_ifPKiSB_iPKfiiiSD_SD_iiiii
                                        ; -- End function
	.set _ZN4vllm25paged_attention_v1_kernelI14__hip_bfloat16S1_Li192ELi32ELi128ELNS_18Fp8KVCacheDataTypeE0ELb1EEEvPT_PKS3_PKT0_S9_ifPKiSB_iPKfiiiSD_SD_iiiii.num_vgpr, 64
	.set _ZN4vllm25paged_attention_v1_kernelI14__hip_bfloat16S1_Li192ELi32ELi128ELNS_18Fp8KVCacheDataTypeE0ELb1EEEvPT_PKS3_PKT0_S9_ifPKiSB_iPKfiiiSD_SD_iiiii.num_agpr, 0
	.set _ZN4vllm25paged_attention_v1_kernelI14__hip_bfloat16S1_Li192ELi32ELi128ELNS_18Fp8KVCacheDataTypeE0ELb1EEEvPT_PKS3_PKT0_S9_ifPKiSB_iPKfiiiSD_SD_iiiii.numbered_sgpr, 52
	.set _ZN4vllm25paged_attention_v1_kernelI14__hip_bfloat16S1_Li192ELi32ELi128ELNS_18Fp8KVCacheDataTypeE0ELb1EEEvPT_PKS3_PKT0_S9_ifPKiSB_iPKfiiiSD_SD_iiiii.num_named_barrier, 0
	.set _ZN4vllm25paged_attention_v1_kernelI14__hip_bfloat16S1_Li192ELi32ELi128ELNS_18Fp8KVCacheDataTypeE0ELb1EEEvPT_PKS3_PKT0_S9_ifPKiSB_iPKfiiiSD_SD_iiiii.private_seg_size, 220
	.set _ZN4vllm25paged_attention_v1_kernelI14__hip_bfloat16S1_Li192ELi32ELi128ELNS_18Fp8KVCacheDataTypeE0ELb1EEEvPT_PKS3_PKT0_S9_ifPKiSB_iPKfiiiSD_SD_iiiii.uses_vcc, 1
	.set _ZN4vllm25paged_attention_v1_kernelI14__hip_bfloat16S1_Li192ELi32ELi128ELNS_18Fp8KVCacheDataTypeE0ELb1EEEvPT_PKS3_PKT0_S9_ifPKiSB_iPKfiiiSD_SD_iiiii.uses_flat_scratch, 0
	.set _ZN4vllm25paged_attention_v1_kernelI14__hip_bfloat16S1_Li192ELi32ELi128ELNS_18Fp8KVCacheDataTypeE0ELb1EEEvPT_PKS3_PKT0_S9_ifPKiSB_iPKfiiiSD_SD_iiiii.has_dyn_sized_stack, 0
	.set _ZN4vllm25paged_attention_v1_kernelI14__hip_bfloat16S1_Li192ELi32ELi128ELNS_18Fp8KVCacheDataTypeE0ELb1EEEvPT_PKS3_PKT0_S9_ifPKiSB_iPKfiiiSD_SD_iiiii.has_recursion, 0
	.set _ZN4vllm25paged_attention_v1_kernelI14__hip_bfloat16S1_Li192ELi32ELi128ELNS_18Fp8KVCacheDataTypeE0ELb1EEEvPT_PKS3_PKT0_S9_ifPKiSB_iPKfiiiSD_SD_iiiii.has_indirect_call, 0
	.section	.AMDGPU.csdata,"",@progbits
; Kernel info:
; codeLenInByte = 15976
; TotalNumSgprs: 56
; NumVgprs: 64
; ScratchSize: 220
; MemoryBound: 0
; FloatMode: 240
; IeeeMode: 1
; LDSByteSize: 400 bytes/workgroup (compile time only)
; SGPRBlocks: 6
; VGPRBlocks: 15
; NumSGPRsForWavesPerEU: 56
; NumVGPRsForWavesPerEU: 64
; Occupancy: 4
; WaveLimiterHint : 1
; COMPUTE_PGM_RSRC2:SCRATCH_EN: 1
; COMPUTE_PGM_RSRC2:USER_SGPR: 6
; COMPUTE_PGM_RSRC2:TRAP_HANDLER: 0
; COMPUTE_PGM_RSRC2:TGID_X_EN: 1
; COMPUTE_PGM_RSRC2:TGID_Y_EN: 1
; COMPUTE_PGM_RSRC2:TGID_Z_EN: 1
; COMPUTE_PGM_RSRC2:TIDIG_COMP_CNT: 0
	.section	.text._ZN4vllm25paged_attention_v1_kernelI14__hip_bfloat16S1_Li256ELi32ELi128ELNS_18Fp8KVCacheDataTypeE0ELb1EEEvPT_PKS3_PKT0_S9_ifPKiSB_iPKfiiiSD_SD_iiiii,"axG",@progbits,_ZN4vllm25paged_attention_v1_kernelI14__hip_bfloat16S1_Li256ELi32ELi128ELNS_18Fp8KVCacheDataTypeE0ELb1EEEvPT_PKS3_PKT0_S9_ifPKiSB_iPKfiiiSD_SD_iiiii,comdat
	.protected	_ZN4vllm25paged_attention_v1_kernelI14__hip_bfloat16S1_Li256ELi32ELi128ELNS_18Fp8KVCacheDataTypeE0ELb1EEEvPT_PKS3_PKT0_S9_ifPKiSB_iPKfiiiSD_SD_iiiii ; -- Begin function _ZN4vllm25paged_attention_v1_kernelI14__hip_bfloat16S1_Li256ELi32ELi128ELNS_18Fp8KVCacheDataTypeE0ELb1EEEvPT_PKS3_PKT0_S9_ifPKiSB_iPKfiiiSD_SD_iiiii
	.globl	_ZN4vllm25paged_attention_v1_kernelI14__hip_bfloat16S1_Li256ELi32ELi128ELNS_18Fp8KVCacheDataTypeE0ELb1EEEvPT_PKS3_PKT0_S9_ifPKiSB_iPKfiiiSD_SD_iiiii
	.p2align	8
	.type	_ZN4vllm25paged_attention_v1_kernelI14__hip_bfloat16S1_Li256ELi32ELi128ELNS_18Fp8KVCacheDataTypeE0ELb1EEEvPT_PKS3_PKT0_S9_ifPKiSB_iPKfiiiSD_SD_iiiii,@function
_ZN4vllm25paged_attention_v1_kernelI14__hip_bfloat16S1_Li256ELi32ELi128ELNS_18Fp8KVCacheDataTypeE0ELb1EEEvPT_PKS3_PKT0_S9_ifPKiSB_iPKfiiiSD_SD_iiiii: ; @_ZN4vllm25paged_attention_v1_kernelI14__hip_bfloat16S1_Li256ELi32ELi128ELNS_18Fp8KVCacheDataTypeE0ELb1EEEvPT_PKS3_PKT0_S9_ifPKiSB_iPKfiiiSD_SD_iiiii
; %bb.0:
	s_mov_b64 s[54:55], s[2:3]
	s_mov_b64 s[52:53], s[0:1]
	s_add_u32 s52, s52, s9
	s_addc_u32 s53, s53, 0
	buffer_store_dword v0, off, s[52:55], 0 offset:176 ; 4-byte Folded Spill
	s_load_dword s9, s[4:5], 0x80
	s_load_dwordx2 s[0:1], s[4:5], 0x30
	s_load_dwordx2 s[36:37], s[4:5], 0x20
	s_mov_b32 s14, s7
	s_ashr_i32 s15, s7, 31
	s_lshl_b64 s[2:3], s[14:15], 2
	s_waitcnt lgkmcnt(0)
	s_add_u32 s0, s0, s2
	s_addc_u32 s1, s1, s3
	s_abs_i32 s2, s36
	v_cvt_f32_u32_e32 v0, s2
	s_sub_i32 s10, 0, s2
	s_abs_i32 s7, s9
	s_xor_b32 s3, s9, s36
	v_rcp_iflag_f32_e32 v0, v0
	s_ashr_i32 s3, s3, 31
	s_mov_b32 s46, 0
	v_mul_f32_e32 v0, 0x4f7ffffe, v0
	v_cvt_u32_f32_e32 v0, v0
	v_readfirstlane_b32 s11, v0
	s_mul_i32 s10, s10, s11
	s_mul_hi_u32 s10, s11, s10
	s_add_i32 s11, s11, s10
	s_mul_hi_u32 s10, s7, s11
	s_mul_i32 s11, s10, s2
	s_sub_i32 s7, s7, s11
	s_add_i32 s11, s10, 1
	s_sub_i32 s12, s7, s2
	s_cmp_ge_u32 s7, s2
	s_cselect_b32 s10, s11, s10
	s_cselect_b32 s7, s12, s7
	s_add_i32 s11, s10, 1
	s_cmp_ge_u32 s7, s2
	s_cselect_b32 s2, s11, s10
	s_xor_b32 s2, s2, s3
	s_sub_i32 s12, s2, s3
	s_abs_i32 s10, s12
	v_cvt_f32_u32_e32 v0, s10
	s_load_dwordx2 s[2:3], s[4:5], 0x40
	s_sub_i32 s7, 0, s10
	s_abs_i32 s11, s6
	v_rcp_iflag_f32_e32 v0, v0
	v_mul_f32_e32 v0, 0x4f7ffffe, v0
	v_cvt_u32_f32_e32 v0, v0
	v_readfirstlane_b32 s13, v0
	s_mul_i32 s7, s7, s13
	s_mul_hi_u32 s7, s13, s7
	s_add_i32 s13, s13, s7
	s_waitcnt lgkmcnt(0)
	s_cmp_eq_u64 s[2:3], 0
	s_mul_hi_u32 s13, s11, s13
	s_cbranch_scc1 .LBB152_2
; %bb.1:
	s_ashr_i32 s7, s6, 31
	s_lshl_b64 s[16:17], s[6:7], 2
	s_add_u32 s2, s2, s16
	s_addc_u32 s3, s3, s17
	s_load_dword s46, s[2:3], 0x0
.LBB152_2:
	buffer_load_dword v1, off, s[52:55], 0 offset:176 ; 4-byte Folded Reload
	s_load_dword s33, s[0:1], 0x0
	s_load_dwordx4 s[16:19], s[4:5], 0x48
	s_ashr_i32 s7, s6, 31
	s_ashr_i32 s15, s12, 31
	s_lshl_b32 s24, s6, 8
	s_waitcnt vmcnt(0)
	v_and_b32_e32 v0, 1, v1
	v_cmp_gt_u32_e64 s[0:1], 64, v1
	v_lshlrev_b32_e32 v13, 3, v1
	s_and_saveexec_b64 s[2:3], s[0:1]
	s_cbranch_execz .LBB152_4
; %bb.3:
	s_load_dwordx2 s[20:21], s[4:5], 0x8
	s_waitcnt lgkmcnt(0)
	s_mul_i32 s22, s16, s14
	s_ashr_i32 s23, s22, 31
	s_lshl_b64 s[22:23], s[22:23], 1
	buffer_load_dword v3, off, s[52:55], 0 offset:176 ; 4-byte Folded Reload
	s_add_u32 s12, s20, s22
	s_addc_u32 s16, s21, s23
	s_ashr_i32 s25, s24, 31
	s_lshl_b64 s[20:21], s[24:25], 1
	s_add_u32 s20, s12, s20
	s_addc_u32 s21, s16, s21
	global_load_dwordx2 v[1:2], v13, s[20:21]
	s_waitcnt vmcnt(1)
	v_lshlrev_b32_e32 v3, 2, v3
	v_and_b32_e32 v3, 0xff8, v3
	v_lshl_add_u32 v3, v0, 8, v3
	s_waitcnt vmcnt(0)
	ds_write_b64 v3, v[1:2]
.LBB152_4:
	s_or_b64 exec, exec, s[2:3]
	s_mul_i32 s3, s13, s10
	s_sub_i32 s3, s11, s3
	s_xor_b32 s2, s7, s15
	s_add_i32 s7, s13, 1
	s_sub_i32 s11, s3, s10
	s_load_dwordx4 s[20:23], s[4:5], 0x68
	s_load_dword s12, s[4:5], 0x78
	s_cmp_ge_u32 s3, s10
	s_cselect_b32 s7, s7, s13
	s_cselect_b32 s3, s11, s3
	s_add_i32 s11, s7, 1
	s_cmp_ge_u32 s3, s10
	s_cselect_b32 s3, s11, s7
	s_waitcnt lgkmcnt(0)
	s_abs_i32 s25, s23
	v_cvt_f32_u32_e32 v1, s25
	s_xor_b32 s3, s3, s2
	s_sub_i32 s7, s3, s2
	s_sub_i32 s2, 0, s25
	v_rcp_iflag_f32_e32 v1, v1
	s_add_i32 s13, s33, -1
	s_abs_i32 s10, s13
	v_mul_f32_e32 v1, 0x4f7ffffe, v1
	v_cvt_u32_f32_e32 v1, v1
	s_barrier
	v_readfirstlane_b32 s44, v1
	s_mul_i32 s2, s2, s44
	s_mul_hi_u32 s2, s44, s2
	s_add_i32 s44, s44, s2
	s_cmp_lt_i32 s12, 0
	s_mul_hi_u32 s11, s10, s44
	s_cbranch_scc0 .LBB152_6
; %bb.5:
	s_mul_i32 s2, s20, s36
	s_add_i32 s2, s7, s2
	s_mul_i32 s2, s2, s12
	s_sub_i32 s45, 1, s2
	s_mov_b64 s[2:3], 0
	s_branch .LBB152_7
.LBB152_6:
	s_mov_b64 s[2:3], -1
                                        ; implicit-def: $sgpr45
.LBB152_7:
	s_load_dwordx2 s[28:29], s[4:5], 0x28
	s_ashr_i32 s13, s13, 31
	s_andn2_b64 vcc, exec, s[2:3]
	s_ashr_i32 s23, s23, 31
	s_cbranch_vccnz .LBB152_9
; %bb.8:
	s_mul_i32 s2, s9, s20
	s_add_i32 s2, s2, s6
	s_mul_i32 s2, s2, s12
	s_add_i32 s45, s2, 1
.LBB152_9:
	s_load_dword s2, s[4:5], 0x38
	s_load_dwordx2 s[26:27], s[4:5], 0x0
	s_load_dwordx2 s[34:35], s[4:5], 0x18
	s_load_dword s15, s[4:5], 0x88
	buffer_load_dword v1, off, s[52:55], 0 offset:176 ; 4-byte Folded Reload
	s_waitcnt lgkmcnt(0)
	s_mul_i32 s30, s2, s14
	s_mul_i32 s2, s11, s25
	s_sub_i32 s2, s10, s2
	s_xor_b32 s3, s13, s23
	s_ashr_i32 s31, s30, 31
	s_add_i32 s6, s11, 1
	s_sub_i32 s10, s2, s25
	s_cmp_ge_u32 s2, s25
	s_cselect_b32 s6, s6, s11
	s_cselect_b32 s2, s10, s2
	s_add_i32 s10, s6, 1
	s_cmp_ge_u32 s2, s25
	s_cselect_b32 s2, s10, s6
	s_xor_b32 s2, s2, s3
	s_sub_i32 s16, s2, s3
	s_add_i32 s2, s33, 31
	s_ashr_i32 s3, s2, 31
	s_lshr_b32 s3, s3, 27
	s_add_i32 s2, s2, s3
	s_ashr_i32 s20, s2, 5
	v_mov_b32_e32 v3, 0xff7fffff
	s_mul_i32 s18, s7, s18
	s_waitcnt vmcnt(0)
	v_lshrrev_b32_e32 v2, 6, v1
	v_lshrrev_b32_e32 v14, 4, v1
	v_lshlrev_b32_e32 v1, 5, v2
	v_cmp_gt_i32_e64 s[2:3], s20, v2
	buffer_store_dword v1, off, s[52:55], 0 offset:4 ; 4-byte Folded Spill
	v_mbcnt_lo_u32_b32 v1, -1, 0
	buffer_store_dword v2, off, s[52:55], 0 ; 4-byte Folded Spill
	s_and_saveexec_b64 s[38:39], s[2:3]
	s_cbranch_execz .LBB152_21
; %bb.10:
	buffer_load_dword v2, off, s[52:55], 0 offset:176 ; 4-byte Folded Reload
	buffer_load_dword v57, off, s[52:55], 0 ; 4-byte Folded Reload
	s_load_dwordx2 s[4:5], s[4:5], 0x10
	s_ashr_i32 s19, s18, 31
	s_sub_i32 s36, s16, s21
	s_lshl_b64 s[6:7], s[18:19], 1
	v_mov_b32_e32 v7, v1
	s_waitcnt lgkmcnt(0)
	s_add_u32 s4, s4, s6
	s_addc_u32 s5, s5, s7
	s_abs_i32 s19, s22
	v_cvt_f32_u32_e32 v1, s19
	v_mov_b32_e32 v4, s5
	s_sub_i32 s5, 0, s19
	s_lshl_b64 s[6:7], s[30:31], 2
	v_rcp_iflag_f32_e32 v1, v1
	s_add_u32 s6, s28, s6
	v_cmp_eq_u32_e32 vcc, 0, v0
	v_lshlrev_b32_e32 v56, 8, v0
	v_mul_f32_e32 v1, 0x4f7ffffe, v1
	v_cvt_u32_f32_e32 v1, v1
	v_and_b32_e32 v0, 60, v14
	s_addc_u32 s7, s29, s7
	buffer_store_dword v13, off, s[52:55], 0 offset:132 ; 4-byte Folded Spill
	v_mul_lo_u32 v5, s5, v1
	buffer_store_dword v14, off, s[52:55], 0 offset:136 ; 4-byte Folded Spill
	s_mov_b32 s47, s17
	s_mov_b64 s[40:41], 0
	v_mul_hi_u32 v5, v1, v5
	s_movk_i32 s48, 0x1000
	s_movk_i32 s49, 0x2000
	;; [unrolled: 1-line block ×3, first 2 shown]
	s_waitcnt vmcnt(3)
	v_bfe_u32 v8, v2, 1, 5
	v_lshlrev_b32_e32 v3, 4, v8
	v_add_co_u32_e64 v3, s[4:5], s4, v3
	v_and_b32_e32 v2, 8, v13
	v_addc_co_u32_e64 v4, s[4:5], 0, v4, s[4:5]
	v_add_co_u32_e64 v2, s[4:5], v3, v2
	buffer_store_dword v2, off, s[52:55], 0 offset:76 ; 4-byte Folded Spill
	v_addc_co_u32_e64 v2, s[4:5], 0, v4, s[4:5]
	v_add_u32_e32 v4, v1, v5
	v_mov_b32_e32 v1, s7
	v_add_co_u32_e64 v5, s[6:7], s6, v0
	v_subrev_u32_e32 v0, s33, v8
	v_add_u32_e32 v0, 1, v0
	buffer_store_dword v2, off, s[52:55], 0 offset:92 ; 4-byte Folded Spill
	buffer_store_dword v0, off, s[52:55], 0 offset:128 ; 4-byte Folded Spill
	;; [unrolled: 1-line block ×3, first 2 shown]
	v_lshlrev_b32_e32 v0, 2, v8
	s_waitcnt vmcnt(6)
	v_lshl_or_b32 v0, v57, 7, v0
	v_add_u32_e32 v44, 0x210, v0
	v_mbcnt_hi_u32_b32 v0, -1, v7
	v_addc_co_u32_e64 v6, s[6:7], 0, v1, s[6:7]
	v_xor_b32_e32 v1, 1, v0
	buffer_store_dword v1, off, s[52:55], 0 offset:116 ; 4-byte Folded Spill
	buffer_store_dword v0, off, s[52:55], 0 offset:112 ; 4-byte Folded Spill
	v_and_b32_e32 v0, 64, v0
	v_add_u32_e32 v0, 64, v0
	v_cmp_neq_f32_e64 s[4:5], s46, 0
	v_lshlrev_b32_e32 v51, 5, v57
	buffer_store_dword v0, off, s[52:55], 0 offset:120 ; 4-byte Folded Spill
	v_mov_b32_e32 v0, 0xff7fffff
	buffer_store_dword v0, off, s[52:55], 0 offset:60 ; 4-byte Folded Spill
	buffer_store_dword v4, off, s[52:55], 0 offset:108 ; 4-byte Folded Spill
	s_branch .LBB152_13
.LBB152_11:                             ;   in Loop: Header=BB152_13 Depth=1
	s_or_b64 exec, exec, s[10:11]
	buffer_load_dword v4, off, s[52:55], 0 offset:108 ; 4-byte Folded Reload
.LBB152_12:                             ;   in Loop: Header=BB152_13 Depth=1
	s_or_b64 exec, exec, s[42:43]
	v_add_co_u32_e64 v5, s[6:7], 8, v5
	v_add_u32_e32 v57, 2, v57
	v_addc_co_u32_e64 v6, s[6:7], 0, v6, s[6:7]
	v_cmp_le_i32_e64 s[6:7], s20, v57
	v_add_u32_e32 v51, 64, v51
	s_or_b64 s[40:41], s[6:7], s[40:41]
	v_add_u32_e32 v44, 0x100, v44
	s_andn2_b64 exec, exec, s[40:41]
	s_cbranch_execz .LBB152_20
.LBB152_13:                             ; =>This Inner Loop Header: Depth=1
	v_mul_hi_u32 v0, v51, s44
	s_waitcnt lgkmcnt(0)
	v_mul_lo_u32 v1, v0, s25
	v_add_u32_e32 v2, 1, v0
	v_sub_u32_e32 v1, v51, v1
	v_cmp_le_u32_e64 s[6:7], s25, v1
	v_cndmask_b32_e64 v0, v0, v2, s[6:7]
	v_subrev_u32_e32 v2, s25, v1
	v_cndmask_b32_e64 v1, v1, v2, s[6:7]
	v_add_u32_e32 v2, 1, v0
	v_cmp_le_u32_e64 s[6:7], s25, v1
	v_cndmask_b32_e64 v0, v0, v2, s[6:7]
	v_xor_b32_e32 v0, s23, v0
	v_subrev_u32_e32 v0, s23, v0
	v_add_u32_e32 v1, s45, v0
	v_sub_u32_e32 v2, 0, v1
	v_max_i32_e32 v2, v1, v2
	s_waitcnt vmcnt(0)
	v_mul_hi_u32 v3, v2, v4
	v_ashrrev_i32_e32 v1, 31, v1
	v_cmp_ge_i32_e64 s[10:11], s36, v0
	v_mul_lo_u32 v3, v3, s19
	v_sub_u32_e32 v2, v2, v3
	v_subrev_u32_e32 v3, s19, v2
	v_cmp_le_u32_e64 s[6:7], s19, v2
	v_cndmask_b32_e64 v2, v2, v3, s[6:7]
	v_subrev_u32_e32 v3, s19, v2
	v_cmp_le_u32_e64 s[6:7], s19, v2
	v_cndmask_b32_e64 v2, v2, v3, s[6:7]
	v_xor_b32_e32 v2, v2, v1
	v_sub_u32_e32 v1, v2, v1
	v_cmp_ne_u32_e64 s[6:7], 0, v1
	s_and_b64 s[6:7], s[6:7], s[10:11]
	s_and_saveexec_b64 s[10:11], s[6:7]
	s_xor_b64 s[6:7], exec, s[10:11]
	s_cbranch_execz .LBB152_17
; %bb.14:                               ;   in Loop: Header=BB152_13 Depth=1
	s_and_saveexec_b64 s[10:11], vcc
; %bb.15:                               ;   in Loop: Header=BB152_13 Depth=1
	v_mov_b32_e32 v0, 0xff7fffff
	ds_write_b32 v44, v0
; %bb.16:                               ;   in Loop: Header=BB152_13 Depth=1
	s_or_b64 exec, exec, s[10:11]
.LBB152_17:                             ;   in Loop: Header=BB152_13 Depth=1
	s_andn2_saveexec_b64 s[42:43], s[6:7]
	s_cbranch_execz .LBB152_12
; %bb.18:                               ;   in Loop: Header=BB152_13 Depth=1
	ds_read_b128 v[9:12], v56
	ds_read_b128 v[13:16], v56 offset:16
	ds_read_b128 v[17:20], v56 offset:32
	;; [unrolled: 1-line block ×4, first 2 shown]
	s_waitcnt lgkmcnt(4)
	v_lshlrev_b32_e32 v37, 16, v9
	v_lshlrev_b32_e32 v38, 16, v10
	;; [unrolled: 1-line block ×4, first 2 shown]
	v_and_b32_e32 v48, 0xffff0000, v9
	v_and_b32_e32 v49, 0xffff0000, v10
	;; [unrolled: 1-line block ×4, first 2 shown]
	ds_read_b128 v[9:12], v56 offset:80
	s_waitcnt lgkmcnt(2)
	v_lshlrev_b32_e32 v27, 16, v30
	v_and_b32_e32 v62, 0xffff0000, v30
	v_lshlrev_b32_e32 v41, 16, v13
	v_and_b32_e32 v55, 0xffff0000, v13
	s_waitcnt lgkmcnt(0)
	v_lshlrev_b32_e32 v30, 16, v9
	v_and_b32_e32 v52, 0xffff0000, v9
	v_and_b32_e32 v9, 0xffff0000, v11
	buffer_store_dword v9, off, s[52:55], 0 offset:44 ; 4-byte Folded Spill
	v_and_b32_e32 v9, 0xffff0000, v12
	buffer_store_dword v9, off, s[52:55], 0 offset:28 ; 4-byte Folded Spill
	global_load_dword v9, v[5:6], off
	v_lshlrev_b32_e32 v21, 16, v11
	buffer_load_dword v11, off, s[52:55], 0 offset:76 ; 4-byte Folded Reload
	v_lshlrev_b32_e32 v43, 16, v10
	v_and_b32_e32 v45, 0xffff0000, v10
	v_lshlrev_b32_e32 v13, 16, v12
	v_lshlrev_b32_e32 v22, 16, v35
	;; [unrolled: 1-line block ×3, first 2 shown]
	v_and_b32_e32 v26, 0xffff0000, v35
	v_and_b32_e32 v25, 0xffff0000, v36
	buffer_store_dword v13, off, s[52:55], 0 offset:12 ; 4-byte Folded Spill
	v_lshlrev_b32_e32 v42, 16, v14
	v_and_b32_e32 v50, 0xffff0000, v14
	v_lshlrev_b32_e32 v1, 16, v29
	v_lshlrev_b32_e32 v32, 16, v31
	;; [unrolled: 1-line block ×4, first 2 shown]
	v_and_b32_e32 v53, 0xffff0000, v29
	v_and_b32_e32 v63, 0xffff0000, v31
	;; [unrolled: 1-line block ×4, first 2 shown]
	v_lshlrev_b32_e32 v7, 16, v20
	buffer_store_dword v0, off, s[52:55], 0 offset:8 ; 4-byte Folded Spill
	v_and_b32_e32 v0, 0xffff0000, v20
	v_lshlrev_b32_e32 v46, 16, v15
	v_and_b32_e32 v15, 0xffff0000, v15
	v_lshlrev_b32_e32 v47, 16, v16
	;; [unrolled: 2-line block ×4, first 2 shown]
	v_lshlrev_b32_e32 v8, 16, v19
	v_and_b32_e32 v19, 0xffff0000, v19
	v_and_b32_e32 v18, 0xffff0000, v18
	v_lshlrev_b32_e32 v2, 16, v28
	v_and_b32_e32 v28, 0xffff0000, v28
	s_waitcnt vmcnt(3)
	v_mad_i64_i32 v[9:10], s[6:7], v9, s47, 0
	v_lshlrev_b64 v[9:10], 1, v[9:10]
	s_waitcnt vmcnt(2)
	v_add_co_u32_e64 v9, s[6:7], v11, v9
	buffer_load_dword v11, off, s[52:55], 0 offset:92 ; 4-byte Folded Reload
	s_waitcnt vmcnt(0)
	v_addc_co_u32_e64 v10, s[6:7], v11, v10, s[6:7]
	global_load_dwordx2 v[11:12], v[9:10], off offset:512
	global_load_dwordx2 v[35:36], v[9:10], off offset:3072
	;; [unrolled: 1-line block ×3, first 2 shown]
	s_waitcnt vmcnt(2)
	v_lshlrev_b32_e32 v13, 16, v11
	v_mul_f32_e32 v58, v39, v13
	global_load_dwordx2 v[13:14], v[9:10], off
	v_and_b32_e32 v11, 0xffff0000, v11
	v_mul_f32_e32 v59, v54, v11
	s_waitcnt vmcnt(0)
	v_and_b32_e32 v11, 0xffff0000, v13
	v_fmac_f32_e32 v59, v48, v11
	v_lshlrev_b32_e32 v11, 16, v12
	v_mul_f32_e32 v60, v40, v11
	v_lshlrev_b32_e32 v11, 16, v14
	v_and_b32_e32 v12, 0xffff0000, v12
	v_fmac_f32_e32 v60, v38, v11
	v_and_b32_e32 v11, 0xffff0000, v14
	v_mul_f32_e32 v61, v61, v12
	v_fmac_f32_e32 v61, v49, v11
	global_load_dwordx2 v[11:12], v[9:10], off offset:1024
	v_lshlrev_b32_e32 v20, 16, v13
	v_fmac_f32_e32 v58, v37, v20
	global_load_dwordx2 v[37:38], v[9:10], off offset:3584
	s_waitcnt vmcnt(1)
	v_lshlrev_b32_e32 v13, 16, v11
	v_and_b32_e32 v11, 0xffff0000, v11
	v_fmac_f32_e32 v59, v55, v11
	v_lshlrev_b32_e32 v11, 16, v12
	v_fmac_f32_e32 v60, v42, v11
	v_and_b32_e32 v11, 0xffff0000, v12
	v_fmac_f32_e32 v61, v50, v11
	global_load_dwordx2 v[11:12], v[9:10], off offset:1536
	v_fmac_f32_e32 v58, v41, v13
	s_waitcnt vmcnt(0)
	v_lshlrev_b32_e32 v13, 16, v11
	v_fmac_f32_e32 v58, v46, v13
	global_load_dwordx2 v[13:14], v[9:10], off offset:2048
	v_and_b32_e32 v11, 0xffff0000, v11
	v_fmac_f32_e32 v59, v15, v11
	v_lshlrev_b32_e32 v11, 16, v12
	v_fmac_f32_e32 v60, v47, v11
	v_and_b32_e32 v11, 0xffff0000, v12
	v_fmac_f32_e32 v61, v16, v11
	v_add_co_u32_e64 v15, s[6:7], s48, v9
	v_addc_co_u32_e64 v16, s[6:7], 0, v10, s[6:7]
	ds_read_b128 v[46:49], v56 offset:96
	s_waitcnt lgkmcnt(0)
	v_lshlrev_b32_e32 v50, 16, v47
	s_waitcnt vmcnt(0)
	v_lshlrev_b32_e32 v11, 16, v13
	v_fmac_f32_e32 v58, v4, v11
	v_and_b32_e32 v4, 0xffff0000, v13
	v_fmac_f32_e32 v59, v17, v4
	v_lshlrev_b32_e32 v4, 16, v14
	v_fmac_f32_e32 v60, v3, v4
	v_add_co_u32_e64 v3, s[10:11], s49, v9
	v_add_co_u32_e64 v11, s[12:13], s50, v9
	v_lshlrev_b32_e32 v9, 16, v33
	v_fmac_f32_e32 v58, v8, v9
	v_and_b32_e32 v8, 0xffff0000, v33
	v_and_b32_e32 v4, 0xffff0000, v14
	v_fmac_f32_e32 v59, v19, v8
	v_lshlrev_b32_e32 v8, 16, v34
	v_fmac_f32_e32 v61, v18, v4
	v_fmac_f32_e32 v60, v7, v8
	v_and_b32_e32 v7, 0xffff0000, v34
	v_fmac_f32_e32 v61, v0, v7
	v_lshlrev_b32_e32 v0, 16, v35
	v_fmac_f32_e32 v58, v2, v0
	v_and_b32_e32 v0, 0xffff0000, v35
	v_fmac_f32_e32 v59, v28, v0
	v_lshlrev_b32_e32 v0, 16, v36
	;; [unrolled: 4-line block ×3, first 2 shown]
	v_fmac_f32_e32 v58, v27, v0
	v_and_b32_e32 v0, 0xffff0000, v37
	v_addc_co_u32_e64 v4, s[6:7], 0, v10, s[10:11]
	v_fmac_f32_e32 v59, v62, v0
	v_lshlrev_b32_e32 v0, 16, v38
	v_addc_co_u32_e64 v12, s[6:7], 0, v10, s[12:13]
	global_load_dwordx2 v[19:20], v[3:4], off offset:-4096
	global_load_dwordx2 v[17:18], v[15:16], off offset:512
	global_load_dwordx2 v[13:14], v[15:16], off offset:1024
	global_load_dwordx2 v[9:10], v[15:16], off offset:1536
	global_load_dwordx2 v[7:8], v[15:16], off offset:2048
	global_load_dwordx2 v[1:2], v[15:16], off offset:2560
	global_load_dwordx2 v[27:28], v[15:16], off offset:3072
	v_fmac_f32_e32 v60, v32, v0
	buffer_load_dword v32, off, s[52:55], 0 offset:116 ; 4-byte Folded Reload
	buffer_load_dword v0, off, s[52:55], 0 offset:120 ; 4-byte Folded Reload
	global_load_dwordx2 v[41:42], v[15:16], off offset:3584
	v_and_b32_e32 v33, 0xffff0000, v38
	v_fmac_f32_e32 v61, v63, v33
	global_load_dwordx2 v[39:40], v[3:4], off
	global_load_dwordx2 v[37:38], v[3:4], off offset:512
	global_load_dwordx2 v[35:36], v[3:4], off offset:1024
	;; [unrolled: 1-line block ×3, first 2 shown]
	s_waitcnt vmcnt(13)
	v_lshlrev_b32_e32 v15, 16, v20
	v_fmac_f32_e32 v60, v23, v15
	s_waitcnt vmcnt(12)
	v_and_b32_e32 v15, 0xffff0000, v17
	v_and_b32_e32 v16, 0xffff0000, v20
	v_fmac_f32_e32 v61, v29, v16
	s_waitcnt vmcnt(5)
	v_cmp_lt_i32_e64 s[6:7], v32, v0
	v_lshlrev_b32_e32 v0, 16, v19
	v_fmac_f32_e32 v58, v24, v0
	buffer_load_dword v0, off, s[52:55], 0 offset:112 ; 4-byte Folded Reload
	s_waitcnt vmcnt(0)
	v_cndmask_b32_e64 v54, v0, v32, s[6:7]
	v_and_b32_e32 v0, 0xffff0000, v19
	v_fmac_f32_e32 v59, v31, v0
	v_fmac_f32_e32 v59, v26, v15
	buffer_load_dword v15, off, s[52:55], 0 offset:8 ; 4-byte Folded Reload
	v_lshlrev_b32_e32 v19, 16, v17
	v_lshlrev_b32_e32 v17, 16, v18
	v_and_b32_e32 v18, 0xffff0000, v18
	v_fmac_f32_e32 v58, v22, v19
	v_fmac_f32_e32 v61, v25, v18
	global_load_dwordx2 v[31:32], v[3:4], off offset:2048
	v_lshlrev_b32_e32 v0, 16, v46
	s_waitcnt vmcnt(1)
	v_fmac_f32_e32 v60, v15, v17
	v_lshlrev_b32_e32 v15, 16, v13
	v_fmac_f32_e32 v58, v30, v15
	global_load_dwordx2 v[29:30], v[3:4], off offset:2560
	global_load_dwordx2 v[25:26], v[3:4], off offset:3072
	;; [unrolled: 1-line block ×3, first 2 shown]
	v_lshlrev_b32_e32 v3, 16, v9
	buffer_load_dword v4, off, s[52:55], 0 offset:44 ; 4-byte Folded Reload
	v_fmac_f32_e32 v58, v21, v3
	v_and_b32_e32 v3, 0xffff0000, v9
	buffer_load_dword v9, off, s[52:55], 0 offset:12 ; 4-byte Folded Reload
	v_and_b32_e32 v13, 0xffff0000, v13
	v_fmac_f32_e32 v59, v52, v13
	v_lshlrev_b32_e32 v13, 16, v14
	v_fmac_f32_e32 v60, v43, v13
	global_load_dwordx2 v[21:22], v[11:12], off
	global_load_dwordx2 v[19:20], v[11:12], off offset:512
	global_load_dwordx2 v[15:16], v[11:12], off offset:1024
	v_and_b32_e32 v14, 0xffff0000, v14
	v_fmac_f32_e32 v61, v45, v14
	global_load_dwordx2 v[13:14], v[11:12], off offset:1536
	global_load_dwordx2 v[17:18], v[11:12], off offset:2048
	v_and_b32_e32 v43, 0xffff0000, v2
	s_waitcnt vmcnt(6)
	v_fmac_f32_e32 v59, v4, v3
	v_lshlrev_b32_e32 v3, 16, v10
	v_and_b32_e32 v4, 0xffff0000, v10
	s_waitcnt vmcnt(5)
	v_fmac_f32_e32 v60, v9, v3
	buffer_load_dword v3, off, s[52:55], 0 offset:28 ; 4-byte Folded Reload
	global_load_dwordx2 v[9:10], v[11:12], off offset:2560
	s_waitcnt vmcnt(1)
	v_fmac_f32_e32 v61, v3, v4
	v_lshlrev_b32_e32 v4, 16, v7
	v_and_b32_e32 v3, 0xffff0000, v46
	v_fmac_f32_e32 v58, v0, v4
	v_and_b32_e32 v0, 0xffff0000, v7
	v_fmac_f32_e32 v59, v3, v0
	v_lshlrev_b32_e32 v0, 16, v8
	v_and_b32_e32 v3, 0xffff0000, v8
	v_and_b32_e32 v4, 0xffff0000, v47
	v_fmac_f32_e32 v60, v50, v0
	v_fmac_f32_e32 v61, v4, v3
	v_lshlrev_b32_e32 v0, 16, v48
	v_and_b32_e32 v3, 0xffff0000, v48
	v_lshlrev_b32_e32 v4, 16, v1
	v_and_b32_e32 v1, 0xffff0000, v1
	v_fmac_f32_e32 v58, v4, v0
	v_fmac_f32_e32 v59, v1, v3
	v_lshlrev_b32_e32 v8, 16, v2
	ds_read_b128 v[1:4], v56 offset:112
	v_lshlrev_b32_e32 v0, 16, v49
	v_and_b32_e32 v7, 0xffff0000, v49
	v_fmac_f32_e32 v60, v8, v0
	v_fmac_f32_e32 v61, v43, v7
	s_waitcnt lgkmcnt(0)
	v_lshlrev_b32_e32 v0, 16, v1
	v_lshlrev_b32_e32 v7, 16, v27
	v_fmac_f32_e32 v58, v7, v0
	global_load_dwordx2 v[7:8], v[11:12], off offset:3072
	v_and_b32_e32 v0, 0xffff0000, v1
	global_load_dwordx2 v[11:12], v[11:12], off offset:3584
	v_and_b32_e32 v1, 0xffff0000, v27
	v_fmac_f32_e32 v59, v1, v0
	v_lshlrev_b32_e32 v0, 16, v2
	v_lshlrev_b32_e32 v1, 16, v28
	v_fmac_f32_e32 v60, v1, v0
	v_and_b32_e32 v0, 0xffff0000, v28
	v_and_b32_e32 v1, 0xffff0000, v2
	v_fmac_f32_e32 v61, v0, v1
	v_lshlrev_b32_e32 v0, 16, v3
	v_lshlrev_b32_e32 v1, 16, v41
	v_fmac_f32_e32 v58, v1, v0
	v_and_b32_e32 v0, 0xffff0000, v3
	v_and_b32_e32 v1, 0xffff0000, v41
	v_fmac_f32_e32 v59, v1, v0
	ds_read_b128 v[0:3], v56 offset:128
	v_lshlrev_b32_e32 v28, 16, v4
	v_and_b32_e32 v4, 0xffff0000, v4
	v_lshlrev_b32_e32 v41, 16, v42
	v_and_b32_e32 v42, 0xffff0000, v42
	v_fmac_f32_e32 v60, v41, v28
	v_fmac_f32_e32 v61, v42, v4
	s_waitcnt lgkmcnt(0)
	v_lshlrev_b32_e32 v4, 16, v0
	v_and_b32_e32 v0, 0xffff0000, v0
	v_lshlrev_b32_e32 v28, 16, v39
	v_and_b32_e32 v39, 0xffff0000, v39
	v_fmac_f32_e32 v58, v28, v4
	v_fmac_f32_e32 v59, v39, v0
	v_lshlrev_b32_e32 v4, 16, v40
	v_and_b32_e32 v28, 0xffff0000, v40
	ds_read_b128 v[39:42], v56 offset:144
	v_lshlrev_b32_e32 v0, 16, v1
	v_and_b32_e32 v1, 0xffff0000, v1
	v_fmac_f32_e32 v60, v4, v0
	v_fmac_f32_e32 v61, v28, v1
	v_lshlrev_b32_e32 v0, 16, v2
	v_and_b32_e32 v1, 0xffff0000, v2
	v_lshlrev_b32_e32 v2, 16, v37
	v_and_b32_e32 v4, 0xffff0000, v37
	v_fmac_f32_e32 v58, v2, v0
	v_fmac_f32_e32 v59, v4, v1
	v_lshlrev_b32_e32 v0, 16, v3
	v_and_b32_e32 v1, 0xffff0000, v3
	v_lshlrev_b32_e32 v2, 16, v38
	v_and_b32_e32 v3, 0xffff0000, v38
	v_fmac_f32_e32 v60, v2, v0
	v_fmac_f32_e32 v61, v3, v1
	s_waitcnt lgkmcnt(0)
	v_lshlrev_b32_e32 v0, 16, v39
	v_and_b32_e32 v1, 0xffff0000, v39
	v_lshlrev_b32_e32 v2, 16, v35
	v_and_b32_e32 v3, 0xffff0000, v35
	v_fmac_f32_e32 v58, v2, v0
	v_fmac_f32_e32 v59, v3, v1
	v_lshlrev_b32_e32 v0, 16, v40
	v_and_b32_e32 v1, 0xffff0000, v40
	v_lshlrev_b32_e32 v2, 16, v36
	v_and_b32_e32 v3, 0xffff0000, v36
	v_fmac_f32_e32 v60, v2, v0
	v_fmac_f32_e32 v61, v3, v1
	;; [unrolled: 6-line block ×3, first 2 shown]
	ds_read_b128 v[0:3], v56 offset:160
	v_lshlrev_b32_e32 v4, 16, v42
	v_and_b32_e32 v28, 0xffff0000, v42
	v_lshlrev_b32_e32 v33, 16, v34
	v_and_b32_e32 v34, 0xffff0000, v34
	v_fmac_f32_e32 v60, v33, v4
	v_fmac_f32_e32 v61, v34, v28
	s_waitcnt lgkmcnt(0)
	v_lshlrev_b32_e32 v4, 16, v0
	v_and_b32_e32 v0, 0xffff0000, v0
	v_lshlrev_b32_e32 v28, 16, v31
	v_and_b32_e32 v31, 0xffff0000, v31
	v_fmac_f32_e32 v58, v28, v4
	v_fmac_f32_e32 v59, v31, v0
	v_lshlrev_b32_e32 v0, 16, v1
	v_and_b32_e32 v1, 0xffff0000, v1
	v_lshlrev_b32_e32 v4, 16, v32
	v_and_b32_e32 v28, 0xffff0000, v32
	v_fmac_f32_e32 v60, v4, v0
	v_fmac_f32_e32 v61, v28, v1
	v_lshlrev_b32_e32 v0, 16, v2
	v_and_b32_e32 v1, 0xffff0000, v2
	v_lshlrev_b32_e32 v2, 16, v29
	v_and_b32_e32 v4, 0xffff0000, v29
	v_fmac_f32_e32 v58, v2, v0
	v_fmac_f32_e32 v59, v4, v1
	v_lshlrev_b32_e32 v4, 16, v3
	v_and_b32_e32 v28, 0xffff0000, v3
	ds_read_b128 v[0:3], v56 offset:176
	v_lshlrev_b32_e32 v29, 16, v30
	v_and_b32_e32 v30, 0xffff0000, v30
	v_fmac_f32_e32 v60, v29, v4
	v_fmac_f32_e32 v61, v30, v28
	s_waitcnt lgkmcnt(0)
	v_lshlrev_b32_e32 v4, 16, v0
	v_and_b32_e32 v0, 0xffff0000, v0
	v_lshlrev_b32_e32 v28, 16, v25
	v_and_b32_e32 v25, 0xffff0000, v25
	v_fmac_f32_e32 v58, v28, v4
	v_fmac_f32_e32 v59, v25, v0
	v_lshlrev_b32_e32 v0, 16, v1
	v_and_b32_e32 v1, 0xffff0000, v1
	v_lshlrev_b32_e32 v4, 16, v26
	v_and_b32_e32 v25, 0xffff0000, v26
	v_fmac_f32_e32 v60, v4, v0
	v_fmac_f32_e32 v61, v25, v1
	v_lshlrev_b32_e32 v0, 16, v2
	v_and_b32_e32 v1, 0xffff0000, v2
	v_lshlrev_b32_e32 v2, 16, v23
	v_and_b32_e32 v4, 0xffff0000, v23
	v_fmac_f32_e32 v58, v2, v0
	v_fmac_f32_e32 v59, v4, v1
	v_lshlrev_b32_e32 v4, 16, v3
	v_and_b32_e32 v23, 0xffff0000, v3
	ds_read_b128 v[0:3], v56 offset:192
	;; [unrolled: 26-line block ×4, first 2 shown]
	v_lshlrev_b32_e32 v15, 16, v14
	v_and_b32_e32 v14, 0xffff0000, v14
	v_fmac_f32_e32 v60, v15, v4
	v_fmac_f32_e32 v61, v14, v13
	s_waitcnt lgkmcnt(0)
	v_lshlrev_b32_e32 v4, 16, v0
	v_and_b32_e32 v0, 0xffff0000, v0
	v_lshlrev_b32_e32 v13, 16, v17
	v_and_b32_e32 v14, 0xffff0000, v17
	v_fmac_f32_e32 v58, v13, v4
	v_fmac_f32_e32 v59, v14, v0
	v_lshlrev_b32_e32 v0, 16, v1
	v_and_b32_e32 v1, 0xffff0000, v1
	v_lshlrev_b32_e32 v4, 16, v18
	v_and_b32_e32 v13, 0xffff0000, v18
	v_fmac_f32_e32 v60, v4, v0
	v_fmac_f32_e32 v61, v13, v1
	v_lshlrev_b32_e32 v0, 16, v2
	v_and_b32_e32 v1, 0xffff0000, v2
	s_waitcnt vmcnt(2)
	v_lshlrev_b32_e32 v2, 16, v9
	v_and_b32_e32 v4, 0xffff0000, v9
	v_fmac_f32_e32 v58, v2, v0
	v_fmac_f32_e32 v59, v4, v1
	v_lshlrev_b32_e32 v9, 16, v3
	v_and_b32_e32 v0, 0xffff0000, v3
	ds_read_b128 v[1:4], v56 offset:240
	v_lshlrev_b32_e32 v13, 16, v10
	v_and_b32_e32 v10, 0xffff0000, v10
	v_fmac_f32_e32 v60, v13, v9
	v_fmac_f32_e32 v61, v10, v0
	s_waitcnt lgkmcnt(0)
	v_lshlrev_b32_e32 v0, 16, v1
	v_and_b32_e32 v1, 0xffff0000, v1
	s_waitcnt vmcnt(1)
	v_lshlrev_b32_e32 v9, 16, v7
	v_and_b32_e32 v7, 0xffff0000, v7
	v_fmac_f32_e32 v58, v9, v0
	v_fmac_f32_e32 v59, v7, v1
	v_lshlrev_b32_e32 v0, 16, v2
	v_and_b32_e32 v1, 0xffff0000, v2
	v_lshlrev_b32_e32 v2, 16, v8
	v_and_b32_e32 v7, 0xffff0000, v8
	v_fmac_f32_e32 v60, v2, v0
	v_fmac_f32_e32 v61, v7, v1
	v_lshlrev_b32_e32 v0, 16, v3
	v_and_b32_e32 v1, 0xffff0000, v3
	s_waitcnt vmcnt(0)
	v_lshlrev_b32_e32 v2, 16, v11
	v_and_b32_e32 v3, 0xffff0000, v11
	v_fmac_f32_e32 v58, v2, v0
	v_fmac_f32_e32 v59, v3, v1
	v_lshlrev_b32_e32 v0, 16, v4
	v_lshlrev_b32_e32 v2, 16, v12
	v_and_b32_e32 v1, 0xffff0000, v4
	v_and_b32_e32 v3, 0xffff0000, v12
	v_fmac_f32_e32 v60, v2, v0
	v_add_f32_e32 v0, v58, v59
	v_fmac_f32_e32 v61, v3, v1
	v_add_f32_e32 v0, v0, v60
	v_lshlrev_b32_e32 v27, 2, v54
	v_add_f32_e32 v0, v61, v0
	ds_bpermute_b32 v1, v27, v0
	s_and_saveexec_b64 s[10:11], vcc
	s_cbranch_execz .LBB152_11
; %bb.19:                               ;   in Loop: Header=BB152_13 Depth=1
	buffer_load_dword v2, off, s[52:55], 0 offset:128 ; 4-byte Folded Reload
	buffer_load_dword v3, off, s[52:55], 0 offset:124 ; 4-byte Folded Reload
	s_waitcnt lgkmcnt(0)
	v_add_f32_e32 v0, v0, v1
	s_waitcnt vmcnt(1)
	v_add_u32_e32 v2, v2, v51
	v_cvt_f32_i32_e32 v2, v2
	v_mul_f32_e32 v1, s46, v2
	buffer_load_dword v2, off, s[52:55], 0 offset:60 ; 4-byte Folded Reload
	s_waitcnt vmcnt(1)
	v_add_u32_e32 v3, v3, v51
	v_cndmask_b32_e64 v1, 0, v1, s[4:5]
	v_fmac_f32_e32 v1, s37, v0
	v_cmp_gt_i32_e64 s[6:7], s33, v3
	v_cndmask_b32_e64 v0, 0, v1, s[6:7]
	ds_write_b32 v44, v0
	s_waitcnt vmcnt(0)
	v_max_f32_e32 v0, v2, v2
	v_max_f32_e32 v0, v0, v1
	v_cndmask_b32_e64 v2, v2, v0, s[6:7]
	buffer_store_dword v2, off, s[52:55], 0 offset:60 ; 4-byte Folded Spill
	s_branch .LBB152_11
.LBB152_20:
	s_or_b64 exec, exec, s[40:41]
	buffer_load_dword v13, off, s[52:55], 0 offset:132 ; 4-byte Folded Reload
	buffer_load_dword v14, off, s[52:55], 0 offset:136 ; 4-byte Folded Reload
	;; [unrolled: 1-line block ×3, first 2 shown]
	s_waitcnt lgkmcnt(0)
	v_mbcnt_lo_u32_b32 v1, -1, 0
.LBB152_21:
	s_or_b64 exec, exec, s[38:39]
	v_mbcnt_hi_u32_b32 v0, -1, v1
	v_and_b32_e32 v7, 64, v0
	v_add_u32_e32 v8, 64, v7
	v_xor_b32_e32 v1, 32, v0
	v_cmp_lt_i32_e32 vcc, v1, v8
	v_cndmask_b32_e32 v1, v0, v1, vcc
	v_lshlrev_b32_e32 v1, 2, v1
	s_waitcnt vmcnt(0)
	ds_bpermute_b32 v2, v1, v3
	v_xor_b32_e32 v4, 16, v0
	v_max_f32_e32 v3, v3, v3
	v_cmp_lt_i32_e32 vcc, v4, v8
	v_xor_b32_e32 v5, 8, v0
	s_waitcnt lgkmcnt(0)
	v_max_f32_e32 v2, v2, v2
	v_max_f32_e32 v3, v3, v2
	v_cndmask_b32_e32 v2, v0, v4, vcc
	v_lshlrev_b32_e32 v2, 2, v2
	ds_bpermute_b32 v4, v2, v3
	v_cmp_lt_i32_e32 vcc, v5, v8
	v_xor_b32_e32 v6, 4, v0
	v_xor_b32_e32 v9, 2, v0
	s_waitcnt lgkmcnt(0)
	v_max_f32_e32 v4, v4, v4
	v_max_f32_e32 v4, v3, v4
	v_cndmask_b32_e32 v3, v0, v5, vcc
	v_lshlrev_b32_e32 v3, 2, v3
	ds_bpermute_b32 v5, v3, v4
	v_cmp_lt_i32_e32 vcc, v6, v8
	s_waitcnt lgkmcnt(0)
	v_max_f32_e32 v5, v5, v5
	v_max_f32_e32 v5, v4, v5
	v_cndmask_b32_e32 v4, v0, v6, vcc
	v_lshlrev_b32_e32 v4, 2, v4
	ds_bpermute_b32 v6, v4, v5
	v_cmp_lt_i32_e32 vcc, v9, v8
	s_waitcnt lgkmcnt(0)
	v_max_f32_e32 v6, v6, v6
	v_max_f32_e32 v6, v5, v6
	v_cndmask_b32_e32 v5, v0, v9, vcc
	v_lshlrev_b32_e32 v17, 2, v5
	buffer_load_dword v5, off, s[52:55], 0 offset:176 ; 4-byte Folded Reload
	ds_bpermute_b32 v9, v17, v6
	s_waitcnt vmcnt(0)
	v_and_b32_e32 v23, 63, v5
	buffer_load_dword v5, off, s[52:55], 0  ; 4-byte Folded Reload
	v_cmp_eq_u32_e32 vcc, 0, v23
	s_waitcnt vmcnt(0)
	v_lshlrev_b32_e32 v5, 2, v5
	s_and_saveexec_b64 s[4:5], vcc
	s_cbranch_execz .LBB152_23
; %bb.22:
	s_waitcnt lgkmcnt(0)
	v_max_f32_e32 v9, v9, v9
	v_max_f32_e32 v6, v6, v6
	;; [unrolled: 1-line block ×3, first 2 shown]
	ds_write_b32 v5, v6 offset:512
.LBB152_23:
	s_or_b64 exec, exec, s[4:5]
	v_cmp_gt_u32_e64 s[4:5], 2, v23
	s_waitcnt lgkmcnt(0)
	v_mov_b32_e32 v9, 0xff7fffff
	v_lshlrev_b32_e32 v6, 2, v23
	s_barrier
	s_and_saveexec_b64 s[6:7], s[4:5]
; %bb.24:
	ds_read_b32 v9, v6 offset:512
; %bb.25:
	s_or_b64 exec, exec, s[6:7]
	v_xor_b32_e32 v10, 1, v0
	v_cmp_lt_i32_e64 s[6:7], v10, v8
	v_cndmask_b32_e64 v8, v0, v10, s[6:7]
	v_lshlrev_b32_e32 v22, 2, v8
	s_waitcnt lgkmcnt(0)
	ds_bpermute_b32 v8, v22, v9
	v_max_f32_e32 v9, v9, v9
	v_lshlrev_b32_e32 v7, 2, v7
	s_lshl_b32 s6, s20, 5
	s_min_i32 s19, s6, s33
	s_waitcnt lgkmcnt(0)
	v_max_f32_e32 v8, v8, v8
	v_max_f32_e32 v8, v9, v8
	ds_bpermute_b32 v8, v7, v8
	buffer_load_dword v7, off, s[52:55], 0 offset:176 ; 4-byte Folded Reload
	s_waitcnt vmcnt(0)
	v_cmp_gt_i32_e64 s[6:7], s19, v7
	v_mov_b32_e32 v7, 0
	s_and_saveexec_b64 s[12:13], s[6:7]
	s_cbranch_execz .LBB152_29
; %bb.26:
	buffer_load_dword v10, off, s[52:55], 0 offset:176 ; 4-byte Folded Reload
	v_mov_b32_e32 v7, 0x210
	s_mov_b64 s[36:37], 0
	s_waitcnt vmcnt(0)
	v_lshl_add_u32 v9, v10, 2, v7
	v_mov_b32_e32 v7, 0
.LBB152_27:                             ; =>This Inner Loop Header: Depth=1
	ds_read_b32 v11, v9
	v_add_u32_e32 v10, 0x80, v10
	v_cmp_le_i32_e64 s[10:11], s19, v10
	s_or_b64 s[36:37], s[10:11], s[36:37]
	s_waitcnt lgkmcnt(0)
	v_sub_f32_e32 v11, v11, v8
	v_mul_f32_e32 v11, 0x3fb8aa3b, v11
	v_exp_f32_e32 v11, v11
	ds_write_b32 v9, v11
	v_add_f32_e32 v7, v7, v11
	v_add_u32_e32 v9, 0x200, v9
	s_andn2_b64 exec, exec, s[36:37]
	s_cbranch_execnz .LBB152_27
; %bb.28:
	s_or_b64 exec, exec, s[36:37]
.LBB152_29:
	s_or_b64 exec, exec, s[12:13]
	ds_bpermute_b32 v1, v1, v7
	s_waitcnt lgkmcnt(0)
	v_add_f32_e32 v1, v7, v1
	ds_bpermute_b32 v2, v2, v1
	s_waitcnt lgkmcnt(0)
	v_add_f32_e32 v1, v1, v2
	;; [unrolled: 3-line block ×6, first 2 shown]
	s_and_saveexec_b64 s[10:11], vcc
; %bb.30:
	ds_write_b32 v5, v1 offset:520
; %bb.31:
	s_or_b64 exec, exec, s[10:11]
	s_waitcnt lgkmcnt(0)
	s_barrier
	s_and_saveexec_b64 s[10:11], s[4:5]
; %bb.32:
	ds_read_b32 v1, v6 offset:520
; %bb.33:
	s_or_b64 exec, exec, s[10:11]
	s_waitcnt lgkmcnt(0)
	ds_bpermute_b32 v2, v22, v1
	v_lshlrev_b32_e32 v0, 2, v0
	v_and_b32_e32 v0, 0x100, v0
	s_waitcnt lgkmcnt(0)
	v_add_f32_e32 v1, v1, v2
	ds_bpermute_b32 v0, v0, v1
	s_and_saveexec_b64 s[4:5], s[6:7]
	s_cbranch_execz .LBB152_36
; %bb.34:
	s_waitcnt lgkmcnt(0)
	v_add_f32_e32 v1, 0x358637bd, v0
	v_div_scale_f32 v0, s[6:7], v1, v1, 1.0
	v_div_scale_f32 v2, vcc, 1.0, v1, 1.0
	s_mov_b64 s[6:7], 0
	v_rcp_f32_e32 v3, v0
	v_fma_f32 v4, -v0, v3, 1.0
	v_fmac_f32_e32 v3, v4, v3
	v_mul_f32_e32 v4, v2, v3
	v_fma_f32 v5, -v0, v4, v2
	v_fmac_f32_e32 v4, v5, v3
	v_fma_f32 v0, -v0, v4, v2
	v_div_fmas_f32 v2, v0, v3, v4
	buffer_load_dword v3, off, s[52:55], 0 offset:176 ; 4-byte Folded Reload
	v_mov_b32_e32 v0, 0x210
	v_div_fixup_f32 v1, v2, v1, 1.0
	s_waitcnt vmcnt(0)
	v_lshl_add_u32 v0, v3, 2, v0
	v_mov_b32_e32 v2, v3
.LBB152_35:                             ; =>This Inner Loop Header: Depth=1
	ds_read_b32 v3, v0
	v_add_u32_e32 v2, 0x80, v2
	v_cmp_le_i32_e32 vcc, s19, v2
	s_or_b64 s[6:7], vcc, s[6:7]
	s_waitcnt lgkmcnt(0)
	v_mul_f32_e32 v3, v1, v3
	ds_write_b32 v0, v3
	v_add_u32_e32 v0, 0x200, v0
	s_andn2_b64 exec, exec, s[6:7]
	s_cbranch_execnz .LBB152_35
.LBB152_36:
	s_or_b64 exec, exec, s[4:5]
	s_waitcnt lgkmcnt(0)
	s_barrier
	buffer_load_dword v0, off, s[52:55], 0 offset:176 ; 4-byte Folded Reload
	v_mov_b32_e32 v12, 0
	v_mov_b32_e32 v28, 0
	;; [unrolled: 1-line block ×16, first 2 shown]
	s_waitcnt vmcnt(0)
	v_and_b32_e32 v0, 3, v0
	buffer_store_dword v0, off, s[52:55], 0 offset:192 ; 4-byte Folded Spill
	s_and_saveexec_b64 s[6:7], s[2:3]
	s_cbranch_execz .LBB152_74
; %bb.37:
	s_ashr_i32 s19, s18, 31
	s_sub_i32 s21, s16, s21
	s_lshl_b64 s[2:3], s[18:19], 1
	s_add_u32 s18, s34, s2
	s_addc_u32 s19, s35, s3
	s_abs_i32 s22, s22
	v_cvt_f32_u32_e32 v0, s22
	s_sub_i32 s2, 0, s22
	buffer_store_dword v22, off, s[52:55], 0 offset:204 ; 4-byte Folded Spill
	buffer_store_dword v17, off, s[52:55], 0 offset:200 ; 4-byte Folded Spill
	buffer_store_dword v23, off, s[52:55], 0 offset:196 ; 4-byte Folded Spill
	s_add_i32 s36, s20, -1
	v_rcp_iflag_f32_e32 v0, v0
	v_and_b32_e32 v1, 24, v13
	buffer_store_dword v1, off, s[52:55], 0 offset:180 ; 4-byte Folded Spill
	v_and_b32_e32 v1, 0x1f8, v13
	v_mul_f32_e32 v0, 0x4f7ffffe, v0
	v_cvt_u32_f32_e32 v0, v0
	v_and_b32_e32 v4, 60, v14
	v_or_b32_e32 v2, 0x1e00, v13
	s_mov_b32 s34, s17
	v_mul_lo_u32 v3, s2, v0
	s_lshl_b64 s[2:3], s[30:31], 2
	s_add_u32 s2, s28, s2
	s_addc_u32 s3, s29, s3
	v_mul_hi_u32 v3, v0, v3
	v_mov_b32_e32 v5, s3
	v_add_co_u32_e32 v61, vcc, s2, v4
	v_add_u32_e32 v0, v0, v3
	buffer_store_dword v0, off, s[52:55], 0 offset:108 ; 4-byte Folded Spill
	buffer_load_dword v0, off, s[52:55], 0 offset:192 ; 4-byte Folded Reload
	s_mov_b32 s35, s33
	buffer_load_dword v3, off, s[52:55], 0  ; 4-byte Folded Reload
	v_addc_co_u32_e32 v62, vcc, 0, v5, vcc
	s_mov_b64 s[10:11], 0
	s_mov_b32 s28, 0x5040100
	s_movk_i32 s29, 0x7fff
	v_mov_b32_e32 v24, 0
	v_mov_b32_e32 v20, 0
	;; [unrolled: 1-line block ×16, first 2 shown]
	s_waitcnt vmcnt(1)
	v_lshlrev_b32_e32 v0, 5, v0
	s_waitcnt vmcnt(0)
	v_lshl_or_b32 v0, v3, 7, v0
	buffer_load_dword v3, off, s[52:55], 0 offset:4 ; 4-byte Folded Reload
	v_add_u32_e32 v0, 0x210, v0
	buffer_store_dword v0, off, s[52:55], 0 offset:8 ; 4-byte Folded Spill
	v_lshlrev_b32_e32 v0, 1, v1
	buffer_store_dword v0, off, s[52:55], 0 offset:184 ; 4-byte Folded Spill
	v_lshlrev_b32_e32 v0, 1, v2
	buffer_store_dword v0, off, s[52:55], 0 offset:188 ; 4-byte Folded Spill
	s_branch .LBB152_40
.LBB152_38:                             ;   in Loop: Header=BB152_40 Depth=1
	s_or_b64 exec, exec, s[4:5]
	s_waitcnt lgkmcnt(1)
	v_bfe_u32 v0, v1, 16, 1
	v_add3_u32 v0, v0, v1, s29
	v_or_b32_e32 v13, 0x400000, v1
	v_cmp_u_f32_e32 vcc, v1, v1
	v_cndmask_b32_e32 v14, v0, v13, vcc
	v_bfe_u32 v0, v2, 16, 1
	v_add3_u32 v0, v0, v2, s29
	v_or_b32_e32 v1, 0x400000, v2
	v_cmp_u_f32_e32 vcc, v2, v2
	v_cndmask_b32_e32 v0, v0, v1, vcc
	;; [unrolled: 5-line block ×4, first 2 shown]
	s_waitcnt lgkmcnt(0)
	v_bfe_u32 v1, v57, 16, 1
	v_add3_u32 v1, v1, v57, s29
	v_or_b32_e32 v2, 0x400000, v57
	v_cmp_u_f32_e32 vcc, v57, v57
	v_cndmask_b32_e32 v16, v1, v2, vcc
	v_bfe_u32 v1, v58, 16, 1
	v_add3_u32 v1, v1, v58, s29
	v_or_b32_e32 v2, 0x400000, v58
	v_cmp_u_f32_e32 vcc, v58, v58
	v_cndmask_b32_e32 v19, v1, v2, vcc
	v_bfe_u32 v1, v59, 16, 1
	v_add3_u32 v1, v1, v59, s29
	v_or_b32_e32 v2, 0x400000, v59
	v_cmp_u_f32_e32 vcc, v59, v59
	v_cndmask_b32_e32 v13, v1, v2, vcc
	v_bfe_u32 v1, v60, 16, 1
	v_add3_u32 v1, v1, v60, s29
	v_or_b32_e32 v2, 0x400000, v60
	v_cmp_u_f32_e32 vcc, v60, v60
	v_cndmask_b32_e32 v15, v1, v2, vcc
	v_and_b32_e32 v1, 0xffff0000, v0
	v_and_b32_e32 v0, 0xffff0000, v9
	v_mul_f32_e32 v0, v1, v0
	v_bfe_u32 v2, v0, 16, 1
	v_add3_u32 v2, v2, v0, s29
	v_or_b32_e32 v4, 0x400000, v0
	v_cmp_u_f32_e32 vcc, v0, v0
	v_cndmask_b32_e32 v0, v2, v4, vcc
	v_and_b32_e32 v2, 0xffff0000, v14
	v_lshlrev_b32_e32 v4, 16, v9
	v_mul_f32_e32 v4, v2, v4
	v_bfe_u32 v9, v4, 16, 1
	v_add3_u32 v9, v9, v4, s29
	v_or_b32_e32 v14, 0x400000, v4
	v_cmp_u_f32_e32 vcc, v4, v4
	v_and_b32_e32 v3, 0xffff0000, v3
	v_and_b32_e32 v4, 0xffff0000, v10
	v_mul_f32_e32 v4, v3, v4
	v_cndmask_b32_e32 v14, v9, v14, vcc
	v_bfe_u32 v9, v4, 16, 1
	v_add3_u32 v9, v9, v4, s29
	v_or_b32_e32 v17, 0x400000, v4
	v_cmp_u_f32_e32 vcc, v4, v4
	v_cndmask_b32_e32 v17, v9, v17, vcc
	v_and_b32_e32 v4, 0xffff0000, v18
	v_lshlrev_b32_e32 v9, 16, v10
	v_mul_f32_e32 v9, v4, v9
	v_bfe_u32 v10, v9, 16, 1
	v_add3_u32 v10, v10, v9, s29
	v_or_b32_e32 v18, 0x400000, v9
	v_cmp_u_f32_e32 vcc, v9, v9
	v_cndmask_b32_e32 v18, v10, v18, vcc
	v_and_b32_e32 v9, 0xffff0000, v19
	v_and_b32_e32 v10, 0xffff0000, v11
	v_mul_f32_e32 v10, v9, v10
	v_bfe_u32 v19, v10, 16, 1
	v_add3_u32 v19, v19, v10, s29
	v_or_b32_e32 v20, 0x400000, v10
	v_cmp_u_f32_e32 vcc, v10, v10
	v_and_b32_e32 v10, 0xffff0000, v16
	v_lshlrev_b32_e32 v11, 16, v11
	v_mul_f32_e32 v11, v10, v11
	v_bfe_u32 v16, v11, 16, 1
	v_cndmask_b32_e32 v19, v19, v20, vcc
	v_add3_u32 v16, v16, v11, s29
	v_or_b32_e32 v20, 0x400000, v11
	v_cmp_u_f32_e32 vcc, v11, v11
	v_and_b32_e32 v11, 0xffff0000, v15
	v_and_b32_e32 v15, 0xffff0000, v12
	v_mul_f32_e32 v15, v11, v15
	v_cndmask_b32_e32 v16, v16, v20, vcc
	v_bfe_u32 v20, v15, 16, 1
	v_add3_u32 v20, v20, v15, s29
	v_or_b32_e32 v57, 0x400000, v15
	v_cmp_u_f32_e32 vcc, v15, v15
	v_cndmask_b32_e32 v15, v20, v57, vcc
	v_and_b32_e32 v57, 0xffff0000, v13
	v_lshlrev_b32_e32 v12, 16, v12
	v_mul_f32_e32 v12, v57, v12
	v_bfe_u32 v13, v12, 16, 1
	v_add3_u32 v13, v13, v12, s29
	v_or_b32_e32 v20, 0x400000, v12
	v_cmp_u_f32_e32 vcc, v12, v12
	v_cndmask_b32_e32 v12, v13, v20, vcc
	buffer_load_dword v20, off, s[52:55], 0 offset:116 ; 4-byte Folded Reload
	v_and_b32_e32 v13, 0xffff0000, v14
	v_and_b32_e32 v0, 0xffff0000, v0
	v_add_f32_e32 v0, v13, v0
	v_and_b32_e32 v13, 0xffff0000, v18
	buffer_load_dword v18, off, s[52:55], 0 offset:120 ; 4-byte Folded Reload
	v_and_b32_e32 v14, 0xffff0000, v17
	v_add_f32_e32 v13, v13, v14
	v_and_b32_e32 v14, 0xffff0000, v19
	buffer_load_dword v19, off, s[52:55], 0 offset:124 ; 4-byte Folded Reload
	v_add_f32_e32 v0, v13, v0
	v_and_b32_e32 v13, 0xffff0000, v16
	v_add_f32_e32 v13, v13, v14
	v_add_f32_e32 v0, v13, v0
	v_and_b32_e32 v12, 0xffff0000, v12
	v_and_b32_e32 v13, 0xffff0000, v15
	v_add_f32_e32 v12, v12, v13
	v_add_f32_e32 v0, v12, v0
	s_waitcnt vmcnt(2)
	v_add_f32_e32 v20, v20, v0
	v_and_b32_e32 v0, 0xffff0000, v5
	v_mul_f32_e32 v0, v1, v0
	v_bfe_u32 v12, v0, 16, 1
	v_lshlrev_b32_e32 v5, 16, v5
	v_add3_u32 v12, v12, v0, s29
	v_or_b32_e32 v13, 0x400000, v0
	v_cmp_u_f32_e32 vcc, v0, v0
	v_mul_f32_e32 v5, v2, v5
	v_cndmask_b32_e32 v0, v12, v13, vcc
	v_bfe_u32 v12, v5, 16, 1
	v_add3_u32 v12, v12, v5, s29
	v_or_b32_e32 v13, 0x400000, v5
	v_cmp_u_f32_e32 vcc, v5, v5
	v_cndmask_b32_e32 v5, v12, v13, vcc
	v_and_b32_e32 v12, 0xffff0000, v6
	v_mul_f32_e32 v12, v3, v12
	v_bfe_u32 v13, v12, 16, 1
	v_lshlrev_b32_e32 v6, 16, v6
	v_add3_u32 v13, v13, v12, s29
	v_or_b32_e32 v14, 0x400000, v12
	v_cmp_u_f32_e32 vcc, v12, v12
	v_mul_f32_e32 v6, v4, v6
	v_cndmask_b32_e32 v12, v13, v14, vcc
	v_bfe_u32 v13, v6, 16, 1
	v_add3_u32 v13, v13, v6, s29
	v_or_b32_e32 v14, 0x400000, v6
	v_cmp_u_f32_e32 vcc, v6, v6
	v_cndmask_b32_e32 v6, v13, v14, vcc
	;; [unrolled: 14-line block ×3, first 2 shown]
	v_and_b32_e32 v14, 0xffff0000, v8
	v_mul_f32_e32 v14, v11, v14
	v_bfe_u32 v15, v14, 16, 1
	v_lshlrev_b32_e32 v8, 16, v8
	v_and_b32_e32 v5, 0xffff0000, v5
	v_and_b32_e32 v0, 0xffff0000, v0
	v_add3_u32 v15, v15, v14, s29
	v_or_b32_e32 v16, 0x400000, v14
	v_cmp_u_f32_e32 vcc, v14, v14
	v_mul_f32_e32 v8, v57, v8
	v_add_f32_e32 v0, v5, v0
	v_and_b32_e32 v5, 0xffff0000, v6
	v_and_b32_e32 v6, 0xffff0000, v12
	v_cndmask_b32_e32 v14, v15, v16, vcc
	v_bfe_u32 v15, v8, 16, 1
	v_add_f32_e32 v5, v5, v6
	v_add3_u32 v15, v15, v8, s29
	v_or_b32_e32 v16, 0x400000, v8
	v_cmp_u_f32_e32 vcc, v8, v8
	v_add_f32_e32 v0, v5, v0
	v_and_b32_e32 v5, 0xffff0000, v7
	v_and_b32_e32 v6, 0xffff0000, v13
	v_cndmask_b32_e32 v8, v15, v16, vcc
	v_add_f32_e32 v5, v5, v6
	v_add_f32_e32 v0, v5, v0
	v_and_b32_e32 v5, 0xffff0000, v8
	v_and_b32_e32 v6, 0xffff0000, v14
	v_add_f32_e32 v5, v5, v6
	v_add_f32_e32 v0, v5, v0
	s_waitcnt vmcnt(1)
	v_add_f32_e32 v18, v18, v0
	v_and_b32_e32 v0, 0xffff0000, v53
	v_mul_f32_e32 v0, v1, v0
	v_bfe_u32 v5, v0, 16, 1
	v_add3_u32 v5, v5, v0, s29
	v_or_b32_e32 v6, 0x400000, v0
	v_cmp_u_f32_e32 vcc, v0, v0
	v_cndmask_b32_e32 v0, v5, v6, vcc
	v_lshlrev_b32_e32 v5, 16, v53
	v_mul_f32_e32 v5, v2, v5
	v_bfe_u32 v6, v5, 16, 1
	v_add3_u32 v6, v6, v5, s29
	v_or_b32_e32 v7, 0x400000, v5
	v_cmp_u_f32_e32 vcc, v5, v5
	v_cndmask_b32_e32 v5, v6, v7, vcc
	v_and_b32_e32 v6, 0xffff0000, v54
	v_mul_f32_e32 v6, v3, v6
	v_bfe_u32 v7, v6, 16, 1
	v_add3_u32 v7, v7, v6, s29
	v_or_b32_e32 v8, 0x400000, v6
	v_cmp_u_f32_e32 vcc, v6, v6
	v_cndmask_b32_e32 v6, v7, v8, vcc
	v_lshlrev_b32_e32 v7, 16, v54
	v_mul_f32_e32 v7, v4, v7
	v_bfe_u32 v8, v7, 16, 1
	v_add3_u32 v8, v8, v7, s29
	v_or_b32_e32 v12, 0x400000, v7
	v_cmp_u_f32_e32 vcc, v7, v7
	v_cndmask_b32_e32 v7, v8, v12, vcc
	;; [unrolled: 14-line block ×3, first 2 shown]
	v_and_b32_e32 v13, 0xffff0000, v56
	v_mul_f32_e32 v13, v11, v13
	v_bfe_u32 v14, v13, 16, 1
	v_add3_u32 v14, v14, v13, s29
	v_or_b32_e32 v15, 0x400000, v13
	v_cmp_u_f32_e32 vcc, v13, v13
	v_cndmask_b32_e32 v13, v14, v15, vcc
	v_lshlrev_b32_e32 v14, 16, v56
	v_and_b32_e32 v5, 0xffff0000, v5
	v_and_b32_e32 v0, 0xffff0000, v0
	v_mul_f32_e32 v14, v57, v14
	v_add_f32_e32 v0, v5, v0
	v_and_b32_e32 v5, 0xffff0000, v7
	v_and_b32_e32 v6, 0xffff0000, v6
	v_bfe_u32 v15, v14, 16, 1
	v_add_f32_e32 v5, v5, v6
	v_add3_u32 v15, v15, v14, s29
	v_or_b32_e32 v16, 0x400000, v14
	v_cmp_u_f32_e32 vcc, v14, v14
	v_add_f32_e32 v0, v5, v0
	v_and_b32_e32 v5, 0xffff0000, v12
	v_and_b32_e32 v6, 0xffff0000, v8
	v_cndmask_b32_e32 v14, v15, v16, vcc
	v_add_f32_e32 v5, v5, v6
	v_add_f32_e32 v0, v5, v0
	v_and_b32_e32 v5, 0xffff0000, v14
	v_and_b32_e32 v6, 0xffff0000, v13
	v_add_f32_e32 v5, v5, v6
	v_add_f32_e32 v0, v5, v0
	s_waitcnt vmcnt(0)
	v_add_f32_e32 v19, v19, v0
	v_and_b32_e32 v0, 0xffff0000, v49
	v_mul_f32_e32 v0, v1, v0
	v_bfe_u32 v5, v0, 16, 1
	v_add3_u32 v5, v5, v0, s29
	v_or_b32_e32 v6, 0x400000, v0
	v_cmp_u_f32_e32 vcc, v0, v0
	v_cndmask_b32_e32 v0, v5, v6, vcc
	v_lshlrev_b32_e32 v5, 16, v49
	buffer_load_dword v49, off, s[52:55], 0 offset:128 ; 4-byte Folded Reload
	v_mul_f32_e32 v5, v2, v5
	v_bfe_u32 v6, v5, 16, 1
	v_add3_u32 v6, v6, v5, s29
	v_or_b32_e32 v7, 0x400000, v5
	v_cmp_u_f32_e32 vcc, v5, v5
	v_cndmask_b32_e32 v5, v6, v7, vcc
	v_and_b32_e32 v6, 0xffff0000, v50
	v_mul_f32_e32 v6, v3, v6
	v_bfe_u32 v7, v6, 16, 1
	v_add3_u32 v7, v7, v6, s29
	v_or_b32_e32 v8, 0x400000, v6
	v_cmp_u_f32_e32 vcc, v6, v6
	v_cndmask_b32_e32 v6, v7, v8, vcc
	v_lshlrev_b32_e32 v7, 16, v50
	v_mul_f32_e32 v7, v4, v7
	v_bfe_u32 v8, v7, 16, 1
	v_add3_u32 v8, v8, v7, s29
	v_or_b32_e32 v12, 0x400000, v7
	v_cmp_u_f32_e32 vcc, v7, v7
	v_cndmask_b32_e32 v7, v8, v12, vcc
	v_and_b32_e32 v8, 0xffff0000, v51
	v_mul_f32_e32 v8, v9, v8
	v_bfe_u32 v12, v8, 16, 1
	v_add3_u32 v12, v12, v8, s29
	v_or_b32_e32 v13, 0x400000, v8
	v_cmp_u_f32_e32 vcc, v8, v8
	v_cndmask_b32_e32 v8, v12, v13, vcc
	v_lshlrev_b32_e32 v12, 16, v51
	;; [unrolled: 14-line block ×3, first 2 shown]
	v_and_b32_e32 v5, 0xffff0000, v5
	v_and_b32_e32 v0, 0xffff0000, v0
	v_mul_f32_e32 v14, v57, v14
	v_add_f32_e32 v0, v5, v0
	v_and_b32_e32 v5, 0xffff0000, v7
	v_and_b32_e32 v6, 0xffff0000, v6
	v_bfe_u32 v15, v14, 16, 1
	v_add_f32_e32 v5, v5, v6
	v_add3_u32 v15, v15, v14, s29
	v_or_b32_e32 v16, 0x400000, v14
	v_cmp_u_f32_e32 vcc, v14, v14
	v_add_f32_e32 v0, v5, v0
	v_and_b32_e32 v5, 0xffff0000, v12
	v_and_b32_e32 v6, 0xffff0000, v8
	v_cndmask_b32_e32 v14, v15, v16, vcc
	v_add_f32_e32 v5, v5, v6
	v_add_f32_e32 v0, v5, v0
	v_and_b32_e32 v5, 0xffff0000, v14
	v_and_b32_e32 v6, 0xffff0000, v13
	v_add_f32_e32 v5, v5, v6
	v_add_f32_e32 v0, v5, v0
	s_waitcnt vmcnt(0)
	v_add_f32_e32 v49, v49, v0
	v_and_b32_e32 v0, 0xffff0000, v45
	v_mul_f32_e32 v0, v1, v0
	v_bfe_u32 v5, v0, 16, 1
	v_add3_u32 v5, v5, v0, s29
	v_or_b32_e32 v6, 0x400000, v0
	v_cmp_u_f32_e32 vcc, v0, v0
	v_cndmask_b32_e32 v0, v5, v6, vcc
	v_lshlrev_b32_e32 v5, 16, v45
	buffer_load_dword v45, off, s[52:55], 0 offset:132 ; 4-byte Folded Reload
	v_mul_f32_e32 v5, v2, v5
	v_bfe_u32 v6, v5, 16, 1
	v_add3_u32 v6, v6, v5, s29
	v_or_b32_e32 v7, 0x400000, v5
	v_cmp_u_f32_e32 vcc, v5, v5
	v_cndmask_b32_e32 v5, v6, v7, vcc
	v_and_b32_e32 v6, 0xffff0000, v46
	v_mul_f32_e32 v6, v3, v6
	v_bfe_u32 v7, v6, 16, 1
	v_add3_u32 v7, v7, v6, s29
	v_or_b32_e32 v8, 0x400000, v6
	v_cmp_u_f32_e32 vcc, v6, v6
	v_cndmask_b32_e32 v6, v7, v8, vcc
	v_lshlrev_b32_e32 v7, 16, v46
	v_mul_f32_e32 v7, v4, v7
	v_bfe_u32 v8, v7, 16, 1
	v_add3_u32 v8, v8, v7, s29
	v_or_b32_e32 v12, 0x400000, v7
	v_cmp_u_f32_e32 vcc, v7, v7
	v_cndmask_b32_e32 v7, v8, v12, vcc
	v_and_b32_e32 v8, 0xffff0000, v47
	v_mul_f32_e32 v8, v9, v8
	v_bfe_u32 v12, v8, 16, 1
	v_add3_u32 v12, v12, v8, s29
	v_or_b32_e32 v13, 0x400000, v8
	v_cmp_u_f32_e32 vcc, v8, v8
	v_cndmask_b32_e32 v8, v12, v13, vcc
	v_lshlrev_b32_e32 v12, 16, v47
	;; [unrolled: 14-line block ×3, first 2 shown]
	v_and_b32_e32 v5, 0xffff0000, v5
	v_and_b32_e32 v0, 0xffff0000, v0
	v_mul_f32_e32 v14, v57, v14
	v_add_f32_e32 v0, v5, v0
	v_and_b32_e32 v5, 0xffff0000, v7
	v_and_b32_e32 v6, 0xffff0000, v6
	v_bfe_u32 v15, v14, 16, 1
	v_add_f32_e32 v5, v5, v6
	v_add3_u32 v15, v15, v14, s29
	v_or_b32_e32 v16, 0x400000, v14
	v_cmp_u_f32_e32 vcc, v14, v14
	v_add_f32_e32 v0, v5, v0
	v_and_b32_e32 v5, 0xffff0000, v12
	v_and_b32_e32 v6, 0xffff0000, v8
	v_cndmask_b32_e32 v14, v15, v16, vcc
	v_add_f32_e32 v5, v5, v6
	v_add_f32_e32 v0, v5, v0
	v_and_b32_e32 v5, 0xffff0000, v14
	v_and_b32_e32 v6, 0xffff0000, v13
	v_add_f32_e32 v5, v5, v6
	v_add_f32_e32 v0, v5, v0
	s_waitcnt vmcnt(0)
	v_add_f32_e32 v45, v45, v0
	v_and_b32_e32 v0, 0xffff0000, v41
	v_mul_f32_e32 v0, v1, v0
	v_bfe_u32 v5, v0, 16, 1
	v_add3_u32 v5, v5, v0, s29
	v_or_b32_e32 v6, 0x400000, v0
	v_cmp_u_f32_e32 vcc, v0, v0
	v_cndmask_b32_e32 v0, v5, v6, vcc
	v_lshlrev_b32_e32 v5, 16, v41
	buffer_load_dword v41, off, s[52:55], 0 offset:136 ; 4-byte Folded Reload
	v_mul_f32_e32 v5, v2, v5
	v_bfe_u32 v6, v5, 16, 1
	v_add3_u32 v6, v6, v5, s29
	v_or_b32_e32 v7, 0x400000, v5
	v_cmp_u_f32_e32 vcc, v5, v5
	v_cndmask_b32_e32 v5, v6, v7, vcc
	v_and_b32_e32 v6, 0xffff0000, v42
	v_mul_f32_e32 v6, v3, v6
	v_bfe_u32 v7, v6, 16, 1
	v_add3_u32 v7, v7, v6, s29
	v_or_b32_e32 v8, 0x400000, v6
	v_cmp_u_f32_e32 vcc, v6, v6
	v_cndmask_b32_e32 v6, v7, v8, vcc
	v_lshlrev_b32_e32 v7, 16, v42
	v_mul_f32_e32 v7, v4, v7
	v_bfe_u32 v8, v7, 16, 1
	v_add3_u32 v8, v8, v7, s29
	v_or_b32_e32 v12, 0x400000, v7
	v_cmp_u_f32_e32 vcc, v7, v7
	v_cndmask_b32_e32 v7, v8, v12, vcc
	v_and_b32_e32 v8, 0xffff0000, v43
	v_mul_f32_e32 v8, v9, v8
	v_bfe_u32 v12, v8, 16, 1
	v_add3_u32 v12, v12, v8, s29
	v_or_b32_e32 v13, 0x400000, v8
	v_cmp_u_f32_e32 vcc, v8, v8
	v_cndmask_b32_e32 v8, v12, v13, vcc
	v_lshlrev_b32_e32 v12, 16, v43
	;; [unrolled: 14-line block ×3, first 2 shown]
	v_and_b32_e32 v5, 0xffff0000, v5
	v_and_b32_e32 v0, 0xffff0000, v0
	v_mul_f32_e32 v14, v57, v14
	v_add_f32_e32 v0, v5, v0
	v_and_b32_e32 v5, 0xffff0000, v7
	v_and_b32_e32 v6, 0xffff0000, v6
	v_bfe_u32 v15, v14, 16, 1
	v_add_f32_e32 v5, v5, v6
	v_add3_u32 v15, v15, v14, s29
	v_or_b32_e32 v16, 0x400000, v14
	v_cmp_u_f32_e32 vcc, v14, v14
	v_add_f32_e32 v0, v5, v0
	v_and_b32_e32 v5, 0xffff0000, v12
	v_and_b32_e32 v6, 0xffff0000, v8
	v_cndmask_b32_e32 v14, v15, v16, vcc
	v_add_f32_e32 v5, v5, v6
	v_add_f32_e32 v0, v5, v0
	v_and_b32_e32 v5, 0xffff0000, v14
	v_and_b32_e32 v6, 0xffff0000, v13
	v_add_f32_e32 v5, v5, v6
	v_add_f32_e32 v0, v5, v0
	s_waitcnt vmcnt(0)
	v_add_f32_e32 v41, v41, v0
	v_and_b32_e32 v0, 0xffff0000, v37
	v_mul_f32_e32 v0, v1, v0
	v_bfe_u32 v5, v0, 16, 1
	v_add3_u32 v5, v5, v0, s29
	v_or_b32_e32 v6, 0x400000, v0
	v_cmp_u_f32_e32 vcc, v0, v0
	v_cndmask_b32_e32 v0, v5, v6, vcc
	v_lshlrev_b32_e32 v5, 16, v37
	buffer_load_dword v37, off, s[52:55], 0 offset:140 ; 4-byte Folded Reload
	v_mul_f32_e32 v5, v2, v5
	v_bfe_u32 v6, v5, 16, 1
	v_add3_u32 v6, v6, v5, s29
	v_or_b32_e32 v7, 0x400000, v5
	v_cmp_u_f32_e32 vcc, v5, v5
	v_cndmask_b32_e32 v5, v6, v7, vcc
	v_and_b32_e32 v6, 0xffff0000, v38
	v_mul_f32_e32 v6, v3, v6
	v_bfe_u32 v7, v6, 16, 1
	v_add3_u32 v7, v7, v6, s29
	v_or_b32_e32 v8, 0x400000, v6
	v_cmp_u_f32_e32 vcc, v6, v6
	v_cndmask_b32_e32 v6, v7, v8, vcc
	v_lshlrev_b32_e32 v7, 16, v38
	v_mul_f32_e32 v7, v4, v7
	v_bfe_u32 v8, v7, 16, 1
	v_add3_u32 v8, v8, v7, s29
	v_or_b32_e32 v12, 0x400000, v7
	v_cmp_u_f32_e32 vcc, v7, v7
	v_cndmask_b32_e32 v7, v8, v12, vcc
	v_and_b32_e32 v8, 0xffff0000, v39
	v_mul_f32_e32 v8, v9, v8
	v_bfe_u32 v12, v8, 16, 1
	v_add3_u32 v12, v12, v8, s29
	v_or_b32_e32 v13, 0x400000, v8
	v_cmp_u_f32_e32 vcc, v8, v8
	v_cndmask_b32_e32 v8, v12, v13, vcc
	v_lshlrev_b32_e32 v12, 16, v39
	;; [unrolled: 14-line block ×3, first 2 shown]
	v_and_b32_e32 v5, 0xffff0000, v5
	v_and_b32_e32 v0, 0xffff0000, v0
	v_mul_f32_e32 v14, v57, v14
	v_add_f32_e32 v0, v5, v0
	v_and_b32_e32 v5, 0xffff0000, v7
	v_and_b32_e32 v6, 0xffff0000, v6
	v_bfe_u32 v15, v14, 16, 1
	v_add_f32_e32 v5, v5, v6
	v_add3_u32 v15, v15, v14, s29
	v_or_b32_e32 v16, 0x400000, v14
	v_cmp_u_f32_e32 vcc, v14, v14
	v_add_f32_e32 v0, v5, v0
	v_and_b32_e32 v5, 0xffff0000, v12
	v_and_b32_e32 v6, 0xffff0000, v8
	v_cndmask_b32_e32 v14, v15, v16, vcc
	v_add_f32_e32 v5, v5, v6
	v_add_f32_e32 v0, v5, v0
	v_and_b32_e32 v5, 0xffff0000, v14
	v_and_b32_e32 v6, 0xffff0000, v13
	v_add_f32_e32 v5, v5, v6
	v_add_f32_e32 v0, v5, v0
	s_waitcnt vmcnt(0)
	v_add_f32_e32 v37, v37, v0
	v_and_b32_e32 v0, 0xffff0000, v33
	v_mul_f32_e32 v0, v1, v0
	v_bfe_u32 v5, v0, 16, 1
	v_add3_u32 v5, v5, v0, s29
	v_or_b32_e32 v6, 0x400000, v0
	v_cmp_u_f32_e32 vcc, v0, v0
	v_cndmask_b32_e32 v0, v5, v6, vcc
	v_lshlrev_b32_e32 v5, 16, v33
	buffer_load_dword v33, off, s[52:55], 0 offset:144 ; 4-byte Folded Reload
	v_mul_f32_e32 v5, v2, v5
	v_bfe_u32 v6, v5, 16, 1
	v_add3_u32 v6, v6, v5, s29
	v_or_b32_e32 v7, 0x400000, v5
	v_cmp_u_f32_e32 vcc, v5, v5
	v_cndmask_b32_e32 v5, v6, v7, vcc
	v_and_b32_e32 v6, 0xffff0000, v34
	v_mul_f32_e32 v6, v3, v6
	v_bfe_u32 v7, v6, 16, 1
	v_add3_u32 v7, v7, v6, s29
	v_or_b32_e32 v8, 0x400000, v6
	v_cmp_u_f32_e32 vcc, v6, v6
	v_cndmask_b32_e32 v6, v7, v8, vcc
	v_lshlrev_b32_e32 v7, 16, v34
	v_mul_f32_e32 v7, v4, v7
	v_bfe_u32 v8, v7, 16, 1
	v_add3_u32 v8, v8, v7, s29
	v_or_b32_e32 v12, 0x400000, v7
	v_cmp_u_f32_e32 vcc, v7, v7
	v_cndmask_b32_e32 v7, v8, v12, vcc
	v_and_b32_e32 v8, 0xffff0000, v35
	v_mul_f32_e32 v8, v9, v8
	v_bfe_u32 v12, v8, 16, 1
	v_add3_u32 v12, v12, v8, s29
	v_or_b32_e32 v13, 0x400000, v8
	v_cmp_u_f32_e32 vcc, v8, v8
	v_cndmask_b32_e32 v8, v12, v13, vcc
	v_lshlrev_b32_e32 v12, 16, v35
	;; [unrolled: 14-line block ×3, first 2 shown]
	v_and_b32_e32 v5, 0xffff0000, v5
	v_and_b32_e32 v0, 0xffff0000, v0
	v_mul_f32_e32 v14, v57, v14
	v_add_f32_e32 v0, v5, v0
	v_and_b32_e32 v5, 0xffff0000, v7
	v_and_b32_e32 v6, 0xffff0000, v6
	v_bfe_u32 v15, v14, 16, 1
	v_add_f32_e32 v5, v5, v6
	v_add3_u32 v15, v15, v14, s29
	v_or_b32_e32 v16, 0x400000, v14
	v_cmp_u_f32_e32 vcc, v14, v14
	v_add_f32_e32 v0, v5, v0
	v_and_b32_e32 v5, 0xffff0000, v12
	v_and_b32_e32 v6, 0xffff0000, v8
	v_cndmask_b32_e32 v14, v15, v16, vcc
	v_add_f32_e32 v5, v5, v6
	v_add_f32_e32 v0, v5, v0
	v_and_b32_e32 v5, 0xffff0000, v14
	v_and_b32_e32 v6, 0xffff0000, v13
	v_add_f32_e32 v5, v5, v6
	v_add_f32_e32 v0, v5, v0
	s_waitcnt vmcnt(0)
	v_add_f32_e32 v33, v33, v0
	v_and_b32_e32 v0, 0xffff0000, v29
	v_mul_f32_e32 v0, v1, v0
	v_bfe_u32 v5, v0, 16, 1
	v_add3_u32 v5, v5, v0, s29
	v_or_b32_e32 v6, 0x400000, v0
	v_cmp_u_f32_e32 vcc, v0, v0
	v_cndmask_b32_e32 v0, v5, v6, vcc
	v_lshlrev_b32_e32 v5, 16, v29
	buffer_load_dword v29, off, s[52:55], 0 offset:148 ; 4-byte Folded Reload
	v_mul_f32_e32 v5, v2, v5
	v_bfe_u32 v6, v5, 16, 1
	v_add3_u32 v6, v6, v5, s29
	v_or_b32_e32 v7, 0x400000, v5
	v_cmp_u_f32_e32 vcc, v5, v5
	v_cndmask_b32_e32 v5, v6, v7, vcc
	v_and_b32_e32 v6, 0xffff0000, v30
	v_mul_f32_e32 v6, v3, v6
	v_bfe_u32 v7, v6, 16, 1
	v_add3_u32 v7, v7, v6, s29
	v_or_b32_e32 v8, 0x400000, v6
	v_cmp_u_f32_e32 vcc, v6, v6
	v_cndmask_b32_e32 v6, v7, v8, vcc
	v_lshlrev_b32_e32 v7, 16, v30
	v_mul_f32_e32 v7, v4, v7
	v_bfe_u32 v8, v7, 16, 1
	v_add3_u32 v8, v8, v7, s29
	v_or_b32_e32 v12, 0x400000, v7
	v_cmp_u_f32_e32 vcc, v7, v7
	v_cndmask_b32_e32 v7, v8, v12, vcc
	v_and_b32_e32 v8, 0xffff0000, v31
	v_mul_f32_e32 v8, v9, v8
	v_bfe_u32 v12, v8, 16, 1
	v_add3_u32 v12, v12, v8, s29
	v_or_b32_e32 v13, 0x400000, v8
	v_cmp_u_f32_e32 vcc, v8, v8
	v_cndmask_b32_e32 v8, v12, v13, vcc
	v_lshlrev_b32_e32 v12, 16, v31
	;; [unrolled: 14-line block ×3, first 2 shown]
	v_and_b32_e32 v5, 0xffff0000, v5
	v_and_b32_e32 v0, 0xffff0000, v0
	v_mul_f32_e32 v14, v57, v14
	v_add_f32_e32 v0, v5, v0
	v_and_b32_e32 v5, 0xffff0000, v7
	v_and_b32_e32 v6, 0xffff0000, v6
	v_bfe_u32 v15, v14, 16, 1
	v_add_f32_e32 v5, v5, v6
	v_add3_u32 v15, v15, v14, s29
	v_or_b32_e32 v16, 0x400000, v14
	v_cmp_u_f32_e32 vcc, v14, v14
	v_add_f32_e32 v0, v5, v0
	v_and_b32_e32 v5, 0xffff0000, v12
	v_and_b32_e32 v6, 0xffff0000, v8
	v_cndmask_b32_e32 v14, v15, v16, vcc
	v_add_f32_e32 v5, v5, v6
	v_add_f32_e32 v0, v5, v0
	v_and_b32_e32 v5, 0xffff0000, v14
	v_and_b32_e32 v6, 0xffff0000, v13
	v_add_f32_e32 v5, v5, v6
	v_add_f32_e32 v0, v5, v0
	s_waitcnt vmcnt(0)
	v_add_f32_e32 v29, v29, v0
	v_and_b32_e32 v0, 0xffff0000, v25
	v_mul_f32_e32 v0, v1, v0
	v_bfe_u32 v5, v0, 16, 1
	v_add3_u32 v5, v5, v0, s29
	v_or_b32_e32 v6, 0x400000, v0
	v_cmp_u_f32_e32 vcc, v0, v0
	v_cndmask_b32_e32 v0, v5, v6, vcc
	v_lshlrev_b32_e32 v5, 16, v25
	v_mul_f32_e32 v5, v2, v5
	v_bfe_u32 v6, v5, 16, 1
	v_add3_u32 v6, v6, v5, s29
	v_or_b32_e32 v7, 0x400000, v5
	v_cmp_u_f32_e32 vcc, v5, v5
	v_cndmask_b32_e32 v5, v6, v7, vcc
	v_and_b32_e32 v6, 0xffff0000, v26
	v_mul_f32_e32 v6, v3, v6
	v_bfe_u32 v7, v6, 16, 1
	v_add3_u32 v7, v7, v6, s29
	v_or_b32_e32 v8, 0x400000, v6
	v_cmp_u_f32_e32 vcc, v6, v6
	v_cndmask_b32_e32 v6, v7, v8, vcc
	v_lshlrev_b32_e32 v7, 16, v26
	v_mul_f32_e32 v7, v4, v7
	v_bfe_u32 v8, v7, 16, 1
	v_add3_u32 v8, v8, v7, s29
	v_or_b32_e32 v12, 0x400000, v7
	v_cmp_u_f32_e32 vcc, v7, v7
	v_cndmask_b32_e32 v7, v8, v12, vcc
	;; [unrolled: 14-line block ×3, first 2 shown]
	v_and_b32_e32 v13, 0xffff0000, v28
	v_mul_f32_e32 v13, v11, v13
	v_bfe_u32 v14, v13, 16, 1
	v_add3_u32 v14, v14, v13, s29
	v_or_b32_e32 v15, 0x400000, v13
	v_cmp_u_f32_e32 vcc, v13, v13
	v_cndmask_b32_e32 v13, v14, v15, vcc
	v_lshlrev_b32_e32 v14, 16, v28
	v_and_b32_e32 v5, 0xffff0000, v5
	v_and_b32_e32 v0, 0xffff0000, v0
	v_mul_f32_e32 v14, v57, v14
	v_add_f32_e32 v0, v5, v0
	v_and_b32_e32 v5, 0xffff0000, v7
	v_and_b32_e32 v6, 0xffff0000, v6
	v_bfe_u32 v15, v14, 16, 1
	v_add_f32_e32 v5, v5, v6
	buffer_load_dword v25, off, s[52:55], 0 offset:152 ; 4-byte Folded Reload
	v_add3_u32 v15, v15, v14, s29
	v_or_b32_e32 v16, 0x400000, v14
	v_cmp_u_f32_e32 vcc, v14, v14
	v_add_f32_e32 v0, v5, v0
	v_and_b32_e32 v5, 0xffff0000, v12
	v_and_b32_e32 v6, 0xffff0000, v8
	v_cndmask_b32_e32 v14, v15, v16, vcc
	v_add_f32_e32 v5, v5, v6
	v_add_f32_e32 v0, v5, v0
	v_and_b32_e32 v5, 0xffff0000, v14
	v_and_b32_e32 v6, 0xffff0000, v13
	buffer_load_dword v13, off, s[52:55], 0 offset:92 ; 4-byte Folded Reload
	buffer_load_dword v14, off, s[52:55], 0 offset:96 ; 4-byte Folded Reload
	;; [unrolled: 1-line block ×4, first 2 shown]
	v_add_f32_e32 v5, v5, v6
	v_add_f32_e32 v0, v5, v0
	buffer_load_dword v21, off, s[52:55], 0 offset:156 ; 4-byte Folded Reload
	s_waitcnt vmcnt(5)
	v_add_f32_e32 v25, v25, v0
	s_waitcnt vmcnt(4)
	v_and_b32_e32 v0, 0xffff0000, v13
	v_mul_f32_e32 v0, v1, v0
	v_bfe_u32 v5, v0, 16, 1
	v_add3_u32 v5, v5, v0, s29
	v_or_b32_e32 v6, 0x400000, v0
	v_cmp_u_f32_e32 vcc, v0, v0
	v_cndmask_b32_e32 v0, v5, v6, vcc
	v_lshlrev_b32_e32 v5, 16, v13
	v_mul_f32_e32 v5, v2, v5
	v_bfe_u32 v6, v5, 16, 1
	v_add3_u32 v6, v6, v5, s29
	v_or_b32_e32 v7, 0x400000, v5
	v_cmp_u_f32_e32 vcc, v5, v5
	v_cndmask_b32_e32 v5, v6, v7, vcc
	s_waitcnt vmcnt(3)
	v_and_b32_e32 v6, 0xffff0000, v14
	v_mul_f32_e32 v6, v3, v6
	v_bfe_u32 v7, v6, 16, 1
	v_add3_u32 v7, v7, v6, s29
	v_or_b32_e32 v8, 0x400000, v6
	v_cmp_u_f32_e32 vcc, v6, v6
	v_cndmask_b32_e32 v6, v7, v8, vcc
	v_lshlrev_b32_e32 v7, 16, v14
	v_mul_f32_e32 v7, v4, v7
	v_bfe_u32 v8, v7, 16, 1
	v_add3_u32 v8, v8, v7, s29
	v_or_b32_e32 v12, 0x400000, v7
	v_cmp_u_f32_e32 vcc, v7, v7
	v_cndmask_b32_e32 v7, v8, v12, vcc
	;; [unrolled: 15-line block ×3, first 2 shown]
	s_waitcnt vmcnt(1)
	v_and_b32_e32 v13, 0xffff0000, v16
	v_mul_f32_e32 v13, v11, v13
	v_bfe_u32 v14, v13, 16, 1
	v_add3_u32 v14, v14, v13, s29
	v_or_b32_e32 v15, 0x400000, v13
	v_cmp_u_f32_e32 vcc, v13, v13
	v_cndmask_b32_e32 v13, v14, v15, vcc
	v_lshlrev_b32_e32 v14, 16, v16
	v_and_b32_e32 v5, 0xffff0000, v5
	v_and_b32_e32 v0, 0xffff0000, v0
	v_mul_f32_e32 v14, v57, v14
	v_add_f32_e32 v0, v5, v0
	v_and_b32_e32 v5, 0xffff0000, v7
	v_and_b32_e32 v6, 0xffff0000, v6
	v_bfe_u32 v15, v14, 16, 1
	v_add_f32_e32 v5, v5, v6
	v_add3_u32 v15, v15, v14, s29
	v_or_b32_e32 v16, 0x400000, v14
	v_cmp_u_f32_e32 vcc, v14, v14
	v_add_f32_e32 v0, v5, v0
	v_and_b32_e32 v5, 0xffff0000, v12
	v_and_b32_e32 v6, 0xffff0000, v8
	v_cndmask_b32_e32 v14, v15, v16, vcc
	v_add_f32_e32 v5, v5, v6
	v_add_f32_e32 v0, v5, v0
	v_and_b32_e32 v5, 0xffff0000, v14
	v_and_b32_e32 v6, 0xffff0000, v13
	buffer_load_dword v13, off, s[52:55], 0 offset:60 ; 4-byte Folded Reload
	buffer_load_dword v14, off, s[52:55], 0 offset:64 ; 4-byte Folded Reload
	;; [unrolled: 1-line block ×4, first 2 shown]
	v_add_f32_e32 v5, v5, v6
	v_add_f32_e32 v0, v5, v0
	s_waitcnt vmcnt(4)
	v_add_f32_e32 v21, v21, v0
	buffer_load_dword v26, off, s[52:55], 0 offset:160 ; 4-byte Folded Reload
	s_waitcnt vmcnt(4)
	v_and_b32_e32 v0, 0xffff0000, v13
	v_mul_f32_e32 v0, v1, v0
	v_bfe_u32 v5, v0, 16, 1
	v_add3_u32 v5, v5, v0, s29
	v_or_b32_e32 v6, 0x400000, v0
	v_cmp_u_f32_e32 vcc, v0, v0
	v_cndmask_b32_e32 v0, v5, v6, vcc
	v_lshlrev_b32_e32 v5, 16, v13
	v_mul_f32_e32 v5, v2, v5
	v_bfe_u32 v6, v5, 16, 1
	v_add3_u32 v6, v6, v5, s29
	v_or_b32_e32 v7, 0x400000, v5
	v_cmp_u_f32_e32 vcc, v5, v5
	v_cndmask_b32_e32 v5, v6, v7, vcc
	s_waitcnt vmcnt(3)
	v_and_b32_e32 v6, 0xffff0000, v14
	v_mul_f32_e32 v6, v3, v6
	v_bfe_u32 v7, v6, 16, 1
	v_add3_u32 v7, v7, v6, s29
	v_or_b32_e32 v8, 0x400000, v6
	v_cmp_u_f32_e32 vcc, v6, v6
	v_cndmask_b32_e32 v6, v7, v8, vcc
	v_lshlrev_b32_e32 v7, 16, v14
	v_mul_f32_e32 v7, v4, v7
	v_bfe_u32 v8, v7, 16, 1
	v_add3_u32 v8, v8, v7, s29
	v_or_b32_e32 v12, 0x400000, v7
	v_cmp_u_f32_e32 vcc, v7, v7
	v_cndmask_b32_e32 v7, v8, v12, vcc
	s_waitcnt vmcnt(2)
	v_and_b32_e32 v8, 0xffff0000, v15
	v_mul_f32_e32 v8, v9, v8
	v_bfe_u32 v12, v8, 16, 1
	v_add3_u32 v12, v12, v8, s29
	v_or_b32_e32 v13, 0x400000, v8
	v_cmp_u_f32_e32 vcc, v8, v8
	v_cndmask_b32_e32 v8, v12, v13, vcc
	v_lshlrev_b32_e32 v12, 16, v15
	v_mul_f32_e32 v12, v10, v12
	v_bfe_u32 v13, v12, 16, 1
	v_add3_u32 v13, v13, v12, s29
	v_or_b32_e32 v14, 0x400000, v12
	v_cmp_u_f32_e32 vcc, v12, v12
	v_cndmask_b32_e32 v12, v13, v14, vcc
	s_waitcnt vmcnt(1)
	v_and_b32_e32 v13, 0xffff0000, v16
	v_mul_f32_e32 v13, v11, v13
	v_bfe_u32 v14, v13, 16, 1
	v_add3_u32 v14, v14, v13, s29
	v_or_b32_e32 v15, 0x400000, v13
	v_cmp_u_f32_e32 vcc, v13, v13
	v_cndmask_b32_e32 v13, v14, v15, vcc
	v_lshlrev_b32_e32 v14, 16, v16
	v_and_b32_e32 v5, 0xffff0000, v5
	v_and_b32_e32 v0, 0xffff0000, v0
	v_mul_f32_e32 v14, v57, v14
	v_add_f32_e32 v0, v5, v0
	v_and_b32_e32 v5, 0xffff0000, v7
	v_and_b32_e32 v6, 0xffff0000, v6
	v_bfe_u32 v15, v14, 16, 1
	v_add_f32_e32 v5, v5, v6
	v_add3_u32 v15, v15, v14, s29
	v_or_b32_e32 v16, 0x400000, v14
	v_cmp_u_f32_e32 vcc, v14, v14
	v_add_f32_e32 v0, v5, v0
	v_and_b32_e32 v5, 0xffff0000, v12
	v_and_b32_e32 v6, 0xffff0000, v8
	v_cndmask_b32_e32 v14, v15, v16, vcc
	v_add_f32_e32 v5, v5, v6
	v_add_f32_e32 v0, v5, v0
	v_and_b32_e32 v5, 0xffff0000, v14
	v_and_b32_e32 v6, 0xffff0000, v13
	buffer_load_dword v13, off, s[52:55], 0 offset:44 ; 4-byte Folded Reload
	buffer_load_dword v14, off, s[52:55], 0 offset:48 ; 4-byte Folded Reload
	;; [unrolled: 1-line block ×4, first 2 shown]
	v_add_f32_e32 v5, v5, v6
	v_add_f32_e32 v0, v5, v0
	s_waitcnt vmcnt(4)
	v_add_f32_e32 v26, v26, v0
	buffer_load_dword v27, off, s[52:55], 0 offset:164 ; 4-byte Folded Reload
	s_waitcnt vmcnt(4)
	v_and_b32_e32 v0, 0xffff0000, v13
	v_mul_f32_e32 v0, v1, v0
	v_bfe_u32 v5, v0, 16, 1
	v_add3_u32 v5, v5, v0, s29
	v_or_b32_e32 v6, 0x400000, v0
	v_cmp_u_f32_e32 vcc, v0, v0
	v_cndmask_b32_e32 v0, v5, v6, vcc
	v_lshlrev_b32_e32 v5, 16, v13
	v_mul_f32_e32 v5, v2, v5
	v_bfe_u32 v6, v5, 16, 1
	v_add3_u32 v6, v6, v5, s29
	v_or_b32_e32 v7, 0x400000, v5
	v_cmp_u_f32_e32 vcc, v5, v5
	v_cndmask_b32_e32 v5, v6, v7, vcc
	s_waitcnt vmcnt(3)
	v_and_b32_e32 v6, 0xffff0000, v14
	v_mul_f32_e32 v6, v3, v6
	v_bfe_u32 v7, v6, 16, 1
	v_add3_u32 v7, v7, v6, s29
	v_or_b32_e32 v8, 0x400000, v6
	v_cmp_u_f32_e32 vcc, v6, v6
	v_cndmask_b32_e32 v6, v7, v8, vcc
	v_lshlrev_b32_e32 v7, 16, v14
	v_mul_f32_e32 v7, v4, v7
	v_bfe_u32 v8, v7, 16, 1
	v_add3_u32 v8, v8, v7, s29
	v_or_b32_e32 v12, 0x400000, v7
	v_cmp_u_f32_e32 vcc, v7, v7
	v_cndmask_b32_e32 v7, v8, v12, vcc
	;; [unrolled: 15-line block ×3, first 2 shown]
	s_waitcnt vmcnt(1)
	v_and_b32_e32 v13, 0xffff0000, v16
	v_mul_f32_e32 v13, v11, v13
	v_bfe_u32 v14, v13, 16, 1
	v_add3_u32 v14, v14, v13, s29
	v_or_b32_e32 v15, 0x400000, v13
	v_cmp_u_f32_e32 vcc, v13, v13
	v_cndmask_b32_e32 v13, v14, v15, vcc
	v_lshlrev_b32_e32 v14, 16, v16
	v_and_b32_e32 v5, 0xffff0000, v5
	v_and_b32_e32 v0, 0xffff0000, v0
	v_mul_f32_e32 v14, v57, v14
	v_add_f32_e32 v0, v5, v0
	v_and_b32_e32 v5, 0xffff0000, v7
	v_and_b32_e32 v6, 0xffff0000, v6
	v_bfe_u32 v15, v14, 16, 1
	v_add_f32_e32 v5, v5, v6
	v_add3_u32 v15, v15, v14, s29
	v_or_b32_e32 v16, 0x400000, v14
	v_cmp_u_f32_e32 vcc, v14, v14
	v_add_f32_e32 v0, v5, v0
	v_and_b32_e32 v5, 0xffff0000, v12
	v_and_b32_e32 v6, 0xffff0000, v8
	v_cndmask_b32_e32 v14, v15, v16, vcc
	v_add_f32_e32 v5, v5, v6
	v_add_f32_e32 v0, v5, v0
	v_and_b32_e32 v5, 0xffff0000, v14
	v_and_b32_e32 v6, 0xffff0000, v13
	buffer_load_dword v13, off, s[52:55], 0 offset:28 ; 4-byte Folded Reload
	buffer_load_dword v14, off, s[52:55], 0 offset:32 ; 4-byte Folded Reload
	;; [unrolled: 1-line block ×4, first 2 shown]
	v_add_f32_e32 v5, v5, v6
	v_add_f32_e32 v0, v5, v0
	s_waitcnt vmcnt(4)
	v_add_f32_e32 v27, v27, v0
	buffer_load_dword v28, off, s[52:55], 0 offset:172 ; 4-byte Folded Reload
	s_waitcnt vmcnt(4)
	v_and_b32_e32 v0, 0xffff0000, v13
	v_mul_f32_e32 v0, v1, v0
	v_bfe_u32 v5, v0, 16, 1
	v_add3_u32 v5, v5, v0, s29
	v_or_b32_e32 v6, 0x400000, v0
	v_cmp_u_f32_e32 vcc, v0, v0
	v_cndmask_b32_e32 v0, v5, v6, vcc
	v_lshlrev_b32_e32 v5, 16, v13
	v_mul_f32_e32 v5, v2, v5
	v_bfe_u32 v6, v5, 16, 1
	v_add3_u32 v6, v6, v5, s29
	v_or_b32_e32 v7, 0x400000, v5
	v_cmp_u_f32_e32 vcc, v5, v5
	v_cndmask_b32_e32 v5, v6, v7, vcc
	s_waitcnt vmcnt(3)
	v_and_b32_e32 v6, 0xffff0000, v14
	v_mul_f32_e32 v6, v3, v6
	v_bfe_u32 v7, v6, 16, 1
	v_add3_u32 v7, v7, v6, s29
	v_or_b32_e32 v8, 0x400000, v6
	v_cmp_u_f32_e32 vcc, v6, v6
	v_cndmask_b32_e32 v6, v7, v8, vcc
	v_lshlrev_b32_e32 v7, 16, v14
	v_mul_f32_e32 v7, v4, v7
	v_bfe_u32 v8, v7, 16, 1
	v_add3_u32 v8, v8, v7, s29
	v_or_b32_e32 v12, 0x400000, v7
	v_cmp_u_f32_e32 vcc, v7, v7
	v_cndmask_b32_e32 v7, v8, v12, vcc
	;; [unrolled: 15-line block ×3, first 2 shown]
	s_waitcnt vmcnt(1)
	v_and_b32_e32 v13, 0xffff0000, v16
	v_mul_f32_e32 v13, v11, v13
	v_bfe_u32 v14, v13, 16, 1
	v_add3_u32 v14, v14, v13, s29
	v_or_b32_e32 v15, 0x400000, v13
	v_cmp_u_f32_e32 vcc, v13, v13
	v_cndmask_b32_e32 v13, v14, v15, vcc
	v_lshlrev_b32_e32 v14, 16, v16
	v_and_b32_e32 v5, 0xffff0000, v5
	v_and_b32_e32 v0, 0xffff0000, v0
	v_mul_f32_e32 v14, v57, v14
	v_add_f32_e32 v0, v5, v0
	v_and_b32_e32 v5, 0xffff0000, v7
	v_and_b32_e32 v6, 0xffff0000, v6
	v_bfe_u32 v15, v14, 16, 1
	v_add_f32_e32 v5, v5, v6
	v_add3_u32 v15, v15, v14, s29
	v_or_b32_e32 v16, 0x400000, v14
	v_cmp_u_f32_e32 vcc, v14, v14
	v_add_f32_e32 v0, v5, v0
	v_and_b32_e32 v5, 0xffff0000, v12
	v_and_b32_e32 v6, 0xffff0000, v8
	v_cndmask_b32_e32 v14, v15, v16, vcc
	v_add_f32_e32 v5, v5, v6
	v_add_f32_e32 v0, v5, v0
	v_and_b32_e32 v5, 0xffff0000, v14
	v_and_b32_e32 v6, 0xffff0000, v13
	buffer_load_dword v13, off, s[52:55], 0 offset:12 ; 4-byte Folded Reload
	buffer_load_dword v14, off, s[52:55], 0 offset:16 ; 4-byte Folded Reload
	;; [unrolled: 1-line block ×4, first 2 shown]
	v_add_f32_e32 v5, v5, v6
	v_add_f32_e32 v0, v5, v0
	s_waitcnt vmcnt(4)
	v_add_f32_e32 v28, v28, v0
	s_waitcnt vmcnt(3)
	v_and_b32_e32 v0, 0xffff0000, v13
	v_mul_f32_e32 v0, v1, v0
	v_bfe_u32 v5, v0, 16, 1
	v_add3_u32 v5, v5, v0, s29
	v_or_b32_e32 v6, 0x400000, v0
	v_cmp_u_f32_e32 vcc, v0, v0
	v_cndmask_b32_e32 v0, v5, v6, vcc
	v_lshlrev_b32_e32 v5, 16, v13
	v_mul_f32_e32 v5, v2, v5
	v_bfe_u32 v6, v5, 16, 1
	v_add3_u32 v6, v6, v5, s29
	v_or_b32_e32 v7, 0x400000, v5
	v_cmp_u_f32_e32 vcc, v5, v5
	v_cndmask_b32_e32 v5, v6, v7, vcc
	s_waitcnt vmcnt(2)
	v_and_b32_e32 v6, 0xffff0000, v14
	v_mul_f32_e32 v6, v3, v6
	v_bfe_u32 v7, v6, 16, 1
	v_add3_u32 v7, v7, v6, s29
	v_or_b32_e32 v8, 0x400000, v6
	v_cmp_u_f32_e32 vcc, v6, v6
	v_cndmask_b32_e32 v6, v7, v8, vcc
	v_lshlrev_b32_e32 v7, 16, v14
	v_mul_f32_e32 v7, v4, v7
	v_bfe_u32 v8, v7, 16, 1
	v_add3_u32 v8, v8, v7, s29
	v_or_b32_e32 v12, 0x400000, v7
	v_cmp_u_f32_e32 vcc, v7, v7
	v_cndmask_b32_e32 v7, v8, v12, vcc
	s_waitcnt vmcnt(1)
	v_and_b32_e32 v8, 0xffff0000, v15
	v_mul_f32_e32 v8, v9, v8
	v_bfe_u32 v12, v8, 16, 1
	v_add3_u32 v12, v12, v8, s29
	v_or_b32_e32 v13, 0x400000, v8
	v_cmp_u_f32_e32 vcc, v8, v8
	v_cndmask_b32_e32 v8, v12, v13, vcc
	v_lshlrev_b32_e32 v12, 16, v15
	v_mul_f32_e32 v12, v10, v12
	v_bfe_u32 v13, v12, 16, 1
	v_add3_u32 v13, v13, v12, s29
	v_or_b32_e32 v14, 0x400000, v12
	v_cmp_u_f32_e32 vcc, v12, v12
	v_cndmask_b32_e32 v12, v13, v14, vcc
	s_waitcnt vmcnt(0)
	v_and_b32_e32 v13, 0xffff0000, v16
	v_mul_f32_e32 v13, v11, v13
	v_bfe_u32 v14, v13, 16, 1
	v_add3_u32 v14, v14, v13, s29
	v_or_b32_e32 v15, 0x400000, v13
	v_cmp_u_f32_e32 vcc, v13, v13
	v_and_b32_e32 v5, 0xffff0000, v5
	v_and_b32_e32 v0, 0xffff0000, v0
	v_cndmask_b32_e32 v13, v14, v15, vcc
	v_lshlrev_b32_e32 v14, 16, v16
	v_add_f32_e32 v0, v5, v0
	v_and_b32_e32 v5, 0xffff0000, v7
	v_and_b32_e32 v6, 0xffff0000, v6
	v_mul_f32_e32 v14, v57, v14
	v_add_f32_e32 v5, v5, v6
	v_bfe_u32 v15, v14, 16, 1
	v_add_f32_e32 v0, v5, v0
	v_and_b32_e32 v5, 0xffff0000, v12
	buffer_load_dword v12, off, s[52:55], 0 offset:168 ; 4-byte Folded Reload
	v_add3_u32 v15, v15, v14, s29
	v_or_b32_e32 v16, 0x400000, v14
	v_cmp_u_f32_e32 vcc, v14, v14
	v_and_b32_e32 v6, 0xffff0000, v8
	v_cndmask_b32_e32 v14, v15, v16, vcc
	v_add_f32_e32 v5, v5, v6
	v_add_f32_e32 v0, v5, v0
	v_and_b32_e32 v5, 0xffff0000, v14
	v_and_b32_e32 v6, 0xffff0000, v13
	buffer_load_dword v13, off, s[52:55], 0 offset:76 ; 4-byte Folded Reload
	buffer_load_dword v14, off, s[52:55], 0 offset:80 ; 4-byte Folded Reload
	buffer_load_dword v15, off, s[52:55], 0 offset:84 ; 4-byte Folded Reload
	buffer_load_dword v16, off, s[52:55], 0 offset:88 ; 4-byte Folded Reload
	buffer_load_dword v24, off, s[52:55], 0 offset:112 ; 4-byte Folded Reload
	v_add_f32_e32 v5, v5, v6
	v_add_f32_e32 v0, v5, v0
	s_waitcnt vmcnt(5)
	v_add_f32_e32 v12, v12, v0
	s_waitcnt vmcnt(4)
	v_lshlrev_b32_e32 v0, 16, v13
	v_mul_f32_e32 v0, v2, v0
	v_bfe_u32 v2, v0, 16, 1
	v_add3_u32 v2, v2, v0, s29
	v_or_b32_e32 v5, 0x400000, v0
	v_cmp_u_f32_e32 vcc, v0, v0
	v_cndmask_b32_e32 v0, v2, v5, vcc
	v_and_b32_e32 v2, 0xffff0000, v13
	v_mul_f32_e32 v1, v1, v2
	v_bfe_u32 v2, v1, 16, 1
	v_add3_u32 v2, v2, v1, s29
	v_or_b32_e32 v5, 0x400000, v1
	v_cmp_u_f32_e32 vcc, v1, v1
	v_cndmask_b32_e32 v1, v2, v5, vcc
	s_waitcnt vmcnt(3)
	v_lshlrev_b32_e32 v2, 16, v14
	v_mul_f32_e32 v2, v4, v2
	v_bfe_u32 v4, v2, 16, 1
	v_add3_u32 v4, v4, v2, s29
	v_or_b32_e32 v5, 0x400000, v2
	v_cmp_u_f32_e32 vcc, v2, v2
	v_cndmask_b32_e32 v2, v4, v5, vcc
	v_and_b32_e32 v4, 0xffff0000, v14
	v_mul_f32_e32 v3, v3, v4
	v_bfe_u32 v4, v3, 16, 1
	v_add3_u32 v4, v4, v3, s29
	v_or_b32_e32 v5, 0x400000, v3
	v_cmp_u_f32_e32 vcc, v3, v3
	v_cndmask_b32_e32 v3, v4, v5, vcc
	;; [unrolled: 15-line block ×3, first 2 shown]
	s_waitcnt vmcnt(1)
	v_lshlrev_b32_e32 v6, 16, v16
	v_mul_f32_e32 v6, v57, v6
	v_bfe_u32 v7, v6, 16, 1
	v_add3_u32 v7, v7, v6, s29
	v_or_b32_e32 v8, 0x400000, v6
	v_cmp_u_f32_e32 vcc, v6, v6
	v_cndmask_b32_e32 v6, v7, v8, vcc
	v_and_b32_e32 v7, 0xffff0000, v16
	v_and_b32_e32 v1, 0xffff0000, v1
	;; [unrolled: 1-line block ×3, first 2 shown]
	v_mul_f32_e32 v7, v11, v7
	v_add_f32_e32 v0, v0, v1
	v_and_b32_e32 v1, 0xffff0000, v3
	v_and_b32_e32 v2, 0xffff0000, v2
	v_bfe_u32 v8, v7, 16, 1
	v_add_f32_e32 v1, v2, v1
	v_add3_u32 v8, v8, v7, s29
	v_or_b32_e32 v9, 0x400000, v7
	v_cmp_u_f32_e32 vcc, v7, v7
	v_add_f32_e32 v0, v1, v0
	v_and_b32_e32 v1, 0xffff0000, v5
	v_and_b32_e32 v2, 0xffff0000, v4
	v_cndmask_b32_e32 v7, v8, v9, vcc
	v_add_f32_e32 v1, v2, v1
	v_add_f32_e32 v0, v1, v0
	v_and_b32_e32 v1, 0xffff0000, v7
	v_and_b32_e32 v2, 0xffff0000, v6
	v_add_f32_e32 v1, v2, v1
	v_add_f32_e32 v0, v1, v0
	s_waitcnt vmcnt(0)
	v_add_f32_e32 v24, v24, v0
.LBB152_39:                             ;   in Loop: Header=BB152_40 Depth=1
	s_or_b64 exec, exec, s[12:13]
	buffer_load_dword v0, off, s[52:55], 0  ; 4-byte Folded Reload
	buffer_load_dword v3, off, s[52:55], 0 offset:4 ; 4-byte Folded Reload
	v_add_co_u32_e32 v61, vcc, 8, v61
	v_addc_co_u32_e32 v62, vcc, 0, v62, vcc
	s_waitcnt vmcnt(1)
	v_add_u32_e32 v0, 2, v0
	buffer_store_dword v0, off, s[52:55], 0 ; 4-byte Folded Spill
	v_cmp_le_i32_e32 vcc, s20, v0
	buffer_load_dword v0, off, s[52:55], 0 offset:8 ; 4-byte Folded Reload
	s_waitcnt vmcnt(2)
	v_add_u32_e32 v3, 64, v3
	s_or_b64 s[10:11], vcc, s[10:11]
	s_waitcnt vmcnt(0)
	v_add_u32_e32 v0, 0x100, v0
	buffer_store_dword v0, off, s[52:55], 0 offset:8 ; 4-byte Folded Spill
	s_andn2_b64 exec, exec, s[10:11]
	s_cbranch_execz .LBB152_73
.LBB152_40:                             ; =>This Inner Loop Header: Depth=1
	s_waitcnt vmcnt(3)
	v_mul_hi_u32 v0, v3, s44
	buffer_store_dword v3, off, s[52:55], 0 offset:4 ; 4-byte Folded Spill
	v_mul_lo_u32 v1, v0, s25
	v_add_u32_e32 v2, 1, v0
	v_sub_u32_e32 v1, v3, v1
	buffer_load_dword v3, off, s[52:55], 0 offset:108 ; 4-byte Folded Reload
	v_cmp_le_u32_e32 vcc, s25, v1
	v_cndmask_b32_e32 v0, v0, v2, vcc
	v_subrev_u32_e32 v2, s25, v1
	v_cndmask_b32_e32 v1, v1, v2, vcc
	v_add_u32_e32 v2, 1, v0
	v_cmp_le_u32_e32 vcc, s25, v1
	v_cndmask_b32_e32 v0, v0, v2, vcc
	v_xor_b32_e32 v0, s23, v0
	v_subrev_u32_e32 v0, s23, v0
	v_add_u32_e32 v1, s45, v0
	v_sub_u32_e32 v2, 0, v1
	v_max_i32_e32 v2, v1, v2
	v_ashrrev_i32_e32 v1, 31, v1
	v_cmp_lt_i32_e64 s[2:3], s21, v0
	s_waitcnt vmcnt(0)
	v_mul_hi_u32 v3, v2, v3
	v_mul_lo_u32 v3, v3, s22
	v_sub_u32_e32 v2, v2, v3
	v_subrev_u32_e32 v3, s22, v2
	v_cmp_le_u32_e32 vcc, s22, v2
	v_cndmask_b32_e32 v2, v2, v3, vcc
	v_subrev_u32_e32 v3, s22, v2
	v_cmp_le_u32_e32 vcc, s22, v2
	v_cndmask_b32_e32 v2, v2, v3, vcc
	v_xor_b32_e32 v2, v2, v1
	v_sub_u32_e32 v1, v2, v1
	v_cmp_eq_u32_e32 vcc, 0, v1
	s_or_b64 s[2:3], vcc, s[2:3]
	s_and_saveexec_b64 s[12:13], s[2:3]
	s_cbranch_execz .LBB152_39
; %bb.41:                               ;   in Loop: Header=BB152_40 Depth=1
	buffer_store_dword v28, off, s[52:55], 0 offset:172 ; 4-byte Folded Spill
	buffer_store_dword v12, off, s[52:55], 0 offset:168 ; 4-byte Folded Spill
	;; [unrolled: 1-line block ×16, first 2 shown]
	global_load_dword v0, v[61:62], off
	v_mov_b32_e32 v2, s19
	s_waitcnt vmcnt(0)
	v_mad_i64_i32 v[0:1], s[2:3], v0, s34, 0
	v_lshlrev_b64 v[0:1], 1, v[0:1]
	v_add_co_u32_e32 v23, vcc, s18, v0
	buffer_load_dword v0, off, s[52:55], 0 offset:184 ; 4-byte Folded Reload
	v_addc_co_u32_e32 v24, vcc, v2, v1, vcc
	s_waitcnt vmcnt(0)
	v_add_co_u32_e32 v9, vcc, v23, v0
	v_addc_co_u32_e32 v10, vcc, 0, v24, vcc
	global_load_dwordx4 v[0:3], v[9:10], off
	s_waitcnt vmcnt(0)
	buffer_store_dword v0, off, s[52:55], 0 offset:12 ; 4-byte Folded Spill
	s_nop 0
	buffer_store_dword v1, off, s[52:55], 0 offset:16 ; 4-byte Folded Spill
	buffer_store_dword v2, off, s[52:55], 0 offset:20 ; 4-byte Folded Spill
	;; [unrolled: 1-line block ×3, first 2 shown]
	buffer_load_dword v0, off, s[52:55], 0 offset:4 ; 4-byte Folded Reload
	s_nop 0
	buffer_load_dword v1, off, s[52:55], 0 offset:180 ; 4-byte Folded Reload
	s_waitcnt vmcnt(0)
	v_add_u32_e32 v13, v1, v0
	buffer_load_dword v0, off, s[52:55], 0 offset:8 ; 4-byte Folded Reload
	v_add_u32_e32 v18, 1, v13
	v_or_b32_e32 v16, 3, v13
	v_or_b32_e32 v17, 2, v13
	;; [unrolled: 1-line block ×5, first 2 shown]
	s_waitcnt vmcnt(0)
	ds_read2_b64 v[1:4], v0 offset1:1
	ds_read2_b64 v[57:60], v0 offset0:2 offset1:3
	buffer_load_dword v0, off, s[52:55], 0  ; 4-byte Folded Reload
	s_waitcnt vmcnt(0)
	v_cmp_eq_u32_e64 s[2:3], s36, v0
	v_or_b32_e32 v0, 6, v13
	s_and_saveexec_b64 s[16:17], s[2:3]
	s_cbranch_execz .LBB152_43
; %bb.42:                               ;   in Loop: Header=BB152_40 Depth=1
	buffer_load_dword v19, off, s[52:55], 0 offset:12 ; 4-byte Folded Reload
	buffer_load_dword v20, off, s[52:55], 0 offset:16 ; 4-byte Folded Reload
	buffer_load_dword v21, off, s[52:55], 0 offset:20 ; 4-byte Folded Reload
	buffer_load_dword v22, off, s[52:55], 0 offset:24 ; 4-byte Folded Reload
	v_cmp_gt_i32_e32 vcc, s35, v18
	v_mov_b32_e32 v7, 0
	v_cmp_gt_i32_e64 s[4:5], s33, v17
	s_waitcnt vmcnt(3)
	v_cndmask_b32_sdwa v5, v7, v19, vcc dst_sel:DWORD dst_unused:UNUSED_PAD src0_sel:DWORD src1_sel:WORD_1
	v_cmp_gt_i32_e32 vcc, s33, v13
	v_cndmask_b32_e32 v6, 0, v19, vcc
	v_cmp_gt_i32_e32 vcc, s35, v16
	v_perm_b32 v19, v5, v6, s28
	s_waitcnt vmcnt(2)
	v_cndmask_b32_e64 v5, 0, v20, s[4:5]
	v_cndmask_b32_sdwa v6, v7, v20, vcc dst_sel:DWORD dst_unused:UNUSED_PAD src0_sel:DWORD src1_sel:WORD_1
	v_cmp_gt_i32_e32 vcc, s35, v14
	v_cmp_gt_i32_e64 s[4:5], s33, v15
	v_perm_b32 v20, v6, v5, s28
	s_waitcnt vmcnt(1)
	v_cndmask_b32_e64 v5, 0, v21, s[4:5]
	v_cndmask_b32_sdwa v6, v7, v21, vcc dst_sel:DWORD dst_unused:UNUSED_PAD src0_sel:DWORD src1_sel:WORD_1
	v_cmp_gt_i32_e32 vcc, s35, v63
	v_cmp_gt_i32_e64 s[4:5], s33, v0
	v_perm_b32 v21, v6, v5, s28
	s_waitcnt vmcnt(0)
	v_cndmask_b32_e64 v5, 0, v22, s[4:5]
	v_cndmask_b32_sdwa v6, v7, v22, vcc dst_sel:DWORD dst_unused:UNUSED_PAD src0_sel:DWORD src1_sel:WORD_1
	v_perm_b32 v22, v6, v5, s28
	buffer_store_dword v19, off, s[52:55], 0 offset:12 ; 4-byte Folded Spill
	s_nop 0
	buffer_store_dword v20, off, s[52:55], 0 offset:16 ; 4-byte Folded Spill
	buffer_store_dword v21, off, s[52:55], 0 offset:20 ; 4-byte Folded Spill
	buffer_store_dword v22, off, s[52:55], 0 offset:24 ; 4-byte Folded Spill
.LBB152_43:                             ;   in Loop: Header=BB152_40 Depth=1
	s_or_b64 exec, exec, s[16:17]
	global_load_dwordx4 v[5:8], v[9:10], off offset:1024
	s_waitcnt vmcnt(0)
	buffer_store_dword v5, off, s[52:55], 0 offset:28 ; 4-byte Folded Spill
	s_nop 0
	buffer_store_dword v6, off, s[52:55], 0 offset:32 ; 4-byte Folded Spill
	buffer_store_dword v7, off, s[52:55], 0 offset:36 ; 4-byte Folded Spill
	buffer_store_dword v8, off, s[52:55], 0 offset:40 ; 4-byte Folded Spill
	s_and_saveexec_b64 s[16:17], s[2:3]
	s_cbranch_execz .LBB152_45
; %bb.44:                               ;   in Loop: Header=BB152_40 Depth=1
	buffer_load_dword v19, off, s[52:55], 0 offset:28 ; 4-byte Folded Reload
	buffer_load_dword v20, off, s[52:55], 0 offset:32 ; 4-byte Folded Reload
	buffer_load_dword v21, off, s[52:55], 0 offset:36 ; 4-byte Folded Reload
	buffer_load_dword v22, off, s[52:55], 0 offset:40 ; 4-byte Folded Reload
	v_cmp_gt_i32_e32 vcc, s35, v18
	v_mov_b32_e32 v7, 0
	v_cmp_gt_i32_e64 s[4:5], s33, v17
	s_waitcnt vmcnt(3)
	v_cndmask_b32_sdwa v5, v7, v19, vcc dst_sel:DWORD dst_unused:UNUSED_PAD src0_sel:DWORD src1_sel:WORD_1
	v_cmp_gt_i32_e32 vcc, s33, v13
	v_cndmask_b32_e32 v6, 0, v19, vcc
	v_cmp_gt_i32_e32 vcc, s35, v16
	v_perm_b32 v19, v5, v6, s28
	s_waitcnt vmcnt(2)
	v_cndmask_b32_e64 v5, 0, v20, s[4:5]
	v_cndmask_b32_sdwa v6, v7, v20, vcc dst_sel:DWORD dst_unused:UNUSED_PAD src0_sel:DWORD src1_sel:WORD_1
	v_cmp_gt_i32_e32 vcc, s35, v14
	v_cmp_gt_i32_e64 s[4:5], s33, v15
	v_perm_b32 v20, v6, v5, s28
	s_waitcnt vmcnt(1)
	v_cndmask_b32_e64 v5, 0, v21, s[4:5]
	v_cndmask_b32_sdwa v6, v7, v21, vcc dst_sel:DWORD dst_unused:UNUSED_PAD src0_sel:DWORD src1_sel:WORD_1
	v_cmp_gt_i32_e32 vcc, s35, v63
	v_cmp_gt_i32_e64 s[4:5], s33, v0
	v_perm_b32 v21, v6, v5, s28
	s_waitcnt vmcnt(0)
	v_cndmask_b32_e64 v5, 0, v22, s[4:5]
	v_cndmask_b32_sdwa v6, v7, v22, vcc dst_sel:DWORD dst_unused:UNUSED_PAD src0_sel:DWORD src1_sel:WORD_1
	v_perm_b32 v22, v6, v5, s28
	buffer_store_dword v19, off, s[52:55], 0 offset:28 ; 4-byte Folded Spill
	s_nop 0
	buffer_store_dword v20, off, s[52:55], 0 offset:32 ; 4-byte Folded Spill
	buffer_store_dword v21, off, s[52:55], 0 offset:36 ; 4-byte Folded Spill
	buffer_store_dword v22, off, s[52:55], 0 offset:40 ; 4-byte Folded Spill
.LBB152_45:                             ;   in Loop: Header=BB152_40 Depth=1
	s_or_b64 exec, exec, s[16:17]
	global_load_dwordx4 v[5:8], v[9:10], off offset:2048
	s_waitcnt vmcnt(0)
	buffer_store_dword v5, off, s[52:55], 0 offset:44 ; 4-byte Folded Spill
	s_nop 0
	buffer_store_dword v6, off, s[52:55], 0 offset:48 ; 4-byte Folded Spill
	buffer_store_dword v7, off, s[52:55], 0 offset:52 ; 4-byte Folded Spill
	buffer_store_dword v8, off, s[52:55], 0 offset:56 ; 4-byte Folded Spill
	;; [unrolled: 46-line block ×3, first 2 shown]
	s_and_saveexec_b64 s[16:17], s[2:3]
	s_cbranch_execz .LBB152_49
; %bb.48:                               ;   in Loop: Header=BB152_40 Depth=1
	buffer_load_dword v19, off, s[52:55], 0 offset:60 ; 4-byte Folded Reload
	buffer_load_dword v20, off, s[52:55], 0 offset:64 ; 4-byte Folded Reload
	;; [unrolled: 1-line block ×4, first 2 shown]
	v_cmp_gt_i32_e32 vcc, s35, v18
	v_mov_b32_e32 v7, 0
	v_cmp_gt_i32_e64 s[4:5], s33, v17
	s_waitcnt vmcnt(3)
	v_cndmask_b32_sdwa v5, v7, v19, vcc dst_sel:DWORD dst_unused:UNUSED_PAD src0_sel:DWORD src1_sel:WORD_1
	v_cmp_gt_i32_e32 vcc, s33, v13
	v_cndmask_b32_e32 v6, 0, v19, vcc
	v_cmp_gt_i32_e32 vcc, s35, v16
	v_perm_b32 v19, v5, v6, s28
	s_waitcnt vmcnt(2)
	v_cndmask_b32_e64 v5, 0, v20, s[4:5]
	v_cndmask_b32_sdwa v6, v7, v20, vcc dst_sel:DWORD dst_unused:UNUSED_PAD src0_sel:DWORD src1_sel:WORD_1
	v_cmp_gt_i32_e32 vcc, s35, v14
	v_cmp_gt_i32_e64 s[4:5], s33, v15
	v_perm_b32 v20, v6, v5, s28
	s_waitcnt vmcnt(1)
	v_cndmask_b32_e64 v5, 0, v21, s[4:5]
	v_cndmask_b32_sdwa v6, v7, v21, vcc dst_sel:DWORD dst_unused:UNUSED_PAD src0_sel:DWORD src1_sel:WORD_1
	v_cmp_gt_i32_e32 vcc, s35, v63
	v_cmp_gt_i32_e64 s[4:5], s33, v0
	v_perm_b32 v21, v6, v5, s28
	s_waitcnt vmcnt(0)
	v_cndmask_b32_e64 v5, 0, v22, s[4:5]
	v_cndmask_b32_sdwa v6, v7, v22, vcc dst_sel:DWORD dst_unused:UNUSED_PAD src0_sel:DWORD src1_sel:WORD_1
	v_perm_b32 v22, v6, v5, s28
	buffer_store_dword v19, off, s[52:55], 0 offset:60 ; 4-byte Folded Spill
	s_nop 0
	buffer_store_dword v20, off, s[52:55], 0 offset:64 ; 4-byte Folded Spill
	buffer_store_dword v21, off, s[52:55], 0 offset:68 ; 4-byte Folded Spill
	;; [unrolled: 1-line block ×3, first 2 shown]
.LBB152_49:                             ;   in Loop: Header=BB152_40 Depth=1
	s_or_b64 exec, exec, s[16:17]
	v_add_co_u32_e32 v5, vcc, 0x1000, v9
	v_addc_co_u32_e32 v6, vcc, 0, v10, vcc
	global_load_dwordx4 v[5:8], v[5:6], off
	s_waitcnt vmcnt(0)
	buffer_store_dword v5, off, s[52:55], 0 offset:92 ; 4-byte Folded Spill
	s_nop 0
	buffer_store_dword v6, off, s[52:55], 0 offset:96 ; 4-byte Folded Spill
	buffer_store_dword v7, off, s[52:55], 0 offset:100 ; 4-byte Folded Spill
	;; [unrolled: 1-line block ×3, first 2 shown]
	s_and_saveexec_b64 s[16:17], s[2:3]
	s_cbranch_execz .LBB152_51
; %bb.50:                               ;   in Loop: Header=BB152_40 Depth=1
	buffer_load_dword v19, off, s[52:55], 0 offset:92 ; 4-byte Folded Reload
	buffer_load_dword v20, off, s[52:55], 0 offset:96 ; 4-byte Folded Reload
	;; [unrolled: 1-line block ×4, first 2 shown]
	v_cmp_gt_i32_e32 vcc, s35, v18
	v_mov_b32_e32 v7, 0
	v_cmp_gt_i32_e64 s[4:5], s33, v17
	s_waitcnt vmcnt(3)
	v_cndmask_b32_sdwa v5, v7, v19, vcc dst_sel:DWORD dst_unused:UNUSED_PAD src0_sel:DWORD src1_sel:WORD_1
	v_cmp_gt_i32_e32 vcc, s33, v13
	v_cndmask_b32_e32 v6, 0, v19, vcc
	v_cmp_gt_i32_e32 vcc, s35, v16
	v_perm_b32 v19, v5, v6, s28
	s_waitcnt vmcnt(2)
	v_cndmask_b32_e64 v5, 0, v20, s[4:5]
	v_cndmask_b32_sdwa v6, v7, v20, vcc dst_sel:DWORD dst_unused:UNUSED_PAD src0_sel:DWORD src1_sel:WORD_1
	v_cmp_gt_i32_e32 vcc, s35, v14
	v_cmp_gt_i32_e64 s[4:5], s33, v15
	v_perm_b32 v20, v6, v5, s28
	s_waitcnt vmcnt(1)
	v_cndmask_b32_e64 v5, 0, v21, s[4:5]
	v_cndmask_b32_sdwa v6, v7, v21, vcc dst_sel:DWORD dst_unused:UNUSED_PAD src0_sel:DWORD src1_sel:WORD_1
	v_cmp_gt_i32_e32 vcc, s35, v63
	v_cmp_gt_i32_e64 s[4:5], s33, v0
	v_perm_b32 v21, v6, v5, s28
	s_waitcnt vmcnt(0)
	v_cndmask_b32_e64 v5, 0, v22, s[4:5]
	v_cndmask_b32_sdwa v6, v7, v22, vcc dst_sel:DWORD dst_unused:UNUSED_PAD src0_sel:DWORD src1_sel:WORD_1
	v_perm_b32 v22, v6, v5, s28
	buffer_store_dword v19, off, s[52:55], 0 offset:92 ; 4-byte Folded Spill
	s_nop 0
	buffer_store_dword v20, off, s[52:55], 0 offset:96 ; 4-byte Folded Spill
	buffer_store_dword v21, off, s[52:55], 0 offset:100 ; 4-byte Folded Spill
	;; [unrolled: 1-line block ×3, first 2 shown]
.LBB152_51:                             ;   in Loop: Header=BB152_40 Depth=1
	s_or_b64 exec, exec, s[16:17]
	v_add_co_u32_e32 v5, vcc, 0x1000, v9
	v_addc_co_u32_e32 v6, vcc, 0, v10, vcc
	global_load_dwordx4 v[25:28], v[5:6], off offset:1024
	s_and_saveexec_b64 s[16:17], s[2:3]
	s_cbranch_execz .LBB152_53
; %bb.52:                               ;   in Loop: Header=BB152_40 Depth=1
	v_cmp_gt_i32_e32 vcc, s35, v18
	v_mov_b32_e32 v7, 0
	s_waitcnt vmcnt(0)
	v_cndmask_b32_sdwa v5, v7, v25, vcc dst_sel:DWORD dst_unused:UNUSED_PAD src0_sel:DWORD src1_sel:WORD_1
	v_cmp_gt_i32_e32 vcc, s33, v13
	v_cndmask_b32_e32 v6, 0, v25, vcc
	v_cmp_gt_i32_e32 vcc, s35, v16
	v_cmp_gt_i32_e64 s[4:5], s33, v17
	v_perm_b32 v25, v5, v6, s28
	v_cndmask_b32_e64 v5, 0, v26, s[4:5]
	v_cndmask_b32_sdwa v6, v7, v26, vcc dst_sel:DWORD dst_unused:UNUSED_PAD src0_sel:DWORD src1_sel:WORD_1
	v_cmp_gt_i32_e32 vcc, s35, v14
	v_cmp_gt_i32_e64 s[4:5], s33, v15
	v_perm_b32 v26, v6, v5, s28
	v_cndmask_b32_e64 v5, 0, v27, s[4:5]
	v_cndmask_b32_sdwa v6, v7, v27, vcc dst_sel:DWORD dst_unused:UNUSED_PAD src0_sel:DWORD src1_sel:WORD_1
	v_cmp_gt_i32_e32 vcc, s35, v63
	v_cmp_gt_i32_e64 s[4:5], s33, v0
	v_perm_b32 v27, v6, v5, s28
	v_cndmask_b32_e64 v5, 0, v28, s[4:5]
	v_cndmask_b32_sdwa v6, v7, v28, vcc dst_sel:DWORD dst_unused:UNUSED_PAD src0_sel:DWORD src1_sel:WORD_1
	v_perm_b32 v28, v6, v5, s28
.LBB152_53:                             ;   in Loop: Header=BB152_40 Depth=1
	s_or_b64 exec, exec, s[16:17]
	v_add_co_u32_e32 v5, vcc, 0x1000, v9
	v_addc_co_u32_e32 v6, vcc, 0, v10, vcc
	global_load_dwordx4 v[29:32], v[5:6], off offset:2048
	s_and_saveexec_b64 s[16:17], s[2:3]
	s_cbranch_execz .LBB152_55
; %bb.54:                               ;   in Loop: Header=BB152_40 Depth=1
	v_cmp_gt_i32_e32 vcc, s35, v18
	v_mov_b32_e32 v7, 0
	s_waitcnt vmcnt(0)
	v_cndmask_b32_sdwa v5, v7, v29, vcc dst_sel:DWORD dst_unused:UNUSED_PAD src0_sel:DWORD src1_sel:WORD_1
	v_cmp_gt_i32_e32 vcc, s33, v13
	v_cndmask_b32_e32 v6, 0, v29, vcc
	v_cmp_gt_i32_e32 vcc, s35, v16
	v_cmp_gt_i32_e64 s[4:5], s33, v17
	v_perm_b32 v29, v5, v6, s28
	v_cndmask_b32_e64 v5, 0, v30, s[4:5]
	v_cndmask_b32_sdwa v6, v7, v30, vcc dst_sel:DWORD dst_unused:UNUSED_PAD src0_sel:DWORD src1_sel:WORD_1
	v_cmp_gt_i32_e32 vcc, s35, v14
	v_cmp_gt_i32_e64 s[4:5], s33, v15
	v_perm_b32 v30, v6, v5, s28
	v_cndmask_b32_e64 v5, 0, v31, s[4:5]
	v_cndmask_b32_sdwa v6, v7, v31, vcc dst_sel:DWORD dst_unused:UNUSED_PAD src0_sel:DWORD src1_sel:WORD_1
	v_cmp_gt_i32_e32 vcc, s35, v63
	v_cmp_gt_i32_e64 s[4:5], s33, v0
	v_perm_b32 v31, v6, v5, s28
	v_cndmask_b32_e64 v5, 0, v32, s[4:5]
	v_cndmask_b32_sdwa v6, v7, v32, vcc dst_sel:DWORD dst_unused:UNUSED_PAD src0_sel:DWORD src1_sel:WORD_1
	v_perm_b32 v32, v6, v5, s28
.LBB152_55:                             ;   in Loop: Header=BB152_40 Depth=1
	;; [unrolled: 30-line block ×3, first 2 shown]
	s_or_b64 exec, exec, s[16:17]
	v_add_co_u32_e32 v5, vcc, 0x2000, v9
	v_addc_co_u32_e32 v6, vcc, 0, v10, vcc
	global_load_dwordx4 v[37:40], v[5:6], off
	s_and_saveexec_b64 s[16:17], s[2:3]
	s_cbranch_execz .LBB152_59
; %bb.58:                               ;   in Loop: Header=BB152_40 Depth=1
	v_cmp_gt_i32_e32 vcc, s35, v18
	v_mov_b32_e32 v7, 0
	s_waitcnt vmcnt(0)
	v_cndmask_b32_sdwa v5, v7, v37, vcc dst_sel:DWORD dst_unused:UNUSED_PAD src0_sel:DWORD src1_sel:WORD_1
	v_cmp_gt_i32_e32 vcc, s33, v13
	v_cndmask_b32_e32 v6, 0, v37, vcc
	v_cmp_gt_i32_e32 vcc, s35, v16
	v_cmp_gt_i32_e64 s[4:5], s33, v17
	v_perm_b32 v37, v5, v6, s28
	v_cndmask_b32_e64 v5, 0, v38, s[4:5]
	v_cndmask_b32_sdwa v6, v7, v38, vcc dst_sel:DWORD dst_unused:UNUSED_PAD src0_sel:DWORD src1_sel:WORD_1
	v_cmp_gt_i32_e32 vcc, s35, v14
	v_cmp_gt_i32_e64 s[4:5], s33, v15
	v_perm_b32 v38, v6, v5, s28
	v_cndmask_b32_e64 v5, 0, v39, s[4:5]
	v_cndmask_b32_sdwa v6, v7, v39, vcc dst_sel:DWORD dst_unused:UNUSED_PAD src0_sel:DWORD src1_sel:WORD_1
	v_cmp_gt_i32_e32 vcc, s35, v63
	v_cmp_gt_i32_e64 s[4:5], s33, v0
	v_perm_b32 v39, v6, v5, s28
	v_cndmask_b32_e64 v5, 0, v40, s[4:5]
	v_cndmask_b32_sdwa v6, v7, v40, vcc dst_sel:DWORD dst_unused:UNUSED_PAD src0_sel:DWORD src1_sel:WORD_1
	v_perm_b32 v40, v6, v5, s28
.LBB152_59:                             ;   in Loop: Header=BB152_40 Depth=1
	s_or_b64 exec, exec, s[16:17]
	v_add_co_u32_e32 v5, vcc, 0x2000, v9
	v_addc_co_u32_e32 v6, vcc, 0, v10, vcc
	global_load_dwordx4 v[41:44], v[5:6], off offset:1024
	s_and_saveexec_b64 s[16:17], s[2:3]
	s_cbranch_execz .LBB152_61
; %bb.60:                               ;   in Loop: Header=BB152_40 Depth=1
	v_cmp_gt_i32_e32 vcc, s35, v18
	v_mov_b32_e32 v7, 0
	s_waitcnt vmcnt(0)
	v_cndmask_b32_sdwa v5, v7, v41, vcc dst_sel:DWORD dst_unused:UNUSED_PAD src0_sel:DWORD src1_sel:WORD_1
	v_cmp_gt_i32_e32 vcc, s33, v13
	v_cndmask_b32_e32 v6, 0, v41, vcc
	v_cmp_gt_i32_e32 vcc, s35, v16
	v_cmp_gt_i32_e64 s[4:5], s33, v17
	v_perm_b32 v41, v5, v6, s28
	v_cndmask_b32_e64 v5, 0, v42, s[4:5]
	v_cndmask_b32_sdwa v6, v7, v42, vcc dst_sel:DWORD dst_unused:UNUSED_PAD src0_sel:DWORD src1_sel:WORD_1
	v_cmp_gt_i32_e32 vcc, s35, v14
	v_cmp_gt_i32_e64 s[4:5], s33, v15
	v_perm_b32 v42, v6, v5, s28
	v_cndmask_b32_e64 v5, 0, v43, s[4:5]
	v_cndmask_b32_sdwa v6, v7, v43, vcc dst_sel:DWORD dst_unused:UNUSED_PAD src0_sel:DWORD src1_sel:WORD_1
	v_cmp_gt_i32_e32 vcc, s35, v63
	v_cmp_gt_i32_e64 s[4:5], s33, v0
	v_perm_b32 v43, v6, v5, s28
	v_cndmask_b32_e64 v5, 0, v44, s[4:5]
	v_cndmask_b32_sdwa v6, v7, v44, vcc dst_sel:DWORD dst_unused:UNUSED_PAD src0_sel:DWORD src1_sel:WORD_1
	v_perm_b32 v44, v6, v5, s28
.LBB152_61:                             ;   in Loop: Header=BB152_40 Depth=1
	s_or_b64 exec, exec, s[16:17]
	v_add_co_u32_e32 v5, vcc, 0x2000, v9
	v_addc_co_u32_e32 v6, vcc, 0, v10, vcc
	global_load_dwordx4 v[45:48], v[5:6], off offset:2048
	;; [unrolled: 30-line block ×3, first 2 shown]
	s_and_saveexec_b64 s[16:17], s[2:3]
	s_cbranch_execz .LBB152_65
; %bb.64:                               ;   in Loop: Header=BB152_40 Depth=1
	v_cmp_gt_i32_e32 vcc, s35, v18
	v_mov_b32_e32 v7, 0
	s_waitcnt vmcnt(0)
	v_cndmask_b32_sdwa v5, v7, v49, vcc dst_sel:DWORD dst_unused:UNUSED_PAD src0_sel:DWORD src1_sel:WORD_1
	v_cmp_gt_i32_e32 vcc, s33, v13
	v_cndmask_b32_e32 v6, 0, v49, vcc
	v_cmp_gt_i32_e32 vcc, s35, v16
	v_cmp_gt_i32_e64 s[4:5], s33, v17
	v_perm_b32 v49, v5, v6, s28
	v_cndmask_b32_e64 v5, 0, v50, s[4:5]
	v_cndmask_b32_sdwa v6, v7, v50, vcc dst_sel:DWORD dst_unused:UNUSED_PAD src0_sel:DWORD src1_sel:WORD_1
	v_cmp_gt_i32_e32 vcc, s35, v14
	v_cmp_gt_i32_e64 s[4:5], s33, v15
	v_perm_b32 v50, v6, v5, s28
	v_cndmask_b32_e64 v5, 0, v51, s[4:5]
	v_cndmask_b32_sdwa v6, v7, v51, vcc dst_sel:DWORD dst_unused:UNUSED_PAD src0_sel:DWORD src1_sel:WORD_1
	;; [unrolled: 5-line block ×3, first 2 shown]
	v_perm_b32 v52, v6, v5, s28
.LBB152_65:                             ;   in Loop: Header=BB152_40 Depth=1
	s_or_b64 exec, exec, s[16:17]
	v_add_co_u32_e32 v5, vcc, 0x3000, v9
	v_addc_co_u32_e32 v6, vcc, 0, v10, vcc
	global_load_dwordx4 v[53:56], v[5:6], off
	s_and_saveexec_b64 s[16:17], s[2:3]
	s_cbranch_execz .LBB152_67
; %bb.66:                               ;   in Loop: Header=BB152_40 Depth=1
	v_cmp_gt_i32_e32 vcc, s35, v18
	v_mov_b32_e32 v7, 0
	s_waitcnt vmcnt(0)
	v_cndmask_b32_sdwa v5, v7, v53, vcc dst_sel:DWORD dst_unused:UNUSED_PAD src0_sel:DWORD src1_sel:WORD_1
	v_cmp_gt_i32_e32 vcc, s33, v13
	v_cndmask_b32_e32 v6, 0, v53, vcc
	v_cmp_gt_i32_e32 vcc, s35, v16
	v_cmp_gt_i32_e64 s[4:5], s33, v17
	v_perm_b32 v53, v5, v6, s28
	v_cndmask_b32_e64 v5, 0, v54, s[4:5]
	v_cndmask_b32_sdwa v6, v7, v54, vcc dst_sel:DWORD dst_unused:UNUSED_PAD src0_sel:DWORD src1_sel:WORD_1
	v_cmp_gt_i32_e32 vcc, s35, v14
	v_cmp_gt_i32_e64 s[4:5], s33, v15
	v_perm_b32 v54, v6, v5, s28
	v_cndmask_b32_e64 v5, 0, v55, s[4:5]
	v_cndmask_b32_sdwa v6, v7, v55, vcc dst_sel:DWORD dst_unused:UNUSED_PAD src0_sel:DWORD src1_sel:WORD_1
	;; [unrolled: 5-line block ×3, first 2 shown]
	v_perm_b32 v56, v6, v5, s28
.LBB152_67:                             ;   in Loop: Header=BB152_40 Depth=1
	s_or_b64 exec, exec, s[16:17]
	v_add_co_u32_e32 v5, vcc, 0x3000, v9
	v_addc_co_u32_e32 v6, vcc, 0, v10, vcc
	global_load_dwordx4 v[5:8], v[5:6], off offset:1024
	s_and_saveexec_b64 s[16:17], s[2:3]
	s_cbranch_execz .LBB152_69
; %bb.68:                               ;   in Loop: Header=BB152_40 Depth=1
	v_cmp_gt_i32_e32 vcc, s35, v18
	v_mov_b32_e32 v12, 0
	s_waitcnt vmcnt(0)
	v_cndmask_b32_sdwa v11, v12, v5, vcc dst_sel:DWORD dst_unused:UNUSED_PAD src0_sel:DWORD src1_sel:WORD_1
	v_cmp_gt_i32_e32 vcc, s33, v13
	v_cndmask_b32_e32 v5, 0, v5, vcc
	v_cmp_gt_i32_e32 vcc, s35, v16
	v_cmp_gt_i32_e64 s[4:5], s33, v17
	v_perm_b32 v5, v11, v5, s28
	v_cndmask_b32_e64 v11, 0, v6, s[4:5]
	v_cndmask_b32_sdwa v6, v12, v6, vcc dst_sel:DWORD dst_unused:UNUSED_PAD src0_sel:DWORD src1_sel:WORD_1
	v_cmp_gt_i32_e32 vcc, s35, v14
	v_cmp_gt_i32_e64 s[4:5], s33, v15
	v_perm_b32 v6, v6, v11, s28
	v_cndmask_b32_e64 v11, 0, v7, s[4:5]
	v_cndmask_b32_sdwa v7, v12, v7, vcc dst_sel:DWORD dst_unused:UNUSED_PAD src0_sel:DWORD src1_sel:WORD_1
	;; [unrolled: 5-line block ×3, first 2 shown]
	v_perm_b32 v8, v8, v11, s28
.LBB152_69:                             ;   in Loop: Header=BB152_40 Depth=1
	s_or_b64 exec, exec, s[16:17]
	v_add_co_u32_e32 v9, vcc, 0x3000, v9
	v_addc_co_u32_e32 v10, vcc, 0, v10, vcc
	global_load_dwordx4 v[9:12], v[9:10], off offset:2048
	s_and_saveexec_b64 s[16:17], s[2:3]
	s_cbranch_execz .LBB152_71
; %bb.70:                               ;   in Loop: Header=BB152_40 Depth=1
	v_cmp_gt_i32_e32 vcc, s35, v18
	v_mov_b32_e32 v20, 0
	s_waitcnt vmcnt(0)
	v_cndmask_b32_sdwa v19, v20, v9, vcc dst_sel:DWORD dst_unused:UNUSED_PAD src0_sel:DWORD src1_sel:WORD_1
	v_cmp_gt_i32_e32 vcc, s33, v13
	v_cndmask_b32_e32 v9, 0, v9, vcc
	v_cmp_gt_i32_e32 vcc, s35, v16
	v_cmp_gt_i32_e64 s[4:5], s33, v17
	v_perm_b32 v9, v19, v9, s28
	v_cndmask_b32_e64 v19, 0, v10, s[4:5]
	v_cndmask_b32_sdwa v10, v20, v10, vcc dst_sel:DWORD dst_unused:UNUSED_PAD src0_sel:DWORD src1_sel:WORD_1
	v_cmp_gt_i32_e32 vcc, s35, v14
	v_cmp_gt_i32_e64 s[4:5], s33, v15
	v_perm_b32 v10, v10, v19, s28
	v_cndmask_b32_e64 v19, 0, v11, s[4:5]
	v_cndmask_b32_sdwa v11, v20, v11, vcc dst_sel:DWORD dst_unused:UNUSED_PAD src0_sel:DWORD src1_sel:WORD_1
	;; [unrolled: 5-line block ×3, first 2 shown]
	v_perm_b32 v12, v12, v19, s28
.LBB152_71:                             ;   in Loop: Header=BB152_40 Depth=1
	s_or_b64 exec, exec, s[16:17]
	buffer_load_dword v19, off, s[52:55], 0 offset:188 ; 4-byte Folded Reload
	s_waitcnt vmcnt(0)
	v_add_co_u32_e32 v19, vcc, v23, v19
	v_addc_co_u32_e32 v20, vcc, 0, v24, vcc
	global_load_dwordx4 v[19:22], v[19:20], off
	s_waitcnt vmcnt(0)
	buffer_store_dword v19, off, s[52:55], 0 offset:76 ; 4-byte Folded Spill
	s_nop 0
	buffer_store_dword v20, off, s[52:55], 0 offset:80 ; 4-byte Folded Spill
	buffer_store_dword v21, off, s[52:55], 0 offset:84 ; 4-byte Folded Spill
	buffer_store_dword v22, off, s[52:55], 0 offset:88 ; 4-byte Folded Spill
	s_and_saveexec_b64 s[4:5], s[2:3]
	s_cbranch_execz .LBB152_38
; %bb.72:                               ;   in Loop: Header=BB152_40 Depth=1
	buffer_load_dword v20, off, s[52:55], 0 offset:76 ; 4-byte Folded Reload
	buffer_load_dword v21, off, s[52:55], 0 offset:80 ; 4-byte Folded Reload
	buffer_load_dword v22, off, s[52:55], 0 offset:84 ; 4-byte Folded Reload
	buffer_load_dword v23, off, s[52:55], 0 offset:88 ; 4-byte Folded Reload
	v_cmp_gt_i32_e32 vcc, s35, v18
	v_mov_b32_e32 v19, 0
	v_cmp_gt_i32_e64 s[2:3], s33, v17
	s_waitcnt vmcnt(3)
	v_cndmask_b32_sdwa v18, v19, v20, vcc dst_sel:DWORD dst_unused:UNUSED_PAD src0_sel:DWORD src1_sel:WORD_1
	v_cmp_gt_i32_e32 vcc, s33, v13
	v_cndmask_b32_e32 v13, 0, v20, vcc
	v_cmp_gt_i32_e32 vcc, s35, v16
	v_perm_b32 v20, v18, v13, s28
	s_waitcnt vmcnt(2)
	v_cndmask_b32_e64 v13, 0, v21, s[2:3]
	v_cndmask_b32_sdwa v16, v19, v21, vcc dst_sel:DWORD dst_unused:UNUSED_PAD src0_sel:DWORD src1_sel:WORD_1
	v_cmp_gt_i32_e32 vcc, s35, v14
	v_cmp_gt_i32_e64 s[2:3], s33, v15
	v_perm_b32 v21, v16, v13, s28
	s_waitcnt vmcnt(1)
	v_cndmask_b32_e64 v13, 0, v22, s[2:3]
	v_cndmask_b32_sdwa v14, v19, v22, vcc dst_sel:DWORD dst_unused:UNUSED_PAD src0_sel:DWORD src1_sel:WORD_1
	v_cmp_gt_i32_e32 vcc, s35, v63
	v_cmp_gt_i32_e64 s[2:3], s33, v0
	v_perm_b32 v22, v14, v13, s28
	s_waitcnt vmcnt(0)
	v_cndmask_b32_e64 v0, 0, v23, s[2:3]
	v_cndmask_b32_sdwa v13, v19, v23, vcc dst_sel:DWORD dst_unused:UNUSED_PAD src0_sel:DWORD src1_sel:WORD_1
	v_perm_b32 v23, v13, v0, s28
	buffer_store_dword v20, off, s[52:55], 0 offset:76 ; 4-byte Folded Spill
	s_nop 0
	buffer_store_dword v21, off, s[52:55], 0 offset:80 ; 4-byte Folded Spill
	buffer_store_dword v22, off, s[52:55], 0 offset:84 ; 4-byte Folded Spill
	;; [unrolled: 1-line block ×3, first 2 shown]
	s_branch .LBB152_38
.LBB152_73:
	s_or_b64 exec, exec, s[10:11]
	buffer_load_dword v23, off, s[52:55], 0 offset:196 ; 4-byte Folded Reload
	buffer_load_dword v17, off, s[52:55], 0 offset:200 ; 4-byte Folded Reload
	;; [unrolled: 1-line block ×3, first 2 shown]
.LBB152_74:
	s_or_b64 exec, exec, s[6:7]
	s_waitcnt vmcnt(1)
	ds_bpermute_b32 v0, v17, v12
	ds_bpermute_b32 v1, v17, v28
	ds_bpermute_b32 v2, v17, v27
	ds_bpermute_b32 v5, v17, v26
	ds_bpermute_b32 v6, v17, v21
	s_waitcnt lgkmcnt(4)
	v_add_f32_e32 v0, v12, v0
	s_waitcnt vmcnt(0)
	ds_bpermute_b32 v3, v22, v0
	s_waitcnt lgkmcnt(4)
	v_add_f32_e32 v1, v28, v1
	s_waitcnt lgkmcnt(3)
	v_add_f32_e32 v2, v27, v2
	ds_bpermute_b32 v4, v22, v1
	ds_bpermute_b32 v16, v17, v49
	s_waitcnt lgkmcnt(2)
	v_add_f32_e32 v12, v0, v3
	ds_bpermute_b32 v0, v22, v2
	s_waitcnt lgkmcnt(0)
	v_add_f32_e32 v7, v1, v4
	v_add_f32_e32 v1, v26, v5
	;; [unrolled: 1-line block ×4, first 2 shown]
	ds_bpermute_b32 v0, v17, v25
	ds_bpermute_b32 v3, v22, v1
	;; [unrolled: 1-line block ×3, first 2 shown]
	s_waitcnt lgkmcnt(0)
	s_barrier
	v_add_f32_e32 v0, v25, v0
	v_add_f32_e32 v2, v1, v3
	ds_bpermute_b32 v3, v17, v29
	v_add_f32_e32 v1, v4, v5
	ds_bpermute_b32 v4, v17, v33
	ds_bpermute_b32 v5, v22, v0
	s_waitcnt lgkmcnt(2)
	v_add_f32_e32 v3, v29, v3
	ds_bpermute_b32 v6, v22, v3
	s_waitcnt lgkmcnt(2)
	v_add_f32_e32 v9, v33, v4
	s_waitcnt lgkmcnt(1)
	v_add_f32_e32 v10, v0, v5
	ds_bpermute_b32 v0, v17, v37
	ds_bpermute_b32 v11, v22, v9
	s_waitcnt lgkmcnt(2)
	v_add_f32_e32 v4, v3, v6
	ds_bpermute_b32 v5, v17, v41
	ds_bpermute_b32 v6, v17, v45
	s_waitcnt lgkmcnt(3)
	v_add_f32_e32 v0, v37, v0
	s_waitcnt lgkmcnt(2)
	v_add_f32_e32 v3, v9, v11
	ds_bpermute_b32 v9, v22, v0
	s_waitcnt lgkmcnt(2)
	v_add_f32_e32 v5, v41, v5
	s_waitcnt lgkmcnt(1)
	v_add_f32_e32 v14, v45, v6
	ds_bpermute_b32 v13, v22, v5
	ds_bpermute_b32 v15, v22, v14
	s_waitcnt lgkmcnt(2)
	v_add_f32_e32 v11, v0, v9
	ds_bpermute_b32 v0, v17, v19
	v_add_f32_e32 v9, v49, v16
	s_waitcnt lgkmcnt(2)
	v_add_f32_e32 v6, v5, v13
	s_waitcnt lgkmcnt(1)
	v_add_f32_e32 v5, v14, v15
	ds_bpermute_b32 v14, v17, v18
	s_waitcnt lgkmcnt(1)
	v_add_f32_e32 v0, v19, v0
	ds_bpermute_b32 v16, v22, v0
	ds_bpermute_b32 v15, v17, v20
	;; [unrolled: 1-line block ×3, first 2 shown]
	s_waitcnt lgkmcnt(3)
	v_add_f32_e32 v18, v18, v14
	ds_bpermute_b32 v13, v22, v9
	s_waitcnt lgkmcnt(3)
	v_add_f32_e32 v14, v0, v16
	buffer_load_dword v16, off, s[52:55], 0 offset:176 ; 4-byte Folded Reload
	s_waitcnt lgkmcnt(2)
	v_add_f32_e32 v20, v20, v15
	s_waitcnt lgkmcnt(1)
	v_add_f32_e32 v17, v24, v17
	ds_bpermute_b32 v19, v22, v18
	ds_bpermute_b32 v21, v22, v20
	;; [unrolled: 1-line block ×3, first 2 shown]
	s_waitcnt lgkmcnt(3)
	v_add_f32_e32 v15, v9, v13
	s_waitcnt lgkmcnt(2)
	v_add_f32_e32 v13, v18, v19
	;; [unrolled: 2-line block ×4, first 2 shown]
	s_waitcnt vmcnt(0)
	v_and_b32_e32 v17, 0x3c3, v16
	v_cmp_eq_u32_e32 vcc, 64, v17
	s_and_saveexec_b64 s[2:3], vcc
	s_cbranch_execz .LBB152_76
; %bb.75:
	v_add_u32_e32 v16, 0x210, v23
	ds_write2_b32 v16, v12, v7 offset1:16
	ds_write2_b32 v16, v8, v2 offset0:32 offset1:48
	ds_write2_b32 v16, v1, v10 offset0:64 offset1:80
	ds_write2_b32 v16, v4, v3 offset0:96 offset1:112
	ds_write2_b32 v16, v11, v6 offset0:128 offset1:144
	ds_write2_b32 v16, v5, v15 offset0:160 offset1:176
	ds_write2_b32 v16, v14, v13 offset0:192 offset1:208
	ds_write2_b32 v16, v9, v0 offset0:224 offset1:240
.LBB152_76:
	s_or_b64 exec, exec, s[2:3]
	buffer_load_dword v16, off, s[52:55], 0 offset:176 ; 4-byte Folded Reload
	s_waitcnt vmcnt(0) lgkmcnt(0)
	s_barrier
	v_lshrrev_b32_e32 v16, 2, v16
	s_and_saveexec_b64 s[2:3], s[0:1]
	s_cbranch_execz .LBB152_95
; %bb.77:
	buffer_load_dword v18, off, s[52:55], 0 offset:192 ; 4-byte Folded Reload
	s_waitcnt vmcnt(0)
	v_cmp_eq_u32_e32 vcc, 0, v18
	v_mov_b32_e32 v18, 0x210
	v_lshl_add_u32 v18, v16, 2, v18
	s_and_saveexec_b64 s[0:1], vcc
	s_cbranch_execnz .LBB152_98
; %bb.78:
	s_or_b64 exec, exec, s[0:1]
	s_and_saveexec_b64 s[0:1], vcc
	s_cbranch_execnz .LBB152_99
.LBB152_79:
	s_or_b64 exec, exec, s[0:1]
	s_and_saveexec_b64 s[0:1], vcc
	s_cbranch_execnz .LBB152_100
.LBB152_80:
	s_or_b64 exec, exec, s[0:1]
	s_and_saveexec_b64 s[0:1], vcc
	s_cbranch_execnz .LBB152_101
.LBB152_81:
	s_or_b64 exec, exec, s[0:1]
	s_and_saveexec_b64 s[0:1], vcc
	s_cbranch_execnz .LBB152_102
.LBB152_82:
	s_or_b64 exec, exec, s[0:1]
	s_and_saveexec_b64 s[0:1], vcc
	s_cbranch_execnz .LBB152_103
.LBB152_83:
	s_or_b64 exec, exec, s[0:1]
	s_and_saveexec_b64 s[0:1], vcc
	s_cbranch_execnz .LBB152_104
.LBB152_84:
	s_or_b64 exec, exec, s[0:1]
	s_and_saveexec_b64 s[0:1], vcc
	s_cbranch_execnz .LBB152_105
.LBB152_85:
	s_or_b64 exec, exec, s[0:1]
	s_and_saveexec_b64 s[0:1], vcc
	s_cbranch_execnz .LBB152_106
.LBB152_86:
	s_or_b64 exec, exec, s[0:1]
	s_and_saveexec_b64 s[0:1], vcc
	s_cbranch_execnz .LBB152_107
.LBB152_87:
	s_or_b64 exec, exec, s[0:1]
	s_and_saveexec_b64 s[0:1], vcc
	s_cbranch_execnz .LBB152_108
.LBB152_88:
	s_or_b64 exec, exec, s[0:1]
	s_and_saveexec_b64 s[0:1], vcc
	s_cbranch_execnz .LBB152_109
.LBB152_89:
	s_or_b64 exec, exec, s[0:1]
	s_and_saveexec_b64 s[0:1], vcc
	s_cbranch_execnz .LBB152_110
.LBB152_90:
	s_or_b64 exec, exec, s[0:1]
	s_and_saveexec_b64 s[0:1], vcc
	s_cbranch_execnz .LBB152_111
.LBB152_91:
	s_or_b64 exec, exec, s[0:1]
	s_and_saveexec_b64 s[0:1], vcc
	s_cbranch_execnz .LBB152_112
.LBB152_92:
	s_or_b64 exec, exec, s[0:1]
	s_and_saveexec_b64 s[0:1], vcc
	s_cbranch_execz .LBB152_94
.LBB152_93:
	ds_read_b32 v18, v18 offset:960
	s_waitcnt lgkmcnt(0)
	v_add_f32_e32 v0, v0, v18
.LBB152_94:
	s_or_b64 exec, exec, s[0:1]
.LBB152_95:
	s_or_b64 exec, exec, s[2:3]
	v_cmp_eq_u32_e32 vcc, 0, v17
	s_barrier
	s_and_saveexec_b64 s[0:1], vcc
	s_cbranch_execz .LBB152_97
; %bb.96:
	s_mul_i32 s0, s14, s15
	s_mul_i32 s0, s0, s9
	s_lshl_b32 s0, s0, 8
	s_ashr_i32 s1, s0, 31
	s_lshl_b64 s[0:1], s[0:1], 1
	s_add_u32 s2, s26, s0
	s_mul_i32 s0, s15, s24
	s_addc_u32 s3, s27, s1
	s_ashr_i32 s1, s0, 31
	s_lshl_b64 s[0:1], s[0:1], 1
	s_add_u32 s2, s2, s0
	s_addc_u32 s3, s3, s1
	s_lshl_b32 s0, s8, 8
	s_ashr_i32 s1, s0, 31
	s_lshl_b64 s[0:1], s[0:1], 1
	s_add_u32 s0, s2, s0
	v_bfe_u32 v17, v12, 16, 1
	s_movk_i32 s2, 0x7fff
	v_add3_u32 v17, v17, v12, s2
	v_or_b32_e32 v18, 0x400000, v12
	v_cmp_u_f32_e32 vcc, v12, v12
	s_addc_u32 s1, s3, s1
	v_lshlrev_b32_e32 v16, 1, v16
	v_cndmask_b32_e32 v12, v17, v18, vcc
	global_store_short_d16_hi v16, v12, s[0:1]
	v_bfe_u32 v12, v7, 16, 1
	v_add3_u32 v12, v12, v7, s2
	v_or_b32_e32 v17, 0x400000, v7
	v_cmp_u_f32_e32 vcc, v7, v7
	v_cndmask_b32_e32 v7, v12, v17, vcc
	global_store_short_d16_hi v16, v7, s[0:1] offset:32
	v_bfe_u32 v7, v8, 16, 1
	v_add3_u32 v7, v7, v8, s2
	v_or_b32_e32 v12, 0x400000, v8
	v_cmp_u_f32_e32 vcc, v8, v8
	v_cndmask_b32_e32 v7, v7, v12, vcc
	global_store_short_d16_hi v16, v7, s[0:1] offset:64
	;; [unrolled: 6-line block ×15, first 2 shown]
.LBB152_97:
	s_endpgm
.LBB152_98:
	ds_read_b32 v19, v18
	s_waitcnt lgkmcnt(0)
	v_add_f32_e32 v12, v12, v19
	s_or_b64 exec, exec, s[0:1]
	s_and_saveexec_b64 s[0:1], vcc
	s_cbranch_execz .LBB152_79
.LBB152_99:
	ds_read_b32 v19, v18 offset:64
	s_waitcnt lgkmcnt(0)
	v_add_f32_e32 v7, v7, v19
	s_or_b64 exec, exec, s[0:1]
	s_and_saveexec_b64 s[0:1], vcc
	s_cbranch_execz .LBB152_80
.LBB152_100:
	ds_read_b32 v19, v18 offset:128
	s_waitcnt lgkmcnt(0)
	v_add_f32_e32 v8, v8, v19
	s_or_b64 exec, exec, s[0:1]
	s_and_saveexec_b64 s[0:1], vcc
	s_cbranch_execz .LBB152_81
.LBB152_101:
	ds_read_b32 v19, v18 offset:192
	s_waitcnt lgkmcnt(0)
	v_add_f32_e32 v2, v2, v19
	s_or_b64 exec, exec, s[0:1]
	s_and_saveexec_b64 s[0:1], vcc
	s_cbranch_execz .LBB152_82
.LBB152_102:
	ds_read_b32 v19, v18 offset:256
	s_waitcnt lgkmcnt(0)
	v_add_f32_e32 v1, v1, v19
	s_or_b64 exec, exec, s[0:1]
	s_and_saveexec_b64 s[0:1], vcc
	s_cbranch_execz .LBB152_83
.LBB152_103:
	ds_read_b32 v19, v18 offset:320
	s_waitcnt lgkmcnt(0)
	v_add_f32_e32 v10, v10, v19
	s_or_b64 exec, exec, s[0:1]
	s_and_saveexec_b64 s[0:1], vcc
	s_cbranch_execz .LBB152_84
.LBB152_104:
	ds_read_b32 v19, v18 offset:384
	s_waitcnt lgkmcnt(0)
	v_add_f32_e32 v4, v4, v19
	s_or_b64 exec, exec, s[0:1]
	s_and_saveexec_b64 s[0:1], vcc
	s_cbranch_execz .LBB152_85
.LBB152_105:
	ds_read_b32 v19, v18 offset:448
	s_waitcnt lgkmcnt(0)
	v_add_f32_e32 v3, v3, v19
	s_or_b64 exec, exec, s[0:1]
	s_and_saveexec_b64 s[0:1], vcc
	s_cbranch_execz .LBB152_86
.LBB152_106:
	ds_read_b32 v19, v18 offset:512
	s_waitcnt lgkmcnt(0)
	v_add_f32_e32 v11, v11, v19
	s_or_b64 exec, exec, s[0:1]
	s_and_saveexec_b64 s[0:1], vcc
	s_cbranch_execz .LBB152_87
.LBB152_107:
	ds_read_b32 v19, v18 offset:576
	s_waitcnt lgkmcnt(0)
	v_add_f32_e32 v6, v6, v19
	s_or_b64 exec, exec, s[0:1]
	s_and_saveexec_b64 s[0:1], vcc
	s_cbranch_execz .LBB152_88
.LBB152_108:
	ds_read_b32 v19, v18 offset:640
	s_waitcnt lgkmcnt(0)
	v_add_f32_e32 v5, v5, v19
	s_or_b64 exec, exec, s[0:1]
	s_and_saveexec_b64 s[0:1], vcc
	s_cbranch_execz .LBB152_89
.LBB152_109:
	ds_read_b32 v19, v18 offset:704
	s_waitcnt lgkmcnt(0)
	v_add_f32_e32 v15, v15, v19
	s_or_b64 exec, exec, s[0:1]
	s_and_saveexec_b64 s[0:1], vcc
	s_cbranch_execz .LBB152_90
.LBB152_110:
	ds_read_b32 v19, v18 offset:768
	s_waitcnt lgkmcnt(0)
	v_add_f32_e32 v14, v14, v19
	s_or_b64 exec, exec, s[0:1]
	s_and_saveexec_b64 s[0:1], vcc
	s_cbranch_execz .LBB152_91
.LBB152_111:
	ds_read_b32 v19, v18 offset:832
	s_waitcnt lgkmcnt(0)
	v_add_f32_e32 v13, v13, v19
	s_or_b64 exec, exec, s[0:1]
	s_and_saveexec_b64 s[0:1], vcc
	s_cbranch_execz .LBB152_92
.LBB152_112:
	ds_read_b32 v19, v18 offset:896
	s_waitcnt lgkmcnt(0)
	v_add_f32_e32 v9, v9, v19
	s_or_b64 exec, exec, s[0:1]
	s_and_saveexec_b64 s[0:1], vcc
	s_cbranch_execnz .LBB152_93
	s_branch .LBB152_94
	.section	.rodata,"a",@progbits
	.p2align	6, 0x0
	.amdhsa_kernel _ZN4vllm25paged_attention_v1_kernelI14__hip_bfloat16S1_Li256ELi32ELi128ELNS_18Fp8KVCacheDataTypeE0ELb1EEEvPT_PKS3_PKT0_S9_ifPKiSB_iPKfiiiSD_SD_iiiii
		.amdhsa_group_segment_fixed_size 528
		.amdhsa_private_segment_fixed_size 212
		.amdhsa_kernarg_size 384
		.amdhsa_user_sgpr_count 6
		.amdhsa_user_sgpr_private_segment_buffer 1
		.amdhsa_user_sgpr_dispatch_ptr 0
		.amdhsa_user_sgpr_queue_ptr 0
		.amdhsa_user_sgpr_kernarg_segment_ptr 1
		.amdhsa_user_sgpr_dispatch_id 0
		.amdhsa_user_sgpr_flat_scratch_init 0
		.amdhsa_user_sgpr_private_segment_size 0
		.amdhsa_uses_dynamic_stack 0
		.amdhsa_system_sgpr_private_segment_wavefront_offset 1
		.amdhsa_system_sgpr_workgroup_id_x 1
		.amdhsa_system_sgpr_workgroup_id_y 1
		.amdhsa_system_sgpr_workgroup_id_z 1
		.amdhsa_system_sgpr_workgroup_info 0
		.amdhsa_system_vgpr_workitem_id 0
		.amdhsa_next_free_vgpr 64
		.amdhsa_next_free_sgpr 56
		.amdhsa_reserve_vcc 1
		.amdhsa_reserve_flat_scratch 0
		.amdhsa_float_round_mode_32 0
		.amdhsa_float_round_mode_16_64 0
		.amdhsa_float_denorm_mode_32 3
		.amdhsa_float_denorm_mode_16_64 3
		.amdhsa_dx10_clamp 1
		.amdhsa_ieee_mode 1
		.amdhsa_fp16_overflow 0
		.amdhsa_exception_fp_ieee_invalid_op 0
		.amdhsa_exception_fp_denorm_src 0
		.amdhsa_exception_fp_ieee_div_zero 0
		.amdhsa_exception_fp_ieee_overflow 0
		.amdhsa_exception_fp_ieee_underflow 0
		.amdhsa_exception_fp_ieee_inexact 0
		.amdhsa_exception_int_div_zero 0
	.end_amdhsa_kernel
	.section	.text._ZN4vllm25paged_attention_v1_kernelI14__hip_bfloat16S1_Li256ELi32ELi128ELNS_18Fp8KVCacheDataTypeE0ELb1EEEvPT_PKS3_PKT0_S9_ifPKiSB_iPKfiiiSD_SD_iiiii,"axG",@progbits,_ZN4vllm25paged_attention_v1_kernelI14__hip_bfloat16S1_Li256ELi32ELi128ELNS_18Fp8KVCacheDataTypeE0ELb1EEEvPT_PKS3_PKT0_S9_ifPKiSB_iPKfiiiSD_SD_iiiii,comdat
.Lfunc_end152:
	.size	_ZN4vllm25paged_attention_v1_kernelI14__hip_bfloat16S1_Li256ELi32ELi128ELNS_18Fp8KVCacheDataTypeE0ELb1EEEvPT_PKS3_PKT0_S9_ifPKiSB_iPKfiiiSD_SD_iiiii, .Lfunc_end152-_ZN4vllm25paged_attention_v1_kernelI14__hip_bfloat16S1_Li256ELi32ELi128ELNS_18Fp8KVCacheDataTypeE0ELb1EEEvPT_PKS3_PKT0_S9_ifPKiSB_iPKfiiiSD_SD_iiiii
                                        ; -- End function
	.set _ZN4vllm25paged_attention_v1_kernelI14__hip_bfloat16S1_Li256ELi32ELi128ELNS_18Fp8KVCacheDataTypeE0ELb1EEEvPT_PKS3_PKT0_S9_ifPKiSB_iPKfiiiSD_SD_iiiii.num_vgpr, 64
	.set _ZN4vllm25paged_attention_v1_kernelI14__hip_bfloat16S1_Li256ELi32ELi128ELNS_18Fp8KVCacheDataTypeE0ELb1EEEvPT_PKS3_PKT0_S9_ifPKiSB_iPKfiiiSD_SD_iiiii.num_agpr, 0
	.set _ZN4vllm25paged_attention_v1_kernelI14__hip_bfloat16S1_Li256ELi32ELi128ELNS_18Fp8KVCacheDataTypeE0ELb1EEEvPT_PKS3_PKT0_S9_ifPKiSB_iPKfiiiSD_SD_iiiii.numbered_sgpr, 56
	.set _ZN4vllm25paged_attention_v1_kernelI14__hip_bfloat16S1_Li256ELi32ELi128ELNS_18Fp8KVCacheDataTypeE0ELb1EEEvPT_PKS3_PKT0_S9_ifPKiSB_iPKfiiiSD_SD_iiiii.num_named_barrier, 0
	.set _ZN4vllm25paged_attention_v1_kernelI14__hip_bfloat16S1_Li256ELi32ELi128ELNS_18Fp8KVCacheDataTypeE0ELb1EEEvPT_PKS3_PKT0_S9_ifPKiSB_iPKfiiiSD_SD_iiiii.private_seg_size, 212
	.set _ZN4vllm25paged_attention_v1_kernelI14__hip_bfloat16S1_Li256ELi32ELi128ELNS_18Fp8KVCacheDataTypeE0ELb1EEEvPT_PKS3_PKT0_S9_ifPKiSB_iPKfiiiSD_SD_iiiii.uses_vcc, 1
	.set _ZN4vllm25paged_attention_v1_kernelI14__hip_bfloat16S1_Li256ELi32ELi128ELNS_18Fp8KVCacheDataTypeE0ELb1EEEvPT_PKS3_PKT0_S9_ifPKiSB_iPKfiiiSD_SD_iiiii.uses_flat_scratch, 0
	.set _ZN4vllm25paged_attention_v1_kernelI14__hip_bfloat16S1_Li256ELi32ELi128ELNS_18Fp8KVCacheDataTypeE0ELb1EEEvPT_PKS3_PKT0_S9_ifPKiSB_iPKfiiiSD_SD_iiiii.has_dyn_sized_stack, 0
	.set _ZN4vllm25paged_attention_v1_kernelI14__hip_bfloat16S1_Li256ELi32ELi128ELNS_18Fp8KVCacheDataTypeE0ELb1EEEvPT_PKS3_PKT0_S9_ifPKiSB_iPKfiiiSD_SD_iiiii.has_recursion, 0
	.set _ZN4vllm25paged_attention_v1_kernelI14__hip_bfloat16S1_Li256ELi32ELi128ELNS_18Fp8KVCacheDataTypeE0ELb1EEEvPT_PKS3_PKT0_S9_ifPKiSB_iPKfiiiSD_SD_iiiii.has_indirect_call, 0
	.section	.AMDGPU.csdata,"",@progbits
; Kernel info:
; codeLenInByte = 19696
; TotalNumSgprs: 60
; NumVgprs: 64
; ScratchSize: 212
; MemoryBound: 0
; FloatMode: 240
; IeeeMode: 1
; LDSByteSize: 528 bytes/workgroup (compile time only)
; SGPRBlocks: 7
; VGPRBlocks: 15
; NumSGPRsForWavesPerEU: 60
; NumVGPRsForWavesPerEU: 64
; Occupancy: 4
; WaveLimiterHint : 1
; COMPUTE_PGM_RSRC2:SCRATCH_EN: 1
; COMPUTE_PGM_RSRC2:USER_SGPR: 6
; COMPUTE_PGM_RSRC2:TRAP_HANDLER: 0
; COMPUTE_PGM_RSRC2:TGID_X_EN: 1
; COMPUTE_PGM_RSRC2:TGID_Y_EN: 1
; COMPUTE_PGM_RSRC2:TGID_Z_EN: 1
; COMPUTE_PGM_RSRC2:TIDIG_COMP_CNT: 0
	.section	.text._ZN4vllm25paged_attention_v1_kernelI14__hip_bfloat16S1_Li32ELi32ELi128ELNS_18Fp8KVCacheDataTypeE0ELb0EEEvPT_PKS3_PKT0_S9_ifPKiSB_iPKfiiiSD_SD_iiiii,"axG",@progbits,_ZN4vllm25paged_attention_v1_kernelI14__hip_bfloat16S1_Li32ELi32ELi128ELNS_18Fp8KVCacheDataTypeE0ELb0EEEvPT_PKS3_PKT0_S9_ifPKiSB_iPKfiiiSD_SD_iiiii,comdat
	.protected	_ZN4vllm25paged_attention_v1_kernelI14__hip_bfloat16S1_Li32ELi32ELi128ELNS_18Fp8KVCacheDataTypeE0ELb0EEEvPT_PKS3_PKT0_S9_ifPKiSB_iPKfiiiSD_SD_iiiii ; -- Begin function _ZN4vllm25paged_attention_v1_kernelI14__hip_bfloat16S1_Li32ELi32ELi128ELNS_18Fp8KVCacheDataTypeE0ELb0EEEvPT_PKS3_PKT0_S9_ifPKiSB_iPKfiiiSD_SD_iiiii
	.globl	_ZN4vllm25paged_attention_v1_kernelI14__hip_bfloat16S1_Li32ELi32ELi128ELNS_18Fp8KVCacheDataTypeE0ELb0EEEvPT_PKS3_PKT0_S9_ifPKiSB_iPKfiiiSD_SD_iiiii
	.p2align	8
	.type	_ZN4vllm25paged_attention_v1_kernelI14__hip_bfloat16S1_Li32ELi32ELi128ELNS_18Fp8KVCacheDataTypeE0ELb0EEEvPT_PKS3_PKT0_S9_ifPKiSB_iPKfiiiSD_SD_iiiii,@function
_ZN4vllm25paged_attention_v1_kernelI14__hip_bfloat16S1_Li32ELi32ELi128ELNS_18Fp8KVCacheDataTypeE0ELb0EEEvPT_PKS3_PKT0_S9_ifPKiSB_iPKfiiiSD_SD_iiiii: ; @_ZN4vllm25paged_attention_v1_kernelI14__hip_bfloat16S1_Li32ELi32ELi128ELNS_18Fp8KVCacheDataTypeE0ELb0EEEvPT_PKS3_PKT0_S9_ifPKiSB_iPKfiiiSD_SD_iiiii
; %bb.0:
	s_load_dword s9, s[4:5], 0x80
	s_load_dwordx2 s[0:1], s[4:5], 0x30
	s_load_dwordx2 s[26:27], s[4:5], 0x20
	s_mov_b32 s10, s7
	s_ashr_i32 s11, s7, 31
	s_lshl_b64 s[2:3], s[10:11], 2
	s_waitcnt lgkmcnt(0)
	s_add_u32 s0, s0, s2
	s_addc_u32 s1, s1, s3
	s_abs_i32 s2, s26
	v_cvt_f32_u32_e32 v1, s2
	s_sub_i32 s11, 0, s2
	s_abs_i32 s7, s9
	s_xor_b32 s3, s9, s26
	v_rcp_iflag_f32_e32 v1, v1
	s_ashr_i32 s3, s3, 31
	s_mov_b32 s26, 0
	v_mul_f32_e32 v1, 0x4f7ffffe, v1
	v_cvt_u32_f32_e32 v1, v1
	v_readfirstlane_b32 s12, v1
	s_mul_i32 s11, s11, s12
	s_mul_hi_u32 s11, s12, s11
	s_add_i32 s12, s12, s11
	s_mul_hi_u32 s11, s7, s12
	s_mul_i32 s12, s11, s2
	s_sub_i32 s7, s7, s12
	s_add_i32 s12, s11, 1
	s_sub_i32 s13, s7, s2
	s_cmp_ge_u32 s7, s2
	s_cselect_b32 s11, s12, s11
	s_cselect_b32 s7, s13, s7
	s_add_i32 s12, s11, 1
	s_cmp_ge_u32 s7, s2
	s_cselect_b32 s2, s12, s11
	s_xor_b32 s2, s2, s3
	s_sub_i32 s12, s2, s3
	s_abs_i32 s11, s12
	v_cvt_f32_u32_e32 v1, s11
	s_load_dwordx2 s[2:3], s[4:5], 0x40
	s_sub_i32 s7, 0, s11
	s_abs_i32 s18, s6
	v_rcp_iflag_f32_e32 v1, v1
	v_mul_f32_e32 v1, 0x4f7ffffe, v1
	v_cvt_u32_f32_e32 v1, v1
	v_readfirstlane_b32 s13, v1
	s_mul_i32 s7, s7, s13
	s_mul_hi_u32 s7, s13, s7
	s_add_i32 s13, s13, s7
	s_waitcnt lgkmcnt(0)
	s_cmp_eq_u64 s[2:3], 0
	s_mul_hi_u32 s19, s18, s13
	s_cbranch_scc1 .LBB153_2
; %bb.1:
	s_ashr_i32 s7, s6, 31
	s_lshl_b64 s[14:15], s[6:7], 2
	s_add_u32 s2, s2, s14
	s_addc_u32 s3, s3, s15
	s_load_dword s26, s[2:3], 0x0
.LBB153_2:
	s_load_dword s33, s[0:1], 0x0
	s_ashr_i32 s3, s12, 31
	s_load_dwordx4 s[12:15], s[4:5], 0x48
	s_ashr_i32 s2, s6, 31
	v_and_b32_e32 v1, 1, v0
	s_lshl_b32 s16, s6, 5
	v_cmp_gt_u32_e32 vcc, 8, v0
	v_lshlrev_b32_e32 v3, 3, v0
	s_and_saveexec_b64 s[0:1], vcc
	s_cbranch_execz .LBB153_4
; %bb.3:
	s_load_dwordx2 s[6:7], s[4:5], 0x8
	s_waitcnt lgkmcnt(0)
	s_mul_i32 s20, s12, s10
	s_ashr_i32 s21, s20, 31
	s_lshl_b64 s[20:21], s[20:21], 1
	v_lshlrev_b32_e32 v2, 2, v0
	s_add_u32 s12, s6, s20
	s_addc_u32 s15, s7, s21
	s_ashr_i32 s17, s16, 31
	s_lshl_b64 s[6:7], s[16:17], 1
	s_add_u32 s6, s12, s6
	s_addc_u32 s7, s15, s7
	global_load_dwordx2 v[4:5], v3, s[6:7]
	v_and_b32_e32 v2, 0xff8, v2
	v_lshl_add_u32 v2, v1, 5, v2
	s_waitcnt vmcnt(0)
	ds_write_b64 v2, v[4:5]
.LBB153_4:
	s_or_b64 exec, exec, s[0:1]
	s_waitcnt lgkmcnt(0)
	s_add_i32 s1, s33, 31
	s_ashr_i32 s6, s1, 31
	s_lshr_b32 s6, s6, 27
	s_add_i32 s1, s1, s6
	s_ashr_i32 s17, s1, 5
	s_xor_b32 s1, s2, s3
	s_mul_i32 s2, s19, s11
	s_sub_i32 s2, s18, s2
	s_add_i32 s3, s19, 1
	s_sub_i32 s6, s2, s11
	s_load_dwordx2 s[20:21], s[4:5], 0x28
	s_load_dword s0, s[4:5], 0x38
	s_cmp_ge_u32 s2, s11
	s_cselect_b32 s3, s3, s19
	s_cselect_b32 s2, s6, s2
	s_add_i32 s6, s3, 1
	s_cmp_ge_u32 s2, s11
	s_cselect_b32 s2, s6, s3
	v_lshrrev_b32_e32 v19, 6, v0
	s_xor_b32 s2, s2, s1
	s_waitcnt lgkmcnt(0)
	s_mul_i32 s22, s0, s10
	s_sub_i32 s12, s2, s1
	s_ashr_i32 s23, s22, 31
	v_cmp_gt_i32_e64 s[0:1], s17, v19
	v_cmp_le_i32_e32 vcc, s17, v19
	v_mbcnt_lo_u32_b32 v28, -1, 0
	s_barrier
                                        ; implicit-def: $vgpr5
                                        ; implicit-def: $vgpr6
                                        ; implicit-def: $vgpr7
	s_and_saveexec_b64 s[2:3], vcc
	s_xor_b64 s[2:3], exec, s[2:3]
; %bb.5:
	v_mbcnt_hi_u32_b32 v5, -1, v28
	v_and_b32_e32 v6, 64, v5
	v_add_u32_e32 v7, 64, v6
                                        ; implicit-def: $vgpr1
                                        ; implicit-def: $vgpr28
; %bb.6:
	s_or_saveexec_b64 s[6:7], s[2:3]
	s_load_dwordx2 s[18:19], s[4:5], 0x0
	s_load_dwordx2 s[24:25], s[4:5], 0x18
	s_load_dword s11, s[4:5], 0x88
	v_mov_b32_e32 v25, 0xff7fffff
	s_mul_i32 s14, s12, s14
	v_lshrrev_b32_e32 v4, 4, v0
	s_xor_b64 exec, exec, s[6:7]
	s_cbranch_execz .LBB153_12
; %bb.7:
	s_load_dwordx2 s[2:3], s[4:5], 0x10
	s_ashr_i32 s15, s14, 31
	s_lshl_b64 s[4:5], s[14:15], 1
	v_lshlrev_b32_e32 v2, 5, v1
	v_bfe_u32 v25, v0, 1, 5
	s_waitcnt lgkmcnt(0)
	s_add_u32 s2, s2, s4
	ds_read_b128 v[12:15], v2
	ds_read_b128 v[21:24], v2 offset:16
	s_addc_u32 s3, s3, s5
	v_lshlrev_b32_e32 v2, 4, v25
	v_mov_b32_e32 v5, s3
	v_add_co_u32_e32 v6, vcc, s2, v2
	s_sub_i32 s12, 1, s33
	s_lshl_b64 s[2:3], s[22:23], 2
	v_addc_co_u32_e32 v5, vcc, 0, v5, vcc
	s_add_u32 s2, s20, s2
	v_cmp_eq_u32_e32 vcc, 0, v1
	s_addc_u32 s3, s21, s3
	v_and_b32_e32 v1, 60, v4
	v_mov_b32_e32 v2, s3
	v_add_co_u32_e64 v1, s[2:3], s2, v1
	v_and_b32_e32 v7, 8, v3
	v_addc_co_u32_e64 v2, s[2:3], 0, v2, s[2:3]
	v_add_co_u32_e64 v26, s[2:3], v6, v7
	v_addc_co_u32_e64 v27, s[2:3], 0, v5, s[2:3]
	v_mbcnt_hi_u32_b32 v5, -1, v28
	v_and_b32_e32 v6, 64, v5
	v_xor_b32_e32 v28, 1, v5
	v_add_u32_e32 v7, 64, v6
	v_cmp_lt_i32_e64 s[2:3], v28, v7
	v_lshl_or_b32 v29, v19, 5, v25
	v_lshlrev_b32_e32 v25, 2, v25
	v_cndmask_b32_e64 v28, v5, v28, s[2:3]
	v_lshl_or_b32 v25, v19, 7, v25
	s_waitcnt lgkmcnt(1)
	v_lshlrev_b32_e32 v8, 16, v12
	v_and_b32_e32 v9, 0xffff0000, v12
	v_lshlrev_b32_e32 v10, 16, v13
	v_and_b32_e32 v11, 0xffff0000, v13
	;; [unrolled: 2-line block ×4, first 2 shown]
	s_waitcnt lgkmcnt(0)
	v_lshlrev_b32_e32 v16, 16, v21
	v_and_b32_e32 v17, 0xffff0000, v21
	v_lshlrev_b32_e32 v18, 16, v22
	v_and_b32_e32 v20, 0xffff0000, v22
	v_lshlrev_b32_e32 v21, 16, v23
	v_and_b32_e32 v22, 0xffff0000, v23
	v_lshlrev_b32_e32 v23, 16, v24
	v_and_b32_e32 v24, 0xffff0000, v24
	s_mov_b32 s15, s13
	v_lshlrev_b32_e32 v28, 2, v28
	v_cmp_neq_f32_e64 s[2:3], s26, 0
	v_add_u32_e32 v30, 0x50, v25
	s_mov_b64 s[28:29], 0
	v_mov_b32_e32 v25, 0xff7fffff
	v_mov_b32_e32 v31, v19
	s_branch .LBB153_9
.LBB153_8:                              ;   in Loop: Header=BB153_9 Depth=1
	s_or_b64 exec, exec, s[30:31]
	v_add_u32_e32 v31, 2, v31
	v_cmp_le_i32_e64 s[4:5], s17, v31
	s_or_b64 s[28:29], s[4:5], s[28:29]
	v_add_co_u32_e64 v1, s[4:5], 8, v1
	v_add_u32_e32 v29, 64, v29
	v_add_u32_e32 v30, 0x100, v30
	v_addc_co_u32_e64 v2, s[4:5], 0, v2, s[4:5]
	s_andn2_b64 exec, exec, s[28:29]
	s_cbranch_execz .LBB153_11
.LBB153_9:                              ; =>This Inner Loop Header: Depth=1
	global_load_dword v32, v[1:2], off
	s_waitcnt vmcnt(0) lgkmcnt(0)
	v_mad_i64_i32 v[32:33], s[4:5], v32, s15, 0
	v_lshlrev_b64 v[32:33], 1, v[32:33]
	v_add_co_u32_e64 v32, s[4:5], v26, v32
	v_addc_co_u32_e64 v33, s[4:5], v27, v33, s[4:5]
	global_load_dwordx2 v[34:35], v[32:33], off
	global_load_dwordx2 v[36:37], v[32:33], off offset:512
	global_load_dwordx2 v[38:39], v[32:33], off offset:1024
	s_nop 0
	global_load_dwordx2 v[32:33], v[32:33], off offset:1536
	s_waitcnt vmcnt(3)
	v_lshlrev_b32_e32 v40, 16, v34
	s_waitcnt vmcnt(2)
	v_lshlrev_b32_e32 v42, 16, v36
	v_and_b32_e32 v36, 0xffff0000, v36
	v_and_b32_e32 v34, 0xffff0000, v34
	v_lshlrev_b32_e32 v43, 16, v37
	v_mul_f32_e32 v42, v12, v42
	v_mul_f32_e32 v36, v13, v36
	v_lshlrev_b32_e32 v41, 16, v35
	v_and_b32_e32 v37, 0xffff0000, v37
	s_waitcnt vmcnt(1)
	v_lshlrev_b32_e32 v44, 16, v38
	v_and_b32_e32 v38, 0xffff0000, v38
	v_mul_f32_e32 v43, v14, v43
	v_fmac_f32_e32 v42, v8, v40
	v_fmac_f32_e32 v36, v9, v34
	v_and_b32_e32 v35, 0xffff0000, v35
	v_lshlrev_b32_e32 v45, 16, v39
	s_waitcnt vmcnt(0)
	v_lshlrev_b32_e32 v46, 16, v32
	v_and_b32_e32 v32, 0xffff0000, v32
	v_mul_f32_e32 v37, v15, v37
	v_fmac_f32_e32 v43, v10, v41
	v_fmac_f32_e32 v42, v16, v44
	v_fmac_f32_e32 v36, v17, v38
	v_and_b32_e32 v39, 0xffff0000, v39
	v_lshlrev_b32_e32 v47, 16, v33
	v_fmac_f32_e32 v37, v11, v35
	v_fmac_f32_e32 v43, v18, v45
	;; [unrolled: 1-line block ×4, first 2 shown]
	v_and_b32_e32 v33, 0xffff0000, v33
	v_fmac_f32_e32 v37, v20, v39
	v_fmac_f32_e32 v43, v23, v47
	v_add_f32_e32 v32, v42, v36
	v_fmac_f32_e32 v37, v24, v33
	v_add_f32_e32 v32, v32, v43
	v_add_f32_e32 v32, v37, v32
	ds_bpermute_b32 v33, v28, v32
	s_and_saveexec_b64 s[30:31], vcc
	s_cbranch_execz .LBB153_8
; %bb.10:                               ;   in Loop: Header=BB153_9 Depth=1
	v_add_u32_e32 v34, s12, v29
	v_cvt_f32_i32_e32 v34, v34
	s_waitcnt lgkmcnt(0)
	v_add_f32_e32 v32, v32, v33
	v_cmp_gt_i32_e64 s[4:5], s33, v29
	v_max_f32_e32 v33, v25, v25
	v_mul_f32_e32 v34, s26, v34
	v_cndmask_b32_e64 v34, 0, v34, s[2:3]
	v_fmac_f32_e32 v34, s27, v32
	v_cndmask_b32_e64 v32, 0, v34, s[4:5]
	ds_write_b32 v30, v32
	v_max_f32_e32 v32, v33, v34
	v_cndmask_b32_e64 v25, v25, v32, s[4:5]
	s_branch .LBB153_8
.LBB153_11:
	s_or_b64 exec, exec, s[28:29]
.LBB153_12:
	s_or_b64 exec, exec, s[6:7]
	v_xor_b32_e32 v1, 32, v5
	v_cmp_lt_i32_e32 vcc, v1, v7
	v_cndmask_b32_e32 v1, v5, v1, vcc
	v_lshlrev_b32_e32 v1, 2, v1
	ds_bpermute_b32 v2, v1, v25
	v_xor_b32_e32 v9, 16, v5
	v_max_f32_e32 v8, v25, v25
	v_cmp_lt_i32_e32 vcc, v9, v7
	v_xor_b32_e32 v10, 8, v5
	s_waitcnt lgkmcnt(0)
	v_max_f32_e32 v2, v2, v2
	v_max_f32_e32 v8, v8, v2
	v_cndmask_b32_e32 v2, v5, v9, vcc
	v_lshlrev_b32_e32 v2, 2, v2
	ds_bpermute_b32 v9, v2, v8
	v_cmp_lt_i32_e32 vcc, v10, v7
	v_xor_b32_e32 v11, 4, v5
	v_xor_b32_e32 v12, 2, v5
	v_and_b32_e32 v20, 63, v0
	s_waitcnt lgkmcnt(0)
	v_max_f32_e32 v9, v9, v9
	v_max_f32_e32 v9, v8, v9
	v_cndmask_b32_e32 v8, v5, v10, vcc
	v_lshlrev_b32_e32 v8, 2, v8
	ds_bpermute_b32 v10, v8, v9
	v_cmp_lt_i32_e32 vcc, v11, v7
	s_waitcnt lgkmcnt(0)
	v_max_f32_e32 v10, v10, v10
	v_max_f32_e32 v10, v9, v10
	v_cndmask_b32_e32 v9, v5, v11, vcc
	v_lshlrev_b32_e32 v9, 2, v9
	ds_bpermute_b32 v11, v9, v10
	v_cmp_lt_i32_e32 vcc, v12, v7
	s_waitcnt lgkmcnt(0)
	v_max_f32_e32 v11, v11, v11
	v_max_f32_e32 v11, v10, v11
	v_cndmask_b32_e32 v10, v5, v12, vcc
	v_lshlrev_b32_e32 v21, 2, v10
	ds_bpermute_b32 v12, v21, v11
	v_cmp_eq_u32_e32 vcc, 0, v20
	v_lshlrev_b32_e32 v10, 2, v19
	s_and_saveexec_b64 s[2:3], vcc
	s_cbranch_execz .LBB153_14
; %bb.13:
	s_waitcnt lgkmcnt(0)
	v_max_f32_e32 v12, v12, v12
	v_max_f32_e32 v11, v11, v11
	;; [unrolled: 1-line block ×3, first 2 shown]
	ds_write_b32 v10, v11 offset:64
.LBB153_14:
	s_or_b64 exec, exec, s[2:3]
	v_cmp_gt_u32_e64 s[2:3], 2, v20
	s_waitcnt lgkmcnt(0)
	v_mov_b32_e32 v12, 0xff7fffff
	v_lshlrev_b32_e32 v11, 2, v20
	s_barrier
	s_and_saveexec_b64 s[4:5], s[2:3]
; %bb.15:
	ds_read_b32 v12, v11 offset:64
; %bb.16:
	s_or_b64 exec, exec, s[4:5]
	v_xor_b32_e32 v13, 1, v5
	v_cmp_lt_i32_e64 s[4:5], v13, v7
	v_cndmask_b32_e64 v7, v5, v13, s[4:5]
	v_lshlrev_b32_e32 v22, 2, v7
	s_waitcnt lgkmcnt(0)
	ds_bpermute_b32 v7, v22, v12
	v_max_f32_e32 v12, v12, v12
	v_lshlrev_b32_e32 v6, 2, v6
	s_lshl_b32 s4, s17, 5
	s_min_i32 s12, s4, s33
	s_waitcnt lgkmcnt(0)
	v_max_f32_e32 v7, v7, v7
	v_max_f32_e32 v7, v12, v7
	ds_bpermute_b32 v7, v6, v7
	v_cmp_gt_i32_e64 s[4:5], s12, v0
	v_mov_b32_e32 v6, 0
	s_and_saveexec_b64 s[26:27], s[4:5]
	s_cbranch_execz .LBB153_20
; %bb.17:
	v_mov_b32_e32 v6, 0x50
	v_lshl_add_u32 v12, v0, 2, v6
	v_mov_b32_e32 v6, 0
	s_mov_b64 s[28:29], 0
	v_mov_b32_e32 v13, v0
.LBB153_18:                             ; =>This Inner Loop Header: Depth=1
	ds_read_b32 v14, v12
	v_add_u32_e32 v13, 0x80, v13
	v_cmp_le_i32_e64 s[6:7], s12, v13
	s_or_b64 s[28:29], s[6:7], s[28:29]
	s_waitcnt lgkmcnt(0)
	v_sub_f32_e32 v14, v14, v7
	v_mul_f32_e32 v14, 0x3fb8aa3b, v14
	v_exp_f32_e32 v14, v14
	ds_write_b32 v12, v14
	v_add_f32_e32 v6, v6, v14
	v_add_u32_e32 v12, 0x200, v12
	s_andn2_b64 exec, exec, s[28:29]
	s_cbranch_execnz .LBB153_18
; %bb.19:
	s_or_b64 exec, exec, s[28:29]
.LBB153_20:
	s_or_b64 exec, exec, s[26:27]
	ds_bpermute_b32 v1, v1, v6
	s_waitcnt lgkmcnt(0)
	v_add_f32_e32 v1, v6, v1
	ds_bpermute_b32 v2, v2, v1
	s_waitcnt lgkmcnt(0)
	v_add_f32_e32 v1, v1, v2
	;; [unrolled: 3-line block ×6, first 2 shown]
	s_and_saveexec_b64 s[6:7], vcc
; %bb.21:
	ds_write_b32 v10, v1 offset:72
; %bb.22:
	s_or_b64 exec, exec, s[6:7]
	s_waitcnt lgkmcnt(0)
	s_barrier
	s_and_saveexec_b64 s[6:7], s[2:3]
; %bb.23:
	ds_read_b32 v1, v11 offset:72
; %bb.24:
	s_or_b64 exec, exec, s[6:7]
	s_waitcnt lgkmcnt(0)
	ds_bpermute_b32 v2, v22, v1
	v_lshlrev_b32_e32 v5, 2, v5
	s_waitcnt lgkmcnt(0)
	v_add_f32_e32 v1, v1, v2
	v_and_b32_e32 v2, 0xffffff00, v5
	ds_bpermute_b32 v1, v2, v1
	s_and_saveexec_b64 s[2:3], s[4:5]
	s_cbranch_execz .LBB153_27
; %bb.25:
	s_waitcnt lgkmcnt(0)
	v_add_f32_e32 v2, 0x358637bd, v1
	v_div_scale_f32 v1, s[4:5], v2, v2, 1.0
	v_div_scale_f32 v5, vcc, 1.0, v2, 1.0
	s_mov_b64 s[4:5], 0
	v_rcp_f32_e32 v6, v1
	v_fma_f32 v7, -v1, v6, 1.0
	v_fmac_f32_e32 v6, v7, v6
	v_mul_f32_e32 v7, v5, v6
	v_fma_f32 v8, -v1, v7, v5
	v_fmac_f32_e32 v7, v8, v6
	v_fma_f32 v1, -v1, v7, v5
	v_div_fmas_f32 v5, v1, v6, v7
	v_mov_b32_e32 v1, 0x50
	v_lshl_add_u32 v1, v0, 2, v1
	v_div_fixup_f32 v2, v5, v2, 1.0
	v_mov_b32_e32 v5, v0
.LBB153_26:                             ; =>This Inner Loop Header: Depth=1
	ds_read_b32 v6, v1
	v_add_u32_e32 v5, 0x80, v5
	v_cmp_le_i32_e32 vcc, s12, v5
	s_or_b64 s[4:5], vcc, s[4:5]
	s_waitcnt lgkmcnt(0)
	v_mul_f32_e32 v6, v2, v6
	ds_write_b32 v1, v6
	v_add_u32_e32 v1, 0x200, v1
	s_andn2_b64 exec, exec, s[4:5]
	s_cbranch_execnz .LBB153_26
.LBB153_27:
	s_or_b64 exec, exec, s[2:3]
	v_mov_b32_e32 v25, 0
	v_and_b32_e32 v23, 3, v0
	v_mov_b32_e32 v27, 0
	s_waitcnt lgkmcnt(0)
	s_barrier
	s_and_saveexec_b64 s[4:5], s[0:1]
	s_cbranch_execz .LBB153_35
; %bb.28:
	s_ashr_i32 s15, s14, 31
	s_lshl_b64 s[0:1], s[14:15], 1
	s_add_u32 s0, s24, s0
	v_lshlrev_b32_e32 v2, 4, v0
	v_and_b32_e32 v1, 24, v3
	s_addc_u32 s1, s25, s1
	v_and_b32_e32 v2, 0x3f0, v2
	s_add_i32 s14, s17, -1
	v_mov_b32_e32 v3, s1
	v_add_co_u32_e32 v26, vcc, s0, v2
	v_lshl_or_b32 v29, v19, 5, v1
	v_lshlrev_b32_e32 v1, 5, v23
	s_lshl_b64 s[0:1], s[22:23], 2
	v_lshl_or_b32 v1, v19, 7, v1
	s_add_u32 s0, s20, s0
	v_addc_co_u32_e32 v28, vcc, 0, v3, vcc
	v_add_u32_e32 v30, 0x50, v1
	v_and_b32_e32 v1, 60, v4
	s_addc_u32 s1, s21, s1
	v_mov_b32_e32 v2, s1
	v_add_co_u32_e32 v17, vcc, s0, v1
	s_mov_b32 s26, s13
	v_mov_b32_e32 v24, 0
	s_mov_b32 s15, s33
	v_addc_co_u32_e32 v18, vcc, 0, v2, vcc
	s_mov_b64 s[6:7], 0
	s_mov_b32 s20, 0x5040100
	s_movk_i32 s21, 0x7fff
	v_mov_b32_e32 v27, 0
	v_mov_b32_e32 v25, 0
	s_branch .LBB153_30
.LBB153_29:                             ;   in Loop: Header=BB153_30 Depth=1
	s_or_b64 exec, exec, s[2:3]
	s_waitcnt lgkmcnt(1)
	v_bfe_u32 v31, v13, 16, 1
	v_add3_u32 v31, v31, v13, s21
	v_or_b32_e32 v32, 0x400000, v13
	v_cmp_u_f32_e32 vcc, v13, v13
	v_cndmask_b32_e32 v13, v31, v32, vcc
	v_bfe_u32 v31, v14, 16, 1
	v_add3_u32 v31, v31, v14, s21
	v_or_b32_e32 v32, 0x400000, v14
	v_cmp_u_f32_e32 vcc, v14, v14
	v_cndmask_b32_e32 v14, v31, v32, vcc
	;; [unrolled: 5-line block ×4, first 2 shown]
	s_waitcnt lgkmcnt(0)
	v_bfe_u32 v31, v9, 16, 1
	v_add3_u32 v31, v31, v9, s21
	v_or_b32_e32 v32, 0x400000, v9
	v_cmp_u_f32_e32 vcc, v9, v9
	v_cndmask_b32_e32 v9, v31, v32, vcc
	v_bfe_u32 v31, v10, 16, 1
	v_add3_u32 v31, v31, v10, s21
	v_or_b32_e32 v32, 0x400000, v10
	v_cmp_u_f32_e32 vcc, v10, v10
	v_cndmask_b32_e32 v10, v31, v32, vcc
	;; [unrolled: 5-line block ×4, first 2 shown]
	v_and_b32_e32 v13, 0xffff0000, v13
	s_waitcnt vmcnt(1)
	v_lshlrev_b32_e32 v31, 16, v5
	v_mul_f32_e32 v31, v13, v31
	v_bfe_u32 v32, v31, 16, 1
	v_and_b32_e32 v14, 0xffff0000, v14
	v_and_b32_e32 v5, 0xffff0000, v5
	v_add3_u32 v32, v32, v31, s21
	v_or_b32_e32 v33, 0x400000, v31
	v_cmp_u_f32_e32 vcc, v31, v31
	v_mul_f32_e32 v5, v14, v5
	v_cndmask_b32_e32 v31, v32, v33, vcc
	v_bfe_u32 v32, v5, 16, 1
	v_add3_u32 v32, v32, v5, s21
	v_or_b32_e32 v33, 0x400000, v5
	v_cmp_u_f32_e32 vcc, v5, v5
	v_cndmask_b32_e32 v5, v32, v33, vcc
	v_and_b32_e32 v15, 0xffff0000, v15
	v_lshlrev_b32_e32 v32, 16, v6
	v_mul_f32_e32 v32, v15, v32
	v_bfe_u32 v33, v32, 16, 1
	v_and_b32_e32 v16, 0xffff0000, v16
	v_and_b32_e32 v6, 0xffff0000, v6
	v_add3_u32 v33, v33, v32, s21
	v_or_b32_e32 v34, 0x400000, v32
	v_cmp_u_f32_e32 vcc, v32, v32
	v_mul_f32_e32 v6, v16, v6
	v_cndmask_b32_e32 v32, v33, v34, vcc
	v_bfe_u32 v33, v6, 16, 1
	v_add3_u32 v33, v33, v6, s21
	v_or_b32_e32 v34, 0x400000, v6
	v_cmp_u_f32_e32 vcc, v6, v6
	v_cndmask_b32_e32 v6, v33, v34, vcc
	v_and_b32_e32 v9, 0xffff0000, v9
	;; [unrolled: 16-line block ×3, first 2 shown]
	v_lshlrev_b32_e32 v34, 16, v8
	v_mul_f32_e32 v34, v11, v34
	v_bfe_u32 v35, v34, 16, 1
	v_and_b32_e32 v12, 0xffff0000, v12
	v_and_b32_e32 v8, 0xffff0000, v8
	;; [unrolled: 1-line block ×4, first 2 shown]
	v_add3_u32 v35, v35, v34, s21
	v_or_b32_e32 v36, 0x400000, v34
	v_cmp_u_f32_e32 vcc, v34, v34
	v_mul_f32_e32 v8, v12, v8
	v_add_f32_e32 v5, v31, v5
	v_and_b32_e32 v6, 0xffff0000, v6
	v_and_b32_e32 v31, 0xffff0000, v32
	v_cndmask_b32_e32 v34, v35, v36, vcc
	v_bfe_u32 v35, v8, 16, 1
	v_add_f32_e32 v6, v31, v6
	v_add3_u32 v35, v35, v8, s21
	v_or_b32_e32 v36, 0x400000, v8
	v_cmp_u_f32_e32 vcc, v8, v8
	v_add_f32_e32 v5, v6, v5
	v_and_b32_e32 v6, 0xffff0000, v7
	v_and_b32_e32 v7, 0xffff0000, v33
	v_cndmask_b32_e32 v8, v35, v36, vcc
	v_add_f32_e32 v6, v7, v6
	v_add_f32_e32 v5, v6, v5
	v_and_b32_e32 v6, 0xffff0000, v8
	v_and_b32_e32 v7, 0xffff0000, v34
	v_add_f32_e32 v6, v7, v6
	v_add_f32_e32 v5, v6, v5
	;; [unrolled: 1-line block ×3, first 2 shown]
	s_waitcnt vmcnt(0)
	v_lshlrev_b32_e32 v5, 16, v1
	v_mul_f32_e32 v5, v13, v5
	v_bfe_u32 v6, v5, 16, 1
	v_and_b32_e32 v1, 0xffff0000, v1
	v_add3_u32 v6, v6, v5, s21
	v_or_b32_e32 v7, 0x400000, v5
	v_cmp_u_f32_e32 vcc, v5, v5
	v_mul_f32_e32 v1, v14, v1
	v_cndmask_b32_e32 v5, v6, v7, vcc
	v_bfe_u32 v6, v1, 16, 1
	v_add3_u32 v6, v6, v1, s21
	v_or_b32_e32 v7, 0x400000, v1
	v_cmp_u_f32_e32 vcc, v1, v1
	v_cndmask_b32_e32 v1, v6, v7, vcc
	v_lshlrev_b32_e32 v6, 16, v2
	v_mul_f32_e32 v6, v15, v6
	v_bfe_u32 v7, v6, 16, 1
	v_and_b32_e32 v2, 0xffff0000, v2
	v_add3_u32 v7, v7, v6, s21
	v_or_b32_e32 v8, 0x400000, v6
	v_cmp_u_f32_e32 vcc, v6, v6
	v_mul_f32_e32 v2, v16, v2
	v_cndmask_b32_e32 v6, v7, v8, vcc
	v_bfe_u32 v7, v2, 16, 1
	v_add3_u32 v7, v7, v2, s21
	v_or_b32_e32 v8, 0x400000, v2
	v_cmp_u_f32_e32 vcc, v2, v2
	v_cndmask_b32_e32 v2, v7, v8, vcc
	;; [unrolled: 14-line block ×3, first 2 shown]
	v_lshlrev_b32_e32 v8, 16, v4
	v_mul_f32_e32 v8, v11, v8
	v_bfe_u32 v9, v8, 16, 1
	v_and_b32_e32 v4, 0xffff0000, v4
	v_and_b32_e32 v1, 0xffff0000, v1
	;; [unrolled: 1-line block ×3, first 2 shown]
	v_add3_u32 v9, v9, v8, s21
	v_or_b32_e32 v10, 0x400000, v8
	v_cmp_u_f32_e32 vcc, v8, v8
	v_mul_f32_e32 v4, v12, v4
	v_add_f32_e32 v1, v5, v1
	v_and_b32_e32 v2, 0xffff0000, v2
	v_and_b32_e32 v5, 0xffff0000, v6
	v_cndmask_b32_e32 v8, v9, v10, vcc
	v_bfe_u32 v9, v4, 16, 1
	v_add_f32_e32 v2, v5, v2
	v_add3_u32 v9, v9, v4, s21
	v_or_b32_e32 v10, 0x400000, v4
	v_cmp_u_f32_e32 vcc, v4, v4
	v_add_f32_e32 v1, v2, v1
	v_and_b32_e32 v2, 0xffff0000, v3
	v_and_b32_e32 v3, 0xffff0000, v7
	v_cndmask_b32_e32 v4, v9, v10, vcc
	v_add_f32_e32 v2, v3, v2
	v_add_f32_e32 v1, v2, v1
	v_and_b32_e32 v2, 0xffff0000, v4
	v_and_b32_e32 v3, 0xffff0000, v8
	v_add_u32_e32 v19, 2, v19
	v_add_f32_e32 v2, v3, v2
	v_cmp_le_i32_e32 vcc, s17, v19
	v_add_f32_e32 v1, v2, v1
	s_or_b64 s[6:7], vcc, s[6:7]
	v_add_co_u32_e32 v17, vcc, 8, v17
	v_add_f32_e32 v25, v25, v1
	v_add_u32_e32 v29, 64, v29
	v_add_u32_e32 v30, 0x100, v30
	v_addc_co_u32_e32 v18, vcc, 0, v18, vcc
	s_andn2_b64 exec, exec, s[6:7]
	s_cbranch_execz .LBB153_34
.LBB153_30:                             ; =>This Inner Loop Header: Depth=1
	global_load_dword v1, v[17:18], off
	v_add_u32_e32 v37, 1, v29
	v_or_b32_e32 v35, 3, v29
	v_or_b32_e32 v36, 2, v29
	;; [unrolled: 1-line block ×6, first 2 shown]
	s_waitcnt vmcnt(0)
	v_mad_i64_i32 v[1:2], s[0:1], v1, s26, 0
	v_cmp_eq_u32_e64 s[0:1], s14, v19
	v_lshlrev_b64 v[1:2], 1, v[1:2]
	v_add_co_u32_e32 v1, vcc, v26, v1
	v_addc_co_u32_e32 v2, vcc, v28, v2, vcc
	global_load_dwordx4 v[5:8], v[1:2], off
	ds_read2_b64 v[13:16], v30 offset1:1
	ds_read2_b64 v[9:12], v30 offset0:2 offset1:3
	s_and_saveexec_b64 s[12:13], s[0:1]
	s_cbranch_execz .LBB153_32
; %bb.31:                               ;   in Loop: Header=BB153_30 Depth=1
	v_cmp_gt_i32_e32 vcc, s15, v37
	s_waitcnt vmcnt(0)
	v_cndmask_b32_sdwa v3, v24, v5, vcc dst_sel:DWORD dst_unused:UNUSED_PAD src0_sel:DWORD src1_sel:WORD_1
	v_cmp_gt_i32_e32 vcc, s33, v29
	v_cndmask_b32_e32 v4, 0, v5, vcc
	v_cmp_gt_i32_e32 vcc, s15, v35
	v_cmp_gt_i32_e64 s[2:3], s33, v36
	v_perm_b32 v5, v3, v4, s20
	v_cndmask_b32_e64 v3, 0, v6, s[2:3]
	v_cndmask_b32_sdwa v4, v24, v6, vcc dst_sel:DWORD dst_unused:UNUSED_PAD src0_sel:DWORD src1_sel:WORD_1
	v_cmp_gt_i32_e32 vcc, s15, v33
	v_cmp_gt_i32_e64 s[2:3], s33, v34
	v_perm_b32 v6, v4, v3, s20
	v_cndmask_b32_e64 v3, 0, v7, s[2:3]
	v_cndmask_b32_sdwa v4, v24, v7, vcc dst_sel:DWORD dst_unused:UNUSED_PAD src0_sel:DWORD src1_sel:WORD_1
	;; [unrolled: 5-line block ×3, first 2 shown]
	v_perm_b32 v8, v4, v3, s20
.LBB153_32:                             ;   in Loop: Header=BB153_30 Depth=1
	s_or_b64 exec, exec, s[12:13]
	global_load_dwordx4 v[1:4], v[1:2], off offset:1024
	s_and_saveexec_b64 s[2:3], s[0:1]
	s_cbranch_execz .LBB153_29
; %bb.33:                               ;   in Loop: Header=BB153_30 Depth=1
	v_cmp_gt_i32_e32 vcc, s15, v37
	s_waitcnt vmcnt(0)
	v_cndmask_b32_sdwa v37, v24, v1, vcc dst_sel:DWORD dst_unused:UNUSED_PAD src0_sel:DWORD src1_sel:WORD_1
	v_cmp_gt_i32_e32 vcc, s33, v29
	v_cndmask_b32_e32 v1, 0, v1, vcc
	v_cmp_gt_i32_e32 vcc, s15, v35
	v_cmp_gt_i32_e64 s[0:1], s33, v36
	v_cndmask_b32_e64 v35, 0, v2, s[0:1]
	v_cndmask_b32_sdwa v2, v24, v2, vcc dst_sel:DWORD dst_unused:UNUSED_PAD src0_sel:DWORD src1_sel:WORD_1
	v_cmp_gt_i32_e32 vcc, s15, v33
	v_cmp_gt_i32_e64 s[0:1], s33, v34
	v_cndmask_b32_e64 v33, 0, v3, s[0:1]
	v_cndmask_b32_sdwa v3, v24, v3, vcc dst_sel:DWORD dst_unused:UNUSED_PAD src0_sel:DWORD src1_sel:WORD_1
	;; [unrolled: 4-line block ×3, first 2 shown]
	v_perm_b32 v1, v37, v1, s20
	v_perm_b32 v2, v2, v35, s20
	;; [unrolled: 1-line block ×4, first 2 shown]
	s_branch .LBB153_29
.LBB153_34:
	s_or_b64 exec, exec, s[6:7]
.LBB153_35:
	s_or_b64 exec, exec, s[4:5]
	ds_bpermute_b32 v1, v21, v27
	ds_bpermute_b32 v2, v21, v25
	v_and_b32_e32 v3, 0x3c3, v0
	v_cmp_eq_u32_e32 vcc, 64, v3
	s_waitcnt lgkmcnt(0)
	v_add_f32_e32 v1, v27, v1
	v_add_f32_e32 v4, v25, v2
	ds_bpermute_b32 v2, v22, v1
	ds_bpermute_b32 v5, v22, v4
	s_waitcnt lgkmcnt(0)
	s_barrier
	v_add_f32_e32 v2, v1, v2
	v_add_f32_e32 v1, v4, v5
	s_and_saveexec_b64 s[0:1], vcc
; %bb.36:
	v_add_u32_e32 v4, 0x50, v20
	ds_write2_b32 v4, v2, v1 offset1:16
; %bb.37:
	s_or_b64 exec, exec, s[0:1]
	v_cmp_gt_u32_e32 vcc, 64, v0
	v_lshrrev_b32_e32 v0, 2, v0
	s_waitcnt lgkmcnt(0)
	s_barrier
	s_and_saveexec_b64 s[0:1], vcc
	s_cbranch_execz .LBB153_43
; %bb.38:
	v_mov_b32_e32 v4, 0x50
	v_cmp_eq_u32_e32 vcc, 0, v23
	v_lshl_add_u32 v4, v0, 2, v4
	s_and_saveexec_b64 s[2:3], vcc
	s_cbranch_execz .LBB153_40
; %bb.39:
	ds_read_b32 v5, v4
	s_waitcnt lgkmcnt(0)
	v_add_f32_e32 v2, v2, v5
.LBB153_40:
	s_or_b64 exec, exec, s[2:3]
	s_and_saveexec_b64 s[2:3], vcc
	s_cbranch_execz .LBB153_42
; %bb.41:
	ds_read_b32 v4, v4 offset:64
	s_waitcnt lgkmcnt(0)
	v_add_f32_e32 v1, v1, v4
.LBB153_42:
	s_or_b64 exec, exec, s[2:3]
.LBB153_43:
	s_or_b64 exec, exec, s[0:1]
	v_cmp_eq_u32_e32 vcc, 0, v3
	s_barrier
	s_and_saveexec_b64 s[0:1], vcc
	s_cbranch_execz .LBB153_45
; %bb.44:
	s_mul_i32 s0, s10, s11
	s_mul_i32 s0, s0, s9
	s_lshl_b32 s0, s0, 5
	s_ashr_i32 s1, s0, 31
	s_lshl_b64 s[0:1], s[0:1], 1
	s_add_u32 s2, s18, s0
	s_mul_i32 s0, s11, s16
	s_addc_u32 s3, s19, s1
	s_ashr_i32 s1, s0, 31
	s_lshl_b64 s[0:1], s[0:1], 1
	s_add_u32 s2, s2, s0
	s_addc_u32 s3, s3, s1
	s_lshl_b32 s0, s8, 5
	s_ashr_i32 s1, s0, 31
	s_lshl_b64 s[0:1], s[0:1], 1
	s_add_u32 s0, s2, s0
	v_bfe_u32 v3, v2, 16, 1
	s_movk_i32 s2, 0x7fff
	v_add3_u32 v3, v3, v2, s2
	v_or_b32_e32 v4, 0x400000, v2
	v_cmp_u_f32_e32 vcc, v2, v2
	s_addc_u32 s1, s3, s1
	v_cndmask_b32_e32 v2, v3, v4, vcc
	v_lshlrev_b32_e32 v0, 1, v0
	global_store_short_d16_hi v0, v2, s[0:1]
	v_bfe_u32 v2, v1, 16, 1
	v_add3_u32 v2, v2, v1, s2
	v_or_b32_e32 v3, 0x400000, v1
	v_cmp_u_f32_e32 vcc, v1, v1
	v_cndmask_b32_e32 v1, v2, v3, vcc
	global_store_short_d16_hi v0, v1, s[0:1] offset:32
.LBB153_45:
	s_endpgm
	.section	.rodata,"a",@progbits
	.p2align	6, 0x0
	.amdhsa_kernel _ZN4vllm25paged_attention_v1_kernelI14__hip_bfloat16S1_Li32ELi32ELi128ELNS_18Fp8KVCacheDataTypeE0ELb0EEEvPT_PKS3_PKT0_S9_ifPKiSB_iPKfiiiSD_SD_iiiii
		.amdhsa_group_segment_fixed_size 80
		.amdhsa_private_segment_fixed_size 0
		.amdhsa_kernarg_size 384
		.amdhsa_user_sgpr_count 6
		.amdhsa_user_sgpr_private_segment_buffer 1
		.amdhsa_user_sgpr_dispatch_ptr 0
		.amdhsa_user_sgpr_queue_ptr 0
		.amdhsa_user_sgpr_kernarg_segment_ptr 1
		.amdhsa_user_sgpr_dispatch_id 0
		.amdhsa_user_sgpr_flat_scratch_init 0
		.amdhsa_user_sgpr_private_segment_size 0
		.amdhsa_uses_dynamic_stack 0
		.amdhsa_system_sgpr_private_segment_wavefront_offset 0
		.amdhsa_system_sgpr_workgroup_id_x 1
		.amdhsa_system_sgpr_workgroup_id_y 1
		.amdhsa_system_sgpr_workgroup_id_z 1
		.amdhsa_system_sgpr_workgroup_info 0
		.amdhsa_system_vgpr_workitem_id 0
		.amdhsa_next_free_vgpr 48
		.amdhsa_next_free_sgpr 34
		.amdhsa_reserve_vcc 1
		.amdhsa_reserve_flat_scratch 0
		.amdhsa_float_round_mode_32 0
		.amdhsa_float_round_mode_16_64 0
		.amdhsa_float_denorm_mode_32 3
		.amdhsa_float_denorm_mode_16_64 3
		.amdhsa_dx10_clamp 1
		.amdhsa_ieee_mode 1
		.amdhsa_fp16_overflow 0
		.amdhsa_exception_fp_ieee_invalid_op 0
		.amdhsa_exception_fp_denorm_src 0
		.amdhsa_exception_fp_ieee_div_zero 0
		.amdhsa_exception_fp_ieee_overflow 0
		.amdhsa_exception_fp_ieee_underflow 0
		.amdhsa_exception_fp_ieee_inexact 0
		.amdhsa_exception_int_div_zero 0
	.end_amdhsa_kernel
	.section	.text._ZN4vllm25paged_attention_v1_kernelI14__hip_bfloat16S1_Li32ELi32ELi128ELNS_18Fp8KVCacheDataTypeE0ELb0EEEvPT_PKS3_PKT0_S9_ifPKiSB_iPKfiiiSD_SD_iiiii,"axG",@progbits,_ZN4vllm25paged_attention_v1_kernelI14__hip_bfloat16S1_Li32ELi32ELi128ELNS_18Fp8KVCacheDataTypeE0ELb0EEEvPT_PKS3_PKT0_S9_ifPKiSB_iPKfiiiSD_SD_iiiii,comdat
.Lfunc_end153:
	.size	_ZN4vllm25paged_attention_v1_kernelI14__hip_bfloat16S1_Li32ELi32ELi128ELNS_18Fp8KVCacheDataTypeE0ELb0EEEvPT_PKS3_PKT0_S9_ifPKiSB_iPKfiiiSD_SD_iiiii, .Lfunc_end153-_ZN4vllm25paged_attention_v1_kernelI14__hip_bfloat16S1_Li32ELi32ELi128ELNS_18Fp8KVCacheDataTypeE0ELb0EEEvPT_PKS3_PKT0_S9_ifPKiSB_iPKfiiiSD_SD_iiiii
                                        ; -- End function
	.set _ZN4vllm25paged_attention_v1_kernelI14__hip_bfloat16S1_Li32ELi32ELi128ELNS_18Fp8KVCacheDataTypeE0ELb0EEEvPT_PKS3_PKT0_S9_ifPKiSB_iPKfiiiSD_SD_iiiii.num_vgpr, 48
	.set _ZN4vllm25paged_attention_v1_kernelI14__hip_bfloat16S1_Li32ELi32ELi128ELNS_18Fp8KVCacheDataTypeE0ELb0EEEvPT_PKS3_PKT0_S9_ifPKiSB_iPKfiiiSD_SD_iiiii.num_agpr, 0
	.set _ZN4vllm25paged_attention_v1_kernelI14__hip_bfloat16S1_Li32ELi32ELi128ELNS_18Fp8KVCacheDataTypeE0ELb0EEEvPT_PKS3_PKT0_S9_ifPKiSB_iPKfiiiSD_SD_iiiii.numbered_sgpr, 34
	.set _ZN4vllm25paged_attention_v1_kernelI14__hip_bfloat16S1_Li32ELi32ELi128ELNS_18Fp8KVCacheDataTypeE0ELb0EEEvPT_PKS3_PKT0_S9_ifPKiSB_iPKfiiiSD_SD_iiiii.num_named_barrier, 0
	.set _ZN4vllm25paged_attention_v1_kernelI14__hip_bfloat16S1_Li32ELi32ELi128ELNS_18Fp8KVCacheDataTypeE0ELb0EEEvPT_PKS3_PKT0_S9_ifPKiSB_iPKfiiiSD_SD_iiiii.private_seg_size, 0
	.set _ZN4vllm25paged_attention_v1_kernelI14__hip_bfloat16S1_Li32ELi32ELi128ELNS_18Fp8KVCacheDataTypeE0ELb0EEEvPT_PKS3_PKT0_S9_ifPKiSB_iPKfiiiSD_SD_iiiii.uses_vcc, 1
	.set _ZN4vllm25paged_attention_v1_kernelI14__hip_bfloat16S1_Li32ELi32ELi128ELNS_18Fp8KVCacheDataTypeE0ELb0EEEvPT_PKS3_PKT0_S9_ifPKiSB_iPKfiiiSD_SD_iiiii.uses_flat_scratch, 0
	.set _ZN4vllm25paged_attention_v1_kernelI14__hip_bfloat16S1_Li32ELi32ELi128ELNS_18Fp8KVCacheDataTypeE0ELb0EEEvPT_PKS3_PKT0_S9_ifPKiSB_iPKfiiiSD_SD_iiiii.has_dyn_sized_stack, 0
	.set _ZN4vllm25paged_attention_v1_kernelI14__hip_bfloat16S1_Li32ELi32ELi128ELNS_18Fp8KVCacheDataTypeE0ELb0EEEvPT_PKS3_PKT0_S9_ifPKiSB_iPKfiiiSD_SD_iiiii.has_recursion, 0
	.set _ZN4vllm25paged_attention_v1_kernelI14__hip_bfloat16S1_Li32ELi32ELi128ELNS_18Fp8KVCacheDataTypeE0ELb0EEEvPT_PKS3_PKT0_S9_ifPKiSB_iPKfiiiSD_SD_iiiii.has_indirect_call, 0
	.section	.AMDGPU.csdata,"",@progbits
; Kernel info:
; codeLenInByte = 4396
; TotalNumSgprs: 38
; NumVgprs: 48
; ScratchSize: 0
; MemoryBound: 0
; FloatMode: 240
; IeeeMode: 1
; LDSByteSize: 80 bytes/workgroup (compile time only)
; SGPRBlocks: 4
; VGPRBlocks: 11
; NumSGPRsForWavesPerEU: 38
; NumVGPRsForWavesPerEU: 48
; Occupancy: 5
; WaveLimiterHint : 1
; COMPUTE_PGM_RSRC2:SCRATCH_EN: 0
; COMPUTE_PGM_RSRC2:USER_SGPR: 6
; COMPUTE_PGM_RSRC2:TRAP_HANDLER: 0
; COMPUTE_PGM_RSRC2:TGID_X_EN: 1
; COMPUTE_PGM_RSRC2:TGID_Y_EN: 1
; COMPUTE_PGM_RSRC2:TGID_Z_EN: 1
; COMPUTE_PGM_RSRC2:TIDIG_COMP_CNT: 0
	.section	.text._ZN4vllm25paged_attention_v1_kernelI14__hip_bfloat16S1_Li64ELi32ELi128ELNS_18Fp8KVCacheDataTypeE0ELb0EEEvPT_PKS3_PKT0_S9_ifPKiSB_iPKfiiiSD_SD_iiiii,"axG",@progbits,_ZN4vllm25paged_attention_v1_kernelI14__hip_bfloat16S1_Li64ELi32ELi128ELNS_18Fp8KVCacheDataTypeE0ELb0EEEvPT_PKS3_PKT0_S9_ifPKiSB_iPKfiiiSD_SD_iiiii,comdat
	.protected	_ZN4vllm25paged_attention_v1_kernelI14__hip_bfloat16S1_Li64ELi32ELi128ELNS_18Fp8KVCacheDataTypeE0ELb0EEEvPT_PKS3_PKT0_S9_ifPKiSB_iPKfiiiSD_SD_iiiii ; -- Begin function _ZN4vllm25paged_attention_v1_kernelI14__hip_bfloat16S1_Li64ELi32ELi128ELNS_18Fp8KVCacheDataTypeE0ELb0EEEvPT_PKS3_PKT0_S9_ifPKiSB_iPKfiiiSD_SD_iiiii
	.globl	_ZN4vllm25paged_attention_v1_kernelI14__hip_bfloat16S1_Li64ELi32ELi128ELNS_18Fp8KVCacheDataTypeE0ELb0EEEvPT_PKS3_PKT0_S9_ifPKiSB_iPKfiiiSD_SD_iiiii
	.p2align	8
	.type	_ZN4vllm25paged_attention_v1_kernelI14__hip_bfloat16S1_Li64ELi32ELi128ELNS_18Fp8KVCacheDataTypeE0ELb0EEEvPT_PKS3_PKT0_S9_ifPKiSB_iPKfiiiSD_SD_iiiii,@function
_ZN4vllm25paged_attention_v1_kernelI14__hip_bfloat16S1_Li64ELi32ELi128ELNS_18Fp8KVCacheDataTypeE0ELb0EEEvPT_PKS3_PKT0_S9_ifPKiSB_iPKfiiiSD_SD_iiiii: ; @_ZN4vllm25paged_attention_v1_kernelI14__hip_bfloat16S1_Li64ELi32ELi128ELNS_18Fp8KVCacheDataTypeE0ELb0EEEvPT_PKS3_PKT0_S9_ifPKiSB_iPKfiiiSD_SD_iiiii
; %bb.0:
	s_mov_b64 s[38:39], s[2:3]
	s_mov_b64 s[36:37], s[0:1]
	s_add_u32 s36, s36, s9
	s_load_dword s9, s[4:5], 0x80
	s_load_dwordx2 s[0:1], s[4:5], 0x30
	s_load_dwordx2 s[26:27], s[4:5], 0x20
	s_addc_u32 s37, s37, 0
	s_mov_b32 s10, s7
	s_ashr_i32 s11, s7, 31
	s_lshl_b64 s[2:3], s[10:11], 2
	s_waitcnt lgkmcnt(0)
	s_add_u32 s0, s0, s2
	s_addc_u32 s1, s1, s3
	s_abs_i32 s2, s26
	v_cvt_f32_u32_e32 v1, s2
	s_sub_i32 s11, 0, s2
	s_abs_i32 s7, s9
	s_xor_b32 s3, s9, s26
	v_rcp_iflag_f32_e32 v1, v1
	s_ashr_i32 s3, s3, 31
	v_mov_b32_e32 v50, v0
	s_mov_b32 s26, 0
	v_mul_f32_e32 v1, 0x4f7ffffe, v1
	v_cvt_u32_f32_e32 v1, v1
	v_readfirstlane_b32 s12, v1
	s_mul_i32 s11, s11, s12
	s_mul_hi_u32 s11, s12, s11
	s_add_i32 s12, s12, s11
	s_mul_hi_u32 s11, s7, s12
	s_mul_i32 s12, s11, s2
	s_sub_i32 s7, s7, s12
	s_add_i32 s12, s11, 1
	s_sub_i32 s13, s7, s2
	s_cmp_ge_u32 s7, s2
	s_cselect_b32 s11, s12, s11
	s_cselect_b32 s7, s13, s7
	s_add_i32 s12, s11, 1
	s_cmp_ge_u32 s7, s2
	s_cselect_b32 s2, s12, s11
	s_xor_b32 s2, s2, s3
	s_sub_i32 s12, s2, s3
	s_abs_i32 s11, s12
	v_cvt_f32_u32_e32 v1, s11
	s_load_dwordx2 s[2:3], s[4:5], 0x40
	s_sub_i32 s7, 0, s11
	s_abs_i32 s18, s6
	v_rcp_iflag_f32_e32 v1, v1
	v_mul_f32_e32 v1, 0x4f7ffffe, v1
	v_cvt_u32_f32_e32 v1, v1
	v_readfirstlane_b32 s13, v1
	s_mul_i32 s7, s7, s13
	s_mul_hi_u32 s7, s13, s7
	s_add_i32 s13, s13, s7
	s_waitcnt lgkmcnt(0)
	s_cmp_eq_u64 s[2:3], 0
	s_mul_hi_u32 s19, s18, s13
	s_cbranch_scc1 .LBB154_2
; %bb.1:
	s_ashr_i32 s7, s6, 31
	s_lshl_b64 s[14:15], s[6:7], 2
	s_add_u32 s2, s2, s14
	s_addc_u32 s3, s3, s15
	s_load_dword s26, s[2:3], 0x0
.LBB154_2:
	s_load_dword s33, s[0:1], 0x0
	s_ashr_i32 s3, s12, 31
	s_load_dwordx4 s[12:15], s[4:5], 0x48
	s_ashr_i32 s2, s6, 31
	v_and_b32_e32 v1, 1, v50
	s_lshl_b32 s16, s6, 6
	v_cmp_gt_u32_e32 vcc, 16, v50
	v_lshlrev_b32_e32 v11, 3, v50
	s_and_saveexec_b64 s[0:1], vcc
	s_cbranch_execz .LBB154_4
; %bb.3:
	s_load_dwordx2 s[6:7], s[4:5], 0x8
	s_waitcnt lgkmcnt(0)
	s_mul_i32 s20, s12, s10
	s_ashr_i32 s21, s20, 31
	s_lshl_b64 s[20:21], s[20:21], 1
	v_lshlrev_b32_e32 v4, 2, v50
	s_add_u32 s12, s6, s20
	s_addc_u32 s15, s7, s21
	s_ashr_i32 s17, s16, 31
	s_lshl_b64 s[6:7], s[16:17], 1
	s_add_u32 s6, s12, s6
	s_addc_u32 s7, s15, s7
	global_load_dwordx2 v[2:3], v11, s[6:7]
	v_and_b32_e32 v4, 0xff8, v4
	v_lshl_add_u32 v4, v1, 6, v4
	s_waitcnt vmcnt(0)
	ds_write_b64 v4, v[2:3]
.LBB154_4:
	s_or_b64 exec, exec, s[0:1]
	s_waitcnt lgkmcnt(0)
	s_add_i32 s1, s33, 31
	s_ashr_i32 s6, s1, 31
	s_lshr_b32 s6, s6, 27
	s_add_i32 s1, s1, s6
	s_ashr_i32 s17, s1, 5
	s_xor_b32 s1, s2, s3
	s_mul_i32 s2, s19, s11
	s_sub_i32 s2, s18, s2
	s_add_i32 s3, s19, 1
	s_sub_i32 s6, s2, s11
	s_load_dwordx2 s[20:21], s[4:5], 0x28
	s_load_dword s0, s[4:5], 0x38
	s_cmp_ge_u32 s2, s11
	s_cselect_b32 s3, s3, s19
	s_cselect_b32 s2, s6, s2
	s_add_i32 s6, s3, 1
	s_cmp_ge_u32 s2, s11
	s_cselect_b32 s2, s6, s3
	v_lshrrev_b32_e32 v27, 6, v50
	s_xor_b32 s2, s2, s1
	s_waitcnt lgkmcnt(0)
	s_mul_i32 s22, s0, s10
	s_sub_i32 s12, s2, s1
	s_ashr_i32 s23, s22, 31
	v_cmp_gt_i32_e64 s[0:1], s17, v27
	v_cmp_le_i32_e32 vcc, s17, v27
	v_mbcnt_lo_u32_b32 v3, -1, 0
	s_barrier
                                        ; implicit-def: $vgpr13
                                        ; implicit-def: $vgpr9
                                        ; implicit-def: $vgpr0
	s_and_saveexec_b64 s[2:3], vcc
	s_xor_b64 s[2:3], exec, s[2:3]
; %bb.5:
	v_mbcnt_hi_u32_b32 v13, -1, v3
	v_and_b32_e32 v9, 64, v13
	v_add_u32_e32 v0, 64, v9
                                        ; implicit-def: $vgpr1
                                        ; implicit-def: $vgpr3
; %bb.6:
	s_or_saveexec_b64 s[6:7], s[2:3]
	s_load_dwordx2 s[18:19], s[4:5], 0x0
	s_load_dwordx2 s[24:25], s[4:5], 0x18
	s_load_dword s11, s[4:5], 0x88
	v_mov_b32_e32 v49, 0xff7fffff
	s_mul_i32 s14, s12, s14
	v_lshrrev_b32_e32 v12, 4, v50
	s_xor_b64 exec, exec, s[6:7]
	s_cbranch_execz .LBB154_12
; %bb.7:
	v_lshlrev_b32_e32 v2, 6, v1
	ds_read_b128 v[4:7], v2
	ds_read_b128 v[29:32], v2 offset:16
	s_load_dwordx2 s[2:3], s[4:5], 0x10
	s_ashr_i32 s15, s14, 31
	s_lshl_b64 s[4:5], s[14:15], 1
	s_waitcnt lgkmcnt(0)
	v_lshlrev_b32_e32 v16, 16, v4
	v_and_b32_e32 v17, 0xffff0000, v4
	v_lshlrev_b32_e32 v18, 16, v5
	v_and_b32_e32 v19, 0xffff0000, v5
	;; [unrolled: 2-line block ×4, first 2 shown]
	ds_read_b128 v[4:7], v2 offset:32
	ds_read_b128 v[45:48], v2 offset:48
	s_add_u32 s2, s2, s4
	s_addc_u32 s3, s3, s5
	s_sub_i32 s12, 1, s33
	s_waitcnt lgkmcnt(1)
	v_lshlrev_b32_e32 v33, 16, v4
	v_and_b32_e32 v34, 0xffff0000, v4
	v_bfe_u32 v4, v50, 1, 5
	v_lshlrev_b32_e32 v2, 4, v4
	v_lshlrev_b32_e32 v35, 16, v5
	v_and_b32_e32 v36, 0xffff0000, v5
	v_lshlrev_b32_e32 v37, 16, v6
	v_and_b32_e32 v38, 0xffff0000, v6
	v_mov_b32_e32 v5, s3
	v_add_co_u32_e32 v6, vcc, s2, v2
	s_lshl_b64 s[2:3], s[22:23], 2
	v_addc_co_u32_e32 v5, vcc, 0, v5, vcc
	s_add_u32 s2, s20, s2
	v_cmp_eq_u32_e32 vcc, 0, v1
	s_addc_u32 s3, s21, s3
	v_and_b32_e32 v1, 60, v12
	v_mov_b32_e32 v2, s3
	v_add_co_u32_e64 v1, s[2:3], s2, v1
	v_lshlrev_b32_e32 v39, 16, v7
	v_and_b32_e32 v40, 0xffff0000, v7
	v_and_b32_e32 v7, 8, v11
	v_addc_co_u32_e64 v2, s[2:3], 0, v2, s[2:3]
	v_mbcnt_hi_u32_b32 v13, -1, v3
	buffer_store_dword v50, off, s[36:39], 0 ; 4-byte Folded Spill
	v_add_co_u32_e64 v50, s[2:3], v6, v7
	v_and_b32_e32 v0, 64, v13
	v_addc_co_u32_e64 v51, s[2:3], 0, v5, s[2:3]
	v_xor_b32_e32 v3, 1, v13
	v_add_u32_e32 v0, 64, v0
	v_cmp_lt_i32_e64 s[2:3], v3, v0
	v_cndmask_b32_e64 v3, v13, v3, s[2:3]
	v_lshlrev_b32_e32 v52, 2, v3
	v_lshlrev_b32_e32 v3, 2, v4
	v_lshl_or_b32 v3, v27, 7, v3
	v_lshlrev_b32_e32 v24, 16, v29
	v_and_b32_e32 v25, 0xffff0000, v29
	v_lshlrev_b32_e32 v26, 16, v30
	v_and_b32_e32 v28, 0xffff0000, v30
	;; [unrolled: 2-line block ×4, first 2 shown]
	s_waitcnt lgkmcnt(0)
	v_lshlrev_b32_e32 v41, 16, v45
	v_and_b32_e32 v42, 0xffff0000, v45
	v_lshlrev_b32_e32 v43, 16, v46
	v_and_b32_e32 v44, 0xffff0000, v46
	;; [unrolled: 2-line block ×4, first 2 shown]
	s_mov_b32 s15, s13
	v_cmp_neq_f32_e64 s[2:3], s26, 0
	v_lshl_or_b32 v53, v27, 5, v4
	v_add_u32_e32 v54, 0x90, v3
	s_mov_b64 s[28:29], 0
	v_mov_b32_e32 v49, 0xff7fffff
	v_mov_b32_e32 v55, v27
	buffer_store_dword v11, off, s[36:39], 0 offset:4 ; 4-byte Folded Spill
	buffer_store_dword v12, off, s[36:39], 0 offset:8 ; 4-byte Folded Spill
	s_branch .LBB154_9
.LBB154_8:                              ;   in Loop: Header=BB154_9 Depth=1
	s_or_b64 exec, exec, s[30:31]
	v_add_u32_e32 v55, 2, v55
	v_cmp_le_i32_e64 s[4:5], s17, v55
	s_or_b64 s[28:29], s[4:5], s[28:29]
	v_add_co_u32_e64 v1, s[4:5], 8, v1
	v_add_u32_e32 v53, 64, v53
	v_add_u32_e32 v54, 0x100, v54
	v_addc_co_u32_e64 v2, s[4:5], 0, v2, s[4:5]
	s_andn2_b64 exec, exec, s[28:29]
	s_cbranch_execz .LBB154_11
.LBB154_9:                              ; =>This Inner Loop Header: Depth=1
	global_load_dword v3, v[1:2], off
	s_waitcnt vmcnt(0) lgkmcnt(0)
	v_mad_i64_i32 v[3:4], s[4:5], v3, s15, 0
	v_lshlrev_b64 v[3:4], 1, v[3:4]
	v_add_co_u32_e64 v3, s[4:5], v50, v3
	v_addc_co_u32_e64 v4, s[4:5], v51, v4, s[4:5]
	global_load_dwordx2 v[56:57], v[3:4], off
	global_load_dwordx2 v[58:59], v[3:4], off offset:512
	global_load_dwordx2 v[60:61], v[3:4], off offset:1024
	global_load_dwordx2 v[62:63], v[3:4], off offset:1536
	global_load_dwordx2 v[9:10], v[3:4], off offset:2048
	global_load_dwordx2 v[7:8], v[3:4], off offset:2560
	global_load_dwordx2 v[5:6], v[3:4], off offset:3072
	s_nop 0
	global_load_dwordx2 v[3:4], v[3:4], off offset:3584
	s_waitcnt vmcnt(7)
	v_lshlrev_b32_e32 v14, 16, v57
	v_and_b32_e32 v15, 0xffff0000, v57
	s_waitcnt vmcnt(6)
	v_and_b32_e32 v57, 0xffff0000, v58
	v_lshlrev_b32_e32 v12, 16, v56
	v_and_b32_e32 v11, 0xffff0000, v56
	v_lshlrev_b32_e32 v56, 16, v58
	v_mul_f32_e32 v57, v21, v57
	v_mul_f32_e32 v56, v20, v56
	v_fmac_f32_e32 v57, v17, v11
	v_lshlrev_b32_e32 v11, 16, v59
	v_fmac_f32_e32 v56, v16, v12
	v_and_b32_e32 v12, 0xffff0000, v59
	v_mul_f32_e32 v58, v22, v11
	s_waitcnt vmcnt(5)
	v_lshlrev_b32_e32 v11, 16, v60
	v_fmac_f32_e32 v58, v18, v14
	v_mul_f32_e32 v59, v23, v12
	v_and_b32_e32 v12, 0xffff0000, v60
	v_fmac_f32_e32 v56, v24, v11
	v_lshlrev_b32_e32 v11, 16, v61
	v_fmac_f32_e32 v59, v19, v15
	v_fmac_f32_e32 v57, v25, v12
	v_and_b32_e32 v12, 0xffff0000, v61
	v_fmac_f32_e32 v58, v26, v11
	s_waitcnt vmcnt(4)
	v_lshlrev_b32_e32 v11, 16, v62
	v_fmac_f32_e32 v59, v28, v12
	v_and_b32_e32 v12, 0xffff0000, v62
	v_fmac_f32_e32 v56, v29, v11
	v_lshlrev_b32_e32 v11, 16, v63
	v_fmac_f32_e32 v57, v30, v12
	v_fmac_f32_e32 v58, v31, v11
	s_waitcnt vmcnt(3)
	v_lshlrev_b32_e32 v11, 16, v9
	v_and_b32_e32 v9, 0xffff0000, v9
	v_fmac_f32_e32 v57, v34, v9
	v_lshlrev_b32_e32 v9, 16, v10
	v_fmac_f32_e32 v58, v35, v9
	s_waitcnt vmcnt(2)
	v_lshlrev_b32_e32 v9, 16, v7
	v_and_b32_e32 v7, 0xffff0000, v7
	v_fmac_f32_e32 v57, v38, v7
	v_lshlrev_b32_e32 v7, 16, v8
	v_and_b32_e32 v12, 0xffff0000, v63
	v_fmac_f32_e32 v56, v33, v11
	v_fmac_f32_e32 v58, v39, v7
	s_waitcnt vmcnt(1)
	v_lshlrev_b32_e32 v7, 16, v5
	v_and_b32_e32 v5, 0xffff0000, v5
	v_fmac_f32_e32 v59, v32, v12
	v_and_b32_e32 v10, 0xffff0000, v10
	v_fmac_f32_e32 v56, v37, v9
	v_fmac_f32_e32 v57, v42, v5
	v_lshlrev_b32_e32 v5, 16, v6
	v_fmac_f32_e32 v59, v36, v10
	v_and_b32_e32 v8, 0xffff0000, v8
	v_fmac_f32_e32 v56, v41, v7
	v_fmac_f32_e32 v58, v43, v5
	s_waitcnt vmcnt(0)
	v_lshlrev_b32_e32 v5, 16, v3
	v_and_b32_e32 v3, 0xffff0000, v3
	v_fmac_f32_e32 v59, v40, v8
	v_and_b32_e32 v6, 0xffff0000, v6
	v_fmac_f32_e32 v56, v45, v5
	v_fmac_f32_e32 v57, v46, v3
	v_lshlrev_b32_e32 v3, 16, v4
	v_fmac_f32_e32 v59, v44, v6
	v_and_b32_e32 v4, 0xffff0000, v4
	v_fmac_f32_e32 v58, v47, v3
	v_add_f32_e32 v3, v56, v57
	v_fmac_f32_e32 v59, v48, v4
	v_add_f32_e32 v3, v3, v58
	v_add_f32_e32 v3, v59, v3
	ds_bpermute_b32 v4, v52, v3
	s_and_saveexec_b64 s[30:31], vcc
	s_cbranch_execz .LBB154_8
; %bb.10:                               ;   in Loop: Header=BB154_9 Depth=1
	v_add_u32_e32 v5, s12, v53
	v_cvt_f32_i32_e32 v5, v5
	s_waitcnt lgkmcnt(0)
	v_add_f32_e32 v3, v3, v4
	v_cmp_gt_i32_e64 s[4:5], s33, v53
	v_max_f32_e32 v4, v49, v49
	v_mul_f32_e32 v5, s26, v5
	v_cndmask_b32_e64 v5, 0, v5, s[2:3]
	v_fmac_f32_e32 v5, s27, v3
	v_cndmask_b32_e64 v3, 0, v5, s[4:5]
	ds_write_b32 v54, v3
	v_max_f32_e32 v3, v4, v5
	v_cndmask_b32_e64 v49, v49, v3, s[4:5]
	s_branch .LBB154_8
.LBB154_11:
	s_or_b64 exec, exec, s[28:29]
	buffer_load_dword v50, off, s[36:39], 0 ; 4-byte Folded Reload
	buffer_load_dword v11, off, s[36:39], 0 offset:4 ; 4-byte Folded Reload
	buffer_load_dword v12, off, s[36:39], 0 offset:8 ; 4-byte Folded Reload
	v_and_b32_e32 v9, 64, v13
.LBB154_12:
	s_or_b64 exec, exec, s[6:7]
	v_xor_b32_e32 v1, 32, v13
	v_cmp_lt_i32_e32 vcc, v1, v0
	v_cndmask_b32_e32 v1, v13, v1, vcc
	v_lshlrev_b32_e32 v1, 2, v1
	ds_bpermute_b32 v2, v1, v49
	s_waitcnt lgkmcnt(0)
	v_xor_b32_e32 v4, 16, v13
	v_max_f32_e32 v3, v49, v49
	v_cmp_lt_i32_e32 vcc, v4, v0
	v_xor_b32_e32 v5, 8, v13
	v_max_f32_e32 v2, v2, v2
	v_max_f32_e32 v3, v3, v2
	v_cndmask_b32_e32 v2, v13, v4, vcc
	v_lshlrev_b32_e32 v2, 2, v2
	ds_bpermute_b32 v4, v2, v3
	v_cmp_lt_i32_e32 vcc, v5, v0
	v_xor_b32_e32 v6, 4, v13
	v_xor_b32_e32 v7, 2, v13
	s_waitcnt vmcnt(2)
	v_and_b32_e32 v28, 63, v50
	s_waitcnt lgkmcnt(0)
	v_max_f32_e32 v4, v4, v4
	v_max_f32_e32 v4, v3, v4
	v_cndmask_b32_e32 v3, v13, v5, vcc
	v_lshlrev_b32_e32 v3, 2, v3
	ds_bpermute_b32 v5, v3, v4
	v_cmp_lt_i32_e32 vcc, v6, v0
	s_waitcnt lgkmcnt(0)
	v_max_f32_e32 v5, v5, v5
	v_max_f32_e32 v5, v4, v5
	v_cndmask_b32_e32 v4, v13, v6, vcc
	v_lshlrev_b32_e32 v4, 2, v4
	ds_bpermute_b32 v6, v4, v5
	v_cmp_lt_i32_e32 vcc, v7, v0
	s_waitcnt lgkmcnt(0)
	v_max_f32_e32 v6, v6, v6
	v_max_f32_e32 v6, v5, v6
	v_cndmask_b32_e32 v5, v13, v7, vcc
	v_lshlrev_b32_e32 v29, 2, v5
	ds_bpermute_b32 v7, v29, v6
	v_cmp_eq_u32_e32 vcc, 0, v28
	v_lshlrev_b32_e32 v5, 2, v27
	s_and_saveexec_b64 s[2:3], vcc
	s_cbranch_execz .LBB154_14
; %bb.13:
	s_waitcnt lgkmcnt(0)
	v_max_f32_e32 v7, v7, v7
	v_max_f32_e32 v6, v6, v6
	;; [unrolled: 1-line block ×3, first 2 shown]
	ds_write_b32 v5, v6 offset:128
.LBB154_14:
	s_or_b64 exec, exec, s[2:3]
	v_cmp_gt_u32_e64 s[2:3], 2, v28
	s_waitcnt lgkmcnt(0)
	v_mov_b32_e32 v7, 0xff7fffff
	v_lshlrev_b32_e32 v6, 2, v28
	s_waitcnt vmcnt(0)
	s_barrier
	s_and_saveexec_b64 s[4:5], s[2:3]
; %bb.15:
	ds_read_b32 v7, v6 offset:128
; %bb.16:
	s_or_b64 exec, exec, s[4:5]
	v_xor_b32_e32 v8, 1, v13
	v_cmp_lt_i32_e64 s[4:5], v8, v0
	v_cndmask_b32_e64 v0, v13, v8, s[4:5]
	v_lshlrev_b32_e32 v30, 2, v0
	s_waitcnt lgkmcnt(0)
	ds_bpermute_b32 v0, v30, v7
	v_max_f32_e32 v7, v7, v7
	s_lshl_b32 s4, s17, 5
	s_min_i32 s12, s4, s33
	v_cmp_gt_i32_e64 s[4:5], s12, v50
	s_waitcnt lgkmcnt(0)
	v_max_f32_e32 v0, v0, v0
	v_max_f32_e32 v0, v7, v0
	v_lshlrev_b32_e32 v7, 2, v9
	ds_bpermute_b32 v8, v7, v0
	v_mov_b32_e32 v7, 0
	s_and_saveexec_b64 s[26:27], s[4:5]
	s_cbranch_execz .LBB154_20
; %bb.17:
	v_mov_b32_e32 v0, 0x90
	v_lshl_add_u32 v9, v50, 2, v0
	v_mov_b32_e32 v7, 0
	s_mov_b64 s[28:29], 0
	v_mov_b32_e32 v10, v50
.LBB154_18:                             ; =>This Inner Loop Header: Depth=1
	ds_read_b32 v0, v9
	v_add_u32_e32 v10, 0x80, v10
	v_cmp_le_i32_e64 s[6:7], s12, v10
	s_or_b64 s[28:29], s[6:7], s[28:29]
	s_waitcnt lgkmcnt(0)
	v_sub_f32_e32 v0, v0, v8
	v_mul_f32_e32 v0, 0x3fb8aa3b, v0
	v_exp_f32_e32 v0, v0
	ds_write_b32 v9, v0
	v_add_f32_e32 v7, v7, v0
	v_add_u32_e32 v9, 0x200, v9
	s_andn2_b64 exec, exec, s[28:29]
	s_cbranch_execnz .LBB154_18
; %bb.19:
	s_or_b64 exec, exec, s[28:29]
.LBB154_20:
	s_or_b64 exec, exec, s[26:27]
	ds_bpermute_b32 v0, v1, v7
	s_waitcnt lgkmcnt(0)
	v_add_f32_e32 v0, v7, v0
	ds_bpermute_b32 v1, v2, v0
	s_waitcnt lgkmcnt(0)
	v_add_f32_e32 v0, v0, v1
	;; [unrolled: 3-line block ×6, first 2 shown]
	s_and_saveexec_b64 s[6:7], vcc
; %bb.21:
	ds_write_b32 v5, v1 offset:136
; %bb.22:
	s_or_b64 exec, exec, s[6:7]
	s_waitcnt lgkmcnt(0)
	s_barrier
	s_and_saveexec_b64 s[6:7], s[2:3]
; %bb.23:
	ds_read_b32 v1, v6 offset:136
; %bb.24:
	s_or_b64 exec, exec, s[6:7]
	s_waitcnt lgkmcnt(0)
	ds_bpermute_b32 v0, v30, v1
	v_lshlrev_b32_e32 v2, 2, v13
	s_waitcnt lgkmcnt(0)
	v_add_f32_e32 v0, v1, v0
	v_and_b32_e32 v1, 0xffffff00, v2
	ds_bpermute_b32 v1, v1, v0
	s_and_saveexec_b64 s[2:3], s[4:5]
	s_cbranch_execz .LBB154_27
; %bb.25:
	s_waitcnt lgkmcnt(0)
	v_add_f32_e32 v0, 0x358637bd, v1
	v_div_scale_f32 v1, s[4:5], v0, v0, 1.0
	v_div_scale_f32 v2, vcc, 1.0, v0, 1.0
	s_mov_b64 s[4:5], 0
	v_rcp_f32_e32 v3, v1
	v_fma_f32 v4, -v1, v3, 1.0
	v_fmac_f32_e32 v3, v4, v3
	v_mul_f32_e32 v4, v2, v3
	v_fma_f32 v5, -v1, v4, v2
	v_fmac_f32_e32 v4, v5, v3
	v_fma_f32 v1, -v1, v4, v2
	v_div_fmas_f32 v2, v1, v3, v4
	v_mov_b32_e32 v1, 0x90
	v_lshl_add_u32 v1, v50, 2, v1
	v_mov_b32_e32 v3, v50
	v_div_fixup_f32 v2, v2, v0, 1.0
.LBB154_26:                             ; =>This Inner Loop Header: Depth=1
	ds_read_b32 v0, v1
	v_add_u32_e32 v3, 0x80, v3
	v_cmp_le_i32_e32 vcc, s12, v3
	s_or_b64 s[4:5], vcc, s[4:5]
	s_waitcnt lgkmcnt(0)
	v_mul_f32_e32 v0, v2, v0
	ds_write_b32 v1, v0
	v_add_u32_e32 v1, 0x200, v1
	s_andn2_b64 exec, exec, s[4:5]
	s_cbranch_execnz .LBB154_26
.LBB154_27:
	s_or_b64 exec, exec, s[2:3]
	v_mov_b32_e32 v34, 0
	v_and_b32_e32 v31, 3, v50
	v_mov_b32_e32 v35, 0
	v_mov_b32_e32 v33, 0
	;; [unrolled: 1-line block ×3, first 2 shown]
	s_waitcnt lgkmcnt(0)
	s_barrier
	s_and_saveexec_b64 s[4:5], s[0:1]
	s_cbranch_execz .LBB154_39
; %bb.28:
	s_ashr_i32 s15, s14, 31
	s_lshl_b64 s[0:1], s[14:15], 1
	s_add_u32 s0, s24, s0
	v_lshlrev_b32_e32 v1, 4, v50
	v_and_b32_e32 v0, 24, v11
	s_addc_u32 s1, s25, s1
	v_and_b32_e32 v1, 0x3f0, v1
	s_add_i32 s14, s17, -1
	v_mov_b32_e32 v2, s1
	v_add_co_u32_e32 v37, vcc, s0, v1
	v_lshl_or_b32 v39, v27, 5, v0
	v_lshlrev_b32_e32 v0, 5, v31
	s_lshl_b64 s[0:1], s[22:23], 2
	v_lshl_or_b32 v0, v27, 7, v0
	s_add_u32 s0, s20, s0
	v_addc_co_u32_e32 v38, vcc, 0, v2, vcc
	v_add_u32_e32 v40, 0x90, v0
	v_and_b32_e32 v0, 60, v12
	s_addc_u32 s1, s21, s1
	v_mov_b32_e32 v1, s1
	v_add_co_u32_e32 v25, vcc, s0, v0
	s_mov_b32 s26, s13
	v_mov_b32_e32 v36, 0
	s_mov_b32 s15, s33
	v_addc_co_u32_e32 v26, vcc, 0, v1, vcc
	s_mov_b64 s[6:7], 0
	s_mov_b32 s20, 0x5040100
	s_movk_i32 s21, 0x7fff
	v_mov_b32_e32 v32, 0
	v_mov_b32_e32 v33, 0
	;; [unrolled: 1-line block ×4, first 2 shown]
	s_branch .LBB154_30
.LBB154_29:                             ;   in Loop: Header=BB154_30 Depth=1
	s_or_b64 exec, exec, s[2:3]
	s_waitcnt lgkmcnt(1)
	v_bfe_u32 v0, v17, 16, 1
	v_add3_u32 v0, v0, v17, s21
	v_or_b32_e32 v41, 0x400000, v17
	v_cmp_u_f32_e32 vcc, v17, v17
	v_bfe_u32 v17, v18, 16, 1
	v_cndmask_b32_e32 v0, v0, v41, vcc
	v_add3_u32 v17, v17, v18, s21
	v_or_b32_e32 v41, 0x400000, v18
	v_cmp_u_f32_e32 vcc, v18, v18
	v_bfe_u32 v18, v19, 16, 1
	v_cndmask_b32_e32 v17, v17, v41, vcc
	;; [unrolled: 5-line block ×3, first 2 shown]
	v_add3_u32 v19, v19, v20, s21
	v_or_b32_e32 v41, 0x400000, v20
	v_cmp_u_f32_e32 vcc, v20, v20
	s_waitcnt lgkmcnt(0)
	v_bfe_u32 v20, v13, 16, 1
	v_cndmask_b32_e32 v19, v19, v41, vcc
	v_add3_u32 v20, v20, v13, s21
	v_or_b32_e32 v41, 0x400000, v13
	v_cmp_u_f32_e32 vcc, v13, v13
	v_bfe_u32 v13, v14, 16, 1
	v_cndmask_b32_e32 v20, v20, v41, vcc
	v_add3_u32 v13, v13, v14, s21
	v_or_b32_e32 v41, 0x400000, v14
	v_cmp_u_f32_e32 vcc, v14, v14
	v_cndmask_b32_e32 v41, v13, v41, vcc
	v_bfe_u32 v13, v15, 16, 1
	v_add3_u32 v13, v13, v15, s21
	v_or_b32_e32 v14, 0x400000, v15
	v_cmp_u_f32_e32 vcc, v15, v15
	v_cndmask_b32_e32 v42, v13, v14, vcc
	v_bfe_u32 v13, v16, 16, 1
	v_add3_u32 v13, v13, v16, s21
	v_or_b32_e32 v14, 0x400000, v16
	v_cmp_u_f32_e32 vcc, v16, v16
	v_cndmask_b32_e32 v16, v13, v14, vcc
	v_and_b32_e32 v13, 0xffff0000, v17
	s_waitcnt vmcnt(1)
	v_and_b32_e32 v14, 0xffff0000, v21
	v_mul_f32_e32 v14, v13, v14
	v_bfe_u32 v15, v14, 16, 1
	v_add3_u32 v15, v15, v14, s21
	v_or_b32_e32 v17, 0x400000, v14
	v_cmp_u_f32_e32 vcc, v14, v14
	v_cndmask_b32_e32 v43, v15, v17, vcc
	v_and_b32_e32 v17, 0xffff0000, v0
	v_lshlrev_b32_e32 v0, 16, v21
	v_mul_f32_e32 v0, v17, v0
	v_bfe_u32 v14, v0, 16, 1
	v_add3_u32 v14, v14, v0, s21
	v_or_b32_e32 v15, 0x400000, v0
	v_cmp_u_f32_e32 vcc, v0, v0
	v_cndmask_b32_e32 v0, v14, v15, vcc
	v_and_b32_e32 v14, 0xffff0000, v19
	v_and_b32_e32 v15, 0xffff0000, v22
	v_mul_f32_e32 v15, v14, v15
	v_bfe_u32 v19, v15, 16, 1
	v_add3_u32 v19, v19, v15, s21
	v_or_b32_e32 v21, 0x400000, v15
	v_cmp_u_f32_e32 vcc, v15, v15
	v_and_b32_e32 v18, 0xffff0000, v18
	v_lshlrev_b32_e32 v15, 16, v22
	v_mul_f32_e32 v15, v18, v15
	v_cndmask_b32_e32 v21, v19, v21, vcc
	v_bfe_u32 v19, v15, 16, 1
	v_add3_u32 v19, v19, v15, s21
	v_or_b32_e32 v22, 0x400000, v15
	v_cmp_u_f32_e32 vcc, v15, v15
	v_cndmask_b32_e32 v22, v19, v22, vcc
	v_and_b32_e32 v15, 0xffff0000, v41
	v_and_b32_e32 v19, 0xffff0000, v23
	v_mul_f32_e32 v19, v15, v19
	v_bfe_u32 v41, v19, 16, 1
	v_add3_u32 v41, v41, v19, s21
	v_or_b32_e32 v44, 0x400000, v19
	v_cmp_u_f32_e32 vcc, v19, v19
	v_and_b32_e32 v19, 0xffff0000, v20
	v_lshlrev_b32_e32 v20, 16, v23
	v_mul_f32_e32 v20, v19, v20
	v_bfe_u32 v23, v20, 16, 1
	v_cndmask_b32_e32 v41, v41, v44, vcc
	v_add3_u32 v23, v23, v20, s21
	v_or_b32_e32 v44, 0x400000, v20
	v_cmp_u_f32_e32 vcc, v20, v20
	v_and_b32_e32 v16, 0xffff0000, v16
	v_and_b32_e32 v20, 0xffff0000, v24
	v_mul_f32_e32 v20, v16, v20
	v_cndmask_b32_e32 v23, v23, v44, vcc
	v_bfe_u32 v44, v20, 16, 1
	v_add3_u32 v44, v44, v20, s21
	v_or_b32_e32 v45, 0x400000, v20
	v_cmp_u_f32_e32 vcc, v20, v20
	v_and_b32_e32 v20, 0xffff0000, v42
	v_lshlrev_b32_e32 v24, 16, v24
	v_mul_f32_e32 v24, v20, v24
	v_bfe_u32 v42, v24, 16, 1
	v_cndmask_b32_e32 v44, v44, v45, vcc
	v_add3_u32 v42, v42, v24, s21
	v_or_b32_e32 v45, 0x400000, v24
	v_cmp_u_f32_e32 vcc, v24, v24
	v_cndmask_b32_e32 v24, v42, v45, vcc
	v_and_b32_e32 v0, 0xffff0000, v0
	v_and_b32_e32 v42, 0xffff0000, v43
	;; [unrolled: 1-line block ×4, first 2 shown]
	v_add_f32_e32 v0, v0, v42
	v_add_f32_e32 v21, v22, v21
	;; [unrolled: 1-line block ×3, first 2 shown]
	v_and_b32_e32 v21, 0xffff0000, v23
	v_and_b32_e32 v22, 0xffff0000, v41
	v_add_f32_e32 v21, v21, v22
	v_add_f32_e32 v0, v21, v0
	v_and_b32_e32 v21, 0xffff0000, v24
	v_and_b32_e32 v22, 0xffff0000, v44
	v_add_f32_e32 v21, v21, v22
	v_add_f32_e32 v0, v21, v0
	;; [unrolled: 1-line block ×3, first 2 shown]
	v_and_b32_e32 v0, 0xffff0000, v9
	v_mul_f32_e32 v0, v13, v0
	v_bfe_u32 v21, v0, 16, 1
	v_lshlrev_b32_e32 v9, 16, v9
	v_add3_u32 v21, v21, v0, s21
	v_or_b32_e32 v22, 0x400000, v0
	v_cmp_u_f32_e32 vcc, v0, v0
	v_mul_f32_e32 v9, v17, v9
	v_cndmask_b32_e32 v0, v21, v22, vcc
	v_bfe_u32 v21, v9, 16, 1
	v_add3_u32 v21, v21, v9, s21
	v_or_b32_e32 v22, 0x400000, v9
	v_cmp_u_f32_e32 vcc, v9, v9
	v_cndmask_b32_e32 v9, v21, v22, vcc
	v_and_b32_e32 v21, 0xffff0000, v10
	v_mul_f32_e32 v21, v14, v21
	v_bfe_u32 v22, v21, 16, 1
	v_lshlrev_b32_e32 v10, 16, v10
	v_add3_u32 v22, v22, v21, s21
	v_or_b32_e32 v23, 0x400000, v21
	v_cmp_u_f32_e32 vcc, v21, v21
	v_mul_f32_e32 v10, v18, v10
	v_cndmask_b32_e32 v21, v22, v23, vcc
	v_bfe_u32 v22, v10, 16, 1
	v_add3_u32 v22, v22, v10, s21
	v_or_b32_e32 v23, 0x400000, v10
	v_cmp_u_f32_e32 vcc, v10, v10
	v_cndmask_b32_e32 v10, v22, v23, vcc
	;; [unrolled: 14-line block ×3, first 2 shown]
	v_and_b32_e32 v23, 0xffff0000, v12
	v_mul_f32_e32 v23, v16, v23
	v_bfe_u32 v24, v23, 16, 1
	v_lshlrev_b32_e32 v12, 16, v12
	v_and_b32_e32 v9, 0xffff0000, v9
	v_and_b32_e32 v0, 0xffff0000, v0
	v_add3_u32 v24, v24, v23, s21
	v_or_b32_e32 v41, 0x400000, v23
	v_cmp_u_f32_e32 vcc, v23, v23
	v_mul_f32_e32 v12, v20, v12
	v_add_f32_e32 v0, v9, v0
	v_and_b32_e32 v9, 0xffff0000, v10
	v_and_b32_e32 v10, 0xffff0000, v21
	v_cndmask_b32_e32 v23, v24, v41, vcc
	v_bfe_u32 v24, v12, 16, 1
	v_add_f32_e32 v9, v9, v10
	v_add3_u32 v24, v24, v12, s21
	v_or_b32_e32 v41, 0x400000, v12
	v_cmp_u_f32_e32 vcc, v12, v12
	v_add_f32_e32 v0, v9, v0
	v_and_b32_e32 v9, 0xffff0000, v11
	v_and_b32_e32 v10, 0xffff0000, v22
	v_cndmask_b32_e32 v12, v24, v41, vcc
	v_add_f32_e32 v9, v9, v10
	v_add_f32_e32 v0, v9, v0
	v_and_b32_e32 v9, 0xffff0000, v12
	v_and_b32_e32 v10, 0xffff0000, v23
	v_add_f32_e32 v9, v9, v10
	v_add_f32_e32 v0, v9, v0
	;; [unrolled: 1-line block ×3, first 2 shown]
	v_and_b32_e32 v0, 0xffff0000, v1
	v_mul_f32_e32 v0, v13, v0
	v_bfe_u32 v9, v0, 16, 1
	v_lshlrev_b32_e32 v1, 16, v1
	v_add3_u32 v9, v9, v0, s21
	v_or_b32_e32 v10, 0x400000, v0
	v_cmp_u_f32_e32 vcc, v0, v0
	v_mul_f32_e32 v1, v17, v1
	v_cndmask_b32_e32 v0, v9, v10, vcc
	v_bfe_u32 v9, v1, 16, 1
	v_add3_u32 v9, v9, v1, s21
	v_or_b32_e32 v10, 0x400000, v1
	v_cmp_u_f32_e32 vcc, v1, v1
	v_cndmask_b32_e32 v1, v9, v10, vcc
	v_and_b32_e32 v9, 0xffff0000, v2
	v_mul_f32_e32 v9, v14, v9
	v_bfe_u32 v10, v9, 16, 1
	v_lshlrev_b32_e32 v2, 16, v2
	v_add3_u32 v10, v10, v9, s21
	v_or_b32_e32 v11, 0x400000, v9
	v_cmp_u_f32_e32 vcc, v9, v9
	v_mul_f32_e32 v2, v18, v2
	v_cndmask_b32_e32 v9, v10, v11, vcc
	v_bfe_u32 v10, v2, 16, 1
	v_add3_u32 v10, v10, v2, s21
	v_or_b32_e32 v11, 0x400000, v2
	v_cmp_u_f32_e32 vcc, v2, v2
	v_cndmask_b32_e32 v2, v10, v11, vcc
	;; [unrolled: 14-line block ×3, first 2 shown]
	v_and_b32_e32 v11, 0xffff0000, v4
	v_mul_f32_e32 v11, v16, v11
	v_bfe_u32 v12, v11, 16, 1
	v_lshlrev_b32_e32 v4, 16, v4
	v_and_b32_e32 v1, 0xffff0000, v1
	v_and_b32_e32 v0, 0xffff0000, v0
	v_add3_u32 v12, v12, v11, s21
	v_or_b32_e32 v21, 0x400000, v11
	v_cmp_u_f32_e32 vcc, v11, v11
	v_mul_f32_e32 v4, v20, v4
	v_add_f32_e32 v0, v1, v0
	v_and_b32_e32 v1, 0xffff0000, v2
	v_and_b32_e32 v2, 0xffff0000, v9
	v_cndmask_b32_e32 v11, v12, v21, vcc
	v_bfe_u32 v12, v4, 16, 1
	v_add_f32_e32 v1, v1, v2
	v_add3_u32 v12, v12, v4, s21
	v_or_b32_e32 v21, 0x400000, v4
	v_cmp_u_f32_e32 vcc, v4, v4
	v_add_f32_e32 v0, v1, v0
	v_and_b32_e32 v1, 0xffff0000, v3
	v_and_b32_e32 v2, 0xffff0000, v10
	v_cndmask_b32_e32 v4, v12, v21, vcc
	v_add_f32_e32 v1, v1, v2
	v_add_f32_e32 v0, v1, v0
	v_and_b32_e32 v1, 0xffff0000, v4
	v_and_b32_e32 v2, 0xffff0000, v11
	v_add_f32_e32 v1, v1, v2
	v_add_f32_e32 v0, v1, v0
	;; [unrolled: 1-line block ×3, first 2 shown]
	s_waitcnt vmcnt(0)
	v_lshlrev_b32_e32 v0, 16, v5
	v_mul_f32_e32 v0, v17, v0
	v_bfe_u32 v1, v0, 16, 1
	v_add3_u32 v1, v1, v0, s21
	v_or_b32_e32 v2, 0x400000, v0
	v_cmp_u_f32_e32 vcc, v0, v0
	v_cndmask_b32_e32 v0, v1, v2, vcc
	v_and_b32_e32 v1, 0xffff0000, v5
	v_mul_f32_e32 v1, v13, v1
	v_bfe_u32 v2, v1, 16, 1
	v_add3_u32 v2, v2, v1, s21
	v_or_b32_e32 v3, 0x400000, v1
	v_cmp_u_f32_e32 vcc, v1, v1
	v_cndmask_b32_e32 v1, v2, v3, vcc
	v_lshlrev_b32_e32 v2, 16, v6
	v_mul_f32_e32 v2, v18, v2
	v_bfe_u32 v3, v2, 16, 1
	v_add3_u32 v3, v3, v2, s21
	v_or_b32_e32 v4, 0x400000, v2
	v_cmp_u_f32_e32 vcc, v2, v2
	v_cndmask_b32_e32 v2, v3, v4, vcc
	v_and_b32_e32 v3, 0xffff0000, v6
	v_mul_f32_e32 v3, v14, v3
	v_bfe_u32 v4, v3, 16, 1
	v_add3_u32 v4, v4, v3, s21
	v_or_b32_e32 v5, 0x400000, v3
	v_cmp_u_f32_e32 vcc, v3, v3
	v_cndmask_b32_e32 v3, v4, v5, vcc
	;; [unrolled: 14-line block ×3, first 2 shown]
	v_lshlrev_b32_e32 v6, 16, v8
	v_mul_f32_e32 v6, v20, v6
	v_bfe_u32 v7, v6, 16, 1
	v_add3_u32 v7, v7, v6, s21
	v_or_b32_e32 v9, 0x400000, v6
	v_cmp_u_f32_e32 vcc, v6, v6
	v_cndmask_b32_e32 v6, v7, v9, vcc
	v_and_b32_e32 v7, 0xffff0000, v8
	v_and_b32_e32 v1, 0xffff0000, v1
	;; [unrolled: 1-line block ×3, first 2 shown]
	v_mul_f32_e32 v7, v16, v7
	v_add_f32_e32 v0, v0, v1
	v_and_b32_e32 v1, 0xffff0000, v3
	v_and_b32_e32 v2, 0xffff0000, v2
	v_bfe_u32 v8, v7, 16, 1
	v_add_f32_e32 v1, v2, v1
	v_add3_u32 v8, v8, v7, s21
	v_or_b32_e32 v9, 0x400000, v7
	v_cmp_u_f32_e32 vcc, v7, v7
	v_add_f32_e32 v0, v1, v0
	v_and_b32_e32 v1, 0xffff0000, v5
	v_and_b32_e32 v2, 0xffff0000, v4
	v_cndmask_b32_e32 v7, v8, v9, vcc
	v_add_f32_e32 v1, v2, v1
	v_add_f32_e32 v0, v1, v0
	v_and_b32_e32 v1, 0xffff0000, v7
	v_and_b32_e32 v2, 0xffff0000, v6
	v_add_u32_e32 v27, 2, v27
	v_add_f32_e32 v1, v2, v1
	v_cmp_le_i32_e32 vcc, s17, v27
	v_add_f32_e32 v0, v1, v0
	s_or_b64 s[6:7], vcc, s[6:7]
	v_add_co_u32_e32 v25, vcc, 8, v25
	v_add_f32_e32 v32, v32, v0
	v_add_u32_e32 v39, 64, v39
	v_add_u32_e32 v40, 0x100, v40
	v_addc_co_u32_e32 v26, vcc, 0, v26, vcc
	s_andn2_b64 exec, exec, s[6:7]
	s_cbranch_execz .LBB154_38
.LBB154_30:                             ; =>This Inner Loop Header: Depth=1
	global_load_dword v0, v[25:26], off
	v_add_u32_e32 v47, 1, v39
	v_or_b32_e32 v45, 3, v39
	v_or_b32_e32 v46, 2, v39
	v_or_b32_e32 v43, 5, v39
	v_or_b32_e32 v44, 4, v39
	v_or_b32_e32 v41, 7, v39
	v_or_b32_e32 v42, 6, v39
	s_waitcnt vmcnt(0)
	v_mad_i64_i32 v[1:2], s[0:1], v0, s26, 0
	v_cmp_eq_u32_e64 s[0:1], s14, v27
	v_lshlrev_b64 v[1:2], 1, v[1:2]
	v_add_co_u32_e32 v5, vcc, v37, v1
	v_addc_co_u32_e32 v6, vcc, v38, v2, vcc
	global_load_dwordx4 v[1:4], v[5:6], off
	ds_read2_b64 v[17:20], v40 offset1:1
	ds_read2_b64 v[13:16], v40 offset0:2 offset1:3
	s_and_saveexec_b64 s[12:13], s[0:1]
	s_cbranch_execnz .LBB154_34
; %bb.31:                               ;   in Loop: Header=BB154_30 Depth=1
	s_or_b64 exec, exec, s[12:13]
	global_load_dwordx4 v[9:12], v[5:6], off offset:1024
	s_and_saveexec_b64 s[12:13], s[0:1]
	s_cbranch_execnz .LBB154_35
.LBB154_32:                             ;   in Loop: Header=BB154_30 Depth=1
	s_or_b64 exec, exec, s[12:13]
	global_load_dwordx4 v[21:24], v[5:6], off offset:2048
	s_and_saveexec_b64 s[12:13], s[0:1]
	s_cbranch_execnz .LBB154_36
.LBB154_33:                             ;   in Loop: Header=BB154_30 Depth=1
	s_or_b64 exec, exec, s[12:13]
	global_load_dwordx4 v[5:8], v[5:6], off offset:3072
	s_and_saveexec_b64 s[2:3], s[0:1]
	s_cbranch_execz .LBB154_29
	s_branch .LBB154_37
.LBB154_34:                             ;   in Loop: Header=BB154_30 Depth=1
	v_cmp_gt_i32_e32 vcc, s15, v47
	s_waitcnt vmcnt(0)
	v_cndmask_b32_sdwa v0, v36, v1, vcc dst_sel:DWORD dst_unused:UNUSED_PAD src0_sel:DWORD src1_sel:WORD_1
	v_cmp_gt_i32_e32 vcc, s33, v39
	v_cndmask_b32_e32 v1, 0, v1, vcc
	v_cmp_gt_i32_e32 vcc, s15, v45
	v_cmp_gt_i32_e64 s[2:3], s33, v46
	v_perm_b32 v1, v0, v1, s20
	v_cndmask_b32_e64 v0, 0, v2, s[2:3]
	v_cndmask_b32_sdwa v2, v36, v2, vcc dst_sel:DWORD dst_unused:UNUSED_PAD src0_sel:DWORD src1_sel:WORD_1
	v_cmp_gt_i32_e32 vcc, s15, v43
	v_cmp_gt_i32_e64 s[2:3], s33, v44
	v_perm_b32 v2, v2, v0, s20
	v_cndmask_b32_e64 v0, 0, v3, s[2:3]
	v_cndmask_b32_sdwa v3, v36, v3, vcc dst_sel:DWORD dst_unused:UNUSED_PAD src0_sel:DWORD src1_sel:WORD_1
	;; [unrolled: 5-line block ×3, first 2 shown]
	v_perm_b32 v4, v4, v0, s20
	s_or_b64 exec, exec, s[12:13]
	global_load_dwordx4 v[9:12], v[5:6], off offset:1024
	s_and_saveexec_b64 s[12:13], s[0:1]
	s_cbranch_execz .LBB154_32
.LBB154_35:                             ;   in Loop: Header=BB154_30 Depth=1
	v_cmp_gt_i32_e32 vcc, s15, v47
	s_waitcnt vmcnt(0)
	v_cndmask_b32_sdwa v0, v36, v9, vcc dst_sel:DWORD dst_unused:UNUSED_PAD src0_sel:DWORD src1_sel:WORD_1
	v_cmp_gt_i32_e32 vcc, s33, v39
	v_cndmask_b32_e32 v7, 0, v9, vcc
	v_cmp_gt_i32_e32 vcc, s15, v45
	v_cmp_gt_i32_e64 s[2:3], s33, v46
	v_perm_b32 v9, v0, v7, s20
	v_cndmask_b32_e64 v0, 0, v10, s[2:3]
	v_cndmask_b32_sdwa v7, v36, v10, vcc dst_sel:DWORD dst_unused:UNUSED_PAD src0_sel:DWORD src1_sel:WORD_1
	v_cmp_gt_i32_e32 vcc, s15, v43
	v_cmp_gt_i32_e64 s[2:3], s33, v44
	v_perm_b32 v10, v7, v0, s20
	v_cndmask_b32_e64 v0, 0, v11, s[2:3]
	v_cndmask_b32_sdwa v7, v36, v11, vcc dst_sel:DWORD dst_unused:UNUSED_PAD src0_sel:DWORD src1_sel:WORD_1
	;; [unrolled: 5-line block ×3, first 2 shown]
	v_perm_b32 v12, v7, v0, s20
	s_or_b64 exec, exec, s[12:13]
	global_load_dwordx4 v[21:24], v[5:6], off offset:2048
	s_and_saveexec_b64 s[12:13], s[0:1]
	s_cbranch_execz .LBB154_33
.LBB154_36:                             ;   in Loop: Header=BB154_30 Depth=1
	v_cmp_gt_i32_e32 vcc, s15, v47
	s_waitcnt vmcnt(0)
	v_cndmask_b32_sdwa v0, v36, v21, vcc dst_sel:DWORD dst_unused:UNUSED_PAD src0_sel:DWORD src1_sel:WORD_1
	v_cmp_gt_i32_e32 vcc, s33, v39
	v_cndmask_b32_e32 v7, 0, v21, vcc
	v_cmp_gt_i32_e32 vcc, s15, v45
	v_cmp_gt_i32_e64 s[2:3], s33, v46
	v_perm_b32 v21, v0, v7, s20
	v_cndmask_b32_e64 v0, 0, v22, s[2:3]
	v_cndmask_b32_sdwa v7, v36, v22, vcc dst_sel:DWORD dst_unused:UNUSED_PAD src0_sel:DWORD src1_sel:WORD_1
	v_cmp_gt_i32_e32 vcc, s15, v43
	v_cmp_gt_i32_e64 s[2:3], s33, v44
	v_perm_b32 v22, v7, v0, s20
	v_cndmask_b32_e64 v0, 0, v23, s[2:3]
	v_cndmask_b32_sdwa v7, v36, v23, vcc dst_sel:DWORD dst_unused:UNUSED_PAD src0_sel:DWORD src1_sel:WORD_1
	;; [unrolled: 5-line block ×3, first 2 shown]
	v_perm_b32 v24, v7, v0, s20
	s_or_b64 exec, exec, s[12:13]
	global_load_dwordx4 v[5:8], v[5:6], off offset:3072
	s_and_saveexec_b64 s[2:3], s[0:1]
	s_cbranch_execz .LBB154_29
.LBB154_37:                             ;   in Loop: Header=BB154_30 Depth=1
	v_cmp_gt_i32_e32 vcc, s15, v47
	s_waitcnt vmcnt(0)
	v_cndmask_b32_sdwa v0, v36, v5, vcc dst_sel:DWORD dst_unused:UNUSED_PAD src0_sel:DWORD src1_sel:WORD_1
	v_cmp_gt_i32_e32 vcc, s33, v39
	v_cndmask_b32_e32 v5, 0, v5, vcc
	v_cmp_gt_i32_e32 vcc, s15, v45
	v_cmp_gt_i32_e64 s[0:1], s33, v46
	v_perm_b32 v5, v0, v5, s20
	v_cndmask_b32_e64 v0, 0, v6, s[0:1]
	v_cndmask_b32_sdwa v6, v36, v6, vcc dst_sel:DWORD dst_unused:UNUSED_PAD src0_sel:DWORD src1_sel:WORD_1
	v_cmp_gt_i32_e32 vcc, s15, v43
	v_cmp_gt_i32_e64 s[0:1], s33, v44
	v_perm_b32 v6, v6, v0, s20
	v_cndmask_b32_e64 v0, 0, v7, s[0:1]
	v_cndmask_b32_sdwa v7, v36, v7, vcc dst_sel:DWORD dst_unused:UNUSED_PAD src0_sel:DWORD src1_sel:WORD_1
	;; [unrolled: 5-line block ×3, first 2 shown]
	v_perm_b32 v8, v8, v0, s20
	s_branch .LBB154_29
.LBB154_38:
	s_or_b64 exec, exec, s[6:7]
.LBB154_39:
	s_or_b64 exec, exec, s[4:5]
	ds_bpermute_b32 v1, v29, v35
	ds_bpermute_b32 v0, v29, v34
	;; [unrolled: 1-line block ×4, first 2 shown]
	s_waitcnt lgkmcnt(0)
	v_add_f32_e32 v1, v35, v1
	v_add_f32_e32 v0, v34, v0
	ds_bpermute_b32 v5, v30, v1
	v_add_f32_e32 v2, v33, v2
	v_add_f32_e32 v7, v32, v3
	ds_bpermute_b32 v4, v30, v0
	ds_bpermute_b32 v6, v30, v2
	;; [unrolled: 1-line block ×3, first 2 shown]
	s_waitcnt lgkmcnt(3)
	v_add_f32_e32 v3, v1, v5
	v_and_b32_e32 v5, 0x3c3, v50
	s_waitcnt lgkmcnt(2)
	v_add_f32_e32 v4, v0, v4
	s_waitcnt lgkmcnt(1)
	v_add_f32_e32 v2, v2, v6
	s_waitcnt lgkmcnt(0)
	v_add_f32_e32 v1, v7, v8
	v_cmp_eq_u32_e32 vcc, 64, v5
	s_barrier
	s_and_saveexec_b64 s[0:1], vcc
	s_cbranch_execz .LBB154_41
; %bb.40:
	v_add_u32_e32 v0, 0x90, v28
	ds_write2_b32 v0, v4, v3 offset1:16
	ds_write2_b32 v0, v2, v1 offset0:32 offset1:48
.LBB154_41:
	s_or_b64 exec, exec, s[0:1]
	v_cmp_gt_u32_e32 vcc, 64, v50
	v_lshrrev_b32_e32 v0, 2, v50
	s_waitcnt lgkmcnt(0)
	s_barrier
	s_and_saveexec_b64 s[0:1], vcc
	s_cbranch_execz .LBB154_48
; %bb.42:
	v_mov_b32_e32 v6, 0x90
	v_cmp_eq_u32_e32 vcc, 0, v31
	v_lshl_add_u32 v6, v0, 2, v6
	s_and_saveexec_b64 s[2:3], vcc
	s_cbranch_execnz .LBB154_51
; %bb.43:
	s_or_b64 exec, exec, s[2:3]
	s_and_saveexec_b64 s[2:3], vcc
	s_cbranch_execnz .LBB154_52
.LBB154_44:
	s_or_b64 exec, exec, s[2:3]
	s_and_saveexec_b64 s[2:3], vcc
	s_cbranch_execnz .LBB154_53
.LBB154_45:
	s_or_b64 exec, exec, s[2:3]
	s_and_saveexec_b64 s[2:3], vcc
	s_cbranch_execz .LBB154_47
.LBB154_46:
	ds_read_b32 v6, v6 offset:192
	s_waitcnt lgkmcnt(0)
	v_add_f32_e32 v1, v1, v6
.LBB154_47:
	s_or_b64 exec, exec, s[2:3]
.LBB154_48:
	s_or_b64 exec, exec, s[0:1]
	v_cmp_eq_u32_e32 vcc, 0, v5
	s_barrier
	s_and_saveexec_b64 s[0:1], vcc
	s_cbranch_execz .LBB154_50
; %bb.49:
	s_mul_i32 s0, s10, s11
	s_mul_i32 s0, s0, s9
	s_lshl_b32 s0, s0, 6
	s_ashr_i32 s1, s0, 31
	s_lshl_b64 s[0:1], s[0:1], 1
	s_add_u32 s2, s18, s0
	s_mul_i32 s0, s11, s16
	s_addc_u32 s3, s19, s1
	s_ashr_i32 s1, s0, 31
	s_lshl_b64 s[0:1], s[0:1], 1
	s_add_u32 s2, s2, s0
	s_addc_u32 s3, s3, s1
	s_lshl_b32 s0, s8, 6
	s_ashr_i32 s1, s0, 31
	s_lshl_b64 s[0:1], s[0:1], 1
	s_add_u32 s0, s2, s0
	v_bfe_u32 v5, v4, 16, 1
	s_movk_i32 s2, 0x7fff
	v_add3_u32 v5, v5, v4, s2
	v_or_b32_e32 v6, 0x400000, v4
	v_cmp_u_f32_e32 vcc, v4, v4
	s_addc_u32 s1, s3, s1
	v_lshlrev_b32_e32 v0, 1, v0
	v_cndmask_b32_e32 v4, v5, v6, vcc
	global_store_short_d16_hi v0, v4, s[0:1]
	v_bfe_u32 v4, v3, 16, 1
	v_add3_u32 v4, v4, v3, s2
	v_or_b32_e32 v5, 0x400000, v3
	v_cmp_u_f32_e32 vcc, v3, v3
	v_cndmask_b32_e32 v3, v4, v5, vcc
	global_store_short_d16_hi v0, v3, s[0:1] offset:32
	v_bfe_u32 v3, v2, 16, 1
	v_add3_u32 v3, v3, v2, s2
	v_or_b32_e32 v4, 0x400000, v2
	v_cmp_u_f32_e32 vcc, v2, v2
	v_cndmask_b32_e32 v2, v3, v4, vcc
	global_store_short_d16_hi v0, v2, s[0:1] offset:64
	;; [unrolled: 6-line block ×3, first 2 shown]
.LBB154_50:
	s_endpgm
.LBB154_51:
	ds_read_b32 v7, v6
	s_waitcnt lgkmcnt(0)
	v_add_f32_e32 v4, v4, v7
	s_or_b64 exec, exec, s[2:3]
	s_and_saveexec_b64 s[2:3], vcc
	s_cbranch_execz .LBB154_44
.LBB154_52:
	ds_read_b32 v7, v6 offset:64
	s_waitcnt lgkmcnt(0)
	v_add_f32_e32 v3, v3, v7
	s_or_b64 exec, exec, s[2:3]
	s_and_saveexec_b64 s[2:3], vcc
	s_cbranch_execz .LBB154_45
.LBB154_53:
	ds_read_b32 v7, v6 offset:128
	s_waitcnt lgkmcnt(0)
	v_add_f32_e32 v2, v2, v7
	s_or_b64 exec, exec, s[2:3]
	s_and_saveexec_b64 s[2:3], vcc
	s_cbranch_execnz .LBB154_46
	s_branch .LBB154_47
	.section	.rodata,"a",@progbits
	.p2align	6, 0x0
	.amdhsa_kernel _ZN4vllm25paged_attention_v1_kernelI14__hip_bfloat16S1_Li64ELi32ELi128ELNS_18Fp8KVCacheDataTypeE0ELb0EEEvPT_PKS3_PKT0_S9_ifPKiSB_iPKfiiiSD_SD_iiiii
		.amdhsa_group_segment_fixed_size 144
		.amdhsa_private_segment_fixed_size 16
		.amdhsa_kernarg_size 384
		.amdhsa_user_sgpr_count 6
		.amdhsa_user_sgpr_private_segment_buffer 1
		.amdhsa_user_sgpr_dispatch_ptr 0
		.amdhsa_user_sgpr_queue_ptr 0
		.amdhsa_user_sgpr_kernarg_segment_ptr 1
		.amdhsa_user_sgpr_dispatch_id 0
		.amdhsa_user_sgpr_flat_scratch_init 0
		.amdhsa_user_sgpr_private_segment_size 0
		.amdhsa_uses_dynamic_stack 0
		.amdhsa_system_sgpr_private_segment_wavefront_offset 1
		.amdhsa_system_sgpr_workgroup_id_x 1
		.amdhsa_system_sgpr_workgroup_id_y 1
		.amdhsa_system_sgpr_workgroup_id_z 1
		.amdhsa_system_sgpr_workgroup_info 0
		.amdhsa_system_vgpr_workitem_id 0
		.amdhsa_next_free_vgpr 64
		.amdhsa_next_free_sgpr 40
		.amdhsa_reserve_vcc 1
		.amdhsa_reserve_flat_scratch 0
		.amdhsa_float_round_mode_32 0
		.amdhsa_float_round_mode_16_64 0
		.amdhsa_float_denorm_mode_32 3
		.amdhsa_float_denorm_mode_16_64 3
		.amdhsa_dx10_clamp 1
		.amdhsa_ieee_mode 1
		.amdhsa_fp16_overflow 0
		.amdhsa_exception_fp_ieee_invalid_op 0
		.amdhsa_exception_fp_denorm_src 0
		.amdhsa_exception_fp_ieee_div_zero 0
		.amdhsa_exception_fp_ieee_overflow 0
		.amdhsa_exception_fp_ieee_underflow 0
		.amdhsa_exception_fp_ieee_inexact 0
		.amdhsa_exception_int_div_zero 0
	.end_amdhsa_kernel
	.section	.text._ZN4vllm25paged_attention_v1_kernelI14__hip_bfloat16S1_Li64ELi32ELi128ELNS_18Fp8KVCacheDataTypeE0ELb0EEEvPT_PKS3_PKT0_S9_ifPKiSB_iPKfiiiSD_SD_iiiii,"axG",@progbits,_ZN4vllm25paged_attention_v1_kernelI14__hip_bfloat16S1_Li64ELi32ELi128ELNS_18Fp8KVCacheDataTypeE0ELb0EEEvPT_PKS3_PKT0_S9_ifPKiSB_iPKfiiiSD_SD_iiiii,comdat
.Lfunc_end154:
	.size	_ZN4vllm25paged_attention_v1_kernelI14__hip_bfloat16S1_Li64ELi32ELi128ELNS_18Fp8KVCacheDataTypeE0ELb0EEEvPT_PKS3_PKT0_S9_ifPKiSB_iPKfiiiSD_SD_iiiii, .Lfunc_end154-_ZN4vllm25paged_attention_v1_kernelI14__hip_bfloat16S1_Li64ELi32ELi128ELNS_18Fp8KVCacheDataTypeE0ELb0EEEvPT_PKS3_PKT0_S9_ifPKiSB_iPKfiiiSD_SD_iiiii
                                        ; -- End function
	.set _ZN4vllm25paged_attention_v1_kernelI14__hip_bfloat16S1_Li64ELi32ELi128ELNS_18Fp8KVCacheDataTypeE0ELb0EEEvPT_PKS3_PKT0_S9_ifPKiSB_iPKfiiiSD_SD_iiiii.num_vgpr, 64
	.set _ZN4vllm25paged_attention_v1_kernelI14__hip_bfloat16S1_Li64ELi32ELi128ELNS_18Fp8KVCacheDataTypeE0ELb0EEEvPT_PKS3_PKT0_S9_ifPKiSB_iPKfiiiSD_SD_iiiii.num_agpr, 0
	.set _ZN4vllm25paged_attention_v1_kernelI14__hip_bfloat16S1_Li64ELi32ELi128ELNS_18Fp8KVCacheDataTypeE0ELb0EEEvPT_PKS3_PKT0_S9_ifPKiSB_iPKfiiiSD_SD_iiiii.numbered_sgpr, 40
	.set _ZN4vllm25paged_attention_v1_kernelI14__hip_bfloat16S1_Li64ELi32ELi128ELNS_18Fp8KVCacheDataTypeE0ELb0EEEvPT_PKS3_PKT0_S9_ifPKiSB_iPKfiiiSD_SD_iiiii.num_named_barrier, 0
	.set _ZN4vllm25paged_attention_v1_kernelI14__hip_bfloat16S1_Li64ELi32ELi128ELNS_18Fp8KVCacheDataTypeE0ELb0EEEvPT_PKS3_PKT0_S9_ifPKiSB_iPKfiiiSD_SD_iiiii.private_seg_size, 16
	.set _ZN4vllm25paged_attention_v1_kernelI14__hip_bfloat16S1_Li64ELi32ELi128ELNS_18Fp8KVCacheDataTypeE0ELb0EEEvPT_PKS3_PKT0_S9_ifPKiSB_iPKfiiiSD_SD_iiiii.uses_vcc, 1
	.set _ZN4vllm25paged_attention_v1_kernelI14__hip_bfloat16S1_Li64ELi32ELi128ELNS_18Fp8KVCacheDataTypeE0ELb0EEEvPT_PKS3_PKT0_S9_ifPKiSB_iPKfiiiSD_SD_iiiii.uses_flat_scratch, 0
	.set _ZN4vllm25paged_attention_v1_kernelI14__hip_bfloat16S1_Li64ELi32ELi128ELNS_18Fp8KVCacheDataTypeE0ELb0EEEvPT_PKS3_PKT0_S9_ifPKiSB_iPKfiiiSD_SD_iiiii.has_dyn_sized_stack, 0
	.set _ZN4vllm25paged_attention_v1_kernelI14__hip_bfloat16S1_Li64ELi32ELi128ELNS_18Fp8KVCacheDataTypeE0ELb0EEEvPT_PKS3_PKT0_S9_ifPKiSB_iPKfiiiSD_SD_iiiii.has_recursion, 0
	.set _ZN4vllm25paged_attention_v1_kernelI14__hip_bfloat16S1_Li64ELi32ELi128ELNS_18Fp8KVCacheDataTypeE0ELb0EEEvPT_PKS3_PKT0_S9_ifPKiSB_iPKfiiiSD_SD_iiiii.has_indirect_call, 0
	.section	.AMDGPU.csdata,"",@progbits
; Kernel info:
; codeLenInByte = 6308
; TotalNumSgprs: 44
; NumVgprs: 64
; ScratchSize: 16
; MemoryBound: 0
; FloatMode: 240
; IeeeMode: 1
; LDSByteSize: 144 bytes/workgroup (compile time only)
; SGPRBlocks: 5
; VGPRBlocks: 15
; NumSGPRsForWavesPerEU: 44
; NumVGPRsForWavesPerEU: 64
; Occupancy: 4
; WaveLimiterHint : 1
; COMPUTE_PGM_RSRC2:SCRATCH_EN: 1
; COMPUTE_PGM_RSRC2:USER_SGPR: 6
; COMPUTE_PGM_RSRC2:TRAP_HANDLER: 0
; COMPUTE_PGM_RSRC2:TGID_X_EN: 1
; COMPUTE_PGM_RSRC2:TGID_Y_EN: 1
; COMPUTE_PGM_RSRC2:TGID_Z_EN: 1
; COMPUTE_PGM_RSRC2:TIDIG_COMP_CNT: 0
	.section	.text._ZN4vllm25paged_attention_v1_kernelI14__hip_bfloat16S1_Li80ELi32ELi128ELNS_18Fp8KVCacheDataTypeE0ELb0EEEvPT_PKS3_PKT0_S9_ifPKiSB_iPKfiiiSD_SD_iiiii,"axG",@progbits,_ZN4vllm25paged_attention_v1_kernelI14__hip_bfloat16S1_Li80ELi32ELi128ELNS_18Fp8KVCacheDataTypeE0ELb0EEEvPT_PKS3_PKT0_S9_ifPKiSB_iPKfiiiSD_SD_iiiii,comdat
	.protected	_ZN4vllm25paged_attention_v1_kernelI14__hip_bfloat16S1_Li80ELi32ELi128ELNS_18Fp8KVCacheDataTypeE0ELb0EEEvPT_PKS3_PKT0_S9_ifPKiSB_iPKfiiiSD_SD_iiiii ; -- Begin function _ZN4vllm25paged_attention_v1_kernelI14__hip_bfloat16S1_Li80ELi32ELi128ELNS_18Fp8KVCacheDataTypeE0ELb0EEEvPT_PKS3_PKT0_S9_ifPKiSB_iPKfiiiSD_SD_iiiii
	.globl	_ZN4vllm25paged_attention_v1_kernelI14__hip_bfloat16S1_Li80ELi32ELi128ELNS_18Fp8KVCacheDataTypeE0ELb0EEEvPT_PKS3_PKT0_S9_ifPKiSB_iPKfiiiSD_SD_iiiii
	.p2align	8
	.type	_ZN4vllm25paged_attention_v1_kernelI14__hip_bfloat16S1_Li80ELi32ELi128ELNS_18Fp8KVCacheDataTypeE0ELb0EEEvPT_PKS3_PKT0_S9_ifPKiSB_iPKfiiiSD_SD_iiiii,@function
_ZN4vllm25paged_attention_v1_kernelI14__hip_bfloat16S1_Li80ELi32ELi128ELNS_18Fp8KVCacheDataTypeE0ELb0EEEvPT_PKS3_PKT0_S9_ifPKiSB_iPKfiiiSD_SD_iiiii: ; @_ZN4vllm25paged_attention_v1_kernelI14__hip_bfloat16S1_Li80ELi32ELi128ELNS_18Fp8KVCacheDataTypeE0ELb0EEEvPT_PKS3_PKT0_S9_ifPKiSB_iPKfiiiSD_SD_iiiii
; %bb.0:
	s_mov_b64 s[38:39], s[2:3]
	s_mov_b64 s[36:37], s[0:1]
	s_add_u32 s36, s36, s9
	s_load_dword s9, s[4:5], 0x80
	s_load_dwordx2 s[0:1], s[4:5], 0x30
	s_load_dwordx2 s[26:27], s[4:5], 0x20
	s_addc_u32 s37, s37, 0
	s_mov_b32 s10, s7
	s_ashr_i32 s11, s7, 31
	s_lshl_b64 s[2:3], s[10:11], 2
	s_waitcnt lgkmcnt(0)
	s_add_u32 s0, s0, s2
	s_addc_u32 s1, s1, s3
	s_abs_i32 s2, s26
	v_mov_b32_e32 v62, v0
	v_cvt_f32_u32_e32 v0, s2
	s_sub_i32 s11, 0, s2
	s_abs_i32 s7, s9
	s_xor_b32 s3, s9, s26
	v_rcp_iflag_f32_e32 v0, v0
	s_ashr_i32 s3, s3, 31
	s_mov_b32 s26, 0
	v_mul_f32_e32 v0, 0x4f7ffffe, v0
	v_cvt_u32_f32_e32 v0, v0
	v_readfirstlane_b32 s12, v0
	s_mul_i32 s11, s11, s12
	s_mul_hi_u32 s11, s12, s11
	s_add_i32 s12, s12, s11
	s_mul_hi_u32 s11, s7, s12
	s_mul_i32 s12, s11, s2
	s_sub_i32 s7, s7, s12
	s_add_i32 s12, s11, 1
	s_sub_i32 s13, s7, s2
	s_cmp_ge_u32 s7, s2
	s_cselect_b32 s11, s12, s11
	s_cselect_b32 s7, s13, s7
	s_add_i32 s12, s11, 1
	s_cmp_ge_u32 s7, s2
	s_cselect_b32 s2, s12, s11
	s_xor_b32 s2, s2, s3
	s_sub_i32 s12, s2, s3
	s_abs_i32 s11, s12
	v_cvt_f32_u32_e32 v0, s11
	s_load_dwordx2 s[2:3], s[4:5], 0x40
	s_sub_i32 s7, 0, s11
	s_abs_i32 s18, s6
	v_rcp_iflag_f32_e32 v0, v0
	v_mul_f32_e32 v0, 0x4f7ffffe, v0
	v_cvt_u32_f32_e32 v0, v0
	v_readfirstlane_b32 s13, v0
	s_mul_i32 s7, s7, s13
	s_mul_hi_u32 s7, s13, s7
	s_add_i32 s13, s13, s7
	s_waitcnt lgkmcnt(0)
	s_cmp_eq_u64 s[2:3], 0
	s_mul_hi_u32 s19, s18, s13
	s_cbranch_scc1 .LBB155_2
; %bb.1:
	s_ashr_i32 s7, s6, 31
	s_lshl_b64 s[14:15], s[6:7], 2
	s_add_u32 s2, s2, s14
	s_addc_u32 s3, s3, s15
	s_load_dword s26, s[2:3], 0x0
.LBB155_2:
	s_load_dword s33, s[0:1], 0x0
	s_ashr_i32 s3, s12, 31
	s_load_dwordx4 s[12:15], s[4:5], 0x48
	s_ashr_i32 s2, s6, 31
	v_and_b32_e32 v0, 1, v62
	s_movk_i32 s7, 0x50
	s_mul_i32 s16, s6, 0x50
	v_cmp_gt_u32_e32 vcc, 20, v62
	v_lshlrev_b32_e32 v12, 3, v62
	s_and_saveexec_b64 s[0:1], vcc
	s_cbranch_execz .LBB155_4
; %bb.3:
	s_load_dwordx2 s[20:21], s[4:5], 0x8
	s_waitcnt lgkmcnt(0)
	s_mul_i32 s22, s12, s10
	s_ashr_i32 s23, s22, 31
	s_lshl_b64 s[22:23], s[22:23], 1
	v_lshlrev_b32_e32 v3, 2, v62
	s_add_u32 s6, s20, s22
	s_addc_u32 s12, s21, s23
	s_ashr_i32 s17, s16, 31
	s_lshl_b64 s[20:21], s[16:17], 1
	s_add_u32 s20, s6, s20
	s_addc_u32 s21, s12, s21
	global_load_dwordx2 v[1:2], v12, s[20:21]
	v_and_b32_e32 v3, 0xff8, v3
	v_mad_u32_u24 v3, v0, s7, v3
	s_waitcnt vmcnt(0)
	ds_write_b64 v3, v[1:2]
.LBB155_4:
	s_or_b64 exec, exec, s[0:1]
	s_waitcnt lgkmcnt(0)
	s_add_i32 s1, s33, 31
	s_ashr_i32 s6, s1, 31
	s_lshr_b32 s6, s6, 27
	s_add_i32 s1, s1, s6
	s_ashr_i32 s17, s1, 5
	s_xor_b32 s1, s2, s3
	s_mul_i32 s2, s19, s11
	s_sub_i32 s2, s18, s2
	s_add_i32 s3, s19, 1
	s_sub_i32 s6, s2, s11
	s_load_dwordx2 s[20:21], s[4:5], 0x28
	s_load_dword s0, s[4:5], 0x38
	s_cmp_ge_u32 s2, s11
	s_cselect_b32 s3, s3, s19
	s_cselect_b32 s2, s6, s2
	s_add_i32 s6, s3, 1
	s_cmp_ge_u32 s2, s11
	s_cselect_b32 s2, s6, s3
	v_lshrrev_b32_e32 v32, 6, v62
	s_xor_b32 s2, s2, s1
	s_waitcnt lgkmcnt(0)
	s_mul_i32 s22, s0, s10
	s_sub_i32 s12, s2, s1
	s_ashr_i32 s23, s22, 31
	v_cmp_gt_i32_e64 s[0:1], s17, v32
	v_cmp_le_i32_e32 vcc, s17, v32
	v_mbcnt_lo_u32_b32 v3, -1, 0
	s_barrier
                                        ; implicit-def: $vgpr11
                                        ; implicit-def: $vgpr8
                                        ; implicit-def: $vgpr9
	s_and_saveexec_b64 s[2:3], vcc
	s_xor_b64 s[2:3], exec, s[2:3]
; %bb.5:
	v_mbcnt_hi_u32_b32 v11, -1, v3
	v_and_b32_e32 v8, 64, v11
	v_add_u32_e32 v9, 64, v8
                                        ; implicit-def: $vgpr0
                                        ; implicit-def: $vgpr3
; %bb.6:
	s_or_saveexec_b64 s[6:7], s[2:3]
	s_load_dwordx2 s[18:19], s[4:5], 0x0
	s_load_dwordx2 s[24:25], s[4:5], 0x18
	s_load_dword s11, s[4:5], 0x88
	v_mov_b32_e32 v61, 0xff7fffff
	s_mul_i32 s14, s12, s14
	v_lshrrev_b32_e32 v13, 4, v62
	s_xor_b64 exec, exec, s[6:7]
	s_cbranch_execz .LBB155_12
; %bb.7:
	v_mul_u32_u24_e32 v1, 0x50, v0
	ds_read_b128 v[4:7], v1
	ds_read_b128 v[8:11], v1 offset:16
	s_load_dwordx2 s[2:3], s[4:5], 0x10
	s_ashr_i32 s15, s14, 31
	s_lshl_b64 s[4:5], s[14:15], 1
	s_waitcnt lgkmcnt(0)
	v_lshlrev_b32_e32 v2, 16, v4
	buffer_store_dword v2, off, s[36:39], 0 ; 4-byte Folded Spill
	v_and_b32_e32 v2, 0xffff0000, v4
	buffer_store_dword v2, off, s[36:39], 0 offset:4 ; 4-byte Folded Spill
	v_lshlrev_b32_e32 v2, 16, v5
	buffer_store_dword v2, off, s[36:39], 0 offset:8 ; 4-byte Folded Spill
	v_and_b32_e32 v2, 0xffff0000, v5
	buffer_store_dword v2, off, s[36:39], 0 offset:12 ; 4-byte Folded Spill
	v_lshlrev_b32_e32 v2, 16, v6
	buffer_store_dword v2, off, s[36:39], 0 offset:16 ; 4-byte Folded Spill
	;; [unrolled: 4-line block ×3, first 2 shown]
	v_and_b32_e32 v2, 0xffff0000, v7
	ds_read_b128 v[4:7], v1 offset:32
	buffer_store_dword v2, off, s[36:39], 0 offset:28 ; 4-byte Folded Spill
	v_lshlrev_b32_e32 v2, 16, v8
	buffer_store_dword v2, off, s[36:39], 0 offset:32 ; 4-byte Folded Spill
	v_and_b32_e32 v2, 0xffff0000, v8
	v_lshlrev_b32_e32 v30, 16, v9
	v_and_b32_e32 v19, 0xffff0000, v9
	v_lshlrev_b32_e32 v33, 16, v10
	;; [unrolled: 2-line block ×3, first 2 shown]
	v_and_b32_e32 v36, 0xffff0000, v11
	ds_read_b128 v[8:11], v1 offset:48
	s_waitcnt lgkmcnt(1)
	v_lshlrev_b32_e32 v37, 16, v4
	v_and_b32_e32 v38, 0xffff0000, v4
	v_lshlrev_b32_e32 v39, 16, v5
	v_and_b32_e32 v40, 0xffff0000, v5
	;; [unrolled: 2-line block ×4, first 2 shown]
	ds_read_b128 v[4:7], v1 offset:64
	s_add_u32 s2, s2, s4
	s_addc_u32 s3, s3, s5
	buffer_store_dword v2, off, s[36:39], 0 offset:36 ; 4-byte Folded Spill
	v_mov_b32_e32 v2, s3
	s_waitcnt lgkmcnt(0)
	v_lshlrev_b32_e32 v53, 16, v4
	v_and_b32_e32 v54, 0xffff0000, v4
	v_bfe_u32 v4, v62, 1, 5
	v_lshlrev_b32_e32 v1, 4, v4
	v_lshlrev_b32_e32 v55, 16, v5
	v_and_b32_e32 v56, 0xffff0000, v5
	v_add_co_u32_e32 v5, vcc, s2, v1
	s_sub_i32 s12, 1, s33
	s_lshl_b64 s[2:3], s[22:23], 2
	v_lshlrev_b32_e32 v57, 16, v6
	v_and_b32_e32 v58, 0xffff0000, v6
	v_addc_co_u32_e32 v6, vcc, 0, v2, vcc
	s_add_u32 s2, s20, s2
	v_cmp_eq_u32_e32 vcc, 0, v0
	s_addc_u32 s3, s21, s3
	v_and_b32_e32 v0, 60, v13
	v_mov_b32_e32 v2, s3
	v_add_co_u32_e64 v1, s[2:3], s2, v0
	v_lshlrev_b32_e32 v59, 16, v7
	v_and_b32_e32 v60, 0xffff0000, v7
	v_and_b32_e32 v7, 8, v12
	v_addc_co_u32_e64 v2, s[2:3], 0, v2, s[2:3]
	v_mbcnt_hi_u32_b32 v3, -1, v3
	buffer_store_dword v62, off, s[36:39], 0 offset:40 ; 4-byte Folded Spill
	v_add_co_u32_e64 v62, s[2:3], v5, v7
	v_and_b32_e32 v5, 64, v3
	v_addc_co_u32_e64 v63, s[2:3], 0, v6, s[2:3]
	v_xor_b32_e32 v0, 1, v3
	buffer_store_dword v5, off, s[36:39], 0 offset:56 ; 4-byte Folded Spill
	v_add_u32_e32 v5, 64, v5
	v_cmp_lt_i32_e64 s[2:3], v0, v5
	v_cndmask_b32_e64 v0, v3, v0, s[2:3]
	v_lshlrev_b32_e32 v16, 2, v0
	v_lshlrev_b32_e32 v0, 2, v4
	v_lshl_or_b32 v0, v32, 7, v0
	v_lshlrev_b32_e32 v45, 16, v8
	v_and_b32_e32 v46, 0xffff0000, v8
	v_lshlrev_b32_e32 v47, 16, v9
	v_and_b32_e32 v48, 0xffff0000, v9
	;; [unrolled: 2-line block ×4, first 2 shown]
	s_mov_b32 s15, s13
	v_cmp_neq_f32_e64 s[2:3], s26, 0
	v_lshl_or_b32 v15, v32, 5, v4
	v_add_u32_e32 v18, 0xb0, v0
	s_mov_b64 s[28:29], 0
	s_movk_i32 s34, 0x1000
	v_mov_b32_e32 v61, 0xff7fffff
	v_mov_b32_e32 v31, v32
	buffer_store_dword v12, off, s[36:39], 0 offset:44 ; 4-byte Folded Spill
	buffer_store_dword v13, off, s[36:39], 0 offset:48 ; 4-byte Folded Spill
	;; [unrolled: 1-line block ×4, first 2 shown]
	s_branch .LBB155_9
.LBB155_8:                              ;   in Loop: Header=BB155_9 Depth=1
	s_or_b64 exec, exec, s[30:31]
	v_add_u32_e32 v31, 2, v31
	v_cmp_le_i32_e64 s[4:5], s17, v31
	s_or_b64 s[28:29], s[4:5], s[28:29]
	v_add_co_u32_e64 v1, s[4:5], 8, v1
	v_add_u32_e32 v15, 64, v15
	v_add_u32_e32 v18, 0x100, v18
	v_addc_co_u32_e64 v2, s[4:5], 0, v2, s[4:5]
	s_andn2_b64 exec, exec, s[28:29]
	s_cbranch_execz .LBB155_11
.LBB155_9:                              ; =>This Inner Loop Header: Depth=1
	global_load_dword v0, v[1:2], off
	s_waitcnt vmcnt(0) lgkmcnt(0)
	v_mad_i64_i32 v[3:4], s[4:5], v0, s15, 0
	v_lshlrev_b64 v[3:4], 1, v[3:4]
	v_add_co_u32_e64 v3, s[4:5], v62, v3
	v_addc_co_u32_e64 v4, s[4:5], v63, v4, s[4:5]
	global_load_dwordx2 v[20:21], v[3:4], off
	global_load_dwordx2 v[22:23], v[3:4], off offset:512
	global_load_dwordx2 v[24:25], v[3:4], off offset:1024
	;; [unrolled: 1-line block ×7, first 2 shown]
	v_add_co_u32_e64 v3, s[4:5], s34, v3
	v_addc_co_u32_e64 v4, s[4:5], 0, v4, s[4:5]
	global_load_dwordx2 v[5:6], v[3:4], off
	s_nop 0
	global_load_dwordx2 v[3:4], v[3:4], off offset:512
	s_waitcnt vmcnt(9)
	v_lshlrev_b32_e32 v28, 16, v21
	v_and_b32_e32 v29, 0xffff0000, v21
	s_waitcnt vmcnt(8)
	v_lshlrev_b32_e32 v0, 16, v22
	v_and_b32_e32 v21, 0xffff0000, v22
	buffer_load_dword v22, off, s[36:39], 0 offset:16 ; 4-byte Folded Reload
	v_lshlrev_b32_e32 v17, 16, v20
	v_and_b32_e32 v20, 0xffff0000, v20
	s_waitcnt vmcnt(0)
	v_mul_f32_e32 v0, v22, v0
	buffer_load_dword v22, off, s[36:39], 0 ; 4-byte Folded Reload
	s_waitcnt vmcnt(0)
	v_fmac_f32_e32 v0, v22, v17
	buffer_load_dword v17, off, s[36:39], 0 offset:20 ; 4-byte Folded Reload
	buffer_load_dword v22, off, s[36:39], 0 offset:24 ; 4-byte Folded Reload
	s_waitcnt vmcnt(1)
	v_mul_f32_e32 v17, v17, v21
	buffer_load_dword v21, off, s[36:39], 0 offset:4 ; 4-byte Folded Reload
	s_waitcnt vmcnt(0)
	v_fmac_f32_e32 v17, v21, v20
	v_lshlrev_b32_e32 v20, 16, v23
	v_mul_f32_e32 v20, v22, v20
	buffer_load_dword v22, off, s[36:39], 0 offset:8 ; 4-byte Folded Reload
	v_and_b32_e32 v21, 0xffff0000, v23
	v_and_b32_e32 v23, 0xffff0000, v24
	s_waitcnt vmcnt(0)
	v_fmac_f32_e32 v20, v22, v28
	buffer_load_dword v22, off, s[36:39], 0 offset:28 ; 4-byte Folded Reload
	s_waitcnt vmcnt(0)
	v_mul_f32_e32 v21, v22, v21
	buffer_load_dword v22, off, s[36:39], 0 offset:12 ; 4-byte Folded Reload
	s_waitcnt vmcnt(0)
	v_fmac_f32_e32 v21, v22, v29
	v_lshlrev_b32_e32 v22, 16, v24
	buffer_load_dword v24, off, s[36:39], 0 offset:32 ; 4-byte Folded Reload
	s_waitcnt vmcnt(0)
	v_fmac_f32_e32 v0, v24, v22
	buffer_load_dword v22, off, s[36:39], 0 offset:36 ; 4-byte Folded Reload
	s_waitcnt vmcnt(0)
	v_fmac_f32_e32 v17, v22, v23
	v_lshlrev_b32_e32 v22, 16, v25
	v_and_b32_e32 v23, 0xffff0000, v25
	v_fmac_f32_e32 v20, v30, v22
	v_lshlrev_b32_e32 v22, 16, v26
	v_fmac_f32_e32 v21, v19, v23
	v_and_b32_e32 v23, 0xffff0000, v26
	v_fmac_f32_e32 v0, v33, v22
	v_lshlrev_b32_e32 v22, 16, v27
	v_fmac_f32_e32 v17, v34, v23
	v_fmac_f32_e32 v20, v35, v22
	v_lshlrev_b32_e32 v22, 16, v13
	v_and_b32_e32 v13, 0xffff0000, v13
	v_fmac_f32_e32 v17, v38, v13
	v_lshlrev_b32_e32 v13, 16, v14
	v_fmac_f32_e32 v20, v39, v13
	v_lshlrev_b32_e32 v13, 16, v11
	v_and_b32_e32 v11, 0xffff0000, v11
	v_fmac_f32_e32 v17, v42, v11
	v_lshlrev_b32_e32 v11, 16, v12
	;; [unrolled: 5-line block ×3, first 2 shown]
	v_and_b32_e32 v23, 0xffff0000, v27
	v_fmac_f32_e32 v0, v37, v22
	v_fmac_f32_e32 v20, v47, v9
	v_lshlrev_b32_e32 v9, 16, v7
	v_and_b32_e32 v7, 0xffff0000, v7
	v_fmac_f32_e32 v21, v36, v23
	v_and_b32_e32 v14, 0xffff0000, v14
	v_fmac_f32_e32 v0, v41, v13
	v_fmac_f32_e32 v17, v50, v7
	v_lshlrev_b32_e32 v7, 16, v8
	v_fmac_f32_e32 v21, v40, v14
	v_and_b32_e32 v12, 0xffff0000, v12
	v_fmac_f32_e32 v0, v45, v11
	v_fmac_f32_e32 v20, v51, v7
	v_lshlrev_b32_e32 v7, 16, v5
	v_and_b32_e32 v5, 0xffff0000, v5
	v_fmac_f32_e32 v21, v44, v12
	v_and_b32_e32 v10, 0xffff0000, v10
	v_fmac_f32_e32 v0, v49, v9
	v_fmac_f32_e32 v17, v54, v5
	v_lshlrev_b32_e32 v5, 16, v6
	v_fmac_f32_e32 v21, v48, v10
	;; [unrolled: 11-line block ×3, first 2 shown]
	v_and_b32_e32 v4, 0xffff0000, v4
	v_fmac_f32_e32 v20, v59, v3
	v_add_f32_e32 v0, v0, v17
	v_fmac_f32_e32 v21, v60, v4
	v_add_f32_e32 v0, v0, v20
	v_add_f32_e32 v0, v21, v0
	ds_bpermute_b32 v3, v16, v0
	s_and_saveexec_b64 s[30:31], vcc
	s_cbranch_execz .LBB155_8
; %bb.10:                               ;   in Loop: Header=BB155_9 Depth=1
	v_add_u32_e32 v4, s12, v15
	v_cvt_f32_i32_e32 v4, v4
	s_waitcnt lgkmcnt(0)
	v_add_f32_e32 v0, v0, v3
	v_cmp_gt_i32_e64 s[4:5], s33, v15
	v_max_f32_e32 v3, v61, v61
	v_mul_f32_e32 v4, s26, v4
	v_cndmask_b32_e64 v4, 0, v4, s[2:3]
	v_fmac_f32_e32 v4, s27, v0
	v_cndmask_b32_e64 v0, 0, v4, s[4:5]
	ds_write_b32 v18, v0
	v_max_f32_e32 v0, v3, v4
	v_cndmask_b32_e64 v61, v61, v0, s[4:5]
	s_branch .LBB155_8
.LBB155_11:
	s_or_b64 exec, exec, s[28:29]
	buffer_load_dword v62, off, s[36:39], 0 offset:40 ; 4-byte Folded Reload
	buffer_load_dword v12, off, s[36:39], 0 offset:44 ; 4-byte Folded Reload
	;; [unrolled: 1-line block ×6, first 2 shown]
.LBB155_12:
	s_or_b64 exec, exec, s[6:7]
	s_waitcnt vmcnt(2)
	v_xor_b32_e32 v0, 32, v11
	s_waitcnt vmcnt(0)
	v_cmp_lt_i32_e32 vcc, v0, v9
	v_cndmask_b32_e32 v0, v11, v0, vcc
	v_lshlrev_b32_e32 v0, 2, v0
	ds_bpermute_b32 v1, v0, v61
	s_waitcnt lgkmcnt(0)
	v_xor_b32_e32 v3, 16, v11
	v_max_f32_e32 v2, v61, v61
	v_cmp_lt_i32_e32 vcc, v3, v9
	v_xor_b32_e32 v4, 8, v11
	v_max_f32_e32 v1, v1, v1
	v_max_f32_e32 v2, v2, v1
	v_cndmask_b32_e32 v1, v11, v3, vcc
	v_lshlrev_b32_e32 v1, 2, v1
	ds_bpermute_b32 v3, v1, v2
	v_cmp_lt_i32_e32 vcc, v4, v9
	v_xor_b32_e32 v5, 4, v11
	v_xor_b32_e32 v6, 2, v11
	v_and_b32_e32 v31, 63, v62
	s_waitcnt lgkmcnt(0)
	v_max_f32_e32 v3, v3, v3
	v_max_f32_e32 v3, v2, v3
	v_cndmask_b32_e32 v2, v11, v4, vcc
	v_lshlrev_b32_e32 v2, 2, v2
	ds_bpermute_b32 v4, v2, v3
	v_cmp_lt_i32_e32 vcc, v5, v9
	s_waitcnt lgkmcnt(0)
	v_max_f32_e32 v4, v4, v4
	v_max_f32_e32 v4, v3, v4
	v_cndmask_b32_e32 v3, v11, v5, vcc
	v_lshlrev_b32_e32 v3, 2, v3
	ds_bpermute_b32 v5, v3, v4
	v_cmp_lt_i32_e32 vcc, v6, v9
	s_waitcnt lgkmcnt(0)
	v_max_f32_e32 v5, v5, v5
	v_max_f32_e32 v5, v4, v5
	v_cndmask_b32_e32 v4, v11, v6, vcc
	v_lshlrev_b32_e32 v33, 2, v4
	ds_bpermute_b32 v6, v33, v5
	v_cmp_eq_u32_e32 vcc, 0, v31
	v_lshlrev_b32_e32 v4, 2, v32
	s_and_saveexec_b64 s[2:3], vcc
	s_cbranch_execz .LBB155_14
; %bb.13:
	s_waitcnt lgkmcnt(0)
	v_max_f32_e32 v6, v6, v6
	v_max_f32_e32 v5, v5, v5
	;; [unrolled: 1-line block ×3, first 2 shown]
	ds_write_b32 v4, v5 offset:160
.LBB155_14:
	s_or_b64 exec, exec, s[2:3]
	v_cmp_gt_u32_e64 s[2:3], 2, v31
	s_waitcnt lgkmcnt(0)
	v_mov_b32_e32 v6, 0xff7fffff
	v_lshlrev_b32_e32 v5, 2, v31
	s_barrier
	s_and_saveexec_b64 s[4:5], s[2:3]
; %bb.15:
	ds_read_b32 v6, v5 offset:160
; %bb.16:
	s_or_b64 exec, exec, s[4:5]
	v_xor_b32_e32 v7, 1, v11
	v_cmp_lt_i32_e64 s[4:5], v7, v9
	v_cndmask_b32_e64 v7, v11, v7, s[4:5]
	v_lshlrev_b32_e32 v34, 2, v7
	s_waitcnt lgkmcnt(0)
	ds_bpermute_b32 v7, v34, v6
	v_max_f32_e32 v6, v6, v6
	s_lshl_b32 s4, s17, 5
	s_min_i32 s12, s4, s33
	v_cmp_gt_i32_e64 s[4:5], s12, v62
	s_waitcnt lgkmcnt(0)
	v_max_f32_e32 v7, v7, v7
	v_max_f32_e32 v6, v6, v7
	v_lshlrev_b32_e32 v7, 2, v8
	ds_bpermute_b32 v7, v7, v6
	v_mov_b32_e32 v6, 0
	s_and_saveexec_b64 s[26:27], s[4:5]
	s_cbranch_execz .LBB155_20
; %bb.17:
	v_mov_b32_e32 v6, 0xb0
	v_lshl_add_u32 v8, v62, 2, v6
	v_mov_b32_e32 v6, 0
	s_mov_b64 s[28:29], 0
	v_mov_b32_e32 v9, v62
.LBB155_18:                             ; =>This Inner Loop Header: Depth=1
	ds_read_b32 v10, v8
	v_add_u32_e32 v9, 0x80, v9
	v_cmp_le_i32_e64 s[6:7], s12, v9
	s_or_b64 s[28:29], s[6:7], s[28:29]
	s_waitcnt lgkmcnt(0)
	v_sub_f32_e32 v10, v10, v7
	v_mul_f32_e32 v10, 0x3fb8aa3b, v10
	v_exp_f32_e32 v10, v10
	ds_write_b32 v8, v10
	v_add_f32_e32 v6, v6, v10
	v_add_u32_e32 v8, 0x200, v8
	s_andn2_b64 exec, exec, s[28:29]
	s_cbranch_execnz .LBB155_18
; %bb.19:
	s_or_b64 exec, exec, s[28:29]
.LBB155_20:
	s_or_b64 exec, exec, s[26:27]
	ds_bpermute_b32 v0, v0, v6
	s_waitcnt lgkmcnt(0)
	v_add_f32_e32 v0, v6, v0
	ds_bpermute_b32 v1, v1, v0
	s_waitcnt lgkmcnt(0)
	v_add_f32_e32 v0, v0, v1
	;; [unrolled: 3-line block ×6, first 2 shown]
	s_and_saveexec_b64 s[6:7], vcc
; %bb.21:
	ds_write_b32 v4, v0 offset:168
; %bb.22:
	s_or_b64 exec, exec, s[6:7]
	s_waitcnt lgkmcnt(0)
	s_barrier
	s_and_saveexec_b64 s[6:7], s[2:3]
; %bb.23:
	ds_read_b32 v0, v5 offset:168
; %bb.24:
	s_or_b64 exec, exec, s[6:7]
	s_waitcnt lgkmcnt(0)
	ds_bpermute_b32 v1, v34, v0
	v_lshlrev_b32_e32 v2, 2, v11
	s_waitcnt lgkmcnt(0)
	v_add_f32_e32 v0, v0, v1
	v_and_b32_e32 v1, 0xffffff00, v2
	ds_bpermute_b32 v0, v1, v0
	s_and_saveexec_b64 s[2:3], s[4:5]
	s_cbranch_execz .LBB155_27
; %bb.25:
	s_waitcnt lgkmcnt(0)
	v_add_f32_e32 v1, 0x358637bd, v0
	v_div_scale_f32 v0, s[4:5], v1, v1, 1.0
	v_div_scale_f32 v2, vcc, 1.0, v1, 1.0
	s_mov_b64 s[4:5], 0
	v_rcp_f32_e32 v3, v0
	v_fma_f32 v4, -v0, v3, 1.0
	v_fmac_f32_e32 v3, v4, v3
	v_mul_f32_e32 v4, v2, v3
	v_fma_f32 v5, -v0, v4, v2
	v_fmac_f32_e32 v4, v5, v3
	v_fma_f32 v0, -v0, v4, v2
	v_div_fmas_f32 v2, v0, v3, v4
	v_mov_b32_e32 v0, 0xb0
	v_lshl_add_u32 v0, v62, 2, v0
	v_div_fixup_f32 v1, v2, v1, 1.0
	v_mov_b32_e32 v2, v62
.LBB155_26:                             ; =>This Inner Loop Header: Depth=1
	ds_read_b32 v3, v0
	v_add_u32_e32 v2, 0x80, v2
	v_cmp_le_i32_e32 vcc, s12, v2
	s_or_b64 s[4:5], vcc, s[4:5]
	s_waitcnt lgkmcnt(0)
	v_mul_f32_e32 v3, v1, v3
	ds_write_b32 v0, v3
	v_add_u32_e32 v0, 0x200, v0
	s_andn2_b64 exec, exec, s[4:5]
	s_cbranch_execnz .LBB155_26
.LBB155_27:
	s_or_b64 exec, exec, s[2:3]
	v_mov_b32_e32 v39, 0
	v_and_b32_e32 v35, 3, v62
	v_mov_b32_e32 v40, 0
	v_mov_b32_e32 v38, 0
	;; [unrolled: 1-line block ×4, first 2 shown]
	s_waitcnt lgkmcnt(0)
	s_barrier
	s_and_saveexec_b64 s[4:5], s[0:1]
	s_cbranch_execz .LBB155_41
; %bb.28:
	s_ashr_i32 s15, s14, 31
	s_lshl_b64 s[0:1], s[14:15], 1
	s_add_u32 s0, s24, s0
	v_lshlrev_b32_e32 v1, 4, v62
	v_and_b32_e32 v0, 24, v12
	s_addc_u32 s1, s25, s1
	v_and_b32_e32 v1, 0x3f0, v1
	s_add_i32 s14, s17, -1
	v_mov_b32_e32 v2, s1
	v_add_co_u32_e32 v42, vcc, s0, v1
	v_lshl_or_b32 v44, v32, 5, v0
	v_lshlrev_b32_e32 v0, 5, v35
	s_lshl_b64 s[0:1], s[22:23], 2
	v_lshl_or_b32 v0, v32, 7, v0
	s_add_u32 s0, s20, s0
	v_addc_co_u32_e32 v43, vcc, 0, v2, vcc
	v_add_u32_e32 v45, 0xb0, v0
	v_and_b32_e32 v0, 60, v13
	s_addc_u32 s1, s21, s1
	v_mov_b32_e32 v1, s1
	v_add_co_u32_e32 v29, vcc, s0, v0
	s_mov_b32 s26, s13
	v_mov_b32_e32 v41, 0
	s_mov_b32 s15, s33
	v_addc_co_u32_e32 v30, vcc, 0, v1, vcc
	s_mov_b64 s[6:7], 0
	s_mov_b32 s20, 0x5040100
	s_movk_i32 s21, 0x7fff
	v_mov_b32_e32 v36, 0
	v_mov_b32_e32 v37, 0
	;; [unrolled: 1-line block ×5, first 2 shown]
	s_branch .LBB155_30
.LBB155_29:                             ;   in Loop: Header=BB155_30 Depth=1
	s_or_b64 exec, exec, s[2:3]
	s_waitcnt lgkmcnt(1)
	v_bfe_u32 v0, v21, 16, 1
	v_add3_u32 v0, v0, v21, s21
	v_or_b32_e32 v46, 0x400000, v21
	v_cmp_u_f32_e32 vcc, v21, v21
	v_cndmask_b32_e32 v21, v0, v46, vcc
	v_bfe_u32 v0, v22, 16, 1
	v_add3_u32 v0, v0, v22, s21
	v_or_b32_e32 v46, 0x400000, v22
	v_cmp_u_f32_e32 vcc, v22, v22
	v_bfe_u32 v22, v23, 16, 1
	v_cndmask_b32_e32 v0, v0, v46, vcc
	v_add3_u32 v22, v22, v23, s21
	v_or_b32_e32 v46, 0x400000, v23
	v_cmp_u_f32_e32 vcc, v23, v23
	v_bfe_u32 v23, v24, 16, 1
	v_cndmask_b32_e32 v22, v22, v46, vcc
	v_add3_u32 v23, v23, v24, s21
	v_or_b32_e32 v46, 0x400000, v24
	v_cmp_u_f32_e32 vcc, v24, v24
	s_waitcnt lgkmcnt(0)
	v_bfe_u32 v24, v17, 16, 1
	v_cndmask_b32_e32 v23, v23, v46, vcc
	v_add3_u32 v24, v24, v17, s21
	v_or_b32_e32 v46, 0x400000, v17
	v_cmp_u_f32_e32 vcc, v17, v17
	v_bfe_u32 v17, v18, 16, 1
	v_cndmask_b32_e32 v24, v24, v46, vcc
	v_add3_u32 v17, v17, v18, s21
	v_or_b32_e32 v46, 0x400000, v18
	v_cmp_u_f32_e32 vcc, v18, v18
	v_cndmask_b32_e32 v18, v17, v46, vcc
	v_bfe_u32 v17, v19, 16, 1
	v_add3_u32 v17, v17, v19, s21
	v_or_b32_e32 v46, 0x400000, v19
	v_cmp_u_f32_e32 vcc, v19, v19
	v_cndmask_b32_e32 v46, v17, v46, vcc
	v_bfe_u32 v17, v20, 16, 1
	v_add3_u32 v17, v17, v20, s21
	v_or_b32_e32 v19, 0x400000, v20
	v_cmp_u_f32_e32 vcc, v20, v20
	v_cndmask_b32_e32 v19, v17, v19, vcc
	v_and_b32_e32 v0, 0xffff0000, v0
	s_waitcnt vmcnt(1)
	v_and_b32_e32 v17, 0xffff0000, v25
	v_mul_f32_e32 v17, v0, v17
	v_bfe_u32 v20, v17, 16, 1
	v_add3_u32 v20, v20, v17, s21
	v_or_b32_e32 v47, 0x400000, v17
	v_cmp_u_f32_e32 vcc, v17, v17
	v_cndmask_b32_e32 v47, v20, v47, vcc
	v_and_b32_e32 v20, 0xffff0000, v21
	v_lshlrev_b32_e32 v17, 16, v25
	v_mul_f32_e32 v17, v20, v17
	v_bfe_u32 v21, v17, 16, 1
	v_add3_u32 v21, v21, v17, s21
	v_or_b32_e32 v25, 0x400000, v17
	v_cmp_u_f32_e32 vcc, v17, v17
	v_cndmask_b32_e32 v25, v21, v25, vcc
	v_and_b32_e32 v17, 0xffff0000, v23
	v_and_b32_e32 v21, 0xffff0000, v26
	v_mul_f32_e32 v21, v17, v21
	v_bfe_u32 v23, v21, 16, 1
	v_add3_u32 v23, v23, v21, s21
	v_or_b32_e32 v48, 0x400000, v21
	v_cmp_u_f32_e32 vcc, v21, v21
	v_and_b32_e32 v21, 0xffff0000, v22
	v_lshlrev_b32_e32 v22, 16, v26
	v_mul_f32_e32 v22, v21, v22
	v_cndmask_b32_e32 v48, v23, v48, vcc
	v_bfe_u32 v23, v22, 16, 1
	v_add3_u32 v23, v23, v22, s21
	v_or_b32_e32 v26, 0x400000, v22
	v_cmp_u_f32_e32 vcc, v22, v22
	v_and_b32_e32 v18, 0xffff0000, v18
	v_and_b32_e32 v22, 0xffff0000, v27
	v_mul_f32_e32 v22, v18, v22
	v_cndmask_b32_e32 v26, v23, v26, vcc
	v_bfe_u32 v23, v22, 16, 1
	v_add3_u32 v23, v23, v22, s21
	v_or_b32_e32 v49, 0x400000, v22
	v_cmp_u_f32_e32 vcc, v22, v22
	v_cndmask_b32_e32 v49, v23, v49, vcc
	v_and_b32_e32 v22, 0xffff0000, v24
	v_lshlrev_b32_e32 v23, 16, v27
	v_mul_f32_e32 v23, v22, v23
	v_bfe_u32 v24, v23, 16, 1
	v_add3_u32 v24, v24, v23, s21
	v_or_b32_e32 v27, 0x400000, v23
	v_cmp_u_f32_e32 vcc, v23, v23
	v_and_b32_e32 v19, 0xffff0000, v19
	v_and_b32_e32 v23, 0xffff0000, v28
	v_mul_f32_e32 v23, v19, v23
	v_cndmask_b32_e32 v24, v24, v27, vcc
	v_bfe_u32 v27, v23, 16, 1
	v_add3_u32 v27, v27, v23, s21
	v_or_b32_e32 v50, 0x400000, v23
	v_cmp_u_f32_e32 vcc, v23, v23
	v_and_b32_e32 v23, 0xffff0000, v46
	v_lshlrev_b32_e32 v28, 16, v28
	v_mul_f32_e32 v28, v23, v28
	v_bfe_u32 v46, v28, 16, 1
	v_cndmask_b32_e32 v27, v27, v50, vcc
	v_add3_u32 v46, v46, v28, s21
	v_or_b32_e32 v50, 0x400000, v28
	v_cmp_u_f32_e32 vcc, v28, v28
	v_cndmask_b32_e32 v28, v46, v50, vcc
	v_and_b32_e32 v25, 0xffff0000, v25
	v_and_b32_e32 v46, 0xffff0000, v47
	v_add_f32_e32 v25, v25, v46
	v_and_b32_e32 v26, 0xffff0000, v26
	v_and_b32_e32 v46, 0xffff0000, v48
	v_add_f32_e32 v26, v26, v46
	v_add_f32_e32 v25, v26, v25
	v_and_b32_e32 v24, 0xffff0000, v24
	v_and_b32_e32 v26, 0xffff0000, v49
	v_add_f32_e32 v24, v24, v26
	v_add_f32_e32 v24, v24, v25
	v_and_b32_e32 v25, 0xffff0000, v28
	v_and_b32_e32 v26, 0xffff0000, v27
	v_add_f32_e32 v25, v25, v26
	v_add_f32_e32 v24, v25, v24
	v_add_f32_e32 v37, v37, v24
	v_and_b32_e32 v24, 0xffff0000, v13
	v_mul_f32_e32 v24, v0, v24
	v_bfe_u32 v25, v24, 16, 1
	v_lshlrev_b32_e32 v13, 16, v13
	v_add3_u32 v25, v25, v24, s21
	v_or_b32_e32 v26, 0x400000, v24
	v_cmp_u_f32_e32 vcc, v24, v24
	v_mul_f32_e32 v13, v20, v13
	v_cndmask_b32_e32 v24, v25, v26, vcc
	v_bfe_u32 v25, v13, 16, 1
	v_add3_u32 v25, v25, v13, s21
	v_or_b32_e32 v26, 0x400000, v13
	v_cmp_u_f32_e32 vcc, v13, v13
	v_cndmask_b32_e32 v13, v25, v26, vcc
	v_and_b32_e32 v25, 0xffff0000, v14
	v_mul_f32_e32 v25, v17, v25
	v_bfe_u32 v26, v25, 16, 1
	v_lshlrev_b32_e32 v14, 16, v14
	v_add3_u32 v26, v26, v25, s21
	v_or_b32_e32 v27, 0x400000, v25
	v_cmp_u_f32_e32 vcc, v25, v25
	v_mul_f32_e32 v14, v21, v14
	v_cndmask_b32_e32 v25, v26, v27, vcc
	v_bfe_u32 v26, v14, 16, 1
	v_add3_u32 v26, v26, v14, s21
	v_or_b32_e32 v27, 0x400000, v14
	v_cmp_u_f32_e32 vcc, v14, v14
	v_cndmask_b32_e32 v14, v26, v27, vcc
	;; [unrolled: 14-line block ×3, first 2 shown]
	v_and_b32_e32 v27, 0xffff0000, v16
	v_mul_f32_e32 v27, v19, v27
	v_bfe_u32 v28, v27, 16, 1
	v_lshlrev_b32_e32 v16, 16, v16
	v_and_b32_e32 v13, 0xffff0000, v13
	v_and_b32_e32 v24, 0xffff0000, v24
	v_add3_u32 v28, v28, v27, s21
	v_or_b32_e32 v46, 0x400000, v27
	v_cmp_u_f32_e32 vcc, v27, v27
	v_mul_f32_e32 v16, v23, v16
	v_add_f32_e32 v13, v13, v24
	v_and_b32_e32 v14, 0xffff0000, v14
	v_and_b32_e32 v24, 0xffff0000, v25
	v_cndmask_b32_e32 v27, v28, v46, vcc
	v_bfe_u32 v28, v16, 16, 1
	v_add_f32_e32 v14, v14, v24
	v_add3_u32 v28, v28, v16, s21
	v_or_b32_e32 v46, 0x400000, v16
	v_cmp_u_f32_e32 vcc, v16, v16
	v_add_f32_e32 v13, v14, v13
	v_and_b32_e32 v14, 0xffff0000, v15
	v_and_b32_e32 v15, 0xffff0000, v26
	v_cndmask_b32_e32 v16, v28, v46, vcc
	v_add_f32_e32 v14, v14, v15
	v_add_f32_e32 v13, v14, v13
	v_and_b32_e32 v14, 0xffff0000, v16
	v_and_b32_e32 v15, 0xffff0000, v27
	v_add_f32_e32 v14, v14, v15
	v_add_f32_e32 v13, v14, v13
	v_add_f32_e32 v38, v38, v13
	v_and_b32_e32 v13, 0xffff0000, v5
	v_mul_f32_e32 v13, v0, v13
	v_bfe_u32 v14, v13, 16, 1
	v_lshlrev_b32_e32 v5, 16, v5
	v_add3_u32 v14, v14, v13, s21
	v_or_b32_e32 v15, 0x400000, v13
	v_cmp_u_f32_e32 vcc, v13, v13
	v_mul_f32_e32 v5, v20, v5
	v_cndmask_b32_e32 v13, v14, v15, vcc
	v_bfe_u32 v14, v5, 16, 1
	v_add3_u32 v14, v14, v5, s21
	v_or_b32_e32 v15, 0x400000, v5
	v_cmp_u_f32_e32 vcc, v5, v5
	v_cndmask_b32_e32 v5, v14, v15, vcc
	v_and_b32_e32 v14, 0xffff0000, v6
	v_mul_f32_e32 v14, v17, v14
	v_bfe_u32 v15, v14, 16, 1
	v_lshlrev_b32_e32 v6, 16, v6
	v_add3_u32 v15, v15, v14, s21
	v_or_b32_e32 v16, 0x400000, v14
	v_cmp_u_f32_e32 vcc, v14, v14
	v_mul_f32_e32 v6, v21, v6
	v_cndmask_b32_e32 v14, v15, v16, vcc
	v_bfe_u32 v15, v6, 16, 1
	v_add3_u32 v15, v15, v6, s21
	v_or_b32_e32 v16, 0x400000, v6
	v_cmp_u_f32_e32 vcc, v6, v6
	v_cndmask_b32_e32 v6, v15, v16, vcc
	;; [unrolled: 14-line block ×3, first 2 shown]
	v_and_b32_e32 v16, 0xffff0000, v8
	v_mul_f32_e32 v16, v19, v16
	v_bfe_u32 v24, v16, 16, 1
	v_lshlrev_b32_e32 v8, 16, v8
	v_and_b32_e32 v5, 0xffff0000, v5
	v_and_b32_e32 v13, 0xffff0000, v13
	v_add3_u32 v24, v24, v16, s21
	v_or_b32_e32 v25, 0x400000, v16
	v_cmp_u_f32_e32 vcc, v16, v16
	v_mul_f32_e32 v8, v23, v8
	v_add_f32_e32 v5, v5, v13
	v_and_b32_e32 v6, 0xffff0000, v6
	v_and_b32_e32 v13, 0xffff0000, v14
	v_cndmask_b32_e32 v16, v24, v25, vcc
	v_bfe_u32 v24, v8, 16, 1
	v_add_f32_e32 v6, v6, v13
	v_add3_u32 v24, v24, v8, s21
	v_or_b32_e32 v25, 0x400000, v8
	v_cmp_u_f32_e32 vcc, v8, v8
	v_add_f32_e32 v5, v6, v5
	v_and_b32_e32 v6, 0xffff0000, v7
	v_and_b32_e32 v7, 0xffff0000, v15
	v_cndmask_b32_e32 v8, v24, v25, vcc
	v_add_f32_e32 v6, v6, v7
	v_add_f32_e32 v5, v6, v5
	v_and_b32_e32 v6, 0xffff0000, v8
	v_and_b32_e32 v7, 0xffff0000, v16
	v_add_f32_e32 v6, v6, v7
	v_add_f32_e32 v5, v6, v5
	;; [unrolled: 1-line block ×3, first 2 shown]
	v_and_b32_e32 v5, 0xffff0000, v1
	v_mul_f32_e32 v5, v0, v5
	v_bfe_u32 v6, v5, 16, 1
	v_lshlrev_b32_e32 v1, 16, v1
	v_add3_u32 v6, v6, v5, s21
	v_or_b32_e32 v7, 0x400000, v5
	v_cmp_u_f32_e32 vcc, v5, v5
	v_mul_f32_e32 v1, v20, v1
	v_cndmask_b32_e32 v5, v6, v7, vcc
	v_bfe_u32 v6, v1, 16, 1
	v_add3_u32 v6, v6, v1, s21
	v_or_b32_e32 v7, 0x400000, v1
	v_cmp_u_f32_e32 vcc, v1, v1
	v_cndmask_b32_e32 v1, v6, v7, vcc
	v_and_b32_e32 v6, 0xffff0000, v2
	v_mul_f32_e32 v6, v17, v6
	v_bfe_u32 v7, v6, 16, 1
	v_lshlrev_b32_e32 v2, 16, v2
	v_add3_u32 v7, v7, v6, s21
	v_or_b32_e32 v8, 0x400000, v6
	v_cmp_u_f32_e32 vcc, v6, v6
	v_mul_f32_e32 v2, v21, v2
	v_cndmask_b32_e32 v6, v7, v8, vcc
	v_bfe_u32 v7, v2, 16, 1
	v_add3_u32 v7, v7, v2, s21
	v_or_b32_e32 v8, 0x400000, v2
	v_cmp_u_f32_e32 vcc, v2, v2
	v_cndmask_b32_e32 v2, v7, v8, vcc
	;; [unrolled: 14-line block ×3, first 2 shown]
	v_and_b32_e32 v8, 0xffff0000, v4
	v_mul_f32_e32 v8, v19, v8
	v_bfe_u32 v13, v8, 16, 1
	v_lshlrev_b32_e32 v4, 16, v4
	v_and_b32_e32 v1, 0xffff0000, v1
	v_and_b32_e32 v5, 0xffff0000, v5
	v_add3_u32 v13, v13, v8, s21
	v_or_b32_e32 v14, 0x400000, v8
	v_cmp_u_f32_e32 vcc, v8, v8
	v_mul_f32_e32 v4, v23, v4
	v_add_f32_e32 v1, v1, v5
	v_and_b32_e32 v2, 0xffff0000, v2
	v_and_b32_e32 v5, 0xffff0000, v6
	v_cndmask_b32_e32 v8, v13, v14, vcc
	v_bfe_u32 v13, v4, 16, 1
	v_add_f32_e32 v2, v2, v5
	v_add3_u32 v13, v13, v4, s21
	v_or_b32_e32 v14, 0x400000, v4
	v_cmp_u_f32_e32 vcc, v4, v4
	v_add_f32_e32 v1, v2, v1
	v_and_b32_e32 v2, 0xffff0000, v3
	v_and_b32_e32 v3, 0xffff0000, v7
	v_cndmask_b32_e32 v4, v13, v14, vcc
	v_add_f32_e32 v2, v2, v3
	v_add_f32_e32 v1, v2, v1
	v_and_b32_e32 v2, 0xffff0000, v4
	v_and_b32_e32 v3, 0xffff0000, v8
	v_add_f32_e32 v2, v2, v3
	v_add_f32_e32 v1, v2, v1
	;; [unrolled: 1-line block ×3, first 2 shown]
	s_waitcnt vmcnt(0)
	v_lshlrev_b32_e32 v1, 16, v9
	v_mul_f32_e32 v1, v20, v1
	v_bfe_u32 v2, v1, 16, 1
	v_add3_u32 v2, v2, v1, s21
	v_or_b32_e32 v3, 0x400000, v1
	v_cmp_u_f32_e32 vcc, v1, v1
	v_cndmask_b32_e32 v1, v2, v3, vcc
	v_and_b32_e32 v2, 0xffff0000, v9
	v_mul_f32_e32 v0, v0, v2
	v_bfe_u32 v2, v0, 16, 1
	v_add3_u32 v2, v2, v0, s21
	v_or_b32_e32 v3, 0x400000, v0
	v_cmp_u_f32_e32 vcc, v0, v0
	v_cndmask_b32_e32 v0, v2, v3, vcc
	v_lshlrev_b32_e32 v2, 16, v10
	v_mul_f32_e32 v2, v21, v2
	v_bfe_u32 v3, v2, 16, 1
	v_add3_u32 v3, v3, v2, s21
	v_or_b32_e32 v4, 0x400000, v2
	v_cmp_u_f32_e32 vcc, v2, v2
	v_cndmask_b32_e32 v2, v3, v4, vcc
	v_and_b32_e32 v3, 0xffff0000, v10
	v_mul_f32_e32 v3, v17, v3
	v_bfe_u32 v4, v3, 16, 1
	v_add3_u32 v4, v4, v3, s21
	v_or_b32_e32 v5, 0x400000, v3
	v_cmp_u_f32_e32 vcc, v3, v3
	v_cndmask_b32_e32 v3, v4, v5, vcc
	;; [unrolled: 14-line block ×3, first 2 shown]
	v_lshlrev_b32_e32 v6, 16, v12
	v_mul_f32_e32 v6, v23, v6
	v_bfe_u32 v7, v6, 16, 1
	v_add3_u32 v7, v7, v6, s21
	v_or_b32_e32 v8, 0x400000, v6
	v_cmp_u_f32_e32 vcc, v6, v6
	v_cndmask_b32_e32 v6, v7, v8, vcc
	v_and_b32_e32 v7, 0xffff0000, v12
	v_and_b32_e32 v0, 0xffff0000, v0
	;; [unrolled: 1-line block ×3, first 2 shown]
	v_mul_f32_e32 v7, v19, v7
	v_add_f32_e32 v0, v1, v0
	v_and_b32_e32 v1, 0xffff0000, v3
	v_and_b32_e32 v2, 0xffff0000, v2
	v_bfe_u32 v8, v7, 16, 1
	v_add_f32_e32 v1, v2, v1
	v_add3_u32 v8, v8, v7, s21
	v_or_b32_e32 v9, 0x400000, v7
	v_cmp_u_f32_e32 vcc, v7, v7
	v_add_f32_e32 v0, v1, v0
	v_and_b32_e32 v1, 0xffff0000, v5
	v_and_b32_e32 v2, 0xffff0000, v4
	v_cndmask_b32_e32 v7, v8, v9, vcc
	v_add_f32_e32 v1, v2, v1
	v_add_f32_e32 v0, v1, v0
	v_and_b32_e32 v1, 0xffff0000, v7
	v_and_b32_e32 v2, 0xffff0000, v6
	v_add_u32_e32 v32, 2, v32
	v_add_f32_e32 v1, v2, v1
	v_cmp_le_i32_e32 vcc, s17, v32
	v_add_f32_e32 v0, v1, v0
	s_or_b64 s[6:7], vcc, s[6:7]
	v_add_co_u32_e32 v29, vcc, 8, v29
	v_add_f32_e32 v36, v36, v0
	v_add_u32_e32 v44, 64, v44
	v_add_u32_e32 v45, 0x100, v45
	v_addc_co_u32_e32 v30, vcc, 0, v30, vcc
	s_andn2_b64 exec, exec, s[6:7]
	s_cbranch_execz .LBB155_40
.LBB155_30:                             ; =>This Inner Loop Header: Depth=1
	global_load_dword v0, v[29:30], off
	v_add_u32_e32 v51, 1, v44
	v_or_b32_e32 v49, 3, v44
	v_or_b32_e32 v50, 2, v44
	;; [unrolled: 1-line block ×5, first 2 shown]
	s_waitcnt vmcnt(0)
	v_mad_i64_i32 v[0:1], s[0:1], v0, s26, 0
	v_cmp_eq_u32_e64 s[0:1], s14, v32
	v_lshlrev_b64 v[0:1], 1, v[0:1]
	v_add_co_u32_e32 v9, vcc, v42, v0
	v_addc_co_u32_e32 v10, vcc, v43, v1, vcc
	global_load_dwordx4 v[1:4], v[9:10], off
	ds_read2_b64 v[21:24], v45 offset1:1
	ds_read2_b64 v[17:20], v45 offset0:2 offset1:3
	v_or_b32_e32 v0, 7, v44
	s_and_saveexec_b64 s[12:13], s[0:1]
	s_cbranch_execnz .LBB155_37
; %bb.31:                               ;   in Loop: Header=BB155_30 Depth=1
	s_or_b64 exec, exec, s[12:13]
	global_load_dwordx4 v[5:8], v[9:10], off offset:1024
	s_and_saveexec_b64 s[12:13], s[0:1]
	s_cbranch_execnz .LBB155_38
.LBB155_32:                             ;   in Loop: Header=BB155_30 Depth=1
	s_or_b64 exec, exec, s[12:13]
	global_load_dwordx4 v[13:16], v[9:10], off offset:2048
	s_and_saveexec_b64 s[12:13], s[0:1]
	s_cbranch_execnz .LBB155_39
.LBB155_33:                             ;   in Loop: Header=BB155_30 Depth=1
	s_or_b64 exec, exec, s[12:13]
	global_load_dwordx4 v[25:28], v[9:10], off offset:3072
	s_and_saveexec_b64 s[12:13], s[0:1]
	s_cbranch_execz .LBB155_35
.LBB155_34:                             ;   in Loop: Header=BB155_30 Depth=1
	v_cmp_gt_i32_e32 vcc, s15, v51
	s_waitcnt vmcnt(0)
	v_cndmask_b32_sdwa v11, v41, v25, vcc dst_sel:DWORD dst_unused:UNUSED_PAD src0_sel:DWORD src1_sel:WORD_1
	v_cmp_gt_i32_e32 vcc, s33, v44
	v_cndmask_b32_e32 v12, 0, v25, vcc
	v_cmp_gt_i32_e32 vcc, s15, v49
	v_cmp_gt_i32_e64 s[2:3], s33, v50
	v_perm_b32 v25, v11, v12, s20
	v_cndmask_b32_e64 v11, 0, v26, s[2:3]
	v_cndmask_b32_sdwa v12, v41, v26, vcc dst_sel:DWORD dst_unused:UNUSED_PAD src0_sel:DWORD src1_sel:WORD_1
	v_cmp_gt_i32_e32 vcc, s15, v47
	v_cmp_gt_i32_e64 s[2:3], s33, v48
	v_perm_b32 v26, v12, v11, s20
	v_cndmask_b32_e64 v11, 0, v27, s[2:3]
	v_cndmask_b32_sdwa v12, v41, v27, vcc dst_sel:DWORD dst_unused:UNUSED_PAD src0_sel:DWORD src1_sel:WORD_1
	;; [unrolled: 5-line block ×3, first 2 shown]
	v_perm_b32 v28, v12, v11, s20
.LBB155_35:                             ;   in Loop: Header=BB155_30 Depth=1
	s_or_b64 exec, exec, s[12:13]
	v_add_co_u32_e32 v9, vcc, 0x1000, v9
	v_addc_co_u32_e32 v10, vcc, 0, v10, vcc
	global_load_dwordx4 v[9:12], v[9:10], off
	s_and_saveexec_b64 s[2:3], s[0:1]
	s_cbranch_execz .LBB155_29
; %bb.36:                               ;   in Loop: Header=BB155_30 Depth=1
	v_cmp_gt_i32_e32 vcc, s15, v51
	s_waitcnt vmcnt(0)
	v_cndmask_b32_sdwa v51, v41, v9, vcc dst_sel:DWORD dst_unused:UNUSED_PAD src0_sel:DWORD src1_sel:WORD_1
	v_cmp_gt_i32_e32 vcc, s33, v44
	v_cndmask_b32_e32 v9, 0, v9, vcc
	v_cmp_gt_i32_e32 vcc, s15, v49
	v_cmp_gt_i32_e64 s[0:1], s33, v50
	v_cndmask_b32_e64 v49, 0, v10, s[0:1]
	v_cndmask_b32_sdwa v10, v41, v10, vcc dst_sel:DWORD dst_unused:UNUSED_PAD src0_sel:DWORD src1_sel:WORD_1
	v_cmp_gt_i32_e32 vcc, s15, v47
	v_cmp_gt_i32_e64 s[0:1], s33, v48
	v_cndmask_b32_e64 v47, 0, v11, s[0:1]
	v_cndmask_b32_sdwa v11, v41, v11, vcc dst_sel:DWORD dst_unused:UNUSED_PAD src0_sel:DWORD src1_sel:WORD_1
	;; [unrolled: 4-line block ×3, first 2 shown]
	v_perm_b32 v9, v51, v9, s20
	v_perm_b32 v10, v10, v49, s20
	;; [unrolled: 1-line block ×4, first 2 shown]
	s_branch .LBB155_29
.LBB155_37:                             ;   in Loop: Header=BB155_30 Depth=1
	v_cmp_gt_i32_e32 vcc, s15, v51
	s_waitcnt vmcnt(0)
	v_cndmask_b32_sdwa v5, v41, v1, vcc dst_sel:DWORD dst_unused:UNUSED_PAD src0_sel:DWORD src1_sel:WORD_1
	v_cmp_gt_i32_e32 vcc, s33, v44
	v_cndmask_b32_e32 v1, 0, v1, vcc
	v_cmp_gt_i32_e32 vcc, s15, v49
	v_cmp_gt_i32_e64 s[2:3], s33, v50
	v_perm_b32 v1, v5, v1, s20
	v_cndmask_b32_e64 v5, 0, v2, s[2:3]
	v_cndmask_b32_sdwa v2, v41, v2, vcc dst_sel:DWORD dst_unused:UNUSED_PAD src0_sel:DWORD src1_sel:WORD_1
	v_cmp_gt_i32_e32 vcc, s15, v47
	v_cmp_gt_i32_e64 s[2:3], s33, v48
	v_perm_b32 v2, v2, v5, s20
	v_cndmask_b32_e64 v5, 0, v3, s[2:3]
	v_cndmask_b32_sdwa v3, v41, v3, vcc dst_sel:DWORD dst_unused:UNUSED_PAD src0_sel:DWORD src1_sel:WORD_1
	;; [unrolled: 5-line block ×3, first 2 shown]
	v_perm_b32 v4, v4, v5, s20
	s_or_b64 exec, exec, s[12:13]
	global_load_dwordx4 v[5:8], v[9:10], off offset:1024
	s_and_saveexec_b64 s[12:13], s[0:1]
	s_cbranch_execz .LBB155_32
.LBB155_38:                             ;   in Loop: Header=BB155_30 Depth=1
	v_cmp_gt_i32_e32 vcc, s15, v51
	s_waitcnt vmcnt(0)
	v_cndmask_b32_sdwa v11, v41, v5, vcc dst_sel:DWORD dst_unused:UNUSED_PAD src0_sel:DWORD src1_sel:WORD_1
	v_cmp_gt_i32_e32 vcc, s33, v44
	v_cndmask_b32_e32 v5, 0, v5, vcc
	v_cmp_gt_i32_e32 vcc, s15, v49
	v_cmp_gt_i32_e64 s[2:3], s33, v50
	v_perm_b32 v5, v11, v5, s20
	v_cndmask_b32_e64 v11, 0, v6, s[2:3]
	v_cndmask_b32_sdwa v6, v41, v6, vcc dst_sel:DWORD dst_unused:UNUSED_PAD src0_sel:DWORD src1_sel:WORD_1
	v_cmp_gt_i32_e32 vcc, s15, v47
	v_cmp_gt_i32_e64 s[2:3], s33, v48
	v_perm_b32 v6, v6, v11, s20
	v_cndmask_b32_e64 v11, 0, v7, s[2:3]
	v_cndmask_b32_sdwa v7, v41, v7, vcc dst_sel:DWORD dst_unused:UNUSED_PAD src0_sel:DWORD src1_sel:WORD_1
	;; [unrolled: 5-line block ×3, first 2 shown]
	v_perm_b32 v8, v8, v11, s20
	s_or_b64 exec, exec, s[12:13]
	global_load_dwordx4 v[13:16], v[9:10], off offset:2048
	s_and_saveexec_b64 s[12:13], s[0:1]
	s_cbranch_execz .LBB155_33
.LBB155_39:                             ;   in Loop: Header=BB155_30 Depth=1
	v_cmp_gt_i32_e32 vcc, s15, v51
	s_waitcnt vmcnt(0)
	v_cndmask_b32_sdwa v11, v41, v13, vcc dst_sel:DWORD dst_unused:UNUSED_PAD src0_sel:DWORD src1_sel:WORD_1
	v_cmp_gt_i32_e32 vcc, s33, v44
	v_cndmask_b32_e32 v12, 0, v13, vcc
	v_cmp_gt_i32_e32 vcc, s15, v49
	v_cmp_gt_i32_e64 s[2:3], s33, v50
	v_perm_b32 v13, v11, v12, s20
	v_cndmask_b32_e64 v11, 0, v14, s[2:3]
	v_cndmask_b32_sdwa v12, v41, v14, vcc dst_sel:DWORD dst_unused:UNUSED_PAD src0_sel:DWORD src1_sel:WORD_1
	v_cmp_gt_i32_e32 vcc, s15, v47
	v_cmp_gt_i32_e64 s[2:3], s33, v48
	v_perm_b32 v14, v12, v11, s20
	v_cndmask_b32_e64 v11, 0, v15, s[2:3]
	v_cndmask_b32_sdwa v12, v41, v15, vcc dst_sel:DWORD dst_unused:UNUSED_PAD src0_sel:DWORD src1_sel:WORD_1
	;; [unrolled: 5-line block ×3, first 2 shown]
	v_perm_b32 v16, v12, v11, s20
	s_or_b64 exec, exec, s[12:13]
	global_load_dwordx4 v[25:28], v[9:10], off offset:3072
	s_and_saveexec_b64 s[12:13], s[0:1]
	s_cbranch_execnz .LBB155_34
	s_branch .LBB155_35
.LBB155_40:
	s_or_b64 exec, exec, s[6:7]
.LBB155_41:
	s_or_b64 exec, exec, s[4:5]
	ds_bpermute_b32 v0, v33, v39
	ds_bpermute_b32 v6, v33, v36
	;; [unrolled: 1-line block ×5, first 2 shown]
	s_waitcnt lgkmcnt(4)
	v_add_f32_e32 v0, v39, v0
	s_waitcnt lgkmcnt(3)
	v_add_f32_e32 v6, v36, v6
	;; [unrolled: 2-line block ×3, first 2 shown]
	ds_bpermute_b32 v4, v34, v0
	s_waitcnt lgkmcnt(2)
	v_add_f32_e32 v2, v38, v2
	s_waitcnt lgkmcnt(1)
	v_add_f32_e32 v8, v37, v3
	ds_bpermute_b32 v10, v34, v6
	ds_bpermute_b32 v5, v34, v1
	;; [unrolled: 1-line block ×4, first 2 shown]
	s_waitcnt lgkmcnt(4)
	v_add_f32_e32 v4, v0, v4
	s_waitcnt lgkmcnt(3)
	v_add_f32_e32 v0, v6, v10
	v_and_b32_e32 v6, 0x3c3, v62
	s_waitcnt lgkmcnt(2)
	v_add_f32_e32 v3, v1, v5
	s_waitcnt lgkmcnt(1)
	v_add_f32_e32 v2, v2, v7
	;; [unrolled: 2-line block ×3, first 2 shown]
	v_cmp_eq_u32_e32 vcc, 64, v6
	s_barrier
	s_and_saveexec_b64 s[0:1], vcc
	s_cbranch_execz .LBB155_43
; %bb.42:
	v_add_u32_e32 v5, 0xb0, v31
	ds_write2_b32 v5, v4, v3 offset1:16
	ds_write2_b32 v5, v2, v1 offset0:32 offset1:48
	ds_write_b32 v5, v0 offset:256
.LBB155_43:
	s_or_b64 exec, exec, s[0:1]
	v_cmp_gt_u32_e32 vcc, 64, v62
	v_lshrrev_b32_e32 v5, 2, v62
	s_waitcnt lgkmcnt(0)
	s_barrier
	s_and_saveexec_b64 s[0:1], vcc
	s_cbranch_execz .LBB155_51
; %bb.44:
	v_mov_b32_e32 v7, 0xb0
	v_cmp_eq_u32_e32 vcc, 0, v35
	v_lshl_add_u32 v7, v5, 2, v7
	s_and_saveexec_b64 s[2:3], vcc
	s_cbranch_execnz .LBB155_54
; %bb.45:
	s_or_b64 exec, exec, s[2:3]
	s_and_saveexec_b64 s[2:3], vcc
	s_cbranch_execnz .LBB155_55
.LBB155_46:
	s_or_b64 exec, exec, s[2:3]
	s_and_saveexec_b64 s[2:3], vcc
	s_cbranch_execnz .LBB155_56
.LBB155_47:
	s_or_b64 exec, exec, s[2:3]
	s_and_saveexec_b64 s[2:3], vcc
	s_cbranch_execnz .LBB155_57
.LBB155_48:
	s_or_b64 exec, exec, s[2:3]
	s_and_saveexec_b64 s[2:3], vcc
	s_cbranch_execz .LBB155_50
.LBB155_49:
	ds_read_b32 v7, v7 offset:256
	s_waitcnt lgkmcnt(0)
	v_add_f32_e32 v0, v0, v7
.LBB155_50:
	s_or_b64 exec, exec, s[2:3]
.LBB155_51:
	s_or_b64 exec, exec, s[0:1]
	v_cmp_eq_u32_e32 vcc, 0, v6
	s_barrier
	s_and_saveexec_b64 s[0:1], vcc
	s_cbranch_execz .LBB155_53
; %bb.52:
	s_mul_i32 s0, s10, s11
	s_mul_i32 s0, s0, s9
	s_mulk_i32 s0, 0x50
	s_ashr_i32 s1, s0, 31
	s_lshl_b64 s[0:1], s[0:1], 1
	s_add_u32 s2, s18, s0
	s_mul_i32 s0, s11, s16
	s_addc_u32 s3, s19, s1
	s_ashr_i32 s1, s0, 31
	s_lshl_b64 s[0:1], s[0:1], 1
	s_add_u32 s2, s2, s0
	s_mul_i32 s0, s8, 0x50
	s_addc_u32 s3, s3, s1
	s_ashr_i32 s1, s0, 31
	s_lshl_b64 s[0:1], s[0:1], 1
	s_add_u32 s0, s2, s0
	v_bfe_u32 v6, v4, 16, 1
	s_movk_i32 s2, 0x7fff
	v_add3_u32 v6, v6, v4, s2
	v_or_b32_e32 v7, 0x400000, v4
	v_cmp_u_f32_e32 vcc, v4, v4
	s_addc_u32 s1, s3, s1
	v_lshlrev_b32_e32 v5, 1, v5
	v_cndmask_b32_e32 v4, v6, v7, vcc
	global_store_short_d16_hi v5, v4, s[0:1]
	v_bfe_u32 v4, v3, 16, 1
	v_add3_u32 v4, v4, v3, s2
	v_or_b32_e32 v6, 0x400000, v3
	v_cmp_u_f32_e32 vcc, v3, v3
	v_cndmask_b32_e32 v3, v4, v6, vcc
	global_store_short_d16_hi v5, v3, s[0:1] offset:32
	v_bfe_u32 v3, v2, 16, 1
	v_add3_u32 v3, v3, v2, s2
	v_or_b32_e32 v4, 0x400000, v2
	v_cmp_u_f32_e32 vcc, v2, v2
	v_cndmask_b32_e32 v2, v3, v4, vcc
	global_store_short_d16_hi v5, v2, s[0:1] offset:64
	;; [unrolled: 6-line block ×4, first 2 shown]
.LBB155_53:
	s_endpgm
.LBB155_54:
	ds_read_b32 v8, v7
	s_waitcnt lgkmcnt(0)
	v_add_f32_e32 v4, v4, v8
	s_or_b64 exec, exec, s[2:3]
	s_and_saveexec_b64 s[2:3], vcc
	s_cbranch_execz .LBB155_46
.LBB155_55:
	ds_read_b32 v8, v7 offset:64
	s_waitcnt lgkmcnt(0)
	v_add_f32_e32 v3, v3, v8
	s_or_b64 exec, exec, s[2:3]
	s_and_saveexec_b64 s[2:3], vcc
	s_cbranch_execz .LBB155_47
.LBB155_56:
	ds_read_b32 v8, v7 offset:128
	s_waitcnt lgkmcnt(0)
	v_add_f32_e32 v2, v2, v8
	s_or_b64 exec, exec, s[2:3]
	s_and_saveexec_b64 s[2:3], vcc
	s_cbranch_execz .LBB155_48
.LBB155_57:
	ds_read_b32 v8, v7 offset:192
	s_waitcnt lgkmcnt(0)
	v_add_f32_e32 v1, v1, v8
	s_or_b64 exec, exec, s[2:3]
	s_and_saveexec_b64 s[2:3], vcc
	s_cbranch_execnz .LBB155_49
	s_branch .LBB155_50
	.section	.rodata,"a",@progbits
	.p2align	6, 0x0
	.amdhsa_kernel _ZN4vllm25paged_attention_v1_kernelI14__hip_bfloat16S1_Li80ELi32ELi128ELNS_18Fp8KVCacheDataTypeE0ELb0EEEvPT_PKS3_PKT0_S9_ifPKiSB_iPKfiiiSD_SD_iiiii
		.amdhsa_group_segment_fixed_size 176
		.amdhsa_private_segment_fixed_size 68
		.amdhsa_kernarg_size 384
		.amdhsa_user_sgpr_count 6
		.amdhsa_user_sgpr_private_segment_buffer 1
		.amdhsa_user_sgpr_dispatch_ptr 0
		.amdhsa_user_sgpr_queue_ptr 0
		.amdhsa_user_sgpr_kernarg_segment_ptr 1
		.amdhsa_user_sgpr_dispatch_id 0
		.amdhsa_user_sgpr_flat_scratch_init 0
		.amdhsa_user_sgpr_private_segment_size 0
		.amdhsa_uses_dynamic_stack 0
		.amdhsa_system_sgpr_private_segment_wavefront_offset 1
		.amdhsa_system_sgpr_workgroup_id_x 1
		.amdhsa_system_sgpr_workgroup_id_y 1
		.amdhsa_system_sgpr_workgroup_id_z 1
		.amdhsa_system_sgpr_workgroup_info 0
		.amdhsa_system_vgpr_workitem_id 0
		.amdhsa_next_free_vgpr 64
		.amdhsa_next_free_sgpr 40
		.amdhsa_reserve_vcc 1
		.amdhsa_reserve_flat_scratch 0
		.amdhsa_float_round_mode_32 0
		.amdhsa_float_round_mode_16_64 0
		.amdhsa_float_denorm_mode_32 3
		.amdhsa_float_denorm_mode_16_64 3
		.amdhsa_dx10_clamp 1
		.amdhsa_ieee_mode 1
		.amdhsa_fp16_overflow 0
		.amdhsa_exception_fp_ieee_invalid_op 0
		.amdhsa_exception_fp_denorm_src 0
		.amdhsa_exception_fp_ieee_div_zero 0
		.amdhsa_exception_fp_ieee_overflow 0
		.amdhsa_exception_fp_ieee_underflow 0
		.amdhsa_exception_fp_ieee_inexact 0
		.amdhsa_exception_int_div_zero 0
	.end_amdhsa_kernel
	.section	.text._ZN4vllm25paged_attention_v1_kernelI14__hip_bfloat16S1_Li80ELi32ELi128ELNS_18Fp8KVCacheDataTypeE0ELb0EEEvPT_PKS3_PKT0_S9_ifPKiSB_iPKfiiiSD_SD_iiiii,"axG",@progbits,_ZN4vllm25paged_attention_v1_kernelI14__hip_bfloat16S1_Li80ELi32ELi128ELNS_18Fp8KVCacheDataTypeE0ELb0EEEvPT_PKS3_PKT0_S9_ifPKiSB_iPKfiiiSD_SD_iiiii,comdat
.Lfunc_end155:
	.size	_ZN4vllm25paged_attention_v1_kernelI14__hip_bfloat16S1_Li80ELi32ELi128ELNS_18Fp8KVCacheDataTypeE0ELb0EEEvPT_PKS3_PKT0_S9_ifPKiSB_iPKfiiiSD_SD_iiiii, .Lfunc_end155-_ZN4vllm25paged_attention_v1_kernelI14__hip_bfloat16S1_Li80ELi32ELi128ELNS_18Fp8KVCacheDataTypeE0ELb0EEEvPT_PKS3_PKT0_S9_ifPKiSB_iPKfiiiSD_SD_iiiii
                                        ; -- End function
	.set _ZN4vllm25paged_attention_v1_kernelI14__hip_bfloat16S1_Li80ELi32ELi128ELNS_18Fp8KVCacheDataTypeE0ELb0EEEvPT_PKS3_PKT0_S9_ifPKiSB_iPKfiiiSD_SD_iiiii.num_vgpr, 64
	.set _ZN4vllm25paged_attention_v1_kernelI14__hip_bfloat16S1_Li80ELi32ELi128ELNS_18Fp8KVCacheDataTypeE0ELb0EEEvPT_PKS3_PKT0_S9_ifPKiSB_iPKfiiiSD_SD_iiiii.num_agpr, 0
	.set _ZN4vllm25paged_attention_v1_kernelI14__hip_bfloat16S1_Li80ELi32ELi128ELNS_18Fp8KVCacheDataTypeE0ELb0EEEvPT_PKS3_PKT0_S9_ifPKiSB_iPKfiiiSD_SD_iiiii.numbered_sgpr, 40
	.set _ZN4vllm25paged_attention_v1_kernelI14__hip_bfloat16S1_Li80ELi32ELi128ELNS_18Fp8KVCacheDataTypeE0ELb0EEEvPT_PKS3_PKT0_S9_ifPKiSB_iPKfiiiSD_SD_iiiii.num_named_barrier, 0
	.set _ZN4vllm25paged_attention_v1_kernelI14__hip_bfloat16S1_Li80ELi32ELi128ELNS_18Fp8KVCacheDataTypeE0ELb0EEEvPT_PKS3_PKT0_S9_ifPKiSB_iPKfiiiSD_SD_iiiii.private_seg_size, 68
	.set _ZN4vllm25paged_attention_v1_kernelI14__hip_bfloat16S1_Li80ELi32ELi128ELNS_18Fp8KVCacheDataTypeE0ELb0EEEvPT_PKS3_PKT0_S9_ifPKiSB_iPKfiiiSD_SD_iiiii.uses_vcc, 1
	.set _ZN4vllm25paged_attention_v1_kernelI14__hip_bfloat16S1_Li80ELi32ELi128ELNS_18Fp8KVCacheDataTypeE0ELb0EEEvPT_PKS3_PKT0_S9_ifPKiSB_iPKfiiiSD_SD_iiiii.uses_flat_scratch, 0
	.set _ZN4vllm25paged_attention_v1_kernelI14__hip_bfloat16S1_Li80ELi32ELi128ELNS_18Fp8KVCacheDataTypeE0ELb0EEEvPT_PKS3_PKT0_S9_ifPKiSB_iPKfiiiSD_SD_iiiii.has_dyn_sized_stack, 0
	.set _ZN4vllm25paged_attention_v1_kernelI14__hip_bfloat16S1_Li80ELi32ELi128ELNS_18Fp8KVCacheDataTypeE0ELb0EEEvPT_PKS3_PKT0_S9_ifPKiSB_iPKfiiiSD_SD_iiiii.has_recursion, 0
	.set _ZN4vllm25paged_attention_v1_kernelI14__hip_bfloat16S1_Li80ELi32ELi128ELNS_18Fp8KVCacheDataTypeE0ELb0EEEvPT_PKS3_PKT0_S9_ifPKiSB_iPKfiiiSD_SD_iiiii.has_indirect_call, 0
	.section	.AMDGPU.csdata,"",@progbits
; Kernel info:
; codeLenInByte = 7456
; TotalNumSgprs: 44
; NumVgprs: 64
; ScratchSize: 68
; MemoryBound: 0
; FloatMode: 240
; IeeeMode: 1
; LDSByteSize: 176 bytes/workgroup (compile time only)
; SGPRBlocks: 5
; VGPRBlocks: 15
; NumSGPRsForWavesPerEU: 44
; NumVGPRsForWavesPerEU: 64
; Occupancy: 4
; WaveLimiterHint : 1
; COMPUTE_PGM_RSRC2:SCRATCH_EN: 1
; COMPUTE_PGM_RSRC2:USER_SGPR: 6
; COMPUTE_PGM_RSRC2:TRAP_HANDLER: 0
; COMPUTE_PGM_RSRC2:TGID_X_EN: 1
; COMPUTE_PGM_RSRC2:TGID_Y_EN: 1
; COMPUTE_PGM_RSRC2:TGID_Z_EN: 1
; COMPUTE_PGM_RSRC2:TIDIG_COMP_CNT: 0
	.section	.text._ZN4vllm25paged_attention_v1_kernelI14__hip_bfloat16S1_Li96ELi32ELi128ELNS_18Fp8KVCacheDataTypeE0ELb0EEEvPT_PKS3_PKT0_S9_ifPKiSB_iPKfiiiSD_SD_iiiii,"axG",@progbits,_ZN4vllm25paged_attention_v1_kernelI14__hip_bfloat16S1_Li96ELi32ELi128ELNS_18Fp8KVCacheDataTypeE0ELb0EEEvPT_PKS3_PKT0_S9_ifPKiSB_iPKfiiiSD_SD_iiiii,comdat
	.protected	_ZN4vllm25paged_attention_v1_kernelI14__hip_bfloat16S1_Li96ELi32ELi128ELNS_18Fp8KVCacheDataTypeE0ELb0EEEvPT_PKS3_PKT0_S9_ifPKiSB_iPKfiiiSD_SD_iiiii ; -- Begin function _ZN4vllm25paged_attention_v1_kernelI14__hip_bfloat16S1_Li96ELi32ELi128ELNS_18Fp8KVCacheDataTypeE0ELb0EEEvPT_PKS3_PKT0_S9_ifPKiSB_iPKfiiiSD_SD_iiiii
	.globl	_ZN4vllm25paged_attention_v1_kernelI14__hip_bfloat16S1_Li96ELi32ELi128ELNS_18Fp8KVCacheDataTypeE0ELb0EEEvPT_PKS3_PKT0_S9_ifPKiSB_iPKfiiiSD_SD_iiiii
	.p2align	8
	.type	_ZN4vllm25paged_attention_v1_kernelI14__hip_bfloat16S1_Li96ELi32ELi128ELNS_18Fp8KVCacheDataTypeE0ELb0EEEvPT_PKS3_PKT0_S9_ifPKiSB_iPKfiiiSD_SD_iiiii,@function
_ZN4vllm25paged_attention_v1_kernelI14__hip_bfloat16S1_Li96ELi32ELi128ELNS_18Fp8KVCacheDataTypeE0ELb0EEEvPT_PKS3_PKT0_S9_ifPKiSB_iPKfiiiSD_SD_iiiii: ; @_ZN4vllm25paged_attention_v1_kernelI14__hip_bfloat16S1_Li96ELi32ELi128ELNS_18Fp8KVCacheDataTypeE0ELb0EEEvPT_PKS3_PKT0_S9_ifPKiSB_iPKfiiiSD_SD_iiiii
; %bb.0:
	s_mov_b64 s[38:39], s[2:3]
	s_mov_b64 s[36:37], s[0:1]
	s_add_u32 s36, s36, s9
	s_load_dword s9, s[4:5], 0x80
	s_load_dwordx2 s[0:1], s[4:5], 0x30
	s_load_dwordx2 s[26:27], s[4:5], 0x20
	s_addc_u32 s37, s37, 0
	s_mov_b32 s10, s7
	s_ashr_i32 s11, s7, 31
	s_lshl_b64 s[2:3], s[10:11], 2
	s_waitcnt lgkmcnt(0)
	s_add_u32 s0, s0, s2
	s_addc_u32 s1, s1, s3
	s_abs_i32 s2, s26
	v_mov_b32_e32 v14, v0
	v_cvt_f32_u32_e32 v0, s2
	s_sub_i32 s11, 0, s2
	s_abs_i32 s7, s9
	s_xor_b32 s3, s9, s26
	v_rcp_iflag_f32_e32 v0, v0
	s_ashr_i32 s3, s3, 31
	s_mov_b32 s26, 0
	v_mul_f32_e32 v0, 0x4f7ffffe, v0
	v_cvt_u32_f32_e32 v0, v0
	v_readfirstlane_b32 s12, v0
	s_mul_i32 s11, s11, s12
	s_mul_hi_u32 s11, s12, s11
	s_add_i32 s12, s12, s11
	s_mul_hi_u32 s11, s7, s12
	s_mul_i32 s12, s11, s2
	s_sub_i32 s7, s7, s12
	s_add_i32 s12, s11, 1
	s_sub_i32 s13, s7, s2
	s_cmp_ge_u32 s7, s2
	s_cselect_b32 s11, s12, s11
	s_cselect_b32 s7, s13, s7
	s_add_i32 s12, s11, 1
	s_cmp_ge_u32 s7, s2
	s_cselect_b32 s2, s12, s11
	s_xor_b32 s2, s2, s3
	s_sub_i32 s12, s2, s3
	s_abs_i32 s11, s12
	v_cvt_f32_u32_e32 v0, s11
	s_load_dwordx2 s[2:3], s[4:5], 0x40
	s_sub_i32 s7, 0, s11
	s_abs_i32 s18, s6
	v_rcp_iflag_f32_e32 v0, v0
	v_mul_f32_e32 v0, 0x4f7ffffe, v0
	v_cvt_u32_f32_e32 v0, v0
	v_readfirstlane_b32 s13, v0
	s_mul_i32 s7, s7, s13
	s_mul_hi_u32 s7, s13, s7
	s_add_i32 s13, s13, s7
	s_waitcnt lgkmcnt(0)
	s_cmp_eq_u64 s[2:3], 0
	s_mul_hi_u32 s19, s18, s13
	s_cbranch_scc1 .LBB156_2
; %bb.1:
	s_ashr_i32 s7, s6, 31
	s_lshl_b64 s[14:15], s[6:7], 2
	s_add_u32 s2, s2, s14
	s_addc_u32 s3, s3, s15
	s_load_dword s26, s[2:3], 0x0
.LBB156_2:
	s_load_dword s33, s[0:1], 0x0
	s_ashr_i32 s3, s12, 31
	s_load_dwordx4 s[12:15], s[4:5], 0x48
	s_ashr_i32 s2, s6, 31
	v_and_b32_e32 v1, 1, v14
	s_movk_i32 s7, 0x60
	s_mul_i32 s16, s6, 0x60
	v_cmp_gt_u32_e32 vcc, 24, v14
	v_lshlrev_b32_e32 v12, 3, v14
	s_and_saveexec_b64 s[0:1], vcc
	s_cbranch_execz .LBB156_4
; %bb.3:
	s_load_dwordx2 s[20:21], s[4:5], 0x8
	s_waitcnt lgkmcnt(0)
	s_mul_i32 s22, s12, s10
	s_ashr_i32 s23, s22, 31
	s_lshl_b64 s[22:23], s[22:23], 1
	v_lshlrev_b32_e32 v0, 2, v14
	s_add_u32 s6, s20, s22
	s_addc_u32 s12, s21, s23
	s_ashr_i32 s17, s16, 31
	s_lshl_b64 s[20:21], s[16:17], 1
	s_add_u32 s20, s6, s20
	s_addc_u32 s21, s12, s21
	global_load_dwordx2 v[2:3], v12, s[20:21]
	v_and_b32_e32 v0, 0xff8, v0
	v_mad_u32_u24 v0, v1, s7, v0
	s_waitcnt vmcnt(0)
	ds_write_b64 v0, v[2:3]
.LBB156_4:
	s_or_b64 exec, exec, s[0:1]
	s_waitcnt lgkmcnt(0)
	s_add_i32 s1, s33, 31
	s_ashr_i32 s6, s1, 31
	s_lshr_b32 s6, s6, 27
	s_add_i32 s1, s1, s6
	s_ashr_i32 s17, s1, 5
	s_xor_b32 s1, s2, s3
	s_mul_i32 s2, s19, s11
	s_sub_i32 s2, s18, s2
	s_add_i32 s3, s19, 1
	s_sub_i32 s6, s2, s11
	s_load_dwordx2 s[20:21], s[4:5], 0x28
	s_load_dword s0, s[4:5], 0x38
	s_cmp_ge_u32 s2, s11
	s_cselect_b32 s3, s3, s19
	s_cselect_b32 s2, s6, s2
	s_add_i32 s6, s3, 1
	s_cmp_ge_u32 s2, s11
	s_cselect_b32 s2, s6, s3
	v_lshrrev_b32_e32 v38, 6, v14
	s_xor_b32 s2, s2, s1
	s_waitcnt lgkmcnt(0)
	s_mul_i32 s22, s0, s10
	s_sub_i32 s12, s2, s1
	s_ashr_i32 s23, s22, 31
	v_cmp_gt_i32_e64 s[0:1], s17, v38
	v_cmp_le_i32_e32 vcc, s17, v38
	v_mbcnt_lo_u32_b32 v3, -1, 0
	s_barrier
                                        ; implicit-def: $vgpr15
                                        ; implicit-def: $vgpr9
                                        ; implicit-def: $vgpr8
	s_and_saveexec_b64 s[2:3], vcc
	s_xor_b64 s[2:3], exec, s[2:3]
; %bb.5:
	v_mbcnt_hi_u32_b32 v15, -1, v3
	v_and_b32_e32 v9, 64, v15
	v_add_u32_e32 v8, 64, v9
                                        ; implicit-def: $vgpr1
                                        ; implicit-def: $vgpr3
; %bb.6:
	s_or_saveexec_b64 s[6:7], s[2:3]
	s_load_dwordx2 s[18:19], s[4:5], 0x0
	s_load_dwordx2 s[24:25], s[4:5], 0x18
	s_load_dword s11, s[4:5], 0x88
	v_mov_b32_e32 v31, 0xff7fffff
	s_mul_i32 s14, s12, s14
	v_lshrrev_b32_e32 v13, 4, v14
	s_xor_b64 exec, exec, s[6:7]
	s_cbranch_execz .LBB156_12
; %bb.7:
	v_mul_u32_u24_e32 v0, 0x60, v1
	ds_read_b128 v[4:7], v0
	ds_read_b128 v[8:11], v0 offset:16
	s_load_dwordx2 s[2:3], s[4:5], 0x10
	s_ashr_i32 s15, s14, 31
	s_lshl_b64 s[4:5], s[14:15], 1
	s_waitcnt lgkmcnt(0)
	v_lshlrev_b32_e32 v2, 16, v4
	buffer_store_dword v2, off, s[36:39], 0 ; 4-byte Folded Spill
	v_and_b32_e32 v2, 0xffff0000, v4
	buffer_store_dword v2, off, s[36:39], 0 offset:4 ; 4-byte Folded Spill
	v_lshlrev_b32_e32 v2, 16, v5
	buffer_store_dword v2, off, s[36:39], 0 offset:8 ; 4-byte Folded Spill
	v_and_b32_e32 v2, 0xffff0000, v5
	buffer_store_dword v2, off, s[36:39], 0 offset:12 ; 4-byte Folded Spill
	v_lshlrev_b32_e32 v2, 16, v6
	buffer_store_dword v2, off, s[36:39], 0 offset:16 ; 4-byte Folded Spill
	;; [unrolled: 4-line block ×5, first 2 shown]
	v_and_b32_e32 v2, 0xffff0000, v9
	ds_read_b128 v[4:7], v0 offset:32
	buffer_store_dword v2, off, s[36:39], 0 offset:44 ; 4-byte Folded Spill
	v_lshlrev_b32_e32 v2, 16, v10
	buffer_store_dword v2, off, s[36:39], 0 offset:48 ; 4-byte Folded Spill
	v_and_b32_e32 v2, 0xffff0000, v10
	buffer_store_dword v2, off, s[36:39], 0 offset:52 ; 4-byte Folded Spill
	v_lshlrev_b32_e32 v2, 16, v11
	buffer_store_dword v2, off, s[36:39], 0 offset:56 ; 4-byte Folded Spill
	v_and_b32_e32 v2, 0xffff0000, v11
	buffer_store_dword v2, off, s[36:39], 0 offset:60 ; 4-byte Folded Spill
	ds_read_b128 v[8:11], v0 offset:48
	s_waitcnt lgkmcnt(1)
	v_lshlrev_b32_e32 v2, 16, v4
	buffer_store_dword v2, off, s[36:39], 0 offset:64 ; 4-byte Folded Spill
	v_and_b32_e32 v2, 0xffff0000, v4
	buffer_store_dword v2, off, s[36:39], 0 offset:68 ; 4-byte Folded Spill
	v_lshlrev_b32_e32 v2, 16, v5
	buffer_store_dword v2, off, s[36:39], 0 offset:72 ; 4-byte Folded Spill
	v_and_b32_e32 v2, 0xffff0000, v5
	buffer_store_dword v2, off, s[36:39], 0 offset:76 ; 4-byte Folded Spill
	v_lshlrev_b32_e32 v2, 16, v6
	buffer_store_dword v2, off, s[36:39], 0 offset:80 ; 4-byte Folded Spill
	v_and_b32_e32 v2, 0xffff0000, v6
	v_lshlrev_b32_e32 v49, 16, v7
	v_and_b32_e32 v50, 0xffff0000, v7
	ds_read_b128 v[4:7], v0 offset:64
	s_waitcnt lgkmcnt(1)
	v_lshlrev_b32_e32 v51, 16, v8
	v_and_b32_e32 v52, 0xffff0000, v8
	v_lshlrev_b32_e32 v53, 16, v9
	v_and_b32_e32 v54, 0xffff0000, v9
	;; [unrolled: 2-line block ×4, first 2 shown]
	ds_read_b128 v[8:11], v0 offset:80
	s_waitcnt lgkmcnt(1)
	v_lshlrev_b32_e32 v59, 16, v4
	v_and_b32_e32 v60, 0xffff0000, v4
	s_add_u32 s2, s2, s4
	v_bfe_u32 v4, v14, 1, 5
	buffer_store_dword v2, off, s[36:39], 0 offset:84 ; 4-byte Folded Spill
	s_addc_u32 s3, s3, s5
	v_lshlrev_b32_e32 v2, 4, v4
	v_lshlrev_b32_e32 v61, 16, v5
	v_and_b32_e32 v62, 0xffff0000, v5
	v_lshlrev_b32_e32 v63, 16, v6
	v_and_b32_e32 v22, 0xffff0000, v6
	v_mov_b32_e32 v5, s3
	v_add_co_u32_e32 v6, vcc, s2, v2
	s_sub_i32 s12, 1, s33
	s_lshl_b64 s[2:3], s[22:23], 2
	v_addc_co_u32_e32 v5, vcc, 0, v5, vcc
	s_add_u32 s2, s20, s2
	v_cmp_eq_u32_e32 vcc, 0, v1
	s_addc_u32 s3, s21, s3
	v_and_b32_e32 v1, 60, v13
	v_mov_b32_e32 v2, s3
	v_add_co_u32_e64 v1, s[2:3], s2, v1
	v_lshlrev_b32_e32 v21, 16, v7
	v_and_b32_e32 v24, 0xffff0000, v7
	v_and_b32_e32 v7, 8, v12
	v_addc_co_u32_e64 v2, s[2:3], 0, v2, s[2:3]
	v_add_co_u32_e64 v32, s[2:3], v6, v7
	v_addc_co_u32_e64 v33, s[2:3], 0, v5, s[2:3]
	v_mbcnt_hi_u32_b32 v5, -1, v3
	v_and_b32_e32 v6, 64, v5
	v_xor_b32_e32 v3, 1, v5
	buffer_store_dword v6, off, s[36:39], 0 offset:104 ; 4-byte Folded Spill
	v_add_u32_e32 v6, 64, v6
	v_cmp_lt_i32_e64 s[2:3], v3, v6
	v_cndmask_b32_e64 v3, v5, v3, s[2:3]
	v_lshlrev_b32_e32 v34, 2, v3
	v_lshlrev_b32_e32 v3, 2, v4
	v_lshl_or_b32 v3, v38, 7, v3
	s_waitcnt lgkmcnt(0)
	v_lshlrev_b32_e32 v25, 16, v8
	v_and_b32_e32 v0, 0xffff0000, v8
	v_lshlrev_b32_e32 v23, 16, v9
	v_and_b32_e32 v26, 0xffff0000, v9
	;; [unrolled: 2-line block ×4, first 2 shown]
	s_mov_b32 s15, s13
	v_cmp_neq_f32_e64 s[2:3], s26, 0
	v_lshl_or_b32 v36, v38, 5, v4
	v_add_u32_e32 v37, 0xd0, v3
	s_mov_b64 s[28:29], 0
	s_movk_i32 s34, 0x1000
	v_mov_b32_e32 v31, 0xff7fffff
	v_mov_b32_e32 v35, v38
	buffer_store_dword v14, off, s[36:39], 0 offset:88 ; 4-byte Folded Spill
	buffer_store_dword v12, off, s[36:39], 0 offset:92 ; 4-byte Folded Spill
	;; [unrolled: 1-line block ×5, first 2 shown]
	s_branch .LBB156_9
.LBB156_8:                              ;   in Loop: Header=BB156_9 Depth=1
	s_or_b64 exec, exec, s[30:31]
	v_add_u32_e32 v35, 2, v35
	v_cmp_le_i32_e64 s[4:5], s17, v35
	s_or_b64 s[28:29], s[4:5], s[28:29]
	v_add_co_u32_e64 v1, s[4:5], 8, v1
	v_add_u32_e32 v36, 64, v36
	v_add_u32_e32 v37, 0x100, v37
	v_addc_co_u32_e64 v2, s[4:5], 0, v2, s[4:5]
	s_andn2_b64 exec, exec, s[28:29]
	s_cbranch_execz .LBB156_11
.LBB156_9:                              ; =>This Inner Loop Header: Depth=1
	global_load_dword v3, v[1:2], off
	s_waitcnt vmcnt(0) lgkmcnt(0)
	v_mad_i64_i32 v[3:4], s[4:5], v3, s15, 0
	v_lshlrev_b64 v[3:4], 1, v[3:4]
	v_add_co_u32_e64 v3, s[4:5], v32, v3
	v_addc_co_u32_e64 v4, s[4:5], v33, v4, s[4:5]
	global_load_dwordx2 v[39:40], v[3:4], off
	global_load_dwordx2 v[41:42], v[3:4], off offset:512
	global_load_dwordx2 v[43:44], v[3:4], off offset:1024
	;; [unrolled: 1-line block ×7, first 2 shown]
	v_add_co_u32_e64 v3, s[4:5], s34, v3
	v_addc_co_u32_e64 v4, s[4:5], 0, v4, s[4:5]
	global_load_dwordx2 v[9:10], v[3:4], off
	global_load_dwordx2 v[7:8], v[3:4], off offset:512
	global_load_dwordx2 v[5:6], v[3:4], off offset:1024
	s_nop 0
	global_load_dwordx2 v[3:4], v[3:4], off offset:1536
	s_waitcnt vmcnt(11)
	v_lshlrev_b32_e32 v45, 16, v39
	v_and_b32_e32 v46, 0xffff0000, v39
	v_lshlrev_b32_e32 v47, 16, v40
	v_and_b32_e32 v48, 0xffff0000, v40
	s_waitcnt vmcnt(10)
	v_lshlrev_b32_e32 v39, 16, v41
	v_and_b32_e32 v40, 0xffff0000, v41
	buffer_load_dword v41, off, s[36:39], 0 offset:16 ; 4-byte Folded Reload
	s_waitcnt vmcnt(0)
	v_mul_f32_e32 v39, v41, v39
	buffer_load_dword v41, off, s[36:39], 0 ; 4-byte Folded Reload
	s_waitcnt vmcnt(0)
	v_fmac_f32_e32 v39, v41, v45
	buffer_load_dword v41, off, s[36:39], 0 offset:20 ; 4-byte Folded Reload
	buffer_load_dword v45, off, s[36:39], 0 offset:24 ; 4-byte Folded Reload
	s_waitcnt vmcnt(1)
	v_mul_f32_e32 v40, v41, v40
	buffer_load_dword v41, off, s[36:39], 0 offset:4 ; 4-byte Folded Reload
	s_waitcnt vmcnt(0)
	v_fmac_f32_e32 v40, v41, v46
	v_lshlrev_b32_e32 v41, 16, v42
	v_mul_f32_e32 v41, v45, v41
	buffer_load_dword v45, off, s[36:39], 0 offset:8 ; 4-byte Folded Reload
	buffer_load_dword v46, off, s[36:39], 0 offset:32 ; 4-byte Folded Reload
	v_and_b32_e32 v42, 0xffff0000, v42
	s_waitcnt vmcnt(1)
	v_fmac_f32_e32 v41, v45, v47
	buffer_load_dword v45, off, s[36:39], 0 offset:28 ; 4-byte Folded Reload
	s_waitcnt vmcnt(0)
	v_mul_f32_e32 v42, v45, v42
	buffer_load_dword v45, off, s[36:39], 0 offset:12 ; 4-byte Folded Reload
	s_waitcnt vmcnt(0)
	v_fmac_f32_e32 v42, v45, v48
	v_lshlrev_b32_e32 v45, 16, v43
	v_fmac_f32_e32 v39, v46, v45
	buffer_load_dword v45, off, s[36:39], 0 offset:36 ; 4-byte Folded Reload
	v_and_b32_e32 v43, 0xffff0000, v43
	s_waitcnt vmcnt(0)
	v_fmac_f32_e32 v40, v45, v43
	buffer_load_dword v45, off, s[36:39], 0 offset:40 ; 4-byte Folded Reload
	v_lshlrev_b32_e32 v43, 16, v44
	v_and_b32_e32 v44, 0xffff0000, v44
	s_waitcnt vmcnt(0)
	v_fmac_f32_e32 v41, v45, v43
	buffer_load_dword v43, off, s[36:39], 0 offset:44 ; 4-byte Folded Reload
	s_waitcnt vmcnt(0)
	v_fmac_f32_e32 v42, v43, v44
	buffer_load_dword v44, off, s[36:39], 0 offset:48 ; 4-byte Folded Reload
	v_lshlrev_b32_e32 v43, 16, v19
	v_and_b32_e32 v19, 0xffff0000, v19
	s_waitcnt vmcnt(0)
	v_fmac_f32_e32 v39, v44, v43
	buffer_load_dword v43, off, s[36:39], 0 offset:52 ; 4-byte Folded Reload
	;; [unrolled: 8-line block ×6, first 2 shown]
	s_waitcnt vmcnt(0)
	v_fmac_f32_e32 v40, v17, v15
	v_lshlrev_b32_e32 v15, 16, v16
	v_fmac_f32_e32 v41, v49, v15
	v_lshlrev_b32_e32 v15, 16, v13
	v_and_b32_e32 v13, 0xffff0000, v13
	v_fmac_f32_e32 v40, v52, v13
	v_lshlrev_b32_e32 v13, 16, v14
	v_fmac_f32_e32 v41, v53, v13
	v_lshlrev_b32_e32 v13, 16, v11
	v_and_b32_e32 v11, 0xffff0000, v11
	;; [unrolled: 5-line block ×3, first 2 shown]
	v_and_b32_e32 v16, 0xffff0000, v16
	v_fmac_f32_e32 v40, v60, v9
	v_lshlrev_b32_e32 v9, 16, v10
	v_fmac_f32_e32 v42, v50, v16
	v_fmac_f32_e32 v39, v51, v15
	v_and_b32_e32 v14, 0xffff0000, v14
	v_fmac_f32_e32 v41, v61, v9
	v_lshlrev_b32_e32 v9, 16, v7
	v_and_b32_e32 v7, 0xffff0000, v7
	v_fmac_f32_e32 v42, v54, v14
	v_fmac_f32_e32 v39, v55, v13
	v_and_b32_e32 v12, 0xffff0000, v12
	v_fmac_f32_e32 v40, v22, v7
	v_lshlrev_b32_e32 v7, 16, v8
	v_fmac_f32_e32 v42, v58, v12
	v_fmac_f32_e32 v39, v59, v11
	v_and_b32_e32 v10, 0xffff0000, v10
	v_fmac_f32_e32 v41, v21, v7
	v_lshlrev_b32_e32 v7, 16, v5
	v_and_b32_e32 v5, 0xffff0000, v5
	v_fmac_f32_e32 v42, v62, v10
	v_fmac_f32_e32 v39, v63, v9
	;; [unrolled: 11-line block ×3, first 2 shown]
	v_fmac_f32_e32 v40, v28, v3
	v_lshlrev_b32_e32 v5, 16, v4
	v_and_b32_e32 v3, 0xffff0000, v4
	v_fmac_f32_e32 v41, v29, v5
	v_fmac_f32_e32 v42, v30, v3
	v_add_f32_e32 v3, v39, v40
	v_add_f32_e32 v3, v3, v41
	v_add_f32_e32 v3, v42, v3
	ds_bpermute_b32 v4, v34, v3
	s_and_saveexec_b64 s[30:31], vcc
	s_cbranch_execz .LBB156_8
; %bb.10:                               ;   in Loop: Header=BB156_9 Depth=1
	v_add_u32_e32 v5, s12, v36
	v_cvt_f32_i32_e32 v5, v5
	s_waitcnt lgkmcnt(0)
	v_add_f32_e32 v3, v3, v4
	v_cmp_gt_i32_e64 s[4:5], s33, v36
	v_max_f32_e32 v4, v31, v31
	v_mul_f32_e32 v5, s26, v5
	v_cndmask_b32_e64 v5, 0, v5, s[2:3]
	v_fmac_f32_e32 v5, s27, v3
	v_cndmask_b32_e64 v3, 0, v5, s[4:5]
	ds_write_b32 v37, v3
	v_max_f32_e32 v3, v4, v5
	v_cndmask_b32_e64 v31, v31, v3, s[4:5]
	s_branch .LBB156_8
.LBB156_11:
	s_or_b64 exec, exec, s[28:29]
	buffer_load_dword v14, off, s[36:39], 0 offset:88 ; 4-byte Folded Reload
	buffer_load_dword v12, off, s[36:39], 0 offset:92 ; 4-byte Folded Reload
	buffer_load_dword v13, off, s[36:39], 0 offset:96 ; 4-byte Folded Reload
	buffer_load_dword v15, off, s[36:39], 0 offset:100 ; 4-byte Folded Reload
	buffer_load_dword v9, off, s[36:39], 0 offset:104 ; 4-byte Folded Reload
	buffer_load_dword v8, off, s[36:39], 0 offset:108 ; 4-byte Folded Reload
.LBB156_12:
	s_or_b64 exec, exec, s[6:7]
	s_waitcnt vmcnt(2)
	v_xor_b32_e32 v0, 32, v15
	s_waitcnt vmcnt(0)
	v_cmp_lt_i32_e32 vcc, v0, v8
	v_cndmask_b32_e32 v0, v15, v0, vcc
	v_lshlrev_b32_e32 v1, 2, v0
	ds_bpermute_b32 v0, v1, v31
	v_xor_b32_e32 v3, 16, v15
	v_max_f32_e32 v2, v31, v31
	v_cmp_lt_i32_e32 vcc, v3, v8
	s_waitcnt lgkmcnt(0)
	v_xor_b32_e32 v4, 8, v15
	v_max_f32_e32 v0, v0, v0
	v_max_f32_e32 v0, v2, v0
	v_cndmask_b32_e32 v2, v15, v3, vcc
	v_lshlrev_b32_e32 v2, 2, v2
	ds_bpermute_b32 v3, v2, v0
	v_cmp_lt_i32_e32 vcc, v4, v8
	v_xor_b32_e32 v5, 4, v15
	v_xor_b32_e32 v6, 2, v15
	v_and_b32_e32 v36, 63, v14
	s_waitcnt lgkmcnt(0)
	v_max_f32_e32 v3, v3, v3
	v_max_f32_e32 v0, v0, v3
	v_cndmask_b32_e32 v3, v15, v4, vcc
	v_lshlrev_b32_e32 v3, 2, v3
	ds_bpermute_b32 v4, v3, v0
	v_cmp_lt_i32_e32 vcc, v5, v8
	s_waitcnt lgkmcnt(0)
	v_max_f32_e32 v4, v4, v4
	v_max_f32_e32 v0, v0, v4
	v_cndmask_b32_e32 v4, v15, v5, vcc
	v_lshlrev_b32_e32 v4, 2, v4
	ds_bpermute_b32 v5, v4, v0
	v_cmp_lt_i32_e32 vcc, v6, v8
	s_waitcnt lgkmcnt(0)
	v_max_f32_e32 v5, v5, v5
	v_max_f32_e32 v0, v0, v5
	v_cndmask_b32_e32 v5, v15, v6, vcc
	v_lshlrev_b32_e32 v37, 2, v5
	ds_bpermute_b32 v6, v37, v0
	v_cmp_eq_u32_e32 vcc, 0, v36
	v_lshlrev_b32_e32 v5, 2, v38
	s_and_saveexec_b64 s[2:3], vcc
	s_cbranch_execz .LBB156_14
; %bb.13:
	s_waitcnt lgkmcnt(0)
	v_max_f32_e32 v6, v6, v6
	v_max_f32_e32 v0, v0, v0
	;; [unrolled: 1-line block ×3, first 2 shown]
	ds_write_b32 v5, v0 offset:192
.LBB156_14:
	s_or_b64 exec, exec, s[2:3]
	v_cmp_gt_u32_e64 s[2:3], 2, v36
	v_mov_b32_e32 v7, 0xff7fffff
	s_waitcnt lgkmcnt(0)
	v_lshlrev_b32_e32 v6, 2, v36
	s_barrier
	s_and_saveexec_b64 s[4:5], s[2:3]
; %bb.15:
	ds_read_b32 v7, v6 offset:192
; %bb.16:
	s_or_b64 exec, exec, s[4:5]
	v_xor_b32_e32 v0, 1, v15
	v_cmp_lt_i32_e64 s[4:5], v0, v8
	v_cndmask_b32_e64 v0, v15, v0, s[4:5]
	v_lshlrev_b32_e32 v0, 2, v0
	s_waitcnt lgkmcnt(0)
	ds_bpermute_b32 v8, v0, v7
	v_max_f32_e32 v7, v7, v7
	s_lshl_b32 s4, s17, 5
	s_min_i32 s12, s4, s33
	v_cmp_gt_i32_e64 s[4:5], s12, v14
	s_waitcnt lgkmcnt(0)
	v_max_f32_e32 v8, v8, v8
	v_max_f32_e32 v7, v7, v8
	v_lshlrev_b32_e32 v8, 2, v9
	ds_bpermute_b32 v8, v8, v7
	v_mov_b32_e32 v7, 0
	s_and_saveexec_b64 s[26:27], s[4:5]
	s_cbranch_execz .LBB156_20
; %bb.17:
	v_mov_b32_e32 v7, 0xd0
	v_lshl_add_u32 v9, v14, 2, v7
	v_mov_b32_e32 v7, 0
	s_mov_b64 s[28:29], 0
	v_mov_b32_e32 v10, v14
.LBB156_18:                             ; =>This Inner Loop Header: Depth=1
	ds_read_b32 v11, v9
	v_add_u32_e32 v10, 0x80, v10
	v_cmp_le_i32_e64 s[6:7], s12, v10
	s_or_b64 s[28:29], s[6:7], s[28:29]
	s_waitcnt lgkmcnt(0)
	v_sub_f32_e32 v11, v11, v8
	v_mul_f32_e32 v11, 0x3fb8aa3b, v11
	v_exp_f32_e32 v11, v11
	ds_write_b32 v9, v11
	v_add_f32_e32 v7, v7, v11
	v_add_u32_e32 v9, 0x200, v9
	s_andn2_b64 exec, exec, s[28:29]
	s_cbranch_execnz .LBB156_18
; %bb.19:
	s_or_b64 exec, exec, s[28:29]
.LBB156_20:
	s_or_b64 exec, exec, s[26:27]
	ds_bpermute_b32 v1, v1, v7
	s_waitcnt lgkmcnt(0)
	v_add_f32_e32 v1, v7, v1
	ds_bpermute_b32 v2, v2, v1
	s_waitcnt lgkmcnt(0)
	v_add_f32_e32 v1, v1, v2
	;; [unrolled: 3-line block ×6, first 2 shown]
	s_and_saveexec_b64 s[6:7], vcc
; %bb.21:
	ds_write_b32 v5, v1 offset:200
; %bb.22:
	s_or_b64 exec, exec, s[6:7]
	s_waitcnt lgkmcnt(0)
	s_barrier
	s_and_saveexec_b64 s[6:7], s[2:3]
; %bb.23:
	ds_read_b32 v1, v6 offset:200
; %bb.24:
	s_or_b64 exec, exec, s[6:7]
	s_waitcnt lgkmcnt(0)
	ds_bpermute_b32 v2, v0, v1
	v_lshlrev_b32_e32 v3, 2, v15
	s_waitcnt lgkmcnt(0)
	v_add_f32_e32 v1, v1, v2
	v_and_b32_e32 v2, 0xffffff00, v3
	ds_bpermute_b32 v1, v2, v1
	s_and_saveexec_b64 s[2:3], s[4:5]
	s_cbranch_execz .LBB156_27
; %bb.25:
	s_waitcnt lgkmcnt(0)
	v_add_f32_e32 v2, 0x358637bd, v1
	v_div_scale_f32 v1, s[4:5], v2, v2, 1.0
	v_div_scale_f32 v3, vcc, 1.0, v2, 1.0
	s_mov_b64 s[4:5], 0
	v_rcp_f32_e32 v4, v1
	v_fma_f32 v5, -v1, v4, 1.0
	v_fmac_f32_e32 v4, v5, v4
	v_mul_f32_e32 v5, v3, v4
	v_fma_f32 v6, -v1, v5, v3
	v_fmac_f32_e32 v5, v6, v4
	v_fma_f32 v1, -v1, v5, v3
	v_div_fmas_f32 v3, v1, v4, v5
	v_mov_b32_e32 v1, 0xd0
	v_lshl_add_u32 v1, v14, 2, v1
	v_div_fixup_f32 v2, v3, v2, 1.0
	v_mov_b32_e32 v3, v14
.LBB156_26:                             ; =>This Inner Loop Header: Depth=1
	ds_read_b32 v4, v1
	v_add_u32_e32 v3, 0x80, v3
	v_cmp_le_i32_e32 vcc, s12, v3
	s_or_b64 s[4:5], vcc, s[4:5]
	s_waitcnt lgkmcnt(0)
	v_mul_f32_e32 v4, v2, v4
	ds_write_b32 v1, v4
	v_add_u32_e32 v1, 0x200, v1
	s_andn2_b64 exec, exec, s[4:5]
	s_cbranch_execnz .LBB156_26
.LBB156_27:
	s_or_b64 exec, exec, s[2:3]
	v_mov_b32_e32 v44, 0
	v_and_b32_e32 v39, 3, v14
	v_mov_b32_e32 v45, 0
	v_mov_b32_e32 v43, 0
	;; [unrolled: 1-line block ×5, first 2 shown]
	s_waitcnt lgkmcnt(0)
	s_barrier
	s_and_saveexec_b64 s[4:5], s[0:1]
	s_cbranch_execz .LBB156_43
; %bb.28:
	s_ashr_i32 s15, s14, 31
	s_lshl_b64 s[0:1], s[14:15], 1
	s_add_u32 s0, s24, s0
	v_lshlrev_b32_e32 v2, 4, v14
	v_and_b32_e32 v1, 24, v12
	s_addc_u32 s1, s25, s1
	v_and_b32_e32 v2, 0x3f0, v2
	s_add_i32 s14, s17, -1
	v_mov_b32_e32 v3, s1
	v_add_co_u32_e32 v47, vcc, s0, v2
	v_lshl_or_b32 v49, v38, 5, v1
	v_lshlrev_b32_e32 v1, 5, v39
	s_lshl_b64 s[0:1], s[22:23], 2
	v_lshl_or_b32 v1, v38, 7, v1
	s_add_u32 s0, s20, s0
	v_addc_co_u32_e32 v48, vcc, 0, v3, vcc
	v_add_u32_e32 v50, 0xd0, v1
	v_and_b32_e32 v1, 60, v13
	s_addc_u32 s1, s21, s1
	v_mov_b32_e32 v2, s1
	v_add_co_u32_e32 v33, vcc, s0, v1
	s_mov_b32 s26, s13
	v_mov_b32_e32 v57, v14
	v_mov_b32_e32 v46, 0
	s_mov_b32 s15, s33
	v_addc_co_u32_e32 v34, vcc, 0, v2, vcc
	s_mov_b64 s[6:7], 0
	s_mov_b32 s20, 0x5040100
	s_movk_i32 s21, 0x7fff
	v_mov_b32_e32 v40, 0
	v_mov_b32_e32 v41, 0
	;; [unrolled: 1-line block ×6, first 2 shown]
	s_branch .LBB156_30
.LBB156_29:                             ;   in Loop: Header=BB156_30 Depth=1
	s_or_b64 exec, exec, s[2:3]
	s_waitcnt lgkmcnt(1)
	v_bfe_u32 v35, v21, 16, 1
	v_add3_u32 v35, v35, v21, s21
	v_or_b32_e32 v51, 0x400000, v21
	v_cmp_u_f32_e32 vcc, v21, v21
	v_cndmask_b32_e32 v21, v35, v51, vcc
	v_bfe_u32 v35, v22, 16, 1
	v_add3_u32 v35, v35, v22, s21
	v_or_b32_e32 v51, 0x400000, v22
	v_cmp_u_f32_e32 vcc, v22, v22
	v_cndmask_b32_e32 v22, v35, v51, vcc
	;; [unrolled: 5-line block ×4, first 2 shown]
	s_waitcnt lgkmcnt(0)
	v_bfe_u32 v35, v17, 16, 1
	v_add3_u32 v35, v35, v17, s21
	v_or_b32_e32 v51, 0x400000, v17
	v_cmp_u_f32_e32 vcc, v17, v17
	v_bfe_u32 v17, v18, 16, 1
	v_cndmask_b32_e32 v35, v35, v51, vcc
	v_add3_u32 v17, v17, v18, s21
	v_or_b32_e32 v51, 0x400000, v18
	v_cmp_u_f32_e32 vcc, v18, v18
	v_cndmask_b32_e32 v51, v17, v51, vcc
	v_bfe_u32 v17, v19, 16, 1
	v_add3_u32 v17, v17, v19, s21
	v_or_b32_e32 v18, 0x400000, v19
	v_cmp_u_f32_e32 vcc, v19, v19
	v_cndmask_b32_e32 v52, v17, v18, vcc
	v_bfe_u32 v17, v20, 16, 1
	v_add3_u32 v17, v17, v20, s21
	v_or_b32_e32 v18, 0x400000, v20
	v_cmp_u_f32_e32 vcc, v20, v20
	v_cndmask_b32_e32 v20, v17, v18, vcc
	v_and_b32_e32 v17, 0xffff0000, v22
	s_waitcnt vmcnt(1)
	v_and_b32_e32 v18, 0xffff0000, v29
	v_mul_f32_e32 v18, v17, v18
	v_bfe_u32 v19, v18, 16, 1
	v_add3_u32 v19, v19, v18, s21
	v_or_b32_e32 v22, 0x400000, v18
	v_cmp_u_f32_e32 vcc, v18, v18
	v_and_b32_e32 v21, 0xffff0000, v21
	v_lshlrev_b32_e32 v18, 16, v29
	v_mul_f32_e32 v18, v21, v18
	v_cndmask_b32_e32 v53, v19, v22, vcc
	v_bfe_u32 v19, v18, 16, 1
	v_add3_u32 v19, v19, v18, s21
	v_or_b32_e32 v22, 0x400000, v18
	v_cmp_u_f32_e32 vcc, v18, v18
	v_cndmask_b32_e32 v29, v19, v22, vcc
	v_and_b32_e32 v18, 0xffff0000, v24
	v_and_b32_e32 v19, 0xffff0000, v30
	v_mul_f32_e32 v19, v18, v19
	v_bfe_u32 v22, v19, 16, 1
	v_add3_u32 v22, v22, v19, s21
	v_or_b32_e32 v24, 0x400000, v19
	v_cmp_u_f32_e32 vcc, v19, v19
	v_cndmask_b32_e32 v54, v22, v24, vcc
	v_and_b32_e32 v22, 0xffff0000, v23
	v_lshlrev_b32_e32 v19, 16, v30
	v_mul_f32_e32 v19, v22, v19
	v_bfe_u32 v23, v19, 16, 1
	v_add3_u32 v23, v23, v19, s21
	v_or_b32_e32 v24, 0x400000, v19
	v_cmp_u_f32_e32 vcc, v19, v19
	v_cndmask_b32_e32 v30, v23, v24, vcc
	v_and_b32_e32 v19, 0xffff0000, v51
	v_and_b32_e32 v23, 0xffff0000, v31
	v_mul_f32_e32 v23, v19, v23
	v_bfe_u32 v24, v23, 16, 1
	v_add3_u32 v24, v24, v23, s21
	v_or_b32_e32 v51, 0x400000, v23
	v_cmp_u_f32_e32 vcc, v23, v23
	v_cndmask_b32_e32 v51, v24, v51, vcc
	v_and_b32_e32 v23, 0xffff0000, v35
	v_lshlrev_b32_e32 v24, 16, v31
	v_mul_f32_e32 v24, v23, v24
	v_bfe_u32 v31, v24, 16, 1
	v_add3_u32 v31, v31, v24, s21
	v_or_b32_e32 v35, 0x400000, v24
	v_cmp_u_f32_e32 vcc, v24, v24
	v_and_b32_e32 v20, 0xffff0000, v20
	v_and_b32_e32 v24, 0xffff0000, v32
	v_mul_f32_e32 v24, v20, v24
	v_cndmask_b32_e32 v31, v31, v35, vcc
	v_bfe_u32 v35, v24, 16, 1
	v_add3_u32 v35, v35, v24, s21
	v_or_b32_e32 v55, 0x400000, v24
	v_cmp_u_f32_e32 vcc, v24, v24
	v_and_b32_e32 v24, 0xffff0000, v52
	v_lshlrev_b32_e32 v32, 16, v32
	v_mul_f32_e32 v32, v24, v32
	v_bfe_u32 v52, v32, 16, 1
	v_cndmask_b32_e32 v35, v35, v55, vcc
	v_add3_u32 v52, v52, v32, s21
	v_or_b32_e32 v55, 0x400000, v32
	v_cmp_u_f32_e32 vcc, v32, v32
	v_cndmask_b32_e32 v32, v52, v55, vcc
	v_and_b32_e32 v29, 0xffff0000, v29
	v_and_b32_e32 v52, 0xffff0000, v53
	v_add_f32_e32 v29, v29, v52
	v_and_b32_e32 v30, 0xffff0000, v30
	v_and_b32_e32 v52, 0xffff0000, v54
	v_add_f32_e32 v30, v30, v52
	v_add_f32_e32 v29, v30, v29
	v_and_b32_e32 v30, 0xffff0000, v31
	v_and_b32_e32 v31, 0xffff0000, v51
	v_add_f32_e32 v30, v30, v31
	;; [unrolled: 4-line block ×3, first 2 shown]
	v_add_f32_e32 v29, v30, v29
	v_add_f32_e32 v41, v41, v29
	v_and_b32_e32 v29, 0xffff0000, v25
	v_mul_f32_e32 v29, v17, v29
	v_bfe_u32 v30, v29, 16, 1
	v_lshlrev_b32_e32 v25, 16, v25
	v_add3_u32 v30, v30, v29, s21
	v_or_b32_e32 v31, 0x400000, v29
	v_cmp_u_f32_e32 vcc, v29, v29
	v_mul_f32_e32 v25, v21, v25
	v_cndmask_b32_e32 v29, v30, v31, vcc
	v_bfe_u32 v30, v25, 16, 1
	v_add3_u32 v30, v30, v25, s21
	v_or_b32_e32 v31, 0x400000, v25
	v_cmp_u_f32_e32 vcc, v25, v25
	v_cndmask_b32_e32 v25, v30, v31, vcc
	v_and_b32_e32 v30, 0xffff0000, v26
	v_mul_f32_e32 v30, v18, v30
	v_bfe_u32 v31, v30, 16, 1
	v_lshlrev_b32_e32 v26, 16, v26
	v_add3_u32 v31, v31, v30, s21
	v_or_b32_e32 v32, 0x400000, v30
	v_cmp_u_f32_e32 vcc, v30, v30
	v_mul_f32_e32 v26, v22, v26
	v_cndmask_b32_e32 v30, v31, v32, vcc
	v_bfe_u32 v31, v26, 16, 1
	v_add3_u32 v31, v31, v26, s21
	v_or_b32_e32 v32, 0x400000, v26
	v_cmp_u_f32_e32 vcc, v26, v26
	v_cndmask_b32_e32 v26, v31, v32, vcc
	;; [unrolled: 14-line block ×3, first 2 shown]
	v_and_b32_e32 v32, 0xffff0000, v28
	v_mul_f32_e32 v32, v20, v32
	v_bfe_u32 v35, v32, 16, 1
	v_lshlrev_b32_e32 v28, 16, v28
	v_and_b32_e32 v25, 0xffff0000, v25
	v_and_b32_e32 v29, 0xffff0000, v29
	v_add3_u32 v35, v35, v32, s21
	v_or_b32_e32 v51, 0x400000, v32
	v_cmp_u_f32_e32 vcc, v32, v32
	v_mul_f32_e32 v28, v24, v28
	v_add_f32_e32 v25, v25, v29
	v_and_b32_e32 v26, 0xffff0000, v26
	v_and_b32_e32 v29, 0xffff0000, v30
	v_cndmask_b32_e32 v32, v35, v51, vcc
	v_bfe_u32 v35, v28, 16, 1
	v_add_f32_e32 v26, v26, v29
	v_add3_u32 v35, v35, v28, s21
	v_or_b32_e32 v51, 0x400000, v28
	v_cmp_u_f32_e32 vcc, v28, v28
	v_add_f32_e32 v25, v26, v25
	v_and_b32_e32 v26, 0xffff0000, v27
	v_and_b32_e32 v27, 0xffff0000, v31
	v_cndmask_b32_e32 v28, v35, v51, vcc
	v_add_f32_e32 v26, v26, v27
	v_add_f32_e32 v25, v26, v25
	v_and_b32_e32 v26, 0xffff0000, v28
	v_and_b32_e32 v27, 0xffff0000, v32
	v_add_f32_e32 v26, v26, v27
	v_add_f32_e32 v25, v26, v25
	v_add_f32_e32 v42, v42, v25
	v_and_b32_e32 v25, 0xffff0000, v13
	v_mul_f32_e32 v25, v17, v25
	v_bfe_u32 v26, v25, 16, 1
	v_lshlrev_b32_e32 v13, 16, v13
	v_add3_u32 v26, v26, v25, s21
	v_or_b32_e32 v27, 0x400000, v25
	v_cmp_u_f32_e32 vcc, v25, v25
	v_mul_f32_e32 v13, v21, v13
	v_cndmask_b32_e32 v25, v26, v27, vcc
	v_bfe_u32 v26, v13, 16, 1
	v_add3_u32 v26, v26, v13, s21
	v_or_b32_e32 v27, 0x400000, v13
	v_cmp_u_f32_e32 vcc, v13, v13
	v_cndmask_b32_e32 v13, v26, v27, vcc
	v_and_b32_e32 v26, 0xffff0000, v14
	v_mul_f32_e32 v26, v18, v26
	v_bfe_u32 v27, v26, 16, 1
	v_lshlrev_b32_e32 v14, 16, v14
	v_add3_u32 v27, v27, v26, s21
	v_or_b32_e32 v28, 0x400000, v26
	v_cmp_u_f32_e32 vcc, v26, v26
	v_mul_f32_e32 v14, v22, v14
	v_cndmask_b32_e32 v26, v27, v28, vcc
	v_bfe_u32 v27, v14, 16, 1
	v_add3_u32 v27, v27, v14, s21
	v_or_b32_e32 v28, 0x400000, v14
	v_cmp_u_f32_e32 vcc, v14, v14
	v_cndmask_b32_e32 v14, v27, v28, vcc
	;; [unrolled: 14-line block ×3, first 2 shown]
	v_and_b32_e32 v28, 0xffff0000, v16
	v_mul_f32_e32 v28, v20, v28
	v_bfe_u32 v29, v28, 16, 1
	v_lshlrev_b32_e32 v16, 16, v16
	v_and_b32_e32 v13, 0xffff0000, v13
	v_and_b32_e32 v25, 0xffff0000, v25
	v_add3_u32 v29, v29, v28, s21
	v_or_b32_e32 v30, 0x400000, v28
	v_cmp_u_f32_e32 vcc, v28, v28
	v_mul_f32_e32 v16, v24, v16
	v_add_f32_e32 v13, v13, v25
	v_and_b32_e32 v14, 0xffff0000, v14
	v_and_b32_e32 v25, 0xffff0000, v26
	v_cndmask_b32_e32 v28, v29, v30, vcc
	v_bfe_u32 v29, v16, 16, 1
	v_add_f32_e32 v14, v14, v25
	v_add3_u32 v29, v29, v16, s21
	v_or_b32_e32 v30, 0x400000, v16
	v_cmp_u_f32_e32 vcc, v16, v16
	v_add_f32_e32 v13, v14, v13
	v_and_b32_e32 v14, 0xffff0000, v15
	v_and_b32_e32 v15, 0xffff0000, v27
	v_cndmask_b32_e32 v16, v29, v30, vcc
	v_add_f32_e32 v14, v14, v15
	v_add_f32_e32 v13, v14, v13
	v_and_b32_e32 v14, 0xffff0000, v16
	v_and_b32_e32 v15, 0xffff0000, v28
	v_add_f32_e32 v14, v14, v15
	v_add_f32_e32 v13, v14, v13
	v_add_f32_e32 v43, v43, v13
	v_and_b32_e32 v13, 0xffff0000, v5
	v_mul_f32_e32 v13, v17, v13
	v_bfe_u32 v14, v13, 16, 1
	v_lshlrev_b32_e32 v5, 16, v5
	v_add3_u32 v14, v14, v13, s21
	v_or_b32_e32 v15, 0x400000, v13
	v_cmp_u_f32_e32 vcc, v13, v13
	v_mul_f32_e32 v5, v21, v5
	v_cndmask_b32_e32 v13, v14, v15, vcc
	v_bfe_u32 v14, v5, 16, 1
	v_add3_u32 v14, v14, v5, s21
	v_or_b32_e32 v15, 0x400000, v5
	v_cmp_u_f32_e32 vcc, v5, v5
	v_cndmask_b32_e32 v5, v14, v15, vcc
	v_and_b32_e32 v14, 0xffff0000, v6
	v_mul_f32_e32 v14, v18, v14
	v_bfe_u32 v15, v14, 16, 1
	v_lshlrev_b32_e32 v6, 16, v6
	v_add3_u32 v15, v15, v14, s21
	v_or_b32_e32 v16, 0x400000, v14
	v_cmp_u_f32_e32 vcc, v14, v14
	v_mul_f32_e32 v6, v22, v6
	v_cndmask_b32_e32 v14, v15, v16, vcc
	v_bfe_u32 v15, v6, 16, 1
	v_add3_u32 v15, v15, v6, s21
	v_or_b32_e32 v16, 0x400000, v6
	v_cmp_u_f32_e32 vcc, v6, v6
	v_cndmask_b32_e32 v6, v15, v16, vcc
	;; [unrolled: 14-line block ×3, first 2 shown]
	v_and_b32_e32 v16, 0xffff0000, v8
	v_mul_f32_e32 v16, v20, v16
	v_bfe_u32 v25, v16, 16, 1
	v_lshlrev_b32_e32 v8, 16, v8
	v_and_b32_e32 v5, 0xffff0000, v5
	v_and_b32_e32 v13, 0xffff0000, v13
	v_add3_u32 v25, v25, v16, s21
	v_or_b32_e32 v26, 0x400000, v16
	v_cmp_u_f32_e32 vcc, v16, v16
	v_mul_f32_e32 v8, v24, v8
	v_add_f32_e32 v5, v5, v13
	v_and_b32_e32 v6, 0xffff0000, v6
	v_and_b32_e32 v13, 0xffff0000, v14
	v_cndmask_b32_e32 v16, v25, v26, vcc
	v_bfe_u32 v25, v8, 16, 1
	v_add_f32_e32 v6, v6, v13
	v_add3_u32 v25, v25, v8, s21
	v_or_b32_e32 v26, 0x400000, v8
	v_cmp_u_f32_e32 vcc, v8, v8
	v_add_f32_e32 v5, v6, v5
	v_and_b32_e32 v6, 0xffff0000, v7
	v_and_b32_e32 v7, 0xffff0000, v15
	v_cndmask_b32_e32 v8, v25, v26, vcc
	v_add_f32_e32 v6, v6, v7
	v_add_f32_e32 v5, v6, v5
	v_and_b32_e32 v6, 0xffff0000, v8
	v_and_b32_e32 v7, 0xffff0000, v16
	v_add_f32_e32 v6, v6, v7
	v_add_f32_e32 v5, v6, v5
	;; [unrolled: 1-line block ×3, first 2 shown]
	v_and_b32_e32 v5, 0xffff0000, v1
	v_mul_f32_e32 v5, v17, v5
	v_bfe_u32 v6, v5, 16, 1
	v_lshlrev_b32_e32 v1, 16, v1
	v_add3_u32 v6, v6, v5, s21
	v_or_b32_e32 v7, 0x400000, v5
	v_cmp_u_f32_e32 vcc, v5, v5
	v_mul_f32_e32 v1, v21, v1
	v_cndmask_b32_e32 v5, v6, v7, vcc
	v_bfe_u32 v6, v1, 16, 1
	v_add3_u32 v6, v6, v1, s21
	v_or_b32_e32 v7, 0x400000, v1
	v_cmp_u_f32_e32 vcc, v1, v1
	v_cndmask_b32_e32 v1, v6, v7, vcc
	v_and_b32_e32 v6, 0xffff0000, v2
	v_mul_f32_e32 v6, v18, v6
	v_bfe_u32 v7, v6, 16, 1
	v_lshlrev_b32_e32 v2, 16, v2
	v_add3_u32 v7, v7, v6, s21
	v_or_b32_e32 v8, 0x400000, v6
	v_cmp_u_f32_e32 vcc, v6, v6
	v_mul_f32_e32 v2, v22, v2
	v_cndmask_b32_e32 v6, v7, v8, vcc
	v_bfe_u32 v7, v2, 16, 1
	v_add3_u32 v7, v7, v2, s21
	v_or_b32_e32 v8, 0x400000, v2
	v_cmp_u_f32_e32 vcc, v2, v2
	v_cndmask_b32_e32 v2, v7, v8, vcc
	v_and_b32_e32 v7, 0xffff0000, v3
	v_mul_f32_e32 v7, v19, v7
	v_bfe_u32 v8, v7, 16, 1
	v_lshlrev_b32_e32 v3, 16, v3
	v_add3_u32 v8, v8, v7, s21
	v_or_b32_e32 v13, 0x400000, v7
	v_cmp_u_f32_e32 vcc, v7, v7
	v_mul_f32_e32 v3, v23, v3
	v_cndmask_b32_e32 v7, v8, v13, vcc
	v_bfe_u32 v8, v3, 16, 1
	v_add3_u32 v8, v8, v3, s21
	v_or_b32_e32 v13, 0x400000, v3
	v_cmp_u_f32_e32 vcc, v3, v3
	v_cndmask_b32_e32 v3, v8, v13, vcc
	v_and_b32_e32 v8, 0xffff0000, v4
	v_mul_f32_e32 v8, v20, v8
	v_bfe_u32 v13, v8, 16, 1
	v_lshlrev_b32_e32 v4, 16, v4
	v_and_b32_e32 v1, 0xffff0000, v1
	v_and_b32_e32 v5, 0xffff0000, v5
	v_add3_u32 v13, v13, v8, s21
	v_or_b32_e32 v14, 0x400000, v8
	v_cmp_u_f32_e32 vcc, v8, v8
	v_mul_f32_e32 v4, v24, v4
	v_add_f32_e32 v1, v1, v5
	v_and_b32_e32 v2, 0xffff0000, v2
	v_and_b32_e32 v5, 0xffff0000, v6
	v_cndmask_b32_e32 v8, v13, v14, vcc
	v_bfe_u32 v13, v4, 16, 1
	v_add_f32_e32 v2, v2, v5
	v_add3_u32 v13, v13, v4, s21
	v_or_b32_e32 v14, 0x400000, v4
	v_cmp_u_f32_e32 vcc, v4, v4
	v_add_f32_e32 v1, v2, v1
	v_and_b32_e32 v2, 0xffff0000, v3
	v_and_b32_e32 v3, 0xffff0000, v7
	v_cndmask_b32_e32 v4, v13, v14, vcc
	v_add_f32_e32 v2, v2, v3
	v_add_f32_e32 v1, v2, v1
	v_and_b32_e32 v2, 0xffff0000, v4
	v_and_b32_e32 v3, 0xffff0000, v8
	v_add_f32_e32 v2, v2, v3
	v_add_f32_e32 v1, v2, v1
	;; [unrolled: 1-line block ×3, first 2 shown]
	s_waitcnt vmcnt(0)
	v_lshlrev_b32_e32 v1, 16, v9
	v_mul_f32_e32 v1, v21, v1
	v_bfe_u32 v2, v1, 16, 1
	v_add3_u32 v2, v2, v1, s21
	v_or_b32_e32 v3, 0x400000, v1
	v_cmp_u_f32_e32 vcc, v1, v1
	v_cndmask_b32_e32 v1, v2, v3, vcc
	v_and_b32_e32 v2, 0xffff0000, v9
	v_mul_f32_e32 v2, v17, v2
	v_bfe_u32 v3, v2, 16, 1
	v_add3_u32 v3, v3, v2, s21
	v_or_b32_e32 v4, 0x400000, v2
	v_cmp_u_f32_e32 vcc, v2, v2
	v_cndmask_b32_e32 v2, v3, v4, vcc
	v_lshlrev_b32_e32 v3, 16, v10
	v_mul_f32_e32 v3, v22, v3
	v_bfe_u32 v4, v3, 16, 1
	v_add3_u32 v4, v4, v3, s21
	v_or_b32_e32 v5, 0x400000, v3
	v_cmp_u_f32_e32 vcc, v3, v3
	v_cndmask_b32_e32 v3, v4, v5, vcc
	v_and_b32_e32 v4, 0xffff0000, v10
	v_mul_f32_e32 v4, v18, v4
	v_bfe_u32 v5, v4, 16, 1
	v_add3_u32 v5, v5, v4, s21
	v_or_b32_e32 v6, 0x400000, v4
	v_cmp_u_f32_e32 vcc, v4, v4
	v_cndmask_b32_e32 v4, v5, v6, vcc
	;; [unrolled: 14-line block ×3, first 2 shown]
	v_lshlrev_b32_e32 v7, 16, v12
	v_mul_f32_e32 v7, v24, v7
	v_bfe_u32 v8, v7, 16, 1
	v_add3_u32 v8, v8, v7, s21
	v_or_b32_e32 v9, 0x400000, v7
	v_cmp_u_f32_e32 vcc, v7, v7
	v_cndmask_b32_e32 v7, v8, v9, vcc
	v_and_b32_e32 v8, 0xffff0000, v12
	v_and_b32_e32 v2, 0xffff0000, v2
	v_and_b32_e32 v1, 0xffff0000, v1
	v_mul_f32_e32 v8, v20, v8
	v_add_f32_e32 v1, v1, v2
	v_and_b32_e32 v2, 0xffff0000, v4
	v_and_b32_e32 v3, 0xffff0000, v3
	v_bfe_u32 v9, v8, 16, 1
	v_add_f32_e32 v2, v3, v2
	v_add3_u32 v9, v9, v8, s21
	v_or_b32_e32 v10, 0x400000, v8
	v_cmp_u_f32_e32 vcc, v8, v8
	v_add_f32_e32 v1, v2, v1
	v_and_b32_e32 v2, 0xffff0000, v6
	v_and_b32_e32 v3, 0xffff0000, v5
	v_cndmask_b32_e32 v8, v9, v10, vcc
	v_add_f32_e32 v2, v3, v2
	v_add_f32_e32 v1, v2, v1
	v_and_b32_e32 v2, 0xffff0000, v8
	v_and_b32_e32 v3, 0xffff0000, v7
	v_add_u32_e32 v38, 2, v38
	v_add_f32_e32 v2, v3, v2
	v_cmp_le_i32_e32 vcc, s17, v38
	v_add_f32_e32 v1, v2, v1
	s_or_b64 s[6:7], vcc, s[6:7]
	v_add_co_u32_e32 v33, vcc, 8, v33
	v_add_f32_e32 v40, v40, v1
	v_add_u32_e32 v49, 64, v49
	v_add_u32_e32 v50, 0x100, v50
	v_addc_co_u32_e32 v34, vcc, 0, v34, vcc
	s_andn2_b64 exec, exec, s[6:7]
	s_cbranch_execz .LBB156_42
.LBB156_30:                             ; =>This Inner Loop Header: Depth=1
	global_load_dword v1, v[33:34], off
	v_add_u32_e32 v56, 1, v49
	v_or_b32_e32 v54, 3, v49
	v_or_b32_e32 v55, 2, v49
	;; [unrolled: 1-line block ×6, first 2 shown]
	s_waitcnt vmcnt(0)
	v_mad_i64_i32 v[1:2], s[0:1], v1, s26, 0
	v_cmp_eq_u32_e64 s[0:1], s14, v38
	v_lshlrev_b64 v[1:2], 1, v[1:2]
	v_add_co_u32_e32 v9, vcc, v47, v1
	v_addc_co_u32_e32 v10, vcc, v48, v2, vcc
	global_load_dwordx4 v[1:4], v[9:10], off
	ds_read2_b64 v[21:24], v50 offset1:1
	ds_read2_b64 v[17:20], v50 offset0:2 offset1:3
	s_and_saveexec_b64 s[12:13], s[0:1]
	s_cbranch_execnz .LBB156_39
; %bb.31:                               ;   in Loop: Header=BB156_30 Depth=1
	s_or_b64 exec, exec, s[12:13]
	global_load_dwordx4 v[5:8], v[9:10], off offset:1024
	s_and_saveexec_b64 s[12:13], s[0:1]
	s_cbranch_execnz .LBB156_40
.LBB156_32:                             ;   in Loop: Header=BB156_30 Depth=1
	s_or_b64 exec, exec, s[12:13]
	global_load_dwordx4 v[13:16], v[9:10], off offset:2048
	s_and_saveexec_b64 s[12:13], s[0:1]
	s_cbranch_execnz .LBB156_41
.LBB156_33:                             ;   in Loop: Header=BB156_30 Depth=1
	s_or_b64 exec, exec, s[12:13]
	global_load_dwordx4 v[25:28], v[9:10], off offset:3072
	s_and_saveexec_b64 s[12:13], s[0:1]
	s_cbranch_execz .LBB156_35
.LBB156_34:                             ;   in Loop: Header=BB156_30 Depth=1
	v_cmp_gt_i32_e32 vcc, s15, v56
	s_waitcnt vmcnt(0)
	v_cndmask_b32_sdwa v11, v46, v25, vcc dst_sel:DWORD dst_unused:UNUSED_PAD src0_sel:DWORD src1_sel:WORD_1
	v_cmp_gt_i32_e32 vcc, s33, v49
	v_cndmask_b32_e32 v12, 0, v25, vcc
	v_cmp_gt_i32_e32 vcc, s15, v54
	v_cmp_gt_i32_e64 s[2:3], s33, v55
	v_perm_b32 v25, v11, v12, s20
	v_cndmask_b32_e64 v11, 0, v26, s[2:3]
	v_cndmask_b32_sdwa v12, v46, v26, vcc dst_sel:DWORD dst_unused:UNUSED_PAD src0_sel:DWORD src1_sel:WORD_1
	v_cmp_gt_i32_e32 vcc, s15, v52
	v_cmp_gt_i32_e64 s[2:3], s33, v53
	v_perm_b32 v26, v12, v11, s20
	v_cndmask_b32_e64 v11, 0, v27, s[2:3]
	v_cndmask_b32_sdwa v12, v46, v27, vcc dst_sel:DWORD dst_unused:UNUSED_PAD src0_sel:DWORD src1_sel:WORD_1
	;; [unrolled: 5-line block ×3, first 2 shown]
	v_perm_b32 v28, v12, v11, s20
.LBB156_35:                             ;   in Loop: Header=BB156_30 Depth=1
	s_or_b64 exec, exec, s[12:13]
	v_add_co_u32_e32 v11, vcc, 0x1000, v9
	v_addc_co_u32_e32 v12, vcc, 0, v10, vcc
	global_load_dwordx4 v[29:32], v[11:12], off
	s_and_saveexec_b64 s[12:13], s[0:1]
	s_cbranch_execz .LBB156_37
; %bb.36:                               ;   in Loop: Header=BB156_30 Depth=1
	v_cmp_gt_i32_e32 vcc, s15, v56
	s_waitcnt vmcnt(0)
	v_cndmask_b32_sdwa v11, v46, v29, vcc dst_sel:DWORD dst_unused:UNUSED_PAD src0_sel:DWORD src1_sel:WORD_1
	v_cmp_gt_i32_e32 vcc, s33, v49
	v_cndmask_b32_e32 v12, 0, v29, vcc
	v_cmp_gt_i32_e32 vcc, s15, v54
	v_cmp_gt_i32_e64 s[2:3], s33, v55
	v_perm_b32 v29, v11, v12, s20
	v_cndmask_b32_e64 v11, 0, v30, s[2:3]
	v_cndmask_b32_sdwa v12, v46, v30, vcc dst_sel:DWORD dst_unused:UNUSED_PAD src0_sel:DWORD src1_sel:WORD_1
	v_cmp_gt_i32_e32 vcc, s15, v52
	v_cmp_gt_i32_e64 s[2:3], s33, v53
	v_perm_b32 v30, v12, v11, s20
	v_cndmask_b32_e64 v11, 0, v31, s[2:3]
	v_cndmask_b32_sdwa v12, v46, v31, vcc dst_sel:DWORD dst_unused:UNUSED_PAD src0_sel:DWORD src1_sel:WORD_1
	;; [unrolled: 5-line block ×3, first 2 shown]
	v_perm_b32 v32, v12, v11, s20
.LBB156_37:                             ;   in Loop: Header=BB156_30 Depth=1
	s_or_b64 exec, exec, s[12:13]
	v_add_co_u32_e32 v9, vcc, 0x1000, v9
	v_addc_co_u32_e32 v10, vcc, 0, v10, vcc
	global_load_dwordx4 v[9:12], v[9:10], off offset:1024
	s_and_saveexec_b64 s[2:3], s[0:1]
	s_cbranch_execz .LBB156_29
; %bb.38:                               ;   in Loop: Header=BB156_30 Depth=1
	v_cmp_gt_i32_e32 vcc, s15, v56
	s_waitcnt vmcnt(0)
	v_cndmask_b32_sdwa v56, v46, v9, vcc dst_sel:DWORD dst_unused:UNUSED_PAD src0_sel:DWORD src1_sel:WORD_1
	v_cmp_gt_i32_e32 vcc, s33, v49
	v_cndmask_b32_e32 v9, 0, v9, vcc
	v_cmp_gt_i32_e32 vcc, s15, v54
	v_cmp_gt_i32_e64 s[0:1], s33, v55
	v_cndmask_b32_e64 v54, 0, v10, s[0:1]
	v_cndmask_b32_sdwa v10, v46, v10, vcc dst_sel:DWORD dst_unused:UNUSED_PAD src0_sel:DWORD src1_sel:WORD_1
	v_cmp_gt_i32_e32 vcc, s15, v52
	v_cmp_gt_i32_e64 s[0:1], s33, v53
	v_cndmask_b32_e64 v52, 0, v11, s[0:1]
	v_cndmask_b32_sdwa v11, v46, v11, vcc dst_sel:DWORD dst_unused:UNUSED_PAD src0_sel:DWORD src1_sel:WORD_1
	;; [unrolled: 4-line block ×3, first 2 shown]
	v_perm_b32 v9, v56, v9, s20
	v_perm_b32 v10, v10, v54, s20
	;; [unrolled: 1-line block ×4, first 2 shown]
	s_branch .LBB156_29
.LBB156_39:                             ;   in Loop: Header=BB156_30 Depth=1
	v_cmp_gt_i32_e32 vcc, s15, v56
	s_waitcnt vmcnt(0)
	v_cndmask_b32_sdwa v5, v46, v1, vcc dst_sel:DWORD dst_unused:UNUSED_PAD src0_sel:DWORD src1_sel:WORD_1
	v_cmp_gt_i32_e32 vcc, s33, v49
	v_cndmask_b32_e32 v1, 0, v1, vcc
	v_cmp_gt_i32_e32 vcc, s15, v54
	v_cmp_gt_i32_e64 s[2:3], s33, v55
	v_perm_b32 v1, v5, v1, s20
	v_cndmask_b32_e64 v5, 0, v2, s[2:3]
	v_cndmask_b32_sdwa v2, v46, v2, vcc dst_sel:DWORD dst_unused:UNUSED_PAD src0_sel:DWORD src1_sel:WORD_1
	v_cmp_gt_i32_e32 vcc, s15, v52
	v_cmp_gt_i32_e64 s[2:3], s33, v53
	v_perm_b32 v2, v2, v5, s20
	v_cndmask_b32_e64 v5, 0, v3, s[2:3]
	v_cndmask_b32_sdwa v3, v46, v3, vcc dst_sel:DWORD dst_unused:UNUSED_PAD src0_sel:DWORD src1_sel:WORD_1
	;; [unrolled: 5-line block ×3, first 2 shown]
	v_perm_b32 v4, v4, v5, s20
	s_or_b64 exec, exec, s[12:13]
	global_load_dwordx4 v[5:8], v[9:10], off offset:1024
	s_and_saveexec_b64 s[12:13], s[0:1]
	s_cbranch_execz .LBB156_32
.LBB156_40:                             ;   in Loop: Header=BB156_30 Depth=1
	v_cmp_gt_i32_e32 vcc, s15, v56
	s_waitcnt vmcnt(0)
	v_cndmask_b32_sdwa v11, v46, v5, vcc dst_sel:DWORD dst_unused:UNUSED_PAD src0_sel:DWORD src1_sel:WORD_1
	v_cmp_gt_i32_e32 vcc, s33, v49
	v_cndmask_b32_e32 v5, 0, v5, vcc
	v_cmp_gt_i32_e32 vcc, s15, v54
	v_cmp_gt_i32_e64 s[2:3], s33, v55
	v_perm_b32 v5, v11, v5, s20
	v_cndmask_b32_e64 v11, 0, v6, s[2:3]
	v_cndmask_b32_sdwa v6, v46, v6, vcc dst_sel:DWORD dst_unused:UNUSED_PAD src0_sel:DWORD src1_sel:WORD_1
	v_cmp_gt_i32_e32 vcc, s15, v52
	v_cmp_gt_i32_e64 s[2:3], s33, v53
	v_perm_b32 v6, v6, v11, s20
	v_cndmask_b32_e64 v11, 0, v7, s[2:3]
	v_cndmask_b32_sdwa v7, v46, v7, vcc dst_sel:DWORD dst_unused:UNUSED_PAD src0_sel:DWORD src1_sel:WORD_1
	;; [unrolled: 5-line block ×3, first 2 shown]
	v_perm_b32 v8, v8, v11, s20
	s_or_b64 exec, exec, s[12:13]
	global_load_dwordx4 v[13:16], v[9:10], off offset:2048
	s_and_saveexec_b64 s[12:13], s[0:1]
	s_cbranch_execz .LBB156_33
.LBB156_41:                             ;   in Loop: Header=BB156_30 Depth=1
	v_cmp_gt_i32_e32 vcc, s15, v56
	s_waitcnt vmcnt(0)
	v_cndmask_b32_sdwa v11, v46, v13, vcc dst_sel:DWORD dst_unused:UNUSED_PAD src0_sel:DWORD src1_sel:WORD_1
	v_cmp_gt_i32_e32 vcc, s33, v49
	v_cndmask_b32_e32 v12, 0, v13, vcc
	v_cmp_gt_i32_e32 vcc, s15, v54
	v_cmp_gt_i32_e64 s[2:3], s33, v55
	v_perm_b32 v13, v11, v12, s20
	v_cndmask_b32_e64 v11, 0, v14, s[2:3]
	v_cndmask_b32_sdwa v12, v46, v14, vcc dst_sel:DWORD dst_unused:UNUSED_PAD src0_sel:DWORD src1_sel:WORD_1
	v_cmp_gt_i32_e32 vcc, s15, v52
	v_cmp_gt_i32_e64 s[2:3], s33, v53
	v_perm_b32 v14, v12, v11, s20
	v_cndmask_b32_e64 v11, 0, v15, s[2:3]
	v_cndmask_b32_sdwa v12, v46, v15, vcc dst_sel:DWORD dst_unused:UNUSED_PAD src0_sel:DWORD src1_sel:WORD_1
	;; [unrolled: 5-line block ×3, first 2 shown]
	v_perm_b32 v16, v12, v11, s20
	s_or_b64 exec, exec, s[12:13]
	global_load_dwordx4 v[25:28], v[9:10], off offset:3072
	s_and_saveexec_b64 s[12:13], s[0:1]
	s_cbranch_execnz .LBB156_34
	s_branch .LBB156_35
.LBB156_42:
	s_or_b64 exec, exec, s[6:7]
	v_mov_b32_e32 v14, v57
.LBB156_43:
	s_or_b64 exec, exec, s[4:5]
	ds_bpermute_b32 v1, v37, v44
	ds_bpermute_b32 v3, v37, v43
	;; [unrolled: 1-line block ×5, first 2 shown]
	s_waitcnt lgkmcnt(4)
	v_add_f32_e32 v1, v44, v1
	ds_bpermute_b32 v6, v0, v1
	s_waitcnt lgkmcnt(4)
	v_add_f32_e32 v7, v43, v3
	s_waitcnt lgkmcnt(3)
	v_add_f32_e32 v2, v45, v2
	ds_bpermute_b32 v9, v0, v7
	s_waitcnt lgkmcnt(2)
	v_add_f32_e32 v11, v41, v5
	s_waitcnt lgkmcnt(1)
	v_add_f32_e32 v3, v1, v6
	ds_bpermute_b32 v1, v37, v40
	v_add_f32_e32 v6, v42, v4
	ds_bpermute_b32 v8, v0, v2
	ds_bpermute_b32 v10, v0, v6
	;; [unrolled: 1-line block ×3, first 2 shown]
	s_waitcnt lgkmcnt(3)
	v_add_f32_e32 v13, v40, v1
	ds_bpermute_b32 v0, v0, v13
	v_add_f32_e32 v4, v7, v9
	v_and_b32_e32 v7, 0x3c3, v14
	s_waitcnt lgkmcnt(3)
	v_add_f32_e32 v5, v2, v8
	s_waitcnt lgkmcnt(2)
	v_add_f32_e32 v2, v6, v10
	;; [unrolled: 2-line block ×4, first 2 shown]
	v_cmp_eq_u32_e32 vcc, 64, v7
	s_barrier
	s_and_saveexec_b64 s[0:1], vcc
	s_cbranch_execz .LBB156_45
; %bb.44:
	v_add_u32_e32 v6, 0xd0, v36
	ds_write2_b32 v6, v3, v5 offset1:16
	ds_write2_b32 v6, v4, v2 offset0:32 offset1:48
	ds_write2_b32 v6, v1, v0 offset0:64 offset1:80
.LBB156_45:
	s_or_b64 exec, exec, s[0:1]
	v_cmp_gt_u32_e32 vcc, 64, v14
	v_lshrrev_b32_e32 v6, 2, v14
	s_waitcnt lgkmcnt(0)
	s_barrier
	s_and_saveexec_b64 s[0:1], vcc
	s_cbranch_execz .LBB156_54
; %bb.46:
	v_mov_b32_e32 v8, 0xd0
	v_cmp_eq_u32_e32 vcc, 0, v39
	v_lshl_add_u32 v8, v6, 2, v8
	s_and_saveexec_b64 s[2:3], vcc
	s_cbranch_execnz .LBB156_57
; %bb.47:
	s_or_b64 exec, exec, s[2:3]
	s_and_saveexec_b64 s[2:3], vcc
	s_cbranch_execnz .LBB156_58
.LBB156_48:
	s_or_b64 exec, exec, s[2:3]
	s_and_saveexec_b64 s[2:3], vcc
	s_cbranch_execnz .LBB156_59
.LBB156_49:
	s_or_b64 exec, exec, s[2:3]
	s_and_saveexec_b64 s[2:3], vcc
	s_cbranch_execnz .LBB156_60
.LBB156_50:
	s_or_b64 exec, exec, s[2:3]
	s_and_saveexec_b64 s[2:3], vcc
	s_cbranch_execnz .LBB156_61
.LBB156_51:
	s_or_b64 exec, exec, s[2:3]
	s_and_saveexec_b64 s[2:3], vcc
	s_cbranch_execz .LBB156_53
.LBB156_52:
	ds_read_b32 v8, v8 offset:320
	s_waitcnt lgkmcnt(0)
	v_add_f32_e32 v0, v0, v8
.LBB156_53:
	s_or_b64 exec, exec, s[2:3]
.LBB156_54:
	s_or_b64 exec, exec, s[0:1]
	v_cmp_eq_u32_e32 vcc, 0, v7
	s_barrier
	s_and_saveexec_b64 s[0:1], vcc
	s_cbranch_execz .LBB156_56
; %bb.55:
	s_mul_i32 s0, s10, s11
	s_mul_i32 s0, s0, s9
	s_mulk_i32 s0, 0x60
	s_ashr_i32 s1, s0, 31
	s_lshl_b64 s[0:1], s[0:1], 1
	s_add_u32 s2, s18, s0
	s_mul_i32 s0, s11, s16
	s_addc_u32 s3, s19, s1
	s_ashr_i32 s1, s0, 31
	s_lshl_b64 s[0:1], s[0:1], 1
	s_add_u32 s2, s2, s0
	s_mul_i32 s0, s8, 0x60
	s_addc_u32 s3, s3, s1
	s_ashr_i32 s1, s0, 31
	s_lshl_b64 s[0:1], s[0:1], 1
	s_add_u32 s0, s2, s0
	v_bfe_u32 v7, v3, 16, 1
	s_movk_i32 s2, 0x7fff
	v_add3_u32 v7, v7, v3, s2
	v_or_b32_e32 v8, 0x400000, v3
	v_cmp_u_f32_e32 vcc, v3, v3
	s_addc_u32 s1, s3, s1
	v_lshlrev_b32_e32 v6, 1, v6
	v_cndmask_b32_e32 v3, v7, v8, vcc
	global_store_short_d16_hi v6, v3, s[0:1]
	v_bfe_u32 v3, v5, 16, 1
	v_add3_u32 v3, v3, v5, s2
	v_or_b32_e32 v7, 0x400000, v5
	v_cmp_u_f32_e32 vcc, v5, v5
	v_cndmask_b32_e32 v3, v3, v7, vcc
	global_store_short_d16_hi v6, v3, s[0:1] offset:32
	v_bfe_u32 v3, v4, 16, 1
	v_add3_u32 v3, v3, v4, s2
	v_or_b32_e32 v5, 0x400000, v4
	v_cmp_u_f32_e32 vcc, v4, v4
	v_cndmask_b32_e32 v3, v3, v5, vcc
	global_store_short_d16_hi v6, v3, s[0:1] offset:64
	;; [unrolled: 6-line block ×5, first 2 shown]
.LBB156_56:
	s_endpgm
.LBB156_57:
	ds_read_b32 v9, v8
	s_waitcnt lgkmcnt(0)
	v_add_f32_e32 v3, v3, v9
	s_or_b64 exec, exec, s[2:3]
	s_and_saveexec_b64 s[2:3], vcc
	s_cbranch_execz .LBB156_48
.LBB156_58:
	ds_read_b32 v9, v8 offset:64
	s_waitcnt lgkmcnt(0)
	v_add_f32_e32 v5, v5, v9
	s_or_b64 exec, exec, s[2:3]
	s_and_saveexec_b64 s[2:3], vcc
	s_cbranch_execz .LBB156_49
.LBB156_59:
	ds_read_b32 v9, v8 offset:128
	s_waitcnt lgkmcnt(0)
	v_add_f32_e32 v4, v4, v9
	s_or_b64 exec, exec, s[2:3]
	s_and_saveexec_b64 s[2:3], vcc
	s_cbranch_execz .LBB156_50
.LBB156_60:
	ds_read_b32 v9, v8 offset:192
	s_waitcnt lgkmcnt(0)
	v_add_f32_e32 v2, v2, v9
	s_or_b64 exec, exec, s[2:3]
	s_and_saveexec_b64 s[2:3], vcc
	s_cbranch_execz .LBB156_51
.LBB156_61:
	ds_read_b32 v9, v8 offset:256
	s_waitcnt lgkmcnt(0)
	v_add_f32_e32 v1, v1, v9
	s_or_b64 exec, exec, s[2:3]
	s_and_saveexec_b64 s[2:3], vcc
	s_cbranch_execnz .LBB156_52
	s_branch .LBB156_53
	.section	.rodata,"a",@progbits
	.p2align	6, 0x0
	.amdhsa_kernel _ZN4vllm25paged_attention_v1_kernelI14__hip_bfloat16S1_Li96ELi32ELi128ELNS_18Fp8KVCacheDataTypeE0ELb0EEEvPT_PKS3_PKT0_S9_ifPKiSB_iPKfiiiSD_SD_iiiii
		.amdhsa_group_segment_fixed_size 208
		.amdhsa_private_segment_fixed_size 116
		.amdhsa_kernarg_size 384
		.amdhsa_user_sgpr_count 6
		.amdhsa_user_sgpr_private_segment_buffer 1
		.amdhsa_user_sgpr_dispatch_ptr 0
		.amdhsa_user_sgpr_queue_ptr 0
		.amdhsa_user_sgpr_kernarg_segment_ptr 1
		.amdhsa_user_sgpr_dispatch_id 0
		.amdhsa_user_sgpr_flat_scratch_init 0
		.amdhsa_user_sgpr_private_segment_size 0
		.amdhsa_uses_dynamic_stack 0
		.amdhsa_system_sgpr_private_segment_wavefront_offset 1
		.amdhsa_system_sgpr_workgroup_id_x 1
		.amdhsa_system_sgpr_workgroup_id_y 1
		.amdhsa_system_sgpr_workgroup_id_z 1
		.amdhsa_system_sgpr_workgroup_info 0
		.amdhsa_system_vgpr_workitem_id 0
		.amdhsa_next_free_vgpr 64
		.amdhsa_next_free_sgpr 40
		.amdhsa_reserve_vcc 1
		.amdhsa_reserve_flat_scratch 0
		.amdhsa_float_round_mode_32 0
		.amdhsa_float_round_mode_16_64 0
		.amdhsa_float_denorm_mode_32 3
		.amdhsa_float_denorm_mode_16_64 3
		.amdhsa_dx10_clamp 1
		.amdhsa_ieee_mode 1
		.amdhsa_fp16_overflow 0
		.amdhsa_exception_fp_ieee_invalid_op 0
		.amdhsa_exception_fp_denorm_src 0
		.amdhsa_exception_fp_ieee_div_zero 0
		.amdhsa_exception_fp_ieee_overflow 0
		.amdhsa_exception_fp_ieee_underflow 0
		.amdhsa_exception_fp_ieee_inexact 0
		.amdhsa_exception_int_div_zero 0
	.end_amdhsa_kernel
	.section	.text._ZN4vllm25paged_attention_v1_kernelI14__hip_bfloat16S1_Li96ELi32ELi128ELNS_18Fp8KVCacheDataTypeE0ELb0EEEvPT_PKS3_PKT0_S9_ifPKiSB_iPKfiiiSD_SD_iiiii,"axG",@progbits,_ZN4vllm25paged_attention_v1_kernelI14__hip_bfloat16S1_Li96ELi32ELi128ELNS_18Fp8KVCacheDataTypeE0ELb0EEEvPT_PKS3_PKT0_S9_ifPKiSB_iPKfiiiSD_SD_iiiii,comdat
.Lfunc_end156:
	.size	_ZN4vllm25paged_attention_v1_kernelI14__hip_bfloat16S1_Li96ELi32ELi128ELNS_18Fp8KVCacheDataTypeE0ELb0EEEvPT_PKS3_PKT0_S9_ifPKiSB_iPKfiiiSD_SD_iiiii, .Lfunc_end156-_ZN4vllm25paged_attention_v1_kernelI14__hip_bfloat16S1_Li96ELi32ELi128ELNS_18Fp8KVCacheDataTypeE0ELb0EEEvPT_PKS3_PKT0_S9_ifPKiSB_iPKfiiiSD_SD_iiiii
                                        ; -- End function
	.set _ZN4vllm25paged_attention_v1_kernelI14__hip_bfloat16S1_Li96ELi32ELi128ELNS_18Fp8KVCacheDataTypeE0ELb0EEEvPT_PKS3_PKT0_S9_ifPKiSB_iPKfiiiSD_SD_iiiii.num_vgpr, 64
	.set _ZN4vllm25paged_attention_v1_kernelI14__hip_bfloat16S1_Li96ELi32ELi128ELNS_18Fp8KVCacheDataTypeE0ELb0EEEvPT_PKS3_PKT0_S9_ifPKiSB_iPKfiiiSD_SD_iiiii.num_agpr, 0
	.set _ZN4vllm25paged_attention_v1_kernelI14__hip_bfloat16S1_Li96ELi32ELi128ELNS_18Fp8KVCacheDataTypeE0ELb0EEEvPT_PKS3_PKT0_S9_ifPKiSB_iPKfiiiSD_SD_iiiii.numbered_sgpr, 40
	.set _ZN4vllm25paged_attention_v1_kernelI14__hip_bfloat16S1_Li96ELi32ELi128ELNS_18Fp8KVCacheDataTypeE0ELb0EEEvPT_PKS3_PKT0_S9_ifPKiSB_iPKfiiiSD_SD_iiiii.num_named_barrier, 0
	.set _ZN4vllm25paged_attention_v1_kernelI14__hip_bfloat16S1_Li96ELi32ELi128ELNS_18Fp8KVCacheDataTypeE0ELb0EEEvPT_PKS3_PKT0_S9_ifPKiSB_iPKfiiiSD_SD_iiiii.private_seg_size, 116
	.set _ZN4vllm25paged_attention_v1_kernelI14__hip_bfloat16S1_Li96ELi32ELi128ELNS_18Fp8KVCacheDataTypeE0ELb0EEEvPT_PKS3_PKT0_S9_ifPKiSB_iPKfiiiSD_SD_iiiii.uses_vcc, 1
	.set _ZN4vllm25paged_attention_v1_kernelI14__hip_bfloat16S1_Li96ELi32ELi128ELNS_18Fp8KVCacheDataTypeE0ELb0EEEvPT_PKS3_PKT0_S9_ifPKiSB_iPKfiiiSD_SD_iiiii.uses_flat_scratch, 0
	.set _ZN4vllm25paged_attention_v1_kernelI14__hip_bfloat16S1_Li96ELi32ELi128ELNS_18Fp8KVCacheDataTypeE0ELb0EEEvPT_PKS3_PKT0_S9_ifPKiSB_iPKfiiiSD_SD_iiiii.has_dyn_sized_stack, 0
	.set _ZN4vllm25paged_attention_v1_kernelI14__hip_bfloat16S1_Li96ELi32ELi128ELNS_18Fp8KVCacheDataTypeE0ELb0EEEvPT_PKS3_PKT0_S9_ifPKiSB_iPKfiiiSD_SD_iiiii.has_recursion, 0
	.set _ZN4vllm25paged_attention_v1_kernelI14__hip_bfloat16S1_Li96ELi32ELi128ELNS_18Fp8KVCacheDataTypeE0ELb0EEEvPT_PKS3_PKT0_S9_ifPKiSB_iPKfiiiSD_SD_iiiii.has_indirect_call, 0
	.section	.AMDGPU.csdata,"",@progbits
; Kernel info:
; codeLenInByte = 8576
; TotalNumSgprs: 44
; NumVgprs: 64
; ScratchSize: 116
; MemoryBound: 0
; FloatMode: 240
; IeeeMode: 1
; LDSByteSize: 208 bytes/workgroup (compile time only)
; SGPRBlocks: 5
; VGPRBlocks: 15
; NumSGPRsForWavesPerEU: 44
; NumVGPRsForWavesPerEU: 64
; Occupancy: 4
; WaveLimiterHint : 1
; COMPUTE_PGM_RSRC2:SCRATCH_EN: 1
; COMPUTE_PGM_RSRC2:USER_SGPR: 6
; COMPUTE_PGM_RSRC2:TRAP_HANDLER: 0
; COMPUTE_PGM_RSRC2:TGID_X_EN: 1
; COMPUTE_PGM_RSRC2:TGID_Y_EN: 1
; COMPUTE_PGM_RSRC2:TGID_Z_EN: 1
; COMPUTE_PGM_RSRC2:TIDIG_COMP_CNT: 0
	.section	.text._ZN4vllm25paged_attention_v1_kernelI14__hip_bfloat16S1_Li112ELi32ELi128ELNS_18Fp8KVCacheDataTypeE0ELb0EEEvPT_PKS3_PKT0_S9_ifPKiSB_iPKfiiiSD_SD_iiiii,"axG",@progbits,_ZN4vllm25paged_attention_v1_kernelI14__hip_bfloat16S1_Li112ELi32ELi128ELNS_18Fp8KVCacheDataTypeE0ELb0EEEvPT_PKS3_PKT0_S9_ifPKiSB_iPKfiiiSD_SD_iiiii,comdat
	.protected	_ZN4vllm25paged_attention_v1_kernelI14__hip_bfloat16S1_Li112ELi32ELi128ELNS_18Fp8KVCacheDataTypeE0ELb0EEEvPT_PKS3_PKT0_S9_ifPKiSB_iPKfiiiSD_SD_iiiii ; -- Begin function _ZN4vllm25paged_attention_v1_kernelI14__hip_bfloat16S1_Li112ELi32ELi128ELNS_18Fp8KVCacheDataTypeE0ELb0EEEvPT_PKS3_PKT0_S9_ifPKiSB_iPKfiiiSD_SD_iiiii
	.globl	_ZN4vllm25paged_attention_v1_kernelI14__hip_bfloat16S1_Li112ELi32ELi128ELNS_18Fp8KVCacheDataTypeE0ELb0EEEvPT_PKS3_PKT0_S9_ifPKiSB_iPKfiiiSD_SD_iiiii
	.p2align	8
	.type	_ZN4vllm25paged_attention_v1_kernelI14__hip_bfloat16S1_Li112ELi32ELi128ELNS_18Fp8KVCacheDataTypeE0ELb0EEEvPT_PKS3_PKT0_S9_ifPKiSB_iPKfiiiSD_SD_iiiii,@function
_ZN4vllm25paged_attention_v1_kernelI14__hip_bfloat16S1_Li112ELi32ELi128ELNS_18Fp8KVCacheDataTypeE0ELb0EEEvPT_PKS3_PKT0_S9_ifPKiSB_iPKfiiiSD_SD_iiiii: ; @_ZN4vllm25paged_attention_v1_kernelI14__hip_bfloat16S1_Li112ELi32ELi128ELNS_18Fp8KVCacheDataTypeE0ELb0EEEvPT_PKS3_PKT0_S9_ifPKiSB_iPKfiiiSD_SD_iiiii
; %bb.0:
	s_mov_b64 s[38:39], s[2:3]
	s_mov_b64 s[36:37], s[0:1]
	s_add_u32 s36, s36, s9
	s_load_dword s9, s[4:5], 0x80
	s_load_dwordx2 s[0:1], s[4:5], 0x30
	s_load_dwordx2 s[26:27], s[4:5], 0x20
	s_addc_u32 s37, s37, 0
	s_mov_b32 s10, s7
	s_ashr_i32 s11, s7, 31
	s_lshl_b64 s[2:3], s[10:11], 2
	s_waitcnt lgkmcnt(0)
	s_add_u32 s0, s0, s2
	s_addc_u32 s1, s1, s3
	s_abs_i32 s2, s26
	v_mov_b32_e32 v62, v0
	v_cvt_f32_u32_e32 v0, s2
	s_sub_i32 s11, 0, s2
	s_abs_i32 s7, s9
	s_xor_b32 s3, s9, s26
	v_rcp_iflag_f32_e32 v0, v0
	s_ashr_i32 s3, s3, 31
	s_mov_b32 s26, 0
	v_mul_f32_e32 v0, 0x4f7ffffe, v0
	v_cvt_u32_f32_e32 v0, v0
	v_readfirstlane_b32 s12, v0
	s_mul_i32 s11, s11, s12
	s_mul_hi_u32 s11, s12, s11
	s_add_i32 s12, s12, s11
	s_mul_hi_u32 s11, s7, s12
	s_mul_i32 s12, s11, s2
	s_sub_i32 s7, s7, s12
	s_add_i32 s12, s11, 1
	s_sub_i32 s13, s7, s2
	s_cmp_ge_u32 s7, s2
	s_cselect_b32 s11, s12, s11
	s_cselect_b32 s7, s13, s7
	s_add_i32 s12, s11, 1
	s_cmp_ge_u32 s7, s2
	s_cselect_b32 s2, s12, s11
	s_xor_b32 s2, s2, s3
	s_sub_i32 s12, s2, s3
	s_abs_i32 s11, s12
	v_cvt_f32_u32_e32 v0, s11
	s_load_dwordx2 s[2:3], s[4:5], 0x40
	s_sub_i32 s7, 0, s11
	s_abs_i32 s18, s6
	v_rcp_iflag_f32_e32 v0, v0
	v_mul_f32_e32 v0, 0x4f7ffffe, v0
	v_cvt_u32_f32_e32 v0, v0
	v_readfirstlane_b32 s13, v0
	s_mul_i32 s7, s7, s13
	s_mul_hi_u32 s7, s13, s7
	s_add_i32 s13, s13, s7
	s_waitcnt lgkmcnt(0)
	s_cmp_eq_u64 s[2:3], 0
	s_mul_hi_u32 s19, s18, s13
	s_cbranch_scc1 .LBB157_2
; %bb.1:
	s_ashr_i32 s7, s6, 31
	s_lshl_b64 s[14:15], s[6:7], 2
	s_add_u32 s2, s2, s14
	s_addc_u32 s3, s3, s15
	s_load_dword s26, s[2:3], 0x0
.LBB157_2:
	s_load_dword s33, s[0:1], 0x0
	s_ashr_i32 s3, s12, 31
	s_load_dwordx4 s[12:15], s[4:5], 0x48
	s_ashr_i32 s2, s6, 31
	v_and_b32_e32 v1, 1, v62
	s_movk_i32 s7, 0x70
	s_mul_i32 s16, s6, 0x70
	v_cmp_gt_u32_e32 vcc, 28, v62
	v_lshlrev_b32_e32 v12, 3, v62
	s_and_saveexec_b64 s[0:1], vcc
	s_cbranch_execz .LBB157_4
; %bb.3:
	s_load_dwordx2 s[20:21], s[4:5], 0x8
	s_waitcnt lgkmcnt(0)
	s_mul_i32 s22, s12, s10
	s_ashr_i32 s23, s22, 31
	s_lshl_b64 s[22:23], s[22:23], 1
	v_lshlrev_b32_e32 v0, 2, v62
	s_add_u32 s6, s20, s22
	s_addc_u32 s12, s21, s23
	s_ashr_i32 s17, s16, 31
	s_lshl_b64 s[20:21], s[16:17], 1
	s_add_u32 s20, s6, s20
	s_addc_u32 s21, s12, s21
	global_load_dwordx2 v[2:3], v12, s[20:21]
	v_and_b32_e32 v0, 0xff8, v0
	v_mad_u32_u24 v0, v1, s7, v0
	s_waitcnt vmcnt(0)
	ds_write_b64 v0, v[2:3]
.LBB157_4:
	s_or_b64 exec, exec, s[0:1]
	s_waitcnt lgkmcnt(0)
	s_add_i32 s1, s33, 31
	s_ashr_i32 s6, s1, 31
	s_lshr_b32 s6, s6, 27
	s_add_i32 s1, s1, s6
	s_ashr_i32 s17, s1, 5
	s_xor_b32 s1, s2, s3
	s_mul_i32 s2, s19, s11
	s_sub_i32 s2, s18, s2
	s_add_i32 s3, s19, 1
	s_sub_i32 s6, s2, s11
	s_load_dwordx2 s[20:21], s[4:5], 0x28
	s_load_dword s0, s[4:5], 0x38
	s_cmp_ge_u32 s2, s11
	s_cselect_b32 s3, s3, s19
	s_cselect_b32 s2, s6, s2
	s_add_i32 s6, s3, 1
	s_cmp_ge_u32 s2, s11
	s_cselect_b32 s2, s6, s3
	v_lshrrev_b32_e32 v56, 6, v62
	s_xor_b32 s2, s2, s1
	s_waitcnt lgkmcnt(0)
	s_mul_i32 s22, s0, s10
	s_sub_i32 s12, s2, s1
	s_ashr_i32 s23, s22, 31
	v_cmp_gt_i32_e64 s[0:1], s17, v56
	v_cmp_le_i32_e32 vcc, s17, v56
	v_mbcnt_lo_u32_b32 v3, -1, 0
	s_barrier
                                        ; implicit-def: $vgpr11
                                        ; implicit-def: $vgpr8
                                        ; implicit-def: $vgpr9
	s_and_saveexec_b64 s[2:3], vcc
	s_xor_b64 s[2:3], exec, s[2:3]
; %bb.5:
	v_mbcnt_hi_u32_b32 v11, -1, v3
	v_and_b32_e32 v8, 64, v11
	v_add_u32_e32 v9, 64, v8
                                        ; implicit-def: $vgpr1
                                        ; implicit-def: $vgpr3
; %bb.6:
	s_or_saveexec_b64 s[6:7], s[2:3]
	s_load_dwordx2 s[18:19], s[4:5], 0x0
	s_load_dwordx2 s[24:25], s[4:5], 0x18
	s_load_dword s11, s[4:5], 0x88
	v_mov_b32_e32 v49, 0xff7fffff
	s_mul_i32 s14, s12, s14
	v_lshrrev_b32_e32 v13, 4, v62
	s_xor_b64 exec, exec, s[6:7]
	s_cbranch_execz .LBB157_12
; %bb.7:
	v_mul_u32_u24_e32 v2, 0x70, v1
	ds_read_b128 v[4:7], v2
	ds_read_b128 v[8:11], v2 offset:16
	s_load_dwordx2 s[2:3], s[4:5], 0x10
	s_ashr_i32 s15, s14, 31
	s_lshl_b64 s[4:5], s[14:15], 1
	s_waitcnt lgkmcnt(0)
	v_lshlrev_b32_e32 v0, 16, v4
	buffer_store_dword v0, off, s[36:39], 0 ; 4-byte Folded Spill
	v_and_b32_e32 v0, 0xffff0000, v4
	buffer_store_dword v0, off, s[36:39], 0 offset:4 ; 4-byte Folded Spill
	v_lshlrev_b32_e32 v0, 16, v5
	buffer_store_dword v0, off, s[36:39], 0 offset:8 ; 4-byte Folded Spill
	v_and_b32_e32 v0, 0xffff0000, v5
	buffer_store_dword v0, off, s[36:39], 0 offset:12 ; 4-byte Folded Spill
	v_lshlrev_b32_e32 v0, 16, v6
	buffer_store_dword v0, off, s[36:39], 0 offset:16 ; 4-byte Folded Spill
	;; [unrolled: 4-line block ×5, first 2 shown]
	v_and_b32_e32 v0, 0xffff0000, v9
	ds_read_b128 v[4:7], v2 offset:32
	buffer_store_dword v0, off, s[36:39], 0 offset:44 ; 4-byte Folded Spill
	v_lshlrev_b32_e32 v0, 16, v10
	buffer_store_dword v0, off, s[36:39], 0 offset:48 ; 4-byte Folded Spill
	v_and_b32_e32 v0, 0xffff0000, v10
	buffer_store_dword v0, off, s[36:39], 0 offset:52 ; 4-byte Folded Spill
	v_lshlrev_b32_e32 v0, 16, v11
	buffer_store_dword v0, off, s[36:39], 0 offset:56 ; 4-byte Folded Spill
	v_and_b32_e32 v0, 0xffff0000, v11
	buffer_store_dword v0, off, s[36:39], 0 offset:60 ; 4-byte Folded Spill
	ds_read_b128 v[8:11], v2 offset:48
	s_waitcnt lgkmcnt(1)
	v_lshlrev_b32_e32 v0, 16, v4
	buffer_store_dword v0, off, s[36:39], 0 offset:64 ; 4-byte Folded Spill
	v_and_b32_e32 v0, 0xffff0000, v4
	buffer_store_dword v0, off, s[36:39], 0 offset:68 ; 4-byte Folded Spill
	v_lshlrev_b32_e32 v0, 16, v5
	buffer_store_dword v0, off, s[36:39], 0 offset:72 ; 4-byte Folded Spill
	v_and_b32_e32 v0, 0xffff0000, v5
	buffer_store_dword v0, off, s[36:39], 0 offset:76 ; 4-byte Folded Spill
	;; [unrolled: 4-line block ×4, first 2 shown]
	s_waitcnt lgkmcnt(0)
	v_lshlrev_b32_e32 v0, 16, v8
	buffer_store_dword v0, off, s[36:39], 0 offset:96 ; 4-byte Folded Spill
	v_and_b32_e32 v0, 0xffff0000, v8
	buffer_store_dword v0, off, s[36:39], 0 offset:100 ; 4-byte Folded Spill
	v_lshlrev_b32_e32 v0, 16, v9
	buffer_store_dword v0, off, s[36:39], 0 offset:104 ; 4-byte Folded Spill
	v_and_b32_e32 v0, 0xffff0000, v9
	ds_read_b128 v[4:7], v2 offset:64
	buffer_store_dword v0, off, s[36:39], 0 offset:108 ; 4-byte Folded Spill
	v_lshlrev_b32_e32 v0, 16, v10
	buffer_store_dword v0, off, s[36:39], 0 offset:112 ; 4-byte Folded Spill
	v_and_b32_e32 v0, 0xffff0000, v10
	buffer_store_dword v0, off, s[36:39], 0 offset:116 ; 4-byte Folded Spill
	v_lshlrev_b32_e32 v0, 16, v11
	buffer_store_dword v0, off, s[36:39], 0 offset:120 ; 4-byte Folded Spill
	v_and_b32_e32 v0, 0xffff0000, v11
	buffer_store_dword v0, off, s[36:39], 0 offset:124 ; 4-byte Folded Spill
	ds_read_b128 v[8:11], v2 offset:80
	s_waitcnt lgkmcnt(1)
	v_lshlrev_b32_e32 v0, 16, v4
	buffer_store_dword v0, off, s[36:39], 0 offset:128 ; 4-byte Folded Spill
	v_and_b32_e32 v0, 0xffff0000, v4
	buffer_store_dword v0, off, s[36:39], 0 offset:132 ; 4-byte Folded Spill
	v_lshlrev_b32_e32 v25, 16, v5
	v_and_b32_e32 v28, 0xffff0000, v5
	v_lshlrev_b32_e32 v32, 16, v6
	v_and_b32_e32 v0, 0xffff0000, v6
	;; [unrolled: 2-line block ×3, first 2 shown]
	ds_read_b128 v[4:7], v2 offset:96
	s_add_u32 s2, s2, s4
	s_addc_u32 s3, s3, s5
	s_sub_i32 s12, 1, s33
	s_lshl_b64 s[4:5], s[22:23], 2
	s_waitcnt lgkmcnt(0)
	v_lshlrev_b32_e32 v40, 16, v4
	v_and_b32_e32 v41, 0xffff0000, v4
	v_bfe_u32 v4, v62, 1, 5
	v_lshlrev_b32_e32 v2, 4, v4
	v_lshlrev_b32_e32 v42, 16, v5
	v_and_b32_e32 v43, 0xffff0000, v5
	v_lshlrev_b32_e32 v44, 16, v6
	v_and_b32_e32 v45, 0xffff0000, v6
	v_mov_b32_e32 v5, s3
	v_add_co_u32_e32 v2, vcc, s2, v2
	v_and_b32_e32 v6, 8, v12
	v_addc_co_u32_e32 v5, vcc, 0, v5, vcc
	v_add_co_u32_e64 v48, s[2:3], v2, v6
	v_addc_co_u32_e64 v50, s[2:3], 0, v5, s[2:3]
	v_mbcnt_hi_u32_b32 v5, -1, v3
	v_and_b32_e32 v6, 64, v5
	v_xor_b32_e32 v3, 1, v5
	buffer_store_dword v6, off, s[36:39], 0 offset:152 ; 4-byte Folded Spill
	v_add_u32_e32 v6, 64, v6
	v_cmp_lt_i32_e64 s[2:3], v3, v6
	s_add_u32 s4, s20, s4
	v_cndmask_b32_e64 v3, v5, v3, s[2:3]
	v_cmp_eq_u32_e32 vcc, 0, v1
	s_addc_u32 s5, s21, s5
	v_and_b32_e32 v1, 60, v13
	v_lshlrev_b32_e32 v51, 2, v3
	v_lshlrev_b32_e32 v3, 2, v4
	v_mov_b32_e32 v2, s5
	v_add_co_u32_e64 v1, s[4:5], s4, v1
	v_lshl_or_b32 v3, v56, 7, v3
	v_lshlrev_b32_e32 v30, 16, v8
	v_and_b32_e32 v31, 0xffff0000, v8
	v_lshlrev_b32_e32 v33, 16, v9
	v_and_b32_e32 v34, 0xffff0000, v9
	;; [unrolled: 2-line block ×5, first 2 shown]
	v_addc_co_u32_e64 v2, s[4:5], 0, v2, s[4:5]
	s_mov_b32 s15, s13
	v_cmp_neq_f32_e64 s[2:3], s26, 0
	v_lshl_or_b32 v52, v56, 5, v4
	v_add_u32_e32 v53, 0xf0, v3
	s_mov_b64 s[28:29], 0
	s_movk_i32 s34, 0x1000
	v_mov_b32_e32 v49, 0xff7fffff
	v_mov_b32_e32 v39, v56
	buffer_store_dword v62, off, s[36:39], 0 offset:136 ; 4-byte Folded Spill
	buffer_store_dword v12, off, s[36:39], 0 offset:140 ; 4-byte Folded Spill
	;; [unrolled: 1-line block ×5, first 2 shown]
	s_branch .LBB157_9
.LBB157_8:                              ;   in Loop: Header=BB157_9 Depth=1
	s_or_b64 exec, exec, s[30:31]
	v_add_u32_e32 v39, 2, v39
	v_cmp_le_i32_e64 s[4:5], s17, v39
	s_or_b64 s[28:29], s[4:5], s[28:29]
	v_add_co_u32_e64 v1, s[4:5], 8, v1
	v_add_u32_e32 v52, 64, v52
	v_add_u32_e32 v53, 0x100, v53
	v_addc_co_u32_e64 v2, s[4:5], 0, v2, s[4:5]
	s_andn2_b64 exec, exec, s[28:29]
	s_cbranch_execz .LBB157_11
.LBB157_9:                              ; =>This Inner Loop Header: Depth=1
	global_load_dword v3, v[1:2], off
	s_waitcnt vmcnt(0) lgkmcnt(0)
	v_mad_i64_i32 v[3:4], s[4:5], v3, s15, 0
	v_lshlrev_b64 v[3:4], 1, v[3:4]
	v_add_co_u32_e64 v3, s[4:5], v48, v3
	v_addc_co_u32_e64 v4, s[4:5], v50, v4, s[4:5]
	global_load_dwordx2 v[54:55], v[3:4], off
	global_load_dwordx2 v[57:58], v[3:4], off offset:512
	global_load_dwordx2 v[59:60], v[3:4], off offset:1024
	global_load_dwordx2 v[23:24], v[3:4], off offset:1536
	global_load_dwordx2 v[21:22], v[3:4], off offset:2048
	global_load_dwordx2 v[19:20], v[3:4], off offset:2560
	global_load_dwordx2 v[17:18], v[3:4], off offset:3072
	global_load_dwordx2 v[15:16], v[3:4], off offset:3584
	v_add_co_u32_e64 v3, s[4:5], s34, v3
	v_addc_co_u32_e64 v4, s[4:5], 0, v4, s[4:5]
	global_load_dwordx2 v[13:14], v[3:4], off
	global_load_dwordx2 v[11:12], v[3:4], off offset:512
	global_load_dwordx2 v[9:10], v[3:4], off offset:1024
	;; [unrolled: 1-line block ×4, first 2 shown]
	s_nop 0
	global_load_dwordx2 v[3:4], v[3:4], off offset:2560
	s_waitcnt vmcnt(13)
	v_lshlrev_b32_e32 v63, 16, v55
	v_and_b32_e32 v26, 0xffff0000, v55
	buffer_load_dword v55, off, s[36:39], 0 offset:16 ; 4-byte Folded Reload
	v_lshlrev_b32_e32 v61, 16, v54
	v_and_b32_e32 v62, 0xffff0000, v54
	s_waitcnt vmcnt(13)
	v_lshlrev_b32_e32 v54, 16, v57
	v_and_b32_e32 v57, 0xffff0000, v57
	s_waitcnt vmcnt(0)
	v_mul_f32_e32 v55, v55, v54
	buffer_load_dword v54, off, s[36:39], 0 ; 4-byte Folded Reload
	s_waitcnt vmcnt(0)
	v_fmac_f32_e32 v55, v54, v61
	buffer_load_dword v54, off, s[36:39], 0 offset:20 ; 4-byte Folded Reload
	buffer_load_dword v61, off, s[36:39], 0 offset:24 ; 4-byte Folded Reload
	s_waitcnt vmcnt(1)
	v_mul_f32_e32 v54, v54, v57
	buffer_load_dword v57, off, s[36:39], 0 offset:4 ; 4-byte Folded Reload
	s_waitcnt vmcnt(0)
	v_fmac_f32_e32 v54, v57, v62
	v_lshlrev_b32_e32 v57, 16, v58
	v_mul_f32_e32 v57, v61, v57
	buffer_load_dword v61, off, s[36:39], 0 offset:8 ; 4-byte Folded Reload
	v_and_b32_e32 v58, 0xffff0000, v58
	s_waitcnt vmcnt(0)
	v_fmac_f32_e32 v57, v61, v63
	buffer_load_dword v61, off, s[36:39], 0 offset:28 ; 4-byte Folded Reload
	s_waitcnt vmcnt(0)
	v_mul_f32_e32 v58, v61, v58
	buffer_load_dword v61, off, s[36:39], 0 offset:12 ; 4-byte Folded Reload
	s_waitcnt vmcnt(0)
	v_fmac_f32_e32 v58, v61, v26
	buffer_load_dword v61, off, s[36:39], 0 offset:32 ; 4-byte Folded Reload
	v_lshlrev_b32_e32 v26, 16, v59
	v_and_b32_e32 v59, 0xffff0000, v59
	s_waitcnt vmcnt(0)
	v_fmac_f32_e32 v55, v61, v26
	buffer_load_dword v26, off, s[36:39], 0 offset:36 ; 4-byte Folded Reload
	s_waitcnt vmcnt(0)
	v_fmac_f32_e32 v54, v26, v59
	v_lshlrev_b32_e32 v26, 16, v60
	v_and_b32_e32 v59, 0xffff0000, v60
	buffer_load_dword v60, off, s[36:39], 0 offset:40 ; 4-byte Folded Reload
	s_waitcnt vmcnt(0)
	v_fmac_f32_e32 v57, v60, v26
	buffer_load_dword v26, off, s[36:39], 0 offset:44 ; 4-byte Folded Reload
	s_waitcnt vmcnt(0)
	v_fmac_f32_e32 v58, v26, v59
	buffer_load_dword v59, off, s[36:39], 0 offset:48 ; 4-byte Folded Reload
	v_lshlrev_b32_e32 v26, 16, v23
	v_and_b32_e32 v23, 0xffff0000, v23
	s_waitcnt vmcnt(0)
	v_fmac_f32_e32 v55, v59, v26
	buffer_load_dword v26, off, s[36:39], 0 offset:52 ; 4-byte Folded Reload
	s_waitcnt vmcnt(0)
	v_fmac_f32_e32 v54, v26, v23
	buffer_load_dword v26, off, s[36:39], 0 offset:56 ; 4-byte Folded Reload
	v_lshlrev_b32_e32 v23, 16, v24
	v_and_b32_e32 v24, 0xffff0000, v24
	;; [unrolled: 8-line block ×11, first 2 shown]
	s_waitcnt vmcnt(0)
	v_fmac_f32_e32 v55, v16, v15
	buffer_load_dword v15, off, s[36:39], 0 offset:132 ; 4-byte Folded Reload
	s_waitcnt vmcnt(0)
	v_fmac_f32_e32 v54, v15, v13
	v_lshlrev_b32_e32 v13, 16, v14
	v_fmac_f32_e32 v57, v25, v13
	v_lshlrev_b32_e32 v13, 16, v11
	v_and_b32_e32 v11, 0xffff0000, v11
	v_fmac_f32_e32 v54, v0, v11
	v_lshlrev_b32_e32 v11, 16, v12
	v_fmac_f32_e32 v57, v27, v11
	v_lshlrev_b32_e32 v11, 16, v9
	v_and_b32_e32 v9, 0xffff0000, v9
	v_fmac_f32_e32 v54, v31, v9
	v_lshlrev_b32_e32 v9, 16, v10
	v_and_b32_e32 v14, 0xffff0000, v14
	;; [unrolled: 3-line block ×3, first 2 shown]
	v_fmac_f32_e32 v58, v28, v14
	v_fmac_f32_e32 v55, v32, v13
	v_and_b32_e32 v12, 0xffff0000, v12
	v_fmac_f32_e32 v54, v36, v7
	v_lshlrev_b32_e32 v7, 16, v8
	v_fmac_f32_e32 v58, v29, v12
	v_fmac_f32_e32 v55, v30, v11
	v_and_b32_e32 v10, 0xffff0000, v10
	v_fmac_f32_e32 v57, v37, v7
	v_lshlrev_b32_e32 v7, 16, v5
	v_and_b32_e32 v5, 0xffff0000, v5
	v_fmac_f32_e32 v58, v34, v10
	v_fmac_f32_e32 v55, v35, v9
	v_and_b32_e32 v8, 0xffff0000, v8
	v_fmac_f32_e32 v54, v41, v5
	v_lshlrev_b32_e32 v5, 16, v6
	v_fmac_f32_e32 v58, v38, v8
	v_fmac_f32_e32 v55, v40, v7
	v_and_b32_e32 v6, 0xffff0000, v6
	v_fmac_f32_e32 v57, v42, v5
	v_lshlrev_b32_e32 v5, 16, v3
	v_and_b32_e32 v3, 0xffff0000, v3
	v_fmac_f32_e32 v58, v43, v6
	v_fmac_f32_e32 v55, v44, v5
	;; [unrolled: 1-line block ×3, first 2 shown]
	v_lshlrev_b32_e32 v5, 16, v4
	v_and_b32_e32 v3, 0xffff0000, v4
	v_fmac_f32_e32 v57, v46, v5
	v_fmac_f32_e32 v58, v47, v3
	v_add_f32_e32 v3, v55, v54
	v_add_f32_e32 v3, v3, v57
	;; [unrolled: 1-line block ×3, first 2 shown]
	ds_bpermute_b32 v4, v51, v3
	s_and_saveexec_b64 s[30:31], vcc
	s_cbranch_execz .LBB157_8
; %bb.10:                               ;   in Loop: Header=BB157_9 Depth=1
	v_add_u32_e32 v5, s12, v52
	v_cvt_f32_i32_e32 v5, v5
	s_waitcnt lgkmcnt(0)
	v_add_f32_e32 v3, v3, v4
	v_cmp_gt_i32_e64 s[4:5], s33, v52
	v_max_f32_e32 v4, v49, v49
	v_mul_f32_e32 v5, s26, v5
	v_cndmask_b32_e64 v5, 0, v5, s[2:3]
	v_fmac_f32_e32 v5, s27, v3
	v_cndmask_b32_e64 v3, 0, v5, s[4:5]
	ds_write_b32 v53, v3
	v_max_f32_e32 v3, v4, v5
	v_cndmask_b32_e64 v49, v49, v3, s[4:5]
	s_branch .LBB157_8
.LBB157_11:
	s_or_b64 exec, exec, s[28:29]
	buffer_load_dword v62, off, s[36:39], 0 offset:136 ; 4-byte Folded Reload
	buffer_load_dword v12, off, s[36:39], 0 offset:140 ; 4-byte Folded Reload
	;; [unrolled: 1-line block ×6, first 2 shown]
.LBB157_12:
	s_or_b64 exec, exec, s[6:7]
	s_waitcnt vmcnt(2)
	v_xor_b32_e32 v0, 32, v11
	s_waitcnt vmcnt(0)
	v_cmp_lt_i32_e32 vcc, v0, v9
	v_cndmask_b32_e32 v0, v11, v0, vcc
	v_lshlrev_b32_e32 v0, 2, v0
	ds_bpermute_b32 v1, v0, v49
	v_xor_b32_e32 v3, 16, v11
	v_max_f32_e32 v2, v49, v49
	v_cmp_lt_i32_e32 vcc, v3, v9
	s_waitcnt lgkmcnt(0)
	v_xor_b32_e32 v4, 8, v11
	v_max_f32_e32 v1, v1, v1
	v_max_f32_e32 v2, v2, v1
	v_cndmask_b32_e32 v1, v11, v3, vcc
	v_lshlrev_b32_e32 v1, 2, v1
	ds_bpermute_b32 v3, v1, v2
	v_cmp_lt_i32_e32 vcc, v4, v9
	v_xor_b32_e32 v5, 4, v11
	v_xor_b32_e32 v6, 2, v11
	v_and_b32_e32 v40, 63, v62
	s_waitcnt lgkmcnt(0)
	v_max_f32_e32 v3, v3, v3
	v_max_f32_e32 v3, v2, v3
	v_cndmask_b32_e32 v2, v11, v4, vcc
	v_lshlrev_b32_e32 v2, 2, v2
	ds_bpermute_b32 v4, v2, v3
	v_cmp_lt_i32_e32 vcc, v5, v9
	s_waitcnt lgkmcnt(0)
	v_max_f32_e32 v4, v4, v4
	v_max_f32_e32 v4, v3, v4
	v_cndmask_b32_e32 v3, v11, v5, vcc
	v_lshlrev_b32_e32 v3, 2, v3
	ds_bpermute_b32 v5, v3, v4
	v_cmp_lt_i32_e32 vcc, v6, v9
	s_waitcnt lgkmcnt(0)
	v_max_f32_e32 v5, v5, v5
	v_max_f32_e32 v5, v4, v5
	v_cndmask_b32_e32 v4, v11, v6, vcc
	v_lshlrev_b32_e32 v41, 2, v4
	ds_bpermute_b32 v6, v41, v5
	v_cmp_eq_u32_e32 vcc, 0, v40
	v_lshlrev_b32_e32 v4, 2, v56
	s_and_saveexec_b64 s[2:3], vcc
	s_cbranch_execz .LBB157_14
; %bb.13:
	s_waitcnt lgkmcnt(0)
	v_max_f32_e32 v6, v6, v6
	v_max_f32_e32 v5, v5, v5
	;; [unrolled: 1-line block ×3, first 2 shown]
	ds_write_b32 v4, v5 offset:224
.LBB157_14:
	s_or_b64 exec, exec, s[2:3]
	v_cmp_gt_u32_e64 s[2:3], 2, v40
	s_waitcnt lgkmcnt(0)
	v_mov_b32_e32 v6, 0xff7fffff
	v_lshlrev_b32_e32 v5, 2, v40
	s_barrier
	s_and_saveexec_b64 s[4:5], s[2:3]
; %bb.15:
	ds_read_b32 v6, v5 offset:224
; %bb.16:
	s_or_b64 exec, exec, s[4:5]
	v_xor_b32_e32 v7, 1, v11
	v_cmp_lt_i32_e64 s[4:5], v7, v9
	v_cndmask_b32_e64 v7, v11, v7, s[4:5]
	v_lshlrev_b32_e32 v42, 2, v7
	s_waitcnt lgkmcnt(0)
	ds_bpermute_b32 v7, v42, v6
	v_max_f32_e32 v6, v6, v6
	s_lshl_b32 s4, s17, 5
	s_min_i32 s12, s4, s33
	v_cmp_gt_i32_e64 s[4:5], s12, v62
	s_waitcnt lgkmcnt(0)
	v_max_f32_e32 v7, v7, v7
	v_max_f32_e32 v6, v6, v7
	v_lshlrev_b32_e32 v7, 2, v8
	ds_bpermute_b32 v7, v7, v6
	v_mov_b32_e32 v6, 0
	s_and_saveexec_b64 s[26:27], s[4:5]
	s_cbranch_execz .LBB157_20
; %bb.17:
	v_mov_b32_e32 v6, 0xf0
	v_lshl_add_u32 v8, v62, 2, v6
	v_mov_b32_e32 v6, 0
	s_mov_b64 s[28:29], 0
	v_mov_b32_e32 v9, v62
.LBB157_18:                             ; =>This Inner Loop Header: Depth=1
	ds_read_b32 v10, v8
	v_add_u32_e32 v9, 0x80, v9
	v_cmp_le_i32_e64 s[6:7], s12, v9
	s_or_b64 s[28:29], s[6:7], s[28:29]
	s_waitcnt lgkmcnt(0)
	v_sub_f32_e32 v10, v10, v7
	v_mul_f32_e32 v10, 0x3fb8aa3b, v10
	v_exp_f32_e32 v10, v10
	ds_write_b32 v8, v10
	v_add_f32_e32 v6, v6, v10
	v_add_u32_e32 v8, 0x200, v8
	s_andn2_b64 exec, exec, s[28:29]
	s_cbranch_execnz .LBB157_18
; %bb.19:
	s_or_b64 exec, exec, s[28:29]
.LBB157_20:
	s_or_b64 exec, exec, s[26:27]
	ds_bpermute_b32 v0, v0, v6
	s_waitcnt lgkmcnt(0)
	v_add_f32_e32 v0, v6, v0
	ds_bpermute_b32 v1, v1, v0
	s_waitcnt lgkmcnt(0)
	v_add_f32_e32 v0, v0, v1
	;; [unrolled: 3-line block ×6, first 2 shown]
	s_and_saveexec_b64 s[6:7], vcc
; %bb.21:
	ds_write_b32 v4, v0 offset:232
; %bb.22:
	s_or_b64 exec, exec, s[6:7]
	s_waitcnt lgkmcnt(0)
	s_barrier
	s_and_saveexec_b64 s[6:7], s[2:3]
; %bb.23:
	ds_read_b32 v0, v5 offset:232
; %bb.24:
	s_or_b64 exec, exec, s[6:7]
	s_waitcnt lgkmcnt(0)
	ds_bpermute_b32 v1, v42, v0
	v_lshlrev_b32_e32 v2, 2, v11
	s_waitcnt lgkmcnt(0)
	v_add_f32_e32 v0, v0, v1
	v_and_b32_e32 v1, 0xffffff00, v2
	ds_bpermute_b32 v0, v1, v0
	s_and_saveexec_b64 s[2:3], s[4:5]
	s_cbranch_execz .LBB157_27
; %bb.25:
	s_waitcnt lgkmcnt(0)
	v_add_f32_e32 v1, 0x358637bd, v0
	v_div_scale_f32 v0, s[4:5], v1, v1, 1.0
	v_div_scale_f32 v2, vcc, 1.0, v1, 1.0
	s_mov_b64 s[4:5], 0
	v_rcp_f32_e32 v3, v0
	v_fma_f32 v4, -v0, v3, 1.0
	v_fmac_f32_e32 v3, v4, v3
	v_mul_f32_e32 v4, v2, v3
	v_fma_f32 v5, -v0, v4, v2
	v_fmac_f32_e32 v4, v5, v3
	v_fma_f32 v0, -v0, v4, v2
	v_div_fmas_f32 v2, v0, v3, v4
	v_mov_b32_e32 v0, 0xf0
	v_lshl_add_u32 v0, v62, 2, v0
	v_div_fixup_f32 v1, v2, v1, 1.0
	v_mov_b32_e32 v2, v62
.LBB157_26:                             ; =>This Inner Loop Header: Depth=1
	ds_read_b32 v3, v0
	v_add_u32_e32 v2, 0x80, v2
	v_cmp_le_i32_e32 vcc, s12, v2
	s_or_b64 s[4:5], vcc, s[4:5]
	s_waitcnt lgkmcnt(0)
	v_mul_f32_e32 v3, v1, v3
	ds_write_b32 v0, v3
	v_add_u32_e32 v0, 0x200, v0
	s_andn2_b64 exec, exec, s[4:5]
	s_cbranch_execnz .LBB157_26
.LBB157_27:
	s_or_b64 exec, exec, s[2:3]
	v_mov_b32_e32 v49, 0
	v_and_b32_e32 v43, 3, v62
	v_mov_b32_e32 v50, 0
	v_mov_b32_e32 v48, 0
	;; [unrolled: 1-line block ×6, first 2 shown]
	s_waitcnt lgkmcnt(0)
	s_barrier
	s_and_saveexec_b64 s[4:5], s[0:1]
	s_cbranch_execz .LBB157_45
; %bb.28:
	s_ashr_i32 s15, s14, 31
	s_lshl_b64 s[0:1], s[14:15], 1
	s_add_u32 s0, s24, s0
	v_lshlrev_b32_e32 v1, 4, v62
	v_and_b32_e32 v0, 24, v12
	s_addc_u32 s1, s25, s1
	v_and_b32_e32 v1, 0x3f0, v1
	s_add_i32 s14, s17, -1
	v_mov_b32_e32 v2, s1
	v_add_co_u32_e32 v52, vcc, s0, v1
	v_lshl_or_b32 v54, v56, 5, v0
	v_lshlrev_b32_e32 v0, 5, v43
	s_lshl_b64 s[0:1], s[22:23], 2
	v_lshl_or_b32 v0, v56, 7, v0
	s_add_u32 s0, s20, s0
	v_addc_co_u32_e32 v53, vcc, 0, v2, vcc
	v_add_u32_e32 v55, 0xf0, v0
	v_and_b32_e32 v0, 60, v13
	s_addc_u32 s1, s21, s1
	v_mov_b32_e32 v1, s1
	v_add_co_u32_e32 v37, vcc, s0, v0
	s_mov_b32 s26, s13
	v_mov_b32_e32 v51, 0
	s_mov_b32 s15, s33
	v_addc_co_u32_e32 v38, vcc, 0, v1, vcc
	s_mov_b64 s[6:7], 0
	s_mov_b32 s20, 0x5040100
	s_movk_i32 s21, 0x7fff
	v_mov_b32_e32 v44, 0
	v_mov_b32_e32 v45, 0
	;; [unrolled: 1-line block ×7, first 2 shown]
	s_branch .LBB157_30
.LBB157_29:                             ;   in Loop: Header=BB157_30 Depth=1
	s_or_b64 exec, exec, s[2:3]
	s_waitcnt lgkmcnt(1)
	v_bfe_u32 v0, v25, 16, 1
	v_add3_u32 v0, v0, v25, s21
	v_or_b32_e32 v39, 0x400000, v25
	v_cmp_u_f32_e32 vcc, v25, v25
	v_cndmask_b32_e32 v25, v0, v39, vcc
	v_bfe_u32 v0, v26, 16, 1
	v_add3_u32 v0, v0, v26, s21
	v_or_b32_e32 v39, 0x400000, v26
	v_cmp_u_f32_e32 vcc, v26, v26
	v_bfe_u32 v26, v27, 16, 1
	v_cndmask_b32_e32 v0, v0, v39, vcc
	v_add3_u32 v26, v26, v27, s21
	v_or_b32_e32 v39, 0x400000, v27
	v_cmp_u_f32_e32 vcc, v27, v27
	v_bfe_u32 v27, v28, 16, 1
	v_cndmask_b32_e32 v26, v26, v39, vcc
	v_add3_u32 v27, v27, v28, s21
	v_or_b32_e32 v39, 0x400000, v28
	v_cmp_u_f32_e32 vcc, v28, v28
	s_waitcnt lgkmcnt(0)
	v_bfe_u32 v28, v21, 16, 1
	v_cndmask_b32_e32 v27, v27, v39, vcc
	v_add3_u32 v28, v28, v21, s21
	v_or_b32_e32 v39, 0x400000, v21
	v_cmp_u_f32_e32 vcc, v21, v21
	v_bfe_u32 v21, v22, 16, 1
	v_cndmask_b32_e32 v28, v28, v39, vcc
	v_add3_u32 v21, v21, v22, s21
	v_or_b32_e32 v39, 0x400000, v22
	v_cmp_u_f32_e32 vcc, v22, v22
	v_cndmask_b32_e32 v22, v21, v39, vcc
	v_bfe_u32 v21, v23, 16, 1
	v_add3_u32 v21, v21, v23, s21
	v_or_b32_e32 v39, 0x400000, v23
	v_cmp_u_f32_e32 vcc, v23, v23
	v_cndmask_b32_e32 v39, v21, v39, vcc
	v_bfe_u32 v21, v24, 16, 1
	v_add3_u32 v21, v21, v24, s21
	v_or_b32_e32 v23, 0x400000, v24
	v_cmp_u_f32_e32 vcc, v24, v24
	v_cndmask_b32_e32 v23, v21, v23, vcc
	v_and_b32_e32 v0, 0xffff0000, v0
	s_waitcnt vmcnt(1)
	v_and_b32_e32 v21, 0xffff0000, v33
	v_mul_f32_e32 v21, v0, v21
	v_bfe_u32 v24, v21, 16, 1
	v_add3_u32 v24, v24, v21, s21
	v_or_b32_e32 v57, 0x400000, v21
	v_cmp_u_f32_e32 vcc, v21, v21
	v_cndmask_b32_e32 v57, v24, v57, vcc
	v_and_b32_e32 v24, 0xffff0000, v25
	v_lshlrev_b32_e32 v21, 16, v33
	v_mul_f32_e32 v21, v24, v21
	v_bfe_u32 v25, v21, 16, 1
	v_add3_u32 v25, v25, v21, s21
	v_or_b32_e32 v33, 0x400000, v21
	v_cmp_u_f32_e32 vcc, v21, v21
	v_cndmask_b32_e32 v33, v25, v33, vcc
	v_and_b32_e32 v21, 0xffff0000, v27
	v_and_b32_e32 v25, 0xffff0000, v34
	v_mul_f32_e32 v25, v21, v25
	v_bfe_u32 v27, v25, 16, 1
	v_add3_u32 v27, v27, v25, s21
	v_or_b32_e32 v58, 0x400000, v25
	v_cmp_u_f32_e32 vcc, v25, v25
	v_and_b32_e32 v25, 0xffff0000, v26
	v_lshlrev_b32_e32 v26, 16, v34
	v_mul_f32_e32 v26, v25, v26
	v_cndmask_b32_e32 v58, v27, v58, vcc
	v_bfe_u32 v27, v26, 16, 1
	v_add3_u32 v27, v27, v26, s21
	v_or_b32_e32 v34, 0x400000, v26
	v_cmp_u_f32_e32 vcc, v26, v26
	v_and_b32_e32 v22, 0xffff0000, v22
	v_and_b32_e32 v26, 0xffff0000, v35
	v_mul_f32_e32 v26, v22, v26
	v_cndmask_b32_e32 v34, v27, v34, vcc
	v_bfe_u32 v27, v26, 16, 1
	v_add3_u32 v27, v27, v26, s21
	v_or_b32_e32 v59, 0x400000, v26
	v_cmp_u_f32_e32 vcc, v26, v26
	v_cndmask_b32_e32 v59, v27, v59, vcc
	v_and_b32_e32 v26, 0xffff0000, v28
	v_lshlrev_b32_e32 v27, 16, v35
	v_mul_f32_e32 v27, v26, v27
	v_bfe_u32 v28, v27, 16, 1
	v_add3_u32 v28, v28, v27, s21
	v_or_b32_e32 v35, 0x400000, v27
	v_cmp_u_f32_e32 vcc, v27, v27
	v_and_b32_e32 v23, 0xffff0000, v23
	v_and_b32_e32 v27, 0xffff0000, v36
	v_mul_f32_e32 v27, v23, v27
	v_cndmask_b32_e32 v28, v28, v35, vcc
	v_bfe_u32 v35, v27, 16, 1
	v_add3_u32 v35, v35, v27, s21
	v_or_b32_e32 v60, 0x400000, v27
	v_cmp_u_f32_e32 vcc, v27, v27
	v_and_b32_e32 v27, 0xffff0000, v39
	v_lshlrev_b32_e32 v36, 16, v36
	v_mul_f32_e32 v36, v27, v36
	v_bfe_u32 v39, v36, 16, 1
	v_cndmask_b32_e32 v35, v35, v60, vcc
	v_add3_u32 v39, v39, v36, s21
	v_or_b32_e32 v60, 0x400000, v36
	v_cmp_u_f32_e32 vcc, v36, v36
	v_cndmask_b32_e32 v36, v39, v60, vcc
	v_and_b32_e32 v33, 0xffff0000, v33
	v_and_b32_e32 v39, 0xffff0000, v57
	v_add_f32_e32 v33, v33, v39
	v_and_b32_e32 v34, 0xffff0000, v34
	v_and_b32_e32 v39, 0xffff0000, v58
	v_add_f32_e32 v34, v34, v39
	v_add_f32_e32 v33, v34, v33
	v_and_b32_e32 v28, 0xffff0000, v28
	v_and_b32_e32 v34, 0xffff0000, v59
	v_add_f32_e32 v28, v28, v34
	;; [unrolled: 4-line block ×3, first 2 shown]
	v_add_f32_e32 v28, v33, v28
	v_add_f32_e32 v45, v45, v28
	v_and_b32_e32 v28, 0xffff0000, v29
	v_mul_f32_e32 v28, v0, v28
	v_bfe_u32 v33, v28, 16, 1
	v_lshlrev_b32_e32 v29, 16, v29
	v_add3_u32 v33, v33, v28, s21
	v_or_b32_e32 v34, 0x400000, v28
	v_cmp_u_f32_e32 vcc, v28, v28
	v_mul_f32_e32 v29, v24, v29
	v_cndmask_b32_e32 v28, v33, v34, vcc
	v_bfe_u32 v33, v29, 16, 1
	v_add3_u32 v33, v33, v29, s21
	v_or_b32_e32 v34, 0x400000, v29
	v_cmp_u_f32_e32 vcc, v29, v29
	v_cndmask_b32_e32 v29, v33, v34, vcc
	v_and_b32_e32 v33, 0xffff0000, v30
	v_mul_f32_e32 v33, v21, v33
	v_bfe_u32 v34, v33, 16, 1
	v_lshlrev_b32_e32 v30, 16, v30
	v_add3_u32 v34, v34, v33, s21
	v_or_b32_e32 v35, 0x400000, v33
	v_cmp_u_f32_e32 vcc, v33, v33
	v_mul_f32_e32 v30, v25, v30
	v_cndmask_b32_e32 v33, v34, v35, vcc
	v_bfe_u32 v34, v30, 16, 1
	v_add3_u32 v34, v34, v30, s21
	v_or_b32_e32 v35, 0x400000, v30
	v_cmp_u_f32_e32 vcc, v30, v30
	v_cndmask_b32_e32 v30, v34, v35, vcc
	;; [unrolled: 14-line block ×3, first 2 shown]
	v_and_b32_e32 v35, 0xffff0000, v32
	v_mul_f32_e32 v35, v23, v35
	v_bfe_u32 v36, v35, 16, 1
	v_lshlrev_b32_e32 v32, 16, v32
	v_and_b32_e32 v29, 0xffff0000, v29
	v_and_b32_e32 v28, 0xffff0000, v28
	v_add3_u32 v36, v36, v35, s21
	v_or_b32_e32 v39, 0x400000, v35
	v_cmp_u_f32_e32 vcc, v35, v35
	v_mul_f32_e32 v32, v27, v32
	v_add_f32_e32 v28, v29, v28
	v_and_b32_e32 v29, 0xffff0000, v30
	v_and_b32_e32 v30, 0xffff0000, v33
	v_cndmask_b32_e32 v35, v36, v39, vcc
	v_bfe_u32 v36, v32, 16, 1
	v_add_f32_e32 v29, v29, v30
	v_add3_u32 v36, v36, v32, s21
	v_or_b32_e32 v39, 0x400000, v32
	v_cmp_u_f32_e32 vcc, v32, v32
	v_add_f32_e32 v28, v29, v28
	v_and_b32_e32 v29, 0xffff0000, v31
	v_and_b32_e32 v30, 0xffff0000, v34
	v_cndmask_b32_e32 v32, v36, v39, vcc
	v_add_f32_e32 v29, v29, v30
	v_add_f32_e32 v28, v29, v28
	v_and_b32_e32 v29, 0xffff0000, v32
	v_and_b32_e32 v30, 0xffff0000, v35
	v_add_f32_e32 v29, v29, v30
	v_add_f32_e32 v28, v29, v28
	;; [unrolled: 1-line block ×3, first 2 shown]
	v_and_b32_e32 v28, 0xffff0000, v17
	v_mul_f32_e32 v28, v0, v28
	v_bfe_u32 v29, v28, 16, 1
	v_lshlrev_b32_e32 v17, 16, v17
	v_add3_u32 v29, v29, v28, s21
	v_or_b32_e32 v30, 0x400000, v28
	v_cmp_u_f32_e32 vcc, v28, v28
	v_mul_f32_e32 v17, v24, v17
	v_cndmask_b32_e32 v28, v29, v30, vcc
	v_bfe_u32 v29, v17, 16, 1
	v_add3_u32 v29, v29, v17, s21
	v_or_b32_e32 v30, 0x400000, v17
	v_cmp_u_f32_e32 vcc, v17, v17
	v_cndmask_b32_e32 v17, v29, v30, vcc
	v_and_b32_e32 v29, 0xffff0000, v18
	v_mul_f32_e32 v29, v21, v29
	v_bfe_u32 v30, v29, 16, 1
	v_lshlrev_b32_e32 v18, 16, v18
	v_add3_u32 v30, v30, v29, s21
	v_or_b32_e32 v31, 0x400000, v29
	v_cmp_u_f32_e32 vcc, v29, v29
	v_mul_f32_e32 v18, v25, v18
	v_cndmask_b32_e32 v29, v30, v31, vcc
	v_bfe_u32 v30, v18, 16, 1
	v_add3_u32 v30, v30, v18, s21
	v_or_b32_e32 v31, 0x400000, v18
	v_cmp_u_f32_e32 vcc, v18, v18
	v_cndmask_b32_e32 v18, v30, v31, vcc
	;; [unrolled: 14-line block ×3, first 2 shown]
	v_and_b32_e32 v31, 0xffff0000, v20
	v_mul_f32_e32 v31, v23, v31
	v_bfe_u32 v32, v31, 16, 1
	v_lshlrev_b32_e32 v20, 16, v20
	v_and_b32_e32 v17, 0xffff0000, v17
	v_and_b32_e32 v28, 0xffff0000, v28
	v_add3_u32 v32, v32, v31, s21
	v_or_b32_e32 v33, 0x400000, v31
	v_cmp_u_f32_e32 vcc, v31, v31
	v_mul_f32_e32 v20, v27, v20
	v_add_f32_e32 v17, v17, v28
	v_and_b32_e32 v18, 0xffff0000, v18
	v_and_b32_e32 v28, 0xffff0000, v29
	v_cndmask_b32_e32 v31, v32, v33, vcc
	v_bfe_u32 v32, v20, 16, 1
	v_add_f32_e32 v18, v18, v28
	v_add3_u32 v32, v32, v20, s21
	v_or_b32_e32 v33, 0x400000, v20
	v_cmp_u_f32_e32 vcc, v20, v20
	v_add_f32_e32 v17, v18, v17
	v_and_b32_e32 v18, 0xffff0000, v19
	v_and_b32_e32 v19, 0xffff0000, v30
	v_cndmask_b32_e32 v20, v32, v33, vcc
	v_add_f32_e32 v18, v18, v19
	v_add_f32_e32 v17, v18, v17
	v_and_b32_e32 v18, 0xffff0000, v20
	v_and_b32_e32 v19, 0xffff0000, v31
	v_add_f32_e32 v18, v18, v19
	v_add_f32_e32 v17, v18, v17
	;; [unrolled: 1-line block ×3, first 2 shown]
	v_and_b32_e32 v17, 0xffff0000, v9
	v_mul_f32_e32 v17, v0, v17
	v_bfe_u32 v18, v17, 16, 1
	v_lshlrev_b32_e32 v9, 16, v9
	v_add3_u32 v18, v18, v17, s21
	v_or_b32_e32 v19, 0x400000, v17
	v_cmp_u_f32_e32 vcc, v17, v17
	v_mul_f32_e32 v9, v24, v9
	v_cndmask_b32_e32 v17, v18, v19, vcc
	v_bfe_u32 v18, v9, 16, 1
	v_add3_u32 v18, v18, v9, s21
	v_or_b32_e32 v19, 0x400000, v9
	v_cmp_u_f32_e32 vcc, v9, v9
	v_cndmask_b32_e32 v9, v18, v19, vcc
	v_and_b32_e32 v18, 0xffff0000, v10
	v_mul_f32_e32 v18, v21, v18
	v_bfe_u32 v19, v18, 16, 1
	v_lshlrev_b32_e32 v10, 16, v10
	v_add3_u32 v19, v19, v18, s21
	v_or_b32_e32 v20, 0x400000, v18
	v_cmp_u_f32_e32 vcc, v18, v18
	v_mul_f32_e32 v10, v25, v10
	v_cndmask_b32_e32 v18, v19, v20, vcc
	v_bfe_u32 v19, v10, 16, 1
	v_add3_u32 v19, v19, v10, s21
	v_or_b32_e32 v20, 0x400000, v10
	v_cmp_u_f32_e32 vcc, v10, v10
	v_cndmask_b32_e32 v10, v19, v20, vcc
	;; [unrolled: 14-line block ×3, first 2 shown]
	v_and_b32_e32 v20, 0xffff0000, v12
	v_mul_f32_e32 v20, v23, v20
	v_bfe_u32 v28, v20, 16, 1
	v_lshlrev_b32_e32 v12, 16, v12
	v_and_b32_e32 v9, 0xffff0000, v9
	v_and_b32_e32 v17, 0xffff0000, v17
	v_add3_u32 v28, v28, v20, s21
	v_or_b32_e32 v29, 0x400000, v20
	v_cmp_u_f32_e32 vcc, v20, v20
	v_mul_f32_e32 v12, v27, v12
	v_add_f32_e32 v9, v9, v17
	v_and_b32_e32 v10, 0xffff0000, v10
	v_and_b32_e32 v17, 0xffff0000, v18
	v_cndmask_b32_e32 v20, v28, v29, vcc
	v_bfe_u32 v28, v12, 16, 1
	v_add_f32_e32 v10, v10, v17
	v_add3_u32 v28, v28, v12, s21
	v_or_b32_e32 v29, 0x400000, v12
	v_cmp_u_f32_e32 vcc, v12, v12
	v_add_f32_e32 v9, v10, v9
	v_and_b32_e32 v10, 0xffff0000, v11
	v_and_b32_e32 v11, 0xffff0000, v19
	v_cndmask_b32_e32 v12, v28, v29, vcc
	v_add_f32_e32 v10, v10, v11
	v_add_f32_e32 v9, v10, v9
	v_and_b32_e32 v10, 0xffff0000, v12
	v_and_b32_e32 v11, 0xffff0000, v20
	v_add_f32_e32 v10, v10, v11
	v_add_f32_e32 v9, v10, v9
	;; [unrolled: 1-line block ×3, first 2 shown]
	v_and_b32_e32 v9, 0xffff0000, v5
	v_mul_f32_e32 v9, v0, v9
	v_bfe_u32 v10, v9, 16, 1
	v_lshlrev_b32_e32 v5, 16, v5
	v_add3_u32 v10, v10, v9, s21
	v_or_b32_e32 v11, 0x400000, v9
	v_cmp_u_f32_e32 vcc, v9, v9
	v_mul_f32_e32 v5, v24, v5
	v_cndmask_b32_e32 v9, v10, v11, vcc
	v_bfe_u32 v10, v5, 16, 1
	v_add3_u32 v10, v10, v5, s21
	v_or_b32_e32 v11, 0x400000, v5
	v_cmp_u_f32_e32 vcc, v5, v5
	v_cndmask_b32_e32 v5, v10, v11, vcc
	v_and_b32_e32 v10, 0xffff0000, v6
	v_mul_f32_e32 v10, v21, v10
	v_bfe_u32 v11, v10, 16, 1
	v_lshlrev_b32_e32 v6, 16, v6
	v_add3_u32 v11, v11, v10, s21
	v_or_b32_e32 v12, 0x400000, v10
	v_cmp_u_f32_e32 vcc, v10, v10
	v_mul_f32_e32 v6, v25, v6
	v_cndmask_b32_e32 v10, v11, v12, vcc
	v_bfe_u32 v11, v6, 16, 1
	v_add3_u32 v11, v11, v6, s21
	v_or_b32_e32 v12, 0x400000, v6
	v_cmp_u_f32_e32 vcc, v6, v6
	v_cndmask_b32_e32 v6, v11, v12, vcc
	;; [unrolled: 14-line block ×3, first 2 shown]
	v_and_b32_e32 v12, 0xffff0000, v8
	v_mul_f32_e32 v12, v23, v12
	v_bfe_u32 v17, v12, 16, 1
	v_lshlrev_b32_e32 v8, 16, v8
	v_and_b32_e32 v5, 0xffff0000, v5
	v_and_b32_e32 v9, 0xffff0000, v9
	v_add3_u32 v17, v17, v12, s21
	v_or_b32_e32 v18, 0x400000, v12
	v_cmp_u_f32_e32 vcc, v12, v12
	v_mul_f32_e32 v8, v27, v8
	v_add_f32_e32 v5, v5, v9
	v_and_b32_e32 v6, 0xffff0000, v6
	v_and_b32_e32 v9, 0xffff0000, v10
	v_cndmask_b32_e32 v12, v17, v18, vcc
	v_bfe_u32 v17, v8, 16, 1
	v_add_f32_e32 v6, v6, v9
	v_add3_u32 v17, v17, v8, s21
	v_or_b32_e32 v18, 0x400000, v8
	v_cmp_u_f32_e32 vcc, v8, v8
	v_add_f32_e32 v5, v6, v5
	v_and_b32_e32 v6, 0xffff0000, v7
	v_and_b32_e32 v7, 0xffff0000, v11
	v_cndmask_b32_e32 v8, v17, v18, vcc
	v_add_f32_e32 v6, v6, v7
	v_add_f32_e32 v5, v6, v5
	v_and_b32_e32 v6, 0xffff0000, v8
	v_and_b32_e32 v7, 0xffff0000, v12
	v_add_f32_e32 v6, v6, v7
	v_add_f32_e32 v5, v6, v5
	v_add_f32_e32 v50, v50, v5
	v_and_b32_e32 v5, 0xffff0000, v1
	v_mul_f32_e32 v5, v0, v5
	v_bfe_u32 v6, v5, 16, 1
	v_lshlrev_b32_e32 v1, 16, v1
	v_add3_u32 v6, v6, v5, s21
	v_or_b32_e32 v7, 0x400000, v5
	v_cmp_u_f32_e32 vcc, v5, v5
	v_mul_f32_e32 v1, v24, v1
	v_cndmask_b32_e32 v5, v6, v7, vcc
	v_bfe_u32 v6, v1, 16, 1
	v_add3_u32 v6, v6, v1, s21
	v_or_b32_e32 v7, 0x400000, v1
	v_cmp_u_f32_e32 vcc, v1, v1
	v_cndmask_b32_e32 v1, v6, v7, vcc
	v_and_b32_e32 v6, 0xffff0000, v2
	v_mul_f32_e32 v6, v21, v6
	v_bfe_u32 v7, v6, 16, 1
	v_lshlrev_b32_e32 v2, 16, v2
	v_add3_u32 v7, v7, v6, s21
	v_or_b32_e32 v8, 0x400000, v6
	v_cmp_u_f32_e32 vcc, v6, v6
	v_mul_f32_e32 v2, v25, v2
	v_cndmask_b32_e32 v6, v7, v8, vcc
	v_bfe_u32 v7, v2, 16, 1
	v_add3_u32 v7, v7, v2, s21
	v_or_b32_e32 v8, 0x400000, v2
	v_cmp_u_f32_e32 vcc, v2, v2
	v_cndmask_b32_e32 v2, v7, v8, vcc
	;; [unrolled: 14-line block ×3, first 2 shown]
	v_and_b32_e32 v8, 0xffff0000, v4
	v_mul_f32_e32 v8, v23, v8
	v_bfe_u32 v9, v8, 16, 1
	v_lshlrev_b32_e32 v4, 16, v4
	v_and_b32_e32 v1, 0xffff0000, v1
	v_and_b32_e32 v5, 0xffff0000, v5
	v_add3_u32 v9, v9, v8, s21
	v_or_b32_e32 v10, 0x400000, v8
	v_cmp_u_f32_e32 vcc, v8, v8
	v_mul_f32_e32 v4, v27, v4
	v_add_f32_e32 v1, v1, v5
	v_and_b32_e32 v2, 0xffff0000, v2
	v_and_b32_e32 v5, 0xffff0000, v6
	v_cndmask_b32_e32 v8, v9, v10, vcc
	v_bfe_u32 v9, v4, 16, 1
	v_add_f32_e32 v2, v2, v5
	v_add3_u32 v9, v9, v4, s21
	v_or_b32_e32 v10, 0x400000, v4
	v_cmp_u_f32_e32 vcc, v4, v4
	v_add_f32_e32 v1, v2, v1
	v_and_b32_e32 v2, 0xffff0000, v3
	v_and_b32_e32 v3, 0xffff0000, v7
	v_cndmask_b32_e32 v4, v9, v10, vcc
	v_add_f32_e32 v2, v2, v3
	v_add_f32_e32 v1, v2, v1
	v_and_b32_e32 v2, 0xffff0000, v4
	v_and_b32_e32 v3, 0xffff0000, v8
	v_add_f32_e32 v2, v2, v3
	v_add_f32_e32 v1, v2, v1
	;; [unrolled: 1-line block ×3, first 2 shown]
	s_waitcnt vmcnt(0)
	v_lshlrev_b32_e32 v1, 16, v13
	v_mul_f32_e32 v1, v24, v1
	v_bfe_u32 v2, v1, 16, 1
	v_add3_u32 v2, v2, v1, s21
	v_or_b32_e32 v3, 0x400000, v1
	v_cmp_u_f32_e32 vcc, v1, v1
	v_cndmask_b32_e32 v1, v2, v3, vcc
	v_and_b32_e32 v2, 0xffff0000, v13
	v_mul_f32_e32 v0, v0, v2
	v_bfe_u32 v2, v0, 16, 1
	v_add3_u32 v2, v2, v0, s21
	v_or_b32_e32 v3, 0x400000, v0
	v_cmp_u_f32_e32 vcc, v0, v0
	v_cndmask_b32_e32 v0, v2, v3, vcc
	v_lshlrev_b32_e32 v2, 16, v14
	v_mul_f32_e32 v2, v25, v2
	v_bfe_u32 v3, v2, 16, 1
	v_add3_u32 v3, v3, v2, s21
	v_or_b32_e32 v4, 0x400000, v2
	v_cmp_u_f32_e32 vcc, v2, v2
	v_cndmask_b32_e32 v2, v3, v4, vcc
	v_and_b32_e32 v3, 0xffff0000, v14
	v_mul_f32_e32 v3, v21, v3
	v_bfe_u32 v4, v3, 16, 1
	v_add3_u32 v4, v4, v3, s21
	v_or_b32_e32 v5, 0x400000, v3
	v_cmp_u_f32_e32 vcc, v3, v3
	v_cndmask_b32_e32 v3, v4, v5, vcc
	;; [unrolled: 14-line block ×3, first 2 shown]
	v_lshlrev_b32_e32 v6, 16, v16
	v_mul_f32_e32 v6, v27, v6
	v_bfe_u32 v7, v6, 16, 1
	v_add3_u32 v7, v7, v6, s21
	v_or_b32_e32 v8, 0x400000, v6
	v_cmp_u_f32_e32 vcc, v6, v6
	v_cndmask_b32_e32 v6, v7, v8, vcc
	v_and_b32_e32 v7, 0xffff0000, v16
	v_and_b32_e32 v0, 0xffff0000, v0
	v_and_b32_e32 v1, 0xffff0000, v1
	v_mul_f32_e32 v7, v23, v7
	v_add_f32_e32 v0, v1, v0
	v_and_b32_e32 v1, 0xffff0000, v3
	v_and_b32_e32 v2, 0xffff0000, v2
	v_bfe_u32 v8, v7, 16, 1
	v_add_f32_e32 v1, v2, v1
	v_add3_u32 v8, v8, v7, s21
	v_or_b32_e32 v9, 0x400000, v7
	v_cmp_u_f32_e32 vcc, v7, v7
	v_add_f32_e32 v0, v1, v0
	v_and_b32_e32 v1, 0xffff0000, v5
	v_and_b32_e32 v2, 0xffff0000, v4
	v_cndmask_b32_e32 v7, v8, v9, vcc
	v_add_f32_e32 v1, v2, v1
	v_add_f32_e32 v0, v1, v0
	v_and_b32_e32 v1, 0xffff0000, v7
	v_and_b32_e32 v2, 0xffff0000, v6
	v_add_u32_e32 v56, 2, v56
	v_add_f32_e32 v1, v2, v1
	v_cmp_le_i32_e32 vcc, s17, v56
	v_add_f32_e32 v0, v1, v0
	s_or_b64 s[6:7], vcc, s[6:7]
	v_add_co_u32_e32 v37, vcc, 8, v37
	v_add_f32_e32 v44, v44, v0
	v_add_u32_e32 v54, 64, v54
	v_add_u32_e32 v55, 0x100, v55
	v_addc_co_u32_e32 v38, vcc, 0, v38, vcc
	s_andn2_b64 exec, exec, s[6:7]
	s_cbranch_execz .LBB157_44
.LBB157_30:                             ; =>This Inner Loop Header: Depth=1
	global_load_dword v0, v[37:38], off
	v_add_u32_e32 v61, 1, v54
	v_or_b32_e32 v59, 3, v54
	v_or_b32_e32 v60, 2, v54
	;; [unrolled: 1-line block ×5, first 2 shown]
	s_waitcnt vmcnt(0)
	v_mad_i64_i32 v[0:1], s[0:1], v0, s26, 0
	v_cmp_eq_u32_e64 s[0:1], s14, v56
	v_lshlrev_b64 v[0:1], 1, v[0:1]
	v_add_co_u32_e32 v13, vcc, v52, v0
	v_addc_co_u32_e32 v14, vcc, v53, v1, vcc
	global_load_dwordx4 v[1:4], v[13:14], off
	ds_read2_b64 v[25:28], v55 offset1:1
	ds_read2_b64 v[21:24], v55 offset0:2 offset1:3
	v_or_b32_e32 v0, 7, v54
	s_and_saveexec_b64 s[12:13], s[0:1]
	s_cbranch_execnz .LBB157_41
; %bb.31:                               ;   in Loop: Header=BB157_30 Depth=1
	s_or_b64 exec, exec, s[12:13]
	global_load_dwordx4 v[5:8], v[13:14], off offset:1024
	s_and_saveexec_b64 s[12:13], s[0:1]
	s_cbranch_execnz .LBB157_42
.LBB157_32:                             ;   in Loop: Header=BB157_30 Depth=1
	s_or_b64 exec, exec, s[12:13]
	global_load_dwordx4 v[9:12], v[13:14], off offset:2048
	s_and_saveexec_b64 s[12:13], s[0:1]
	s_cbranch_execnz .LBB157_43
.LBB157_33:                             ;   in Loop: Header=BB157_30 Depth=1
	s_or_b64 exec, exec, s[12:13]
	global_load_dwordx4 v[17:20], v[13:14], off offset:3072
	s_and_saveexec_b64 s[12:13], s[0:1]
	s_cbranch_execz .LBB157_35
.LBB157_34:                             ;   in Loop: Header=BB157_30 Depth=1
	v_cmp_gt_i32_e32 vcc, s15, v61
	s_waitcnt vmcnt(0)
	v_cndmask_b32_sdwa v15, v51, v17, vcc dst_sel:DWORD dst_unused:UNUSED_PAD src0_sel:DWORD src1_sel:WORD_1
	v_cmp_gt_i32_e32 vcc, s33, v54
	v_cndmask_b32_e32 v16, 0, v17, vcc
	v_cmp_gt_i32_e32 vcc, s15, v59
	v_cmp_gt_i32_e64 s[2:3], s33, v60
	v_perm_b32 v17, v15, v16, s20
	v_cndmask_b32_e64 v15, 0, v18, s[2:3]
	v_cndmask_b32_sdwa v16, v51, v18, vcc dst_sel:DWORD dst_unused:UNUSED_PAD src0_sel:DWORD src1_sel:WORD_1
	v_cmp_gt_i32_e32 vcc, s15, v57
	v_cmp_gt_i32_e64 s[2:3], s33, v58
	v_perm_b32 v18, v16, v15, s20
	v_cndmask_b32_e64 v15, 0, v19, s[2:3]
	v_cndmask_b32_sdwa v16, v51, v19, vcc dst_sel:DWORD dst_unused:UNUSED_PAD src0_sel:DWORD src1_sel:WORD_1
	;; [unrolled: 5-line block ×3, first 2 shown]
	v_perm_b32 v20, v16, v15, s20
.LBB157_35:                             ;   in Loop: Header=BB157_30 Depth=1
	s_or_b64 exec, exec, s[12:13]
	v_add_co_u32_e32 v15, vcc, 0x1000, v13
	v_addc_co_u32_e32 v16, vcc, 0, v14, vcc
	global_load_dwordx4 v[29:32], v[15:16], off
	s_and_saveexec_b64 s[12:13], s[0:1]
	s_cbranch_execz .LBB157_37
; %bb.36:                               ;   in Loop: Header=BB157_30 Depth=1
	v_cmp_gt_i32_e32 vcc, s15, v61
	s_waitcnt vmcnt(0)
	v_cndmask_b32_sdwa v15, v51, v29, vcc dst_sel:DWORD dst_unused:UNUSED_PAD src0_sel:DWORD src1_sel:WORD_1
	v_cmp_gt_i32_e32 vcc, s33, v54
	v_cndmask_b32_e32 v16, 0, v29, vcc
	v_cmp_gt_i32_e32 vcc, s15, v59
	v_cmp_gt_i32_e64 s[2:3], s33, v60
	v_perm_b32 v29, v15, v16, s20
	v_cndmask_b32_e64 v15, 0, v30, s[2:3]
	v_cndmask_b32_sdwa v16, v51, v30, vcc dst_sel:DWORD dst_unused:UNUSED_PAD src0_sel:DWORD src1_sel:WORD_1
	v_cmp_gt_i32_e32 vcc, s15, v57
	v_cmp_gt_i32_e64 s[2:3], s33, v58
	v_perm_b32 v30, v16, v15, s20
	v_cndmask_b32_e64 v15, 0, v31, s[2:3]
	v_cndmask_b32_sdwa v16, v51, v31, vcc dst_sel:DWORD dst_unused:UNUSED_PAD src0_sel:DWORD src1_sel:WORD_1
	;; [unrolled: 5-line block ×3, first 2 shown]
	v_perm_b32 v32, v16, v15, s20
.LBB157_37:                             ;   in Loop: Header=BB157_30 Depth=1
	s_or_b64 exec, exec, s[12:13]
	v_add_co_u32_e32 v15, vcc, 0x1000, v13
	v_addc_co_u32_e32 v16, vcc, 0, v14, vcc
	global_load_dwordx4 v[33:36], v[15:16], off offset:1024
	s_and_saveexec_b64 s[12:13], s[0:1]
	s_cbranch_execz .LBB157_39
; %bb.38:                               ;   in Loop: Header=BB157_30 Depth=1
	v_cmp_gt_i32_e32 vcc, s15, v61
	s_waitcnt vmcnt(0)
	v_cndmask_b32_sdwa v15, v51, v33, vcc dst_sel:DWORD dst_unused:UNUSED_PAD src0_sel:DWORD src1_sel:WORD_1
	v_cmp_gt_i32_e32 vcc, s33, v54
	v_cndmask_b32_e32 v16, 0, v33, vcc
	v_cmp_gt_i32_e32 vcc, s15, v59
	v_cmp_gt_i32_e64 s[2:3], s33, v60
	v_perm_b32 v33, v15, v16, s20
	v_cndmask_b32_e64 v15, 0, v34, s[2:3]
	v_cndmask_b32_sdwa v16, v51, v34, vcc dst_sel:DWORD dst_unused:UNUSED_PAD src0_sel:DWORD src1_sel:WORD_1
	v_cmp_gt_i32_e32 vcc, s15, v57
	v_cmp_gt_i32_e64 s[2:3], s33, v58
	v_perm_b32 v34, v16, v15, s20
	v_cndmask_b32_e64 v15, 0, v35, s[2:3]
	v_cndmask_b32_sdwa v16, v51, v35, vcc dst_sel:DWORD dst_unused:UNUSED_PAD src0_sel:DWORD src1_sel:WORD_1
	;; [unrolled: 5-line block ×3, first 2 shown]
	v_perm_b32 v36, v16, v15, s20
.LBB157_39:                             ;   in Loop: Header=BB157_30 Depth=1
	s_or_b64 exec, exec, s[12:13]
	v_add_co_u32_e32 v13, vcc, 0x1000, v13
	v_addc_co_u32_e32 v14, vcc, 0, v14, vcc
	global_load_dwordx4 v[13:16], v[13:14], off offset:2048
	s_and_saveexec_b64 s[2:3], s[0:1]
	s_cbranch_execz .LBB157_29
; %bb.40:                               ;   in Loop: Header=BB157_30 Depth=1
	v_cmp_gt_i32_e32 vcc, s15, v61
	s_waitcnt vmcnt(0)
	v_cndmask_b32_sdwa v61, v51, v13, vcc dst_sel:DWORD dst_unused:UNUSED_PAD src0_sel:DWORD src1_sel:WORD_1
	v_cmp_gt_i32_e32 vcc, s33, v54
	v_cndmask_b32_e32 v13, 0, v13, vcc
	v_cmp_gt_i32_e32 vcc, s15, v59
	v_cmp_gt_i32_e64 s[0:1], s33, v60
	v_cndmask_b32_e64 v59, 0, v14, s[0:1]
	v_cndmask_b32_sdwa v14, v51, v14, vcc dst_sel:DWORD dst_unused:UNUSED_PAD src0_sel:DWORD src1_sel:WORD_1
	v_cmp_gt_i32_e32 vcc, s15, v57
	v_cmp_gt_i32_e64 s[0:1], s33, v58
	v_cndmask_b32_e64 v57, 0, v15, s[0:1]
	v_cndmask_b32_sdwa v15, v51, v15, vcc dst_sel:DWORD dst_unused:UNUSED_PAD src0_sel:DWORD src1_sel:WORD_1
	;; [unrolled: 4-line block ×3, first 2 shown]
	v_perm_b32 v13, v61, v13, s20
	v_perm_b32 v14, v14, v59, s20
	;; [unrolled: 1-line block ×4, first 2 shown]
	s_branch .LBB157_29
.LBB157_41:                             ;   in Loop: Header=BB157_30 Depth=1
	v_cmp_gt_i32_e32 vcc, s15, v61
	s_waitcnt vmcnt(0)
	v_cndmask_b32_sdwa v5, v51, v1, vcc dst_sel:DWORD dst_unused:UNUSED_PAD src0_sel:DWORD src1_sel:WORD_1
	v_cmp_gt_i32_e32 vcc, s33, v54
	v_cndmask_b32_e32 v1, 0, v1, vcc
	v_cmp_gt_i32_e32 vcc, s15, v59
	v_cmp_gt_i32_e64 s[2:3], s33, v60
	v_perm_b32 v1, v5, v1, s20
	v_cndmask_b32_e64 v5, 0, v2, s[2:3]
	v_cndmask_b32_sdwa v2, v51, v2, vcc dst_sel:DWORD dst_unused:UNUSED_PAD src0_sel:DWORD src1_sel:WORD_1
	v_cmp_gt_i32_e32 vcc, s15, v57
	v_cmp_gt_i32_e64 s[2:3], s33, v58
	v_perm_b32 v2, v2, v5, s20
	v_cndmask_b32_e64 v5, 0, v3, s[2:3]
	v_cndmask_b32_sdwa v3, v51, v3, vcc dst_sel:DWORD dst_unused:UNUSED_PAD src0_sel:DWORD src1_sel:WORD_1
	;; [unrolled: 5-line block ×3, first 2 shown]
	v_perm_b32 v4, v4, v5, s20
	s_or_b64 exec, exec, s[12:13]
	global_load_dwordx4 v[5:8], v[13:14], off offset:1024
	s_and_saveexec_b64 s[12:13], s[0:1]
	s_cbranch_execz .LBB157_32
.LBB157_42:                             ;   in Loop: Header=BB157_30 Depth=1
	v_cmp_gt_i32_e32 vcc, s15, v61
	s_waitcnt vmcnt(0)
	v_cndmask_b32_sdwa v9, v51, v5, vcc dst_sel:DWORD dst_unused:UNUSED_PAD src0_sel:DWORD src1_sel:WORD_1
	v_cmp_gt_i32_e32 vcc, s33, v54
	v_cndmask_b32_e32 v5, 0, v5, vcc
	v_cmp_gt_i32_e32 vcc, s15, v59
	v_cmp_gt_i32_e64 s[2:3], s33, v60
	v_perm_b32 v5, v9, v5, s20
	v_cndmask_b32_e64 v9, 0, v6, s[2:3]
	v_cndmask_b32_sdwa v6, v51, v6, vcc dst_sel:DWORD dst_unused:UNUSED_PAD src0_sel:DWORD src1_sel:WORD_1
	v_cmp_gt_i32_e32 vcc, s15, v57
	v_cmp_gt_i32_e64 s[2:3], s33, v58
	v_perm_b32 v6, v6, v9, s20
	v_cndmask_b32_e64 v9, 0, v7, s[2:3]
	v_cndmask_b32_sdwa v7, v51, v7, vcc dst_sel:DWORD dst_unused:UNUSED_PAD src0_sel:DWORD src1_sel:WORD_1
	;; [unrolled: 5-line block ×3, first 2 shown]
	v_perm_b32 v8, v8, v9, s20
	s_or_b64 exec, exec, s[12:13]
	global_load_dwordx4 v[9:12], v[13:14], off offset:2048
	s_and_saveexec_b64 s[12:13], s[0:1]
	s_cbranch_execz .LBB157_33
.LBB157_43:                             ;   in Loop: Header=BB157_30 Depth=1
	v_cmp_gt_i32_e32 vcc, s15, v61
	s_waitcnt vmcnt(0)
	v_cndmask_b32_sdwa v15, v51, v9, vcc dst_sel:DWORD dst_unused:UNUSED_PAD src0_sel:DWORD src1_sel:WORD_1
	v_cmp_gt_i32_e32 vcc, s33, v54
	v_cndmask_b32_e32 v9, 0, v9, vcc
	v_cmp_gt_i32_e32 vcc, s15, v59
	v_cmp_gt_i32_e64 s[2:3], s33, v60
	v_perm_b32 v9, v15, v9, s20
	v_cndmask_b32_e64 v15, 0, v10, s[2:3]
	v_cndmask_b32_sdwa v10, v51, v10, vcc dst_sel:DWORD dst_unused:UNUSED_PAD src0_sel:DWORD src1_sel:WORD_1
	v_cmp_gt_i32_e32 vcc, s15, v57
	v_cmp_gt_i32_e64 s[2:3], s33, v58
	v_perm_b32 v10, v10, v15, s20
	v_cndmask_b32_e64 v15, 0, v11, s[2:3]
	v_cndmask_b32_sdwa v11, v51, v11, vcc dst_sel:DWORD dst_unused:UNUSED_PAD src0_sel:DWORD src1_sel:WORD_1
	;; [unrolled: 5-line block ×3, first 2 shown]
	v_perm_b32 v12, v12, v15, s20
	s_or_b64 exec, exec, s[12:13]
	global_load_dwordx4 v[17:20], v[13:14], off offset:3072
	s_and_saveexec_b64 s[12:13], s[0:1]
	s_cbranch_execnz .LBB157_34
	s_branch .LBB157_35
.LBB157_44:
	s_or_b64 exec, exec, s[6:7]
.LBB157_45:
	s_or_b64 exec, exec, s[4:5]
	ds_bpermute_b32 v0, v41, v49
	ds_bpermute_b32 v1, v41, v50
	;; [unrolled: 1-line block ×5, first 2 shown]
	s_waitcnt lgkmcnt(4)
	v_add_f32_e32 v0, v49, v0
	s_waitcnt lgkmcnt(3)
	v_add_f32_e32 v1, v50, v1
	ds_bpermute_b32 v3, v42, v0
	ds_bpermute_b32 v4, v42, v1
	s_waitcnt lgkmcnt(3)
	v_add_f32_e32 v8, v44, v8
	s_waitcnt lgkmcnt(2)
	v_add_f32_e32 v2, v48, v2
	ds_bpermute_b32 v12, v42, v8
	s_waitcnt lgkmcnt(2)
	v_add_f32_e32 v3, v0, v3
	ds_bpermute_b32 v0, v41, v46
	s_waitcnt lgkmcnt(2)
	v_add_f32_e32 v1, v1, v4
	v_add_f32_e32 v4, v47, v5
	ds_bpermute_b32 v5, v41, v45
	ds_bpermute_b32 v7, v42, v4
	s_waitcnt lgkmcnt(2)
	v_add_f32_e32 v0, v46, v0
	ds_bpermute_b32 v9, v42, v0
	ds_bpermute_b32 v6, v42, v2
	s_waitcnt lgkmcnt(3)
	v_add_f32_e32 v10, v45, v5
	ds_bpermute_b32 v11, v42, v10
	s_waitcnt lgkmcnt(3)
	v_add_f32_e32 v5, v4, v7
	s_waitcnt lgkmcnt(2)
	v_add_f32_e32 v4, v0, v9
	v_add_f32_e32 v0, v8, v12
	v_and_b32_e32 v8, 0x3c3, v62
	s_waitcnt lgkmcnt(1)
	v_add_f32_e32 v6, v2, v6
	s_waitcnt lgkmcnt(0)
	v_add_f32_e32 v2, v10, v11
	v_cmp_eq_u32_e32 vcc, 64, v8
	s_barrier
	s_and_saveexec_b64 s[0:1], vcc
	s_cbranch_execz .LBB157_47
; %bb.46:
	v_add_u32_e32 v7, 0xf0, v40
	ds_write2_b32 v7, v3, v1 offset1:16
	ds_write2_b32 v7, v6, v5 offset0:32 offset1:48
	ds_write2_b32 v7, v4, v2 offset0:64 offset1:80
	ds_write_b32 v7, v0 offset:384
.LBB157_47:
	s_or_b64 exec, exec, s[0:1]
	v_cmp_gt_u32_e32 vcc, 64, v62
	v_lshrrev_b32_e32 v7, 2, v62
	s_waitcnt lgkmcnt(0)
	s_barrier
	s_and_saveexec_b64 s[0:1], vcc
	s_cbranch_execz .LBB157_57
; %bb.48:
	v_mov_b32_e32 v9, 0xf0
	v_cmp_eq_u32_e32 vcc, 0, v43
	v_lshl_add_u32 v9, v7, 2, v9
	s_and_saveexec_b64 s[2:3], vcc
	s_cbranch_execnz .LBB157_60
; %bb.49:
	s_or_b64 exec, exec, s[2:3]
	s_and_saveexec_b64 s[2:3], vcc
	s_cbranch_execnz .LBB157_61
.LBB157_50:
	s_or_b64 exec, exec, s[2:3]
	s_and_saveexec_b64 s[2:3], vcc
	s_cbranch_execnz .LBB157_62
.LBB157_51:
	s_or_b64 exec, exec, s[2:3]
	s_and_saveexec_b64 s[2:3], vcc
	s_cbranch_execnz .LBB157_63
.LBB157_52:
	s_or_b64 exec, exec, s[2:3]
	s_and_saveexec_b64 s[2:3], vcc
	s_cbranch_execnz .LBB157_64
.LBB157_53:
	s_or_b64 exec, exec, s[2:3]
	s_and_saveexec_b64 s[2:3], vcc
	s_cbranch_execnz .LBB157_65
.LBB157_54:
	s_or_b64 exec, exec, s[2:3]
	s_and_saveexec_b64 s[2:3], vcc
	s_cbranch_execz .LBB157_56
.LBB157_55:
	ds_read_b32 v9, v9 offset:384
	s_waitcnt lgkmcnt(0)
	v_add_f32_e32 v0, v0, v9
.LBB157_56:
	s_or_b64 exec, exec, s[2:3]
.LBB157_57:
	s_or_b64 exec, exec, s[0:1]
	v_cmp_eq_u32_e32 vcc, 0, v8
	s_barrier
	s_and_saveexec_b64 s[0:1], vcc
	s_cbranch_execz .LBB157_59
; %bb.58:
	s_mul_i32 s0, s10, s11
	s_mul_i32 s0, s0, s9
	s_mulk_i32 s0, 0x70
	s_ashr_i32 s1, s0, 31
	s_lshl_b64 s[0:1], s[0:1], 1
	s_add_u32 s2, s18, s0
	s_mul_i32 s0, s11, s16
	s_addc_u32 s3, s19, s1
	s_ashr_i32 s1, s0, 31
	s_lshl_b64 s[0:1], s[0:1], 1
	s_add_u32 s2, s2, s0
	s_mul_i32 s0, s8, 0x70
	s_addc_u32 s3, s3, s1
	s_ashr_i32 s1, s0, 31
	s_lshl_b64 s[0:1], s[0:1], 1
	s_add_u32 s0, s2, s0
	v_bfe_u32 v8, v3, 16, 1
	s_movk_i32 s2, 0x7fff
	v_add3_u32 v8, v8, v3, s2
	v_or_b32_e32 v9, 0x400000, v3
	v_cmp_u_f32_e32 vcc, v3, v3
	s_addc_u32 s1, s3, s1
	v_lshlrev_b32_e32 v7, 1, v7
	v_cndmask_b32_e32 v3, v8, v9, vcc
	global_store_short_d16_hi v7, v3, s[0:1]
	v_bfe_u32 v3, v1, 16, 1
	v_add3_u32 v3, v3, v1, s2
	v_or_b32_e32 v8, 0x400000, v1
	v_cmp_u_f32_e32 vcc, v1, v1
	v_cndmask_b32_e32 v1, v3, v8, vcc
	global_store_short_d16_hi v7, v1, s[0:1] offset:32
	v_bfe_u32 v1, v6, 16, 1
	v_add3_u32 v1, v1, v6, s2
	v_or_b32_e32 v3, 0x400000, v6
	v_cmp_u_f32_e32 vcc, v6, v6
	v_cndmask_b32_e32 v1, v1, v3, vcc
	global_store_short_d16_hi v7, v1, s[0:1] offset:64
	;; [unrolled: 6-line block ×6, first 2 shown]
.LBB157_59:
	s_endpgm
.LBB157_60:
	ds_read_b32 v10, v9
	s_waitcnt lgkmcnt(0)
	v_add_f32_e32 v3, v3, v10
	s_or_b64 exec, exec, s[2:3]
	s_and_saveexec_b64 s[2:3], vcc
	s_cbranch_execz .LBB157_50
.LBB157_61:
	ds_read_b32 v10, v9 offset:64
	s_waitcnt lgkmcnt(0)
	v_add_f32_e32 v1, v1, v10
	s_or_b64 exec, exec, s[2:3]
	s_and_saveexec_b64 s[2:3], vcc
	s_cbranch_execz .LBB157_51
.LBB157_62:
	ds_read_b32 v10, v9 offset:128
	s_waitcnt lgkmcnt(0)
	v_add_f32_e32 v6, v6, v10
	s_or_b64 exec, exec, s[2:3]
	s_and_saveexec_b64 s[2:3], vcc
	s_cbranch_execz .LBB157_52
.LBB157_63:
	ds_read_b32 v10, v9 offset:192
	s_waitcnt lgkmcnt(0)
	v_add_f32_e32 v5, v5, v10
	s_or_b64 exec, exec, s[2:3]
	s_and_saveexec_b64 s[2:3], vcc
	s_cbranch_execz .LBB157_53
.LBB157_64:
	ds_read_b32 v10, v9 offset:256
	s_waitcnt lgkmcnt(0)
	v_add_f32_e32 v4, v4, v10
	s_or_b64 exec, exec, s[2:3]
	s_and_saveexec_b64 s[2:3], vcc
	s_cbranch_execz .LBB157_54
.LBB157_65:
	ds_read_b32 v10, v9 offset:320
	s_waitcnt lgkmcnt(0)
	v_add_f32_e32 v2, v2, v10
	s_or_b64 exec, exec, s[2:3]
	s_and_saveexec_b64 s[2:3], vcc
	s_cbranch_execnz .LBB157_55
	s_branch .LBB157_56
	.section	.rodata,"a",@progbits
	.p2align	6, 0x0
	.amdhsa_kernel _ZN4vllm25paged_attention_v1_kernelI14__hip_bfloat16S1_Li112ELi32ELi128ELNS_18Fp8KVCacheDataTypeE0ELb0EEEvPT_PKS3_PKT0_S9_ifPKiSB_iPKfiiiSD_SD_iiiii
		.amdhsa_group_segment_fixed_size 240
		.amdhsa_private_segment_fixed_size 164
		.amdhsa_kernarg_size 384
		.amdhsa_user_sgpr_count 6
		.amdhsa_user_sgpr_private_segment_buffer 1
		.amdhsa_user_sgpr_dispatch_ptr 0
		.amdhsa_user_sgpr_queue_ptr 0
		.amdhsa_user_sgpr_kernarg_segment_ptr 1
		.amdhsa_user_sgpr_dispatch_id 0
		.amdhsa_user_sgpr_flat_scratch_init 0
		.amdhsa_user_sgpr_private_segment_size 0
		.amdhsa_uses_dynamic_stack 0
		.amdhsa_system_sgpr_private_segment_wavefront_offset 1
		.amdhsa_system_sgpr_workgroup_id_x 1
		.amdhsa_system_sgpr_workgroup_id_y 1
		.amdhsa_system_sgpr_workgroup_id_z 1
		.amdhsa_system_sgpr_workgroup_info 0
		.amdhsa_system_vgpr_workitem_id 0
		.amdhsa_next_free_vgpr 64
		.amdhsa_next_free_sgpr 40
		.amdhsa_reserve_vcc 1
		.amdhsa_reserve_flat_scratch 0
		.amdhsa_float_round_mode_32 0
		.amdhsa_float_round_mode_16_64 0
		.amdhsa_float_denorm_mode_32 3
		.amdhsa_float_denorm_mode_16_64 3
		.amdhsa_dx10_clamp 1
		.amdhsa_ieee_mode 1
		.amdhsa_fp16_overflow 0
		.amdhsa_exception_fp_ieee_invalid_op 0
		.amdhsa_exception_fp_denorm_src 0
		.amdhsa_exception_fp_ieee_div_zero 0
		.amdhsa_exception_fp_ieee_overflow 0
		.amdhsa_exception_fp_ieee_underflow 0
		.amdhsa_exception_fp_ieee_inexact 0
		.amdhsa_exception_int_div_zero 0
	.end_amdhsa_kernel
	.section	.text._ZN4vllm25paged_attention_v1_kernelI14__hip_bfloat16S1_Li112ELi32ELi128ELNS_18Fp8KVCacheDataTypeE0ELb0EEEvPT_PKS3_PKT0_S9_ifPKiSB_iPKfiiiSD_SD_iiiii,"axG",@progbits,_ZN4vllm25paged_attention_v1_kernelI14__hip_bfloat16S1_Li112ELi32ELi128ELNS_18Fp8KVCacheDataTypeE0ELb0EEEvPT_PKS3_PKT0_S9_ifPKiSB_iPKfiiiSD_SD_iiiii,comdat
.Lfunc_end157:
	.size	_ZN4vllm25paged_attention_v1_kernelI14__hip_bfloat16S1_Li112ELi32ELi128ELNS_18Fp8KVCacheDataTypeE0ELb0EEEvPT_PKS3_PKT0_S9_ifPKiSB_iPKfiiiSD_SD_iiiii, .Lfunc_end157-_ZN4vllm25paged_attention_v1_kernelI14__hip_bfloat16S1_Li112ELi32ELi128ELNS_18Fp8KVCacheDataTypeE0ELb0EEEvPT_PKS3_PKT0_S9_ifPKiSB_iPKfiiiSD_SD_iiiii
                                        ; -- End function
	.set _ZN4vllm25paged_attention_v1_kernelI14__hip_bfloat16S1_Li112ELi32ELi128ELNS_18Fp8KVCacheDataTypeE0ELb0EEEvPT_PKS3_PKT0_S9_ifPKiSB_iPKfiiiSD_SD_iiiii.num_vgpr, 64
	.set _ZN4vllm25paged_attention_v1_kernelI14__hip_bfloat16S1_Li112ELi32ELi128ELNS_18Fp8KVCacheDataTypeE0ELb0EEEvPT_PKS3_PKT0_S9_ifPKiSB_iPKfiiiSD_SD_iiiii.num_agpr, 0
	.set _ZN4vllm25paged_attention_v1_kernelI14__hip_bfloat16S1_Li112ELi32ELi128ELNS_18Fp8KVCacheDataTypeE0ELb0EEEvPT_PKS3_PKT0_S9_ifPKiSB_iPKfiiiSD_SD_iiiii.numbered_sgpr, 40
	.set _ZN4vllm25paged_attention_v1_kernelI14__hip_bfloat16S1_Li112ELi32ELi128ELNS_18Fp8KVCacheDataTypeE0ELb0EEEvPT_PKS3_PKT0_S9_ifPKiSB_iPKfiiiSD_SD_iiiii.num_named_barrier, 0
	.set _ZN4vllm25paged_attention_v1_kernelI14__hip_bfloat16S1_Li112ELi32ELi128ELNS_18Fp8KVCacheDataTypeE0ELb0EEEvPT_PKS3_PKT0_S9_ifPKiSB_iPKfiiiSD_SD_iiiii.private_seg_size, 164
	.set _ZN4vllm25paged_attention_v1_kernelI14__hip_bfloat16S1_Li112ELi32ELi128ELNS_18Fp8KVCacheDataTypeE0ELb0EEEvPT_PKS3_PKT0_S9_ifPKiSB_iPKfiiiSD_SD_iiiii.uses_vcc, 1
	.set _ZN4vllm25paged_attention_v1_kernelI14__hip_bfloat16S1_Li112ELi32ELi128ELNS_18Fp8KVCacheDataTypeE0ELb0EEEvPT_PKS3_PKT0_S9_ifPKiSB_iPKfiiiSD_SD_iiiii.uses_flat_scratch, 0
	.set _ZN4vllm25paged_attention_v1_kernelI14__hip_bfloat16S1_Li112ELi32ELi128ELNS_18Fp8KVCacheDataTypeE0ELb0EEEvPT_PKS3_PKT0_S9_ifPKiSB_iPKfiiiSD_SD_iiiii.has_dyn_sized_stack, 0
	.set _ZN4vllm25paged_attention_v1_kernelI14__hip_bfloat16S1_Li112ELi32ELi128ELNS_18Fp8KVCacheDataTypeE0ELb0EEEvPT_PKS3_PKT0_S9_ifPKiSB_iPKfiiiSD_SD_iiiii.has_recursion, 0
	.set _ZN4vllm25paged_attention_v1_kernelI14__hip_bfloat16S1_Li112ELi32ELi128ELNS_18Fp8KVCacheDataTypeE0ELb0EEEvPT_PKS3_PKT0_S9_ifPKiSB_iPKfiiiSD_SD_iiiii.has_indirect_call, 0
	.section	.AMDGPU.csdata,"",@progbits
; Kernel info:
; codeLenInByte = 9696
; TotalNumSgprs: 44
; NumVgprs: 64
; ScratchSize: 164
; MemoryBound: 0
; FloatMode: 240
; IeeeMode: 1
; LDSByteSize: 240 bytes/workgroup (compile time only)
; SGPRBlocks: 5
; VGPRBlocks: 15
; NumSGPRsForWavesPerEU: 44
; NumVGPRsForWavesPerEU: 64
; Occupancy: 4
; WaveLimiterHint : 1
; COMPUTE_PGM_RSRC2:SCRATCH_EN: 1
; COMPUTE_PGM_RSRC2:USER_SGPR: 6
; COMPUTE_PGM_RSRC2:TRAP_HANDLER: 0
; COMPUTE_PGM_RSRC2:TGID_X_EN: 1
; COMPUTE_PGM_RSRC2:TGID_Y_EN: 1
; COMPUTE_PGM_RSRC2:TGID_Z_EN: 1
; COMPUTE_PGM_RSRC2:TIDIG_COMP_CNT: 0
	.section	.text._ZN4vllm25paged_attention_v1_kernelI14__hip_bfloat16S1_Li120ELi32ELi128ELNS_18Fp8KVCacheDataTypeE0ELb0EEEvPT_PKS3_PKT0_S9_ifPKiSB_iPKfiiiSD_SD_iiiii,"axG",@progbits,_ZN4vllm25paged_attention_v1_kernelI14__hip_bfloat16S1_Li120ELi32ELi128ELNS_18Fp8KVCacheDataTypeE0ELb0EEEvPT_PKS3_PKT0_S9_ifPKiSB_iPKfiiiSD_SD_iiiii,comdat
	.protected	_ZN4vllm25paged_attention_v1_kernelI14__hip_bfloat16S1_Li120ELi32ELi128ELNS_18Fp8KVCacheDataTypeE0ELb0EEEvPT_PKS3_PKT0_S9_ifPKiSB_iPKfiiiSD_SD_iiiii ; -- Begin function _ZN4vllm25paged_attention_v1_kernelI14__hip_bfloat16S1_Li120ELi32ELi128ELNS_18Fp8KVCacheDataTypeE0ELb0EEEvPT_PKS3_PKT0_S9_ifPKiSB_iPKfiiiSD_SD_iiiii
	.globl	_ZN4vllm25paged_attention_v1_kernelI14__hip_bfloat16S1_Li120ELi32ELi128ELNS_18Fp8KVCacheDataTypeE0ELb0EEEvPT_PKS3_PKT0_S9_ifPKiSB_iPKfiiiSD_SD_iiiii
	.p2align	8
	.type	_ZN4vllm25paged_attention_v1_kernelI14__hip_bfloat16S1_Li120ELi32ELi128ELNS_18Fp8KVCacheDataTypeE0ELb0EEEvPT_PKS3_PKT0_S9_ifPKiSB_iPKfiiiSD_SD_iiiii,@function
_ZN4vllm25paged_attention_v1_kernelI14__hip_bfloat16S1_Li120ELi32ELi128ELNS_18Fp8KVCacheDataTypeE0ELb0EEEvPT_PKS3_PKT0_S9_ifPKiSB_iPKfiiiSD_SD_iiiii: ; @_ZN4vllm25paged_attention_v1_kernelI14__hip_bfloat16S1_Li120ELi32ELi128ELNS_18Fp8KVCacheDataTypeE0ELb0EEEvPT_PKS3_PKT0_S9_ifPKiSB_iPKfiiiSD_SD_iiiii
; %bb.0:
	s_mov_b64 s[38:39], s[2:3]
	s_mov_b64 s[36:37], s[0:1]
	s_add_u32 s36, s36, s9
	s_load_dword s9, s[4:5], 0x80
	s_load_dwordx2 s[0:1], s[4:5], 0x30
	s_load_dwordx2 s[26:27], s[4:5], 0x20
	s_addc_u32 s37, s37, 0
	s_mov_b32 s10, s7
	s_ashr_i32 s11, s7, 31
	s_lshl_b64 s[2:3], s[10:11], 2
	s_waitcnt lgkmcnt(0)
	s_add_u32 s0, s0, s2
	s_addc_u32 s1, s1, s3
	s_abs_i32 s2, s26
	v_mov_b32_e32 v63, v0
	v_cvt_f32_u32_e32 v0, s2
	s_sub_i32 s11, 0, s2
	s_abs_i32 s7, s9
	s_xor_b32 s3, s9, s26
	v_rcp_iflag_f32_e32 v0, v0
	s_ashr_i32 s3, s3, 31
	s_mov_b32 s26, 0
	v_mul_f32_e32 v0, 0x4f7ffffe, v0
	v_cvt_u32_f32_e32 v0, v0
	v_readfirstlane_b32 s12, v0
	s_mul_i32 s11, s11, s12
	s_mul_hi_u32 s11, s12, s11
	s_add_i32 s12, s12, s11
	s_mul_hi_u32 s11, s7, s12
	s_mul_i32 s12, s11, s2
	s_sub_i32 s7, s7, s12
	s_add_i32 s12, s11, 1
	s_sub_i32 s13, s7, s2
	s_cmp_ge_u32 s7, s2
	s_cselect_b32 s11, s12, s11
	s_cselect_b32 s7, s13, s7
	s_add_i32 s12, s11, 1
	s_cmp_ge_u32 s7, s2
	s_cselect_b32 s2, s12, s11
	s_xor_b32 s2, s2, s3
	s_sub_i32 s12, s2, s3
	s_abs_i32 s11, s12
	v_cvt_f32_u32_e32 v0, s11
	s_load_dwordx2 s[2:3], s[4:5], 0x40
	s_sub_i32 s7, 0, s11
	s_abs_i32 s18, s6
	v_rcp_iflag_f32_e32 v0, v0
	v_mul_f32_e32 v0, 0x4f7ffffe, v0
	v_cvt_u32_f32_e32 v0, v0
	v_readfirstlane_b32 s13, v0
	s_mul_i32 s7, s7, s13
	s_mul_hi_u32 s7, s13, s7
	s_add_i32 s13, s13, s7
	s_waitcnt lgkmcnt(0)
	s_cmp_eq_u64 s[2:3], 0
	s_mul_hi_u32 s19, s18, s13
	s_cbranch_scc1 .LBB158_2
; %bb.1:
	s_ashr_i32 s7, s6, 31
	s_lshl_b64 s[14:15], s[6:7], 2
	s_add_u32 s2, s2, s14
	s_addc_u32 s3, s3, s15
	s_load_dword s26, s[2:3], 0x0
.LBB158_2:
	s_load_dword s33, s[0:1], 0x0
	s_ashr_i32 s3, s12, 31
	s_load_dwordx4 s[12:15], s[4:5], 0x48
	s_ashr_i32 s2, s6, 31
	v_and_b32_e32 v2, 1, v63
	s_movk_i32 s7, 0x78
	s_mul_i32 s16, s6, 0x78
	v_cmp_gt_u32_e32 vcc, 30, v63
	v_lshlrev_b32_e32 v12, 3, v63
	s_and_saveexec_b64 s[0:1], vcc
	s_cbranch_execz .LBB158_4
; %bb.3:
	s_load_dwordx2 s[20:21], s[4:5], 0x8
	s_waitcnt lgkmcnt(0)
	s_mul_i32 s22, s12, s10
	s_ashr_i32 s23, s22, 31
	s_lshl_b64 s[22:23], s[22:23], 1
	v_lshlrev_b32_e32 v3, 2, v63
	s_add_u32 s6, s20, s22
	s_addc_u32 s12, s21, s23
	s_ashr_i32 s17, s16, 31
	s_lshl_b64 s[20:21], s[16:17], 1
	s_add_u32 s20, s6, s20
	s_addc_u32 s21, s12, s21
	global_load_dwordx2 v[0:1], v12, s[20:21]
	v_and_b32_e32 v3, 0xff8, v3
	v_mad_u32_u24 v3, v2, s7, v3
	s_waitcnt vmcnt(0)
	ds_write_b64 v3, v[0:1]
.LBB158_4:
	s_or_b64 exec, exec, s[0:1]
	s_waitcnt lgkmcnt(0)
	s_add_i32 s1, s33, 31
	s_ashr_i32 s6, s1, 31
	s_lshr_b32 s6, s6, 27
	s_add_i32 s1, s1, s6
	s_ashr_i32 s17, s1, 5
	s_xor_b32 s1, s2, s3
	s_mul_i32 s2, s19, s11
	s_sub_i32 s2, s18, s2
	s_add_i32 s3, s19, 1
	s_sub_i32 s6, s2, s11
	s_load_dwordx2 s[20:21], s[4:5], 0x28
	s_load_dword s0, s[4:5], 0x38
	s_cmp_ge_u32 s2, s11
	s_cselect_b32 s3, s3, s19
	s_cselect_b32 s2, s6, s2
	s_add_i32 s6, s3, 1
	s_cmp_ge_u32 s2, s11
	s_cselect_b32 s2, s6, s3
	v_lshrrev_b32_e32 v62, 6, v63
	s_xor_b32 s2, s2, s1
	s_waitcnt lgkmcnt(0)
	s_mul_i32 s22, s0, s10
	s_sub_i32 s12, s2, s1
	s_ashr_i32 s23, s22, 31
	v_cmp_le_i32_e64 s[0:1], s17, v62
	v_mbcnt_lo_u32_b32 v3, -1, 0
	s_barrier
                                        ; implicit-def: $vgpr14
                                        ; implicit-def: $vgpr9
                                        ; implicit-def: $vgpr10
	s_and_saveexec_b64 s[2:3], s[0:1]
	s_xor_b64 s[2:3], exec, s[2:3]
; %bb.5:
	v_mbcnt_hi_u32_b32 v14, -1, v3
	v_and_b32_e32 v9, 64, v14
	v_add_u32_e32 v10, 64, v9
                                        ; implicit-def: $vgpr2
                                        ; implicit-def: $vgpr3
; %bb.6:
	s_or_saveexec_b64 s[6:7], s[2:3]
	s_load_dwordx2 s[18:19], s[4:5], 0x0
	s_load_dwordx2 s[24:25], s[4:5], 0x18
	s_load_dword s11, s[4:5], 0x88
	v_mov_b32_e32 v59, 0xff7fffff
	s_mul_i32 s14, s12, s14
	v_lshrrev_b32_e32 v13, 4, v63
	s_xor_b64 exec, exec, s[6:7]
	s_cbranch_execz .LBB158_12
; %bb.7:
	s_load_dwordx2 s[2:3], s[4:5], 0x10
	s_ashr_i32 s15, s14, 31
	s_lshl_b64 s[4:5], s[14:15], 1
	v_bfe_u32 v1, v63, 1, 5
	v_lshlrev_b32_e32 v0, 4, v1
	s_waitcnt lgkmcnt(0)
	s_add_u32 s2, s2, s4
	s_addc_u32 s3, s3, s5
	v_add_co_u32_e32 v0, vcc, s2, v0
	v_mov_b32_e32 v4, s3
	v_addc_co_u32_e32 v4, vcc, 0, v4, vcc
	v_and_b32_e32 v5, 8, v12
	v_add_co_u32_e32 v0, vcc, v0, v5
	buffer_store_dword v0, off, s[36:39], 0 ; 4-byte Folded Spill
	v_addc_co_u32_e32 v0, vcc, 0, v4, vcc
	v_mul_u32_u24_e32 v4, 0x78, v2
	ds_read2_b64 v[5:8], v4 offset1:1
	buffer_store_dword v0, off, s[36:39], 0 offset:4 ; 4-byte Folded Spill
	s_sub_i32 s15, 1, s33
	v_lshl_or_b32 v60, v62, 5, v1
	v_lshlrev_b32_e32 v1, 2, v1
	s_waitcnt lgkmcnt(0)
	v_lshlrev_b32_e32 v0, 16, v5
	buffer_store_dword v0, off, s[36:39], 0 offset:8 ; 4-byte Folded Spill
	v_and_b32_e32 v0, 0xffff0000, v5
	buffer_store_dword v0, off, s[36:39], 0 offset:12 ; 4-byte Folded Spill
	v_lshlrev_b32_e32 v0, 16, v6
	buffer_store_dword v0, off, s[36:39], 0 offset:16 ; 4-byte Folded Spill
	v_and_b32_e32 v0, 0xffff0000, v6
	buffer_store_dword v0, off, s[36:39], 0 offset:20 ; 4-byte Folded Spill
	;; [unrolled: 4-line block ×3, first 2 shown]
	v_lshlrev_b32_e32 v0, 16, v8
	buffer_store_dword v0, off, s[36:39], 0 offset:32 ; 4-byte Folded Spill
	v_and_b32_e32 v0, 0xffff0000, v8
	ds_read2_b64 v[5:8], v4 offset0:2 offset1:3
	buffer_store_dword v0, off, s[36:39], 0 offset:36 ; 4-byte Folded Spill
	s_lshl_b64 s[4:5], s[22:23], 2
	v_lshl_or_b32 v1, v62, 7, v1
	s_add_u32 s4, s20, s4
	s_waitcnt lgkmcnt(0)
	v_lshlrev_b32_e32 v0, 16, v5
	buffer_store_dword v0, off, s[36:39], 0 offset:40 ; 4-byte Folded Spill
	v_and_b32_e32 v0, 0xffff0000, v5
	buffer_store_dword v0, off, s[36:39], 0 offset:44 ; 4-byte Folded Spill
	v_lshlrev_b32_e32 v0, 16, v6
	buffer_store_dword v0, off, s[36:39], 0 offset:48 ; 4-byte Folded Spill
	v_and_b32_e32 v0, 0xffff0000, v6
	buffer_store_dword v0, off, s[36:39], 0 offset:52 ; 4-byte Folded Spill
	;; [unrolled: 4-line block ×3, first 2 shown]
	v_lshlrev_b32_e32 v0, 16, v8
	buffer_store_dword v0, off, s[36:39], 0 offset:64 ; 4-byte Folded Spill
	v_and_b32_e32 v0, 0xffff0000, v8
	ds_read2_b64 v[5:8], v4 offset0:4 offset1:5
	buffer_store_dword v0, off, s[36:39], 0 offset:68 ; 4-byte Folded Spill
	v_add_u32_e32 v61, 0x100, v1
	v_and_b32_e32 v1, 60, v13
	s_addc_u32 s28, s21, s5
	s_waitcnt lgkmcnt(0)
	v_lshlrev_b32_e32 v0, 16, v5
	buffer_store_dword v0, off, s[36:39], 0 offset:72 ; 4-byte Folded Spill
	v_and_b32_e32 v0, 0xffff0000, v5
	buffer_store_dword v0, off, s[36:39], 0 offset:76 ; 4-byte Folded Spill
	v_lshlrev_b32_e32 v0, 16, v6
	buffer_store_dword v0, off, s[36:39], 0 offset:80 ; 4-byte Folded Spill
	v_and_b32_e32 v0, 0xffff0000, v6
	buffer_store_dword v0, off, s[36:39], 0 offset:84 ; 4-byte Folded Spill
	;; [unrolled: 4-line block ×3, first 2 shown]
	v_lshlrev_b32_e32 v0, 16, v8
	buffer_store_dword v0, off, s[36:39], 0 offset:96 ; 4-byte Folded Spill
	v_and_b32_e32 v0, 0xffff0000, v8
	ds_read2_b64 v[5:8], v4 offset0:6 offset1:7
	buffer_store_dword v0, off, s[36:39], 0 offset:100 ; 4-byte Folded Spill
	v_add_co_u32_e64 v1, s[4:5], s4, v1
	s_mov_b32 s12, s13
	s_waitcnt lgkmcnt(0)
	v_lshlrev_b32_e32 v0, 16, v5
	buffer_store_dword v0, off, s[36:39], 0 offset:104 ; 4-byte Folded Spill
	v_and_b32_e32 v0, 0xffff0000, v5
	buffer_store_dword v0, off, s[36:39], 0 offset:108 ; 4-byte Folded Spill
	v_lshlrev_b32_e32 v0, 16, v6
	buffer_store_dword v0, off, s[36:39], 0 offset:112 ; 4-byte Folded Spill
	v_and_b32_e32 v0, 0xffff0000, v6
	buffer_store_dword v0, off, s[36:39], 0 offset:116 ; 4-byte Folded Spill
	;; [unrolled: 4-line block ×3, first 2 shown]
	v_lshlrev_b32_e32 v0, 16, v8
	buffer_store_dword v0, off, s[36:39], 0 offset:128 ; 4-byte Folded Spill
	v_and_b32_e32 v0, 0xffff0000, v8
	ds_read2_b64 v[5:8], v4 offset0:8 offset1:9
	buffer_store_dword v0, off, s[36:39], 0 offset:132 ; 4-byte Folded Spill
	v_cmp_neq_f32_e64 s[2:3], s26, 0
	v_mov_b32_e32 v59, 0xff7fffff
	s_movk_i32 s34, 0x1000
	s_waitcnt lgkmcnt(0)
	v_lshlrev_b32_e32 v0, 16, v5
	buffer_store_dword v0, off, s[36:39], 0 offset:136 ; 4-byte Folded Spill
	v_and_b32_e32 v0, 0xffff0000, v5
	buffer_store_dword v0, off, s[36:39], 0 offset:140 ; 4-byte Folded Spill
	v_lshlrev_b32_e32 v0, 16, v6
	buffer_store_dword v0, off, s[36:39], 0 offset:144 ; 4-byte Folded Spill
	v_and_b32_e32 v0, 0xffff0000, v6
	buffer_store_dword v0, off, s[36:39], 0 offset:148 ; 4-byte Folded Spill
	v_lshlrev_b32_e32 v0, 16, v7
	buffer_store_dword v0, off, s[36:39], 0 offset:152 ; 4-byte Folded Spill
	v_and_b32_e32 v0, 0xffff0000, v7
	v_lshlrev_b32_e32 v33, 16, v8
	v_and_b32_e32 v34, 0xffff0000, v8
	ds_read2_b64 v[5:8], v4 offset0:10 offset1:11
	buffer_store_dword v0, off, s[36:39], 0 offset:156 ; 4-byte Folded Spill
	v_mbcnt_hi_u32_b32 v0, -1, v3
	v_xor_b32_e32 v3, 1, v0
	v_mov_b32_e32 v39, v62
	s_waitcnt lgkmcnt(0)
	v_lshlrev_b32_e32 v35, 16, v5
	v_and_b32_e32 v36, 0xffff0000, v5
	v_lshlrev_b32_e32 v37, 16, v6
	v_and_b32_e32 v38, 0xffff0000, v6
	;; [unrolled: 2-line block ×4, first 2 shown]
	ds_read2_b64 v[5:8], v4 offset0:12 offset1:13
	buffer_store_dword v63, off, s[36:39], 0 offset:160 ; 4-byte Folded Spill
	buffer_store_dword v12, off, s[36:39], 0 offset:164 ; 4-byte Folded Spill
	;; [unrolled: 1-line block ×4, first 2 shown]
	s_waitcnt lgkmcnt(0)
	v_lshlrev_b32_e32 v44, 16, v5
	v_and_b32_e32 v45, 0xffff0000, v5
	v_and_b32_e32 v5, 64, v0
	buffer_store_dword v5, off, s[36:39], 0 offset:176 ; 4-byte Folded Spill
	v_add_u32_e32 v5, 64, v5
	v_cmp_lt_i32_e32 vcc, v3, v5
	v_cndmask_b32_e32 v3, v0, v3, vcc
	v_lshlrev_b32_e32 v49, 2, v3
	v_cmp_eq_u32_e32 vcc, 0, v2
	ds_read_b64 v[2:3], v4 offset:112
	v_lshlrev_b32_e32 v46, 16, v6
	v_and_b32_e32 v48, 0xffff0000, v6
	v_lshlrev_b32_e32 v50, 16, v7
	v_and_b32_e32 v52, 0xffff0000, v7
	s_waitcnt lgkmcnt(0)
	v_lshlrev_b32_e32 v55, 16, v2
	v_and_b32_e32 v56, 0xffff0000, v2
	v_mov_b32_e32 v2, s28
	v_lshlrev_b32_e32 v53, 16, v8
	v_and_b32_e32 v54, 0xffff0000, v8
	v_lshlrev_b32_e32 v57, 16, v3
	v_and_b32_e32 v58, 0xffff0000, v3
	v_addc_co_u32_e64 v2, s[4:5], 0, v2, s[4:5]
	s_mov_b64 s[28:29], 0
	buffer_store_dword v5, off, s[36:39], 0 offset:180 ; 4-byte Folded Spill
	s_branch .LBB158_9
.LBB158_8:                              ;   in Loop: Header=BB158_9 Depth=1
	s_or_b64 exec, exec, s[30:31]
	v_add_u32_e32 v39, 2, v39
	v_cmp_le_i32_e64 s[4:5], s17, v39
	s_or_b64 s[28:29], s[4:5], s[28:29]
	v_add_co_u32_e64 v1, s[4:5], 8, v1
	v_add_u32_e32 v60, 64, v60
	v_add_u32_e32 v61, 0x100, v61
	v_addc_co_u32_e64 v2, s[4:5], 0, v2, s[4:5]
	s_andn2_b64 exec, exec, s[28:29]
	s_cbranch_execz .LBB158_11
.LBB158_9:                              ; =>This Inner Loop Header: Depth=1
	global_load_dword v3, v[1:2], off
	buffer_load_dword v0, off, s[36:39], 0  ; 4-byte Folded Reload
	s_waitcnt vmcnt(1) lgkmcnt(0)
	v_mad_i64_i32 v[3:4], s[4:5], v3, s12, 0
	v_lshlrev_b64 v[3:4], 1, v[3:4]
	s_waitcnt vmcnt(0)
	v_add_co_u32_e64 v3, s[4:5], v0, v3
	buffer_load_dword v0, off, s[36:39], 0 offset:4 ; 4-byte Folded Reload
	s_waitcnt vmcnt(0)
	v_addc_co_u32_e64 v4, s[4:5], v0, v4, s[4:5]
	global_load_dwordx2 v[27:28], v[3:4], off
	global_load_dwordx2 v[29:30], v[3:4], off offset:512
	global_load_dwordx2 v[31:32], v[3:4], off offset:1024
	;; [unrolled: 1-line block ×7, first 2 shown]
	v_add_co_u32_e64 v3, s[4:5], s34, v3
	v_addc_co_u32_e64 v4, s[4:5], 0, v4, s[4:5]
	global_load_dwordx2 v[15:16], v[3:4], off
	global_load_dwordx2 v[13:14], v[3:4], off offset:512
	global_load_dwordx2 v[11:12], v[3:4], off offset:1024
	global_load_dwordx2 v[9:10], v[3:4], off offset:1536
	global_load_dwordx2 v[7:8], v[3:4], off offset:2048
	global_load_dwordx2 v[5:6], v[3:4], off offset:2560
	s_nop 0
	global_load_dwordx2 v[3:4], v[3:4], off offset:3072
	s_waitcnt vmcnt(14)
	v_lshlrev_b32_e32 v0, 16, v28
	buffer_load_dword v63, off, s[36:39], 0 offset:24 ; 4-byte Folded Reload
	v_and_b32_e32 v51, 0xffff0000, v28
	s_waitcnt vmcnt(14)
	v_lshlrev_b32_e32 v28, 16, v29
	v_lshlrev_b32_e32 v47, 16, v27
	v_and_b32_e32 v29, 0xffff0000, v29
	v_and_b32_e32 v27, 0xffff0000, v27
	s_waitcnt vmcnt(0)
	v_mul_f32_e32 v63, v63, v28
	buffer_load_dword v28, off, s[36:39], 0 offset:8 ; 4-byte Folded Reload
	s_waitcnt vmcnt(0)
	v_fmac_f32_e32 v63, v28, v47
	buffer_load_dword v28, off, s[36:39], 0 offset:28 ; 4-byte Folded Reload
	s_waitcnt vmcnt(0)
	v_mul_f32_e32 v28, v28, v29
	buffer_load_dword v29, off, s[36:39], 0 offset:12 ; 4-byte Folded Reload
	s_waitcnt vmcnt(0)
	v_fmac_f32_e32 v28, v29, v27
	v_lshlrev_b32_e32 v27, 16, v30
	v_and_b32_e32 v29, 0xffff0000, v30
	buffer_load_dword v30, off, s[36:39], 0 offset:32 ; 4-byte Folded Reload
	s_waitcnt vmcnt(0)
	v_mul_f32_e32 v27, v30, v27
	buffer_load_dword v30, off, s[36:39], 0 offset:16 ; 4-byte Folded Reload
	s_waitcnt vmcnt(0)
	v_fmac_f32_e32 v27, v30, v0
	buffer_load_dword v0, off, s[36:39], 0 offset:36 ; 4-byte Folded Reload
	buffer_load_dword v30, off, s[36:39], 0 offset:40 ; 4-byte Folded Reload
	s_waitcnt vmcnt(1)
	v_mul_f32_e32 v47, v0, v29
	buffer_load_dword v0, off, s[36:39], 0 offset:20 ; 4-byte Folded Reload
	v_and_b32_e32 v29, 0xffff0000, v31
	s_waitcnt vmcnt(0)
	v_fmac_f32_e32 v47, v0, v51
	v_lshlrev_b32_e32 v0, 16, v31
	v_fmac_f32_e32 v63, v30, v0
	buffer_load_dword v0, off, s[36:39], 0 offset:44 ; 4-byte Folded Reload
	buffer_load_dword v30, off, s[36:39], 0 offset:48 ; 4-byte Folded Reload
	s_waitcnt vmcnt(1)
	v_fmac_f32_e32 v28, v0, v29
	v_lshlrev_b32_e32 v0, 16, v32
	s_waitcnt vmcnt(0)
	v_fmac_f32_e32 v27, v30, v0
	buffer_load_dword v0, off, s[36:39], 0 offset:52 ; 4-byte Folded Reload
	v_and_b32_e32 v29, 0xffff0000, v32
	s_waitcnt vmcnt(0)
	v_fmac_f32_e32 v47, v0, v29
	buffer_load_dword v29, off, s[36:39], 0 offset:56 ; 4-byte Folded Reload
	v_lshlrev_b32_e32 v0, 16, v25
	v_and_b32_e32 v25, 0xffff0000, v25
	s_waitcnt vmcnt(0)
	v_fmac_f32_e32 v63, v29, v0
	buffer_load_dword v0, off, s[36:39], 0 offset:60 ; 4-byte Folded Reload
	s_waitcnt vmcnt(0)
	v_fmac_f32_e32 v28, v0, v25
	v_lshlrev_b32_e32 v0, 16, v26
	v_and_b32_e32 v25, 0xffff0000, v26
	buffer_load_dword v26, off, s[36:39], 0 offset:64 ; 4-byte Folded Reload
	s_waitcnt vmcnt(0)
	v_fmac_f32_e32 v27, v26, v0
	buffer_load_dword v0, off, s[36:39], 0 offset:68 ; 4-byte Folded Reload
	s_waitcnt vmcnt(0)
	v_fmac_f32_e32 v47, v0, v25
	buffer_load_dword v25, off, s[36:39], 0 offset:72 ; 4-byte Folded Reload
	v_lshlrev_b32_e32 v0, 16, v23
	v_and_b32_e32 v23, 0xffff0000, v23
	s_waitcnt vmcnt(0)
	v_fmac_f32_e32 v63, v25, v0
	buffer_load_dword v0, off, s[36:39], 0 offset:76 ; 4-byte Folded Reload
	s_waitcnt vmcnt(0)
	v_fmac_f32_e32 v28, v0, v23
	v_lshlrev_b32_e32 v0, 16, v24
	v_and_b32_e32 v23, 0xffff0000, v24
	buffer_load_dword v24, off, s[36:39], 0 offset:80 ; 4-byte Folded Reload
	s_waitcnt vmcnt(0)
	v_fmac_f32_e32 v27, v24, v0
	buffer_load_dword v0, off, s[36:39], 0 offset:84 ; 4-byte Folded Reload
	;; [unrolled: 16-line block ×6, first 2 shown]
	s_waitcnt vmcnt(0)
	v_fmac_f32_e32 v47, v0, v15
	buffer_load_dword v15, off, s[36:39], 0 offset:152 ; 4-byte Folded Reload
	v_lshlrev_b32_e32 v0, 16, v13
	v_and_b32_e32 v13, 0xffff0000, v13
	s_waitcnt vmcnt(0)
	v_fmac_f32_e32 v63, v15, v0
	buffer_load_dword v0, off, s[36:39], 0 offset:156 ; 4-byte Folded Reload
	s_waitcnt vmcnt(0)
	v_fmac_f32_e32 v28, v0, v13
	v_lshlrev_b32_e32 v0, 16, v14
	v_fmac_f32_e32 v27, v33, v0
	v_lshlrev_b32_e32 v0, 16, v11
	;; [unrolled: 2-line block ×5, first 2 shown]
	v_and_b32_e32 v13, 0xffff0000, v14
	v_and_b32_e32 v11, 0xffff0000, v11
	v_fmac_f32_e32 v27, v42, v0
	v_lshlrev_b32_e32 v0, 16, v7
	v_fmac_f32_e32 v47, v34, v13
	v_fmac_f32_e32 v28, v36, v11
	v_and_b32_e32 v11, 0xffff0000, v12
	v_and_b32_e32 v9, 0xffff0000, v9
	v_fmac_f32_e32 v63, v44, v0
	v_lshlrev_b32_e32 v0, 16, v8
	v_fmac_f32_e32 v47, v38, v11
	v_fmac_f32_e32 v28, v41, v9
	;; [unrolled: 6-line block ×4, first 2 shown]
	v_and_b32_e32 v5, 0xffff0000, v6
	v_fmac_f32_e32 v27, v53, v0
	v_lshlrev_b32_e32 v0, 16, v3
	v_and_b32_e32 v3, 0xffff0000, v3
	v_fmac_f32_e32 v47, v54, v5
	v_fmac_f32_e32 v63, v55, v0
	;; [unrolled: 1-line block ×3, first 2 shown]
	v_lshlrev_b32_e32 v5, 16, v4
	v_and_b32_e32 v3, 0xffff0000, v4
	v_fmac_f32_e32 v27, v57, v5
	v_add_f32_e32 v0, v63, v28
	v_fmac_f32_e32 v47, v58, v3
	v_add_f32_e32 v0, v0, v27
	v_add_f32_e32 v3, v47, v0
	ds_bpermute_b32 v4, v49, v3
	s_and_saveexec_b64 s[30:31], vcc
	s_cbranch_execz .LBB158_8
; %bb.10:                               ;   in Loop: Header=BB158_9 Depth=1
	v_add_u32_e32 v0, s15, v60
	v_cvt_f32_i32_e32 v0, v0
	s_waitcnt lgkmcnt(0)
	v_add_f32_e32 v3, v3, v4
	v_max_f32_e32 v4, v59, v59
	v_cmp_gt_i32_e64 s[4:5], s33, v60
	v_mul_f32_e32 v0, s26, v0
	v_cndmask_b32_e64 v0, 0, v0, s[2:3]
	v_fmac_f32_e32 v0, s27, v3
	v_cndmask_b32_e64 v3, 0, v0, s[4:5]
	v_max_f32_e32 v0, v4, v0
	v_cndmask_b32_e64 v59, v59, v0, s[4:5]
	ds_write_b32 v61, v3
	s_branch .LBB158_8
.LBB158_11:
	s_or_b64 exec, exec, s[28:29]
	buffer_load_dword v63, off, s[36:39], 0 offset:160 ; 4-byte Folded Reload
	buffer_load_dword v12, off, s[36:39], 0 offset:164 ; 4-byte Folded Reload
	;; [unrolled: 1-line block ×6, first 2 shown]
.LBB158_12:
	s_or_b64 exec, exec, s[6:7]
	s_waitcnt vmcnt(2)
	v_xor_b32_e32 v0, 32, v14
	s_waitcnt vmcnt(0)
	v_cmp_lt_i32_e32 vcc, v0, v10
	v_cndmask_b32_e32 v0, v14, v0, vcc
	v_lshlrev_b32_e32 v1, 2, v0
	ds_bpermute_b32 v0, v1, v59
	v_xor_b32_e32 v3, 16, v14
	v_max_f32_e32 v2, v59, v59
	v_cmp_lt_i32_e32 vcc, v3, v10
	s_waitcnt lgkmcnt(0)
	v_xor_b32_e32 v4, 8, v14
	v_max_f32_e32 v0, v0, v0
	v_max_f32_e32 v0, v2, v0
	v_cndmask_b32_e32 v2, v14, v3, vcc
	v_lshlrev_b32_e32 v2, 2, v2
	ds_bpermute_b32 v3, v2, v0
	v_cmp_lt_i32_e32 vcc, v4, v10
	v_xor_b32_e32 v5, 4, v14
	v_xor_b32_e32 v7, 2, v14
	s_waitcnt lgkmcnt(0)
	v_max_f32_e32 v3, v3, v3
	v_max_f32_e32 v0, v0, v3
	v_cndmask_b32_e32 v3, v14, v4, vcc
	v_lshlrev_b32_e32 v3, 2, v3
	ds_bpermute_b32 v4, v3, v0
	v_cmp_lt_i32_e32 vcc, v5, v10
	s_waitcnt lgkmcnt(0)
	v_max_f32_e32 v4, v4, v4
	v_max_f32_e32 v0, v0, v4
	v_cndmask_b32_e32 v4, v14, v5, vcc
	v_lshlrev_b32_e32 v4, 2, v4
	ds_bpermute_b32 v5, v4, v0
	v_cmp_lt_i32_e32 vcc, v7, v10
	s_waitcnt lgkmcnt(0)
	v_max_f32_e32 v5, v5, v5
	v_max_f32_e32 v6, v0, v5
	v_cndmask_b32_e32 v0, v14, v7, vcc
	v_lshlrev_b32_e32 v40, 2, v0
	ds_bpermute_b32 v7, v40, v6
	v_and_b32_e32 v0, 63, v63
	v_cmp_eq_u32_e32 vcc, 0, v0
	v_lshlrev_b32_e32 v5, 2, v62
	s_and_saveexec_b64 s[2:3], vcc
	s_cbranch_execz .LBB158_14
; %bb.13:
	s_waitcnt lgkmcnt(0)
	v_max_f32_e32 v7, v7, v7
	v_max_f32_e32 v6, v6, v6
	;; [unrolled: 1-line block ×3, first 2 shown]
	ds_write_b32 v5, v6 offset:240
.LBB158_14:
	s_or_b64 exec, exec, s[2:3]
	v_cmp_gt_u32_e64 s[2:3], 2, v0
	s_waitcnt lgkmcnt(0)
	v_mov_b32_e32 v7, 0xff7fffff
	v_lshlrev_b32_e32 v6, 2, v0
	s_barrier
	s_and_saveexec_b64 s[4:5], s[2:3]
; %bb.15:
	ds_read_b32 v7, v6 offset:240
; %bb.16:
	s_or_b64 exec, exec, s[4:5]
	v_xor_b32_e32 v8, 1, v14
	v_cmp_lt_i32_e64 s[4:5], v8, v10
	v_cndmask_b32_e64 v8, v14, v8, s[4:5]
	v_lshlrev_b32_e32 v41, 2, v8
	s_waitcnt lgkmcnt(0)
	ds_bpermute_b32 v8, v41, v7
	v_max_f32_e32 v7, v7, v7
	s_lshl_b32 s4, s17, 5
	s_min_i32 s12, s4, s33
	v_cmp_gt_i32_e64 s[4:5], s12, v63
	s_waitcnt lgkmcnt(0)
	v_max_f32_e32 v8, v8, v8
	v_max_f32_e32 v7, v7, v8
	v_lshlrev_b32_e32 v8, 2, v9
	ds_bpermute_b32 v8, v8, v7
	v_mov_b32_e32 v7, 0
	s_and_saveexec_b64 s[26:27], s[4:5]
	s_cbranch_execz .LBB158_20
; %bb.17:
	v_mov_b32_e32 v7, 0x100
	v_lshl_add_u32 v9, v63, 2, v7
	v_mov_b32_e32 v7, 0
	s_mov_b64 s[28:29], 0
	v_mov_b32_e32 v10, v63
.LBB158_18:                             ; =>This Inner Loop Header: Depth=1
	ds_read_b32 v11, v9
	v_add_u32_e32 v10, 0x80, v10
	v_cmp_le_i32_e64 s[6:7], s12, v10
	s_or_b64 s[28:29], s[6:7], s[28:29]
	s_waitcnt lgkmcnt(0)
	v_sub_f32_e32 v11, v11, v8
	v_mul_f32_e32 v11, 0x3fb8aa3b, v11
	v_exp_f32_e32 v11, v11
	ds_write_b32 v9, v11
	v_add_f32_e32 v7, v7, v11
	v_add_u32_e32 v9, 0x200, v9
	s_andn2_b64 exec, exec, s[28:29]
	s_cbranch_execnz .LBB158_18
; %bb.19:
	s_or_b64 exec, exec, s[28:29]
.LBB158_20:
	s_or_b64 exec, exec, s[26:27]
	ds_bpermute_b32 v1, v1, v7
	s_waitcnt lgkmcnt(0)
	v_add_f32_e32 v1, v7, v1
	ds_bpermute_b32 v2, v2, v1
	s_waitcnt lgkmcnt(0)
	v_add_f32_e32 v1, v1, v2
	;; [unrolled: 3-line block ×6, first 2 shown]
	s_and_saveexec_b64 s[6:7], vcc
; %bb.21:
	ds_write_b32 v5, v1 offset:248
; %bb.22:
	s_or_b64 exec, exec, s[6:7]
	s_waitcnt lgkmcnt(0)
	s_barrier
	s_and_saveexec_b64 s[6:7], s[2:3]
; %bb.23:
	ds_read_b32 v1, v6 offset:248
; %bb.24:
	s_or_b64 exec, exec, s[6:7]
	s_waitcnt lgkmcnt(0)
	ds_bpermute_b32 v2, v41, v1
	v_lshlrev_b32_e32 v3, 2, v14
	s_waitcnt lgkmcnt(0)
	v_add_f32_e32 v1, v1, v2
	v_and_b32_e32 v2, 0xffffff00, v3
	ds_bpermute_b32 v1, v2, v1
	s_and_saveexec_b64 s[2:3], s[4:5]
	s_cbranch_execz .LBB158_27
; %bb.25:
	s_waitcnt lgkmcnt(0)
	v_add_f32_e32 v2, 0x358637bd, v1
	v_div_scale_f32 v1, s[4:5], v2, v2, 1.0
	v_div_scale_f32 v3, vcc, 1.0, v2, 1.0
	s_mov_b64 s[4:5], 0
	v_rcp_f32_e32 v4, v1
	v_fma_f32 v5, -v1, v4, 1.0
	v_fmac_f32_e32 v4, v5, v4
	v_mul_f32_e32 v5, v3, v4
	v_fma_f32 v6, -v1, v5, v3
	v_fmac_f32_e32 v5, v6, v4
	v_fma_f32 v1, -v1, v5, v3
	v_div_fmas_f32 v3, v1, v4, v5
	v_mov_b32_e32 v1, 0x100
	v_lshl_add_u32 v1, v63, 2, v1
	v_div_fixup_f32 v2, v3, v2, 1.0
	v_mov_b32_e32 v3, v63
.LBB158_26:                             ; =>This Inner Loop Header: Depth=1
	ds_read_b32 v4, v1
	v_add_u32_e32 v3, 0x80, v3
	v_cmp_le_i32_e32 vcc, s12, v3
	s_or_b64 s[4:5], vcc, s[4:5]
	s_waitcnt lgkmcnt(0)
	v_mul_f32_e32 v4, v2, v4
	ds_write_b32 v1, v4
	v_add_u32_e32 v1, 0x200, v1
	s_andn2_b64 exec, exec, s[4:5]
	s_cbranch_execnz .LBB158_26
.LBB158_27:
	s_or_b64 exec, exec, s[2:3]
	v_lshrrev_b32_e32 v42, 2, v0
	s_waitcnt lgkmcnt(0)
	s_barrier
	s_and_saveexec_b64 s[2:3], s[0:1]
	s_xor_b64 s[0:1], exec, s[2:3]
; %bb.28:
	v_lshrrev_b32_e32 v42, 2, v0
                                        ; implicit-def: $vgpr62
                                        ; implicit-def: $vgpr12
                                        ; implicit-def: $vgpr13
; %bb.29:
	s_or_saveexec_b64 s[6:7], s[0:1]
	v_mov_b32_e32 v50, 0
	v_and_b32_e32 v43, 3, v63
	v_mov_b32_e32 v51, 0
	v_mov_b32_e32 v49, 0
	;; [unrolled: 1-line block ×7, first 2 shown]
	s_xor_b64 exec, exec, s[6:7]
	s_cbranch_execz .LBB158_51
; %bb.30:
	s_ashr_i32 s15, s14, 31
	s_lshl_b64 s[0:1], s[14:15], 1
	v_and_b32_e32 v0, 24, v12
	s_add_u32 s24, s24, s0
	v_or_b32_e32 v2, 0x70, v42
	s_movk_i32 s0, 0x78
	s_addc_u32 s4, s25, s1
	s_add_i32 s25, s17, -1
	v_lshl_or_b32 v1, v42, 5, v0
	v_cmp_gt_u32_e64 s[0:1], s0, v2
	v_lshl_or_b32 v2, v2, 5, v0
	v_lshl_or_b32 v53, v62, 5, v0
	v_lshlrev_b32_e32 v0, 5, v43
	s_lshl_b64 s[2:3], s[22:23], 2
	v_lshl_or_b32 v0, v62, 7, v0
	s_add_u32 s2, s20, s2
	v_add_u32_e32 v54, 0x100, v0
	v_and_b32_e32 v0, 60, v13
	s_addc_u32 s3, s21, s3
	v_mov_b32_e32 v3, s3
	v_add_co_u32_e32 v37, vcc, s2, v0
	s_mov_b32 s26, s13
	v_mov_b32_e32 v52, 0
	s_mov_b32 s27, s33
	v_addc_co_u32_e32 v38, vcc, 0, v3, vcc
	s_mov_b64 s[12:13], 0
	v_mov_b32_e32 v55, s4
	v_lshlrev_b32_e32 v56, 1, v1
	s_mov_b32 s20, 0x5040100
	s_movk_i32 s21, 0x7fff
	s_mov_b32 s22, 0x7060302
	v_lshlrev_b32_e32 v57, 1, v2
	v_mov_b32_e32 v45, 0
	v_mov_b32_e32 v44, 0
	v_mov_b32_e32 v46, 0
	v_mov_b32_e32 v47, 0
	v_mov_b32_e32 v48, 0
	v_mov_b32_e32 v49, 0
	v_mov_b32_e32 v51, 0
	v_mov_b32_e32 v50, 0
	s_branch .LBB158_33
.LBB158_31:                             ;   in Loop: Header=BB158_33 Depth=1
	s_or_b64 exec, exec, s[14:15]
	s_waitcnt vmcnt(0)
	v_lshlrev_b32_e32 v0, 16, v21
	v_lshlrev_b32_e32 v39, 16, v32
	v_mul_f32_e32 v0, v39, v0
	v_bfe_u32 v39, v0, 16, 1
	v_add3_u32 v39, v39, v0, s21
	v_or_b32_e32 v58, 0x400000, v0
	v_cmp_u_f32_e32 vcc, v0, v0
	v_cndmask_b32_e32 v0, v39, v58, vcc
	v_and_b32_e32 v21, 0xffff0000, v21
	v_and_b32_e32 v39, 0xffff0000, v32
	v_mul_f32_e32 v21, v39, v21
	v_bfe_u32 v39, v21, 16, 1
	v_add3_u32 v39, v39, v21, s21
	v_or_b32_e32 v58, 0x400000, v21
	v_cmp_u_f32_e32 vcc, v21, v21
	v_cndmask_b32_e32 v21, v39, v58, vcc
	v_lshlrev_b32_e32 v39, 16, v22
	v_lshlrev_b32_e32 v58, 16, v30
	v_mul_f32_e32 v39, v58, v39
	v_bfe_u32 v58, v39, 16, 1
	v_add3_u32 v58, v58, v39, s21
	v_or_b32_e32 v59, 0x400000, v39
	v_cmp_u_f32_e32 vcc, v39, v39
	v_cndmask_b32_e32 v39, v58, v59, vcc
	v_and_b32_e32 v22, 0xffff0000, v22
	v_and_b32_e32 v58, 0xffff0000, v30
	v_mul_f32_e32 v22, v58, v22
	v_bfe_u32 v58, v22, 16, 1
	v_add3_u32 v58, v58, v22, s21
	v_or_b32_e32 v59, 0x400000, v22
	v_cmp_u_f32_e32 vcc, v22, v22
	v_cndmask_b32_e32 v22, v58, v59, vcc
	;; [unrolled: 16-line block ×3, first 2 shown]
	v_lshlrev_b32_e32 v59, 16, v24
	v_lshlrev_b32_e32 v60, 16, v31
	v_mul_f32_e32 v59, v60, v59
	v_bfe_u32 v60, v59, 16, 1
	v_add3_u32 v60, v60, v59, s21
	v_or_b32_e32 v61, 0x400000, v59
	v_cmp_u_f32_e32 vcc, v59, v59
	v_cndmask_b32_e32 v59, v60, v61, vcc
	v_and_b32_e32 v24, 0xffff0000, v24
	v_and_b32_e32 v60, 0xffff0000, v31
	;; [unrolled: 1-line block ×4, first 2 shown]
	v_mul_f32_e32 v24, v60, v24
	v_add_f32_e32 v0, v0, v21
	v_and_b32_e32 v21, 0xffff0000, v22
	v_and_b32_e32 v22, 0xffff0000, v39
	v_bfe_u32 v60, v24, 16, 1
	v_add_f32_e32 v21, v22, v21
	v_add3_u32 v60, v60, v24, s21
	v_or_b32_e32 v61, 0x400000, v24
	v_cmp_u_f32_e32 vcc, v24, v24
	v_add_f32_e32 v0, v21, v0
	v_and_b32_e32 v21, 0xffff0000, v23
	v_and_b32_e32 v22, 0xffff0000, v58
	v_cndmask_b32_e32 v24, v60, v61, vcc
	v_add_f32_e32 v21, v22, v21
	v_add_f32_e32 v0, v21, v0
	v_and_b32_e32 v21, 0xffff0000, v24
	v_and_b32_e32 v22, 0xffff0000, v59
	v_add_f32_e32 v21, v22, v21
	v_add_f32_e32 v0, v21, v0
	;; [unrolled: 1-line block ×3, first 2 shown]
.LBB158_32:                             ;   in Loop: Header=BB158_33 Depth=1
	s_or_b64 exec, exec, s[4:5]
	s_waitcnt vmcnt(0)
	v_and_b32_e32 v21, 0xffff0000, v33
	v_and_b32_e32 v0, 0xffff0000, v32
	v_mul_f32_e32 v21, v0, v21
	v_bfe_u32 v22, v21, 16, 1
	v_add3_u32 v22, v22, v21, s21
	v_or_b32_e32 v23, 0x400000, v21
	v_cmp_u_f32_e32 vcc, v21, v21
	v_cndmask_b32_e32 v39, v22, v23, vcc
	v_lshlrev_b32_e32 v22, 16, v33
	v_lshlrev_b32_e32 v21, 16, v32
	v_mul_f32_e32 v22, v21, v22
	v_bfe_u32 v23, v22, 16, 1
	v_add3_u32 v23, v23, v22, s21
	v_or_b32_e32 v24, 0x400000, v22
	v_cmp_u_f32_e32 vcc, v22, v22
	v_cndmask_b32_e32 v32, v23, v24, vcc
	v_and_b32_e32 v23, 0xffff0000, v34
	v_and_b32_e32 v22, 0xffff0000, v30
	v_mul_f32_e32 v23, v22, v23
	v_bfe_u32 v24, v23, 16, 1
	v_add3_u32 v24, v24, v23, s21
	v_or_b32_e32 v33, 0x400000, v23
	v_cmp_u_f32_e32 vcc, v23, v23
	v_cndmask_b32_e32 v33, v24, v33, vcc
	v_lshlrev_b32_e32 v24, 16, v34
	v_lshlrev_b32_e32 v23, 16, v30
	v_mul_f32_e32 v24, v23, v24
	v_bfe_u32 v30, v24, 16, 1
	v_add3_u32 v30, v30, v24, s21
	v_or_b32_e32 v34, 0x400000, v24
	v_cmp_u_f32_e32 vcc, v24, v24
	v_cndmask_b32_e32 v34, v30, v34, vcc
	v_and_b32_e32 v30, 0xffff0000, v35
	v_and_b32_e32 v24, 0xffff0000, v29
	v_mul_f32_e32 v30, v24, v30
	v_bfe_u32 v58, v30, 16, 1
	v_add3_u32 v58, v58, v30, s21
	v_or_b32_e32 v59, 0x400000, v30
	v_cmp_u_f32_e32 vcc, v30, v30
	v_lshlrev_b32_e32 v30, 16, v35
	v_lshlrev_b32_e32 v29, 16, v29
	v_mul_f32_e32 v30, v29, v30
	v_bfe_u32 v35, v30, 16, 1
	v_cndmask_b32_e32 v58, v58, v59, vcc
	v_add3_u32 v35, v35, v30, s21
	v_or_b32_e32 v59, 0x400000, v30
	v_cmp_u_f32_e32 vcc, v30, v30
	v_cndmask_b32_e32 v35, v35, v59, vcc
	v_and_b32_e32 v59, 0xffff0000, v36
	v_and_b32_e32 v30, 0xffff0000, v31
	v_mul_f32_e32 v59, v30, v59
	v_bfe_u32 v60, v59, 16, 1
	v_lshlrev_b32_e32 v36, 16, v36
	v_lshlrev_b32_e32 v31, 16, v31
	v_add3_u32 v60, v60, v59, s21
	v_or_b32_e32 v61, 0x400000, v59
	v_cmp_u_f32_e32 vcc, v59, v59
	v_mul_f32_e32 v36, v31, v36
	v_and_b32_e32 v32, 0xffff0000, v32
	v_and_b32_e32 v39, 0xffff0000, v39
	;; [unrolled: 1-line block ×4, first 2 shown]
	v_cndmask_b32_e32 v59, v60, v61, vcc
	v_bfe_u32 v60, v36, 16, 1
	v_add_f32_e32 v32, v32, v39
	v_add_f32_e32 v33, v34, v33
	v_add3_u32 v60, v60, v36, s21
	v_or_b32_e32 v61, 0x400000, v36
	v_cmp_u_f32_e32 vcc, v36, v36
	v_add_f32_e32 v32, v33, v32
	v_and_b32_e32 v33, 0xffff0000, v35
	v_and_b32_e32 v34, 0xffff0000, v58
	v_cndmask_b32_e32 v36, v60, v61, vcc
	v_add_f32_e32 v33, v33, v34
	v_add_f32_e32 v32, v33, v32
	v_and_b32_e32 v33, 0xffff0000, v36
	v_and_b32_e32 v34, 0xffff0000, v59
	v_add_f32_e32 v33, v33, v34
	v_add_f32_e32 v32, v33, v32
	v_add_f32_e32 v44, v44, v32
	v_and_b32_e32 v32, 0xffff0000, v25
	v_mul_f32_e32 v32, v0, v32
	v_bfe_u32 v33, v32, 16, 1
	v_lshlrev_b32_e32 v25, 16, v25
	v_add3_u32 v33, v33, v32, s21
	v_or_b32_e32 v34, 0x400000, v32
	v_cmp_u_f32_e32 vcc, v32, v32
	v_mul_f32_e32 v25, v21, v25
	v_cndmask_b32_e32 v32, v33, v34, vcc
	v_bfe_u32 v33, v25, 16, 1
	v_add3_u32 v33, v33, v25, s21
	v_or_b32_e32 v34, 0x400000, v25
	v_cmp_u_f32_e32 vcc, v25, v25
	v_cndmask_b32_e32 v25, v33, v34, vcc
	v_and_b32_e32 v33, 0xffff0000, v26
	v_mul_f32_e32 v33, v22, v33
	v_bfe_u32 v34, v33, 16, 1
	v_lshlrev_b32_e32 v26, 16, v26
	v_add3_u32 v34, v34, v33, s21
	v_or_b32_e32 v35, 0x400000, v33
	v_cmp_u_f32_e32 vcc, v33, v33
	v_mul_f32_e32 v26, v23, v26
	v_cndmask_b32_e32 v33, v34, v35, vcc
	v_bfe_u32 v34, v26, 16, 1
	v_add3_u32 v34, v34, v26, s21
	v_or_b32_e32 v35, 0x400000, v26
	v_cmp_u_f32_e32 vcc, v26, v26
	v_cndmask_b32_e32 v26, v34, v35, vcc
	v_and_b32_e32 v34, 0xffff0000, v27
	v_mul_f32_e32 v34, v24, v34
	v_bfe_u32 v35, v34, 16, 1
	v_lshlrev_b32_e32 v27, 16, v27
	v_add3_u32 v35, v35, v34, s21
	v_or_b32_e32 v36, 0x400000, v34
	v_cmp_u_f32_e32 vcc, v34, v34
	v_mul_f32_e32 v27, v29, v27
	v_cndmask_b32_e32 v34, v35, v36, vcc
	v_bfe_u32 v35, v27, 16, 1
	v_add3_u32 v35, v35, v27, s21
	v_or_b32_e32 v36, 0x400000, v27
	v_cmp_u_f32_e32 vcc, v27, v27
	v_cndmask_b32_e32 v27, v35, v36, vcc
	v_and_b32_e32 v35, 0xffff0000, v28
	v_mul_f32_e32 v35, v30, v35
	v_bfe_u32 v36, v35, 16, 1
	v_lshlrev_b32_e32 v28, 16, v28
	v_and_b32_e32 v25, 0xffff0000, v25
	v_and_b32_e32 v32, 0xffff0000, v32
	v_add3_u32 v36, v36, v35, s21
	v_or_b32_e32 v39, 0x400000, v35
	v_cmp_u_f32_e32 vcc, v35, v35
	v_mul_f32_e32 v28, v31, v28
	v_add_f32_e32 v25, v25, v32
	v_and_b32_e32 v26, 0xffff0000, v26
	v_and_b32_e32 v32, 0xffff0000, v33
	v_cndmask_b32_e32 v35, v36, v39, vcc
	v_bfe_u32 v36, v28, 16, 1
	v_add_f32_e32 v26, v26, v32
	v_add3_u32 v36, v36, v28, s21
	v_or_b32_e32 v39, 0x400000, v28
	v_cmp_u_f32_e32 vcc, v28, v28
	v_add_f32_e32 v25, v26, v25
	v_and_b32_e32 v26, 0xffff0000, v27
	v_and_b32_e32 v27, 0xffff0000, v34
	v_cndmask_b32_e32 v28, v36, v39, vcc
	v_add_f32_e32 v26, v26, v27
	v_add_f32_e32 v25, v26, v25
	v_and_b32_e32 v26, 0xffff0000, v28
	v_and_b32_e32 v27, 0xffff0000, v35
	v_add_f32_e32 v26, v26, v27
	v_add_f32_e32 v25, v26, v25
	;; [unrolled: 1-line block ×3, first 2 shown]
	v_and_b32_e32 v25, 0xffff0000, v17
	v_mul_f32_e32 v25, v0, v25
	v_bfe_u32 v26, v25, 16, 1
	v_lshlrev_b32_e32 v17, 16, v17
	v_add3_u32 v26, v26, v25, s21
	v_or_b32_e32 v27, 0x400000, v25
	v_cmp_u_f32_e32 vcc, v25, v25
	v_mul_f32_e32 v17, v21, v17
	v_cndmask_b32_e32 v25, v26, v27, vcc
	v_bfe_u32 v26, v17, 16, 1
	v_add3_u32 v26, v26, v17, s21
	v_or_b32_e32 v27, 0x400000, v17
	v_cmp_u_f32_e32 vcc, v17, v17
	v_cndmask_b32_e32 v17, v26, v27, vcc
	v_and_b32_e32 v26, 0xffff0000, v18
	v_mul_f32_e32 v26, v22, v26
	v_bfe_u32 v27, v26, 16, 1
	v_lshlrev_b32_e32 v18, 16, v18
	v_add3_u32 v27, v27, v26, s21
	v_or_b32_e32 v28, 0x400000, v26
	v_cmp_u_f32_e32 vcc, v26, v26
	v_mul_f32_e32 v18, v23, v18
	v_cndmask_b32_e32 v26, v27, v28, vcc
	v_bfe_u32 v27, v18, 16, 1
	v_add3_u32 v27, v27, v18, s21
	v_or_b32_e32 v28, 0x400000, v18
	v_cmp_u_f32_e32 vcc, v18, v18
	v_cndmask_b32_e32 v18, v27, v28, vcc
	;; [unrolled: 14-line block ×3, first 2 shown]
	v_and_b32_e32 v28, 0xffff0000, v20
	v_mul_f32_e32 v28, v30, v28
	v_bfe_u32 v32, v28, 16, 1
	v_lshlrev_b32_e32 v20, 16, v20
	v_and_b32_e32 v17, 0xffff0000, v17
	v_and_b32_e32 v25, 0xffff0000, v25
	v_add3_u32 v32, v32, v28, s21
	v_or_b32_e32 v33, 0x400000, v28
	v_cmp_u_f32_e32 vcc, v28, v28
	v_mul_f32_e32 v20, v31, v20
	v_add_f32_e32 v17, v17, v25
	v_and_b32_e32 v18, 0xffff0000, v18
	v_and_b32_e32 v25, 0xffff0000, v26
	v_cndmask_b32_e32 v28, v32, v33, vcc
	v_bfe_u32 v32, v20, 16, 1
	v_add_f32_e32 v18, v18, v25
	v_add3_u32 v32, v32, v20, s21
	v_or_b32_e32 v33, 0x400000, v20
	v_cmp_u_f32_e32 vcc, v20, v20
	v_add_f32_e32 v17, v18, v17
	v_and_b32_e32 v18, 0xffff0000, v19
	v_and_b32_e32 v19, 0xffff0000, v27
	v_cndmask_b32_e32 v20, v32, v33, vcc
	v_add_f32_e32 v18, v18, v19
	v_add_f32_e32 v17, v18, v17
	v_and_b32_e32 v18, 0xffff0000, v20
	v_and_b32_e32 v19, 0xffff0000, v28
	v_add_f32_e32 v18, v18, v19
	v_add_f32_e32 v17, v18, v17
	;; [unrolled: 1-line block ×3, first 2 shown]
	v_and_b32_e32 v17, 0xffff0000, v13
	v_mul_f32_e32 v17, v0, v17
	v_bfe_u32 v18, v17, 16, 1
	v_lshlrev_b32_e32 v13, 16, v13
	v_add3_u32 v18, v18, v17, s21
	v_or_b32_e32 v19, 0x400000, v17
	v_cmp_u_f32_e32 vcc, v17, v17
	v_mul_f32_e32 v13, v21, v13
	v_cndmask_b32_e32 v17, v18, v19, vcc
	v_bfe_u32 v18, v13, 16, 1
	v_add3_u32 v18, v18, v13, s21
	v_or_b32_e32 v19, 0x400000, v13
	v_cmp_u_f32_e32 vcc, v13, v13
	v_cndmask_b32_e32 v13, v18, v19, vcc
	v_and_b32_e32 v18, 0xffff0000, v14
	v_mul_f32_e32 v18, v22, v18
	v_bfe_u32 v19, v18, 16, 1
	v_lshlrev_b32_e32 v14, 16, v14
	v_add3_u32 v19, v19, v18, s21
	v_or_b32_e32 v20, 0x400000, v18
	v_cmp_u_f32_e32 vcc, v18, v18
	v_mul_f32_e32 v14, v23, v14
	v_cndmask_b32_e32 v18, v19, v20, vcc
	v_bfe_u32 v19, v14, 16, 1
	v_add3_u32 v19, v19, v14, s21
	v_or_b32_e32 v20, 0x400000, v14
	v_cmp_u_f32_e32 vcc, v14, v14
	v_cndmask_b32_e32 v14, v19, v20, vcc
	;; [unrolled: 14-line block ×3, first 2 shown]
	v_and_b32_e32 v20, 0xffff0000, v16
	v_mul_f32_e32 v20, v30, v20
	v_bfe_u32 v25, v20, 16, 1
	v_lshlrev_b32_e32 v16, 16, v16
	v_and_b32_e32 v13, 0xffff0000, v13
	v_and_b32_e32 v17, 0xffff0000, v17
	v_add3_u32 v25, v25, v20, s21
	v_or_b32_e32 v26, 0x400000, v20
	v_cmp_u_f32_e32 vcc, v20, v20
	v_mul_f32_e32 v16, v31, v16
	v_add_f32_e32 v13, v13, v17
	v_and_b32_e32 v14, 0xffff0000, v14
	v_and_b32_e32 v17, 0xffff0000, v18
	v_cndmask_b32_e32 v20, v25, v26, vcc
	v_bfe_u32 v25, v16, 16, 1
	v_add_f32_e32 v14, v14, v17
	v_add3_u32 v25, v25, v16, s21
	v_or_b32_e32 v26, 0x400000, v16
	v_cmp_u_f32_e32 vcc, v16, v16
	v_add_f32_e32 v13, v14, v13
	v_and_b32_e32 v14, 0xffff0000, v15
	v_and_b32_e32 v15, 0xffff0000, v19
	v_cndmask_b32_e32 v16, v25, v26, vcc
	v_add_f32_e32 v14, v14, v15
	v_add_f32_e32 v13, v14, v13
	v_and_b32_e32 v14, 0xffff0000, v16
	v_and_b32_e32 v15, 0xffff0000, v20
	v_add_f32_e32 v14, v14, v15
	v_add_f32_e32 v13, v14, v13
	v_add_f32_e32 v48, v48, v13
	v_and_b32_e32 v13, 0xffff0000, v9
	v_mul_f32_e32 v13, v0, v13
	v_bfe_u32 v14, v13, 16, 1
	v_lshlrev_b32_e32 v9, 16, v9
	v_add3_u32 v14, v14, v13, s21
	v_or_b32_e32 v15, 0x400000, v13
	v_cmp_u_f32_e32 vcc, v13, v13
	v_mul_f32_e32 v9, v21, v9
	v_cndmask_b32_e32 v13, v14, v15, vcc
	v_bfe_u32 v14, v9, 16, 1
	v_add3_u32 v14, v14, v9, s21
	v_or_b32_e32 v15, 0x400000, v9
	v_cmp_u_f32_e32 vcc, v9, v9
	v_cndmask_b32_e32 v9, v14, v15, vcc
	v_and_b32_e32 v14, 0xffff0000, v10
	v_mul_f32_e32 v14, v22, v14
	v_bfe_u32 v15, v14, 16, 1
	v_lshlrev_b32_e32 v10, 16, v10
	v_add3_u32 v15, v15, v14, s21
	v_or_b32_e32 v16, 0x400000, v14
	v_cmp_u_f32_e32 vcc, v14, v14
	v_mul_f32_e32 v10, v23, v10
	v_cndmask_b32_e32 v14, v15, v16, vcc
	v_bfe_u32 v15, v10, 16, 1
	v_add3_u32 v15, v15, v10, s21
	v_or_b32_e32 v16, 0x400000, v10
	v_cmp_u_f32_e32 vcc, v10, v10
	v_cndmask_b32_e32 v10, v15, v16, vcc
	;; [unrolled: 14-line block ×3, first 2 shown]
	v_and_b32_e32 v16, 0xffff0000, v12
	v_mul_f32_e32 v16, v30, v16
	v_bfe_u32 v17, v16, 16, 1
	v_lshlrev_b32_e32 v12, 16, v12
	v_and_b32_e32 v9, 0xffff0000, v9
	v_and_b32_e32 v13, 0xffff0000, v13
	v_add3_u32 v17, v17, v16, s21
	v_or_b32_e32 v18, 0x400000, v16
	v_cmp_u_f32_e32 vcc, v16, v16
	v_mul_f32_e32 v12, v31, v12
	v_add_f32_e32 v9, v9, v13
	v_and_b32_e32 v10, 0xffff0000, v10
	v_and_b32_e32 v13, 0xffff0000, v14
	v_cndmask_b32_e32 v16, v17, v18, vcc
	v_bfe_u32 v17, v12, 16, 1
	v_add_f32_e32 v10, v10, v13
	v_add3_u32 v17, v17, v12, s21
	v_or_b32_e32 v18, 0x400000, v12
	v_cmp_u_f32_e32 vcc, v12, v12
	v_add_f32_e32 v9, v10, v9
	v_and_b32_e32 v10, 0xffff0000, v11
	v_and_b32_e32 v11, 0xffff0000, v15
	v_cndmask_b32_e32 v12, v17, v18, vcc
	v_add_f32_e32 v10, v10, v11
	v_add_f32_e32 v9, v10, v9
	v_and_b32_e32 v10, 0xffff0000, v12
	v_and_b32_e32 v11, 0xffff0000, v16
	v_add_f32_e32 v10, v10, v11
	v_add_f32_e32 v9, v10, v9
	;; [unrolled: 1-line block ×3, first 2 shown]
	v_and_b32_e32 v9, 0xffff0000, v5
	v_mul_f32_e32 v9, v0, v9
	v_bfe_u32 v10, v9, 16, 1
	v_lshlrev_b32_e32 v5, 16, v5
	v_add3_u32 v10, v10, v9, s21
	v_or_b32_e32 v11, 0x400000, v9
	v_cmp_u_f32_e32 vcc, v9, v9
	v_mul_f32_e32 v5, v21, v5
	v_cndmask_b32_e32 v9, v10, v11, vcc
	v_bfe_u32 v10, v5, 16, 1
	v_add3_u32 v10, v10, v5, s21
	v_or_b32_e32 v11, 0x400000, v5
	v_cmp_u_f32_e32 vcc, v5, v5
	v_cndmask_b32_e32 v5, v10, v11, vcc
	v_and_b32_e32 v10, 0xffff0000, v6
	v_mul_f32_e32 v10, v22, v10
	v_bfe_u32 v11, v10, 16, 1
	v_lshlrev_b32_e32 v6, 16, v6
	v_add3_u32 v11, v11, v10, s21
	v_or_b32_e32 v12, 0x400000, v10
	v_cmp_u_f32_e32 vcc, v10, v10
	v_mul_f32_e32 v6, v23, v6
	v_cndmask_b32_e32 v10, v11, v12, vcc
	v_bfe_u32 v11, v6, 16, 1
	v_add3_u32 v11, v11, v6, s21
	v_or_b32_e32 v12, 0x400000, v6
	v_cmp_u_f32_e32 vcc, v6, v6
	v_cndmask_b32_e32 v6, v11, v12, vcc
	;; [unrolled: 14-line block ×3, first 2 shown]
	v_and_b32_e32 v12, 0xffff0000, v8
	v_mul_f32_e32 v12, v30, v12
	v_bfe_u32 v13, v12, 16, 1
	v_lshlrev_b32_e32 v8, 16, v8
	v_and_b32_e32 v5, 0xffff0000, v5
	v_and_b32_e32 v9, 0xffff0000, v9
	v_add3_u32 v13, v13, v12, s21
	v_or_b32_e32 v14, 0x400000, v12
	v_cmp_u_f32_e32 vcc, v12, v12
	v_mul_f32_e32 v8, v31, v8
	v_add_f32_e32 v5, v5, v9
	v_and_b32_e32 v6, 0xffff0000, v6
	v_and_b32_e32 v9, 0xffff0000, v10
	v_cndmask_b32_e32 v12, v13, v14, vcc
	v_bfe_u32 v13, v8, 16, 1
	v_add_f32_e32 v6, v6, v9
	v_add3_u32 v13, v13, v8, s21
	v_or_b32_e32 v14, 0x400000, v8
	v_cmp_u_f32_e32 vcc, v8, v8
	v_add_f32_e32 v5, v6, v5
	v_and_b32_e32 v6, 0xffff0000, v7
	v_and_b32_e32 v7, 0xffff0000, v11
	v_cndmask_b32_e32 v8, v13, v14, vcc
	v_add_f32_e32 v6, v6, v7
	v_add_f32_e32 v5, v6, v5
	v_and_b32_e32 v6, 0xffff0000, v8
	v_and_b32_e32 v7, 0xffff0000, v12
	v_add_f32_e32 v6, v6, v7
	v_add_f32_e32 v5, v6, v5
	;; [unrolled: 1-line block ×3, first 2 shown]
	v_and_b32_e32 v5, 0xffff0000, v1
	v_mul_f32_e32 v0, v0, v5
	v_bfe_u32 v5, v0, 16, 1
	v_lshlrev_b32_e32 v1, 16, v1
	v_add3_u32 v5, v5, v0, s21
	v_or_b32_e32 v6, 0x400000, v0
	v_cmp_u_f32_e32 vcc, v0, v0
	v_mul_f32_e32 v1, v21, v1
	v_cndmask_b32_e32 v0, v5, v6, vcc
	v_bfe_u32 v5, v1, 16, 1
	v_add3_u32 v5, v5, v1, s21
	v_or_b32_e32 v6, 0x400000, v1
	v_cmp_u_f32_e32 vcc, v1, v1
	v_cndmask_b32_e32 v1, v5, v6, vcc
	v_and_b32_e32 v5, 0xffff0000, v2
	v_mul_f32_e32 v5, v22, v5
	v_bfe_u32 v6, v5, 16, 1
	v_lshlrev_b32_e32 v2, 16, v2
	v_add3_u32 v6, v6, v5, s21
	v_or_b32_e32 v7, 0x400000, v5
	v_cmp_u_f32_e32 vcc, v5, v5
	v_mul_f32_e32 v2, v23, v2
	v_cndmask_b32_e32 v5, v6, v7, vcc
	v_bfe_u32 v6, v2, 16, 1
	v_add3_u32 v6, v6, v2, s21
	v_or_b32_e32 v7, 0x400000, v2
	v_cmp_u_f32_e32 vcc, v2, v2
	v_cndmask_b32_e32 v2, v6, v7, vcc
	;; [unrolled: 14-line block ×3, first 2 shown]
	v_and_b32_e32 v7, 0xffff0000, v4
	v_mul_f32_e32 v7, v30, v7
	v_bfe_u32 v8, v7, 16, 1
	v_lshlrev_b32_e32 v4, 16, v4
	v_and_b32_e32 v1, 0xffff0000, v1
	v_and_b32_e32 v0, 0xffff0000, v0
	v_add3_u32 v8, v8, v7, s21
	v_or_b32_e32 v9, 0x400000, v7
	v_cmp_u_f32_e32 vcc, v7, v7
	v_mul_f32_e32 v4, v31, v4
	v_add_f32_e32 v0, v1, v0
	v_and_b32_e32 v1, 0xffff0000, v2
	v_and_b32_e32 v2, 0xffff0000, v5
	v_cndmask_b32_e32 v7, v8, v9, vcc
	v_bfe_u32 v8, v4, 16, 1
	v_add_f32_e32 v1, v1, v2
	v_add3_u32 v8, v8, v4, s21
	v_or_b32_e32 v9, 0x400000, v4
	v_cmp_u_f32_e32 vcc, v4, v4
	v_add_f32_e32 v0, v1, v0
	v_and_b32_e32 v1, 0xffff0000, v3
	v_and_b32_e32 v2, 0xffff0000, v6
	v_cndmask_b32_e32 v4, v8, v9, vcc
	v_add_f32_e32 v1, v1, v2
	v_add_f32_e32 v0, v1, v0
	v_and_b32_e32 v1, 0xffff0000, v4
	v_and_b32_e32 v2, 0xffff0000, v7
	v_add_u32_e32 v62, 2, v62
	v_add_f32_e32 v1, v1, v2
	v_cmp_le_i32_e32 vcc, s17, v62
	v_add_f32_e32 v0, v1, v0
	s_or_b64 s[12:13], vcc, s[12:13]
	v_add_co_u32_e32 v37, vcc, 8, v37
	v_add_f32_e32 v50, v50, v0
	v_add_u32_e32 v53, 64, v53
	v_add_u32_e32 v54, 0x100, v54
	v_addc_co_u32_e32 v38, vcc, 0, v38, vcc
	s_andn2_b64 exec, exec, s[12:13]
	s_cbranch_execz .LBB158_50
.LBB158_33:                             ; =>This Inner Loop Header: Depth=1
	global_load_dword v0, v[37:38], off
	s_waitcnt vmcnt(0)
	v_mad_i64_i32 v[0:1], s[2:3], v0, s26, 0
	v_cmp_eq_u32_e64 s[2:3], s25, v62
	v_lshlrev_b64 v[0:1], 1, v[0:1]
	v_add_co_u32_e32 v0, vcc, s24, v0
	v_addc_co_u32_e32 v39, vcc, v55, v1, vcc
	v_add_co_u32_e32 v33, vcc, v0, v56
	v_addc_co_u32_e32 v34, vcc, 0, v39, vcc
	global_load_dwordx4 v[1:4], v[33:34], off
	ds_read2_b64 v[29:32], v54 offset1:1
	ds_read2_b64 v[21:24], v54 offset0:2 offset1:3
	s_and_saveexec_b64 s[14:15], s[2:3]
	s_cbranch_execnz .LBB158_47
; %bb.34:                               ;   in Loop: Header=BB158_33 Depth=1
	s_or_b64 exec, exec, s[14:15]
	global_load_dwordx4 v[5:8], v[33:34], off offset:1024
	s_and_saveexec_b64 s[14:15], s[2:3]
	s_cbranch_execnz .LBB158_48
.LBB158_35:                             ;   in Loop: Header=BB158_33 Depth=1
	s_or_b64 exec, exec, s[14:15]
	global_load_dwordx4 v[9:12], v[33:34], off offset:2048
	s_and_saveexec_b64 s[14:15], s[2:3]
	s_cbranch_execnz .LBB158_49
.LBB158_36:                             ;   in Loop: Header=BB158_33 Depth=1
	s_or_b64 exec, exec, s[14:15]
	global_load_dwordx4 v[13:16], v[33:34], off offset:3072
	s_and_saveexec_b64 s[14:15], s[2:3]
	s_cbranch_execz .LBB158_38
.LBB158_37:                             ;   in Loop: Header=BB158_33 Depth=1
	v_add_u32_e32 v17, 1, v53
	v_cmp_gt_i32_e32 vcc, s27, v17
	s_waitcnt vmcnt(0)
	v_cndmask_b32_sdwa v17, v52, v13, vcc dst_sel:DWORD dst_unused:UNUSED_PAD src0_sel:DWORD src1_sel:WORD_1
	v_cmp_gt_i32_e32 vcc, s33, v53
	v_cndmask_b32_e32 v13, 0, v13, vcc
	v_perm_b32 v13, v17, v13, s20
	v_or_b32_e32 v17, 3, v53
	v_or_b32_e32 v18, 2, v53
	v_cmp_gt_i32_e32 vcc, s27, v17
	v_cmp_gt_i32_e64 s[4:5], s33, v18
	v_cndmask_b32_e64 v17, 0, v14, s[4:5]
	v_cndmask_b32_sdwa v14, v52, v14, vcc dst_sel:DWORD dst_unused:UNUSED_PAD src0_sel:DWORD src1_sel:WORD_1
	v_perm_b32 v14, v14, v17, s20
	v_or_b32_e32 v17, 5, v53
	v_or_b32_e32 v18, 4, v53
	v_cmp_gt_i32_e32 vcc, s27, v17
	v_cmp_gt_i32_e64 s[4:5], s33, v18
	v_cndmask_b32_e64 v17, 0, v15, s[4:5]
	v_cndmask_b32_sdwa v15, v52, v15, vcc dst_sel:DWORD dst_unused:UNUSED_PAD src0_sel:DWORD src1_sel:WORD_1
	;; [unrolled: 7-line block ×3, first 2 shown]
	v_perm_b32 v16, v16, v17, s20
.LBB158_38:                             ;   in Loop: Header=BB158_33 Depth=1
	s_or_b64 exec, exec, s[14:15]
	v_add_co_u32_e32 v17, vcc, 0x1000, v33
	v_addc_co_u32_e32 v18, vcc, 0, v34, vcc
	global_load_dwordx4 v[17:20], v[17:18], off
	s_and_saveexec_b64 s[14:15], s[2:3]
	s_cbranch_execz .LBB158_40
; %bb.39:                               ;   in Loop: Header=BB158_33 Depth=1
	v_add_u32_e32 v25, 1, v53
	v_cmp_gt_i32_e32 vcc, s27, v25
	s_waitcnt vmcnt(0)
	v_cndmask_b32_sdwa v25, v52, v17, vcc dst_sel:DWORD dst_unused:UNUSED_PAD src0_sel:DWORD src1_sel:WORD_1
	v_cmp_gt_i32_e32 vcc, s33, v53
	v_cndmask_b32_e32 v17, 0, v17, vcc
	v_perm_b32 v17, v25, v17, s20
	v_or_b32_e32 v25, 3, v53
	v_or_b32_e32 v26, 2, v53
	v_cmp_gt_i32_e32 vcc, s27, v25
	v_cmp_gt_i32_e64 s[4:5], s33, v26
	v_cndmask_b32_e64 v25, 0, v18, s[4:5]
	v_cndmask_b32_sdwa v18, v52, v18, vcc dst_sel:DWORD dst_unused:UNUSED_PAD src0_sel:DWORD src1_sel:WORD_1
	v_perm_b32 v18, v18, v25, s20
	v_or_b32_e32 v25, 5, v53
	v_or_b32_e32 v26, 4, v53
	v_cmp_gt_i32_e32 vcc, s27, v25
	v_cmp_gt_i32_e64 s[4:5], s33, v26
	v_cndmask_b32_e64 v25, 0, v19, s[4:5]
	v_cndmask_b32_sdwa v19, v52, v19, vcc dst_sel:DWORD dst_unused:UNUSED_PAD src0_sel:DWORD src1_sel:WORD_1
	;; [unrolled: 7-line block ×3, first 2 shown]
	v_perm_b32 v20, v20, v25, s20
.LBB158_40:                             ;   in Loop: Header=BB158_33 Depth=1
	s_or_b64 exec, exec, s[14:15]
	v_add_co_u32_e32 v25, vcc, 0x1000, v33
	v_addc_co_u32_e32 v26, vcc, 0, v34, vcc
	global_load_dwordx4 v[25:28], v[25:26], off offset:1024
	s_and_saveexec_b64 s[14:15], s[2:3]
	s_cbranch_execz .LBB158_42
; %bb.41:                               ;   in Loop: Header=BB158_33 Depth=1
	v_add_u32_e32 v35, 1, v53
	v_cmp_gt_i32_e32 vcc, s27, v35
	s_waitcnt vmcnt(0)
	v_cndmask_b32_sdwa v35, v52, v25, vcc dst_sel:DWORD dst_unused:UNUSED_PAD src0_sel:DWORD src1_sel:WORD_1
	v_cmp_gt_i32_e32 vcc, s33, v53
	v_cndmask_b32_e32 v25, 0, v25, vcc
	v_perm_b32 v25, v35, v25, s20
	v_or_b32_e32 v35, 3, v53
	v_or_b32_e32 v36, 2, v53
	v_cmp_gt_i32_e32 vcc, s27, v35
	v_cmp_gt_i32_e64 s[4:5], s33, v36
	v_cndmask_b32_e64 v35, 0, v26, s[4:5]
	v_cndmask_b32_sdwa v26, v52, v26, vcc dst_sel:DWORD dst_unused:UNUSED_PAD src0_sel:DWORD src1_sel:WORD_1
	v_perm_b32 v26, v26, v35, s20
	v_or_b32_e32 v35, 5, v53
	v_or_b32_e32 v36, 4, v53
	v_cmp_gt_i32_e32 vcc, s27, v35
	v_cmp_gt_i32_e64 s[4:5], s33, v36
	v_cndmask_b32_e64 v35, 0, v27, s[4:5]
	v_cndmask_b32_sdwa v27, v52, v27, vcc dst_sel:DWORD dst_unused:UNUSED_PAD src0_sel:DWORD src1_sel:WORD_1
	;; [unrolled: 7-line block ×3, first 2 shown]
	v_perm_b32 v28, v28, v35, s20
.LBB158_42:                             ;   in Loop: Header=BB158_33 Depth=1
	s_or_b64 exec, exec, s[14:15]
	v_add_co_u32_e32 v33, vcc, 0x1000, v33
	v_addc_co_u32_e32 v34, vcc, 0, v34, vcc
	global_load_dwordx4 v[33:36], v[33:34], off offset:2048
	s_and_saveexec_b64 s[14:15], s[2:3]
	s_cbranch_execz .LBB158_44
; %bb.43:                               ;   in Loop: Header=BB158_33 Depth=1
	v_add_u32_e32 v58, 1, v53
	v_cmp_gt_i32_e32 vcc, s27, v58
	s_waitcnt vmcnt(0)
	v_cndmask_b32_sdwa v58, v52, v33, vcc dst_sel:DWORD dst_unused:UNUSED_PAD src0_sel:DWORD src1_sel:WORD_1
	v_cmp_gt_i32_e32 vcc, s33, v53
	v_cndmask_b32_e32 v33, 0, v33, vcc
	v_perm_b32 v33, v58, v33, s20
	v_or_b32_e32 v58, 3, v53
	v_or_b32_e32 v59, 2, v53
	v_cmp_gt_i32_e32 vcc, s27, v58
	v_cmp_gt_i32_e64 s[4:5], s33, v59
	v_cndmask_b32_e64 v58, 0, v34, s[4:5]
	v_cndmask_b32_sdwa v34, v52, v34, vcc dst_sel:DWORD dst_unused:UNUSED_PAD src0_sel:DWORD src1_sel:WORD_1
	v_perm_b32 v34, v34, v58, s20
	v_or_b32_e32 v58, 5, v53
	v_or_b32_e32 v59, 4, v53
	v_cmp_gt_i32_e32 vcc, s27, v58
	v_cmp_gt_i32_e64 s[4:5], s33, v59
	v_cndmask_b32_e64 v58, 0, v35, s[4:5]
	v_cndmask_b32_sdwa v35, v52, v35, vcc dst_sel:DWORD dst_unused:UNUSED_PAD src0_sel:DWORD src1_sel:WORD_1
	;; [unrolled: 7-line block ×3, first 2 shown]
	v_perm_b32 v36, v36, v58, s20
.LBB158_44:                             ;   in Loop: Header=BB158_33 Depth=1
	s_or_b64 exec, exec, s[14:15]
	s_waitcnt lgkmcnt(1)
	v_bfe_u32 v58, v29, 16, 1
	v_add3_u32 v58, v58, v29, s21
	v_or_b32_e32 v59, 0x400000, v29
	v_cmp_u_f32_e32 vcc, v29, v29
	v_cndmask_b32_e32 v29, v58, v59, vcc
	v_bfe_u32 v58, v30, 16, 1
	v_add3_u32 v58, v58, v30, s21
	v_or_b32_e32 v59, 0x400000, v30
	v_cmp_u_f32_e32 vcc, v30, v30
	v_cndmask_b32_e32 v30, v58, v59, vcc
	;; [unrolled: 5-line block ×3, first 2 shown]
	v_bfe_u32 v58, v32, 16, 1
	v_add3_u32 v58, v58, v32, s21
	v_or_b32_e32 v59, 0x400000, v32
	v_cmp_u_f32_e32 vcc, v32, v32
	s_waitcnt lgkmcnt(0)
	v_bfe_u32 v32, v21, 16, 1
	v_cndmask_b32_e32 v58, v58, v59, vcc
	v_add3_u32 v32, v32, v21, s21
	v_or_b32_e32 v59, 0x400000, v21
	v_cmp_u_f32_e32 vcc, v21, v21
	v_cndmask_b32_e32 v21, v32, v59, vcc
	v_bfe_u32 v32, v22, 16, 1
	v_add3_u32 v32, v32, v22, s21
	v_or_b32_e32 v59, 0x400000, v22
	v_cmp_u_f32_e32 vcc, v22, v22
	v_cndmask_b32_e32 v22, v32, v59, vcc
	v_bfe_u32 v32, v23, 16, 1
	;; [unrolled: 5-line block ×3, first 2 shown]
	v_add3_u32 v32, v32, v24, s21
	v_or_b32_e32 v59, 0x400000, v24
	v_cmp_u_f32_e32 vcc, v24, v24
	v_cndmask_b32_e32 v24, v32, v59, vcc
	v_perm_b32 v32, v30, v29, s22
	v_perm_b32 v30, v58, v31, s22
	;; [unrolled: 1-line block ×4, first 2 shown]
	s_and_saveexec_b64 s[4:5], s[0:1]
	s_cbranch_execz .LBB158_32
; %bb.45:                               ;   in Loop: Header=BB158_33 Depth=1
	v_add_co_u32_e32 v21, vcc, v0, v57
	v_addc_co_u32_e32 v22, vcc, 0, v39, vcc
	global_load_dwordx4 v[21:24], v[21:22], off
	s_and_saveexec_b64 s[14:15], s[2:3]
	s_cbranch_execz .LBB158_31
; %bb.46:                               ;   in Loop: Header=BB158_33 Depth=1
	v_add_u32_e32 v0, 1, v53
	v_cmp_gt_i32_e32 vcc, s27, v0
	s_waitcnt vmcnt(0)
	v_cndmask_b32_sdwa v0, v52, v21, vcc dst_sel:DWORD dst_unused:UNUSED_PAD src0_sel:DWORD src1_sel:WORD_1
	v_cmp_gt_i32_e32 vcc, s33, v53
	v_cndmask_b32_e32 v21, 0, v21, vcc
	v_perm_b32 v21, v0, v21, s20
	v_or_b32_e32 v0, 3, v53
	v_or_b32_e32 v39, 2, v53
	v_cmp_gt_i32_e32 vcc, s27, v0
	v_cmp_gt_i32_e64 s[2:3], s33, v39
	v_cndmask_b32_e64 v0, 0, v22, s[2:3]
	v_cndmask_b32_sdwa v22, v52, v22, vcc dst_sel:DWORD dst_unused:UNUSED_PAD src0_sel:DWORD src1_sel:WORD_1
	v_perm_b32 v22, v22, v0, s20
	v_or_b32_e32 v0, 5, v53
	v_or_b32_e32 v39, 4, v53
	v_cmp_gt_i32_e32 vcc, s27, v0
	v_cmp_gt_i32_e64 s[2:3], s33, v39
	v_cndmask_b32_e64 v0, 0, v23, s[2:3]
	v_cndmask_b32_sdwa v23, v52, v23, vcc dst_sel:DWORD dst_unused:UNUSED_PAD src0_sel:DWORD src1_sel:WORD_1
	;; [unrolled: 7-line block ×3, first 2 shown]
	v_perm_b32 v24, v24, v0, s20
	s_branch .LBB158_31
.LBB158_47:                             ;   in Loop: Header=BB158_33 Depth=1
	v_add_u32_e32 v5, 1, v53
	v_cmp_gt_i32_e32 vcc, s27, v5
	s_waitcnt vmcnt(0)
	v_cndmask_b32_sdwa v5, v52, v1, vcc dst_sel:DWORD dst_unused:UNUSED_PAD src0_sel:DWORD src1_sel:WORD_1
	v_cmp_gt_i32_e32 vcc, s33, v53
	v_cndmask_b32_e32 v1, 0, v1, vcc
	v_perm_b32 v1, v5, v1, s20
	v_or_b32_e32 v5, 3, v53
	v_or_b32_e32 v6, 2, v53
	v_cmp_gt_i32_e32 vcc, s27, v5
	v_cmp_gt_i32_e64 s[4:5], s33, v6
	v_cndmask_b32_e64 v5, 0, v2, s[4:5]
	v_cndmask_b32_sdwa v2, v52, v2, vcc dst_sel:DWORD dst_unused:UNUSED_PAD src0_sel:DWORD src1_sel:WORD_1
	v_perm_b32 v2, v2, v5, s20
	v_or_b32_e32 v5, 5, v53
	v_or_b32_e32 v6, 4, v53
	v_cmp_gt_i32_e32 vcc, s27, v5
	v_cmp_gt_i32_e64 s[4:5], s33, v6
	v_cndmask_b32_e64 v5, 0, v3, s[4:5]
	v_cndmask_b32_sdwa v3, v52, v3, vcc dst_sel:DWORD dst_unused:UNUSED_PAD src0_sel:DWORD src1_sel:WORD_1
	;; [unrolled: 7-line block ×3, first 2 shown]
	v_perm_b32 v4, v4, v5, s20
	s_or_b64 exec, exec, s[14:15]
	global_load_dwordx4 v[5:8], v[33:34], off offset:1024
	s_and_saveexec_b64 s[14:15], s[2:3]
	s_cbranch_execz .LBB158_35
.LBB158_48:                             ;   in Loop: Header=BB158_33 Depth=1
	v_add_u32_e32 v9, 1, v53
	v_cmp_gt_i32_e32 vcc, s27, v9
	s_waitcnt vmcnt(0)
	v_cndmask_b32_sdwa v9, v52, v5, vcc dst_sel:DWORD dst_unused:UNUSED_PAD src0_sel:DWORD src1_sel:WORD_1
	v_cmp_gt_i32_e32 vcc, s33, v53
	v_cndmask_b32_e32 v5, 0, v5, vcc
	v_perm_b32 v5, v9, v5, s20
	v_or_b32_e32 v9, 3, v53
	v_or_b32_e32 v10, 2, v53
	v_cmp_gt_i32_e32 vcc, s27, v9
	v_cmp_gt_i32_e64 s[4:5], s33, v10
	v_cndmask_b32_e64 v9, 0, v6, s[4:5]
	v_cndmask_b32_sdwa v6, v52, v6, vcc dst_sel:DWORD dst_unused:UNUSED_PAD src0_sel:DWORD src1_sel:WORD_1
	v_perm_b32 v6, v6, v9, s20
	v_or_b32_e32 v9, 5, v53
	v_or_b32_e32 v10, 4, v53
	v_cmp_gt_i32_e32 vcc, s27, v9
	v_cmp_gt_i32_e64 s[4:5], s33, v10
	v_cndmask_b32_e64 v9, 0, v7, s[4:5]
	v_cndmask_b32_sdwa v7, v52, v7, vcc dst_sel:DWORD dst_unused:UNUSED_PAD src0_sel:DWORD src1_sel:WORD_1
	;; [unrolled: 7-line block ×3, first 2 shown]
	v_perm_b32 v8, v8, v9, s20
	s_or_b64 exec, exec, s[14:15]
	global_load_dwordx4 v[9:12], v[33:34], off offset:2048
	s_and_saveexec_b64 s[14:15], s[2:3]
	s_cbranch_execz .LBB158_36
.LBB158_49:                             ;   in Loop: Header=BB158_33 Depth=1
	v_add_u32_e32 v13, 1, v53
	v_cmp_gt_i32_e32 vcc, s27, v13
	s_waitcnt vmcnt(0)
	v_cndmask_b32_sdwa v13, v52, v9, vcc dst_sel:DWORD dst_unused:UNUSED_PAD src0_sel:DWORD src1_sel:WORD_1
	v_cmp_gt_i32_e32 vcc, s33, v53
	v_cndmask_b32_e32 v9, 0, v9, vcc
	v_perm_b32 v9, v13, v9, s20
	v_or_b32_e32 v13, 3, v53
	v_or_b32_e32 v14, 2, v53
	v_cmp_gt_i32_e32 vcc, s27, v13
	v_cmp_gt_i32_e64 s[4:5], s33, v14
	v_cndmask_b32_e64 v13, 0, v10, s[4:5]
	v_cndmask_b32_sdwa v10, v52, v10, vcc dst_sel:DWORD dst_unused:UNUSED_PAD src0_sel:DWORD src1_sel:WORD_1
	v_perm_b32 v10, v10, v13, s20
	v_or_b32_e32 v13, 5, v53
	v_or_b32_e32 v14, 4, v53
	v_cmp_gt_i32_e32 vcc, s27, v13
	v_cmp_gt_i32_e64 s[4:5], s33, v14
	v_cndmask_b32_e64 v13, 0, v11, s[4:5]
	v_cndmask_b32_sdwa v11, v52, v11, vcc dst_sel:DWORD dst_unused:UNUSED_PAD src0_sel:DWORD src1_sel:WORD_1
	;; [unrolled: 7-line block ×3, first 2 shown]
	v_perm_b32 v12, v12, v13, s20
	s_or_b64 exec, exec, s[14:15]
	global_load_dwordx4 v[13:16], v[33:34], off offset:3072
	s_and_saveexec_b64 s[14:15], s[2:3]
	s_cbranch_execnz .LBB158_37
	s_branch .LBB158_38
.LBB158_50:
	s_or_b64 exec, exec, s[12:13]
.LBB158_51:
	s_or_b64 exec, exec, s[6:7]
	ds_bpermute_b32 v1, v40, v51
	ds_bpermute_b32 v0, v40, v50
	;; [unrolled: 1-line block ×4, first 2 shown]
	v_cmp_eq_u32_e32 vcc, 0, v43
	s_waitcnt lgkmcnt(3)
	v_add_f32_e32 v1, v51, v1
	s_waitcnt lgkmcnt(2)
	v_add_f32_e32 v0, v50, v0
	ds_bpermute_b32 v4, v41, v1
	ds_bpermute_b32 v3, v41, v0
	s_waitcnt lgkmcnt(3)
	v_add_f32_e32 v2, v49, v2
	ds_bpermute_b32 v5, v41, v2
	s_waitcnt lgkmcnt(0)
	v_add_f32_e32 v7, v1, v4
	ds_bpermute_b32 v4, v40, v44
	v_add_f32_e32 v8, v0, v3
	ds_bpermute_b32 v0, v40, v47
	;; [unrolled: 2-line block ×3, first 2 shown]
	ds_bpermute_b32 v6, v40, v45
	s_waitcnt lgkmcnt(3)
	v_add_f32_e32 v4, v44, v4
	v_add_f32_e32 v5, v2, v5
	ds_bpermute_b32 v2, v41, v1
	s_waitcnt lgkmcnt(3)
	v_add_f32_e32 v0, v47, v0
	s_waitcnt lgkmcnt(2)
	v_add_f32_e32 v10, v46, v3
	ds_bpermute_b32 v12, v41, v4
	s_waitcnt lgkmcnt(2)
	v_add_f32_e32 v13, v45, v6
	ds_bpermute_b32 v9, v41, v0
	ds_bpermute_b32 v11, v41, v10
	;; [unrolled: 1-line block ×3, first 2 shown]
	s_waitcnt lgkmcnt(4)
	v_add_f32_e32 v6, v1, v2
	s_waitcnt lgkmcnt(3)
	v_add_f32_e32 v1, v4, v12
	v_and_b32_e32 v4, 0x3c0, v63
	s_waitcnt lgkmcnt(2)
	v_add_f32_e32 v3, v0, v9
	s_waitcnt lgkmcnt(1)
	v_add_f32_e32 v2, v10, v11
	;; [unrolled: 2-line block ×3, first 2 shown]
	v_cmp_eq_u32_e64 s[0:1], 64, v4
	s_barrier
	s_and_saveexec_b64 s[2:3], s[0:1]
	s_cbranch_execz .LBB158_56
; %bb.52:
	s_and_saveexec_b64 s[0:1], vcc
	s_cbranch_execz .LBB158_54
; %bb.53:
	v_mov_b32_e32 v4, 0x100
	v_lshl_add_u32 v4, v42, 2, v4
	ds_write2_b32 v4, v8, v7 offset1:16
	ds_write2_b32 v4, v5, v6 offset0:32 offset1:48
	ds_write2_b32 v4, v3, v2 offset0:64 offset1:80
	ds_write_b32 v4, v1 offset:384
.LBB158_54:
	s_or_b64 exec, exec, s[0:1]
	v_or_b32_e32 v4, 0x70, v42
	s_movk_i32 s0, 0x78
	v_cmp_gt_u32_e64 s[0:1], s0, v4
	s_and_b64 s[0:1], vcc, s[0:1]
	s_and_b64 exec, exec, s[0:1]
; %bb.55:
	v_mov_b32_e32 v4, 0x100
	v_lshl_add_u32 v4, v42, 2, v4
	ds_write_b32 v4, v0 offset:448
.LBB158_56:
	s_or_b64 exec, exec, s[2:3]
	v_cmp_gt_u32_e64 s[0:1], 64, v63
	v_lshrrev_b32_e32 v4, 2, v63
	s_waitcnt lgkmcnt(0)
	s_barrier
	s_and_saveexec_b64 s[4:5], s[0:1]
	s_cbranch_execz .LBB158_74
; %bb.57:
	s_and_saveexec_b64 s[2:3], vcc
	s_cbranch_execz .LBB158_59
; %bb.58:
	v_mov_b32_e32 v9, 0x100
	v_lshl_add_u32 v9, v4, 2, v9
	ds_read_b32 v9, v9
	s_waitcnt lgkmcnt(0)
	v_add_f32_e32 v8, v8, v9
.LBB158_59:
	s_or_b64 exec, exec, s[2:3]
	v_or_b32_e32 v9, 16, v4
	s_movk_i32 s6, 0x78
	v_cmp_gt_u32_e64 s[2:3], s6, v9
	s_and_b64 s[12:13], vcc, s[2:3]
	s_and_saveexec_b64 s[2:3], s[12:13]
	s_cbranch_execz .LBB158_61
; %bb.60:
	v_mov_b32_e32 v9, 0x100
	v_lshl_add_u32 v9, v4, 2, v9
	ds_read_b32 v9, v9 offset:64
	s_waitcnt lgkmcnt(0)
	v_add_f32_e32 v7, v7, v9
.LBB158_61:
	s_or_b64 exec, exec, s[2:3]
	v_or_b32_e32 v9, 32, v4
	v_cmp_gt_u32_e64 s[2:3], s6, v9
	s_and_b64 s[6:7], vcc, s[2:3]
	s_and_saveexec_b64 s[2:3], s[6:7]
	s_cbranch_execz .LBB158_63
; %bb.62:
	v_mov_b32_e32 v9, 0x100
	v_lshl_add_u32 v9, v4, 2, v9
	ds_read_b32 v9, v9 offset:128
	s_waitcnt lgkmcnt(0)
	v_add_f32_e32 v5, v5, v9
.LBB158_63:
	s_or_b64 exec, exec, s[2:3]
	v_or_b32_e32 v9, 48, v4
	s_movk_i32 s6, 0x78
	v_cmp_gt_u32_e64 s[2:3], s6, v9
	s_and_b64 s[12:13], vcc, s[2:3]
	s_and_saveexec_b64 s[2:3], s[12:13]
	s_cbranch_execz .LBB158_65
; %bb.64:
	v_mov_b32_e32 v9, 0x100
	v_lshl_add_u32 v9, v4, 2, v9
	ds_read_b32 v9, v9 offset:192
	s_waitcnt lgkmcnt(0)
	v_add_f32_e32 v6, v6, v9
.LBB158_65:
	s_or_b64 exec, exec, s[2:3]
	v_or_b32_e32 v9, 64, v4
	v_cmp_gt_u32_e64 s[2:3], s6, v9
	s_and_b64 s[6:7], vcc, s[2:3]
	s_and_saveexec_b64 s[2:3], s[6:7]
	s_cbranch_execz .LBB158_67
; %bb.66:
	v_mov_b32_e32 v9, 0x100
	v_lshl_add_u32 v9, v4, 2, v9
	ds_read_b32 v9, v9 offset:256
	s_waitcnt lgkmcnt(0)
	v_add_f32_e32 v3, v3, v9
.LBB158_67:
	;; [unrolled: 27-line block ×3, first 2 shown]
	s_or_b64 exec, exec, s[2:3]
	v_or_b32_e32 v9, 0x70, v4
	s_movk_i32 s2, 0x78
	v_cmp_gt_u32_e64 s[2:3], s2, v9
	s_and_b64 s[6:7], vcc, s[2:3]
	s_and_saveexec_b64 s[2:3], s[6:7]
	s_cbranch_execz .LBB158_73
; %bb.72:
	v_mov_b32_e32 v9, 0x100
	v_lshl_add_u32 v9, v4, 2, v9
	ds_read_b32 v9, v9 offset:448
	s_waitcnt lgkmcnt(0)
	v_add_f32_e32 v0, v0, v9
.LBB158_73:
	s_or_b64 exec, exec, s[2:3]
.LBB158_74:
	s_or_b64 exec, exec, s[4:5]
	s_barrier
	s_and_saveexec_b64 s[2:3], s[0:1]
	s_cbranch_execz .LBB158_91
; %bb.75:
	s_mul_i32 s0, s10, s11
	s_mul_i32 s0, s0, s9
	s_mulk_i32 s0, 0x78
	s_ashr_i32 s1, s0, 31
	s_lshl_b64 s[0:1], s[0:1], 1
	s_add_u32 s2, s18, s0
	s_mul_i32 s0, s11, s16
	s_addc_u32 s3, s19, s1
	s_ashr_i32 s1, s0, 31
	s_lshl_b64 s[0:1], s[0:1], 1
	s_add_u32 s2, s2, s0
	s_mul_i32 s0, s8, 0x78
	s_addc_u32 s3, s3, s1
	s_ashr_i32 s1, s0, 31
	s_lshl_b64 s[0:1], s[0:1], 1
	s_add_u32 s2, s2, s0
	s_movk_i32 s6, 0x78
	s_addc_u32 s3, s3, s1
	v_lshlrev_b32_e32 v9, 1, v4
	s_and_saveexec_b64 s[4:5], vcc
	s_cbranch_execz .LBB158_77
; %bb.76:
	v_bfe_u32 v10, v8, 16, 1
	s_movk_i32 s0, 0x7fff
	v_add3_u32 v10, v10, v8, s0
	v_or_b32_e32 v11, 0x400000, v8
	v_cmp_u_f32_e64 s[0:1], v8, v8
	v_cndmask_b32_e64 v8, v10, v11, s[0:1]
	global_store_short_d16_hi v9, v8, s[2:3]
.LBB158_77:
	s_or_b64 exec, exec, s[4:5]
	v_or_b32_e32 v8, 16, v4
	v_cmp_gt_u32_e64 s[0:1], s6, v8
	s_and_b64 s[0:1], vcc, s[0:1]
	s_and_saveexec_b64 s[4:5], s[0:1]
	s_cbranch_execz .LBB158_79
; %bb.78:
	v_bfe_u32 v8, v7, 16, 1
	s_movk_i32 s0, 0x7fff
	v_add3_u32 v8, v8, v7, s0
	v_or_b32_e32 v10, 0x400000, v7
	v_cmp_u_f32_e64 s[0:1], v7, v7
	v_cndmask_b32_e64 v7, v8, v10, s[0:1]
	global_store_short_d16_hi v9, v7, s[2:3] offset:32
.LBB158_79:
	s_or_b64 exec, exec, s[4:5]
	v_or_b32_e32 v7, 32, v4
	v_cmp_gt_u32_e64 s[0:1], s6, v7
	s_and_b64 s[0:1], vcc, s[0:1]
	s_and_saveexec_b64 s[4:5], s[0:1]
	s_cbranch_execz .LBB158_81
; %bb.80:
	v_bfe_u32 v7, v5, 16, 1
	s_movk_i32 s0, 0x7fff
	v_add3_u32 v7, v7, v5, s0
	v_or_b32_e32 v8, 0x400000, v5
	v_cmp_u_f32_e64 s[0:1], v5, v5
	v_cndmask_b32_e64 v5, v7, v8, s[0:1]
	global_store_short_d16_hi v9, v5, s[2:3] offset:64
.LBB158_81:
	;; [unrolled: 15-line block ×6, first 2 shown]
	s_or_b64 exec, exec, s[4:5]
	v_or_b32_e32 v1, 0x70, v4
	v_cmp_gt_u32_e64 s[0:1], s6, v1
	s_and_b64 s[0:1], vcc, s[0:1]
	s_and_b64 exec, exec, s[0:1]
	s_cbranch_execz .LBB158_91
; %bb.90:
	v_bfe_u32 v1, v0, 16, 1
	s_movk_i32 s0, 0x7fff
	v_add3_u32 v1, v1, v0, s0
	v_or_b32_e32 v2, 0x400000, v0
	v_cmp_u_f32_e32 vcc, v0, v0
	v_cndmask_b32_e32 v0, v1, v2, vcc
	global_store_short_d16_hi v9, v0, s[2:3] offset:224
.LBB158_91:
	s_endpgm
	.section	.rodata,"a",@progbits
	.p2align	6, 0x0
	.amdhsa_kernel _ZN4vllm25paged_attention_v1_kernelI14__hip_bfloat16S1_Li120ELi32ELi128ELNS_18Fp8KVCacheDataTypeE0ELb0EEEvPT_PKS3_PKT0_S9_ifPKiSB_iPKfiiiSD_SD_iiiii
		.amdhsa_group_segment_fixed_size 256
		.amdhsa_private_segment_fixed_size 188
		.amdhsa_kernarg_size 384
		.amdhsa_user_sgpr_count 6
		.amdhsa_user_sgpr_private_segment_buffer 1
		.amdhsa_user_sgpr_dispatch_ptr 0
		.amdhsa_user_sgpr_queue_ptr 0
		.amdhsa_user_sgpr_kernarg_segment_ptr 1
		.amdhsa_user_sgpr_dispatch_id 0
		.amdhsa_user_sgpr_flat_scratch_init 0
		.amdhsa_user_sgpr_private_segment_size 0
		.amdhsa_uses_dynamic_stack 0
		.amdhsa_system_sgpr_private_segment_wavefront_offset 1
		.amdhsa_system_sgpr_workgroup_id_x 1
		.amdhsa_system_sgpr_workgroup_id_y 1
		.amdhsa_system_sgpr_workgroup_id_z 1
		.amdhsa_system_sgpr_workgroup_info 0
		.amdhsa_system_vgpr_workitem_id 0
		.amdhsa_next_free_vgpr 64
		.amdhsa_next_free_sgpr 40
		.amdhsa_reserve_vcc 1
		.amdhsa_reserve_flat_scratch 0
		.amdhsa_float_round_mode_32 0
		.amdhsa_float_round_mode_16_64 0
		.amdhsa_float_denorm_mode_32 3
		.amdhsa_float_denorm_mode_16_64 3
		.amdhsa_dx10_clamp 1
		.amdhsa_ieee_mode 1
		.amdhsa_fp16_overflow 0
		.amdhsa_exception_fp_ieee_invalid_op 0
		.amdhsa_exception_fp_denorm_src 0
		.amdhsa_exception_fp_ieee_div_zero 0
		.amdhsa_exception_fp_ieee_overflow 0
		.amdhsa_exception_fp_ieee_underflow 0
		.amdhsa_exception_fp_ieee_inexact 0
		.amdhsa_exception_int_div_zero 0
	.end_amdhsa_kernel
	.section	.text._ZN4vllm25paged_attention_v1_kernelI14__hip_bfloat16S1_Li120ELi32ELi128ELNS_18Fp8KVCacheDataTypeE0ELb0EEEvPT_PKS3_PKT0_S9_ifPKiSB_iPKfiiiSD_SD_iiiii,"axG",@progbits,_ZN4vllm25paged_attention_v1_kernelI14__hip_bfloat16S1_Li120ELi32ELi128ELNS_18Fp8KVCacheDataTypeE0ELb0EEEvPT_PKS3_PKT0_S9_ifPKiSB_iPKfiiiSD_SD_iiiii,comdat
.Lfunc_end158:
	.size	_ZN4vllm25paged_attention_v1_kernelI14__hip_bfloat16S1_Li120ELi32ELi128ELNS_18Fp8KVCacheDataTypeE0ELb0EEEvPT_PKS3_PKT0_S9_ifPKiSB_iPKfiiiSD_SD_iiiii, .Lfunc_end158-_ZN4vllm25paged_attention_v1_kernelI14__hip_bfloat16S1_Li120ELi32ELi128ELNS_18Fp8KVCacheDataTypeE0ELb0EEEvPT_PKS3_PKT0_S9_ifPKiSB_iPKfiiiSD_SD_iiiii
                                        ; -- End function
	.set _ZN4vllm25paged_attention_v1_kernelI14__hip_bfloat16S1_Li120ELi32ELi128ELNS_18Fp8KVCacheDataTypeE0ELb0EEEvPT_PKS3_PKT0_S9_ifPKiSB_iPKfiiiSD_SD_iiiii.num_vgpr, 64
	.set _ZN4vllm25paged_attention_v1_kernelI14__hip_bfloat16S1_Li120ELi32ELi128ELNS_18Fp8KVCacheDataTypeE0ELb0EEEvPT_PKS3_PKT0_S9_ifPKiSB_iPKfiiiSD_SD_iiiii.num_agpr, 0
	.set _ZN4vllm25paged_attention_v1_kernelI14__hip_bfloat16S1_Li120ELi32ELi128ELNS_18Fp8KVCacheDataTypeE0ELb0EEEvPT_PKS3_PKT0_S9_ifPKiSB_iPKfiiiSD_SD_iiiii.numbered_sgpr, 40
	.set _ZN4vllm25paged_attention_v1_kernelI14__hip_bfloat16S1_Li120ELi32ELi128ELNS_18Fp8KVCacheDataTypeE0ELb0EEEvPT_PKS3_PKT0_S9_ifPKiSB_iPKfiiiSD_SD_iiiii.num_named_barrier, 0
	.set _ZN4vllm25paged_attention_v1_kernelI14__hip_bfloat16S1_Li120ELi32ELi128ELNS_18Fp8KVCacheDataTypeE0ELb0EEEvPT_PKS3_PKT0_S9_ifPKiSB_iPKfiiiSD_SD_iiiii.private_seg_size, 188
	.set _ZN4vllm25paged_attention_v1_kernelI14__hip_bfloat16S1_Li120ELi32ELi128ELNS_18Fp8KVCacheDataTypeE0ELb0EEEvPT_PKS3_PKT0_S9_ifPKiSB_iPKfiiiSD_SD_iiiii.uses_vcc, 1
	.set _ZN4vllm25paged_attention_v1_kernelI14__hip_bfloat16S1_Li120ELi32ELi128ELNS_18Fp8KVCacheDataTypeE0ELb0EEEvPT_PKS3_PKT0_S9_ifPKiSB_iPKfiiiSD_SD_iiiii.uses_flat_scratch, 0
	.set _ZN4vllm25paged_attention_v1_kernelI14__hip_bfloat16S1_Li120ELi32ELi128ELNS_18Fp8KVCacheDataTypeE0ELb0EEEvPT_PKS3_PKT0_S9_ifPKiSB_iPKfiiiSD_SD_iiiii.has_dyn_sized_stack, 0
	.set _ZN4vllm25paged_attention_v1_kernelI14__hip_bfloat16S1_Li120ELi32ELi128ELNS_18Fp8KVCacheDataTypeE0ELb0EEEvPT_PKS3_PKT0_S9_ifPKiSB_iPKfiiiSD_SD_iiiii.has_recursion, 0
	.set _ZN4vllm25paged_attention_v1_kernelI14__hip_bfloat16S1_Li120ELi32ELi128ELNS_18Fp8KVCacheDataTypeE0ELb0EEEvPT_PKS3_PKT0_S9_ifPKiSB_iPKfiiiSD_SD_iiiii.has_indirect_call, 0
	.section	.AMDGPU.csdata,"",@progbits
; Kernel info:
; codeLenInByte = 11484
; TotalNumSgprs: 44
; NumVgprs: 64
; ScratchSize: 188
; MemoryBound: 0
; FloatMode: 240
; IeeeMode: 1
; LDSByteSize: 256 bytes/workgroup (compile time only)
; SGPRBlocks: 5
; VGPRBlocks: 15
; NumSGPRsForWavesPerEU: 44
; NumVGPRsForWavesPerEU: 64
; Occupancy: 4
; WaveLimiterHint : 1
; COMPUTE_PGM_RSRC2:SCRATCH_EN: 1
; COMPUTE_PGM_RSRC2:USER_SGPR: 6
; COMPUTE_PGM_RSRC2:TRAP_HANDLER: 0
; COMPUTE_PGM_RSRC2:TGID_X_EN: 1
; COMPUTE_PGM_RSRC2:TGID_Y_EN: 1
; COMPUTE_PGM_RSRC2:TGID_Z_EN: 1
; COMPUTE_PGM_RSRC2:TIDIG_COMP_CNT: 0
	.section	.text._ZN4vllm25paged_attention_v1_kernelI14__hip_bfloat16S1_Li128ELi32ELi128ELNS_18Fp8KVCacheDataTypeE0ELb0EEEvPT_PKS3_PKT0_S9_ifPKiSB_iPKfiiiSD_SD_iiiii,"axG",@progbits,_ZN4vllm25paged_attention_v1_kernelI14__hip_bfloat16S1_Li128ELi32ELi128ELNS_18Fp8KVCacheDataTypeE0ELb0EEEvPT_PKS3_PKT0_S9_ifPKiSB_iPKfiiiSD_SD_iiiii,comdat
	.protected	_ZN4vllm25paged_attention_v1_kernelI14__hip_bfloat16S1_Li128ELi32ELi128ELNS_18Fp8KVCacheDataTypeE0ELb0EEEvPT_PKS3_PKT0_S9_ifPKiSB_iPKfiiiSD_SD_iiiii ; -- Begin function _ZN4vllm25paged_attention_v1_kernelI14__hip_bfloat16S1_Li128ELi32ELi128ELNS_18Fp8KVCacheDataTypeE0ELb0EEEvPT_PKS3_PKT0_S9_ifPKiSB_iPKfiiiSD_SD_iiiii
	.globl	_ZN4vllm25paged_attention_v1_kernelI14__hip_bfloat16S1_Li128ELi32ELi128ELNS_18Fp8KVCacheDataTypeE0ELb0EEEvPT_PKS3_PKT0_S9_ifPKiSB_iPKfiiiSD_SD_iiiii
	.p2align	8
	.type	_ZN4vllm25paged_attention_v1_kernelI14__hip_bfloat16S1_Li128ELi32ELi128ELNS_18Fp8KVCacheDataTypeE0ELb0EEEvPT_PKS3_PKT0_S9_ifPKiSB_iPKfiiiSD_SD_iiiii,@function
_ZN4vllm25paged_attention_v1_kernelI14__hip_bfloat16S1_Li128ELi32ELi128ELNS_18Fp8KVCacheDataTypeE0ELb0EEEvPT_PKS3_PKT0_S9_ifPKiSB_iPKfiiiSD_SD_iiiii: ; @_ZN4vllm25paged_attention_v1_kernelI14__hip_bfloat16S1_Li128ELi32ELi128ELNS_18Fp8KVCacheDataTypeE0ELb0EEEvPT_PKS3_PKT0_S9_ifPKiSB_iPKfiiiSD_SD_iiiii
; %bb.0:
	s_mov_b64 s[38:39], s[2:3]
	s_mov_b64 s[36:37], s[0:1]
	s_add_u32 s36, s36, s9
	s_load_dword s9, s[4:5], 0x80
	s_load_dwordx2 s[0:1], s[4:5], 0x30
	s_load_dwordx2 s[26:27], s[4:5], 0x20
	s_addc_u32 s37, s37, 0
	s_mov_b32 s10, s7
	s_ashr_i32 s11, s7, 31
	s_lshl_b64 s[2:3], s[10:11], 2
	s_waitcnt lgkmcnt(0)
	s_add_u32 s0, s0, s2
	s_addc_u32 s1, s1, s3
	s_abs_i32 s2, s26
	v_mov_b32_e32 v15, v0
	v_cvt_f32_u32_e32 v0, s2
	s_sub_i32 s11, 0, s2
	s_abs_i32 s7, s9
	s_xor_b32 s3, s9, s26
	v_rcp_iflag_f32_e32 v0, v0
	s_ashr_i32 s3, s3, 31
	s_mov_b32 s26, 0
	v_mul_f32_e32 v0, 0x4f7ffffe, v0
	v_cvt_u32_f32_e32 v0, v0
	v_readfirstlane_b32 s12, v0
	s_mul_i32 s11, s11, s12
	s_mul_hi_u32 s11, s12, s11
	s_add_i32 s12, s12, s11
	s_mul_hi_u32 s11, s7, s12
	s_mul_i32 s12, s11, s2
	s_sub_i32 s7, s7, s12
	s_add_i32 s12, s11, 1
	s_sub_i32 s13, s7, s2
	s_cmp_ge_u32 s7, s2
	s_cselect_b32 s11, s12, s11
	s_cselect_b32 s7, s13, s7
	s_add_i32 s12, s11, 1
	s_cmp_ge_u32 s7, s2
	s_cselect_b32 s2, s12, s11
	s_xor_b32 s2, s2, s3
	s_sub_i32 s12, s2, s3
	s_abs_i32 s11, s12
	v_cvt_f32_u32_e32 v0, s11
	s_load_dwordx2 s[2:3], s[4:5], 0x40
	s_sub_i32 s7, 0, s11
	s_abs_i32 s18, s6
	v_rcp_iflag_f32_e32 v0, v0
	v_mul_f32_e32 v0, 0x4f7ffffe, v0
	v_cvt_u32_f32_e32 v0, v0
	v_readfirstlane_b32 s13, v0
	s_mul_i32 s7, s7, s13
	s_mul_hi_u32 s7, s13, s7
	s_add_i32 s13, s13, s7
	s_waitcnt lgkmcnt(0)
	s_cmp_eq_u64 s[2:3], 0
	s_mul_hi_u32 s19, s18, s13
	s_cbranch_scc1 .LBB159_2
; %bb.1:
	s_ashr_i32 s7, s6, 31
	s_lshl_b64 s[14:15], s[6:7], 2
	s_add_u32 s2, s2, s14
	s_addc_u32 s3, s3, s15
	s_load_dword s26, s[2:3], 0x0
.LBB159_2:
	s_load_dword s33, s[0:1], 0x0
	s_ashr_i32 s3, s12, 31
	s_load_dwordx4 s[12:15], s[4:5], 0x48
	s_ashr_i32 s2, s6, 31
	v_and_b32_e32 v0, 1, v15
	s_lshl_b32 s16, s6, 7
	v_cmp_gt_u32_e32 vcc, 32, v15
	v_lshlrev_b32_e32 v12, 3, v15
	s_and_saveexec_b64 s[0:1], vcc
	s_cbranch_execz .LBB159_4
; %bb.3:
	s_load_dwordx2 s[6:7], s[4:5], 0x8
	s_waitcnt lgkmcnt(0)
	s_mul_i32 s20, s12, s10
	s_ashr_i32 s21, s20, 31
	s_lshl_b64 s[20:21], s[20:21], 1
	v_lshlrev_b32_e32 v3, 2, v15
	s_add_u32 s12, s6, s20
	s_addc_u32 s15, s7, s21
	s_ashr_i32 s17, s16, 31
	s_lshl_b64 s[6:7], s[16:17], 1
	s_add_u32 s6, s12, s6
	s_addc_u32 s7, s15, s7
	global_load_dwordx2 v[1:2], v12, s[6:7]
	v_and_b32_e32 v3, 0xff8, v3
	v_lshl_add_u32 v3, v0, 7, v3
	s_waitcnt vmcnt(0)
	ds_write_b64 v3, v[1:2]
.LBB159_4:
	s_or_b64 exec, exec, s[0:1]
	s_waitcnt lgkmcnt(0)
	s_add_i32 s1, s33, 31
	s_ashr_i32 s6, s1, 31
	s_lshr_b32 s6, s6, 27
	s_add_i32 s1, s1, s6
	s_ashr_i32 s17, s1, 5
	s_xor_b32 s1, s2, s3
	s_mul_i32 s2, s19, s11
	s_sub_i32 s2, s18, s2
	s_add_i32 s3, s19, 1
	s_sub_i32 s6, s2, s11
	s_load_dwordx2 s[20:21], s[4:5], 0x28
	s_load_dword s0, s[4:5], 0x38
	s_cmp_ge_u32 s2, s11
	s_cselect_b32 s3, s3, s19
	s_cselect_b32 s2, s6, s2
	s_add_i32 s6, s3, 1
	s_cmp_ge_u32 s2, s11
	s_cselect_b32 s2, s6, s3
	v_lshrrev_b32_e32 v44, 6, v15
	s_xor_b32 s2, s2, s1
	s_waitcnt lgkmcnt(0)
	s_mul_i32 s22, s0, s10
	s_sub_i32 s12, s2, s1
	s_ashr_i32 s23, s22, 31
	v_cmp_gt_i32_e64 s[0:1], s17, v44
	v_cmp_le_i32_e32 vcc, s17, v44
	v_mbcnt_lo_u32_b32 v3, -1, 0
	s_barrier
                                        ; implicit-def: $vgpr14
                                        ; implicit-def: $vgpr8
                                        ; implicit-def: $vgpr9
	s_and_saveexec_b64 s[2:3], vcc
	s_xor_b64 s[2:3], exec, s[2:3]
; %bb.5:
	v_mbcnt_hi_u32_b32 v14, -1, v3
	v_and_b32_e32 v8, 64, v14
	v_add_u32_e32 v9, 64, v8
                                        ; implicit-def: $vgpr0
                                        ; implicit-def: $vgpr3
; %bb.6:
	s_or_saveexec_b64 s[6:7], s[2:3]
	s_load_dwordx2 s[18:19], s[4:5], 0x0
	s_load_dwordx2 s[24:25], s[4:5], 0x18
	s_load_dword s11, s[4:5], 0x88
	v_mov_b32_e32 v29, 0xff7fffff
	s_mul_i32 s14, s12, s14
	v_lshrrev_b32_e32 v13, 4, v15
	buffer_store_dword v15, off, s[36:39], 0 offset:184 ; 4-byte Folded Spill
	s_xor_b64 exec, exec, s[6:7]
	s_cbranch_execz .LBB159_12
; %bb.7:
	v_lshlrev_b32_e32 v1, 7, v0
	ds_read_b128 v[4:7], v1
	ds_read_b128 v[8:11], v1 offset:16
	s_load_dwordx2 s[2:3], s[4:5], 0x10
	s_ashr_i32 s15, s14, 31
	s_lshl_b64 s[4:5], s[14:15], 1
	s_waitcnt lgkmcnt(0)
	v_lshlrev_b32_e32 v2, 16, v4
	buffer_store_dword v2, off, s[36:39], 0 ; 4-byte Folded Spill
	v_and_b32_e32 v2, 0xffff0000, v4
	buffer_store_dword v2, off, s[36:39], 0 offset:4 ; 4-byte Folded Spill
	v_lshlrev_b32_e32 v2, 16, v5
	buffer_store_dword v2, off, s[36:39], 0 offset:8 ; 4-byte Folded Spill
	v_and_b32_e32 v2, 0xffff0000, v5
	buffer_store_dword v2, off, s[36:39], 0 offset:12 ; 4-byte Folded Spill
	v_lshlrev_b32_e32 v2, 16, v6
	buffer_store_dword v2, off, s[36:39], 0 offset:16 ; 4-byte Folded Spill
	;; [unrolled: 4-line block ×5, first 2 shown]
	v_and_b32_e32 v2, 0xffff0000, v9
	ds_read_b128 v[4:7], v1 offset:32
	buffer_store_dword v2, off, s[36:39], 0 offset:44 ; 4-byte Folded Spill
	v_lshlrev_b32_e32 v2, 16, v10
	buffer_store_dword v2, off, s[36:39], 0 offset:48 ; 4-byte Folded Spill
	v_and_b32_e32 v2, 0xffff0000, v10
	buffer_store_dword v2, off, s[36:39], 0 offset:52 ; 4-byte Folded Spill
	v_lshlrev_b32_e32 v2, 16, v11
	buffer_store_dword v2, off, s[36:39], 0 offset:56 ; 4-byte Folded Spill
	v_and_b32_e32 v2, 0xffff0000, v11
	buffer_store_dword v2, off, s[36:39], 0 offset:60 ; 4-byte Folded Spill
	ds_read_b128 v[8:11], v1 offset:48
	s_waitcnt lgkmcnt(1)
	v_lshlrev_b32_e32 v2, 16, v4
	buffer_store_dword v2, off, s[36:39], 0 offset:64 ; 4-byte Folded Spill
	v_and_b32_e32 v2, 0xffff0000, v4
	buffer_store_dword v2, off, s[36:39], 0 offset:68 ; 4-byte Folded Spill
	v_lshlrev_b32_e32 v2, 16, v5
	buffer_store_dword v2, off, s[36:39], 0 offset:72 ; 4-byte Folded Spill
	v_and_b32_e32 v2, 0xffff0000, v5
	buffer_store_dword v2, off, s[36:39], 0 offset:76 ; 4-byte Folded Spill
	;; [unrolled: 4-line block ×4, first 2 shown]
	s_waitcnt lgkmcnt(0)
	v_lshlrev_b32_e32 v2, 16, v8
	buffer_store_dword v2, off, s[36:39], 0 offset:96 ; 4-byte Folded Spill
	v_and_b32_e32 v2, 0xffff0000, v8
	buffer_store_dword v2, off, s[36:39], 0 offset:100 ; 4-byte Folded Spill
	v_lshlrev_b32_e32 v2, 16, v9
	buffer_store_dword v2, off, s[36:39], 0 offset:104 ; 4-byte Folded Spill
	v_and_b32_e32 v2, 0xffff0000, v9
	ds_read_b128 v[4:7], v1 offset:64
	buffer_store_dword v2, off, s[36:39], 0 offset:108 ; 4-byte Folded Spill
	v_lshlrev_b32_e32 v2, 16, v10
	buffer_store_dword v2, off, s[36:39], 0 offset:112 ; 4-byte Folded Spill
	v_and_b32_e32 v2, 0xffff0000, v10
	buffer_store_dword v2, off, s[36:39], 0 offset:116 ; 4-byte Folded Spill
	v_lshlrev_b32_e32 v2, 16, v11
	buffer_store_dword v2, off, s[36:39], 0 offset:120 ; 4-byte Folded Spill
	v_and_b32_e32 v2, 0xffff0000, v11
	buffer_store_dword v2, off, s[36:39], 0 offset:124 ; 4-byte Folded Spill
	ds_read_b128 v[8:11], v1 offset:80
	s_waitcnt lgkmcnt(1)
	v_lshlrev_b32_e32 v2, 16, v4
	buffer_store_dword v2, off, s[36:39], 0 offset:128 ; 4-byte Folded Spill
	v_and_b32_e32 v2, 0xffff0000, v4
	buffer_store_dword v2, off, s[36:39], 0 offset:132 ; 4-byte Folded Spill
	v_lshlrev_b32_e32 v2, 16, v5
	buffer_store_dword v2, off, s[36:39], 0 offset:136 ; 4-byte Folded Spill
	v_and_b32_e32 v2, 0xffff0000, v5
	buffer_store_dword v2, off, s[36:39], 0 offset:140 ; 4-byte Folded Spill
	;; [unrolled: 4-line block ×4, first 2 shown]
	s_waitcnt lgkmcnt(0)
	v_lshlrev_b32_e32 v2, 16, v8
	buffer_store_dword v2, off, s[36:39], 0 offset:160 ; 4-byte Folded Spill
	v_and_b32_e32 v2, 0xffff0000, v8
	buffer_store_dword v2, off, s[36:39], 0 offset:164 ; 4-byte Folded Spill
	v_lshlrev_b32_e32 v2, 16, v9
	buffer_store_dword v2, off, s[36:39], 0 offset:168 ; 4-byte Folded Spill
	v_and_b32_e32 v2, 0xffff0000, v9
	buffer_store_dword v2, off, s[36:39], 0 offset:172 ; 4-byte Folded Spill
	;; [unrolled: 4-line block ×3, first 2 shown]
	v_lshlrev_b32_e32 v32, 16, v11
	v_and_b32_e32 v45, 0xffff0000, v11
	ds_read_b128 v[4:7], v1 offset:96
	ds_read_b128 v[8:11], v1 offset:112
	s_add_u32 s2, s2, s4
	s_addc_u32 s3, s3, s5
	v_mov_b32_e32 v2, s3
	s_waitcnt lgkmcnt(1)
	v_lshlrev_b32_e32 v46, 16, v4
	v_and_b32_e32 v48, 0xffff0000, v4
	v_bfe_u32 v4, v15, 1, 5
	v_lshlrev_b32_e32 v1, 4, v4
	v_add_co_u32_e32 v1, vcc, s2, v1
	v_lshlrev_b32_e32 v50, 16, v5
	v_and_b32_e32 v51, 0xffff0000, v5
	v_addc_co_u32_e32 v5, vcc, 0, v2, vcc
	v_and_b32_e32 v2, 8, v12
	s_sub_i32 s12, 1, s33
	s_lshl_b64 s[4:5], s[22:23], 2
	v_add_co_u32_e64 v30, s[2:3], v1, v2
	s_add_u32 s4, s20, s4
	v_mbcnt_hi_u32_b32 v3, -1, v3
	v_cmp_eq_u32_e32 vcc, 0, v0
	s_addc_u32 s5, s21, s5
	v_and_b32_e32 v0, 60, v13
	v_addc_co_u32_e64 v47, s[2:3], 0, v5, s[2:3]
	v_and_b32_e32 v5, 64, v3
	v_mov_b32_e32 v2, s5
	v_add_co_u32_e64 v1, s[4:5], s4, v0
	v_xor_b32_e32 v0, 1, v3
	buffer_store_dword v5, off, s[36:39], 0 offset:200 ; 4-byte Folded Spill
	v_add_u32_e32 v5, 64, v5
	v_cmp_lt_i32_e64 s[2:3], v0, v5
	buffer_store_dword v3, off, s[36:39], 0 offset:196 ; 4-byte Folded Spill
	v_cndmask_b32_e64 v0, v3, v0, s[2:3]
	v_lshlrev_b32_e32 v3, 2, v4
	v_lshl_or_b32 v3, v44, 7, v3
	v_lshlrev_b32_e32 v52, 16, v6
	v_and_b32_e32 v53, 0xffff0000, v6
	v_lshlrev_b32_e32 v54, 16, v7
	v_and_b32_e32 v55, 0xffff0000, v7
	s_waitcnt lgkmcnt(0)
	v_lshlrev_b32_e32 v56, 16, v8
	v_and_b32_e32 v57, 0xffff0000, v8
	v_lshlrev_b32_e32 v58, 16, v9
	v_and_b32_e32 v59, 0xffff0000, v9
	;; [unrolled: 2-line block ×4, first 2 shown]
	v_addc_co_u32_e64 v2, s[4:5], 0, v2, s[4:5]
	s_mov_b32 s15, s13
	v_lshlrev_b32_e32 v49, 2, v0
	v_cmp_neq_f32_e64 s[2:3], s26, 0
	v_lshl_or_b32 v0, v44, 5, v4
	v_add_u32_e32 v31, 0x110, v3
	s_mov_b64 s[28:29], 0
	s_movk_i32 s34, 0x1000
	v_mov_b32_e32 v29, 0xff7fffff
	v_mov_b32_e32 v43, v44
	buffer_store_dword v12, off, s[36:39], 0 offset:188 ; 4-byte Folded Spill
	buffer_store_dword v13, off, s[36:39], 0 offset:192 ; 4-byte Folded Spill
	buffer_store_dword v5, off, s[36:39], 0 offset:204 ; 4-byte Folded Spill
	s_branch .LBB159_9
.LBB159_8:                              ;   in Loop: Header=BB159_9 Depth=1
	s_or_b64 exec, exec, s[30:31]
	v_add_u32_e32 v43, 2, v43
	v_cmp_le_i32_e64 s[4:5], s17, v43
	s_or_b64 s[28:29], s[4:5], s[28:29]
	v_add_co_u32_e64 v1, s[4:5], 8, v1
	v_add_u32_e32 v0, 64, v0
	v_add_u32_e32 v31, 0x100, v31
	v_addc_co_u32_e64 v2, s[4:5], 0, v2, s[4:5]
	s_andn2_b64 exec, exec, s[28:29]
	s_cbranch_execz .LBB159_11
.LBB159_9:                              ; =>This Inner Loop Header: Depth=1
	global_load_dword v3, v[1:2], off
	s_waitcnt vmcnt(0) lgkmcnt(0)
	v_mad_i64_i32 v[3:4], s[4:5], v3, s15, 0
	v_lshlrev_b64 v[3:4], 1, v[3:4]
	v_add_co_u32_e64 v3, s[4:5], v30, v3
	v_addc_co_u32_e64 v4, s[4:5], v47, v4, s[4:5]
	global_load_dwordx2 v[33:34], v[3:4], off
	global_load_dwordx2 v[35:36], v[3:4], off offset:512
	global_load_dwordx2 v[37:38], v[3:4], off offset:1024
	;; [unrolled: 1-line block ×7, first 2 shown]
	v_add_co_u32_e64 v3, s[4:5], s34, v3
	v_addc_co_u32_e64 v4, s[4:5], 0, v4, s[4:5]
	global_load_dwordx2 v[17:18], v[3:4], off
	global_load_dwordx2 v[15:16], v[3:4], off offset:512
	global_load_dwordx2 v[13:14], v[3:4], off offset:1024
	;; [unrolled: 1-line block ×6, first 2 shown]
	s_nop 0
	global_load_dwordx2 v[3:4], v[3:4], off offset:3584
	s_waitcnt vmcnt(15)
	v_lshlrev_b32_e32 v39, 16, v33
	v_and_b32_e32 v40, 0xffff0000, v33
	v_lshlrev_b32_e32 v41, 16, v34
	v_and_b32_e32 v42, 0xffff0000, v34
	s_waitcnt vmcnt(14)
	v_lshlrev_b32_e32 v33, 16, v35
	v_and_b32_e32 v34, 0xffff0000, v35
	buffer_load_dword v35, off, s[36:39], 0 offset:16 ; 4-byte Folded Reload
	s_waitcnt vmcnt(0)
	v_mul_f32_e32 v33, v35, v33
	buffer_load_dword v35, off, s[36:39], 0 ; 4-byte Folded Reload
	s_waitcnt vmcnt(0)
	v_fmac_f32_e32 v33, v35, v39
	buffer_load_dword v35, off, s[36:39], 0 offset:20 ; 4-byte Folded Reload
	buffer_load_dword v39, off, s[36:39], 0 offset:24 ; 4-byte Folded Reload
	s_waitcnt vmcnt(1)
	v_mul_f32_e32 v34, v35, v34
	buffer_load_dword v35, off, s[36:39], 0 offset:4 ; 4-byte Folded Reload
	s_waitcnt vmcnt(0)
	v_fmac_f32_e32 v34, v35, v40
	v_lshlrev_b32_e32 v35, 16, v36
	v_mul_f32_e32 v35, v39, v35
	buffer_load_dword v39, off, s[36:39], 0 offset:8 ; 4-byte Folded Reload
	buffer_load_dword v40, off, s[36:39], 0 offset:32 ; 4-byte Folded Reload
	v_and_b32_e32 v36, 0xffff0000, v36
	s_waitcnt vmcnt(1)
	v_fmac_f32_e32 v35, v39, v41
	buffer_load_dword v39, off, s[36:39], 0 offset:28 ; 4-byte Folded Reload
	s_waitcnt vmcnt(0)
	v_mul_f32_e32 v36, v39, v36
	buffer_load_dword v39, off, s[36:39], 0 offset:12 ; 4-byte Folded Reload
	s_waitcnt vmcnt(0)
	v_fmac_f32_e32 v36, v39, v42
	v_lshlrev_b32_e32 v39, 16, v37
	v_fmac_f32_e32 v33, v40, v39
	buffer_load_dword v39, off, s[36:39], 0 offset:36 ; 4-byte Folded Reload
	v_and_b32_e32 v37, 0xffff0000, v37
	s_waitcnt vmcnt(0)
	v_fmac_f32_e32 v34, v39, v37
	buffer_load_dword v39, off, s[36:39], 0 offset:40 ; 4-byte Folded Reload
	v_lshlrev_b32_e32 v37, 16, v38
	v_and_b32_e32 v38, 0xffff0000, v38
	s_waitcnt vmcnt(0)
	v_fmac_f32_e32 v35, v39, v37
	buffer_load_dword v37, off, s[36:39], 0 offset:44 ; 4-byte Folded Reload
	s_waitcnt vmcnt(0)
	v_fmac_f32_e32 v36, v37, v38
	buffer_load_dword v38, off, s[36:39], 0 offset:48 ; 4-byte Folded Reload
	v_lshlrev_b32_e32 v37, 16, v27
	v_and_b32_e32 v27, 0xffff0000, v27
	s_waitcnt vmcnt(0)
	v_fmac_f32_e32 v33, v38, v37
	buffer_load_dword v37, off, s[36:39], 0 offset:52 ; 4-byte Folded Reload
	;; [unrolled: 8-line block ×18, first 2 shown]
	s_waitcnt vmcnt(0)
	v_fmac_f32_e32 v34, v13, v11
	v_lshlrev_b32_e32 v11, 16, v12
	v_fmac_f32_e32 v35, v32, v11
	v_lshlrev_b32_e32 v11, 16, v9
	v_and_b32_e32 v9, 0xffff0000, v9
	v_fmac_f32_e32 v34, v48, v9
	v_lshlrev_b32_e32 v9, 16, v10
	v_fmac_f32_e32 v35, v50, v9
	v_lshlrev_b32_e32 v9, 16, v7
	v_and_b32_e32 v7, 0xffff0000, v7
	v_and_b32_e32 v12, 0xffff0000, v12
	v_fmac_f32_e32 v34, v53, v7
	v_lshlrev_b32_e32 v7, 16, v8
	v_fmac_f32_e32 v36, v45, v12
	v_fmac_f32_e32 v33, v46, v11
	v_and_b32_e32 v10, 0xffff0000, v10
	v_fmac_f32_e32 v35, v54, v7
	v_lshlrev_b32_e32 v7, 16, v5
	v_and_b32_e32 v5, 0xffff0000, v5
	v_fmac_f32_e32 v36, v51, v10
	v_fmac_f32_e32 v33, v52, v9
	v_and_b32_e32 v8, 0xffff0000, v8
	v_fmac_f32_e32 v34, v57, v5
	v_lshlrev_b32_e32 v5, 16, v6
	v_fmac_f32_e32 v36, v55, v8
	v_fmac_f32_e32 v33, v56, v7
	v_and_b32_e32 v6, 0xffff0000, v6
	v_fmac_f32_e32 v35, v58, v5
	v_lshlrev_b32_e32 v5, 16, v3
	v_and_b32_e32 v3, 0xffff0000, v3
	v_fmac_f32_e32 v36, v59, v6
	v_fmac_f32_e32 v33, v60, v5
	;; [unrolled: 1-line block ×3, first 2 shown]
	v_lshlrev_b32_e32 v5, 16, v4
	v_and_b32_e32 v3, 0xffff0000, v4
	v_fmac_f32_e32 v35, v62, v5
	v_fmac_f32_e32 v36, v63, v3
	v_add_f32_e32 v3, v33, v34
	v_add_f32_e32 v3, v3, v35
	;; [unrolled: 1-line block ×3, first 2 shown]
	ds_bpermute_b32 v4, v49, v3
	s_and_saveexec_b64 s[30:31], vcc
	s_cbranch_execz .LBB159_8
; %bb.10:                               ;   in Loop: Header=BB159_9 Depth=1
	v_add_u32_e32 v5, s12, v0
	v_cvt_f32_i32_e32 v5, v5
	s_waitcnt lgkmcnt(0)
	v_add_f32_e32 v3, v3, v4
	v_cmp_gt_i32_e64 s[4:5], s33, v0
	v_max_f32_e32 v4, v29, v29
	v_mul_f32_e32 v5, s26, v5
	v_cndmask_b32_e64 v5, 0, v5, s[2:3]
	v_fmac_f32_e32 v5, s27, v3
	v_cndmask_b32_e64 v3, 0, v5, s[4:5]
	ds_write_b32 v31, v3
	v_max_f32_e32 v3, v4, v5
	v_cndmask_b32_e64 v29, v29, v3, s[4:5]
	s_branch .LBB159_8
.LBB159_11:
	s_or_b64 exec, exec, s[28:29]
	buffer_load_dword v15, off, s[36:39], 0 offset:184 ; 4-byte Folded Reload
	buffer_load_dword v12, off, s[36:39], 0 offset:188 ; 4-byte Folded Reload
	;; [unrolled: 1-line block ×6, first 2 shown]
.LBB159_12:
	s_or_b64 exec, exec, s[6:7]
	s_waitcnt vmcnt(2)
	v_xor_b32_e32 v0, 32, v14
	s_waitcnt vmcnt(0)
	v_cmp_lt_i32_e32 vcc, v0, v9
	v_cndmask_b32_e32 v0, v14, v0, vcc
	v_lshlrev_b32_e32 v0, 2, v0
	ds_bpermute_b32 v1, v0, v29
	v_xor_b32_e32 v3, 16, v14
	v_max_f32_e32 v2, v29, v29
	v_cmp_lt_i32_e32 vcc, v3, v9
	s_waitcnt lgkmcnt(0)
	v_xor_b32_e32 v4, 8, v14
	v_max_f32_e32 v1, v1, v1
	v_max_f32_e32 v2, v2, v1
	v_cndmask_b32_e32 v1, v14, v3, vcc
	v_lshlrev_b32_e32 v1, 2, v1
	ds_bpermute_b32 v3, v1, v2
	v_cmp_lt_i32_e32 vcc, v4, v9
	v_xor_b32_e32 v5, 4, v14
	v_xor_b32_e32 v6, 2, v14
	v_and_b32_e32 v16, 63, v15
	s_waitcnt lgkmcnt(0)
	v_max_f32_e32 v3, v3, v3
	v_max_f32_e32 v3, v2, v3
	v_cndmask_b32_e32 v2, v14, v4, vcc
	v_lshlrev_b32_e32 v2, 2, v2
	ds_bpermute_b32 v4, v2, v3
	v_cmp_lt_i32_e32 vcc, v5, v9
	s_waitcnt lgkmcnt(0)
	v_max_f32_e32 v4, v4, v4
	v_max_f32_e32 v4, v3, v4
	v_cndmask_b32_e32 v3, v14, v5, vcc
	v_lshlrev_b32_e32 v3, 2, v3
	ds_bpermute_b32 v5, v3, v4
	v_cmp_lt_i32_e32 vcc, v6, v9
	s_waitcnt lgkmcnt(0)
	v_max_f32_e32 v5, v5, v5
	v_max_f32_e32 v5, v4, v5
	v_cndmask_b32_e32 v4, v14, v6, vcc
	v_lshlrev_b32_e32 v11, 2, v4
	ds_bpermute_b32 v6, v11, v5
	v_cmp_eq_u32_e32 vcc, 0, v16
	v_lshlrev_b32_e32 v4, 2, v44
	s_and_saveexec_b64 s[2:3], vcc
	s_cbranch_execz .LBB159_14
; %bb.13:
	s_waitcnt lgkmcnt(0)
	v_max_f32_e32 v6, v6, v6
	v_max_f32_e32 v5, v5, v5
	;; [unrolled: 1-line block ×3, first 2 shown]
	ds_write_b32 v4, v5 offset:256
.LBB159_14:
	s_or_b64 exec, exec, s[2:3]
	v_cmp_gt_u32_e64 s[2:3], 2, v16
	s_waitcnt lgkmcnt(0)
	v_mov_b32_e32 v6, 0xff7fffff
	v_lshlrev_b32_e32 v5, 2, v16
	s_barrier
	s_and_saveexec_b64 s[4:5], s[2:3]
; %bb.15:
	ds_read_b32 v6, v5 offset:256
; %bb.16:
	s_or_b64 exec, exec, s[4:5]
	v_xor_b32_e32 v7, 1, v14
	v_cmp_lt_i32_e64 s[4:5], v7, v9
	v_cndmask_b32_e64 v7, v14, v7, s[4:5]
	v_lshlrev_b32_e32 v46, 2, v7
	s_waitcnt lgkmcnt(0)
	ds_bpermute_b32 v7, v46, v6
	v_max_f32_e32 v6, v6, v6
	s_lshl_b32 s4, s17, 5
	s_min_i32 s12, s4, s33
	v_cmp_gt_i32_e64 s[4:5], s12, v15
	s_waitcnt lgkmcnt(0)
	v_max_f32_e32 v7, v7, v7
	v_max_f32_e32 v6, v6, v7
	v_lshlrev_b32_e32 v7, 2, v8
	ds_bpermute_b32 v7, v7, v6
	v_mov_b32_e32 v6, 0
	s_and_saveexec_b64 s[26:27], s[4:5]
	s_cbranch_execz .LBB159_20
; %bb.17:
	v_mov_b32_e32 v6, 0x110
	v_lshl_add_u32 v8, v15, 2, v6
	v_mov_b32_e32 v6, 0
	s_mov_b64 s[28:29], 0
	v_mov_b32_e32 v9, v15
.LBB159_18:                             ; =>This Inner Loop Header: Depth=1
	ds_read_b32 v10, v8
	v_add_u32_e32 v9, 0x80, v9
	v_cmp_le_i32_e64 s[6:7], s12, v9
	s_or_b64 s[28:29], s[6:7], s[28:29]
	s_waitcnt lgkmcnt(0)
	v_sub_f32_e32 v10, v10, v7
	v_mul_f32_e32 v10, 0x3fb8aa3b, v10
	v_exp_f32_e32 v10, v10
	ds_write_b32 v8, v10
	v_add_f32_e32 v6, v6, v10
	v_add_u32_e32 v8, 0x200, v8
	s_andn2_b64 exec, exec, s[28:29]
	s_cbranch_execnz .LBB159_18
; %bb.19:
	s_or_b64 exec, exec, s[28:29]
.LBB159_20:
	s_or_b64 exec, exec, s[26:27]
	ds_bpermute_b32 v0, v0, v6
	s_waitcnt lgkmcnt(0)
	v_add_f32_e32 v0, v6, v0
	ds_bpermute_b32 v1, v1, v0
	s_waitcnt lgkmcnt(0)
	v_add_f32_e32 v0, v0, v1
	ds_bpermute_b32 v1, v2, v0
	s_waitcnt lgkmcnt(0)
	v_add_f32_e32 v0, v0, v1
	ds_bpermute_b32 v1, v3, v0
	s_waitcnt lgkmcnt(0)
	v_add_f32_e32 v0, v0, v1
	ds_bpermute_b32 v1, v11, v0
	s_waitcnt lgkmcnt(0)
	v_add_f32_e32 v0, v0, v1
	ds_bpermute_b32 v1, v46, v0
	s_waitcnt lgkmcnt(0)
	v_add_f32_e32 v0, v0, v1
	s_and_saveexec_b64 s[6:7], vcc
; %bb.21:
	ds_write_b32 v4, v0 offset:264
; %bb.22:
	s_or_b64 exec, exec, s[6:7]
	s_waitcnt lgkmcnt(0)
	s_barrier
	s_and_saveexec_b64 s[6:7], s[2:3]
; %bb.23:
	ds_read_b32 v0, v5 offset:264
; %bb.24:
	s_or_b64 exec, exec, s[6:7]
	s_waitcnt lgkmcnt(0)
	ds_bpermute_b32 v1, v46, v0
	v_lshlrev_b32_e32 v2, 2, v14
	s_waitcnt lgkmcnt(0)
	v_add_f32_e32 v0, v0, v1
	v_and_b32_e32 v1, 0xffffff00, v2
	ds_bpermute_b32 v0, v1, v0
	s_and_saveexec_b64 s[2:3], s[4:5]
	s_cbranch_execz .LBB159_27
; %bb.25:
	s_waitcnt lgkmcnt(0)
	v_add_f32_e32 v1, 0x358637bd, v0
	v_div_scale_f32 v0, s[4:5], v1, v1, 1.0
	v_div_scale_f32 v2, vcc, 1.0, v1, 1.0
	s_mov_b64 s[4:5], 0
	v_rcp_f32_e32 v3, v0
	v_fma_f32 v4, -v0, v3, 1.0
	v_fmac_f32_e32 v3, v4, v3
	v_mul_f32_e32 v4, v2, v3
	v_fma_f32 v5, -v0, v4, v2
	v_fmac_f32_e32 v4, v5, v3
	v_fma_f32 v0, -v0, v4, v2
	v_div_fmas_f32 v2, v0, v3, v4
	v_mov_b32_e32 v0, 0x110
	v_lshl_add_u32 v0, v15, 2, v0
	v_div_fixup_f32 v1, v2, v1, 1.0
	v_mov_b32_e32 v2, v15
.LBB159_26:                             ; =>This Inner Loop Header: Depth=1
	ds_read_b32 v3, v0
	v_add_u32_e32 v2, 0x80, v2
	v_cmp_le_i32_e32 vcc, s12, v2
	s_or_b64 s[4:5], vcc, s[4:5]
	s_waitcnt lgkmcnt(0)
	v_mul_f32_e32 v3, v1, v3
	ds_write_b32 v0, v3
	v_add_u32_e32 v0, 0x200, v0
	s_andn2_b64 exec, exec, s[4:5]
	s_cbranch_execnz .LBB159_26
.LBB159_27:
	s_or_b64 exec, exec, s[2:3]
	v_mov_b32_e32 v54, 0
	v_and_b32_e32 v17, 3, v15
	v_mov_b32_e32 v55, 0
	v_mov_b32_e32 v53, 0
	;; [unrolled: 1-line block ×7, first 2 shown]
	s_waitcnt lgkmcnt(0)
	s_barrier
	s_and_saveexec_b64 s[4:5], s[0:1]
	s_cbranch_execz .LBB159_47
; %bb.28:
	s_ashr_i32 s15, s14, 31
	s_lshl_b64 s[0:1], s[14:15], 1
	s_add_u32 s0, s24, s0
	v_lshlrev_b32_e32 v1, 4, v15
	v_and_b32_e32 v0, 24, v12
	s_addc_u32 s1, s25, s1
	v_and_b32_e32 v1, 0x3f0, v1
	s_add_i32 s14, s17, -1
	v_mov_b32_e32 v2, s1
	v_add_co_u32_e32 v57, vcc, s0, v1
	v_lshl_or_b32 v59, v44, 5, v0
	v_lshlrev_b32_e32 v0, 5, v17
	s_lshl_b64 s[0:1], s[22:23], 2
	v_lshl_or_b32 v0, v44, 7, v0
	s_add_u32 s0, s20, s0
	v_addc_co_u32_e32 v58, vcc, 0, v2, vcc
	v_add_u32_e32 v60, 0x110, v0
	v_and_b32_e32 v0, 60, v13
	s_addc_u32 s1, s21, s1
	v_mov_b32_e32 v1, s1
	v_add_co_u32_e32 v41, vcc, s0, v0
	s_mov_b32 s26, s13
	v_mov_b32_e32 v56, 0
	s_mov_b32 s15, s33
	v_addc_co_u32_e32 v42, vcc, 0, v1, vcc
	s_mov_b64 s[6:7], 0
	s_mov_b32 s20, 0x5040100
	s_movk_i32 s21, 0x7fff
	v_mov_b32_e32 v48, 0
	v_mov_b32_e32 v49, 0
	;; [unrolled: 1-line block ×8, first 2 shown]
	buffer_store_dword v11, off, s[36:39], 0 offset:4 ; 4-byte Folded Spill
	buffer_store_dword v16, off, s[36:39], 0 ; 4-byte Folded Spill
	buffer_store_dword v17, off, s[36:39], 0 offset:8 ; 4-byte Folded Spill
	s_branch .LBB159_30
.LBB159_29:                             ;   in Loop: Header=BB159_30 Depth=1
	s_or_b64 exec, exec, s[2:3]
	s_waitcnt lgkmcnt(1)
	v_bfe_u32 v0, v33, 16, 1
	v_add3_u32 v0, v0, v33, s21
	v_or_b32_e32 v43, 0x400000, v33
	v_cmp_u_f32_e32 vcc, v33, v33
	v_cndmask_b32_e32 v33, v0, v43, vcc
	v_bfe_u32 v0, v34, 16, 1
	v_add3_u32 v0, v0, v34, s21
	v_or_b32_e32 v43, 0x400000, v34
	v_cmp_u_f32_e32 vcc, v34, v34
	v_bfe_u32 v34, v35, 16, 1
	v_cndmask_b32_e32 v0, v0, v43, vcc
	v_add3_u32 v34, v34, v35, s21
	v_or_b32_e32 v43, 0x400000, v35
	v_cmp_u_f32_e32 vcc, v35, v35
	v_bfe_u32 v35, v36, 16, 1
	v_cndmask_b32_e32 v34, v34, v43, vcc
	v_add3_u32 v35, v35, v36, s21
	v_or_b32_e32 v43, 0x400000, v36
	v_cmp_u_f32_e32 vcc, v36, v36
	s_waitcnt lgkmcnt(0)
	v_bfe_u32 v36, v25, 16, 1
	v_cndmask_b32_e32 v35, v35, v43, vcc
	v_add3_u32 v36, v36, v25, s21
	v_or_b32_e32 v43, 0x400000, v25
	v_cmp_u_f32_e32 vcc, v25, v25
	v_bfe_u32 v25, v26, 16, 1
	v_cndmask_b32_e32 v36, v36, v43, vcc
	v_add3_u32 v25, v25, v26, s21
	v_or_b32_e32 v43, 0x400000, v26
	v_cmp_u_f32_e32 vcc, v26, v26
	v_cndmask_b32_e32 v43, v25, v43, vcc
	v_bfe_u32 v25, v27, 16, 1
	v_add3_u32 v25, v25, v27, s21
	v_or_b32_e32 v26, 0x400000, v27
	v_cmp_u_f32_e32 vcc, v27, v27
	v_cndmask_b32_e32 v45, v25, v26, vcc
	v_bfe_u32 v25, v28, 16, 1
	v_add3_u32 v25, v25, v28, s21
	v_or_b32_e32 v26, 0x400000, v28
	v_cmp_u_f32_e32 vcc, v28, v28
	v_cndmask_b32_e32 v47, v25, v26, vcc
	v_and_b32_e32 v0, 0xffff0000, v0
	s_waitcnt vmcnt(1)
	v_and_b32_e32 v25, 0xffff0000, v37
	v_mul_f32_e32 v25, v0, v25
	v_bfe_u32 v26, v25, 16, 1
	v_add3_u32 v26, v26, v25, s21
	v_or_b32_e32 v27, 0x400000, v25
	v_cmp_u_f32_e32 vcc, v25, v25
	v_cndmask_b32_e32 v61, v26, v27, vcc
	v_and_b32_e32 v26, 0xffff0000, v33
	v_lshlrev_b32_e32 v25, 16, v37
	v_mul_f32_e32 v25, v26, v25
	v_bfe_u32 v27, v25, 16, 1
	v_add3_u32 v27, v27, v25, s21
	v_or_b32_e32 v28, 0x400000, v25
	v_cmp_u_f32_e32 vcc, v25, v25
	v_cndmask_b32_e32 v37, v27, v28, vcc
	v_and_b32_e32 v25, 0xffff0000, v35
	v_and_b32_e32 v27, 0xffff0000, v38
	v_mul_f32_e32 v27, v25, v27
	v_bfe_u32 v28, v27, 16, 1
	v_add3_u32 v28, v28, v27, s21
	v_or_b32_e32 v33, 0x400000, v27
	v_cmp_u_f32_e32 vcc, v27, v27
	v_cndmask_b32_e32 v62, v28, v33, vcc
	v_and_b32_e32 v28, 0xffff0000, v34
	v_lshlrev_b32_e32 v27, 16, v38
	v_mul_f32_e32 v27, v28, v27
	v_bfe_u32 v33, v27, 16, 1
	v_add3_u32 v33, v33, v27, s21
	v_or_b32_e32 v34, 0x400000, v27
	v_cmp_u_f32_e32 vcc, v27, v27
	v_cndmask_b32_e32 v38, v33, v34, vcc
	v_and_b32_e32 v27, 0xffff0000, v43
	;; [unrolled: 16-line block ×3, first 2 shown]
	v_and_b32_e32 v35, 0xffff0000, v40
	v_mul_f32_e32 v35, v33, v35
	v_bfe_u32 v39, v35, 16, 1
	v_add3_u32 v39, v39, v35, s21
	v_or_b32_e32 v47, 0x400000, v35
	v_cmp_u_f32_e32 vcc, v35, v35
	v_and_b32_e32 v35, 0xffff0000, v45
	v_lshlrev_b32_e32 v40, 16, v40
	v_mul_f32_e32 v40, v35, v40
	v_bfe_u32 v45, v40, 16, 1
	v_cndmask_b32_e32 v39, v39, v47, vcc
	v_add3_u32 v45, v45, v40, s21
	v_or_b32_e32 v47, 0x400000, v40
	v_cmp_u_f32_e32 vcc, v40, v40
	v_cndmask_b32_e32 v40, v45, v47, vcc
	v_and_b32_e32 v37, 0xffff0000, v37
	v_and_b32_e32 v45, 0xffff0000, v61
	v_add_f32_e32 v37, v37, v45
	v_and_b32_e32 v38, 0xffff0000, v38
	v_and_b32_e32 v45, 0xffff0000, v62
	v_add_f32_e32 v38, v38, v45
	v_add_f32_e32 v37, v38, v37
	v_and_b32_e32 v36, 0xffff0000, v36
	v_and_b32_e32 v38, 0xffff0000, v43
	v_add_f32_e32 v36, v36, v38
	;; [unrolled: 4-line block ×3, first 2 shown]
	v_add_f32_e32 v36, v37, v36
	v_add_f32_e32 v49, v49, v36
	v_and_b32_e32 v36, 0xffff0000, v29
	v_mul_f32_e32 v36, v0, v36
	v_bfe_u32 v37, v36, 16, 1
	v_lshlrev_b32_e32 v29, 16, v29
	v_add3_u32 v37, v37, v36, s21
	v_or_b32_e32 v38, 0x400000, v36
	v_cmp_u_f32_e32 vcc, v36, v36
	v_mul_f32_e32 v29, v26, v29
	v_cndmask_b32_e32 v36, v37, v38, vcc
	v_bfe_u32 v37, v29, 16, 1
	v_add3_u32 v37, v37, v29, s21
	v_or_b32_e32 v38, 0x400000, v29
	v_cmp_u_f32_e32 vcc, v29, v29
	v_cndmask_b32_e32 v29, v37, v38, vcc
	v_and_b32_e32 v37, 0xffff0000, v30
	v_mul_f32_e32 v37, v25, v37
	v_bfe_u32 v38, v37, 16, 1
	v_lshlrev_b32_e32 v30, 16, v30
	v_add3_u32 v38, v38, v37, s21
	v_or_b32_e32 v39, 0x400000, v37
	v_cmp_u_f32_e32 vcc, v37, v37
	v_mul_f32_e32 v30, v28, v30
	v_cndmask_b32_e32 v37, v38, v39, vcc
	v_bfe_u32 v38, v30, 16, 1
	v_add3_u32 v38, v38, v30, s21
	v_or_b32_e32 v39, 0x400000, v30
	v_cmp_u_f32_e32 vcc, v30, v30
	v_cndmask_b32_e32 v30, v38, v39, vcc
	;; [unrolled: 14-line block ×3, first 2 shown]
	v_and_b32_e32 v39, 0xffff0000, v32
	v_mul_f32_e32 v39, v33, v39
	v_bfe_u32 v40, v39, 16, 1
	v_lshlrev_b32_e32 v32, 16, v32
	v_and_b32_e32 v29, 0xffff0000, v29
	v_and_b32_e32 v36, 0xffff0000, v36
	v_add3_u32 v40, v40, v39, s21
	v_or_b32_e32 v43, 0x400000, v39
	v_cmp_u_f32_e32 vcc, v39, v39
	v_mul_f32_e32 v32, v35, v32
	v_add_f32_e32 v29, v29, v36
	v_and_b32_e32 v30, 0xffff0000, v30
	v_and_b32_e32 v36, 0xffff0000, v37
	v_cndmask_b32_e32 v39, v40, v43, vcc
	v_bfe_u32 v40, v32, 16, 1
	v_add_f32_e32 v30, v30, v36
	v_add3_u32 v40, v40, v32, s21
	v_or_b32_e32 v43, 0x400000, v32
	v_cmp_u_f32_e32 vcc, v32, v32
	v_add_f32_e32 v29, v30, v29
	v_and_b32_e32 v30, 0xffff0000, v31
	v_and_b32_e32 v31, 0xffff0000, v38
	v_cndmask_b32_e32 v32, v40, v43, vcc
	v_add_f32_e32 v30, v30, v31
	v_add_f32_e32 v29, v30, v29
	v_and_b32_e32 v30, 0xffff0000, v32
	v_and_b32_e32 v31, 0xffff0000, v39
	v_add_f32_e32 v30, v30, v31
	v_add_f32_e32 v29, v30, v29
	;; [unrolled: 1-line block ×3, first 2 shown]
	v_and_b32_e32 v29, 0xffff0000, v21
	v_mul_f32_e32 v29, v0, v29
	v_bfe_u32 v30, v29, 16, 1
	v_lshlrev_b32_e32 v21, 16, v21
	v_add3_u32 v30, v30, v29, s21
	v_or_b32_e32 v31, 0x400000, v29
	v_cmp_u_f32_e32 vcc, v29, v29
	v_mul_f32_e32 v21, v26, v21
	v_cndmask_b32_e32 v29, v30, v31, vcc
	v_bfe_u32 v30, v21, 16, 1
	v_add3_u32 v30, v30, v21, s21
	v_or_b32_e32 v31, 0x400000, v21
	v_cmp_u_f32_e32 vcc, v21, v21
	v_cndmask_b32_e32 v21, v30, v31, vcc
	v_and_b32_e32 v30, 0xffff0000, v22
	v_mul_f32_e32 v30, v25, v30
	v_bfe_u32 v31, v30, 16, 1
	v_lshlrev_b32_e32 v22, 16, v22
	v_add3_u32 v31, v31, v30, s21
	v_or_b32_e32 v32, 0x400000, v30
	v_cmp_u_f32_e32 vcc, v30, v30
	v_mul_f32_e32 v22, v28, v22
	v_cndmask_b32_e32 v30, v31, v32, vcc
	v_bfe_u32 v31, v22, 16, 1
	v_add3_u32 v31, v31, v22, s21
	v_or_b32_e32 v32, 0x400000, v22
	v_cmp_u_f32_e32 vcc, v22, v22
	v_cndmask_b32_e32 v22, v31, v32, vcc
	;; [unrolled: 14-line block ×3, first 2 shown]
	v_and_b32_e32 v32, 0xffff0000, v24
	v_mul_f32_e32 v32, v33, v32
	v_bfe_u32 v36, v32, 16, 1
	v_lshlrev_b32_e32 v24, 16, v24
	v_and_b32_e32 v21, 0xffff0000, v21
	v_and_b32_e32 v29, 0xffff0000, v29
	v_add3_u32 v36, v36, v32, s21
	v_or_b32_e32 v37, 0x400000, v32
	v_cmp_u_f32_e32 vcc, v32, v32
	v_mul_f32_e32 v24, v35, v24
	v_add_f32_e32 v21, v21, v29
	v_and_b32_e32 v22, 0xffff0000, v22
	v_and_b32_e32 v29, 0xffff0000, v30
	v_cndmask_b32_e32 v32, v36, v37, vcc
	v_bfe_u32 v36, v24, 16, 1
	v_add_f32_e32 v22, v22, v29
	v_add3_u32 v36, v36, v24, s21
	v_or_b32_e32 v37, 0x400000, v24
	v_cmp_u_f32_e32 vcc, v24, v24
	v_add_f32_e32 v21, v22, v21
	v_and_b32_e32 v22, 0xffff0000, v23
	v_and_b32_e32 v23, 0xffff0000, v31
	v_cndmask_b32_e32 v24, v36, v37, vcc
	v_add_f32_e32 v22, v22, v23
	v_add_f32_e32 v21, v22, v21
	v_and_b32_e32 v22, 0xffff0000, v24
	v_and_b32_e32 v23, 0xffff0000, v32
	v_add_f32_e32 v22, v22, v23
	v_add_f32_e32 v21, v22, v21
	;; [unrolled: 1-line block ×3, first 2 shown]
	v_and_b32_e32 v21, 0xffff0000, v17
	v_mul_f32_e32 v21, v0, v21
	v_bfe_u32 v22, v21, 16, 1
	v_lshlrev_b32_e32 v17, 16, v17
	v_add3_u32 v22, v22, v21, s21
	v_or_b32_e32 v23, 0x400000, v21
	v_cmp_u_f32_e32 vcc, v21, v21
	v_mul_f32_e32 v17, v26, v17
	v_cndmask_b32_e32 v21, v22, v23, vcc
	v_bfe_u32 v22, v17, 16, 1
	v_add3_u32 v22, v22, v17, s21
	v_or_b32_e32 v23, 0x400000, v17
	v_cmp_u_f32_e32 vcc, v17, v17
	v_cndmask_b32_e32 v17, v22, v23, vcc
	v_and_b32_e32 v22, 0xffff0000, v18
	v_mul_f32_e32 v22, v25, v22
	v_bfe_u32 v23, v22, 16, 1
	v_lshlrev_b32_e32 v18, 16, v18
	v_add3_u32 v23, v23, v22, s21
	v_or_b32_e32 v24, 0x400000, v22
	v_cmp_u_f32_e32 vcc, v22, v22
	v_mul_f32_e32 v18, v28, v18
	v_cndmask_b32_e32 v22, v23, v24, vcc
	v_bfe_u32 v23, v18, 16, 1
	v_add3_u32 v23, v23, v18, s21
	v_or_b32_e32 v24, 0x400000, v18
	v_cmp_u_f32_e32 vcc, v18, v18
	v_cndmask_b32_e32 v18, v23, v24, vcc
	;; [unrolled: 14-line block ×3, first 2 shown]
	v_and_b32_e32 v24, 0xffff0000, v20
	v_mul_f32_e32 v24, v33, v24
	v_bfe_u32 v29, v24, 16, 1
	v_lshlrev_b32_e32 v20, 16, v20
	v_and_b32_e32 v17, 0xffff0000, v17
	v_and_b32_e32 v21, 0xffff0000, v21
	v_add3_u32 v29, v29, v24, s21
	v_or_b32_e32 v30, 0x400000, v24
	v_cmp_u_f32_e32 vcc, v24, v24
	v_mul_f32_e32 v20, v35, v20
	v_add_f32_e32 v17, v17, v21
	v_and_b32_e32 v18, 0xffff0000, v18
	v_and_b32_e32 v21, 0xffff0000, v22
	v_cndmask_b32_e32 v24, v29, v30, vcc
	v_bfe_u32 v29, v20, 16, 1
	v_add_f32_e32 v18, v18, v21
	v_add3_u32 v29, v29, v20, s21
	v_or_b32_e32 v30, 0x400000, v20
	v_cmp_u_f32_e32 vcc, v20, v20
	v_add_f32_e32 v17, v18, v17
	v_and_b32_e32 v18, 0xffff0000, v19
	v_and_b32_e32 v19, 0xffff0000, v23
	v_cndmask_b32_e32 v20, v29, v30, vcc
	v_add_f32_e32 v18, v18, v19
	v_add_f32_e32 v17, v18, v17
	v_and_b32_e32 v18, 0xffff0000, v20
	v_and_b32_e32 v19, 0xffff0000, v24
	v_add_f32_e32 v18, v18, v19
	v_add_f32_e32 v17, v18, v17
	;; [unrolled: 1-line block ×3, first 2 shown]
	v_and_b32_e32 v17, 0xffff0000, v9
	v_mul_f32_e32 v17, v0, v17
	v_bfe_u32 v18, v17, 16, 1
	v_lshlrev_b32_e32 v9, 16, v9
	v_add3_u32 v18, v18, v17, s21
	v_or_b32_e32 v19, 0x400000, v17
	v_cmp_u_f32_e32 vcc, v17, v17
	v_mul_f32_e32 v9, v26, v9
	v_cndmask_b32_e32 v17, v18, v19, vcc
	v_bfe_u32 v18, v9, 16, 1
	v_add3_u32 v18, v18, v9, s21
	v_or_b32_e32 v19, 0x400000, v9
	v_cmp_u_f32_e32 vcc, v9, v9
	v_cndmask_b32_e32 v9, v18, v19, vcc
	v_and_b32_e32 v18, 0xffff0000, v10
	v_mul_f32_e32 v18, v25, v18
	v_bfe_u32 v19, v18, 16, 1
	v_lshlrev_b32_e32 v10, 16, v10
	v_add3_u32 v19, v19, v18, s21
	v_or_b32_e32 v20, 0x400000, v18
	v_cmp_u_f32_e32 vcc, v18, v18
	v_mul_f32_e32 v10, v28, v10
	v_cndmask_b32_e32 v18, v19, v20, vcc
	v_bfe_u32 v19, v10, 16, 1
	v_add3_u32 v19, v19, v10, s21
	v_or_b32_e32 v20, 0x400000, v10
	v_cmp_u_f32_e32 vcc, v10, v10
	v_cndmask_b32_e32 v10, v19, v20, vcc
	;; [unrolled: 14-line block ×3, first 2 shown]
	v_and_b32_e32 v20, 0xffff0000, v12
	v_mul_f32_e32 v20, v33, v20
	v_bfe_u32 v21, v20, 16, 1
	v_lshlrev_b32_e32 v12, 16, v12
	v_and_b32_e32 v9, 0xffff0000, v9
	v_and_b32_e32 v17, 0xffff0000, v17
	v_add3_u32 v21, v21, v20, s21
	v_or_b32_e32 v22, 0x400000, v20
	v_cmp_u_f32_e32 vcc, v20, v20
	v_mul_f32_e32 v12, v35, v12
	v_add_f32_e32 v9, v9, v17
	v_and_b32_e32 v10, 0xffff0000, v10
	v_and_b32_e32 v17, 0xffff0000, v18
	v_cndmask_b32_e32 v20, v21, v22, vcc
	v_bfe_u32 v21, v12, 16, 1
	v_add_f32_e32 v10, v10, v17
	v_add3_u32 v21, v21, v12, s21
	v_or_b32_e32 v22, 0x400000, v12
	v_cmp_u_f32_e32 vcc, v12, v12
	v_add_f32_e32 v9, v10, v9
	v_and_b32_e32 v10, 0xffff0000, v11
	v_and_b32_e32 v11, 0xffff0000, v19
	v_cndmask_b32_e32 v12, v21, v22, vcc
	v_add_f32_e32 v10, v10, v11
	v_add_f32_e32 v9, v10, v9
	v_and_b32_e32 v10, 0xffff0000, v12
	v_and_b32_e32 v11, 0xffff0000, v20
	v_add_f32_e32 v10, v10, v11
	v_add_f32_e32 v9, v10, v9
	;; [unrolled: 1-line block ×3, first 2 shown]
	v_and_b32_e32 v9, 0xffff0000, v5
	v_mul_f32_e32 v9, v0, v9
	v_bfe_u32 v10, v9, 16, 1
	v_lshlrev_b32_e32 v5, 16, v5
	v_add3_u32 v10, v10, v9, s21
	v_or_b32_e32 v11, 0x400000, v9
	v_cmp_u_f32_e32 vcc, v9, v9
	v_mul_f32_e32 v5, v26, v5
	v_cndmask_b32_e32 v9, v10, v11, vcc
	v_bfe_u32 v10, v5, 16, 1
	v_add3_u32 v10, v10, v5, s21
	v_or_b32_e32 v11, 0x400000, v5
	v_cmp_u_f32_e32 vcc, v5, v5
	v_cndmask_b32_e32 v5, v10, v11, vcc
	v_and_b32_e32 v10, 0xffff0000, v6
	v_mul_f32_e32 v10, v25, v10
	v_bfe_u32 v11, v10, 16, 1
	v_lshlrev_b32_e32 v6, 16, v6
	v_add3_u32 v11, v11, v10, s21
	v_or_b32_e32 v12, 0x400000, v10
	v_cmp_u_f32_e32 vcc, v10, v10
	v_mul_f32_e32 v6, v28, v6
	v_cndmask_b32_e32 v10, v11, v12, vcc
	v_bfe_u32 v11, v6, 16, 1
	v_add3_u32 v11, v11, v6, s21
	v_or_b32_e32 v12, 0x400000, v6
	v_cmp_u_f32_e32 vcc, v6, v6
	v_cndmask_b32_e32 v6, v11, v12, vcc
	;; [unrolled: 14-line block ×3, first 2 shown]
	v_and_b32_e32 v12, 0xffff0000, v8
	v_mul_f32_e32 v12, v33, v12
	v_bfe_u32 v17, v12, 16, 1
	v_lshlrev_b32_e32 v8, 16, v8
	v_and_b32_e32 v5, 0xffff0000, v5
	v_and_b32_e32 v9, 0xffff0000, v9
	v_add3_u32 v17, v17, v12, s21
	v_or_b32_e32 v18, 0x400000, v12
	v_cmp_u_f32_e32 vcc, v12, v12
	v_mul_f32_e32 v8, v35, v8
	v_add_f32_e32 v5, v5, v9
	v_and_b32_e32 v6, 0xffff0000, v6
	v_and_b32_e32 v9, 0xffff0000, v10
	v_cndmask_b32_e32 v12, v17, v18, vcc
	v_bfe_u32 v17, v8, 16, 1
	v_add_f32_e32 v6, v6, v9
	v_add3_u32 v17, v17, v8, s21
	v_or_b32_e32 v18, 0x400000, v8
	v_cmp_u_f32_e32 vcc, v8, v8
	v_add_f32_e32 v5, v6, v5
	v_and_b32_e32 v6, 0xffff0000, v7
	v_and_b32_e32 v7, 0xffff0000, v11
	v_cndmask_b32_e32 v8, v17, v18, vcc
	v_add_f32_e32 v6, v6, v7
	v_add_f32_e32 v5, v6, v5
	v_and_b32_e32 v6, 0xffff0000, v8
	v_and_b32_e32 v7, 0xffff0000, v12
	v_add_f32_e32 v6, v6, v7
	v_add_f32_e32 v5, v6, v5
	;; [unrolled: 1-line block ×3, first 2 shown]
	v_and_b32_e32 v5, 0xffff0000, v1
	v_mul_f32_e32 v5, v0, v5
	v_bfe_u32 v6, v5, 16, 1
	v_lshlrev_b32_e32 v1, 16, v1
	v_add3_u32 v6, v6, v5, s21
	v_or_b32_e32 v7, 0x400000, v5
	v_cmp_u_f32_e32 vcc, v5, v5
	v_mul_f32_e32 v1, v26, v1
	v_cndmask_b32_e32 v5, v6, v7, vcc
	v_bfe_u32 v6, v1, 16, 1
	v_add3_u32 v6, v6, v1, s21
	v_or_b32_e32 v7, 0x400000, v1
	v_cmp_u_f32_e32 vcc, v1, v1
	v_cndmask_b32_e32 v1, v6, v7, vcc
	v_and_b32_e32 v6, 0xffff0000, v2
	v_mul_f32_e32 v6, v25, v6
	v_bfe_u32 v7, v6, 16, 1
	v_lshlrev_b32_e32 v2, 16, v2
	v_add3_u32 v7, v7, v6, s21
	v_or_b32_e32 v8, 0x400000, v6
	v_cmp_u_f32_e32 vcc, v6, v6
	v_mul_f32_e32 v2, v28, v2
	v_cndmask_b32_e32 v6, v7, v8, vcc
	v_bfe_u32 v7, v2, 16, 1
	v_add3_u32 v7, v7, v2, s21
	v_or_b32_e32 v8, 0x400000, v2
	v_cmp_u_f32_e32 vcc, v2, v2
	v_cndmask_b32_e32 v2, v7, v8, vcc
	;; [unrolled: 14-line block ×3, first 2 shown]
	v_and_b32_e32 v8, 0xffff0000, v4
	v_mul_f32_e32 v8, v33, v8
	v_bfe_u32 v9, v8, 16, 1
	v_lshlrev_b32_e32 v4, 16, v4
	v_and_b32_e32 v1, 0xffff0000, v1
	v_and_b32_e32 v5, 0xffff0000, v5
	v_add3_u32 v9, v9, v8, s21
	v_or_b32_e32 v10, 0x400000, v8
	v_cmp_u_f32_e32 vcc, v8, v8
	v_mul_f32_e32 v4, v35, v4
	v_add_f32_e32 v1, v1, v5
	v_and_b32_e32 v2, 0xffff0000, v2
	v_and_b32_e32 v5, 0xffff0000, v6
	v_cndmask_b32_e32 v8, v9, v10, vcc
	v_bfe_u32 v9, v4, 16, 1
	v_add_f32_e32 v2, v2, v5
	v_add3_u32 v9, v9, v4, s21
	v_or_b32_e32 v10, 0x400000, v4
	v_cmp_u_f32_e32 vcc, v4, v4
	v_add_f32_e32 v1, v2, v1
	v_and_b32_e32 v2, 0xffff0000, v3
	v_and_b32_e32 v3, 0xffff0000, v7
	v_cndmask_b32_e32 v4, v9, v10, vcc
	v_add_f32_e32 v2, v2, v3
	v_add_f32_e32 v1, v2, v1
	v_and_b32_e32 v2, 0xffff0000, v4
	v_and_b32_e32 v3, 0xffff0000, v8
	v_add_f32_e32 v2, v2, v3
	v_add_f32_e32 v1, v2, v1
	;; [unrolled: 1-line block ×3, first 2 shown]
	s_waitcnt vmcnt(0)
	v_lshlrev_b32_e32 v1, 16, v13
	v_mul_f32_e32 v1, v26, v1
	v_bfe_u32 v2, v1, 16, 1
	v_add3_u32 v2, v2, v1, s21
	v_or_b32_e32 v3, 0x400000, v1
	v_cmp_u_f32_e32 vcc, v1, v1
	v_cndmask_b32_e32 v1, v2, v3, vcc
	v_and_b32_e32 v2, 0xffff0000, v13
	v_mul_f32_e32 v0, v0, v2
	v_bfe_u32 v2, v0, 16, 1
	v_add3_u32 v2, v2, v0, s21
	v_or_b32_e32 v3, 0x400000, v0
	v_cmp_u_f32_e32 vcc, v0, v0
	v_cndmask_b32_e32 v0, v2, v3, vcc
	v_lshlrev_b32_e32 v2, 16, v14
	v_mul_f32_e32 v2, v28, v2
	v_bfe_u32 v3, v2, 16, 1
	v_add3_u32 v3, v3, v2, s21
	v_or_b32_e32 v4, 0x400000, v2
	v_cmp_u_f32_e32 vcc, v2, v2
	v_cndmask_b32_e32 v2, v3, v4, vcc
	v_and_b32_e32 v3, 0xffff0000, v14
	v_mul_f32_e32 v3, v25, v3
	v_bfe_u32 v4, v3, 16, 1
	v_add3_u32 v4, v4, v3, s21
	v_or_b32_e32 v5, 0x400000, v3
	v_cmp_u_f32_e32 vcc, v3, v3
	v_cndmask_b32_e32 v3, v4, v5, vcc
	;; [unrolled: 14-line block ×3, first 2 shown]
	v_lshlrev_b32_e32 v6, 16, v16
	v_mul_f32_e32 v6, v35, v6
	v_bfe_u32 v7, v6, 16, 1
	v_add3_u32 v7, v7, v6, s21
	v_or_b32_e32 v8, 0x400000, v6
	v_cmp_u_f32_e32 vcc, v6, v6
	v_cndmask_b32_e32 v6, v7, v8, vcc
	v_and_b32_e32 v7, 0xffff0000, v16
	v_and_b32_e32 v0, 0xffff0000, v0
	;; [unrolled: 1-line block ×3, first 2 shown]
	v_mul_f32_e32 v7, v33, v7
	v_add_f32_e32 v0, v1, v0
	v_and_b32_e32 v1, 0xffff0000, v3
	v_and_b32_e32 v2, 0xffff0000, v2
	v_bfe_u32 v8, v7, 16, 1
	v_add_f32_e32 v1, v2, v1
	v_add3_u32 v8, v8, v7, s21
	v_or_b32_e32 v9, 0x400000, v7
	v_cmp_u_f32_e32 vcc, v7, v7
	v_add_f32_e32 v0, v1, v0
	v_and_b32_e32 v1, 0xffff0000, v5
	v_and_b32_e32 v2, 0xffff0000, v4
	v_cndmask_b32_e32 v7, v8, v9, vcc
	v_add_f32_e32 v1, v2, v1
	v_add_f32_e32 v0, v1, v0
	v_and_b32_e32 v1, 0xffff0000, v7
	v_and_b32_e32 v2, 0xffff0000, v6
	v_add_u32_e32 v44, 2, v44
	v_add_f32_e32 v1, v2, v1
	v_cmp_le_i32_e32 vcc, s17, v44
	v_add_f32_e32 v0, v1, v0
	s_or_b64 s[6:7], vcc, s[6:7]
	v_add_co_u32_e32 v41, vcc, 8, v41
	v_add_f32_e32 v48, v48, v0
	v_add_u32_e32 v59, 64, v59
	v_add_u32_e32 v60, 0x100, v60
	v_addc_co_u32_e32 v42, vcc, 0, v42, vcc
	s_andn2_b64 exec, exec, s[6:7]
	s_cbranch_execz .LBB159_46
.LBB159_30:                             ; =>This Inner Loop Header: Depth=1
	global_load_dword v0, v[41:42], off
	v_add_u32_e32 v45, 1, v59
	v_or_b32_e32 v47, 3, v59
	v_or_b32_e32 v43, 2, v59
	;; [unrolled: 1-line block ×5, first 2 shown]
	s_waitcnt vmcnt(0)
	v_mad_i64_i32 v[0:1], s[0:1], v0, s26, 0
	v_cmp_eq_u32_e64 s[0:1], s14, v44
	v_lshlrev_b64 v[0:1], 1, v[0:1]
	v_add_co_u32_e32 v13, vcc, v57, v0
	v_addc_co_u32_e32 v14, vcc, v58, v1, vcc
	global_load_dwordx4 v[1:4], v[13:14], off
	ds_read2_b64 v[33:36], v60 offset1:1
	ds_read2_b64 v[25:28], v60 offset0:2 offset1:3
	v_or_b32_e32 v0, 7, v59
	s_and_saveexec_b64 s[12:13], s[0:1]
	s_cbranch_execnz .LBB159_43
; %bb.31:                               ;   in Loop: Header=BB159_30 Depth=1
	s_or_b64 exec, exec, s[12:13]
	global_load_dwordx4 v[5:8], v[13:14], off offset:1024
	s_and_saveexec_b64 s[12:13], s[0:1]
	s_cbranch_execnz .LBB159_44
.LBB159_32:                             ;   in Loop: Header=BB159_30 Depth=1
	s_or_b64 exec, exec, s[12:13]
	global_load_dwordx4 v[9:12], v[13:14], off offset:2048
	s_and_saveexec_b64 s[12:13], s[0:1]
	s_cbranch_execnz .LBB159_45
.LBB159_33:                             ;   in Loop: Header=BB159_30 Depth=1
	s_or_b64 exec, exec, s[12:13]
	global_load_dwordx4 v[17:20], v[13:14], off offset:3072
	s_and_saveexec_b64 s[12:13], s[0:1]
	s_cbranch_execz .LBB159_35
.LBB159_34:                             ;   in Loop: Header=BB159_30 Depth=1
	v_cmp_gt_i32_e32 vcc, s15, v45
	s_waitcnt vmcnt(0)
	v_cndmask_b32_sdwa v15, v56, v17, vcc dst_sel:DWORD dst_unused:UNUSED_PAD src0_sel:DWORD src1_sel:WORD_1
	v_cmp_gt_i32_e32 vcc, s33, v59
	v_cndmask_b32_e32 v16, 0, v17, vcc
	v_cmp_gt_i32_e32 vcc, s15, v47
	v_cmp_gt_i32_e64 s[2:3], s33, v43
	v_perm_b32 v17, v15, v16, s20
	v_cndmask_b32_e64 v15, 0, v18, s[2:3]
	v_cndmask_b32_sdwa v16, v56, v18, vcc dst_sel:DWORD dst_unused:UNUSED_PAD src0_sel:DWORD src1_sel:WORD_1
	v_cmp_gt_i32_e32 vcc, s15, v62
	v_cmp_gt_i32_e64 s[2:3], s33, v63
	v_perm_b32 v18, v16, v15, s20
	v_cndmask_b32_e64 v15, 0, v19, s[2:3]
	v_cndmask_b32_sdwa v16, v56, v19, vcc dst_sel:DWORD dst_unused:UNUSED_PAD src0_sel:DWORD src1_sel:WORD_1
	;; [unrolled: 5-line block ×3, first 2 shown]
	v_perm_b32 v20, v16, v15, s20
.LBB159_35:                             ;   in Loop: Header=BB159_30 Depth=1
	s_or_b64 exec, exec, s[12:13]
	v_add_co_u32_e32 v15, vcc, 0x1000, v13
	v_addc_co_u32_e32 v16, vcc, 0, v14, vcc
	global_load_dwordx4 v[21:24], v[15:16], off
	s_and_saveexec_b64 s[12:13], s[0:1]
	s_cbranch_execz .LBB159_37
; %bb.36:                               ;   in Loop: Header=BB159_30 Depth=1
	v_cmp_gt_i32_e32 vcc, s15, v45
	s_waitcnt vmcnt(0)
	v_cndmask_b32_sdwa v15, v56, v21, vcc dst_sel:DWORD dst_unused:UNUSED_PAD src0_sel:DWORD src1_sel:WORD_1
	v_cmp_gt_i32_e32 vcc, s33, v59
	v_cndmask_b32_e32 v16, 0, v21, vcc
	v_cmp_gt_i32_e32 vcc, s15, v47
	v_cmp_gt_i32_e64 s[2:3], s33, v43
	v_perm_b32 v21, v15, v16, s20
	v_cndmask_b32_e64 v15, 0, v22, s[2:3]
	v_cndmask_b32_sdwa v16, v56, v22, vcc dst_sel:DWORD dst_unused:UNUSED_PAD src0_sel:DWORD src1_sel:WORD_1
	v_cmp_gt_i32_e32 vcc, s15, v62
	v_cmp_gt_i32_e64 s[2:3], s33, v63
	v_perm_b32 v22, v16, v15, s20
	v_cndmask_b32_e64 v15, 0, v23, s[2:3]
	v_cndmask_b32_sdwa v16, v56, v23, vcc dst_sel:DWORD dst_unused:UNUSED_PAD src0_sel:DWORD src1_sel:WORD_1
	v_cmp_gt_i32_e32 vcc, s15, v0
	v_cmp_gt_i32_e64 s[2:3], s33, v61
	v_perm_b32 v23, v16, v15, s20
	v_cndmask_b32_e64 v15, 0, v24, s[2:3]
	v_cndmask_b32_sdwa v16, v56, v24, vcc dst_sel:DWORD dst_unused:UNUSED_PAD src0_sel:DWORD src1_sel:WORD_1
	v_perm_b32 v24, v16, v15, s20
.LBB159_37:                             ;   in Loop: Header=BB159_30 Depth=1
	s_or_b64 exec, exec, s[12:13]
	v_add_co_u32_e32 v15, vcc, 0x1000, v13
	v_addc_co_u32_e32 v16, vcc, 0, v14, vcc
	global_load_dwordx4 v[29:32], v[15:16], off offset:1024
	s_and_saveexec_b64 s[12:13], s[0:1]
	s_cbranch_execz .LBB159_39
; %bb.38:                               ;   in Loop: Header=BB159_30 Depth=1
	v_cmp_gt_i32_e32 vcc, s15, v45
	s_waitcnt vmcnt(0)
	v_cndmask_b32_sdwa v15, v56, v29, vcc dst_sel:DWORD dst_unused:UNUSED_PAD src0_sel:DWORD src1_sel:WORD_1
	v_cmp_gt_i32_e32 vcc, s33, v59
	v_cndmask_b32_e32 v16, 0, v29, vcc
	v_cmp_gt_i32_e32 vcc, s15, v47
	v_cmp_gt_i32_e64 s[2:3], s33, v43
	v_perm_b32 v29, v15, v16, s20
	v_cndmask_b32_e64 v15, 0, v30, s[2:3]
	v_cndmask_b32_sdwa v16, v56, v30, vcc dst_sel:DWORD dst_unused:UNUSED_PAD src0_sel:DWORD src1_sel:WORD_1
	v_cmp_gt_i32_e32 vcc, s15, v62
	v_cmp_gt_i32_e64 s[2:3], s33, v63
	v_perm_b32 v30, v16, v15, s20
	v_cndmask_b32_e64 v15, 0, v31, s[2:3]
	v_cndmask_b32_sdwa v16, v56, v31, vcc dst_sel:DWORD dst_unused:UNUSED_PAD src0_sel:DWORD src1_sel:WORD_1
	v_cmp_gt_i32_e32 vcc, s15, v0
	v_cmp_gt_i32_e64 s[2:3], s33, v61
	v_perm_b32 v31, v16, v15, s20
	v_cndmask_b32_e64 v15, 0, v32, s[2:3]
	v_cndmask_b32_sdwa v16, v56, v32, vcc dst_sel:DWORD dst_unused:UNUSED_PAD src0_sel:DWORD src1_sel:WORD_1
	v_perm_b32 v32, v16, v15, s20
.LBB159_39:                             ;   in Loop: Header=BB159_30 Depth=1
	s_or_b64 exec, exec, s[12:13]
	v_add_co_u32_e32 v15, vcc, 0x1000, v13
	v_addc_co_u32_e32 v16, vcc, 0, v14, vcc
	global_load_dwordx4 v[37:40], v[15:16], off offset:2048
	;; [unrolled: 29-line block ×3, first 2 shown]
	s_and_saveexec_b64 s[2:3], s[0:1]
	s_cbranch_execz .LBB159_29
; %bb.42:                               ;   in Loop: Header=BB159_30 Depth=1
	v_cmp_gt_i32_e32 vcc, s15, v45
	s_waitcnt vmcnt(0)
	v_cndmask_b32_sdwa v45, v56, v13, vcc dst_sel:DWORD dst_unused:UNUSED_PAD src0_sel:DWORD src1_sel:WORD_1
	v_cmp_gt_i32_e32 vcc, s33, v59
	v_cndmask_b32_e32 v13, 0, v13, vcc
	v_cmp_gt_i32_e32 vcc, s15, v47
	v_cmp_gt_i32_e64 s[0:1], s33, v43
	v_cndmask_b32_e64 v43, 0, v14, s[0:1]
	v_cndmask_b32_sdwa v14, v56, v14, vcc dst_sel:DWORD dst_unused:UNUSED_PAD src0_sel:DWORD src1_sel:WORD_1
	v_cmp_gt_i32_e32 vcc, s15, v62
	v_cmp_gt_i32_e64 s[0:1], s33, v63
	v_perm_b32 v14, v14, v43, s20
	v_cndmask_b32_e64 v43, 0, v15, s[0:1]
	v_cndmask_b32_sdwa v15, v56, v15, vcc dst_sel:DWORD dst_unused:UNUSED_PAD src0_sel:DWORD src1_sel:WORD_1
	v_cmp_gt_i32_e32 vcc, s15, v0
	v_cmp_gt_i32_e64 s[0:1], s33, v61
	v_cndmask_b32_e64 v0, 0, v16, s[0:1]
	v_cndmask_b32_sdwa v16, v56, v16, vcc dst_sel:DWORD dst_unused:UNUSED_PAD src0_sel:DWORD src1_sel:WORD_1
	v_perm_b32 v13, v45, v13, s20
	v_perm_b32 v15, v15, v43, s20
	;; [unrolled: 1-line block ×3, first 2 shown]
	s_branch .LBB159_29
.LBB159_43:                             ;   in Loop: Header=BB159_30 Depth=1
	v_cmp_gt_i32_e32 vcc, s15, v45
	s_waitcnt vmcnt(0)
	v_cndmask_b32_sdwa v5, v56, v1, vcc dst_sel:DWORD dst_unused:UNUSED_PAD src0_sel:DWORD src1_sel:WORD_1
	v_cmp_gt_i32_e32 vcc, s33, v59
	v_cndmask_b32_e32 v1, 0, v1, vcc
	v_cmp_gt_i32_e32 vcc, s15, v47
	v_cmp_gt_i32_e64 s[2:3], s33, v43
	v_perm_b32 v1, v5, v1, s20
	v_cndmask_b32_e64 v5, 0, v2, s[2:3]
	v_cndmask_b32_sdwa v2, v56, v2, vcc dst_sel:DWORD dst_unused:UNUSED_PAD src0_sel:DWORD src1_sel:WORD_1
	v_cmp_gt_i32_e32 vcc, s15, v62
	v_cmp_gt_i32_e64 s[2:3], s33, v63
	v_perm_b32 v2, v2, v5, s20
	v_cndmask_b32_e64 v5, 0, v3, s[2:3]
	v_cndmask_b32_sdwa v3, v56, v3, vcc dst_sel:DWORD dst_unused:UNUSED_PAD src0_sel:DWORD src1_sel:WORD_1
	;; [unrolled: 5-line block ×3, first 2 shown]
	v_perm_b32 v4, v4, v5, s20
	s_or_b64 exec, exec, s[12:13]
	global_load_dwordx4 v[5:8], v[13:14], off offset:1024
	s_and_saveexec_b64 s[12:13], s[0:1]
	s_cbranch_execz .LBB159_32
.LBB159_44:                             ;   in Loop: Header=BB159_30 Depth=1
	v_cmp_gt_i32_e32 vcc, s15, v45
	s_waitcnt vmcnt(0)
	v_cndmask_b32_sdwa v9, v56, v5, vcc dst_sel:DWORD dst_unused:UNUSED_PAD src0_sel:DWORD src1_sel:WORD_1
	v_cmp_gt_i32_e32 vcc, s33, v59
	v_cndmask_b32_e32 v5, 0, v5, vcc
	v_cmp_gt_i32_e32 vcc, s15, v47
	v_cmp_gt_i32_e64 s[2:3], s33, v43
	v_perm_b32 v5, v9, v5, s20
	v_cndmask_b32_e64 v9, 0, v6, s[2:3]
	v_cndmask_b32_sdwa v6, v56, v6, vcc dst_sel:DWORD dst_unused:UNUSED_PAD src0_sel:DWORD src1_sel:WORD_1
	v_cmp_gt_i32_e32 vcc, s15, v62
	v_cmp_gt_i32_e64 s[2:3], s33, v63
	v_perm_b32 v6, v6, v9, s20
	v_cndmask_b32_e64 v9, 0, v7, s[2:3]
	v_cndmask_b32_sdwa v7, v56, v7, vcc dst_sel:DWORD dst_unused:UNUSED_PAD src0_sel:DWORD src1_sel:WORD_1
	;; [unrolled: 5-line block ×3, first 2 shown]
	v_perm_b32 v8, v8, v9, s20
	s_or_b64 exec, exec, s[12:13]
	global_load_dwordx4 v[9:12], v[13:14], off offset:2048
	s_and_saveexec_b64 s[12:13], s[0:1]
	s_cbranch_execz .LBB159_33
.LBB159_45:                             ;   in Loop: Header=BB159_30 Depth=1
	v_cmp_gt_i32_e32 vcc, s15, v45
	s_waitcnt vmcnt(0)
	v_cndmask_b32_sdwa v15, v56, v9, vcc dst_sel:DWORD dst_unused:UNUSED_PAD src0_sel:DWORD src1_sel:WORD_1
	v_cmp_gt_i32_e32 vcc, s33, v59
	v_cndmask_b32_e32 v9, 0, v9, vcc
	v_cmp_gt_i32_e32 vcc, s15, v47
	v_cmp_gt_i32_e64 s[2:3], s33, v43
	v_perm_b32 v9, v15, v9, s20
	v_cndmask_b32_e64 v15, 0, v10, s[2:3]
	v_cndmask_b32_sdwa v10, v56, v10, vcc dst_sel:DWORD dst_unused:UNUSED_PAD src0_sel:DWORD src1_sel:WORD_1
	v_cmp_gt_i32_e32 vcc, s15, v62
	v_cmp_gt_i32_e64 s[2:3], s33, v63
	v_perm_b32 v10, v10, v15, s20
	v_cndmask_b32_e64 v15, 0, v11, s[2:3]
	v_cndmask_b32_sdwa v11, v56, v11, vcc dst_sel:DWORD dst_unused:UNUSED_PAD src0_sel:DWORD src1_sel:WORD_1
	;; [unrolled: 5-line block ×3, first 2 shown]
	v_perm_b32 v12, v12, v15, s20
	s_or_b64 exec, exec, s[12:13]
	global_load_dwordx4 v[17:20], v[13:14], off offset:3072
	s_and_saveexec_b64 s[12:13], s[0:1]
	s_cbranch_execnz .LBB159_34
	s_branch .LBB159_35
.LBB159_46:
	s_or_b64 exec, exec, s[6:7]
	buffer_load_dword v15, off, s[36:39], 0 offset:184 ; 4-byte Folded Reload
	buffer_load_dword v16, off, s[36:39], 0 ; 4-byte Folded Reload
	buffer_load_dword v11, off, s[36:39], 0 offset:4 ; 4-byte Folded Reload
	buffer_load_dword v17, off, s[36:39], 0 offset:8 ; 4-byte Folded Reload
.LBB159_47:
	s_or_b64 exec, exec, s[4:5]
	s_waitcnt vmcnt(1)
	ds_bpermute_b32 v0, v11, v54
	ds_bpermute_b32 v1, v11, v55
	;; [unrolled: 1-line block ×5, first 2 shown]
	s_waitcnt lgkmcnt(4)
	v_add_f32_e32 v0, v54, v0
	s_waitcnt lgkmcnt(3)
	v_add_f32_e32 v1, v55, v1
	ds_bpermute_b32 v3, v46, v0
	s_waitcnt lgkmcnt(3)
	v_add_f32_e32 v6, v53, v2
	ds_bpermute_b32 v5, v46, v1
	ds_bpermute_b32 v7, v46, v6
	s_waitcnt lgkmcnt(4)
	v_add_f32_e32 v9, v48, v9
	s_waitcnt lgkmcnt(2)
	v_add_f32_e32 v4, v0, v3
	ds_bpermute_b32 v0, v11, v51
	s_waitcnt lgkmcnt(2)
	v_add_f32_e32 v2, v1, v5
	s_waitcnt lgkmcnt(1)
	v_add_f32_e32 v1, v6, v7
	ds_bpermute_b32 v6, v11, v50
	ds_bpermute_b32 v7, v11, v49
	s_waitcnt lgkmcnt(2)
	v_add_f32_e32 v0, v51, v0
	v_add_f32_e32 v3, v52, v8
	ds_bpermute_b32 v8, v46, v0
	s_waitcnt lgkmcnt(2)
	v_add_f32_e32 v10, v50, v6
	s_waitcnt lgkmcnt(1)
	v_add_f32_e32 v12, v49, v7
	ds_bpermute_b32 v14, v46, v9
	ds_bpermute_b32 v5, v46, v3
	;; [unrolled: 1-line block ×4, first 2 shown]
	s_waitcnt lgkmcnt(4)
	v_add_f32_e32 v6, v0, v8
	s_waitcnt lgkmcnt(3)
	v_add_f32_e32 v0, v9, v14
	v_and_b32_e32 v9, 0x3c3, v15
	s_waitcnt lgkmcnt(2)
	v_add_f32_e32 v7, v3, v5
	s_waitcnt lgkmcnt(1)
	v_add_f32_e32 v5, v10, v11
	;; [unrolled: 2-line block ×3, first 2 shown]
	v_cmp_eq_u32_e32 vcc, 64, v9
	s_waitcnt vmcnt(0)
	s_barrier
	s_and_saveexec_b64 s[0:1], vcc
	s_cbranch_execz .LBB159_49
; %bb.48:
	v_add_u32_e32 v8, 0x110, v16
	ds_write2_b32 v8, v4, v2 offset1:16
	ds_write2_b32 v8, v1, v7 offset0:32 offset1:48
	ds_write2_b32 v8, v6, v5 offset0:64 offset1:80
	ds_write2_b32 v8, v3, v0 offset0:96 offset1:112
.LBB159_49:
	s_or_b64 exec, exec, s[0:1]
	v_cmp_gt_u32_e32 vcc, 64, v15
	v_lshrrev_b32_e32 v8, 2, v15
	s_waitcnt lgkmcnt(0)
	s_barrier
	s_and_saveexec_b64 s[0:1], vcc
	s_cbranch_execz .LBB159_60
; %bb.50:
	v_mov_b32_e32 v10, 0x110
	v_cmp_eq_u32_e32 vcc, 0, v17
	v_lshl_add_u32 v10, v8, 2, v10
	s_and_saveexec_b64 s[2:3], vcc
	s_cbranch_execnz .LBB159_63
; %bb.51:
	s_or_b64 exec, exec, s[2:3]
	s_and_saveexec_b64 s[2:3], vcc
	s_cbranch_execnz .LBB159_64
.LBB159_52:
	s_or_b64 exec, exec, s[2:3]
	s_and_saveexec_b64 s[2:3], vcc
	s_cbranch_execnz .LBB159_65
.LBB159_53:
	s_or_b64 exec, exec, s[2:3]
	s_and_saveexec_b64 s[2:3], vcc
	s_cbranch_execnz .LBB159_66
.LBB159_54:
	s_or_b64 exec, exec, s[2:3]
	s_and_saveexec_b64 s[2:3], vcc
	s_cbranch_execnz .LBB159_67
.LBB159_55:
	s_or_b64 exec, exec, s[2:3]
	s_and_saveexec_b64 s[2:3], vcc
	s_cbranch_execnz .LBB159_68
.LBB159_56:
	s_or_b64 exec, exec, s[2:3]
	s_and_saveexec_b64 s[2:3], vcc
	s_cbranch_execnz .LBB159_69
.LBB159_57:
	s_or_b64 exec, exec, s[2:3]
	s_and_saveexec_b64 s[2:3], vcc
	s_cbranch_execz .LBB159_59
.LBB159_58:
	ds_read_b32 v10, v10 offset:448
	s_waitcnt lgkmcnt(0)
	v_add_f32_e32 v0, v0, v10
.LBB159_59:
	s_or_b64 exec, exec, s[2:3]
.LBB159_60:
	s_or_b64 exec, exec, s[0:1]
	v_cmp_eq_u32_e32 vcc, 0, v9
	s_barrier
	s_and_saveexec_b64 s[0:1], vcc
	s_cbranch_execz .LBB159_62
; %bb.61:
	s_mul_i32 s0, s10, s11
	s_mul_i32 s0, s0, s9
	s_lshl_b32 s0, s0, 7
	s_ashr_i32 s1, s0, 31
	s_lshl_b64 s[0:1], s[0:1], 1
	s_add_u32 s2, s18, s0
	s_mul_i32 s0, s11, s16
	s_addc_u32 s3, s19, s1
	s_ashr_i32 s1, s0, 31
	s_lshl_b64 s[0:1], s[0:1], 1
	s_add_u32 s2, s2, s0
	s_addc_u32 s3, s3, s1
	s_lshl_b32 s0, s8, 7
	s_ashr_i32 s1, s0, 31
	s_lshl_b64 s[0:1], s[0:1], 1
	s_add_u32 s0, s2, s0
	v_bfe_u32 v9, v4, 16, 1
	s_movk_i32 s2, 0x7fff
	v_add3_u32 v9, v9, v4, s2
	v_or_b32_e32 v10, 0x400000, v4
	v_cmp_u_f32_e32 vcc, v4, v4
	s_addc_u32 s1, s3, s1
	v_lshlrev_b32_e32 v8, 1, v8
	v_cndmask_b32_e32 v4, v9, v10, vcc
	global_store_short_d16_hi v8, v4, s[0:1]
	v_bfe_u32 v4, v2, 16, 1
	v_add3_u32 v4, v4, v2, s2
	v_or_b32_e32 v9, 0x400000, v2
	v_cmp_u_f32_e32 vcc, v2, v2
	v_cndmask_b32_e32 v2, v4, v9, vcc
	global_store_short_d16_hi v8, v2, s[0:1] offset:32
	v_bfe_u32 v2, v1, 16, 1
	v_add3_u32 v2, v2, v1, s2
	v_or_b32_e32 v4, 0x400000, v1
	v_cmp_u_f32_e32 vcc, v1, v1
	v_cndmask_b32_e32 v1, v2, v4, vcc
	global_store_short_d16_hi v8, v1, s[0:1] offset:64
	;; [unrolled: 6-line block ×7, first 2 shown]
.LBB159_62:
	s_endpgm
.LBB159_63:
	ds_read_b32 v11, v10
	s_waitcnt lgkmcnt(0)
	v_add_f32_e32 v4, v4, v11
	s_or_b64 exec, exec, s[2:3]
	s_and_saveexec_b64 s[2:3], vcc
	s_cbranch_execz .LBB159_52
.LBB159_64:
	ds_read_b32 v11, v10 offset:64
	s_waitcnt lgkmcnt(0)
	v_add_f32_e32 v2, v2, v11
	s_or_b64 exec, exec, s[2:3]
	s_and_saveexec_b64 s[2:3], vcc
	s_cbranch_execz .LBB159_53
.LBB159_65:
	ds_read_b32 v11, v10 offset:128
	s_waitcnt lgkmcnt(0)
	v_add_f32_e32 v1, v1, v11
	s_or_b64 exec, exec, s[2:3]
	s_and_saveexec_b64 s[2:3], vcc
	s_cbranch_execz .LBB159_54
.LBB159_66:
	ds_read_b32 v11, v10 offset:192
	s_waitcnt lgkmcnt(0)
	v_add_f32_e32 v7, v7, v11
	s_or_b64 exec, exec, s[2:3]
	s_and_saveexec_b64 s[2:3], vcc
	s_cbranch_execz .LBB159_55
.LBB159_67:
	ds_read_b32 v11, v10 offset:256
	s_waitcnt lgkmcnt(0)
	v_add_f32_e32 v6, v6, v11
	s_or_b64 exec, exec, s[2:3]
	s_and_saveexec_b64 s[2:3], vcc
	s_cbranch_execz .LBB159_56
.LBB159_68:
	ds_read_b32 v11, v10 offset:320
	s_waitcnt lgkmcnt(0)
	v_add_f32_e32 v5, v5, v11
	s_or_b64 exec, exec, s[2:3]
	s_and_saveexec_b64 s[2:3], vcc
	s_cbranch_execz .LBB159_57
.LBB159_69:
	ds_read_b32 v11, v10 offset:384
	s_waitcnt lgkmcnt(0)
	v_add_f32_e32 v3, v3, v11
	s_or_b64 exec, exec, s[2:3]
	s_and_saveexec_b64 s[2:3], vcc
	s_cbranch_execnz .LBB159_58
	s_branch .LBB159_59
	.section	.rodata,"a",@progbits
	.p2align	6, 0x0
	.amdhsa_kernel _ZN4vllm25paged_attention_v1_kernelI14__hip_bfloat16S1_Li128ELi32ELi128ELNS_18Fp8KVCacheDataTypeE0ELb0EEEvPT_PKS3_PKT0_S9_ifPKiSB_iPKfiiiSD_SD_iiiii
		.amdhsa_group_segment_fixed_size 272
		.amdhsa_private_segment_fixed_size 212
		.amdhsa_kernarg_size 384
		.amdhsa_user_sgpr_count 6
		.amdhsa_user_sgpr_private_segment_buffer 1
		.amdhsa_user_sgpr_dispatch_ptr 0
		.amdhsa_user_sgpr_queue_ptr 0
		.amdhsa_user_sgpr_kernarg_segment_ptr 1
		.amdhsa_user_sgpr_dispatch_id 0
		.amdhsa_user_sgpr_flat_scratch_init 0
		.amdhsa_user_sgpr_private_segment_size 0
		.amdhsa_uses_dynamic_stack 0
		.amdhsa_system_sgpr_private_segment_wavefront_offset 1
		.amdhsa_system_sgpr_workgroup_id_x 1
		.amdhsa_system_sgpr_workgroup_id_y 1
		.amdhsa_system_sgpr_workgroup_id_z 1
		.amdhsa_system_sgpr_workgroup_info 0
		.amdhsa_system_vgpr_workitem_id 0
		.amdhsa_next_free_vgpr 64
		.amdhsa_next_free_sgpr 40
		.amdhsa_reserve_vcc 1
		.amdhsa_reserve_flat_scratch 0
		.amdhsa_float_round_mode_32 0
		.amdhsa_float_round_mode_16_64 0
		.amdhsa_float_denorm_mode_32 3
		.amdhsa_float_denorm_mode_16_64 3
		.amdhsa_dx10_clamp 1
		.amdhsa_ieee_mode 1
		.amdhsa_fp16_overflow 0
		.amdhsa_exception_fp_ieee_invalid_op 0
		.amdhsa_exception_fp_denorm_src 0
		.amdhsa_exception_fp_ieee_div_zero 0
		.amdhsa_exception_fp_ieee_overflow 0
		.amdhsa_exception_fp_ieee_underflow 0
		.amdhsa_exception_fp_ieee_inexact 0
		.amdhsa_exception_int_div_zero 0
	.end_amdhsa_kernel
	.section	.text._ZN4vllm25paged_attention_v1_kernelI14__hip_bfloat16S1_Li128ELi32ELi128ELNS_18Fp8KVCacheDataTypeE0ELb0EEEvPT_PKS3_PKT0_S9_ifPKiSB_iPKfiiiSD_SD_iiiii,"axG",@progbits,_ZN4vllm25paged_attention_v1_kernelI14__hip_bfloat16S1_Li128ELi32ELi128ELNS_18Fp8KVCacheDataTypeE0ELb0EEEvPT_PKS3_PKT0_S9_ifPKiSB_iPKfiiiSD_SD_iiiii,comdat
.Lfunc_end159:
	.size	_ZN4vllm25paged_attention_v1_kernelI14__hip_bfloat16S1_Li128ELi32ELi128ELNS_18Fp8KVCacheDataTypeE0ELb0EEEvPT_PKS3_PKT0_S9_ifPKiSB_iPKfiiiSD_SD_iiiii, .Lfunc_end159-_ZN4vllm25paged_attention_v1_kernelI14__hip_bfloat16S1_Li128ELi32ELi128ELNS_18Fp8KVCacheDataTypeE0ELb0EEEvPT_PKS3_PKT0_S9_ifPKiSB_iPKfiiiSD_SD_iiiii
                                        ; -- End function
	.set _ZN4vllm25paged_attention_v1_kernelI14__hip_bfloat16S1_Li128ELi32ELi128ELNS_18Fp8KVCacheDataTypeE0ELb0EEEvPT_PKS3_PKT0_S9_ifPKiSB_iPKfiiiSD_SD_iiiii.num_vgpr, 64
	.set _ZN4vllm25paged_attention_v1_kernelI14__hip_bfloat16S1_Li128ELi32ELi128ELNS_18Fp8KVCacheDataTypeE0ELb0EEEvPT_PKS3_PKT0_S9_ifPKiSB_iPKfiiiSD_SD_iiiii.num_agpr, 0
	.set _ZN4vllm25paged_attention_v1_kernelI14__hip_bfloat16S1_Li128ELi32ELi128ELNS_18Fp8KVCacheDataTypeE0ELb0EEEvPT_PKS3_PKT0_S9_ifPKiSB_iPKfiiiSD_SD_iiiii.numbered_sgpr, 40
	.set _ZN4vllm25paged_attention_v1_kernelI14__hip_bfloat16S1_Li128ELi32ELi128ELNS_18Fp8KVCacheDataTypeE0ELb0EEEvPT_PKS3_PKT0_S9_ifPKiSB_iPKfiiiSD_SD_iiiii.num_named_barrier, 0
	.set _ZN4vllm25paged_attention_v1_kernelI14__hip_bfloat16S1_Li128ELi32ELi128ELNS_18Fp8KVCacheDataTypeE0ELb0EEEvPT_PKS3_PKT0_S9_ifPKiSB_iPKfiiiSD_SD_iiiii.private_seg_size, 212
	.set _ZN4vllm25paged_attention_v1_kernelI14__hip_bfloat16S1_Li128ELi32ELi128ELNS_18Fp8KVCacheDataTypeE0ELb0EEEvPT_PKS3_PKT0_S9_ifPKiSB_iPKfiiiSD_SD_iiiii.uses_vcc, 1
	.set _ZN4vllm25paged_attention_v1_kernelI14__hip_bfloat16S1_Li128ELi32ELi128ELNS_18Fp8KVCacheDataTypeE0ELb0EEEvPT_PKS3_PKT0_S9_ifPKiSB_iPKfiiiSD_SD_iiiii.uses_flat_scratch, 0
	.set _ZN4vllm25paged_attention_v1_kernelI14__hip_bfloat16S1_Li128ELi32ELi128ELNS_18Fp8KVCacheDataTypeE0ELb0EEEvPT_PKS3_PKT0_S9_ifPKiSB_iPKfiiiSD_SD_iiiii.has_dyn_sized_stack, 0
	.set _ZN4vllm25paged_attention_v1_kernelI14__hip_bfloat16S1_Li128ELi32ELi128ELNS_18Fp8KVCacheDataTypeE0ELb0EEEvPT_PKS3_PKT0_S9_ifPKiSB_iPKfiiiSD_SD_iiiii.has_recursion, 0
	.set _ZN4vllm25paged_attention_v1_kernelI14__hip_bfloat16S1_Li128ELi32ELi128ELNS_18Fp8KVCacheDataTypeE0ELb0EEEvPT_PKS3_PKT0_S9_ifPKiSB_iPKfiiiSD_SD_iiiii.has_indirect_call, 0
	.section	.AMDGPU.csdata,"",@progbits
; Kernel info:
; codeLenInByte = 10868
; TotalNumSgprs: 44
; NumVgprs: 64
; ScratchSize: 212
; MemoryBound: 0
; FloatMode: 240
; IeeeMode: 1
; LDSByteSize: 272 bytes/workgroup (compile time only)
; SGPRBlocks: 5
; VGPRBlocks: 15
; NumSGPRsForWavesPerEU: 44
; NumVGPRsForWavesPerEU: 64
; Occupancy: 4
; WaveLimiterHint : 1
; COMPUTE_PGM_RSRC2:SCRATCH_EN: 1
; COMPUTE_PGM_RSRC2:USER_SGPR: 6
; COMPUTE_PGM_RSRC2:TRAP_HANDLER: 0
; COMPUTE_PGM_RSRC2:TGID_X_EN: 1
; COMPUTE_PGM_RSRC2:TGID_Y_EN: 1
; COMPUTE_PGM_RSRC2:TGID_Z_EN: 1
; COMPUTE_PGM_RSRC2:TIDIG_COMP_CNT: 0
	.section	.text._ZN4vllm25paged_attention_v1_kernelI14__hip_bfloat16S1_Li192ELi32ELi128ELNS_18Fp8KVCacheDataTypeE0ELb0EEEvPT_PKS3_PKT0_S9_ifPKiSB_iPKfiiiSD_SD_iiiii,"axG",@progbits,_ZN4vllm25paged_attention_v1_kernelI14__hip_bfloat16S1_Li192ELi32ELi128ELNS_18Fp8KVCacheDataTypeE0ELb0EEEvPT_PKS3_PKT0_S9_ifPKiSB_iPKfiiiSD_SD_iiiii,comdat
	.protected	_ZN4vllm25paged_attention_v1_kernelI14__hip_bfloat16S1_Li192ELi32ELi128ELNS_18Fp8KVCacheDataTypeE0ELb0EEEvPT_PKS3_PKT0_S9_ifPKiSB_iPKfiiiSD_SD_iiiii ; -- Begin function _ZN4vllm25paged_attention_v1_kernelI14__hip_bfloat16S1_Li192ELi32ELi128ELNS_18Fp8KVCacheDataTypeE0ELb0EEEvPT_PKS3_PKT0_S9_ifPKiSB_iPKfiiiSD_SD_iiiii
	.globl	_ZN4vllm25paged_attention_v1_kernelI14__hip_bfloat16S1_Li192ELi32ELi128ELNS_18Fp8KVCacheDataTypeE0ELb0EEEvPT_PKS3_PKT0_S9_ifPKiSB_iPKfiiiSD_SD_iiiii
	.p2align	8
	.type	_ZN4vllm25paged_attention_v1_kernelI14__hip_bfloat16S1_Li192ELi32ELi128ELNS_18Fp8KVCacheDataTypeE0ELb0EEEvPT_PKS3_PKT0_S9_ifPKiSB_iPKfiiiSD_SD_iiiii,@function
_ZN4vllm25paged_attention_v1_kernelI14__hip_bfloat16S1_Li192ELi32ELi128ELNS_18Fp8KVCacheDataTypeE0ELb0EEEvPT_PKS3_PKT0_S9_ifPKiSB_iPKfiiiSD_SD_iiiii: ; @_ZN4vllm25paged_attention_v1_kernelI14__hip_bfloat16S1_Li192ELi32ELi128ELNS_18Fp8KVCacheDataTypeE0ELb0EEEvPT_PKS3_PKT0_S9_ifPKiSB_iPKfiiiSD_SD_iiiii
; %bb.0:
	s_mov_b64 s[38:39], s[2:3]
	s_mov_b64 s[36:37], s[0:1]
	s_add_u32 s36, s36, s9
	s_load_dword s9, s[4:5], 0x80
	s_load_dwordx2 s[0:1], s[4:5], 0x30
	s_load_dwordx2 s[26:27], s[4:5], 0x20
	s_addc_u32 s37, s37, 0
	s_mov_b32 s10, s7
	s_ashr_i32 s11, s7, 31
	s_lshl_b64 s[2:3], s[10:11], 2
	s_waitcnt lgkmcnt(0)
	s_add_u32 s0, s0, s2
	s_addc_u32 s1, s1, s3
	s_abs_i32 s2, s26
	v_mov_b32_e32 v19, v0
	v_cvt_f32_u32_e32 v0, s2
	s_sub_i32 s11, 0, s2
	s_abs_i32 s7, s9
	s_xor_b32 s3, s9, s26
	v_rcp_iflag_f32_e32 v0, v0
	s_ashr_i32 s3, s3, 31
	s_mov_b32 s26, 0
	v_mul_f32_e32 v0, 0x4f7ffffe, v0
	v_cvt_u32_f32_e32 v0, v0
	v_readfirstlane_b32 s12, v0
	s_mul_i32 s11, s11, s12
	s_mul_hi_u32 s11, s12, s11
	s_add_i32 s12, s12, s11
	s_mul_hi_u32 s11, s7, s12
	s_mul_i32 s12, s11, s2
	s_sub_i32 s7, s7, s12
	s_add_i32 s12, s11, 1
	s_sub_i32 s13, s7, s2
	s_cmp_ge_u32 s7, s2
	s_cselect_b32 s11, s12, s11
	s_cselect_b32 s7, s13, s7
	s_add_i32 s12, s11, 1
	s_cmp_ge_u32 s7, s2
	s_cselect_b32 s2, s12, s11
	s_xor_b32 s2, s2, s3
	s_sub_i32 s12, s2, s3
	s_abs_i32 s11, s12
	v_cvt_f32_u32_e32 v0, s11
	s_load_dwordx2 s[2:3], s[4:5], 0x40
	s_sub_i32 s7, 0, s11
	s_abs_i32 s18, s6
	v_rcp_iflag_f32_e32 v0, v0
	v_mul_f32_e32 v0, 0x4f7ffffe, v0
	v_cvt_u32_f32_e32 v0, v0
	v_readfirstlane_b32 s13, v0
	s_mul_i32 s7, s7, s13
	s_mul_hi_u32 s7, s13, s7
	s_add_i32 s13, s13, s7
	s_waitcnt lgkmcnt(0)
	s_cmp_eq_u64 s[2:3], 0
	s_mul_hi_u32 s19, s18, s13
	s_cbranch_scc1 .LBB160_2
; %bb.1:
	s_ashr_i32 s7, s6, 31
	s_lshl_b64 s[14:15], s[6:7], 2
	s_add_u32 s2, s2, s14
	s_addc_u32 s3, s3, s15
	s_load_dword s26, s[2:3], 0x0
.LBB160_2:
	s_load_dword s33, s[0:1], 0x0
	s_ashr_i32 s3, s12, 31
	s_load_dwordx4 s[12:15], s[4:5], 0x48
	s_ashr_i32 s2, s6, 31
	v_and_b32_e32 v1, 1, v19
	s_movk_i32 s7, 0xc0
	s_mul_i32 s16, s6, 0xc0
	v_cmp_gt_u32_e32 vcc, 48, v19
	v_lshlrev_b32_e32 v12, 3, v19
	s_and_saveexec_b64 s[0:1], vcc
	s_cbranch_execz .LBB160_4
; %bb.3:
	s_load_dwordx2 s[20:21], s[4:5], 0x8
	s_waitcnt lgkmcnt(0)
	s_mul_i32 s22, s12, s10
	s_ashr_i32 s23, s22, 31
	s_lshl_b64 s[22:23], s[22:23], 1
	v_lshlrev_b32_e32 v0, 2, v19
	s_add_u32 s6, s20, s22
	s_addc_u32 s12, s21, s23
	s_ashr_i32 s17, s16, 31
	s_lshl_b64 s[20:21], s[16:17], 1
	s_add_u32 s20, s6, s20
	s_addc_u32 s21, s12, s21
	global_load_dwordx2 v[2:3], v12, s[20:21]
	v_and_b32_e32 v0, 0xff8, v0
	v_mad_u32_u24 v0, v1, s7, v0
	s_waitcnt vmcnt(0)
	ds_write_b64 v0, v[2:3]
.LBB160_4:
	s_or_b64 exec, exec, s[0:1]
	s_waitcnt lgkmcnt(0)
	s_add_i32 s1, s33, 31
	s_ashr_i32 s6, s1, 31
	s_lshr_b32 s6, s6, 27
	s_add_i32 s1, s1, s6
	s_ashr_i32 s17, s1, 5
	s_xor_b32 s1, s2, s3
	s_mul_i32 s2, s19, s11
	s_sub_i32 s2, s18, s2
	s_add_i32 s3, s19, 1
	s_sub_i32 s6, s2, s11
	s_load_dwordx2 s[20:21], s[4:5], 0x28
	s_load_dword s0, s[4:5], 0x38
	s_cmp_ge_u32 s2, s11
	s_cselect_b32 s3, s3, s19
	s_cselect_b32 s2, s6, s2
	s_add_i32 s6, s3, 1
	s_cmp_ge_u32 s2, s11
	s_cselect_b32 s2, s6, s3
	v_lshrrev_b32_e32 v57, 6, v19
	s_xor_b32 s2, s2, s1
	s_waitcnt lgkmcnt(0)
	s_mul_i32 s22, s0, s10
	s_sub_i32 s12, s2, s1
	s_ashr_i32 s23, s22, 31
	v_cmp_gt_i32_e64 s[0:1], s17, v57
	v_cmp_le_i32_e32 vcc, s17, v57
	v_mbcnt_lo_u32_b32 v3, -1, 0
	s_barrier
                                        ; implicit-def: $vgpr11
                                        ; implicit-def: $vgpr8
                                        ; implicit-def: $vgpr9
	s_and_saveexec_b64 s[2:3], vcc
	s_xor_b64 s[2:3], exec, s[2:3]
; %bb.5:
	v_mbcnt_hi_u32_b32 v11, -1, v3
	v_and_b32_e32 v8, 64, v11
	v_add_u32_e32 v9, 64, v8
                                        ; implicit-def: $vgpr1
                                        ; implicit-def: $vgpr3
; %bb.6:
	s_or_saveexec_b64 s[6:7], s[2:3]
	s_load_dwordx2 s[18:19], s[4:5], 0x0
	s_load_dwordx2 s[24:25], s[4:5], 0x18
	s_load_dword s11, s[4:5], 0x88
	v_mov_b32_e32 v52, 0xff7fffff
	s_mul_i32 s14, s12, s14
	v_lshrrev_b32_e32 v15, 4, v19
	buffer_store_dword v19, off, s[36:39], 0 offset:392 ; 4-byte Folded Spill
	s_xor_b64 exec, exec, s[6:7]
	s_cbranch_execz .LBB160_12
; %bb.7:
	v_mul_u32_u24_e32 v0, 0xc0, v1
	ds_read_b128 v[4:7], v0
	ds_read_b128 v[8:11], v0 offset:16
	s_load_dwordx2 s[2:3], s[4:5], 0x10
	s_ashr_i32 s15, s14, 31
	s_lshl_b64 s[4:5], s[14:15], 1
	s_waitcnt lgkmcnt(0)
	v_lshlrev_b32_e32 v2, 16, v4
	buffer_store_dword v2, off, s[36:39], 0 ; 4-byte Folded Spill
	v_and_b32_e32 v2, 0xffff0000, v4
	buffer_store_dword v2, off, s[36:39], 0 offset:20 ; 4-byte Folded Spill
	v_lshlrev_b32_e32 v2, 16, v5
	buffer_store_dword v2, off, s[36:39], 0 offset:24 ; 4-byte Folded Spill
	v_and_b32_e32 v2, 0xffff0000, v5
	buffer_store_dword v2, off, s[36:39], 0 offset:28 ; 4-byte Folded Spill
	v_lshlrev_b32_e32 v2, 16, v6
	buffer_store_dword v2, off, s[36:39], 0 offset:32 ; 4-byte Folded Spill
	;; [unrolled: 4-line block ×5, first 2 shown]
	v_and_b32_e32 v2, 0xffff0000, v9
	ds_read_b128 v[4:7], v0 offset:32
	buffer_store_dword v2, off, s[36:39], 0 offset:60 ; 4-byte Folded Spill
	v_lshlrev_b32_e32 v2, 16, v10
	buffer_store_dword v2, off, s[36:39], 0 offset:64 ; 4-byte Folded Spill
	v_and_b32_e32 v2, 0xffff0000, v10
	buffer_store_dword v2, off, s[36:39], 0 offset:68 ; 4-byte Folded Spill
	v_lshlrev_b32_e32 v2, 16, v11
	buffer_store_dword v2, off, s[36:39], 0 offset:72 ; 4-byte Folded Spill
	v_and_b32_e32 v2, 0xffff0000, v11
	buffer_store_dword v2, off, s[36:39], 0 offset:80 ; 4-byte Folded Spill
	ds_read_b128 v[8:11], v0 offset:48
	s_waitcnt lgkmcnt(1)
	v_lshlrev_b32_e32 v2, 16, v4
	buffer_store_dword v2, off, s[36:39], 0 offset:84 ; 4-byte Folded Spill
	v_and_b32_e32 v2, 0xffff0000, v4
	buffer_store_dword v2, off, s[36:39], 0 offset:88 ; 4-byte Folded Spill
	v_lshlrev_b32_e32 v2, 16, v5
	buffer_store_dword v2, off, s[36:39], 0 offset:92 ; 4-byte Folded Spill
	v_and_b32_e32 v2, 0xffff0000, v5
	buffer_store_dword v2, off, s[36:39], 0 offset:96 ; 4-byte Folded Spill
	;; [unrolled: 4-line block ×4, first 2 shown]
	s_waitcnt lgkmcnt(0)
	v_lshlrev_b32_e32 v2, 16, v8
	buffer_store_dword v2, off, s[36:39], 0 offset:116 ; 4-byte Folded Spill
	v_and_b32_e32 v2, 0xffff0000, v8
	buffer_store_dword v2, off, s[36:39], 0 offset:120 ; 4-byte Folded Spill
	v_lshlrev_b32_e32 v2, 16, v9
	buffer_store_dword v2, off, s[36:39], 0 offset:124 ; 4-byte Folded Spill
	v_and_b32_e32 v2, 0xffff0000, v9
	ds_read_b128 v[4:7], v0 offset:64
	buffer_store_dword v2, off, s[36:39], 0 offset:128 ; 4-byte Folded Spill
	v_lshlrev_b32_e32 v2, 16, v10
	buffer_store_dword v2, off, s[36:39], 0 offset:132 ; 4-byte Folded Spill
	v_and_b32_e32 v2, 0xffff0000, v10
	buffer_store_dword v2, off, s[36:39], 0 offset:136 ; 4-byte Folded Spill
	v_lshlrev_b32_e32 v2, 16, v11
	buffer_store_dword v2, off, s[36:39], 0 offset:140 ; 4-byte Folded Spill
	v_and_b32_e32 v2, 0xffff0000, v11
	buffer_store_dword v2, off, s[36:39], 0 offset:144 ; 4-byte Folded Spill
	ds_read_b128 v[8:11], v0 offset:80
	s_waitcnt lgkmcnt(1)
	v_lshlrev_b32_e32 v2, 16, v4
	buffer_store_dword v2, off, s[36:39], 0 offset:148 ; 4-byte Folded Spill
	v_and_b32_e32 v2, 0xffff0000, v4
	buffer_store_dword v2, off, s[36:39], 0 offset:152 ; 4-byte Folded Spill
	v_lshlrev_b32_e32 v2, 16, v5
	buffer_store_dword v2, off, s[36:39], 0 offset:156 ; 4-byte Folded Spill
	v_and_b32_e32 v2, 0xffff0000, v5
	buffer_store_dword v2, off, s[36:39], 0 offset:160 ; 4-byte Folded Spill
	;; [unrolled: 4-line block ×4, first 2 shown]
	s_waitcnt lgkmcnt(0)
	v_lshlrev_b32_e32 v2, 16, v8
	buffer_store_dword v2, off, s[36:39], 0 offset:180 ; 4-byte Folded Spill
	v_and_b32_e32 v2, 0xffff0000, v8
	buffer_store_dword v2, off, s[36:39], 0 offset:184 ; 4-byte Folded Spill
	v_lshlrev_b32_e32 v2, 16, v9
	buffer_store_dword v2, off, s[36:39], 0 offset:188 ; 4-byte Folded Spill
	v_and_b32_e32 v2, 0xffff0000, v9
	buffer_store_dword v2, off, s[36:39], 0 offset:192 ; 4-byte Folded Spill
	v_lshlrev_b32_e32 v2, 16, v10
	buffer_store_dword v2, off, s[36:39], 0 offset:196 ; 4-byte Folded Spill
	v_and_b32_e32 v2, 0xffff0000, v10
	buffer_store_dword v2, off, s[36:39], 0 offset:200 ; 4-byte Folded Spill
	v_lshlrev_b32_e32 v2, 16, v11
	buffer_store_dword v2, off, s[36:39], 0 offset:204 ; 4-byte Folded Spill
	v_and_b32_e32 v2, 0xffff0000, v11
	buffer_store_dword v2, off, s[36:39], 0 offset:208 ; 4-byte Folded Spill
	ds_read_b128 v[4:7], v0 offset:96
	ds_read_b128 v[8:11], v0 offset:112
	s_add_u32 s2, s2, s4
	s_addc_u32 s3, s3, s5
	s_sub_i32 s12, 1, s33
	s_waitcnt lgkmcnt(1)
	v_lshlrev_b32_e32 v2, 16, v4
	buffer_store_dword v2, off, s[36:39], 0 offset:212 ; 4-byte Folded Spill
	v_and_b32_e32 v2, 0xffff0000, v4
	buffer_store_dword v2, off, s[36:39], 0 offset:216 ; 4-byte Folded Spill
	v_lshlrev_b32_e32 v2, 16, v5
	buffer_store_dword v2, off, s[36:39], 0 offset:220 ; 4-byte Folded Spill
	v_and_b32_e32 v2, 0xffff0000, v5
	buffer_store_dword v2, off, s[36:39], 0 offset:224 ; 4-byte Folded Spill
	;; [unrolled: 4-line block ×4, first 2 shown]
	s_waitcnt lgkmcnt(0)
	v_lshlrev_b32_e32 v2, 16, v8
	buffer_store_dword v2, off, s[36:39], 0 offset:244 ; 4-byte Folded Spill
	v_and_b32_e32 v2, 0xffff0000, v8
	buffer_store_dword v2, off, s[36:39], 0 offset:248 ; 4-byte Folded Spill
	v_lshlrev_b32_e32 v2, 16, v9
	buffer_store_dword v2, off, s[36:39], 0 offset:252 ; 4-byte Folded Spill
	v_and_b32_e32 v2, 0xffff0000, v9
	buffer_store_dword v2, off, s[36:39], 0 offset:256 ; 4-byte Folded Spill
	;; [unrolled: 4-line block ×4, first 2 shown]
	ds_read_b128 v[4:7], v0 offset:128
	ds_read_b128 v[8:11], v0 offset:144
	s_lshl_b64 s[4:5], s[22:23], 2
	s_add_u32 s4, s20, s4
	s_addc_u32 s5, s21, s5
	s_waitcnt lgkmcnt(1)
	v_lshlrev_b32_e32 v2, 16, v4
	buffer_store_dword v2, off, s[36:39], 0 offset:276 ; 4-byte Folded Spill
	v_and_b32_e32 v2, 0xffff0000, v4
	buffer_store_dword v2, off, s[36:39], 0 offset:280 ; 4-byte Folded Spill
	v_lshlrev_b32_e32 v2, 16, v5
	buffer_store_dword v2, off, s[36:39], 0 offset:284 ; 4-byte Folded Spill
	v_and_b32_e32 v2, 0xffff0000, v5
	buffer_store_dword v2, off, s[36:39], 0 offset:288 ; 4-byte Folded Spill
	v_lshlrev_b32_e32 v2, 16, v6
	buffer_store_dword v2, off, s[36:39], 0 offset:292 ; 4-byte Folded Spill
	v_and_b32_e32 v2, 0xffff0000, v6
	buffer_store_dword v2, off, s[36:39], 0 offset:296 ; 4-byte Folded Spill
	v_lshlrev_b32_e32 v2, 16, v7
	buffer_store_dword v2, off, s[36:39], 0 offset:300 ; 4-byte Folded Spill
	v_and_b32_e32 v2, 0xffff0000, v7
	buffer_store_dword v2, off, s[36:39], 0 offset:304 ; 4-byte Folded Spill
	s_waitcnt lgkmcnt(0)
	v_lshlrev_b32_e32 v2, 16, v8
	buffer_store_dword v2, off, s[36:39], 0 offset:308 ; 4-byte Folded Spill
	v_and_b32_e32 v2, 0xffff0000, v8
	buffer_store_dword v2, off, s[36:39], 0 offset:312 ; 4-byte Folded Spill
	v_lshlrev_b32_e32 v2, 16, v9
	buffer_store_dword v2, off, s[36:39], 0 offset:316 ; 4-byte Folded Spill
	v_and_b32_e32 v2, 0xffff0000, v9
	buffer_store_dword v2, off, s[36:39], 0 offset:320 ; 4-byte Folded Spill
	;; [unrolled: 4-line block ×4, first 2 shown]
	ds_read_b128 v[4:7], v0 offset:160
	ds_read_b128 v[8:11], v0 offset:176
	s_mov_b32 s15, s13
	s_mov_b64 s[28:29], 0
	s_movk_i32 s34, 0x1000
	s_waitcnt lgkmcnt(1)
	v_lshlrev_b32_e32 v0, 16, v4
	buffer_store_dword v0, off, s[36:39], 0 offset:340 ; 4-byte Folded Spill
	v_and_b32_e32 v0, 0xffff0000, v4
	buffer_store_dword v0, off, s[36:39], 0 offset:344 ; 4-byte Folded Spill
	v_lshlrev_b32_e32 v0, 16, v5
	buffer_store_dword v0, off, s[36:39], 0 offset:348 ; 4-byte Folded Spill
	v_and_b32_e32 v0, 0xffff0000, v5
	v_bfe_u32 v4, v19, 1, 5
	buffer_store_dword v0, off, s[36:39], 0 offset:352 ; 4-byte Folded Spill
	v_lshlrev_b32_e32 v0, 16, v6
	v_lshlrev_b32_e32 v2, 4, v4
	buffer_store_dword v0, off, s[36:39], 0 offset:356 ; 4-byte Folded Spill
	v_and_b32_e32 v0, 0xffff0000, v6
	v_mov_b32_e32 v5, s3
	v_add_co_u32_e32 v2, vcc, s2, v2
	v_and_b32_e32 v6, 8, v12
	v_addc_co_u32_e32 v5, vcc, 0, v5, vcc
	v_add_co_u32_e64 v51, s[2:3], v2, v6
	buffer_store_dword v0, off, s[36:39], 0 offset:360 ; 4-byte Folded Spill
	v_lshlrev_b32_e32 v0, 16, v7
	v_addc_co_u32_e64 v53, s[2:3], 0, v5, s[2:3]
	v_mbcnt_hi_u32_b32 v5, -1, v3
	buffer_store_dword v0, off, s[36:39], 0 offset:364 ; 4-byte Folded Spill
	v_and_b32_e32 v0, 0xffff0000, v7
	v_and_b32_e32 v6, 64, v5
	buffer_store_dword v0, off, s[36:39], 0 offset:368 ; 4-byte Folded Spill
	s_waitcnt lgkmcnt(0)
	v_lshlrev_b32_e32 v0, 16, v8
	v_xor_b32_e32 v3, 1, v5
	buffer_store_dword v6, off, s[36:39], 0 offset:408 ; 4-byte Folded Spill
	v_add_u32_e32 v6, 64, v6
	buffer_store_dword v0, off, s[36:39], 0 offset:372 ; 4-byte Folded Spill
	v_and_b32_e32 v0, 0xffff0000, v8
	v_cmp_lt_i32_e64 s[2:3], v3, v6
	buffer_store_dword v0, off, s[36:39], 0 offset:376 ; 4-byte Folded Spill
	v_lshlrev_b32_e32 v0, 16, v9
	v_cndmask_b32_e64 v3, v5, v3, s[2:3]
	buffer_store_dword v0, off, s[36:39], 0 offset:380 ; 4-byte Folded Spill
	v_and_b32_e32 v0, 0xffff0000, v9
	v_cmp_eq_u32_e32 vcc, 0, v1
	v_and_b32_e32 v1, 60, v15
	v_lshlrev_b32_e32 v54, 2, v3
	v_lshlrev_b32_e32 v3, 2, v4
	buffer_store_dword v0, off, s[36:39], 0 offset:384 ; 4-byte Folded Spill
	v_lshlrev_b32_e32 v0, 16, v10
	v_mov_b32_e32 v2, s5
	v_add_co_u32_e64 v1, s[4:5], s4, v1
	v_lshl_or_b32 v3, v57, 7, v3
	buffer_store_dword v0, off, s[36:39], 0 offset:388 ; 4-byte Folded Spill
	v_and_b32_e32 v50, 0xffff0000, v10
	v_lshlrev_b32_e32 v49, 16, v11
	v_and_b32_e32 v0, 0xffff0000, v11
	v_addc_co_u32_e64 v2, s[4:5], 0, v2, s[4:5]
	v_cmp_neq_f32_e64 s[2:3], s26, 0
	v_lshl_or_b32 v55, v57, 5, v4
	v_add_u32_e32 v56, 0x190, v3
	s_movk_i32 s35, 0x2000
	v_mov_b32_e32 v52, 0xff7fffff
	buffer_store_dword v12, off, s[36:39], 0 offset:396 ; 4-byte Folded Spill
	buffer_store_dword v15, off, s[36:39], 0 offset:400 ; 4-byte Folded Spill
	;; [unrolled: 1-line block ×5, first 2 shown]
	s_branch .LBB160_9
.LBB160_8:                              ;   in Loop: Header=BB160_9 Depth=1
	s_or_b64 exec, exec, s[30:31]
	v_add_u32_e32 v57, 2, v57
	v_cmp_le_i32_e64 s[4:5], s17, v57
	s_or_b64 s[28:29], s[4:5], s[28:29]
	v_add_co_u32_e64 v1, s[4:5], 8, v1
	v_add_u32_e32 v55, 64, v55
	v_add_u32_e32 v56, 0x100, v56
	v_addc_co_u32_e64 v2, s[4:5], 0, v2, s[4:5]
	s_andn2_b64 exec, exec, s[28:29]
	s_cbranch_execz .LBB160_11
.LBB160_9:                              ; =>This Inner Loop Header: Depth=1
	global_load_dword v3, v[1:2], off
	s_waitcnt vmcnt(0) lgkmcnt(0)
	v_mad_i64_i32 v[3:4], s[4:5], v3, s15, 0
	v_lshlrev_b64 v[3:4], 1, v[3:4]
	v_add_co_u32_e64 v3, s[4:5], v51, v3
	v_addc_co_u32_e64 v4, s[4:5], v53, v4, s[4:5]
	global_load_dwordx2 v[58:59], v[3:4], off
	global_load_dwordx2 v[47:48], v[3:4], off offset:512
	global_load_dwordx2 v[45:46], v[3:4], off offset:1024
	;; [unrolled: 1-line block ×7, first 2 shown]
	v_add_co_u32_e64 v5, s[4:5], s34, v3
	v_addc_co_u32_e64 v6, s[4:5], 0, v4, s[4:5]
	v_add_co_u32_e64 v3, s[4:5], s35, v3
	v_addc_co_u32_e64 v4, s[4:5], 0, v4, s[4:5]
	global_load_dwordx2 v[33:34], v[3:4], off offset:-4096
	global_load_dwordx2 v[31:32], v[5:6], off offset:512
	global_load_dwordx2 v[29:30], v[5:6], off offset:1024
	;; [unrolled: 1-line block ×7, first 2 shown]
	global_load_dwordx2 v[17:18], v[3:4], off
	global_load_dwordx2 v[15:16], v[3:4], off offset:512
	global_load_dwordx2 v[13:14], v[3:4], off offset:1024
	;; [unrolled: 1-line block ×6, first 2 shown]
	s_nop 0
	global_load_dwordx2 v[3:4], v[3:4], off offset:3584
	s_waitcnt vmcnt(23)
	v_lshlrev_b32_e32 v60, 16, v58
	v_and_b32_e32 v61, 0xffff0000, v58
	v_lshlrev_b32_e32 v62, 16, v59
	v_and_b32_e32 v63, 0xffff0000, v59
	s_waitcnt vmcnt(22)
	v_lshlrev_b32_e32 v58, 16, v47
	v_and_b32_e32 v59, 0xffff0000, v47
	buffer_load_dword v47, off, s[36:39], 0 offset:32 ; 4-byte Folded Reload
	s_waitcnt vmcnt(0)
	v_mul_f32_e32 v47, v47, v58
	buffer_load_dword v58, off, s[36:39], 0 ; 4-byte Folded Reload
	s_waitcnt vmcnt(0)
	v_fmac_f32_e32 v47, v58, v60
	buffer_load_dword v58, off, s[36:39], 0 offset:36 ; 4-byte Folded Reload
	v_and_b32_e32 v60, 0xffff0000, v48
	s_waitcnt vmcnt(0)
	v_mul_f32_e32 v58, v58, v59
	buffer_load_dword v59, off, s[36:39], 0 offset:20 ; 4-byte Folded Reload
	s_waitcnt vmcnt(0)
	v_fmac_f32_e32 v58, v59, v61
	v_lshlrev_b32_e32 v59, 16, v48
	buffer_load_dword v48, off, s[36:39], 0 offset:40 ; 4-byte Folded Reload
	buffer_load_dword v61, off, s[36:39], 0 offset:48 ; 4-byte Folded Reload
	s_waitcnt vmcnt(1)
	v_mul_f32_e32 v48, v48, v59
	buffer_load_dword v59, off, s[36:39], 0 offset:24 ; 4-byte Folded Reload
	s_waitcnt vmcnt(0)
	v_fmac_f32_e32 v48, v59, v62
	buffer_load_dword v59, off, s[36:39], 0 offset:44 ; 4-byte Folded Reload
	s_waitcnt vmcnt(0)
	v_mul_f32_e32 v59, v59, v60
	buffer_load_dword v60, off, s[36:39], 0 offset:28 ; 4-byte Folded Reload
	s_waitcnt vmcnt(0)
	v_fmac_f32_e32 v59, v60, v63
	v_lshlrev_b32_e32 v60, 16, v45
	v_fmac_f32_e32 v47, v61, v60
	buffer_load_dword v60, off, s[36:39], 0 offset:52 ; 4-byte Folded Reload
	v_and_b32_e32 v45, 0xffff0000, v45
	s_waitcnt vmcnt(0)
	v_fmac_f32_e32 v58, v60, v45
	buffer_load_dword v60, off, s[36:39], 0 offset:56 ; 4-byte Folded Reload
	v_lshlrev_b32_e32 v45, 16, v46
	v_and_b32_e32 v46, 0xffff0000, v46
	s_waitcnt vmcnt(0)
	v_fmac_f32_e32 v48, v60, v45
	buffer_load_dword v45, off, s[36:39], 0 offset:60 ; 4-byte Folded Reload
	s_waitcnt vmcnt(0)
	v_fmac_f32_e32 v59, v45, v46
	buffer_load_dword v46, off, s[36:39], 0 offset:64 ; 4-byte Folded Reload
	v_lshlrev_b32_e32 v45, 16, v43
	v_and_b32_e32 v43, 0xffff0000, v43
	s_waitcnt vmcnt(0)
	v_fmac_f32_e32 v47, v46, v45
	buffer_load_dword v45, off, s[36:39], 0 offset:68 ; 4-byte Folded Reload
	;; [unrolled: 8-line block ×32, first 2 shown]
	s_waitcnt vmcnt(0)
	v_fmac_f32_e32 v58, v15, v13
	v_lshlrev_b32_e32 v15, 16, v14
	v_and_b32_e32 v13, 0xffff0000, v14
	buffer_load_dword v14, off, s[36:39], 0 offset:316 ; 4-byte Folded Reload
	s_waitcnt vmcnt(0)
	v_fmac_f32_e32 v48, v14, v15
	buffer_load_dword v14, off, s[36:39], 0 offset:320 ; 4-byte Folded Reload
	s_waitcnt vmcnt(0)
	v_fmac_f32_e32 v59, v14, v13
	buffer_load_dword v14, off, s[36:39], 0 offset:324 ; 4-byte Folded Reload
	v_lshlrev_b32_e32 v13, 16, v11
	v_and_b32_e32 v11, 0xffff0000, v11
	s_waitcnt vmcnt(0)
	v_fmac_f32_e32 v47, v14, v13
	buffer_load_dword v13, off, s[36:39], 0 offset:328 ; 4-byte Folded Reload
	s_waitcnt vmcnt(0)
	v_fmac_f32_e32 v58, v13, v11
	buffer_load_dword v13, off, s[36:39], 0 offset:332 ; 4-byte Folded Reload
	v_lshlrev_b32_e32 v11, 16, v12
	v_and_b32_e32 v12, 0xffff0000, v12
	;; [unrolled: 8-line block ×9, first 2 shown]
	v_fmac_f32_e32 v58, v50, v3
	v_lshlrev_b32_e32 v3, 16, v4
	v_and_b32_e32 v4, 0xffff0000, v4
	v_fmac_f32_e32 v48, v49, v3
	v_fmac_f32_e32 v59, v0, v4
	s_waitcnt vmcnt(0)
	v_fmac_f32_e32 v47, v6, v5
	v_add_f32_e32 v3, v47, v58
	v_add_f32_e32 v3, v3, v48
	;; [unrolled: 1-line block ×3, first 2 shown]
	ds_bpermute_b32 v4, v54, v3
	s_and_saveexec_b64 s[30:31], vcc
	s_cbranch_execz .LBB160_8
; %bb.10:                               ;   in Loop: Header=BB160_9 Depth=1
	v_add_u32_e32 v5, s12, v55
	v_cvt_f32_i32_e32 v5, v5
	s_waitcnt lgkmcnt(0)
	v_add_f32_e32 v3, v3, v4
	v_cmp_gt_i32_e64 s[4:5], s33, v55
	v_max_f32_e32 v4, v52, v52
	v_mul_f32_e32 v5, s26, v5
	v_cndmask_b32_e64 v5, 0, v5, s[2:3]
	v_fmac_f32_e32 v5, s27, v3
	v_cndmask_b32_e64 v3, 0, v5, s[4:5]
	ds_write_b32 v56, v3
	v_max_f32_e32 v3, v4, v5
	v_cndmask_b32_e64 v52, v52, v3, s[4:5]
	s_branch .LBB160_8
.LBB160_11:
	s_or_b64 exec, exec, s[28:29]
	buffer_load_dword v19, off, s[36:39], 0 offset:392 ; 4-byte Folded Reload
	buffer_load_dword v57, off, s[36:39], 0 offset:16 ; 4-byte Folded Reload
	;; [unrolled: 1-line block ×7, first 2 shown]
.LBB160_12:
	s_or_b64 exec, exec, s[6:7]
	s_waitcnt vmcnt(2)
	v_xor_b32_e32 v0, 32, v11
	s_waitcnt vmcnt(0)
	v_cmp_lt_i32_e32 vcc, v0, v9
	v_cndmask_b32_e32 v0, v11, v0, vcc
	v_lshlrev_b32_e32 v0, 2, v0
	ds_bpermute_b32 v1, v0, v52
	v_xor_b32_e32 v3, 16, v11
	v_max_f32_e32 v2, v52, v52
	v_cmp_lt_i32_e32 vcc, v3, v9
	s_waitcnt lgkmcnt(0)
	v_xor_b32_e32 v4, 8, v11
	v_max_f32_e32 v1, v1, v1
	v_max_f32_e32 v2, v2, v1
	v_cndmask_b32_e32 v1, v11, v3, vcc
	v_lshlrev_b32_e32 v1, 2, v1
	ds_bpermute_b32 v3, v1, v2
	v_cmp_lt_i32_e32 vcc, v4, v9
	v_xor_b32_e32 v5, 4, v11
	v_xor_b32_e32 v6, 2, v11
	v_and_b32_e32 v20, 63, v19
	s_waitcnt lgkmcnt(0)
	v_max_f32_e32 v3, v3, v3
	v_max_f32_e32 v3, v2, v3
	v_cndmask_b32_e32 v2, v11, v4, vcc
	v_lshlrev_b32_e32 v2, 2, v2
	ds_bpermute_b32 v4, v2, v3
	v_cmp_lt_i32_e32 vcc, v5, v9
	s_waitcnt lgkmcnt(0)
	v_max_f32_e32 v4, v4, v4
	v_max_f32_e32 v4, v3, v4
	v_cndmask_b32_e32 v3, v11, v5, vcc
	v_lshlrev_b32_e32 v3, 2, v3
	ds_bpermute_b32 v5, v3, v4
	v_cmp_lt_i32_e32 vcc, v6, v9
	s_waitcnt lgkmcnt(0)
	v_max_f32_e32 v5, v5, v5
	v_max_f32_e32 v5, v4, v5
	v_cndmask_b32_e32 v4, v11, v6, vcc
	v_lshlrev_b32_e32 v13, 2, v4
	ds_bpermute_b32 v6, v13, v5
	v_cmp_eq_u32_e32 vcc, 0, v20
	v_lshlrev_b32_e32 v4, 2, v57
	s_and_saveexec_b64 s[2:3], vcc
	s_cbranch_execz .LBB160_14
; %bb.13:
	s_waitcnt lgkmcnt(0)
	v_max_f32_e32 v6, v6, v6
	v_max_f32_e32 v5, v5, v5
	;; [unrolled: 1-line block ×3, first 2 shown]
	ds_write_b32 v4, v5 offset:384
.LBB160_14:
	s_or_b64 exec, exec, s[2:3]
	v_cmp_gt_u32_e64 s[2:3], 2, v20
	s_waitcnt lgkmcnt(0)
	v_mov_b32_e32 v6, 0xff7fffff
	v_lshlrev_b32_e32 v5, 2, v20
	s_barrier
	s_and_saveexec_b64 s[4:5], s[2:3]
; %bb.15:
	ds_read_b32 v6, v5 offset:384
; %bb.16:
	s_or_b64 exec, exec, s[4:5]
	v_xor_b32_e32 v7, 1, v11
	v_cmp_lt_i32_e64 s[4:5], v7, v9
	v_cndmask_b32_e64 v7, v11, v7, s[4:5]
	v_lshlrev_b32_e32 v18, 2, v7
	s_waitcnt lgkmcnt(0)
	ds_bpermute_b32 v7, v18, v6
	v_max_f32_e32 v6, v6, v6
	s_lshl_b32 s4, s17, 5
	s_min_i32 s12, s4, s33
	v_cmp_gt_i32_e64 s[4:5], s12, v19
	s_waitcnt lgkmcnt(0)
	v_max_f32_e32 v7, v7, v7
	v_max_f32_e32 v6, v6, v7
	v_lshlrev_b32_e32 v7, 2, v8
	ds_bpermute_b32 v7, v7, v6
	v_mov_b32_e32 v6, 0
	s_and_saveexec_b64 s[26:27], s[4:5]
	s_cbranch_execz .LBB160_20
; %bb.17:
	v_mov_b32_e32 v6, 0x190
	v_lshl_add_u32 v8, v19, 2, v6
	v_mov_b32_e32 v6, 0
	s_mov_b64 s[28:29], 0
	v_mov_b32_e32 v9, v19
.LBB160_18:                             ; =>This Inner Loop Header: Depth=1
	ds_read_b32 v10, v8
	v_add_u32_e32 v9, 0x80, v9
	v_cmp_le_i32_e64 s[6:7], s12, v9
	s_or_b64 s[28:29], s[6:7], s[28:29]
	s_waitcnt lgkmcnt(0)
	v_sub_f32_e32 v10, v10, v7
	v_mul_f32_e32 v10, 0x3fb8aa3b, v10
	v_exp_f32_e32 v10, v10
	ds_write_b32 v8, v10
	v_add_f32_e32 v6, v6, v10
	v_add_u32_e32 v8, 0x200, v8
	s_andn2_b64 exec, exec, s[28:29]
	s_cbranch_execnz .LBB160_18
; %bb.19:
	s_or_b64 exec, exec, s[28:29]
.LBB160_20:
	s_or_b64 exec, exec, s[26:27]
	ds_bpermute_b32 v0, v0, v6
	s_waitcnt lgkmcnt(0)
	v_add_f32_e32 v0, v6, v0
	ds_bpermute_b32 v1, v1, v0
	s_waitcnt lgkmcnt(0)
	v_add_f32_e32 v0, v0, v1
	;; [unrolled: 3-line block ×6, first 2 shown]
	s_and_saveexec_b64 s[6:7], vcc
; %bb.21:
	ds_write_b32 v4, v0 offset:392
; %bb.22:
	s_or_b64 exec, exec, s[6:7]
	s_waitcnt lgkmcnt(0)
	s_barrier
	s_and_saveexec_b64 s[6:7], s[2:3]
; %bb.23:
	ds_read_b32 v0, v5 offset:392
; %bb.24:
	s_or_b64 exec, exec, s[6:7]
	s_waitcnt lgkmcnt(0)
	ds_bpermute_b32 v1, v18, v0
	v_lshlrev_b32_e32 v2, 2, v11
	s_waitcnt lgkmcnt(0)
	v_add_f32_e32 v0, v0, v1
	v_and_b32_e32 v1, 0xffffff00, v2
	ds_bpermute_b32 v0, v1, v0
	s_and_saveexec_b64 s[2:3], s[4:5]
	s_cbranch_execz .LBB160_27
; %bb.25:
	s_waitcnt lgkmcnt(0)
	v_add_f32_e32 v1, 0x358637bd, v0
	v_div_scale_f32 v0, s[4:5], v1, v1, 1.0
	v_div_scale_f32 v2, vcc, 1.0, v1, 1.0
	s_mov_b64 s[4:5], 0
	v_rcp_f32_e32 v3, v0
	v_fma_f32 v4, -v0, v3, 1.0
	v_fmac_f32_e32 v3, v4, v3
	v_mul_f32_e32 v4, v2, v3
	v_fma_f32 v5, -v0, v4, v2
	v_fmac_f32_e32 v4, v5, v3
	v_fma_f32 v0, -v0, v4, v2
	v_div_fmas_f32 v2, v0, v3, v4
	v_mov_b32_e32 v0, 0x190
	v_lshl_add_u32 v0, v19, 2, v0
	v_div_fixup_f32 v1, v2, v1, 1.0
	v_mov_b32_e32 v2, v19
.LBB160_26:                             ; =>This Inner Loop Header: Depth=1
	ds_read_b32 v3, v0
	v_add_u32_e32 v2, 0x80, v2
	v_cmp_le_i32_e32 vcc, s12, v2
	s_or_b64 s[4:5], vcc, s[4:5]
	s_waitcnt lgkmcnt(0)
	v_mul_f32_e32 v3, v1, v3
	ds_write_b32 v0, v3
	v_add_u32_e32 v0, 0x200, v0
	s_andn2_b64 exec, exec, s[4:5]
	s_cbranch_execnz .LBB160_26
.LBB160_27:
	s_or_b64 exec, exec, s[2:3]
	v_mov_b32_e32 v10, 0
	s_waitcnt lgkmcnt(0)
	v_and_b32_e32 v0, 3, v19
	v_mov_b32_e32 v11, 0
	v_mov_b32_e32 v14, 0
	;; [unrolled: 1-line block ×11, first 2 shown]
	s_barrier
	buffer_store_dword v0, off, s[36:39], 0 offset:88 ; 4-byte Folded Spill
	s_and_saveexec_b64 s[4:5], s[0:1]
	s_cbranch_execz .LBB160_55
; %bb.28:
	buffer_store_dword v18, off, s[36:39], 0 offset:100 ; 4-byte Folded Spill
	buffer_store_dword v13, off, s[36:39], 0 offset:96 ; 4-byte Folded Spill
	;; [unrolled: 1-line block ×3, first 2 shown]
	v_and_b32_e32 v0, 24, v12
	v_lshl_or_b32 v60, v57, 5, v0
	buffer_load_dword v0, off, s[36:39], 0 offset:88 ; 4-byte Folded Reload
	s_ashr_i32 s15, s14, 31
	s_lshl_b64 s[0:1], s[14:15], 1
	s_add_u32 s0, s24, s0
	v_lshlrev_b32_e32 v1, 4, v19
	s_addc_u32 s1, s25, s1
	v_and_b32_e32 v1, 0x3f0, v1
	s_add_i32 s14, s17, -1
	v_mov_b32_e32 v2, s1
	v_add_co_u32_e32 v1, vcc, s0, v1
	s_lshl_b64 s[0:1], s[22:23], 2
	s_add_u32 s0, s20, s0
	buffer_store_dword v1, off, s[36:39], 0 offset:80 ; 4-byte Folded Spill
	v_addc_co_u32_e32 v1, vcc, 0, v2, vcc
	s_addc_u32 s1, s21, s1
	buffer_store_dword v1, off, s[36:39], 0 offset:84 ; 4-byte Folded Spill
	v_mov_b32_e32 v1, s1
	s_mov_b32 s26, s13
	s_mov_b32 s15, s33
	s_mov_b64 s[6:7], 0
	s_mov_b32 s20, 0x5040100
	s_movk_i32 s21, 0x7fff
	v_mov_b32_e32 v21, 0
	v_mov_b32_e32 v58, 0
	;; [unrolled: 1-line block ×12, first 2 shown]
	s_waitcnt vmcnt(2)
	v_lshlrev_b32_e32 v0, 5, v0
	v_lshl_or_b32 v0, v57, 7, v0
	v_add_u32_e32 v3, 0x190, v0
	v_and_b32_e32 v0, 60, v15
	v_add_co_u32_e32 v0, vcc, s0, v0
	v_addc_co_u32_e32 v1, vcc, 0, v1, vcc
	s_branch .LBB160_30
.LBB160_29:                             ;   in Loop: Header=BB160_30 Depth=1
	s_or_b64 exec, exec, s[2:3]
	s_waitcnt lgkmcnt(1)
	v_bfe_u32 v0, v49, 16, 1
	v_add3_u32 v0, v0, v49, s21
	v_or_b32_e32 v57, 0x400000, v49
	v_cmp_u_f32_e32 vcc, v49, v49
	v_cndmask_b32_e32 v49, v0, v57, vcc
	v_bfe_u32 v0, v50, 16, 1
	v_add3_u32 v0, v0, v50, s21
	v_or_b32_e32 v57, 0x400000, v50
	v_cmp_u_f32_e32 vcc, v50, v50
	v_bfe_u32 v50, v51, 16, 1
	v_cndmask_b32_e32 v0, v0, v57, vcc
	v_add3_u32 v50, v50, v51, s21
	v_or_b32_e32 v57, 0x400000, v51
	v_cmp_u_f32_e32 vcc, v51, v51
	v_cndmask_b32_e32 v58, v50, v57, vcc
	v_bfe_u32 v50, v52, 16, 1
	v_add3_u32 v50, v50, v52, s21
	v_or_b32_e32 v51, 0x400000, v52
	v_cmp_u_f32_e32 vcc, v52, v52
	v_cndmask_b32_e32 v57, v50, v51, vcc
	s_waitcnt lgkmcnt(0)
	v_bfe_u32 v50, v41, 16, 1
	v_add3_u32 v50, v50, v41, s21
	v_or_b32_e32 v51, 0x400000, v41
	v_cmp_u_f32_e32 vcc, v41, v41
	v_bfe_u32 v41, v42, 16, 1
	v_cndmask_b32_e32 v50, v50, v51, vcc
	v_add3_u32 v41, v41, v42, s21
	v_or_b32_e32 v51, 0x400000, v42
	v_cmp_u_f32_e32 vcc, v42, v42
	v_cndmask_b32_e32 v59, v41, v51, vcc
	v_bfe_u32 v41, v43, 16, 1
	v_add3_u32 v41, v41, v43, s21
	v_or_b32_e32 v42, 0x400000, v43
	v_cmp_u_f32_e32 vcc, v43, v43
	v_cndmask_b32_e32 v52, v41, v42, vcc
	v_bfe_u32 v41, v44, 16, 1
	v_add3_u32 v41, v41, v44, s21
	v_or_b32_e32 v42, 0x400000, v44
	v_cmp_u_f32_e32 vcc, v44, v44
	v_cndmask_b32_e32 v51, v41, v42, vcc
	v_and_b32_e32 v41, 0xffff0000, v0
	s_waitcnt vmcnt(1)
	v_and_b32_e32 v0, 0xffff0000, v53
	v_mul_f32_e32 v0, v41, v0
	v_bfe_u32 v42, v0, 16, 1
	v_add3_u32 v42, v42, v0, s21
	v_or_b32_e32 v43, 0x400000, v0
	v_cmp_u_f32_e32 vcc, v0, v0
	v_cndmask_b32_e32 v0, v42, v43, vcc
	v_and_b32_e32 v42, 0xffff0000, v49
	v_lshlrev_b32_e32 v43, 16, v53
	v_mul_f32_e32 v43, v42, v43
	v_bfe_u32 v44, v43, 16, 1
	v_add3_u32 v44, v44, v43, s21
	v_or_b32_e32 v49, 0x400000, v43
	v_cmp_u_f32_e32 vcc, v43, v43
	v_cndmask_b32_e32 v53, v44, v49, vcc
	v_and_b32_e32 v43, 0xffff0000, v57
	v_and_b32_e32 v44, 0xffff0000, v54
	v_mul_f32_e32 v44, v43, v44
	v_bfe_u32 v49, v44, 16, 1
	v_add3_u32 v49, v49, v44, s21
	v_or_b32_e32 v57, 0x400000, v44
	v_cmp_u_f32_e32 vcc, v44, v44
	v_cndmask_b32_e32 v57, v49, v57, vcc
	v_and_b32_e32 v44, 0xffff0000, v58
	v_lshlrev_b32_e32 v49, 16, v54
	v_mul_f32_e32 v49, v44, v49
	v_bfe_u32 v54, v49, 16, 1
	v_add3_u32 v54, v54, v49, s21
	v_or_b32_e32 v58, 0x400000, v49
	v_cmp_u_f32_e32 vcc, v49, v49
	v_cndmask_b32_e32 v54, v54, v58, vcc
	v_and_b32_e32 v49, 0xffff0000, v59
	v_and_b32_e32 v58, 0xffff0000, v55
	v_mul_f32_e32 v58, v49, v58
	v_bfe_u32 v59, v58, 16, 1
	v_add3_u32 v59, v59, v58, s21
	v_or_b32_e32 v61, 0x400000, v58
	v_cmp_u_f32_e32 vcc, v58, v58
	v_and_b32_e32 v53, 0xffff0000, v53
	v_and_b32_e32 v0, 0xffff0000, v0
	v_cndmask_b32_e32 v58, v59, v61, vcc
	v_add_f32_e32 v0, v53, v0
	v_and_b32_e32 v53, 0xffff0000, v54
	v_and_b32_e32 v54, 0xffff0000, v57
	v_add_f32_e32 v53, v53, v54
	v_and_b32_e32 v54, 0xffff0000, v58
	buffer_load_dword v58, off, s[36:39], 0 offset:24 ; 4-byte Folded Reload
	v_and_b32_e32 v50, 0xffff0000, v50
	v_lshlrev_b32_e32 v55, 16, v55
	v_mul_f32_e32 v55, v50, v55
	v_bfe_u32 v59, v55, 16, 1
	v_add3_u32 v59, v59, v55, s21
	v_or_b32_e32 v61, 0x400000, v55
	v_cmp_u_f32_e32 vcc, v55, v55
	v_cndmask_b32_e32 v55, v59, v61, vcc
	v_and_b32_e32 v51, 0xffff0000, v51
	v_and_b32_e32 v59, 0xffff0000, v56
	v_mul_f32_e32 v59, v51, v59
	v_bfe_u32 v61, v59, 16, 1
	v_and_b32_e32 v52, 0xffff0000, v52
	v_lshlrev_b32_e32 v56, 16, v56
	v_add3_u32 v61, v61, v59, s21
	v_or_b32_e32 v62, 0x400000, v59
	v_cmp_u_f32_e32 vcc, v59, v59
	v_mul_f32_e32 v56, v52, v56
	v_cndmask_b32_e32 v59, v61, v62, vcc
	v_bfe_u32 v61, v56, 16, 1
	v_add3_u32 v61, v61, v56, s21
	v_or_b32_e32 v62, 0x400000, v56
	v_cmp_u_f32_e32 vcc, v56, v56
	v_add_f32_e32 v0, v53, v0
	v_and_b32_e32 v53, 0xffff0000, v55
	v_cndmask_b32_e32 v56, v61, v62, vcc
	v_add_f32_e32 v53, v53, v54
	v_add_f32_e32 v0, v53, v0
	v_and_b32_e32 v53, 0xffff0000, v56
	v_and_b32_e32 v54, 0xffff0000, v59
	v_add_f32_e32 v53, v53, v54
	v_add_f32_e32 v0, v53, v0
	v_add_u32_e32 v60, 64, v60
	s_waitcnt vmcnt(0)
	v_add_f32_e32 v58, v58, v0
	v_and_b32_e32 v0, 0xffff0000, v45
	v_mul_f32_e32 v0, v41, v0
	v_bfe_u32 v53, v0, 16, 1
	v_lshlrev_b32_e32 v45, 16, v45
	v_add3_u32 v53, v53, v0, s21
	v_or_b32_e32 v54, 0x400000, v0
	v_cmp_u_f32_e32 vcc, v0, v0
	v_mul_f32_e32 v45, v42, v45
	v_cndmask_b32_e32 v0, v53, v54, vcc
	v_bfe_u32 v53, v45, 16, 1
	v_add3_u32 v53, v53, v45, s21
	v_or_b32_e32 v54, 0x400000, v45
	v_cmp_u_f32_e32 vcc, v45, v45
	v_cndmask_b32_e32 v45, v53, v54, vcc
	v_and_b32_e32 v53, 0xffff0000, v46
	v_mul_f32_e32 v53, v43, v53
	v_bfe_u32 v54, v53, 16, 1
	v_lshlrev_b32_e32 v46, 16, v46
	v_add3_u32 v54, v54, v53, s21
	v_or_b32_e32 v55, 0x400000, v53
	v_cmp_u_f32_e32 vcc, v53, v53
	v_mul_f32_e32 v46, v44, v46
	v_cndmask_b32_e32 v53, v54, v55, vcc
	v_bfe_u32 v54, v46, 16, 1
	v_add3_u32 v54, v54, v46, s21
	v_or_b32_e32 v55, 0x400000, v46
	v_cmp_u_f32_e32 vcc, v46, v46
	v_cndmask_b32_e32 v46, v54, v55, vcc
	v_and_b32_e32 v54, 0xffff0000, v47
	v_mul_f32_e32 v54, v49, v54
	v_bfe_u32 v55, v54, 16, 1
	v_add3_u32 v55, v55, v54, s21
	v_or_b32_e32 v56, 0x400000, v54
	v_cmp_u_f32_e32 vcc, v54, v54
	v_and_b32_e32 v45, 0xffff0000, v45
	v_and_b32_e32 v0, 0xffff0000, v0
	v_cndmask_b32_e32 v54, v55, v56, vcc
	v_add_f32_e32 v0, v45, v0
	v_and_b32_e32 v45, 0xffff0000, v46
	v_and_b32_e32 v46, 0xffff0000, v53
	v_add_f32_e32 v45, v45, v46
	v_and_b32_e32 v46, 0xffff0000, v54
	buffer_load_dword v54, off, s[36:39], 0 offset:28 ; 4-byte Folded Reload
	v_lshlrev_b32_e32 v47, 16, v47
	v_mul_f32_e32 v47, v50, v47
	v_bfe_u32 v55, v47, 16, 1
	v_add3_u32 v55, v55, v47, s21
	v_or_b32_e32 v56, 0x400000, v47
	v_cmp_u_f32_e32 vcc, v47, v47
	v_cndmask_b32_e32 v47, v55, v56, vcc
	v_and_b32_e32 v55, 0xffff0000, v48
	v_mul_f32_e32 v55, v51, v55
	v_bfe_u32 v56, v55, 16, 1
	v_lshlrev_b32_e32 v48, 16, v48
	v_add3_u32 v56, v56, v55, s21
	v_or_b32_e32 v57, 0x400000, v55
	v_cmp_u_f32_e32 vcc, v55, v55
	v_mul_f32_e32 v48, v52, v48
	v_cndmask_b32_e32 v55, v56, v57, vcc
	v_bfe_u32 v56, v48, 16, 1
	v_add3_u32 v56, v56, v48, s21
	v_or_b32_e32 v57, 0x400000, v48
	v_cmp_u_f32_e32 vcc, v48, v48
	v_add_f32_e32 v0, v45, v0
	v_and_b32_e32 v45, 0xffff0000, v47
	v_cndmask_b32_e32 v48, v56, v57, vcc
	v_add_f32_e32 v45, v45, v46
	v_add_f32_e32 v0, v45, v0
	v_and_b32_e32 v45, 0xffff0000, v48
	v_and_b32_e32 v46, 0xffff0000, v55
	v_add_f32_e32 v45, v45, v46
	v_add_f32_e32 v0, v45, v0
	s_waitcnt vmcnt(0)
	v_add_f32_e32 v54, v54, v0
	v_and_b32_e32 v0, 0xffff0000, v37
	v_mul_f32_e32 v0, v41, v0
	v_bfe_u32 v45, v0, 16, 1
	v_lshlrev_b32_e32 v37, 16, v37
	v_add3_u32 v45, v45, v0, s21
	v_or_b32_e32 v46, 0x400000, v0
	v_cmp_u_f32_e32 vcc, v0, v0
	v_mul_f32_e32 v37, v42, v37
	v_cndmask_b32_e32 v0, v45, v46, vcc
	v_bfe_u32 v45, v37, 16, 1
	v_add3_u32 v45, v45, v37, s21
	v_or_b32_e32 v46, 0x400000, v37
	v_cmp_u_f32_e32 vcc, v37, v37
	v_cndmask_b32_e32 v37, v45, v46, vcc
	v_and_b32_e32 v45, 0xffff0000, v38
	v_mul_f32_e32 v45, v43, v45
	v_bfe_u32 v46, v45, 16, 1
	v_lshlrev_b32_e32 v38, 16, v38
	v_add3_u32 v46, v46, v45, s21
	v_or_b32_e32 v47, 0x400000, v45
	v_cmp_u_f32_e32 vcc, v45, v45
	v_mul_f32_e32 v38, v44, v38
	v_cndmask_b32_e32 v45, v46, v47, vcc
	v_bfe_u32 v46, v38, 16, 1
	v_add3_u32 v46, v46, v38, s21
	v_or_b32_e32 v47, 0x400000, v38
	v_cmp_u_f32_e32 vcc, v38, v38
	v_cndmask_b32_e32 v38, v46, v47, vcc
	v_and_b32_e32 v46, 0xffff0000, v39
	v_mul_f32_e32 v46, v49, v46
	v_bfe_u32 v47, v46, 16, 1
	v_add3_u32 v47, v47, v46, s21
	v_or_b32_e32 v48, 0x400000, v46
	v_cmp_u_f32_e32 vcc, v46, v46
	v_and_b32_e32 v37, 0xffff0000, v37
	v_and_b32_e32 v0, 0xffff0000, v0
	v_cndmask_b32_e32 v46, v47, v48, vcc
	v_add_f32_e32 v0, v37, v0
	v_and_b32_e32 v37, 0xffff0000, v38
	v_and_b32_e32 v38, 0xffff0000, v45
	v_add_f32_e32 v37, v37, v38
	v_and_b32_e32 v38, 0xffff0000, v46
	buffer_load_dword v46, off, s[36:39], 0 offset:32 ; 4-byte Folded Reload
	v_lshlrev_b32_e32 v39, 16, v39
	v_mul_f32_e32 v39, v50, v39
	v_bfe_u32 v47, v39, 16, 1
	v_add3_u32 v47, v47, v39, s21
	v_or_b32_e32 v48, 0x400000, v39
	v_cmp_u_f32_e32 vcc, v39, v39
	v_cndmask_b32_e32 v39, v47, v48, vcc
	v_and_b32_e32 v47, 0xffff0000, v40
	v_mul_f32_e32 v47, v51, v47
	v_bfe_u32 v48, v47, 16, 1
	v_lshlrev_b32_e32 v40, 16, v40
	v_add3_u32 v48, v48, v47, s21
	v_or_b32_e32 v53, 0x400000, v47
	v_cmp_u_f32_e32 vcc, v47, v47
	v_mul_f32_e32 v40, v52, v40
	v_cndmask_b32_e32 v47, v48, v53, vcc
	v_bfe_u32 v48, v40, 16, 1
	v_add3_u32 v48, v48, v40, s21
	v_or_b32_e32 v53, 0x400000, v40
	v_cmp_u_f32_e32 vcc, v40, v40
	v_add_f32_e32 v0, v37, v0
	v_and_b32_e32 v37, 0xffff0000, v39
	v_cndmask_b32_e32 v40, v48, v53, vcc
	v_add_f32_e32 v37, v37, v38
	v_add_f32_e32 v0, v37, v0
	v_and_b32_e32 v37, 0xffff0000, v40
	v_and_b32_e32 v38, 0xffff0000, v47
	v_add_f32_e32 v37, v37, v38
	v_add_f32_e32 v0, v37, v0
	s_waitcnt vmcnt(0)
	v_add_f32_e32 v46, v46, v0
	v_and_b32_e32 v0, 0xffff0000, v33
	v_mul_f32_e32 v0, v41, v0
	v_bfe_u32 v37, v0, 16, 1
	v_lshlrev_b32_e32 v33, 16, v33
	v_add3_u32 v37, v37, v0, s21
	v_or_b32_e32 v38, 0x400000, v0
	v_cmp_u_f32_e32 vcc, v0, v0
	v_mul_f32_e32 v33, v42, v33
	v_cndmask_b32_e32 v0, v37, v38, vcc
	v_bfe_u32 v37, v33, 16, 1
	v_add3_u32 v37, v37, v33, s21
	v_or_b32_e32 v38, 0x400000, v33
	v_cmp_u_f32_e32 vcc, v33, v33
	v_cndmask_b32_e32 v33, v37, v38, vcc
	v_and_b32_e32 v37, 0xffff0000, v34
	v_mul_f32_e32 v37, v43, v37
	v_bfe_u32 v38, v37, 16, 1
	v_lshlrev_b32_e32 v34, 16, v34
	v_add3_u32 v38, v38, v37, s21
	v_or_b32_e32 v39, 0x400000, v37
	v_cmp_u_f32_e32 vcc, v37, v37
	v_mul_f32_e32 v34, v44, v34
	v_cndmask_b32_e32 v37, v38, v39, vcc
	v_bfe_u32 v38, v34, 16, 1
	v_add3_u32 v38, v38, v34, s21
	v_or_b32_e32 v39, 0x400000, v34
	v_cmp_u_f32_e32 vcc, v34, v34
	v_cndmask_b32_e32 v34, v38, v39, vcc
	v_and_b32_e32 v38, 0xffff0000, v35
	v_mul_f32_e32 v38, v49, v38
	v_bfe_u32 v39, v38, 16, 1
	v_add3_u32 v39, v39, v38, s21
	v_or_b32_e32 v40, 0x400000, v38
	v_cmp_u_f32_e32 vcc, v38, v38
	v_and_b32_e32 v33, 0xffff0000, v33
	v_and_b32_e32 v0, 0xffff0000, v0
	v_cndmask_b32_e32 v38, v39, v40, vcc
	v_add_f32_e32 v0, v33, v0
	v_and_b32_e32 v33, 0xffff0000, v34
	v_and_b32_e32 v34, 0xffff0000, v37
	v_add_f32_e32 v33, v33, v34
	v_and_b32_e32 v34, 0xffff0000, v38
	buffer_load_dword v38, off, s[36:39], 0 offset:36 ; 4-byte Folded Reload
	v_lshlrev_b32_e32 v35, 16, v35
	v_mul_f32_e32 v35, v50, v35
	v_bfe_u32 v39, v35, 16, 1
	v_add3_u32 v39, v39, v35, s21
	v_or_b32_e32 v40, 0x400000, v35
	v_cmp_u_f32_e32 vcc, v35, v35
	v_cndmask_b32_e32 v35, v39, v40, vcc
	v_and_b32_e32 v39, 0xffff0000, v36
	v_mul_f32_e32 v39, v51, v39
	v_bfe_u32 v40, v39, 16, 1
	v_lshlrev_b32_e32 v36, 16, v36
	v_add3_u32 v40, v40, v39, s21
	v_or_b32_e32 v45, 0x400000, v39
	v_cmp_u_f32_e32 vcc, v39, v39
	v_mul_f32_e32 v36, v52, v36
	v_cndmask_b32_e32 v39, v40, v45, vcc
	v_bfe_u32 v40, v36, 16, 1
	v_add3_u32 v40, v40, v36, s21
	v_or_b32_e32 v45, 0x400000, v36
	v_cmp_u_f32_e32 vcc, v36, v36
	v_add_f32_e32 v0, v33, v0
	v_and_b32_e32 v33, 0xffff0000, v35
	v_cndmask_b32_e32 v36, v40, v45, vcc
	v_add_f32_e32 v33, v33, v34
	v_add_f32_e32 v0, v33, v0
	v_and_b32_e32 v33, 0xffff0000, v36
	v_and_b32_e32 v34, 0xffff0000, v39
	v_add_f32_e32 v33, v33, v34
	v_add_f32_e32 v0, v33, v0
	s_waitcnt vmcnt(0)
	v_add_f32_e32 v38, v38, v0
	v_and_b32_e32 v0, 0xffff0000, v29
	v_mul_f32_e32 v0, v41, v0
	v_bfe_u32 v33, v0, 16, 1
	v_lshlrev_b32_e32 v29, 16, v29
	v_add3_u32 v33, v33, v0, s21
	v_or_b32_e32 v34, 0x400000, v0
	v_cmp_u_f32_e32 vcc, v0, v0
	v_mul_f32_e32 v29, v42, v29
	v_cndmask_b32_e32 v0, v33, v34, vcc
	v_bfe_u32 v33, v29, 16, 1
	v_add3_u32 v33, v33, v29, s21
	v_or_b32_e32 v34, 0x400000, v29
	v_cmp_u_f32_e32 vcc, v29, v29
	v_cndmask_b32_e32 v29, v33, v34, vcc
	v_and_b32_e32 v33, 0xffff0000, v30
	v_mul_f32_e32 v33, v43, v33
	v_bfe_u32 v34, v33, 16, 1
	v_lshlrev_b32_e32 v30, 16, v30
	v_add3_u32 v34, v34, v33, s21
	v_or_b32_e32 v35, 0x400000, v33
	v_cmp_u_f32_e32 vcc, v33, v33
	v_mul_f32_e32 v30, v44, v30
	v_cndmask_b32_e32 v33, v34, v35, vcc
	v_bfe_u32 v34, v30, 16, 1
	v_add3_u32 v34, v34, v30, s21
	v_or_b32_e32 v35, 0x400000, v30
	v_cmp_u_f32_e32 vcc, v30, v30
	v_cndmask_b32_e32 v30, v34, v35, vcc
	v_and_b32_e32 v34, 0xffff0000, v31
	v_mul_f32_e32 v34, v49, v34
	v_bfe_u32 v35, v34, 16, 1
	v_add3_u32 v35, v35, v34, s21
	v_or_b32_e32 v36, 0x400000, v34
	v_cmp_u_f32_e32 vcc, v34, v34
	v_and_b32_e32 v29, 0xffff0000, v29
	v_and_b32_e32 v0, 0xffff0000, v0
	v_cndmask_b32_e32 v34, v35, v36, vcc
	v_add_f32_e32 v0, v29, v0
	v_and_b32_e32 v29, 0xffff0000, v30
	v_and_b32_e32 v30, 0xffff0000, v33
	v_add_f32_e32 v29, v29, v30
	v_and_b32_e32 v30, 0xffff0000, v34
	buffer_load_dword v34, off, s[36:39], 0 offset:40 ; 4-byte Folded Reload
	v_lshlrev_b32_e32 v31, 16, v31
	v_mul_f32_e32 v31, v50, v31
	v_bfe_u32 v35, v31, 16, 1
	v_add3_u32 v35, v35, v31, s21
	v_or_b32_e32 v36, 0x400000, v31
	v_cmp_u_f32_e32 vcc, v31, v31
	v_cndmask_b32_e32 v31, v35, v36, vcc
	v_and_b32_e32 v35, 0xffff0000, v32
	v_mul_f32_e32 v35, v51, v35
	v_bfe_u32 v36, v35, 16, 1
	v_lshlrev_b32_e32 v32, 16, v32
	v_add3_u32 v36, v36, v35, s21
	v_or_b32_e32 v37, 0x400000, v35
	v_cmp_u_f32_e32 vcc, v35, v35
	v_mul_f32_e32 v32, v52, v32
	v_cndmask_b32_e32 v35, v36, v37, vcc
	v_bfe_u32 v36, v32, 16, 1
	v_add3_u32 v36, v36, v32, s21
	v_or_b32_e32 v37, 0x400000, v32
	v_cmp_u_f32_e32 vcc, v32, v32
	v_add_f32_e32 v0, v29, v0
	v_and_b32_e32 v29, 0xffff0000, v31
	v_cndmask_b32_e32 v32, v36, v37, vcc
	v_add_f32_e32 v29, v29, v30
	v_add_f32_e32 v0, v29, v0
	v_and_b32_e32 v29, 0xffff0000, v32
	v_and_b32_e32 v30, 0xffff0000, v35
	v_add_f32_e32 v29, v29, v30
	v_add_f32_e32 v0, v29, v0
	s_waitcnt vmcnt(0)
	v_add_f32_e32 v34, v34, v0
	v_and_b32_e32 v0, 0xffff0000, v25
	v_mul_f32_e32 v0, v41, v0
	v_bfe_u32 v29, v0, 16, 1
	v_lshlrev_b32_e32 v25, 16, v25
	v_add3_u32 v29, v29, v0, s21
	v_or_b32_e32 v30, 0x400000, v0
	v_cmp_u_f32_e32 vcc, v0, v0
	v_mul_f32_e32 v25, v42, v25
	v_cndmask_b32_e32 v0, v29, v30, vcc
	v_bfe_u32 v29, v25, 16, 1
	v_add3_u32 v29, v29, v25, s21
	v_or_b32_e32 v30, 0x400000, v25
	v_cmp_u_f32_e32 vcc, v25, v25
	v_cndmask_b32_e32 v25, v29, v30, vcc
	v_and_b32_e32 v29, 0xffff0000, v26
	v_mul_f32_e32 v29, v43, v29
	v_bfe_u32 v30, v29, 16, 1
	v_lshlrev_b32_e32 v26, 16, v26
	v_add3_u32 v30, v30, v29, s21
	v_or_b32_e32 v31, 0x400000, v29
	v_cmp_u_f32_e32 vcc, v29, v29
	v_mul_f32_e32 v26, v44, v26
	v_cndmask_b32_e32 v29, v30, v31, vcc
	v_bfe_u32 v30, v26, 16, 1
	v_add3_u32 v30, v30, v26, s21
	v_or_b32_e32 v31, 0x400000, v26
	v_cmp_u_f32_e32 vcc, v26, v26
	v_cndmask_b32_e32 v26, v30, v31, vcc
	v_and_b32_e32 v30, 0xffff0000, v27
	v_mul_f32_e32 v30, v49, v30
	v_bfe_u32 v31, v30, 16, 1
	v_add3_u32 v31, v31, v30, s21
	v_or_b32_e32 v32, 0x400000, v30
	v_cmp_u_f32_e32 vcc, v30, v30
	v_and_b32_e32 v25, 0xffff0000, v25
	v_and_b32_e32 v0, 0xffff0000, v0
	v_cndmask_b32_e32 v30, v31, v32, vcc
	v_add_f32_e32 v0, v25, v0
	v_and_b32_e32 v25, 0xffff0000, v26
	v_and_b32_e32 v26, 0xffff0000, v29
	v_add_f32_e32 v25, v25, v26
	v_and_b32_e32 v26, 0xffff0000, v30
	buffer_load_dword v30, off, s[36:39], 0 offset:44 ; 4-byte Folded Reload
	v_lshlrev_b32_e32 v27, 16, v27
	v_mul_f32_e32 v27, v50, v27
	v_bfe_u32 v31, v27, 16, 1
	v_add3_u32 v31, v31, v27, s21
	v_or_b32_e32 v32, 0x400000, v27
	v_cmp_u_f32_e32 vcc, v27, v27
	v_cndmask_b32_e32 v27, v31, v32, vcc
	v_and_b32_e32 v31, 0xffff0000, v28
	v_mul_f32_e32 v31, v51, v31
	v_bfe_u32 v32, v31, 16, 1
	v_lshlrev_b32_e32 v28, 16, v28
	v_add3_u32 v32, v32, v31, s21
	v_or_b32_e32 v33, 0x400000, v31
	v_cmp_u_f32_e32 vcc, v31, v31
	v_mul_f32_e32 v28, v52, v28
	v_cndmask_b32_e32 v31, v32, v33, vcc
	v_bfe_u32 v32, v28, 16, 1
	v_add3_u32 v32, v32, v28, s21
	v_or_b32_e32 v33, 0x400000, v28
	v_cmp_u_f32_e32 vcc, v28, v28
	v_add_f32_e32 v0, v25, v0
	v_and_b32_e32 v25, 0xffff0000, v27
	v_cndmask_b32_e32 v28, v32, v33, vcc
	v_add_f32_e32 v25, v25, v26
	v_add_f32_e32 v0, v25, v0
	v_and_b32_e32 v25, 0xffff0000, v28
	v_and_b32_e32 v26, 0xffff0000, v31
	v_add_f32_e32 v25, v25, v26
	v_add_f32_e32 v0, v25, v0
	s_waitcnt vmcnt(0)
	v_add_f32_e32 v30, v30, v0
	v_and_b32_e32 v0, 0xffff0000, v21
	v_mul_f32_e32 v0, v41, v0
	v_bfe_u32 v25, v0, 16, 1
	v_lshlrev_b32_e32 v21, 16, v21
	v_add3_u32 v25, v25, v0, s21
	v_or_b32_e32 v26, 0x400000, v0
	v_cmp_u_f32_e32 vcc, v0, v0
	v_mul_f32_e32 v21, v42, v21
	v_cndmask_b32_e32 v0, v25, v26, vcc
	v_bfe_u32 v25, v21, 16, 1
	v_add3_u32 v25, v25, v21, s21
	v_or_b32_e32 v26, 0x400000, v21
	v_cmp_u_f32_e32 vcc, v21, v21
	v_cndmask_b32_e32 v21, v25, v26, vcc
	v_and_b32_e32 v25, 0xffff0000, v22
	v_mul_f32_e32 v25, v43, v25
	v_bfe_u32 v26, v25, 16, 1
	v_lshlrev_b32_e32 v22, 16, v22
	v_add3_u32 v26, v26, v25, s21
	v_or_b32_e32 v27, 0x400000, v25
	v_cmp_u_f32_e32 vcc, v25, v25
	v_mul_f32_e32 v22, v44, v22
	v_cndmask_b32_e32 v25, v26, v27, vcc
	v_bfe_u32 v26, v22, 16, 1
	v_add3_u32 v26, v26, v22, s21
	v_or_b32_e32 v27, 0x400000, v22
	v_cmp_u_f32_e32 vcc, v22, v22
	v_cndmask_b32_e32 v22, v26, v27, vcc
	v_and_b32_e32 v26, 0xffff0000, v23
	v_mul_f32_e32 v26, v49, v26
	v_bfe_u32 v27, v26, 16, 1
	v_add3_u32 v27, v27, v26, s21
	v_or_b32_e32 v28, 0x400000, v26
	v_cmp_u_f32_e32 vcc, v26, v26
	v_and_b32_e32 v21, 0xffff0000, v21
	v_and_b32_e32 v0, 0xffff0000, v0
	v_cndmask_b32_e32 v26, v27, v28, vcc
	v_add_f32_e32 v0, v21, v0
	v_and_b32_e32 v21, 0xffff0000, v22
	v_and_b32_e32 v22, 0xffff0000, v25
	v_add_f32_e32 v21, v21, v22
	v_and_b32_e32 v22, 0xffff0000, v26
	buffer_load_dword v26, off, s[36:39], 0 offset:48 ; 4-byte Folded Reload
	v_lshlrev_b32_e32 v23, 16, v23
	v_mul_f32_e32 v23, v50, v23
	v_bfe_u32 v27, v23, 16, 1
	v_add3_u32 v27, v27, v23, s21
	v_or_b32_e32 v28, 0x400000, v23
	v_cmp_u_f32_e32 vcc, v23, v23
	v_cndmask_b32_e32 v23, v27, v28, vcc
	v_and_b32_e32 v27, 0xffff0000, v24
	v_mul_f32_e32 v27, v51, v27
	v_bfe_u32 v28, v27, 16, 1
	v_lshlrev_b32_e32 v24, 16, v24
	v_add3_u32 v28, v28, v27, s21
	v_or_b32_e32 v29, 0x400000, v27
	v_cmp_u_f32_e32 vcc, v27, v27
	v_mul_f32_e32 v24, v52, v24
	v_cndmask_b32_e32 v27, v28, v29, vcc
	v_bfe_u32 v28, v24, 16, 1
	v_add3_u32 v28, v28, v24, s21
	v_or_b32_e32 v29, 0x400000, v24
	v_cmp_u_f32_e32 vcc, v24, v24
	v_add_f32_e32 v0, v21, v0
	v_and_b32_e32 v21, 0xffff0000, v23
	v_cndmask_b32_e32 v24, v28, v29, vcc
	v_add_f32_e32 v21, v21, v22
	v_add_f32_e32 v0, v21, v0
	v_and_b32_e32 v21, 0xffff0000, v24
	v_and_b32_e32 v22, 0xffff0000, v27
	v_add_f32_e32 v21, v21, v22
	v_add_f32_e32 v0, v21, v0
	s_waitcnt vmcnt(0)
	v_add_f32_e32 v26, v26, v0
	v_and_b32_e32 v0, 0xffff0000, v13
	v_mul_f32_e32 v0, v41, v0
	v_bfe_u32 v21, v0, 16, 1
	v_lshlrev_b32_e32 v13, 16, v13
	v_add3_u32 v21, v21, v0, s21
	v_or_b32_e32 v22, 0x400000, v0
	v_cmp_u_f32_e32 vcc, v0, v0
	v_mul_f32_e32 v13, v42, v13
	v_cndmask_b32_e32 v0, v21, v22, vcc
	v_bfe_u32 v21, v13, 16, 1
	v_add3_u32 v21, v21, v13, s21
	v_or_b32_e32 v22, 0x400000, v13
	v_cmp_u_f32_e32 vcc, v13, v13
	v_cndmask_b32_e32 v13, v21, v22, vcc
	v_and_b32_e32 v21, 0xffff0000, v14
	v_mul_f32_e32 v21, v43, v21
	v_bfe_u32 v22, v21, 16, 1
	v_lshlrev_b32_e32 v14, 16, v14
	v_add3_u32 v22, v22, v21, s21
	v_or_b32_e32 v23, 0x400000, v21
	v_cmp_u_f32_e32 vcc, v21, v21
	v_mul_f32_e32 v14, v44, v14
	v_cndmask_b32_e32 v21, v22, v23, vcc
	v_bfe_u32 v22, v14, 16, 1
	v_add3_u32 v22, v22, v14, s21
	v_or_b32_e32 v23, 0x400000, v14
	v_cmp_u_f32_e32 vcc, v14, v14
	v_cndmask_b32_e32 v14, v22, v23, vcc
	v_and_b32_e32 v22, 0xffff0000, v15
	v_mul_f32_e32 v22, v49, v22
	v_bfe_u32 v23, v22, 16, 1
	v_add3_u32 v23, v23, v22, s21
	v_or_b32_e32 v24, 0x400000, v22
	v_cmp_u_f32_e32 vcc, v22, v22
	v_and_b32_e32 v13, 0xffff0000, v13
	v_and_b32_e32 v0, 0xffff0000, v0
	v_cndmask_b32_e32 v22, v23, v24, vcc
	v_add_f32_e32 v0, v13, v0
	v_and_b32_e32 v13, 0xffff0000, v14
	v_and_b32_e32 v14, 0xffff0000, v21
	v_add_f32_e32 v13, v13, v14
	v_and_b32_e32 v14, 0xffff0000, v22
	buffer_load_dword v22, off, s[36:39], 0 offset:52 ; 4-byte Folded Reload
	v_lshlrev_b32_e32 v15, 16, v15
	v_mul_f32_e32 v15, v50, v15
	v_bfe_u32 v23, v15, 16, 1
	v_add3_u32 v23, v23, v15, s21
	v_or_b32_e32 v24, 0x400000, v15
	v_cmp_u_f32_e32 vcc, v15, v15
	v_cndmask_b32_e32 v15, v23, v24, vcc
	v_and_b32_e32 v23, 0xffff0000, v16
	v_mul_f32_e32 v23, v51, v23
	v_bfe_u32 v24, v23, 16, 1
	v_lshlrev_b32_e32 v16, 16, v16
	v_add3_u32 v24, v24, v23, s21
	v_or_b32_e32 v25, 0x400000, v23
	v_cmp_u_f32_e32 vcc, v23, v23
	v_mul_f32_e32 v16, v52, v16
	v_cndmask_b32_e32 v23, v24, v25, vcc
	v_bfe_u32 v24, v16, 16, 1
	v_add3_u32 v24, v24, v16, s21
	v_or_b32_e32 v25, 0x400000, v16
	v_cmp_u_f32_e32 vcc, v16, v16
	v_add_f32_e32 v0, v13, v0
	v_and_b32_e32 v13, 0xffff0000, v15
	v_cndmask_b32_e32 v16, v24, v25, vcc
	v_add_f32_e32 v13, v13, v14
	v_add_f32_e32 v0, v13, v0
	v_and_b32_e32 v13, 0xffff0000, v16
	v_and_b32_e32 v14, 0xffff0000, v23
	v_add_f32_e32 v13, v13, v14
	v_add_f32_e32 v0, v13, v0
	s_waitcnt vmcnt(0)
	v_add_f32_e32 v22, v22, v0
	v_and_b32_e32 v0, 0xffff0000, v9
	v_mul_f32_e32 v0, v41, v0
	v_bfe_u32 v13, v0, 16, 1
	v_lshlrev_b32_e32 v9, 16, v9
	v_add3_u32 v13, v13, v0, s21
	v_or_b32_e32 v14, 0x400000, v0
	v_cmp_u_f32_e32 vcc, v0, v0
	v_mul_f32_e32 v9, v42, v9
	v_cndmask_b32_e32 v0, v13, v14, vcc
	v_bfe_u32 v13, v9, 16, 1
	v_add3_u32 v13, v13, v9, s21
	v_or_b32_e32 v14, 0x400000, v9
	v_cmp_u_f32_e32 vcc, v9, v9
	v_cndmask_b32_e32 v9, v13, v14, vcc
	v_and_b32_e32 v13, 0xffff0000, v10
	v_mul_f32_e32 v13, v43, v13
	v_bfe_u32 v14, v13, 16, 1
	v_lshlrev_b32_e32 v10, 16, v10
	v_add3_u32 v14, v14, v13, s21
	v_or_b32_e32 v15, 0x400000, v13
	v_cmp_u_f32_e32 vcc, v13, v13
	v_mul_f32_e32 v10, v44, v10
	v_cndmask_b32_e32 v13, v14, v15, vcc
	v_bfe_u32 v14, v10, 16, 1
	v_add3_u32 v14, v14, v10, s21
	v_or_b32_e32 v15, 0x400000, v10
	v_cmp_u_f32_e32 vcc, v10, v10
	v_cndmask_b32_e32 v10, v14, v15, vcc
	v_and_b32_e32 v14, 0xffff0000, v11
	v_mul_f32_e32 v14, v49, v14
	v_bfe_u32 v15, v14, 16, 1
	v_add3_u32 v15, v15, v14, s21
	v_or_b32_e32 v16, 0x400000, v14
	v_cmp_u_f32_e32 vcc, v14, v14
	v_and_b32_e32 v9, 0xffff0000, v9
	v_and_b32_e32 v0, 0xffff0000, v0
	v_cndmask_b32_e32 v14, v15, v16, vcc
	v_add_f32_e32 v0, v9, v0
	v_and_b32_e32 v9, 0xffff0000, v10
	v_and_b32_e32 v10, 0xffff0000, v13
	v_add_f32_e32 v9, v9, v10
	v_and_b32_e32 v10, 0xffff0000, v14
	buffer_load_dword v14, off, s[36:39], 0 offset:56 ; 4-byte Folded Reload
	v_lshlrev_b32_e32 v11, 16, v11
	v_mul_f32_e32 v11, v50, v11
	v_bfe_u32 v15, v11, 16, 1
	v_add3_u32 v15, v15, v11, s21
	v_or_b32_e32 v16, 0x400000, v11
	v_cmp_u_f32_e32 vcc, v11, v11
	v_cndmask_b32_e32 v11, v15, v16, vcc
	v_and_b32_e32 v15, 0xffff0000, v12
	v_mul_f32_e32 v15, v51, v15
	v_bfe_u32 v16, v15, 16, 1
	v_lshlrev_b32_e32 v12, 16, v12
	v_add3_u32 v16, v16, v15, s21
	v_or_b32_e32 v21, 0x400000, v15
	v_cmp_u_f32_e32 vcc, v15, v15
	v_mul_f32_e32 v12, v52, v12
	v_cndmask_b32_e32 v15, v16, v21, vcc
	v_bfe_u32 v16, v12, 16, 1
	v_add3_u32 v16, v16, v12, s21
	v_or_b32_e32 v21, 0x400000, v12
	v_cmp_u_f32_e32 vcc, v12, v12
	v_add_f32_e32 v0, v9, v0
	v_and_b32_e32 v9, 0xffff0000, v11
	v_cndmask_b32_e32 v12, v16, v21, vcc
	v_add_f32_e32 v9, v9, v10
	v_add_f32_e32 v0, v9, v0
	v_and_b32_e32 v9, 0xffff0000, v12
	v_and_b32_e32 v10, 0xffff0000, v15
	v_add_f32_e32 v9, v9, v10
	v_add_f32_e32 v0, v9, v0
	s_waitcnt vmcnt(0)
	v_add_f32_e32 v14, v14, v0
	v_and_b32_e32 v0, 0xffff0000, v5
	v_mul_f32_e32 v0, v41, v0
	v_bfe_u32 v9, v0, 16, 1
	v_lshlrev_b32_e32 v5, 16, v5
	v_add3_u32 v9, v9, v0, s21
	v_or_b32_e32 v10, 0x400000, v0
	v_cmp_u_f32_e32 vcc, v0, v0
	v_mul_f32_e32 v5, v42, v5
	v_cndmask_b32_e32 v0, v9, v10, vcc
	v_bfe_u32 v9, v5, 16, 1
	v_add3_u32 v9, v9, v5, s21
	v_or_b32_e32 v10, 0x400000, v5
	v_cmp_u_f32_e32 vcc, v5, v5
	v_cndmask_b32_e32 v5, v9, v10, vcc
	v_and_b32_e32 v9, 0xffff0000, v6
	v_mul_f32_e32 v9, v43, v9
	v_bfe_u32 v10, v9, 16, 1
	v_lshlrev_b32_e32 v6, 16, v6
	v_add3_u32 v10, v10, v9, s21
	v_or_b32_e32 v11, 0x400000, v9
	v_cmp_u_f32_e32 vcc, v9, v9
	v_mul_f32_e32 v6, v44, v6
	v_cndmask_b32_e32 v9, v10, v11, vcc
	v_bfe_u32 v10, v6, 16, 1
	v_add3_u32 v10, v10, v6, s21
	v_or_b32_e32 v11, 0x400000, v6
	v_cmp_u_f32_e32 vcc, v6, v6
	v_cndmask_b32_e32 v6, v10, v11, vcc
	;; [unrolled: 14-line block ×3, first 2 shown]
	v_and_b32_e32 v11, 0xffff0000, v8
	v_mul_f32_e32 v11, v51, v11
	v_and_b32_e32 v5, 0xffff0000, v5
	v_and_b32_e32 v0, 0xffff0000, v0
	v_bfe_u32 v12, v11, 16, 1
	v_add_f32_e32 v0, v5, v0
	v_and_b32_e32 v5, 0xffff0000, v6
	v_and_b32_e32 v6, 0xffff0000, v9
	v_add3_u32 v12, v12, v11, s21
	v_or_b32_e32 v13, 0x400000, v11
	v_cmp_u_f32_e32 vcc, v11, v11
	v_add_f32_e32 v5, v5, v6
	v_cndmask_b32_e32 v11, v12, v13, vcc
	v_add_f32_e32 v0, v5, v0
	v_and_b32_e32 v5, 0xffff0000, v7
	v_and_b32_e32 v6, 0xffff0000, v10
	v_add_f32_e32 v5, v5, v6
	v_and_b32_e32 v6, 0xffff0000, v11
	buffer_load_dword v11, off, s[36:39], 0 offset:64 ; 4-byte Folded Reload
	buffer_load_dword v1, off, s[36:39], 0  ; 4-byte Folded Reload
	buffer_load_dword v2, off, s[36:39], 0 offset:4 ; 4-byte Folded Reload
	buffer_load_dword v3, off, s[36:39], 0 offset:8 ; 4-byte Folded Reload
	;; [unrolled: 1-line block ×6, first 2 shown]
	v_lshlrev_b32_e32 v8, 16, v8
	v_mul_f32_e32 v8, v52, v8
	v_bfe_u32 v12, v8, 16, 1
	v_add3_u32 v12, v12, v8, s21
	v_or_b32_e32 v13, 0x400000, v8
	v_cmp_u_f32_e32 vcc, v8, v8
	v_cndmask_b32_e32 v8, v12, v13, vcc
	v_add_f32_e32 v0, v5, v0
	v_and_b32_e32 v5, 0xffff0000, v8
	v_add_f32_e32 v5, v5, v6
	v_add_f32_e32 v0, v5, v0
	s_waitcnt vmcnt(7)
	v_add_f32_e32 v11, v11, v0
	s_waitcnt vmcnt(6)
	v_and_b32_e32 v0, 0xffff0000, v1
	v_mul_f32_e32 v0, v41, v0
	v_bfe_u32 v5, v0, 16, 1
	v_lshlrev_b32_e32 v1, 16, v1
	v_add3_u32 v5, v5, v0, s21
	v_or_b32_e32 v6, 0x400000, v0
	v_cmp_u_f32_e32 vcc, v0, v0
	v_mul_f32_e32 v1, v42, v1
	v_cndmask_b32_e32 v0, v5, v6, vcc
	v_bfe_u32 v5, v1, 16, 1
	v_add3_u32 v5, v5, v1, s21
	v_or_b32_e32 v6, 0x400000, v1
	v_cmp_u_f32_e32 vcc, v1, v1
	v_cndmask_b32_e32 v1, v5, v6, vcc
	s_waitcnt vmcnt(5)
	v_and_b32_e32 v5, 0xffff0000, v2
	v_mul_f32_e32 v5, v43, v5
	v_bfe_u32 v6, v5, 16, 1
	v_lshlrev_b32_e32 v2, 16, v2
	v_add3_u32 v6, v6, v5, s21
	v_or_b32_e32 v7, 0x400000, v5
	v_cmp_u_f32_e32 vcc, v5, v5
	v_mul_f32_e32 v2, v44, v2
	v_cndmask_b32_e32 v5, v6, v7, vcc
	v_bfe_u32 v6, v2, 16, 1
	v_add3_u32 v6, v6, v2, s21
	v_or_b32_e32 v7, 0x400000, v2
	v_cmp_u_f32_e32 vcc, v2, v2
	v_cndmask_b32_e32 v2, v6, v7, vcc
	;; [unrolled: 15-line block ×3, first 2 shown]
	s_waitcnt vmcnt(3)
	v_and_b32_e32 v7, 0xffff0000, v4
	v_mul_f32_e32 v7, v51, v7
	v_bfe_u32 v8, v7, 16, 1
	v_lshlrev_b32_e32 v4, 16, v4
	v_and_b32_e32 v1, 0xffff0000, v1
	v_and_b32_e32 v0, 0xffff0000, v0
	v_add3_u32 v8, v8, v7, s21
	v_or_b32_e32 v9, 0x400000, v7
	v_cmp_u_f32_e32 vcc, v7, v7
	v_mul_f32_e32 v4, v52, v4
	v_add_f32_e32 v0, v1, v0
	v_and_b32_e32 v1, 0xffff0000, v2
	v_and_b32_e32 v2, 0xffff0000, v5
	v_cndmask_b32_e32 v7, v8, v9, vcc
	v_bfe_u32 v8, v4, 16, 1
	v_add_f32_e32 v1, v1, v2
	v_add3_u32 v8, v8, v4, s21
	v_or_b32_e32 v9, 0x400000, v4
	v_cmp_u_f32_e32 vcc, v4, v4
	v_add_f32_e32 v0, v1, v0
	v_and_b32_e32 v1, 0xffff0000, v3
	v_and_b32_e32 v2, 0xffff0000, v6
	v_cndmask_b32_e32 v4, v8, v9, vcc
	v_add_f32_e32 v1, v1, v2
	v_add_f32_e32 v0, v1, v0
	v_and_b32_e32 v1, 0xffff0000, v4
	v_and_b32_e32 v2, 0xffff0000, v7
	v_add_f32_e32 v1, v1, v2
	v_add_f32_e32 v0, v1, v0
	s_waitcnt vmcnt(2)
	v_add_f32_e32 v10, v10, v0
	v_lshlrev_b32_e32 v0, 16, v17
	v_mul_f32_e32 v0, v42, v0
	v_bfe_u32 v1, v0, 16, 1
	v_add3_u32 v1, v1, v0, s21
	v_or_b32_e32 v2, 0x400000, v0
	v_cmp_u_f32_e32 vcc, v0, v0
	v_cndmask_b32_e32 v0, v1, v2, vcc
	v_and_b32_e32 v1, 0xffff0000, v17
	v_mul_f32_e32 v1, v41, v1
	v_bfe_u32 v2, v1, 16, 1
	v_add3_u32 v2, v2, v1, s21
	v_or_b32_e32 v3, 0x400000, v1
	v_cmp_u_f32_e32 vcc, v1, v1
	v_cndmask_b32_e32 v1, v2, v3, vcc
	v_lshlrev_b32_e32 v2, 16, v18
	v_mul_f32_e32 v2, v44, v2
	v_bfe_u32 v3, v2, 16, 1
	v_add3_u32 v3, v3, v2, s21
	v_or_b32_e32 v4, 0x400000, v2
	v_cmp_u_f32_e32 vcc, v2, v2
	v_cndmask_b32_e32 v2, v3, v4, vcc
	v_and_b32_e32 v3, 0xffff0000, v18
	v_mul_f32_e32 v3, v43, v3
	v_bfe_u32 v4, v3, 16, 1
	v_add3_u32 v4, v4, v3, s21
	v_or_b32_e32 v5, 0x400000, v3
	v_cmp_u_f32_e32 vcc, v3, v3
	v_cndmask_b32_e32 v3, v4, v5, vcc
	v_lshlrev_b32_e32 v4, 16, v19
	v_mul_f32_e32 v4, v50, v4
	v_bfe_u32 v5, v4, 16, 1
	v_add3_u32 v5, v5, v4, s21
	v_or_b32_e32 v6, 0x400000, v4
	v_cmp_u_f32_e32 vcc, v4, v4
	v_cndmask_b32_e32 v4, v5, v6, vcc
	v_and_b32_e32 v5, 0xffff0000, v19
	v_mul_f32_e32 v5, v49, v5
	v_bfe_u32 v6, v5, 16, 1
	v_add3_u32 v6, v6, v5, s21
	v_or_b32_e32 v7, 0x400000, v5
	v_cmp_u_f32_e32 vcc, v5, v5
	v_cndmask_b32_e32 v5, v6, v7, vcc
	v_lshlrev_b32_e32 v6, 16, v20
	v_mul_f32_e32 v6, v52, v6
	v_bfe_u32 v7, v6, 16, 1
	v_add3_u32 v7, v7, v6, s21
	v_or_b32_e32 v8, 0x400000, v6
	v_cmp_u_f32_e32 vcc, v6, v6
	v_cndmask_b32_e32 v6, v7, v8, vcc
	v_and_b32_e32 v7, 0xffff0000, v20
	v_and_b32_e32 v1, 0xffff0000, v1
	;; [unrolled: 1-line block ×3, first 2 shown]
	v_mul_f32_e32 v7, v51, v7
	v_add_f32_e32 v0, v0, v1
	v_and_b32_e32 v1, 0xffff0000, v3
	v_and_b32_e32 v2, 0xffff0000, v2
	v_bfe_u32 v8, v7, 16, 1
	v_add_f32_e32 v1, v2, v1
	v_add3_u32 v8, v8, v7, s21
	v_or_b32_e32 v9, 0x400000, v7
	v_cmp_u_f32_e32 vcc, v7, v7
	v_add_f32_e32 v0, v1, v0
	v_and_b32_e32 v1, 0xffff0000, v5
	v_and_b32_e32 v2, 0xffff0000, v4
	v_cndmask_b32_e32 v7, v8, v9, vcc
	v_add_f32_e32 v1, v2, v1
	v_add_f32_e32 v0, v1, v0
	v_and_b32_e32 v1, 0xffff0000, v7
	v_and_b32_e32 v2, 0xffff0000, v6
	v_add_f32_e32 v1, v2, v1
	v_add_f32_e32 v0, v1, v0
	s_waitcnt vmcnt(1)
	v_add_f32_e32 v21, v21, v0
	buffer_load_dword v3, off, s[36:39], 0 offset:68 ; 4-byte Folded Reload
	buffer_load_dword v0, off, s[36:39], 0 offset:72 ; 4-byte Folded Reload
	;; [unrolled: 1-line block ×3, first 2 shown]
	s_waitcnt vmcnt(3)
	v_add_u32_e32 v57, 2, v57
	s_waitcnt vmcnt(1)
	v_add_co_u32_e32 v0, vcc, 8, v0
	s_waitcnt vmcnt(0)
	v_addc_co_u32_e32 v1, vcc, 0, v1, vcc
	v_cmp_le_i32_e32 vcc, s17, v57
	v_add_u32_e32 v3, 0x100, v3
	s_or_b64 s[6:7], vcc, s[6:7]
	s_andn2_b64 exec, exec, s[6:7]
	s_cbranch_execz .LBB160_54
.LBB160_30:                             ; =>This Inner Loop Header: Depth=1
	buffer_store_dword v11, off, s[36:39], 0 offset:64 ; 4-byte Folded Spill
	buffer_store_dword v10, off, s[36:39], 0 offset:60 ; 4-byte Folded Spill
	;; [unrolled: 1-line block ×13, first 2 shown]
	s_nop 0
	buffer_store_dword v1, off, s[36:39], 0 offset:76 ; 4-byte Folded Spill
	buffer_load_dword v2, off, s[36:39], 0 offset:80 ; 4-byte Folded Reload
	v_add_u32_e32 v58, 1, v60
	v_or_b32_e32 v63, 3, v60
	v_or_b32_e32 v59, 5, v60
	;; [unrolled: 1-line block ×4, first 2 shown]
	global_load_dword v0, v[0:1], off
	s_waitcnt vmcnt(0)
	v_mad_i64_i32 v[0:1], s[0:1], v0, s26, 0
	v_cmp_eq_u32_e64 s[0:1], s14, v57
	v_lshlrev_b64 v[0:1], 1, v[0:1]
	v_add_co_u32_e32 v17, vcc, v2, v0
	buffer_load_dword v0, off, s[36:39], 0 offset:84 ; 4-byte Folded Reload
	s_waitcnt vmcnt(0)
	v_addc_co_u32_e32 v18, vcc, v0, v1, vcc
	global_load_dwordx4 v[4:7], v[17:18], off
	v_or_b32_e32 v0, 7, v60
	s_waitcnt vmcnt(0)
	buffer_store_dword v4, off, s[36:39], 0 ; 4-byte Folded Spill
	s_nop 0
	buffer_store_dword v5, off, s[36:39], 0 offset:4 ; 4-byte Folded Spill
	buffer_store_dword v6, off, s[36:39], 0 offset:8 ; 4-byte Folded Spill
	;; [unrolled: 1-line block ×3, first 2 shown]
	ds_read2_b64 v[49:52], v3 offset1:1
	ds_read2_b64 v[41:44], v3 offset0:2 offset1:3
	buffer_store_dword v57, off, s[36:39], 0 offset:16 ; 4-byte Folded Spill
	v_or_b32_e32 v57, 2, v60
	buffer_store_dword v3, off, s[36:39], 0 offset:68 ; 4-byte Folded Spill
	s_and_saveexec_b64 s[12:13], s[0:1]
	s_cbranch_execnz .LBB160_51
; %bb.31:                               ;   in Loop: Header=BB160_30 Depth=1
	s_or_b64 exec, exec, s[12:13]
	global_load_dwordx4 v[5:8], v[17:18], off offset:1024
	s_and_saveexec_b64 s[12:13], s[0:1]
	s_cbranch_execnz .LBB160_52
.LBB160_32:                             ;   in Loop: Header=BB160_30 Depth=1
	s_or_b64 exec, exec, s[12:13]
	global_load_dwordx4 v[9:12], v[17:18], off offset:2048
	s_and_saveexec_b64 s[12:13], s[0:1]
	s_cbranch_execnz .LBB160_53
.LBB160_33:                             ;   in Loop: Header=BB160_30 Depth=1
	s_or_b64 exec, exec, s[12:13]
	global_load_dwordx4 v[13:16], v[17:18], off offset:3072
	s_and_saveexec_b64 s[12:13], s[0:1]
	s_cbranch_execz .LBB160_35
.LBB160_34:                             ;   in Loop: Header=BB160_30 Depth=1
	v_cmp_gt_i32_e32 vcc, s15, v58
	v_mov_b32_e32 v20, 0
	s_waitcnt vmcnt(0)
	v_cndmask_b32_sdwa v19, v20, v13, vcc dst_sel:DWORD dst_unused:UNUSED_PAD src0_sel:DWORD src1_sel:WORD_1
	v_cmp_gt_i32_e32 vcc, s33, v60
	v_cndmask_b32_e32 v13, 0, v13, vcc
	v_cmp_gt_i32_e32 vcc, s15, v63
	v_cmp_gt_i32_e64 s[2:3], s33, v57
	v_perm_b32 v13, v19, v13, s20
	v_cndmask_b32_e64 v19, 0, v14, s[2:3]
	v_cndmask_b32_sdwa v14, v20, v14, vcc dst_sel:DWORD dst_unused:UNUSED_PAD src0_sel:DWORD src1_sel:WORD_1
	v_cmp_gt_i32_e32 vcc, s15, v59
	v_cmp_gt_i32_e64 s[2:3], s33, v61
	v_perm_b32 v14, v14, v19, s20
	v_cndmask_b32_e64 v19, 0, v15, s[2:3]
	v_cndmask_b32_sdwa v15, v20, v15, vcc dst_sel:DWORD dst_unused:UNUSED_PAD src0_sel:DWORD src1_sel:WORD_1
	;; [unrolled: 5-line block ×3, first 2 shown]
	v_perm_b32 v16, v16, v19, s20
.LBB160_35:                             ;   in Loop: Header=BB160_30 Depth=1
	s_or_b64 exec, exec, s[12:13]
	v_add_co_u32_e32 v19, vcc, 0x1000, v17
	v_addc_co_u32_e32 v20, vcc, 0, v18, vcc
	global_load_dwordx4 v[21:24], v[19:20], off
	s_and_saveexec_b64 s[12:13], s[0:1]
	s_cbranch_execz .LBB160_37
; %bb.36:                               ;   in Loop: Header=BB160_30 Depth=1
	v_cmp_gt_i32_e32 vcc, s15, v58
	v_mov_b32_e32 v25, 0
	s_waitcnt vmcnt(0)
	v_cndmask_b32_sdwa v19, v25, v21, vcc dst_sel:DWORD dst_unused:UNUSED_PAD src0_sel:DWORD src1_sel:WORD_1
	v_cmp_gt_i32_e32 vcc, s33, v60
	v_cndmask_b32_e32 v20, 0, v21, vcc
	v_cmp_gt_i32_e32 vcc, s15, v63
	v_cmp_gt_i32_e64 s[2:3], s33, v57
	v_perm_b32 v21, v19, v20, s20
	v_cndmask_b32_e64 v19, 0, v22, s[2:3]
	v_cndmask_b32_sdwa v20, v25, v22, vcc dst_sel:DWORD dst_unused:UNUSED_PAD src0_sel:DWORD src1_sel:WORD_1
	v_cmp_gt_i32_e32 vcc, s15, v59
	v_cmp_gt_i32_e64 s[2:3], s33, v61
	v_perm_b32 v22, v20, v19, s20
	v_cndmask_b32_e64 v19, 0, v23, s[2:3]
	v_cndmask_b32_sdwa v20, v25, v23, vcc dst_sel:DWORD dst_unused:UNUSED_PAD src0_sel:DWORD src1_sel:WORD_1
	v_cmp_gt_i32_e32 vcc, s15, v0
	v_cmp_gt_i32_e64 s[2:3], s33, v62
	v_perm_b32 v23, v20, v19, s20
	v_cndmask_b32_e64 v19, 0, v24, s[2:3]
	v_cndmask_b32_sdwa v20, v25, v24, vcc dst_sel:DWORD dst_unused:UNUSED_PAD src0_sel:DWORD src1_sel:WORD_1
	v_perm_b32 v24, v20, v19, s20
.LBB160_37:                             ;   in Loop: Header=BB160_30 Depth=1
	s_or_b64 exec, exec, s[12:13]
	v_add_co_u32_e32 v19, vcc, 0x1000, v17
	v_addc_co_u32_e32 v20, vcc, 0, v18, vcc
	global_load_dwordx4 v[25:28], v[19:20], off offset:1024
	s_and_saveexec_b64 s[12:13], s[0:1]
	s_cbranch_execz .LBB160_39
; %bb.38:                               ;   in Loop: Header=BB160_30 Depth=1
	v_cmp_gt_i32_e32 vcc, s15, v58
	v_mov_b32_e32 v29, 0
	s_waitcnt vmcnt(0)
	v_cndmask_b32_sdwa v19, v29, v25, vcc dst_sel:DWORD dst_unused:UNUSED_PAD src0_sel:DWORD src1_sel:WORD_1
	v_cmp_gt_i32_e32 vcc, s33, v60
	v_cndmask_b32_e32 v20, 0, v25, vcc
	v_cmp_gt_i32_e32 vcc, s15, v63
	v_cmp_gt_i32_e64 s[2:3], s33, v57
	v_perm_b32 v25, v19, v20, s20
	v_cndmask_b32_e64 v19, 0, v26, s[2:3]
	v_cndmask_b32_sdwa v20, v29, v26, vcc dst_sel:DWORD dst_unused:UNUSED_PAD src0_sel:DWORD src1_sel:WORD_1
	v_cmp_gt_i32_e32 vcc, s15, v59
	v_cmp_gt_i32_e64 s[2:3], s33, v61
	v_perm_b32 v26, v20, v19, s20
	v_cndmask_b32_e64 v19, 0, v27, s[2:3]
	v_cndmask_b32_sdwa v20, v29, v27, vcc dst_sel:DWORD dst_unused:UNUSED_PAD src0_sel:DWORD src1_sel:WORD_1
	v_cmp_gt_i32_e32 vcc, s15, v0
	v_cmp_gt_i32_e64 s[2:3], s33, v62
	v_perm_b32 v27, v20, v19, s20
	v_cndmask_b32_e64 v19, 0, v28, s[2:3]
	v_cndmask_b32_sdwa v20, v29, v28, vcc dst_sel:DWORD dst_unused:UNUSED_PAD src0_sel:DWORD src1_sel:WORD_1
	v_perm_b32 v28, v20, v19, s20
.LBB160_39:                             ;   in Loop: Header=BB160_30 Depth=1
	s_or_b64 exec, exec, s[12:13]
	v_add_co_u32_e32 v19, vcc, 0x1000, v17
	v_addc_co_u32_e32 v20, vcc, 0, v18, vcc
	global_load_dwordx4 v[29:32], v[19:20], off offset:2048
	;; [unrolled: 30-line block ×3, first 2 shown]
	s_and_saveexec_b64 s[12:13], s[0:1]
	s_cbranch_execz .LBB160_43
; %bb.42:                               ;   in Loop: Header=BB160_30 Depth=1
	v_cmp_gt_i32_e32 vcc, s15, v58
	v_mov_b32_e32 v37, 0
	s_waitcnt vmcnt(0)
	v_cndmask_b32_sdwa v19, v37, v33, vcc dst_sel:DWORD dst_unused:UNUSED_PAD src0_sel:DWORD src1_sel:WORD_1
	v_cmp_gt_i32_e32 vcc, s33, v60
	v_cndmask_b32_e32 v20, 0, v33, vcc
	v_cmp_gt_i32_e32 vcc, s15, v63
	v_cmp_gt_i32_e64 s[2:3], s33, v57
	v_perm_b32 v33, v19, v20, s20
	v_cndmask_b32_e64 v19, 0, v34, s[2:3]
	v_cndmask_b32_sdwa v20, v37, v34, vcc dst_sel:DWORD dst_unused:UNUSED_PAD src0_sel:DWORD src1_sel:WORD_1
	v_cmp_gt_i32_e32 vcc, s15, v59
	v_cmp_gt_i32_e64 s[2:3], s33, v61
	v_perm_b32 v34, v20, v19, s20
	v_cndmask_b32_e64 v19, 0, v35, s[2:3]
	v_cndmask_b32_sdwa v20, v37, v35, vcc dst_sel:DWORD dst_unused:UNUSED_PAD src0_sel:DWORD src1_sel:WORD_1
	;; [unrolled: 5-line block ×3, first 2 shown]
	v_perm_b32 v36, v20, v19, s20
.LBB160_43:                             ;   in Loop: Header=BB160_30 Depth=1
	s_or_b64 exec, exec, s[12:13]
	v_add_co_u32_e32 v19, vcc, 0x2000, v17
	v_addc_co_u32_e32 v20, vcc, 0, v18, vcc
	global_load_dwordx4 v[37:40], v[19:20], off
	s_and_saveexec_b64 s[12:13], s[0:1]
	s_cbranch_execz .LBB160_45
; %bb.44:                               ;   in Loop: Header=BB160_30 Depth=1
	v_cmp_gt_i32_e32 vcc, s15, v58
	v_mov_b32_e32 v45, 0
	s_waitcnt vmcnt(0)
	v_cndmask_b32_sdwa v19, v45, v37, vcc dst_sel:DWORD dst_unused:UNUSED_PAD src0_sel:DWORD src1_sel:WORD_1
	v_cmp_gt_i32_e32 vcc, s33, v60
	v_cndmask_b32_e32 v20, 0, v37, vcc
	v_cmp_gt_i32_e32 vcc, s15, v63
	v_cmp_gt_i32_e64 s[2:3], s33, v57
	v_perm_b32 v37, v19, v20, s20
	v_cndmask_b32_e64 v19, 0, v38, s[2:3]
	v_cndmask_b32_sdwa v20, v45, v38, vcc dst_sel:DWORD dst_unused:UNUSED_PAD src0_sel:DWORD src1_sel:WORD_1
	v_cmp_gt_i32_e32 vcc, s15, v59
	v_cmp_gt_i32_e64 s[2:3], s33, v61
	v_perm_b32 v38, v20, v19, s20
	v_cndmask_b32_e64 v19, 0, v39, s[2:3]
	v_cndmask_b32_sdwa v20, v45, v39, vcc dst_sel:DWORD dst_unused:UNUSED_PAD src0_sel:DWORD src1_sel:WORD_1
	v_cmp_gt_i32_e32 vcc, s15, v0
	v_cmp_gt_i32_e64 s[2:3], s33, v62
	v_perm_b32 v39, v20, v19, s20
	v_cndmask_b32_e64 v19, 0, v40, s[2:3]
	v_cndmask_b32_sdwa v20, v45, v40, vcc dst_sel:DWORD dst_unused:UNUSED_PAD src0_sel:DWORD src1_sel:WORD_1
	v_perm_b32 v40, v20, v19, s20
.LBB160_45:                             ;   in Loop: Header=BB160_30 Depth=1
	s_or_b64 exec, exec, s[12:13]
	v_add_co_u32_e32 v19, vcc, 0x2000, v17
	v_addc_co_u32_e32 v20, vcc, 0, v18, vcc
	global_load_dwordx4 v[45:48], v[19:20], off offset:1024
	s_and_saveexec_b64 s[12:13], s[0:1]
	s_cbranch_execz .LBB160_47
; %bb.46:                               ;   in Loop: Header=BB160_30 Depth=1
	v_cmp_gt_i32_e32 vcc, s15, v58
	v_mov_b32_e32 v53, 0
	s_waitcnt vmcnt(0)
	v_cndmask_b32_sdwa v19, v53, v45, vcc dst_sel:DWORD dst_unused:UNUSED_PAD src0_sel:DWORD src1_sel:WORD_1
	v_cmp_gt_i32_e32 vcc, s33, v60
	v_cndmask_b32_e32 v20, 0, v45, vcc
	v_cmp_gt_i32_e32 vcc, s15, v63
	v_cmp_gt_i32_e64 s[2:3], s33, v57
	v_perm_b32 v45, v19, v20, s20
	v_cndmask_b32_e64 v19, 0, v46, s[2:3]
	v_cndmask_b32_sdwa v20, v53, v46, vcc dst_sel:DWORD dst_unused:UNUSED_PAD src0_sel:DWORD src1_sel:WORD_1
	v_cmp_gt_i32_e32 vcc, s15, v59
	v_cmp_gt_i32_e64 s[2:3], s33, v61
	v_perm_b32 v46, v20, v19, s20
	v_cndmask_b32_e64 v19, 0, v47, s[2:3]
	v_cndmask_b32_sdwa v20, v53, v47, vcc dst_sel:DWORD dst_unused:UNUSED_PAD src0_sel:DWORD src1_sel:WORD_1
	v_cmp_gt_i32_e32 vcc, s15, v0
	v_cmp_gt_i32_e64 s[2:3], s33, v62
	v_perm_b32 v47, v20, v19, s20
	v_cndmask_b32_e64 v19, 0, v48, s[2:3]
	v_cndmask_b32_sdwa v20, v53, v48, vcc dst_sel:DWORD dst_unused:UNUSED_PAD src0_sel:DWORD src1_sel:WORD_1
	v_perm_b32 v48, v20, v19, s20
.LBB160_47:                             ;   in Loop: Header=BB160_30 Depth=1
	s_or_b64 exec, exec, s[12:13]
	v_add_co_u32_e32 v19, vcc, 0x2000, v17
	v_addc_co_u32_e32 v20, vcc, 0, v18, vcc
	global_load_dwordx4 v[53:56], v[19:20], off offset:2048
	;; [unrolled: 30-line block ×3, first 2 shown]
	s_and_saveexec_b64 s[2:3], s[0:1]
	s_cbranch_execz .LBB160_29
; %bb.50:                               ;   in Loop: Header=BB160_30 Depth=1
	v_cmp_gt_i32_e32 vcc, s15, v58
	v_mov_b32_e32 v1, 0
	s_waitcnt vmcnt(0)
	v_cndmask_b32_sdwa v58, v1, v17, vcc dst_sel:DWORD dst_unused:UNUSED_PAD src0_sel:DWORD src1_sel:WORD_1
	v_cmp_gt_i32_e32 vcc, s33, v60
	v_cndmask_b32_e32 v17, 0, v17, vcc
	v_cmp_gt_i32_e32 vcc, s15, v63
	v_cmp_gt_i32_e64 s[0:1], s33, v57
	v_cndmask_b32_e64 v57, 0, v18, s[0:1]
	v_cndmask_b32_sdwa v18, v1, v18, vcc dst_sel:DWORD dst_unused:UNUSED_PAD src0_sel:DWORD src1_sel:WORD_1
	v_cmp_gt_i32_e32 vcc, s15, v59
	v_cmp_gt_i32_e64 s[0:1], s33, v61
	v_perm_b32 v18, v18, v57, s20
	v_cndmask_b32_e64 v57, 0, v19, s[0:1]
	v_cndmask_b32_sdwa v19, v1, v19, vcc dst_sel:DWORD dst_unused:UNUSED_PAD src0_sel:DWORD src1_sel:WORD_1
	v_cmp_gt_i32_e32 vcc, s15, v0
	v_cmp_gt_i32_e64 s[0:1], s33, v62
	v_cndmask_b32_e64 v0, 0, v20, s[0:1]
	v_cndmask_b32_sdwa v20, v1, v20, vcc dst_sel:DWORD dst_unused:UNUSED_PAD src0_sel:DWORD src1_sel:WORD_1
	v_perm_b32 v17, v58, v17, s20
	v_perm_b32 v19, v19, v57, s20
	;; [unrolled: 1-line block ×3, first 2 shown]
	s_branch .LBB160_29
.LBB160_51:                             ;   in Loop: Header=BB160_30 Depth=1
	buffer_load_dword v1, off, s[36:39], 0  ; 4-byte Folded Reload
	buffer_load_dword v2, off, s[36:39], 0 offset:4 ; 4-byte Folded Reload
	buffer_load_dword v3, off, s[36:39], 0 offset:8 ; 4-byte Folded Reload
	;; [unrolled: 1-line block ×3, first 2 shown]
	v_cmp_gt_i32_e32 vcc, s15, v58
	v_mov_b32_e32 v6, 0
	v_cmp_gt_i32_e64 s[2:3], s33, v57
	s_waitcnt vmcnt(3)
	v_cndmask_b32_sdwa v5, v6, v1, vcc dst_sel:DWORD dst_unused:UNUSED_PAD src0_sel:DWORD src1_sel:WORD_1
	v_cmp_gt_i32_e32 vcc, s33, v60
	v_cndmask_b32_e32 v1, 0, v1, vcc
	v_cmp_gt_i32_e32 vcc, s15, v63
	v_perm_b32 v1, v5, v1, s20
	s_waitcnt vmcnt(2)
	v_cndmask_b32_e64 v5, 0, v2, s[2:3]
	v_cndmask_b32_sdwa v2, v6, v2, vcc dst_sel:DWORD dst_unused:UNUSED_PAD src0_sel:DWORD src1_sel:WORD_1
	v_cmp_gt_i32_e32 vcc, s15, v59
	v_cmp_gt_i32_e64 s[2:3], s33, v61
	v_perm_b32 v2, v2, v5, s20
	s_waitcnt vmcnt(1)
	v_cndmask_b32_e64 v5, 0, v3, s[2:3]
	v_cndmask_b32_sdwa v3, v6, v3, vcc dst_sel:DWORD dst_unused:UNUSED_PAD src0_sel:DWORD src1_sel:WORD_1
	v_cmp_gt_i32_e32 vcc, s15, v0
	v_cmp_gt_i32_e64 s[2:3], s33, v62
	v_perm_b32 v3, v3, v5, s20
	s_waitcnt vmcnt(0)
	v_cndmask_b32_e64 v5, 0, v4, s[2:3]
	v_cndmask_b32_sdwa v4, v6, v4, vcc dst_sel:DWORD dst_unused:UNUSED_PAD src0_sel:DWORD src1_sel:WORD_1
	v_perm_b32 v4, v4, v5, s20
	buffer_store_dword v1, off, s[36:39], 0 ; 4-byte Folded Spill
	s_nop 0
	buffer_store_dword v2, off, s[36:39], 0 offset:4 ; 4-byte Folded Spill
	buffer_store_dword v3, off, s[36:39], 0 offset:8 ; 4-byte Folded Spill
	;; [unrolled: 1-line block ×3, first 2 shown]
	s_or_b64 exec, exec, s[12:13]
	global_load_dwordx4 v[5:8], v[17:18], off offset:1024
	s_and_saveexec_b64 s[12:13], s[0:1]
	s_cbranch_execz .LBB160_32
.LBB160_52:                             ;   in Loop: Header=BB160_30 Depth=1
	v_cmp_gt_i32_e32 vcc, s15, v58
	v_mov_b32_e32 v10, 0
	s_waitcnt vmcnt(0)
	v_cndmask_b32_sdwa v9, v10, v5, vcc dst_sel:DWORD dst_unused:UNUSED_PAD src0_sel:DWORD src1_sel:WORD_1
	v_cmp_gt_i32_e32 vcc, s33, v60
	v_cndmask_b32_e32 v5, 0, v5, vcc
	v_cmp_gt_i32_e32 vcc, s15, v63
	v_cmp_gt_i32_e64 s[2:3], s33, v57
	v_perm_b32 v5, v9, v5, s20
	v_cndmask_b32_e64 v9, 0, v6, s[2:3]
	v_cndmask_b32_sdwa v6, v10, v6, vcc dst_sel:DWORD dst_unused:UNUSED_PAD src0_sel:DWORD src1_sel:WORD_1
	v_cmp_gt_i32_e32 vcc, s15, v59
	v_cmp_gt_i32_e64 s[2:3], s33, v61
	v_perm_b32 v6, v6, v9, s20
	v_cndmask_b32_e64 v9, 0, v7, s[2:3]
	v_cndmask_b32_sdwa v7, v10, v7, vcc dst_sel:DWORD dst_unused:UNUSED_PAD src0_sel:DWORD src1_sel:WORD_1
	;; [unrolled: 5-line block ×3, first 2 shown]
	v_perm_b32 v8, v8, v9, s20
	s_or_b64 exec, exec, s[12:13]
	global_load_dwordx4 v[9:12], v[17:18], off offset:2048
	s_and_saveexec_b64 s[12:13], s[0:1]
	s_cbranch_execz .LBB160_33
.LBB160_53:                             ;   in Loop: Header=BB160_30 Depth=1
	v_cmp_gt_i32_e32 vcc, s15, v58
	v_mov_b32_e32 v14, 0
	s_waitcnt vmcnt(0)
	v_cndmask_b32_sdwa v13, v14, v9, vcc dst_sel:DWORD dst_unused:UNUSED_PAD src0_sel:DWORD src1_sel:WORD_1
	v_cmp_gt_i32_e32 vcc, s33, v60
	v_cndmask_b32_e32 v9, 0, v9, vcc
	v_cmp_gt_i32_e32 vcc, s15, v63
	v_cmp_gt_i32_e64 s[2:3], s33, v57
	v_perm_b32 v9, v13, v9, s20
	v_cndmask_b32_e64 v13, 0, v10, s[2:3]
	v_cndmask_b32_sdwa v10, v14, v10, vcc dst_sel:DWORD dst_unused:UNUSED_PAD src0_sel:DWORD src1_sel:WORD_1
	v_cmp_gt_i32_e32 vcc, s15, v59
	v_cmp_gt_i32_e64 s[2:3], s33, v61
	v_perm_b32 v10, v10, v13, s20
	v_cndmask_b32_e64 v13, 0, v11, s[2:3]
	v_cndmask_b32_sdwa v11, v14, v11, vcc dst_sel:DWORD dst_unused:UNUSED_PAD src0_sel:DWORD src1_sel:WORD_1
	;; [unrolled: 5-line block ×3, first 2 shown]
	v_perm_b32 v12, v12, v13, s20
	s_or_b64 exec, exec, s[12:13]
	global_load_dwordx4 v[13:16], v[17:18], off offset:3072
	s_and_saveexec_b64 s[12:13], s[0:1]
	s_cbranch_execnz .LBB160_34
	s_branch .LBB160_35
.LBB160_54:
	s_or_b64 exec, exec, s[6:7]
	buffer_load_dword v19, off, s[36:39], 0 offset:392 ; 4-byte Folded Reload
	buffer_load_dword v20, off, s[36:39], 0 offset:92 ; 4-byte Folded Reload
	buffer_load_dword v13, off, s[36:39], 0 offset:96 ; 4-byte Folded Reload
	buffer_load_dword v18, off, s[36:39], 0 offset:100 ; 4-byte Folded Reload
.LBB160_55:
	s_or_b64 exec, exec, s[4:5]
	s_waitcnt vmcnt(1)
	ds_bpermute_b32 v0, v13, v10
	ds_bpermute_b32 v1, v13, v11
	;; [unrolled: 1-line block ×4, first 2 shown]
	s_waitcnt lgkmcnt(0)
	v_add_f32_e32 v0, v10, v0
	s_waitcnt vmcnt(0)
	ds_bpermute_b32 v4, v18, v0
	v_add_f32_e32 v1, v11, v1
	v_add_f32_e32 v3, v22, v3
	ds_bpermute_b32 v5, v18, v1
	v_add_f32_e32 v2, v14, v2
	s_waitcnt lgkmcnt(1)
	v_add_f32_e32 v8, v0, v4
	ds_bpermute_b32 v0, v18, v3
	ds_bpermute_b32 v4, v13, v26
	s_waitcnt lgkmcnt(2)
	v_add_f32_e32 v6, v1, v5
	ds_bpermute_b32 v5, v13, v30
	ds_bpermute_b32 v7, v18, v2
	s_waitcnt lgkmcnt(3)
	v_add_f32_e32 v1, v3, v0
	ds_bpermute_b32 v0, v13, v34
	s_waitcnt lgkmcnt(3)
	v_add_f32_e32 v3, v26, v4
	s_waitcnt lgkmcnt(2)
	v_add_f32_e32 v5, v30, v5
	ds_bpermute_b32 v4, v18, v3
	ds_bpermute_b32 v9, v18, v5
	s_waitcnt lgkmcnt(2)
	v_add_f32_e32 v0, v34, v0
	ds_bpermute_b32 v10, v18, v0
	ds_bpermute_b32 v11, v13, v38
	v_add_f32_e32 v2, v2, v7
	s_waitcnt lgkmcnt(3)
	v_add_f32_e32 v7, v3, v4
	s_waitcnt lgkmcnt(2)
	v_add_f32_e32 v4, v5, v9
	ds_bpermute_b32 v5, v13, v46
	s_waitcnt lgkmcnt(2)
	v_add_f32_e32 v3, v0, v10
	s_waitcnt lgkmcnt(1)
	v_add_f32_e32 v0, v38, v11
	ds_bpermute_b32 v10, v13, v54
	ds_bpermute_b32 v11, v13, v58
	;; [unrolled: 1-line block ×3, first 2 shown]
	s_waitcnt lgkmcnt(3)
	v_add_f32_e32 v5, v46, v5
	ds_bpermute_b32 v9, v18, v0
	s_waitcnt lgkmcnt(3)
	v_add_f32_e32 v14, v54, v10
	s_waitcnt lgkmcnt(2)
	v_add_f32_e32 v16, v58, v11
	;; [unrolled: 2-line block ×3, first 2 shown]
	ds_bpermute_b32 v12, v18, v5
	ds_bpermute_b32 v15, v18, v14
	;; [unrolled: 1-line block ×4, first 2 shown]
	s_waitcnt lgkmcnt(4)
	v_add_f32_e32 v11, v0, v9
	s_waitcnt lgkmcnt(3)
	v_add_f32_e32 v10, v5, v12
	;; [unrolled: 2-line block ×5, first 2 shown]
	v_and_b32_e32 v13, 0x3c3, v19
	v_cmp_eq_u32_e32 vcc, 64, v13
	s_barrier
	s_and_saveexec_b64 s[0:1], vcc
	s_cbranch_execz .LBB160_57
; %bb.56:
	v_add_u32_e32 v12, 0x190, v20
	ds_write2_b32 v12, v8, v6 offset1:16
	ds_write2_b32 v12, v2, v1 offset0:32 offset1:48
	ds_write2_b32 v12, v7, v4 offset0:64 offset1:80
	;; [unrolled: 1-line block ×5, first 2 shown]
.LBB160_57:
	s_or_b64 exec, exec, s[0:1]
	v_cmp_gt_u32_e32 vcc, 64, v19
	v_lshrrev_b32_e32 v12, 2, v19
	s_waitcnt lgkmcnt(0)
	s_barrier
	s_and_saveexec_b64 s[0:1], vcc
	s_cbranch_execz .LBB160_72
; %bb.58:
	buffer_load_dword v14, off, s[36:39], 0 offset:88 ; 4-byte Folded Reload
	s_waitcnt vmcnt(0)
	v_cmp_eq_u32_e32 vcc, 0, v14
	v_mov_b32_e32 v14, 0x190
	v_lshl_add_u32 v14, v12, 2, v14
	s_and_saveexec_b64 s[2:3], vcc
	s_cbranch_execnz .LBB160_75
; %bb.59:
	s_or_b64 exec, exec, s[2:3]
	s_and_saveexec_b64 s[2:3], vcc
	s_cbranch_execnz .LBB160_76
.LBB160_60:
	s_or_b64 exec, exec, s[2:3]
	s_and_saveexec_b64 s[2:3], vcc
	s_cbranch_execnz .LBB160_77
.LBB160_61:
	s_or_b64 exec, exec, s[2:3]
	s_and_saveexec_b64 s[2:3], vcc
	s_cbranch_execnz .LBB160_78
.LBB160_62:
	s_or_b64 exec, exec, s[2:3]
	s_and_saveexec_b64 s[2:3], vcc
	s_cbranch_execnz .LBB160_79
.LBB160_63:
	s_or_b64 exec, exec, s[2:3]
	s_and_saveexec_b64 s[2:3], vcc
	s_cbranch_execnz .LBB160_80
.LBB160_64:
	s_or_b64 exec, exec, s[2:3]
	s_and_saveexec_b64 s[2:3], vcc
	s_cbranch_execnz .LBB160_81
.LBB160_65:
	s_or_b64 exec, exec, s[2:3]
	s_and_saveexec_b64 s[2:3], vcc
	s_cbranch_execnz .LBB160_82
.LBB160_66:
	s_or_b64 exec, exec, s[2:3]
	s_and_saveexec_b64 s[2:3], vcc
	s_cbranch_execnz .LBB160_83
.LBB160_67:
	s_or_b64 exec, exec, s[2:3]
	s_and_saveexec_b64 s[2:3], vcc
	s_cbranch_execnz .LBB160_84
.LBB160_68:
	s_or_b64 exec, exec, s[2:3]
	s_and_saveexec_b64 s[2:3], vcc
	s_cbranch_execnz .LBB160_85
.LBB160_69:
	s_or_b64 exec, exec, s[2:3]
	s_and_saveexec_b64 s[2:3], vcc
	s_cbranch_execz .LBB160_71
.LBB160_70:
	ds_read_b32 v14, v14 offset:704
	s_waitcnt lgkmcnt(0)
	v_add_f32_e32 v0, v0, v14
.LBB160_71:
	s_or_b64 exec, exec, s[2:3]
.LBB160_72:
	s_or_b64 exec, exec, s[0:1]
	v_cmp_eq_u32_e32 vcc, 0, v13
	s_barrier
	s_and_saveexec_b64 s[0:1], vcc
	s_cbranch_execz .LBB160_74
; %bb.73:
	s_mul_i32 s0, s10, s11
	s_mul_i32 s0, s0, s9
	s_mulk_i32 s0, 0xc0
	s_ashr_i32 s1, s0, 31
	s_lshl_b64 s[0:1], s[0:1], 1
	s_add_u32 s2, s18, s0
	s_mul_i32 s0, s11, s16
	s_addc_u32 s3, s19, s1
	s_ashr_i32 s1, s0, 31
	s_lshl_b64 s[0:1], s[0:1], 1
	s_add_u32 s2, s2, s0
	s_mul_i32 s0, s8, 0xc0
	s_addc_u32 s3, s3, s1
	s_ashr_i32 s1, s0, 31
	s_lshl_b64 s[0:1], s[0:1], 1
	s_add_u32 s0, s2, s0
	v_bfe_u32 v13, v8, 16, 1
	s_movk_i32 s2, 0x7fff
	v_add3_u32 v13, v13, v8, s2
	v_or_b32_e32 v14, 0x400000, v8
	v_cmp_u_f32_e32 vcc, v8, v8
	s_addc_u32 s1, s3, s1
	v_lshlrev_b32_e32 v12, 1, v12
	v_cndmask_b32_e32 v8, v13, v14, vcc
	global_store_short_d16_hi v12, v8, s[0:1]
	v_bfe_u32 v8, v6, 16, 1
	v_add3_u32 v8, v8, v6, s2
	v_or_b32_e32 v13, 0x400000, v6
	v_cmp_u_f32_e32 vcc, v6, v6
	v_cndmask_b32_e32 v6, v8, v13, vcc
	global_store_short_d16_hi v12, v6, s[0:1] offset:32
	v_bfe_u32 v6, v2, 16, 1
	v_add3_u32 v6, v6, v2, s2
	v_or_b32_e32 v8, 0x400000, v2
	v_cmp_u_f32_e32 vcc, v2, v2
	v_cndmask_b32_e32 v2, v6, v8, vcc
	global_store_short_d16_hi v12, v2, s[0:1] offset:64
	;; [unrolled: 6-line block ×11, first 2 shown]
.LBB160_74:
	s_endpgm
.LBB160_75:
	ds_read_b32 v15, v14
	s_waitcnt lgkmcnt(0)
	v_add_f32_e32 v8, v8, v15
	s_or_b64 exec, exec, s[2:3]
	s_and_saveexec_b64 s[2:3], vcc
	s_cbranch_execz .LBB160_60
.LBB160_76:
	ds_read_b32 v15, v14 offset:64
	s_waitcnt lgkmcnt(0)
	v_add_f32_e32 v6, v6, v15
	s_or_b64 exec, exec, s[2:3]
	s_and_saveexec_b64 s[2:3], vcc
	s_cbranch_execz .LBB160_61
.LBB160_77:
	ds_read_b32 v15, v14 offset:128
	s_waitcnt lgkmcnt(0)
	v_add_f32_e32 v2, v2, v15
	s_or_b64 exec, exec, s[2:3]
	s_and_saveexec_b64 s[2:3], vcc
	s_cbranch_execz .LBB160_62
.LBB160_78:
	ds_read_b32 v15, v14 offset:192
	s_waitcnt lgkmcnt(0)
	v_add_f32_e32 v1, v1, v15
	s_or_b64 exec, exec, s[2:3]
	s_and_saveexec_b64 s[2:3], vcc
	s_cbranch_execz .LBB160_63
.LBB160_79:
	ds_read_b32 v15, v14 offset:256
	s_waitcnt lgkmcnt(0)
	v_add_f32_e32 v7, v7, v15
	s_or_b64 exec, exec, s[2:3]
	s_and_saveexec_b64 s[2:3], vcc
	s_cbranch_execz .LBB160_64
.LBB160_80:
	ds_read_b32 v15, v14 offset:320
	s_waitcnt lgkmcnt(0)
	v_add_f32_e32 v4, v4, v15
	s_or_b64 exec, exec, s[2:3]
	s_and_saveexec_b64 s[2:3], vcc
	s_cbranch_execz .LBB160_65
.LBB160_81:
	ds_read_b32 v15, v14 offset:384
	s_waitcnt lgkmcnt(0)
	v_add_f32_e32 v3, v3, v15
	s_or_b64 exec, exec, s[2:3]
	s_and_saveexec_b64 s[2:3], vcc
	s_cbranch_execz .LBB160_66
.LBB160_82:
	ds_read_b32 v15, v14 offset:448
	s_waitcnt lgkmcnt(0)
	v_add_f32_e32 v11, v11, v15
	s_or_b64 exec, exec, s[2:3]
	s_and_saveexec_b64 s[2:3], vcc
	s_cbranch_execz .LBB160_67
.LBB160_83:
	ds_read_b32 v15, v14 offset:512
	s_waitcnt lgkmcnt(0)
	v_add_f32_e32 v10, v10, v15
	s_or_b64 exec, exec, s[2:3]
	s_and_saveexec_b64 s[2:3], vcc
	s_cbranch_execz .LBB160_68
.LBB160_84:
	ds_read_b32 v15, v14 offset:576
	s_waitcnt lgkmcnt(0)
	v_add_f32_e32 v9, v9, v15
	s_or_b64 exec, exec, s[2:3]
	s_and_saveexec_b64 s[2:3], vcc
	s_cbranch_execz .LBB160_69
.LBB160_85:
	ds_read_b32 v15, v14 offset:640
	s_waitcnt lgkmcnt(0)
	v_add_f32_e32 v5, v5, v15
	s_or_b64 exec, exec, s[2:3]
	s_and_saveexec_b64 s[2:3], vcc
	s_cbranch_execnz .LBB160_70
	s_branch .LBB160_71
	.section	.rodata,"a",@progbits
	.p2align	6, 0x0
	.amdhsa_kernel _ZN4vllm25paged_attention_v1_kernelI14__hip_bfloat16S1_Li192ELi32ELi128ELNS_18Fp8KVCacheDataTypeE0ELb0EEEvPT_PKS3_PKT0_S9_ifPKiSB_iPKfiiiSD_SD_iiiii
		.amdhsa_group_segment_fixed_size 400
		.amdhsa_private_segment_fixed_size 420
		.amdhsa_kernarg_size 384
		.amdhsa_user_sgpr_count 6
		.amdhsa_user_sgpr_private_segment_buffer 1
		.amdhsa_user_sgpr_dispatch_ptr 0
		.amdhsa_user_sgpr_queue_ptr 0
		.amdhsa_user_sgpr_kernarg_segment_ptr 1
		.amdhsa_user_sgpr_dispatch_id 0
		.amdhsa_user_sgpr_flat_scratch_init 0
		.amdhsa_user_sgpr_private_segment_size 0
		.amdhsa_uses_dynamic_stack 0
		.amdhsa_system_sgpr_private_segment_wavefront_offset 1
		.amdhsa_system_sgpr_workgroup_id_x 1
		.amdhsa_system_sgpr_workgroup_id_y 1
		.amdhsa_system_sgpr_workgroup_id_z 1
		.amdhsa_system_sgpr_workgroup_info 0
		.amdhsa_system_vgpr_workitem_id 0
		.amdhsa_next_free_vgpr 64
		.amdhsa_next_free_sgpr 40
		.amdhsa_reserve_vcc 1
		.amdhsa_reserve_flat_scratch 0
		.amdhsa_float_round_mode_32 0
		.amdhsa_float_round_mode_16_64 0
		.amdhsa_float_denorm_mode_32 3
		.amdhsa_float_denorm_mode_16_64 3
		.amdhsa_dx10_clamp 1
		.amdhsa_ieee_mode 1
		.amdhsa_fp16_overflow 0
		.amdhsa_exception_fp_ieee_invalid_op 0
		.amdhsa_exception_fp_denorm_src 0
		.amdhsa_exception_fp_ieee_div_zero 0
		.amdhsa_exception_fp_ieee_overflow 0
		.amdhsa_exception_fp_ieee_underflow 0
		.amdhsa_exception_fp_ieee_inexact 0
		.amdhsa_exception_int_div_zero 0
	.end_amdhsa_kernel
	.section	.text._ZN4vllm25paged_attention_v1_kernelI14__hip_bfloat16S1_Li192ELi32ELi128ELNS_18Fp8KVCacheDataTypeE0ELb0EEEvPT_PKS3_PKT0_S9_ifPKiSB_iPKfiiiSD_SD_iiiii,"axG",@progbits,_ZN4vllm25paged_attention_v1_kernelI14__hip_bfloat16S1_Li192ELi32ELi128ELNS_18Fp8KVCacheDataTypeE0ELb0EEEvPT_PKS3_PKT0_S9_ifPKiSB_iPKfiiiSD_SD_iiiii,comdat
.Lfunc_end160:
	.size	_ZN4vllm25paged_attention_v1_kernelI14__hip_bfloat16S1_Li192ELi32ELi128ELNS_18Fp8KVCacheDataTypeE0ELb0EEEvPT_PKS3_PKT0_S9_ifPKiSB_iPKfiiiSD_SD_iiiii, .Lfunc_end160-_ZN4vllm25paged_attention_v1_kernelI14__hip_bfloat16S1_Li192ELi32ELi128ELNS_18Fp8KVCacheDataTypeE0ELb0EEEvPT_PKS3_PKT0_S9_ifPKiSB_iPKfiiiSD_SD_iiiii
                                        ; -- End function
	.set _ZN4vllm25paged_attention_v1_kernelI14__hip_bfloat16S1_Li192ELi32ELi128ELNS_18Fp8KVCacheDataTypeE0ELb0EEEvPT_PKS3_PKT0_S9_ifPKiSB_iPKfiiiSD_SD_iiiii.num_vgpr, 64
	.set _ZN4vllm25paged_attention_v1_kernelI14__hip_bfloat16S1_Li192ELi32ELi128ELNS_18Fp8KVCacheDataTypeE0ELb0EEEvPT_PKS3_PKT0_S9_ifPKiSB_iPKfiiiSD_SD_iiiii.num_agpr, 0
	.set _ZN4vllm25paged_attention_v1_kernelI14__hip_bfloat16S1_Li192ELi32ELi128ELNS_18Fp8KVCacheDataTypeE0ELb0EEEvPT_PKS3_PKT0_S9_ifPKiSB_iPKfiiiSD_SD_iiiii.numbered_sgpr, 40
	.set _ZN4vllm25paged_attention_v1_kernelI14__hip_bfloat16S1_Li192ELi32ELi128ELNS_18Fp8KVCacheDataTypeE0ELb0EEEvPT_PKS3_PKT0_S9_ifPKiSB_iPKfiiiSD_SD_iiiii.num_named_barrier, 0
	.set _ZN4vllm25paged_attention_v1_kernelI14__hip_bfloat16S1_Li192ELi32ELi128ELNS_18Fp8KVCacheDataTypeE0ELb0EEEvPT_PKS3_PKT0_S9_ifPKiSB_iPKfiiiSD_SD_iiiii.private_seg_size, 420
	.set _ZN4vllm25paged_attention_v1_kernelI14__hip_bfloat16S1_Li192ELi32ELi128ELNS_18Fp8KVCacheDataTypeE0ELb0EEEvPT_PKS3_PKT0_S9_ifPKiSB_iPKfiiiSD_SD_iiiii.uses_vcc, 1
	.set _ZN4vllm25paged_attention_v1_kernelI14__hip_bfloat16S1_Li192ELi32ELi128ELNS_18Fp8KVCacheDataTypeE0ELb0EEEvPT_PKS3_PKT0_S9_ifPKiSB_iPKfiiiSD_SD_iiiii.uses_flat_scratch, 0
	.set _ZN4vllm25paged_attention_v1_kernelI14__hip_bfloat16S1_Li192ELi32ELi128ELNS_18Fp8KVCacheDataTypeE0ELb0EEEvPT_PKS3_PKT0_S9_ifPKiSB_iPKfiiiSD_SD_iiiii.has_dyn_sized_stack, 0
	.set _ZN4vllm25paged_attention_v1_kernelI14__hip_bfloat16S1_Li192ELi32ELi128ELNS_18Fp8KVCacheDataTypeE0ELb0EEEvPT_PKS3_PKT0_S9_ifPKiSB_iPKfiiiSD_SD_iiiii.has_recursion, 0
	.set _ZN4vllm25paged_attention_v1_kernelI14__hip_bfloat16S1_Li192ELi32ELi128ELNS_18Fp8KVCacheDataTypeE0ELb0EEEvPT_PKS3_PKT0_S9_ifPKiSB_iPKfiiiSD_SD_iiiii.has_indirect_call, 0
	.section	.AMDGPU.csdata,"",@progbits
; Kernel info:
; codeLenInByte = 15980
; TotalNumSgprs: 44
; NumVgprs: 64
; ScratchSize: 420
; MemoryBound: 0
; FloatMode: 240
; IeeeMode: 1
; LDSByteSize: 400 bytes/workgroup (compile time only)
; SGPRBlocks: 5
; VGPRBlocks: 15
; NumSGPRsForWavesPerEU: 44
; NumVGPRsForWavesPerEU: 64
; Occupancy: 4
; WaveLimiterHint : 1
; COMPUTE_PGM_RSRC2:SCRATCH_EN: 1
; COMPUTE_PGM_RSRC2:USER_SGPR: 6
; COMPUTE_PGM_RSRC2:TRAP_HANDLER: 0
; COMPUTE_PGM_RSRC2:TGID_X_EN: 1
; COMPUTE_PGM_RSRC2:TGID_Y_EN: 1
; COMPUTE_PGM_RSRC2:TGID_Z_EN: 1
; COMPUTE_PGM_RSRC2:TIDIG_COMP_CNT: 0
	.section	.text._ZN4vllm25paged_attention_v1_kernelI14__hip_bfloat16S1_Li256ELi32ELi128ELNS_18Fp8KVCacheDataTypeE0ELb0EEEvPT_PKS3_PKT0_S9_ifPKiSB_iPKfiiiSD_SD_iiiii,"axG",@progbits,_ZN4vllm25paged_attention_v1_kernelI14__hip_bfloat16S1_Li256ELi32ELi128ELNS_18Fp8KVCacheDataTypeE0ELb0EEEvPT_PKS3_PKT0_S9_ifPKiSB_iPKfiiiSD_SD_iiiii,comdat
	.protected	_ZN4vllm25paged_attention_v1_kernelI14__hip_bfloat16S1_Li256ELi32ELi128ELNS_18Fp8KVCacheDataTypeE0ELb0EEEvPT_PKS3_PKT0_S9_ifPKiSB_iPKfiiiSD_SD_iiiii ; -- Begin function _ZN4vllm25paged_attention_v1_kernelI14__hip_bfloat16S1_Li256ELi32ELi128ELNS_18Fp8KVCacheDataTypeE0ELb0EEEvPT_PKS3_PKT0_S9_ifPKiSB_iPKfiiiSD_SD_iiiii
	.globl	_ZN4vllm25paged_attention_v1_kernelI14__hip_bfloat16S1_Li256ELi32ELi128ELNS_18Fp8KVCacheDataTypeE0ELb0EEEvPT_PKS3_PKT0_S9_ifPKiSB_iPKfiiiSD_SD_iiiii
	.p2align	8
	.type	_ZN4vllm25paged_attention_v1_kernelI14__hip_bfloat16S1_Li256ELi32ELi128ELNS_18Fp8KVCacheDataTypeE0ELb0EEEvPT_PKS3_PKT0_S9_ifPKiSB_iPKfiiiSD_SD_iiiii,@function
_ZN4vllm25paged_attention_v1_kernelI14__hip_bfloat16S1_Li256ELi32ELi128ELNS_18Fp8KVCacheDataTypeE0ELb0EEEvPT_PKS3_PKT0_S9_ifPKiSB_iPKfiiiSD_SD_iiiii: ; @_ZN4vllm25paged_attention_v1_kernelI14__hip_bfloat16S1_Li256ELi32ELi128ELNS_18Fp8KVCacheDataTypeE0ELb0EEEvPT_PKS3_PKT0_S9_ifPKiSB_iPKfiiiSD_SD_iiiii
; %bb.0:
	s_mov_b64 s[42:43], s[2:3]
	s_mov_b64 s[40:41], s[0:1]
	s_add_u32 s40, s40, s9
	s_load_dword s9, s[4:5], 0x80
	s_load_dwordx2 s[0:1], s[4:5], 0x30
	s_load_dwordx2 s[10:11], s[4:5], 0x20
	s_addc_u32 s41, s41, 0
	s_mov_b32 s16, s7
	s_ashr_i32 s17, s7, 31
	s_lshl_b64 s[2:3], s[16:17], 2
	s_waitcnt lgkmcnt(0)
	s_add_u32 s0, s0, s2
	s_addc_u32 s1, s1, s3
	s_abs_i32 s2, s10
	v_cvt_f32_u32_e32 v1, s2
	s_xor_b32 s3, s9, s10
	s_sub_i32 s10, 0, s2
	s_abs_i32 s7, s9
	v_rcp_iflag_f32_e32 v1, v1
	s_ashr_i32 s3, s3, 31
	v_mul_f32_e32 v1, 0x4f7ffffe, v1
	v_cvt_u32_f32_e32 v1, v1
	v_readfirstlane_b32 s12, v1
	s_mul_i32 s10, s10, s12
	s_mul_hi_u32 s10, s12, s10
	s_add_i32 s12, s12, s10
	s_mul_hi_u32 s10, s7, s12
	s_mul_i32 s12, s10, s2
	s_sub_i32 s7, s7, s12
	s_add_i32 s12, s10, 1
	s_sub_i32 s13, s7, s2
	s_cmp_ge_u32 s7, s2
	s_cselect_b32 s10, s12, s10
	s_cselect_b32 s7, s13, s7
	s_add_i32 s12, s10, 1
	s_cmp_ge_u32 s7, s2
	s_cselect_b32 s2, s12, s10
	s_xor_b32 s2, s2, s3
	s_sub_i32 s12, s2, s3
	s_abs_i32 s17, s12
	v_cvt_f32_u32_e32 v1, s17
	s_load_dwordx2 s[2:3], s[4:5], 0x40
	s_sub_i32 s7, 0, s17
	s_abs_i32 s20, s6
	v_rcp_iflag_f32_e32 v1, v1
	s_mov_b32 s10, 0
	v_mul_f32_e32 v1, 0x4f7ffffe, v1
	v_cvt_u32_f32_e32 v1, v1
	v_readfirstlane_b32 s13, v1
	s_mul_i32 s7, s7, s13
	s_mul_hi_u32 s7, s13, s7
	s_add_i32 s13, s13, s7
	s_waitcnt lgkmcnt(0)
	s_cmp_eq_u64 s[2:3], 0
	s_mul_hi_u32 s21, s20, s13
	s_cbranch_scc1 .LBB161_2
; %bb.1:
	s_ashr_i32 s7, s6, 31
	s_lshl_b64 s[14:15], s[6:7], 2
	s_add_u32 s2, s2, s14
	s_addc_u32 s3, s3, s15
	s_load_dword s10, s[2:3], 0x0
.LBB161_2:
	s_load_dword s33, s[0:1], 0x0
	s_ashr_i32 s24, s12, 31
	s_load_dwordx4 s[12:15], s[4:5], 0x48
	s_ashr_i32 s7, s6, 31
	v_and_b32_e32 v11, 1, v0
	s_lshl_b32 s18, s6, 8
	v_cmp_gt_u32_e64 s[0:1], 64, v0
	v_lshlrev_b32_e32 v13, 3, v0
	s_mov_b64 s[2:3], exec
	s_and_b64 s[22:23], s[2:3], s[0:1]
	buffer_store_dword v0, off, s[40:43], 0 offset:632 ; 4-byte Folded Spill
	s_mov_b64 exec, s[22:23]
	s_cbranch_execz .LBB161_4
; %bb.3:
	buffer_load_dword v0, off, s[40:43], 0 offset:632 ; 4-byte Folded Reload
	s_load_dwordx2 s[22:23], s[4:5], 0x8
	s_waitcnt lgkmcnt(0)
	s_mul_i32 s26, s12, s16
	s_ashr_i32 s27, s26, 31
	s_lshl_b64 s[26:27], s[26:27], 1
	s_add_u32 s6, s22, s26
	s_addc_u32 s12, s23, s27
	s_ashr_i32 s19, s18, 31
	s_lshl_b64 s[22:23], s[18:19], 1
	s_add_u32 s22, s6, s22
	s_addc_u32 s23, s12, s23
	global_load_dwordx2 v[1:2], v13, s[22:23]
	s_waitcnt vmcnt(1)
	v_lshlrev_b32_e32 v3, 2, v0
	buffer_load_dword v0, off, s[40:43], 0 offset:632 ; 4-byte Folded Reload
	v_and_b32_e32 v3, 0xff8, v3
	v_lshl_add_u32 v3, v11, 8, v3
	s_waitcnt vmcnt(1)
	ds_write_b64 v3, v[1:2]
.LBB161_4:
	s_or_b64 exec, exec, s[2:3]
	s_waitcnt lgkmcnt(0)
	s_add_i32 s3, s33, 31
	s_ashr_i32 s6, s3, 31
	s_lshr_b32 s6, s6, 27
	s_add_i32 s3, s3, s6
	s_mul_i32 s6, s21, s17
	s_sub_i32 s6, s20, s6
	s_ashr_i32 s19, s3, 5
	s_xor_b32 s3, s7, s24
	s_add_i32 s7, s21, 1
	s_sub_i32 s12, s6, s17
	s_load_dwordx2 s[22:23], s[4:5], 0x28
	s_load_dword s2, s[4:5], 0x38
	s_cmp_ge_u32 s6, s17
	s_cselect_b32 s7, s7, s21
	s_cselect_b32 s6, s12, s6
	s_add_i32 s12, s7, 1
	s_cmp_ge_u32 s6, s17
	s_cselect_b32 s6, s12, s7
	s_waitcnt vmcnt(0)
	v_lshrrev_b32_e32 v16, 6, v0
	s_xor_b32 s6, s6, s3
	s_waitcnt lgkmcnt(0)
	s_mul_i32 s24, s2, s16
	s_sub_i32 s12, s6, s3
	s_ashr_i32 s25, s24, 31
	v_cmp_gt_i32_e64 s[2:3], s19, v16
	v_cmp_le_i32_e32 vcc, s19, v16
	v_mbcnt_lo_u32_b32 v1, -1, 0
	s_barrier
                                        ; implicit-def: $vgpr12
                                        ; implicit-def: $vgpr8
                                        ; implicit-def: $vgpr9
	s_and_saveexec_b64 s[6:7], vcc
	s_xor_b64 s[6:7], exec, s[6:7]
; %bb.5:
	v_mbcnt_hi_u32_b32 v12, -1, v1
	v_and_b32_e32 v8, 64, v12
	v_add_u32_e32 v9, 64, v8
                                        ; implicit-def: $vgpr11
                                        ; implicit-def: $vgpr1
; %bb.6:
	s_or_saveexec_b64 s[28:29], s[6:7]
	s_load_dwordx2 s[20:21], s[4:5], 0x0
	s_load_dwordx2 s[26:27], s[4:5], 0x18
	s_load_dword s17, s[4:5], 0x88
	v_mov_b32_e32 v2, 0xff7fffff
	s_mul_i32 s14, s12, s14
	v_lshrrev_b32_e32 v14, 4, v0
	s_xor_b64 exec, exec, s[28:29]
	s_cbranch_execz .LBB161_12
; %bb.7:
	v_lshlrev_b32_e32 v2, 8, v11
	ds_read_b128 v[3:6], v2
	ds_read_b128 v[7:10], v2 offset:16
	s_load_dwordx2 s[4:5], s[4:5], 0x10
	s_ashr_i32 s15, s14, 31
	s_lshl_b64 s[6:7], s[14:15], 1
	s_waitcnt lgkmcnt(0)
	v_lshlrev_b32_e32 v12, 16, v3
	v_and_b32_e32 v3, 0xffff0000, v3
	buffer_store_dword v3, off, s[40:43], 0 offset:96 ; 4-byte Folded Spill
	v_lshlrev_b32_e32 v3, 16, v4
	buffer_store_dword v3, off, s[40:43], 0 offset:100 ; 4-byte Folded Spill
	v_and_b32_e32 v3, 0xffff0000, v4
	buffer_store_dword v3, off, s[40:43], 0 offset:104 ; 4-byte Folded Spill
	v_lshlrev_b32_e32 v3, 16, v5
	buffer_store_dword v3, off, s[40:43], 0 offset:108 ; 4-byte Folded Spill
	;; [unrolled: 4-line block ×6, first 2 shown]
	ds_read_b128 v[3:6], v2 offset:32
	v_and_b32_e32 v7, 0xffff0000, v9
	buffer_store_dword v7, off, s[40:43], 0 offset:144 ; 4-byte Folded Spill
	v_lshlrev_b32_e32 v7, 16, v10
	buffer_store_dword v7, off, s[40:43], 0 offset:148 ; 4-byte Folded Spill
	v_and_b32_e32 v7, 0xffff0000, v10
	buffer_store_dword v12, off, s[40:43], 0 offset:92 ; 4-byte Folded Spill
	buffer_store_dword v7, off, s[40:43], 0 offset:152 ; 4-byte Folded Spill
	ds_read_b128 v[7:10], v2 offset:48
	s_waitcnt lgkmcnt(1)
	v_lshlrev_b32_e32 v12, 16, v3
	v_and_b32_e32 v3, 0xffff0000, v3
	buffer_store_dword v3, off, s[40:43], 0 offset:164 ; 4-byte Folded Spill
	v_lshlrev_b32_e32 v3, 16, v4
	buffer_store_dword v3, off, s[40:43], 0 offset:180 ; 4-byte Folded Spill
	v_and_b32_e32 v3, 0xffff0000, v4
	buffer_store_dword v3, off, s[40:43], 0 offset:184 ; 4-byte Folded Spill
	v_lshlrev_b32_e32 v3, 16, v5
	buffer_store_dword v3, off, s[40:43], 0 offset:188 ; 4-byte Folded Spill
	;; [unrolled: 4-line block ×3, first 2 shown]
	v_and_b32_e32 v3, 0xffff0000, v6
	buffer_store_dword v3, off, s[40:43], 0 offset:200 ; 4-byte Folded Spill
	s_waitcnt lgkmcnt(0)
	v_lshlrev_b32_e32 v3, 16, v7
	buffer_store_dword v3, off, s[40:43], 0 offset:204 ; 4-byte Folded Spill
	v_and_b32_e32 v3, 0xffff0000, v7
	buffer_store_dword v3, off, s[40:43], 0 offset:208 ; 4-byte Folded Spill
	v_lshlrev_b32_e32 v3, 16, v8
	buffer_store_dword v3, off, s[40:43], 0 offset:212 ; 4-byte Folded Spill
	v_and_b32_e32 v3, 0xffff0000, v8
	buffer_store_dword v3, off, s[40:43], 0 offset:216 ; 4-byte Folded Spill
	v_lshlrev_b32_e32 v3, 16, v9
	buffer_store_dword v3, off, s[40:43], 0 offset:220 ; 4-byte Folded Spill
	ds_read_b128 v[3:6], v2 offset:64
	v_and_b32_e32 v7, 0xffff0000, v9
	buffer_store_dword v7, off, s[40:43], 0 offset:224 ; 4-byte Folded Spill
	v_lshlrev_b32_e32 v7, 16, v10
	buffer_store_dword v7, off, s[40:43], 0 offset:228 ; 4-byte Folded Spill
	v_and_b32_e32 v7, 0xffff0000, v10
	buffer_store_dword v12, off, s[40:43], 0 offset:156 ; 4-byte Folded Spill
	buffer_store_dword v7, off, s[40:43], 0 offset:232 ; 4-byte Folded Spill
	ds_read_b128 v[7:10], v2 offset:80
	s_waitcnt lgkmcnt(1)
	v_lshlrev_b32_e32 v12, 16, v3
	v_and_b32_e32 v3, 0xffff0000, v3
	buffer_store_dword v3, off, s[40:43], 0 offset:240 ; 4-byte Folded Spill
	v_lshlrev_b32_e32 v3, 16, v4
	buffer_store_dword v3, off, s[40:43], 0 offset:244 ; 4-byte Folded Spill
	v_and_b32_e32 v3, 0xffff0000, v4
	buffer_store_dword v3, off, s[40:43], 0 offset:248 ; 4-byte Folded Spill
	v_lshlrev_b32_e32 v3, 16, v5
	buffer_store_dword v3, off, s[40:43], 0 offset:252 ; 4-byte Folded Spill
	;; [unrolled: 4-line block ×3, first 2 shown]
	v_and_b32_e32 v3, 0xffff0000, v6
	buffer_store_dword v3, off, s[40:43], 0 offset:264 ; 4-byte Folded Spill
	s_waitcnt lgkmcnt(0)
	v_lshlrev_b32_e32 v3, 16, v7
	buffer_store_dword v3, off, s[40:43], 0 offset:268 ; 4-byte Folded Spill
	v_and_b32_e32 v3, 0xffff0000, v7
	buffer_store_dword v3, off, s[40:43], 0 offset:272 ; 4-byte Folded Spill
	v_lshlrev_b32_e32 v3, 16, v8
	buffer_store_dword v3, off, s[40:43], 0 offset:276 ; 4-byte Folded Spill
	v_and_b32_e32 v3, 0xffff0000, v8
	buffer_store_dword v3, off, s[40:43], 0 offset:280 ; 4-byte Folded Spill
	;; [unrolled: 4-line block ×4, first 2 shown]
	buffer_store_dword v3, off, s[40:43], 0 offset:296 ; 4-byte Folded Spill
	ds_read_b128 v[3:6], v2 offset:96
	ds_read_b128 v[7:10], v2 offset:112
	s_add_u32 s4, s4, s6
	s_addc_u32 s5, s5, s7
	s_sub_i32 s12, 1, s33
	s_waitcnt lgkmcnt(1)
	v_lshlrev_b32_e32 v12, 16, v3
	v_and_b32_e32 v3, 0xffff0000, v3
	buffer_store_dword v3, off, s[40:43], 0 offset:304 ; 4-byte Folded Spill
	v_lshlrev_b32_e32 v3, 16, v4
	buffer_store_dword v3, off, s[40:43], 0 offset:308 ; 4-byte Folded Spill
	v_and_b32_e32 v3, 0xffff0000, v4
	buffer_store_dword v3, off, s[40:43], 0 offset:312 ; 4-byte Folded Spill
	v_lshlrev_b32_e32 v3, 16, v5
	buffer_store_dword v3, off, s[40:43], 0 offset:316 ; 4-byte Folded Spill
	;; [unrolled: 4-line block ×3, first 2 shown]
	v_and_b32_e32 v3, 0xffff0000, v6
	buffer_store_dword v3, off, s[40:43], 0 offset:328 ; 4-byte Folded Spill
	s_waitcnt lgkmcnt(0)
	v_lshlrev_b32_e32 v3, 16, v7
	buffer_store_dword v3, off, s[40:43], 0 offset:332 ; 4-byte Folded Spill
	v_and_b32_e32 v3, 0xffff0000, v7
	buffer_store_dword v3, off, s[40:43], 0 offset:336 ; 4-byte Folded Spill
	v_lshlrev_b32_e32 v3, 16, v8
	buffer_store_dword v3, off, s[40:43], 0 offset:340 ; 4-byte Folded Spill
	v_and_b32_e32 v3, 0xffff0000, v8
	buffer_store_dword v3, off, s[40:43], 0 offset:344 ; 4-byte Folded Spill
	;; [unrolled: 4-line block ×4, first 2 shown]
	buffer_store_dword v3, off, s[40:43], 0 offset:360 ; 4-byte Folded Spill
	ds_read_b128 v[3:6], v2 offset:128
	ds_read_b128 v[7:10], v2 offset:144
	s_lshl_b64 s[6:7], s[24:25], 2
	s_add_u32 s6, s22, s6
	s_addc_u32 s7, s23, s7
	s_waitcnt lgkmcnt(1)
	v_lshlrev_b32_e32 v12, 16, v3
	v_and_b32_e32 v3, 0xffff0000, v3
	buffer_store_dword v3, off, s[40:43], 0 offset:368 ; 4-byte Folded Spill
	v_lshlrev_b32_e32 v3, 16, v4
	buffer_store_dword v3, off, s[40:43], 0 offset:372 ; 4-byte Folded Spill
	v_and_b32_e32 v3, 0xffff0000, v4
	buffer_store_dword v3, off, s[40:43], 0 offset:376 ; 4-byte Folded Spill
	v_lshlrev_b32_e32 v3, 16, v5
	buffer_store_dword v3, off, s[40:43], 0 offset:380 ; 4-byte Folded Spill
	;; [unrolled: 4-line block ×3, first 2 shown]
	v_and_b32_e32 v3, 0xffff0000, v6
	buffer_store_dword v3, off, s[40:43], 0 offset:392 ; 4-byte Folded Spill
	s_waitcnt lgkmcnt(0)
	v_lshlrev_b32_e32 v3, 16, v7
	buffer_store_dword v3, off, s[40:43], 0 offset:396 ; 4-byte Folded Spill
	v_and_b32_e32 v3, 0xffff0000, v7
	buffer_store_dword v3, off, s[40:43], 0 offset:400 ; 4-byte Folded Spill
	v_lshlrev_b32_e32 v3, 16, v8
	buffer_store_dword v3, off, s[40:43], 0 offset:404 ; 4-byte Folded Spill
	v_and_b32_e32 v3, 0xffff0000, v8
	buffer_store_dword v3, off, s[40:43], 0 offset:408 ; 4-byte Folded Spill
	;; [unrolled: 4-line block ×4, first 2 shown]
	buffer_store_dword v3, off, s[40:43], 0 offset:424 ; 4-byte Folded Spill
	ds_read_b128 v[3:6], v2 offset:160
	ds_read_b128 v[7:10], v2 offset:176
	v_mbcnt_hi_u32_b32 v1, -1, v1
	s_mov_b32 s15, s13
	s_mov_b64 s[30:31], 0
	s_waitcnt lgkmcnt(1)
	v_lshlrev_b32_e32 v12, 16, v3
	v_and_b32_e32 v3, 0xffff0000, v3
	buffer_store_dword v3, off, s[40:43], 0 offset:432 ; 4-byte Folded Spill
	v_lshlrev_b32_e32 v3, 16, v4
	buffer_store_dword v3, off, s[40:43], 0 offset:436 ; 4-byte Folded Spill
	v_and_b32_e32 v3, 0xffff0000, v4
	buffer_store_dword v3, off, s[40:43], 0 offset:440 ; 4-byte Folded Spill
	v_lshlrev_b32_e32 v3, 16, v5
	buffer_store_dword v3, off, s[40:43], 0 offset:444 ; 4-byte Folded Spill
	;; [unrolled: 4-line block ×3, first 2 shown]
	v_and_b32_e32 v3, 0xffff0000, v6
	buffer_store_dword v3, off, s[40:43], 0 offset:456 ; 4-byte Folded Spill
	s_waitcnt lgkmcnt(0)
	v_lshlrev_b32_e32 v3, 16, v7
	buffer_store_dword v3, off, s[40:43], 0 offset:460 ; 4-byte Folded Spill
	v_and_b32_e32 v3, 0xffff0000, v7
	buffer_store_dword v3, off, s[40:43], 0 offset:464 ; 4-byte Folded Spill
	v_lshlrev_b32_e32 v3, 16, v8
	buffer_store_dword v3, off, s[40:43], 0 offset:468 ; 4-byte Folded Spill
	v_and_b32_e32 v3, 0xffff0000, v8
	buffer_store_dword v3, off, s[40:43], 0 offset:472 ; 4-byte Folded Spill
	;; [unrolled: 4-line block ×4, first 2 shown]
	buffer_store_dword v3, off, s[40:43], 0 offset:488 ; 4-byte Folded Spill
	ds_read_b128 v[3:6], v2 offset:192
	ds_read_b128 v[7:10], v2 offset:208
	s_movk_i32 s36, 0x1000
	s_movk_i32 s37, 0x2000
	;; [unrolled: 1-line block ×3, first 2 shown]
	s_waitcnt lgkmcnt(1)
	v_lshlrev_b32_e32 v12, 16, v3
	v_and_b32_e32 v3, 0xffff0000, v3
	buffer_store_dword v3, off, s[40:43], 0 offset:496 ; 4-byte Folded Spill
	v_lshlrev_b32_e32 v3, 16, v4
	buffer_store_dword v3, off, s[40:43], 0 offset:500 ; 4-byte Folded Spill
	v_and_b32_e32 v3, 0xffff0000, v4
	buffer_store_dword v3, off, s[40:43], 0 offset:504 ; 4-byte Folded Spill
	v_lshlrev_b32_e32 v3, 16, v5
	buffer_store_dword v3, off, s[40:43], 0 offset:508 ; 4-byte Folded Spill
	;; [unrolled: 4-line block ×3, first 2 shown]
	v_and_b32_e32 v3, 0xffff0000, v6
	buffer_store_dword v3, off, s[40:43], 0 offset:520 ; 4-byte Folded Spill
	s_waitcnt lgkmcnt(0)
	v_lshlrev_b32_e32 v3, 16, v7
	buffer_store_dword v3, off, s[40:43], 0 offset:524 ; 4-byte Folded Spill
	v_and_b32_e32 v3, 0xffff0000, v7
	buffer_store_dword v3, off, s[40:43], 0 offset:528 ; 4-byte Folded Spill
	v_lshlrev_b32_e32 v3, 16, v8
	buffer_store_dword v3, off, s[40:43], 0 offset:532 ; 4-byte Folded Spill
	v_and_b32_e32 v3, 0xffff0000, v8
	buffer_store_dword v3, off, s[40:43], 0 offset:536 ; 4-byte Folded Spill
	;; [unrolled: 4-line block ×4, first 2 shown]
	buffer_store_dword v3, off, s[40:43], 0 offset:552 ; 4-byte Folded Spill
	ds_read_b128 v[3:6], v2 offset:224
	ds_read_b128 v[7:10], v2 offset:240
	buffer_store_dword v1, off, s[40:43], 0 offset:644 ; 4-byte Folded Spill
	buffer_store_dword v14, off, s[40:43], 0 offset:640 ; 4-byte Folded Spill
	;; [unrolled: 1-line block ×3, first 2 shown]
	s_waitcnt lgkmcnt(1)
	v_lshlrev_b32_e32 v2, 16, v3
	buffer_store_dword v2, off, s[40:43], 0 offset:556 ; 4-byte Folded Spill
	v_and_b32_e32 v2, 0xffff0000, v3
	buffer_store_dword v2, off, s[40:43], 0 offset:560 ; 4-byte Folded Spill
	v_lshlrev_b32_e32 v2, 16, v4
	buffer_store_dword v2, off, s[40:43], 0 offset:564 ; 4-byte Folded Spill
	v_and_b32_e32 v2, 0xffff0000, v4
	buffer_store_dword v2, off, s[40:43], 0 offset:568 ; 4-byte Folded Spill
	;; [unrolled: 4-line block ×4, first 2 shown]
	s_waitcnt lgkmcnt(0)
	v_lshlrev_b32_e32 v2, 16, v7
	buffer_store_dword v2, off, s[40:43], 0 offset:588 ; 4-byte Folded Spill
	v_and_b32_e32 v2, 0xffff0000, v7
	buffer_store_dword v2, off, s[40:43], 0 offset:592 ; 4-byte Folded Spill
	v_lshlrev_b32_e32 v2, 16, v8
	buffer_store_dword v2, off, s[40:43], 0 offset:596 ; 4-byte Folded Spill
	v_and_b32_e32 v2, 0xffff0000, v8
	buffer_store_dword v2, off, s[40:43], 0 offset:600 ; 4-byte Folded Spill
	;; [unrolled: 4-line block ×4, first 2 shown]
	v_bfe_u32 v2, v0, 1, 5
	v_lshlrev_b32_e32 v3, 4, v2
	v_add_co_u32_e32 v3, vcc, s4, v3
	v_and_b32_e32 v5, 8, v13
	v_mov_b32_e32 v4, s5
	v_add_co_u32_e64 v0, s[4:5], v3, v5
	buffer_store_dword v0, off, s[40:43], 0 offset:620 ; 4-byte Folded Spill
	v_and_b32_e32 v0, 60, v14
	v_addc_co_u32_e32 v4, vcc, 0, v4, vcc
	v_mov_b32_e32 v3, s7
	v_add_co_u32_e64 v5, s[6:7], s6, v0
	v_addc_co_u32_e64 v6, s[6:7], 0, v3, s[6:7]
	v_addc_co_u32_e64 v0, s[4:5], 0, v4, s[4:5]
	v_and_b32_e32 v3, 64, v1
	buffer_store_dword v0, off, s[40:43], 0 offset:624 ; 4-byte Folded Spill
	v_xor_b32_e32 v0, 1, v1
	buffer_store_dword v3, off, s[40:43], 0 offset:648 ; 4-byte Folded Spill
	v_add_u32_e32 v3, 64, v3
	v_cmp_lt_i32_e64 s[4:5], v0, v3
	v_cndmask_b32_e64 v0, v1, v0, s[4:5]
	v_lshlrev_b32_e32 v1, 2, v2
	v_lshlrev_b32_e32 v0, 2, v0
	v_lshl_or_b32 v1, v16, 7, v1
	v_cmp_eq_u32_e32 vcc, 0, v11
	buffer_store_dword v0, off, s[40:43], 0 offset:628 ; 4-byte Folded Spill
	v_cmp_neq_f32_e64 s[4:5], s10, 0
	v_lshl_or_b32 v0, v16, 5, v2
	v_add_u32_e32 v15, 0x210, v1
	v_mov_b32_e32 v1, 0xff7fffff
	v_mov_b32_e32 v14, v16
	buffer_store_dword v3, off, s[40:43], 0 offset:652 ; 4-byte Folded Spill
	buffer_store_dword v1, off, s[40:43], 0 offset:88 ; 4-byte Folded Spill
	s_branch .LBB161_9
.LBB161_8:                              ;   in Loop: Header=BB161_9 Depth=1
	s_or_b64 exec, exec, s[34:35]
	v_add_u32_e32 v14, 2, v14
	v_cmp_le_i32_e64 s[6:7], s19, v14
	s_or_b64 s[30:31], s[6:7], s[30:31]
	v_add_co_u32_e64 v5, s[6:7], 8, v5
	v_add_u32_e32 v0, 64, v0
	v_add_u32_e32 v15, 0x100, v15
	v_addc_co_u32_e64 v6, s[6:7], 0, v6, s[6:7]
	s_andn2_b64 exec, exec, s[30:31]
	s_cbranch_execz .LBB161_11
.LBB161_9:                              ; =>This Inner Loop Header: Depth=1
	global_load_dword v1, v[5:6], off
	buffer_load_dword v3, off, s[40:43], 0 offset:620 ; 4-byte Folded Reload
	s_waitcnt vmcnt(1) lgkmcnt(0)
	v_mad_i64_i32 v[1:2], s[6:7], v1, s15, 0
	v_lshlrev_b64 v[1:2], 1, v[1:2]
	s_waitcnt vmcnt(0)
	v_add_co_u32_e64 v8, s[6:7], v3, v1
	buffer_load_dword v1, off, s[40:43], 0 offset:624 ; 4-byte Folded Reload
	s_waitcnt vmcnt(0)
	v_addc_co_u32_e64 v9, s[6:7], v1, v2, s[6:7]
	v_add_co_u32_e64 v10, s[6:7], s36, v8
	v_addc_co_u32_e64 v11, s[6:7], 0, v9, s[6:7]
	v_add_co_u32_e64 v12, s[6:7], s37, v8
	;; [unrolled: 2-line block ×3, first 2 shown]
	global_load_dwordx2 v[3:4], v[8:9], off
	global_load_dwordx2 v[1:2], v[8:9], off offset:512
	global_load_dwordx2 v[61:62], v[8:9], off offset:1024
	;; [unrolled: 1-line block ×7, first 2 shown]
	v_addc_co_u32_e64 v8, s[6:7], 0, v9, s[6:7]
	global_load_dwordx2 v[49:50], v[12:13], off offset:-4096
	global_load_dwordx2 v[47:48], v[10:11], off offset:512
	global_load_dwordx2 v[45:46], v[10:11], off offset:1024
	;; [unrolled: 1-line block ×7, first 2 shown]
	global_load_dwordx2 v[33:34], v[12:13], off
	global_load_dwordx2 v[31:32], v[12:13], off offset:512
	global_load_dwordx2 v[29:30], v[12:13], off offset:1024
	global_load_dwordx2 v[27:28], v[12:13], off offset:1536
	global_load_dwordx2 v[25:26], v[12:13], off offset:2048
	global_load_dwordx2 v[23:24], v[12:13], off offset:2560
	global_load_dwordx2 v[21:22], v[12:13], off offset:3072
	global_load_dwordx2 v[19:20], v[12:13], off offset:3584
	global_load_dwordx2 v[17:18], v[7:8], off
	global_load_dwordx2 v[9:10], v[7:8], off offset:512
	s_nop 0
	global_load_dwordx2 v[11:12], v[7:8], off offset:1024
	s_waitcnt vmcnt(0)
	buffer_store_dword v11, off, s[40:43], 0 offset:72 ; 4-byte Folded Spill
	s_nop 0
	buffer_store_dword v12, off, s[40:43], 0 offset:76 ; 4-byte Folded Spill
	global_load_dwordx2 v[11:12], v[7:8], off offset:1536
	v_lshlrev_b32_e32 v13, 16, v4
	v_and_b32_e32 v63, 0xffff0000, v4
	v_and_b32_e32 v4, 0xffff0000, v1
	s_waitcnt vmcnt(0)
	buffer_store_dword v11, off, s[40:43], 0 offset:56 ; 4-byte Folded Spill
	s_nop 0
	buffer_store_dword v12, off, s[40:43], 0 offset:60 ; 4-byte Folded Spill
	global_load_dwordx2 v[11:12], v[7:8], off offset:2048
	s_waitcnt vmcnt(0)
	buffer_store_dword v11, off, s[40:43], 0 offset:40 ; 4-byte Folded Spill
	s_nop 0
	buffer_store_dword v12, off, s[40:43], 0 offset:44 ; 4-byte Folded Spill
	global_load_dwordx2 v[11:12], v[7:8], off offset:2560
	;; [unrolled: 5-line block ×4, first 2 shown]
	s_waitcnt vmcnt(0)
	buffer_store_dword v7, off, s[40:43], 0 ; 4-byte Folded Spill
	s_nop 0
	buffer_store_dword v8, off, s[40:43], 0 offset:4 ; 4-byte Folded Spill
	v_lshlrev_b32_e32 v7, 16, v3
	v_and_b32_e32 v8, 0xffff0000, v3
	v_lshlrev_b32_e32 v3, 16, v1
	buffer_load_dword v1, off, s[40:43], 0 offset:108 ; 4-byte Folded Reload
	s_waitcnt vmcnt(0)
	v_mul_f32_e32 v1, v1, v3
	buffer_load_dword v3, off, s[40:43], 0 offset:92 ; 4-byte Folded Reload
	s_waitcnt vmcnt(0)
	v_fmac_f32_e32 v1, v3, v7
	buffer_load_dword v3, off, s[40:43], 0 offset:112 ; 4-byte Folded Reload
	v_and_b32_e32 v7, 0xffff0000, v2
	s_waitcnt vmcnt(0)
	v_mul_f32_e32 v3, v3, v4
	buffer_load_dword v4, off, s[40:43], 0 offset:96 ; 4-byte Folded Reload
	s_waitcnt vmcnt(0)
	v_fmac_f32_e32 v3, v4, v8
	v_lshlrev_b32_e32 v4, 16, v2
	buffer_load_dword v2, off, s[40:43], 0 offset:116 ; 4-byte Folded Reload
	v_and_b32_e32 v8, 0xffff0000, v61
	s_waitcnt vmcnt(0)
	v_mul_f32_e32 v2, v2, v4
	buffer_load_dword v4, off, s[40:43], 0 offset:100 ; 4-byte Folded Reload
	s_waitcnt vmcnt(0)
	v_fmac_f32_e32 v2, v4, v13
	buffer_load_dword v4, off, s[40:43], 0 offset:120 ; 4-byte Folded Reload
	buffer_load_dword v13, off, s[40:43], 0 offset:124 ; 4-byte Folded Reload
	s_waitcnt vmcnt(1)
	v_mul_f32_e32 v4, v4, v7
	buffer_load_dword v7, off, s[40:43], 0 offset:104 ; 4-byte Folded Reload
	s_waitcnt vmcnt(0)
	v_fmac_f32_e32 v4, v7, v63
	v_lshlrev_b32_e32 v7, 16, v61
	v_fmac_f32_e32 v1, v13, v7
	buffer_load_dword v7, off, s[40:43], 0 offset:128 ; 4-byte Folded Reload
	buffer_load_dword v13, off, s[40:43], 0 offset:132 ; 4-byte Folded Reload
	s_waitcnt vmcnt(1)
	v_fmac_f32_e32 v3, v7, v8
	v_lshlrev_b32_e32 v7, 16, v62
	s_waitcnt vmcnt(0)
	v_fmac_f32_e32 v2, v13, v7
	buffer_load_dword v7, off, s[40:43], 0 offset:136 ; 4-byte Folded Reload
	buffer_load_dword v13, off, s[40:43], 0 offset:140 ; 4-byte Folded Reload
	v_and_b32_e32 v8, 0xffff0000, v62
	s_waitcnt vmcnt(1)
	v_fmac_f32_e32 v4, v7, v8
	v_lshlrev_b32_e32 v7, 16, v59
	s_waitcnt vmcnt(0)
	v_fmac_f32_e32 v1, v13, v7
	buffer_load_dword v7, off, s[40:43], 0 offset:144 ; 4-byte Folded Reload
	buffer_load_dword v13, off, s[40:43], 0 offset:148 ; 4-byte Folded Reload
	v_and_b32_e32 v8, 0xffff0000, v59
	s_waitcnt vmcnt(1)
	v_fmac_f32_e32 v3, v7, v8
	v_lshlrev_b32_e32 v7, 16, v60
	s_waitcnt vmcnt(0)
	v_fmac_f32_e32 v2, v13, v7
	buffer_load_dword v7, off, s[40:43], 0 offset:152 ; 4-byte Folded Reload
	buffer_load_dword v13, off, s[40:43], 0 offset:156 ; 4-byte Folded Reload
	v_and_b32_e32 v8, 0xffff0000, v60
	s_waitcnt vmcnt(1)
	v_fmac_f32_e32 v4, v7, v8
	v_lshlrev_b32_e32 v7, 16, v57
	s_waitcnt vmcnt(0)
	v_fmac_f32_e32 v1, v13, v7
	buffer_load_dword v7, off, s[40:43], 0 offset:164 ; 4-byte Folded Reload
	buffer_load_dword v13, off, s[40:43], 0 offset:180 ; 4-byte Folded Reload
	v_and_b32_e32 v8, 0xffff0000, v57
	s_waitcnt vmcnt(1)
	v_fmac_f32_e32 v3, v7, v8
	v_lshlrev_b32_e32 v7, 16, v58
	s_waitcnt vmcnt(0)
	v_fmac_f32_e32 v2, v13, v7
	buffer_load_dword v7, off, s[40:43], 0 offset:184 ; 4-byte Folded Reload
	buffer_load_dword v13, off, s[40:43], 0 offset:188 ; 4-byte Folded Reload
	v_and_b32_e32 v8, 0xffff0000, v58
	s_waitcnt vmcnt(1)
	v_fmac_f32_e32 v4, v7, v8
	v_lshlrev_b32_e32 v7, 16, v55
	s_waitcnt vmcnt(0)
	v_fmac_f32_e32 v1, v13, v7
	buffer_load_dword v7, off, s[40:43], 0 offset:192 ; 4-byte Folded Reload
	buffer_load_dword v13, off, s[40:43], 0 offset:196 ; 4-byte Folded Reload
	v_and_b32_e32 v8, 0xffff0000, v55
	s_waitcnt vmcnt(1)
	v_fmac_f32_e32 v3, v7, v8
	v_lshlrev_b32_e32 v7, 16, v56
	s_waitcnt vmcnt(0)
	v_fmac_f32_e32 v2, v13, v7
	buffer_load_dword v7, off, s[40:43], 0 offset:200 ; 4-byte Folded Reload
	buffer_load_dword v13, off, s[40:43], 0 offset:204 ; 4-byte Folded Reload
	v_and_b32_e32 v8, 0xffff0000, v56
	s_waitcnt vmcnt(1)
	v_fmac_f32_e32 v4, v7, v8
	v_lshlrev_b32_e32 v7, 16, v53
	s_waitcnt vmcnt(0)
	v_fmac_f32_e32 v1, v13, v7
	buffer_load_dword v7, off, s[40:43], 0 offset:208 ; 4-byte Folded Reload
	buffer_load_dword v13, off, s[40:43], 0 offset:212 ; 4-byte Folded Reload
	v_and_b32_e32 v8, 0xffff0000, v53
	s_waitcnt vmcnt(1)
	v_fmac_f32_e32 v3, v7, v8
	v_lshlrev_b32_e32 v7, 16, v54
	s_waitcnt vmcnt(0)
	v_fmac_f32_e32 v2, v13, v7
	buffer_load_dword v7, off, s[40:43], 0 offset:216 ; 4-byte Folded Reload
	buffer_load_dword v13, off, s[40:43], 0 offset:220 ; 4-byte Folded Reload
	v_and_b32_e32 v8, 0xffff0000, v54
	s_waitcnt vmcnt(1)
	v_fmac_f32_e32 v4, v7, v8
	v_lshlrev_b32_e32 v7, 16, v51
	s_waitcnt vmcnt(0)
	v_fmac_f32_e32 v1, v13, v7
	buffer_load_dword v7, off, s[40:43], 0 offset:224 ; 4-byte Folded Reload
	buffer_load_dword v13, off, s[40:43], 0 offset:228 ; 4-byte Folded Reload
	v_and_b32_e32 v8, 0xffff0000, v51
	s_waitcnt vmcnt(1)
	v_fmac_f32_e32 v3, v7, v8
	v_lshlrev_b32_e32 v7, 16, v52
	s_waitcnt vmcnt(0)
	v_fmac_f32_e32 v2, v13, v7
	buffer_load_dword v7, off, s[40:43], 0 offset:232 ; 4-byte Folded Reload
	buffer_load_dword v13, off, s[40:43], 0 offset:236 ; 4-byte Folded Reload
	v_and_b32_e32 v8, 0xffff0000, v52
	s_waitcnt vmcnt(1)
	v_fmac_f32_e32 v4, v7, v8
	v_lshlrev_b32_e32 v7, 16, v49
	s_waitcnt vmcnt(0)
	v_fmac_f32_e32 v1, v13, v7
	buffer_load_dword v7, off, s[40:43], 0 offset:240 ; 4-byte Folded Reload
	buffer_load_dword v13, off, s[40:43], 0 offset:244 ; 4-byte Folded Reload
	v_and_b32_e32 v8, 0xffff0000, v49
	s_waitcnt vmcnt(1)
	v_fmac_f32_e32 v3, v7, v8
	v_lshlrev_b32_e32 v7, 16, v50
	s_waitcnt vmcnt(0)
	v_fmac_f32_e32 v2, v13, v7
	buffer_load_dword v7, off, s[40:43], 0 offset:248 ; 4-byte Folded Reload
	buffer_load_dword v13, off, s[40:43], 0 offset:252 ; 4-byte Folded Reload
	v_and_b32_e32 v8, 0xffff0000, v50
	s_waitcnt vmcnt(1)
	v_fmac_f32_e32 v4, v7, v8
	v_lshlrev_b32_e32 v7, 16, v47
	s_waitcnt vmcnt(0)
	v_fmac_f32_e32 v1, v13, v7
	buffer_load_dword v7, off, s[40:43], 0 offset:256 ; 4-byte Folded Reload
	buffer_load_dword v13, off, s[40:43], 0 offset:260 ; 4-byte Folded Reload
	v_and_b32_e32 v8, 0xffff0000, v47
	s_waitcnt vmcnt(1)
	v_fmac_f32_e32 v3, v7, v8
	v_lshlrev_b32_e32 v7, 16, v48
	s_waitcnt vmcnt(0)
	v_fmac_f32_e32 v2, v13, v7
	buffer_load_dword v7, off, s[40:43], 0 offset:264 ; 4-byte Folded Reload
	buffer_load_dword v13, off, s[40:43], 0 offset:268 ; 4-byte Folded Reload
	v_and_b32_e32 v8, 0xffff0000, v48
	s_waitcnt vmcnt(1)
	v_fmac_f32_e32 v4, v7, v8
	v_lshlrev_b32_e32 v7, 16, v45
	s_waitcnt vmcnt(0)
	v_fmac_f32_e32 v1, v13, v7
	buffer_load_dword v7, off, s[40:43], 0 offset:272 ; 4-byte Folded Reload
	buffer_load_dword v13, off, s[40:43], 0 offset:276 ; 4-byte Folded Reload
	v_and_b32_e32 v8, 0xffff0000, v45
	s_waitcnt vmcnt(1)
	v_fmac_f32_e32 v3, v7, v8
	v_lshlrev_b32_e32 v7, 16, v46
	s_waitcnt vmcnt(0)
	v_fmac_f32_e32 v2, v13, v7
	buffer_load_dword v7, off, s[40:43], 0 offset:280 ; 4-byte Folded Reload
	buffer_load_dword v13, off, s[40:43], 0 offset:284 ; 4-byte Folded Reload
	v_and_b32_e32 v8, 0xffff0000, v46
	s_waitcnt vmcnt(1)
	v_fmac_f32_e32 v4, v7, v8
	v_lshlrev_b32_e32 v7, 16, v43
	s_waitcnt vmcnt(0)
	v_fmac_f32_e32 v1, v13, v7
	buffer_load_dword v7, off, s[40:43], 0 offset:288 ; 4-byte Folded Reload
	buffer_load_dword v13, off, s[40:43], 0 offset:292 ; 4-byte Folded Reload
	v_and_b32_e32 v8, 0xffff0000, v43
	s_waitcnt vmcnt(1)
	v_fmac_f32_e32 v3, v7, v8
	v_lshlrev_b32_e32 v7, 16, v44
	s_waitcnt vmcnt(0)
	v_fmac_f32_e32 v2, v13, v7
	buffer_load_dword v7, off, s[40:43], 0 offset:296 ; 4-byte Folded Reload
	buffer_load_dword v13, off, s[40:43], 0 offset:300 ; 4-byte Folded Reload
	v_and_b32_e32 v8, 0xffff0000, v44
	s_waitcnt vmcnt(1)
	v_fmac_f32_e32 v4, v7, v8
	v_lshlrev_b32_e32 v7, 16, v41
	s_waitcnt vmcnt(0)
	v_fmac_f32_e32 v1, v13, v7
	buffer_load_dword v7, off, s[40:43], 0 offset:304 ; 4-byte Folded Reload
	buffer_load_dword v13, off, s[40:43], 0 offset:308 ; 4-byte Folded Reload
	v_and_b32_e32 v8, 0xffff0000, v41
	s_waitcnt vmcnt(1)
	v_fmac_f32_e32 v3, v7, v8
	v_lshlrev_b32_e32 v7, 16, v42
	s_waitcnt vmcnt(0)
	v_fmac_f32_e32 v2, v13, v7
	buffer_load_dword v7, off, s[40:43], 0 offset:312 ; 4-byte Folded Reload
	buffer_load_dword v13, off, s[40:43], 0 offset:316 ; 4-byte Folded Reload
	v_and_b32_e32 v8, 0xffff0000, v42
	s_waitcnt vmcnt(1)
	v_fmac_f32_e32 v4, v7, v8
	v_lshlrev_b32_e32 v7, 16, v39
	s_waitcnt vmcnt(0)
	v_fmac_f32_e32 v1, v13, v7
	buffer_load_dword v7, off, s[40:43], 0 offset:320 ; 4-byte Folded Reload
	buffer_load_dword v13, off, s[40:43], 0 offset:324 ; 4-byte Folded Reload
	v_and_b32_e32 v8, 0xffff0000, v39
	s_waitcnt vmcnt(1)
	v_fmac_f32_e32 v3, v7, v8
	v_lshlrev_b32_e32 v7, 16, v40
	s_waitcnt vmcnt(0)
	v_fmac_f32_e32 v2, v13, v7
	buffer_load_dword v7, off, s[40:43], 0 offset:328 ; 4-byte Folded Reload
	buffer_load_dword v13, off, s[40:43], 0 offset:332 ; 4-byte Folded Reload
	v_and_b32_e32 v8, 0xffff0000, v40
	s_waitcnt vmcnt(1)
	v_fmac_f32_e32 v4, v7, v8
	v_lshlrev_b32_e32 v7, 16, v37
	s_waitcnt vmcnt(0)
	v_fmac_f32_e32 v1, v13, v7
	buffer_load_dword v7, off, s[40:43], 0 offset:336 ; 4-byte Folded Reload
	buffer_load_dword v13, off, s[40:43], 0 offset:340 ; 4-byte Folded Reload
	v_and_b32_e32 v8, 0xffff0000, v37
	s_waitcnt vmcnt(1)
	v_fmac_f32_e32 v3, v7, v8
	v_lshlrev_b32_e32 v7, 16, v38
	s_waitcnt vmcnt(0)
	v_fmac_f32_e32 v2, v13, v7
	buffer_load_dword v7, off, s[40:43], 0 offset:344 ; 4-byte Folded Reload
	buffer_load_dword v13, off, s[40:43], 0 offset:348 ; 4-byte Folded Reload
	v_and_b32_e32 v8, 0xffff0000, v38
	s_waitcnt vmcnt(1)
	v_fmac_f32_e32 v4, v7, v8
	v_lshlrev_b32_e32 v7, 16, v35
	s_waitcnt vmcnt(0)
	v_fmac_f32_e32 v1, v13, v7
	buffer_load_dword v7, off, s[40:43], 0 offset:352 ; 4-byte Folded Reload
	buffer_load_dword v13, off, s[40:43], 0 offset:356 ; 4-byte Folded Reload
	v_and_b32_e32 v8, 0xffff0000, v35
	s_waitcnt vmcnt(1)
	v_fmac_f32_e32 v3, v7, v8
	v_lshlrev_b32_e32 v7, 16, v36
	s_waitcnt vmcnt(0)
	v_fmac_f32_e32 v2, v13, v7
	buffer_load_dword v7, off, s[40:43], 0 offset:360 ; 4-byte Folded Reload
	buffer_load_dword v13, off, s[40:43], 0 offset:364 ; 4-byte Folded Reload
	v_and_b32_e32 v8, 0xffff0000, v36
	s_waitcnt vmcnt(1)
	v_fmac_f32_e32 v4, v7, v8
	v_lshlrev_b32_e32 v7, 16, v33
	s_waitcnt vmcnt(0)
	v_fmac_f32_e32 v1, v13, v7
	buffer_load_dword v7, off, s[40:43], 0 offset:368 ; 4-byte Folded Reload
	buffer_load_dword v13, off, s[40:43], 0 offset:372 ; 4-byte Folded Reload
	v_and_b32_e32 v8, 0xffff0000, v33
	s_waitcnt vmcnt(1)
	v_fmac_f32_e32 v3, v7, v8
	v_lshlrev_b32_e32 v7, 16, v34
	s_waitcnt vmcnt(0)
	v_fmac_f32_e32 v2, v13, v7
	buffer_load_dword v7, off, s[40:43], 0 offset:376 ; 4-byte Folded Reload
	buffer_load_dword v13, off, s[40:43], 0 offset:380 ; 4-byte Folded Reload
	v_and_b32_e32 v8, 0xffff0000, v34
	s_waitcnt vmcnt(1)
	v_fmac_f32_e32 v4, v7, v8
	v_lshlrev_b32_e32 v7, 16, v31
	s_waitcnt vmcnt(0)
	v_fmac_f32_e32 v1, v13, v7
	buffer_load_dword v7, off, s[40:43], 0 offset:384 ; 4-byte Folded Reload
	buffer_load_dword v13, off, s[40:43], 0 offset:396 ; 4-byte Folded Reload
	v_and_b32_e32 v8, 0xffff0000, v31
	v_lshlrev_b32_e32 v31, 16, v32
	s_waitcnt vmcnt(1)
	v_fmac_f32_e32 v3, v7, v8
	buffer_load_dword v7, off, s[40:43], 0 offset:388 ; 4-byte Folded Reload
	v_and_b32_e32 v8, 0xffff0000, v32
	s_waitcnt vmcnt(0)
	v_fmac_f32_e32 v2, v7, v31
	buffer_load_dword v7, off, s[40:43], 0 offset:392 ; 4-byte Folded Reload
	s_waitcnt vmcnt(0)
	v_fmac_f32_e32 v4, v7, v8
	v_lshlrev_b32_e32 v7, 16, v29
	v_fmac_f32_e32 v1, v13, v7
	buffer_load_dword v7, off, s[40:43], 0 offset:400 ; 4-byte Folded Reload
	buffer_load_dword v13, off, s[40:43], 0 offset:404 ; 4-byte Folded Reload
	v_and_b32_e32 v8, 0xffff0000, v29
	s_waitcnt vmcnt(1)
	v_fmac_f32_e32 v3, v7, v8
	v_lshlrev_b32_e32 v7, 16, v30
	s_waitcnt vmcnt(0)
	v_fmac_f32_e32 v2, v13, v7
	buffer_load_dword v7, off, s[40:43], 0 offset:408 ; 4-byte Folded Reload
	buffer_load_dword v13, off, s[40:43], 0 offset:412 ; 4-byte Folded Reload
	v_and_b32_e32 v8, 0xffff0000, v30
	s_waitcnt vmcnt(1)
	v_fmac_f32_e32 v4, v7, v8
	v_lshlrev_b32_e32 v7, 16, v27
	s_waitcnt vmcnt(0)
	;; [unrolled: 8-line block ×13, first 2 shown]
	v_fmac_f32_e32 v2, v13, v7
	buffer_load_dword v7, off, s[40:43], 0 offset:504 ; 4-byte Folded Reload
	v_and_b32_e32 v8, 0xffff0000, v18
	s_waitcnt vmcnt(0)
	v_fmac_f32_e32 v4, v7, v8
	v_lshlrev_b32_e32 v7, 16, v9
	v_and_b32_e32 v8, 0xffff0000, v9
	buffer_load_dword v9, off, s[40:43], 0 offset:508 ; 4-byte Folded Reload
	s_waitcnt vmcnt(0)
	v_fmac_f32_e32 v1, v9, v7
	buffer_load_dword v7, off, s[40:43], 0 offset:512 ; 4-byte Folded Reload
	buffer_load_dword v9, off, s[40:43], 0 offset:516 ; 4-byte Folded Reload
	s_waitcnt vmcnt(1)
	v_fmac_f32_e32 v3, v7, v8
	v_lshlrev_b32_e32 v7, 16, v10
	s_waitcnt vmcnt(0)
	v_fmac_f32_e32 v2, v9, v7
	buffer_load_dword v7, off, s[40:43], 0 offset:520 ; 4-byte Folded Reload
	v_and_b32_e32 v8, 0xffff0000, v10
	s_waitcnt vmcnt(0)
	v_fmac_f32_e32 v4, v7, v8
	buffer_load_dword v8, off, s[40:43], 0 offset:72 ; 4-byte Folded Reload
	buffer_load_dword v9, off, s[40:43], 0 offset:76 ; 4-byte Folded Reload
	s_waitcnt vmcnt(1)
	v_lshlrev_b32_e32 v7, 16, v8
	s_waitcnt vmcnt(0)
	v_mov_b32_e32 v10, v9
	buffer_load_dword v9, off, s[40:43], 0 offset:524 ; 4-byte Folded Reload
	v_and_b32_e32 v8, 0xffff0000, v8
	s_waitcnt vmcnt(0)
	v_fmac_f32_e32 v1, v9, v7
	buffer_load_dword v7, off, s[40:43], 0 offset:528 ; 4-byte Folded Reload
	buffer_load_dword v9, off, s[40:43], 0 offset:532 ; 4-byte Folded Reload
	s_waitcnt vmcnt(1)
	v_fmac_f32_e32 v3, v7, v8
	v_lshlrev_b32_e32 v7, 16, v10
	s_waitcnt vmcnt(0)
	v_fmac_f32_e32 v2, v9, v7
	buffer_load_dword v7, off, s[40:43], 0 offset:536 ; 4-byte Folded Reload
	v_and_b32_e32 v8, 0xffff0000, v10
	s_waitcnt vmcnt(0)
	v_fmac_f32_e32 v4, v7, v8
	buffer_load_dword v8, off, s[40:43], 0 offset:56 ; 4-byte Folded Reload
	buffer_load_dword v9, off, s[40:43], 0 offset:60 ; 4-byte Folded Reload
	s_waitcnt vmcnt(1)
	v_lshlrev_b32_e32 v7, 16, v8
	s_waitcnt vmcnt(0)
	v_mov_b32_e32 v10, v9
	buffer_load_dword v9, off, s[40:43], 0 offset:540 ; 4-byte Folded Reload
	v_and_b32_e32 v8, 0xffff0000, v8
	;; [unrolled: 21-line block ×5, first 2 shown]
	s_waitcnt vmcnt(0)
	v_fmac_f32_e32 v1, v9, v7
	buffer_load_dword v7, off, s[40:43], 0 offset:592 ; 4-byte Folded Reload
	buffer_load_dword v9, off, s[40:43], 0 offset:596 ; 4-byte Folded Reload
	s_waitcnt vmcnt(1)
	v_fmac_f32_e32 v3, v7, v8
	v_lshlrev_b32_e32 v7, 16, v10
	s_waitcnt vmcnt(0)
	v_fmac_f32_e32 v2, v9, v7
	buffer_load_dword v7, off, s[40:43], 0 offset:600 ; 4-byte Folded Reload
	v_and_b32_e32 v8, 0xffff0000, v10
	s_waitcnt vmcnt(0)
	v_fmac_f32_e32 v4, v7, v8
	buffer_load_dword v8, off, s[40:43], 0  ; 4-byte Folded Reload
	buffer_load_dword v9, off, s[40:43], 0 offset:4 ; 4-byte Folded Reload
	s_waitcnt vmcnt(1)
	v_lshlrev_b32_e32 v7, 16, v8
	s_waitcnt vmcnt(0)
	v_mov_b32_e32 v10, v9
	buffer_load_dword v9, off, s[40:43], 0 offset:604 ; 4-byte Folded Reload
	v_and_b32_e32 v8, 0xffff0000, v8
	s_waitcnt vmcnt(0)
	v_fmac_f32_e32 v1, v9, v7
	buffer_load_dword v7, off, s[40:43], 0 offset:608 ; 4-byte Folded Reload
	buffer_load_dword v9, off, s[40:43], 0 offset:612 ; 4-byte Folded Reload
	s_waitcnt vmcnt(1)
	v_fmac_f32_e32 v3, v7, v8
	v_lshlrev_b32_e32 v7, 16, v10
	s_waitcnt vmcnt(0)
	v_fmac_f32_e32 v2, v9, v7
	buffer_load_dword v7, off, s[40:43], 0 offset:616 ; 4-byte Folded Reload
	v_add_f32_e32 v1, v1, v3
	v_add_f32_e32 v1, v1, v2
	buffer_load_dword v2, off, s[40:43], 0 offset:628 ; 4-byte Folded Reload
	v_and_b32_e32 v8, 0xffff0000, v10
	s_waitcnt vmcnt(1)
	v_fmac_f32_e32 v4, v7, v8
	v_add_f32_e32 v1, v4, v1
	s_waitcnt vmcnt(0)
	ds_bpermute_b32 v2, v2, v1
	s_and_saveexec_b64 s[34:35], vcc
	s_cbranch_execz .LBB161_8
; %bb.10:                               ;   in Loop: Header=BB161_9 Depth=1
	buffer_load_dword v4, off, s[40:43], 0 offset:88 ; 4-byte Folded Reload
	v_add_u32_e32 v3, s12, v0
	v_cvt_f32_i32_e32 v3, v3
	s_waitcnt lgkmcnt(0)
	v_add_f32_e32 v1, v1, v2
	v_cmp_gt_i32_e64 s[6:7], s33, v0
	v_mul_f32_e32 v3, s10, v3
	v_cndmask_b32_e64 v3, 0, v3, s[4:5]
	v_fmac_f32_e32 v3, s11, v1
	v_cndmask_b32_e64 v1, 0, v3, s[6:7]
	ds_write_b32 v15, v1
	s_waitcnt vmcnt(0)
	v_max_f32_e32 v2, v4, v4
	v_max_f32_e32 v1, v2, v3
	v_cndmask_b32_e64 v4, v4, v1, s[6:7]
	buffer_store_dword v4, off, s[40:43], 0 offset:88 ; 4-byte Folded Spill
	s_branch .LBB161_8
.LBB161_11:
	s_or_b64 exec, exec, s[30:31]
	buffer_load_dword v13, off, s[40:43], 0 offset:636 ; 4-byte Folded Reload
	buffer_load_dword v14, off, s[40:43], 0 offset:640 ; 4-byte Folded Reload
	;; [unrolled: 1-line block ×5, first 2 shown]
	s_waitcnt lgkmcnt(0)
	buffer_load_dword v2, off, s[40:43], 0 offset:88 ; 4-byte Folded Reload
.LBB161_12:
	s_or_b64 exec, exec, s[28:29]
	s_waitcnt vmcnt(3)
	v_xor_b32_e32 v0, 32, v12
	s_waitcnt vmcnt(1)
	v_cmp_lt_i32_e32 vcc, v0, v9
	v_cndmask_b32_e32 v0, v12, v0, vcc
	v_lshlrev_b32_e32 v0, 2, v0
	s_waitcnt vmcnt(0)
	ds_bpermute_b32 v1, v0, v2
	v_xor_b32_e32 v3, 16, v12
	v_max_f32_e32 v2, v2, v2
	v_cmp_lt_i32_e32 vcc, v3, v9
	v_xor_b32_e32 v4, 8, v12
	s_waitcnt lgkmcnt(0)
	v_max_f32_e32 v1, v1, v1
	v_max_f32_e32 v2, v2, v1
	v_cndmask_b32_e32 v1, v12, v3, vcc
	v_lshlrev_b32_e32 v1, 2, v1
	ds_bpermute_b32 v3, v1, v2
	v_cmp_lt_i32_e32 vcc, v4, v9
	v_xor_b32_e32 v5, 4, v12
	v_xor_b32_e32 v6, 2, v12
	s_waitcnt lgkmcnt(0)
	v_max_f32_e32 v3, v3, v3
	v_max_f32_e32 v3, v2, v3
	v_cndmask_b32_e32 v2, v12, v4, vcc
	v_lshlrev_b32_e32 v2, 2, v2
	ds_bpermute_b32 v4, v2, v3
	v_cmp_lt_i32_e32 vcc, v5, v9
	s_waitcnt lgkmcnt(0)
	v_max_f32_e32 v4, v4, v4
	v_max_f32_e32 v4, v3, v4
	v_cndmask_b32_e32 v3, v12, v5, vcc
	v_lshlrev_b32_e32 v3, 2, v3
	ds_bpermute_b32 v5, v3, v4
	v_cmp_lt_i32_e32 vcc, v6, v9
	s_waitcnt lgkmcnt(0)
	v_max_f32_e32 v5, v5, v5
	v_max_f32_e32 v5, v4, v5
	v_cndmask_b32_e32 v4, v12, v6, vcc
	v_lshlrev_b32_e32 v4, 2, v4
	buffer_store_dword v4, off, s[40:43], 0 offset:196 ; 4-byte Folded Spill
	ds_bpermute_b32 v6, v4, v5
	buffer_load_dword v4, off, s[40:43], 0 offset:632 ; 4-byte Folded Reload
	s_waitcnt vmcnt(0)
	v_and_b32_e32 v4, 63, v4
	buffer_store_dword v4, off, s[40:43], 0 offset:200 ; 4-byte Folded Spill
	v_cmp_eq_u32_e32 vcc, 0, v4
	v_lshlrev_b32_e32 v4, 2, v16
	s_and_saveexec_b64 s[4:5], vcc
	s_cbranch_execz .LBB161_14
; %bb.13:
	s_waitcnt lgkmcnt(0)
	v_max_f32_e32 v6, v6, v6
	v_max_f32_e32 v5, v5, v5
	;; [unrolled: 1-line block ×3, first 2 shown]
	ds_write_b32 v4, v5 offset:512
.LBB161_14:
	s_or_b64 exec, exec, s[4:5]
	s_waitcnt vmcnt(0) lgkmcnt(0)
	s_barrier
	buffer_load_dword v5, off, s[40:43], 0 offset:200 ; 4-byte Folded Reload
	v_mov_b32_e32 v6, 0xff7fffff
	s_waitcnt vmcnt(0)
	v_cmp_gt_u32_e64 s[4:5], 2, v5
	v_lshlrev_b32_e32 v5, 2, v5
	s_and_saveexec_b64 s[6:7], s[4:5]
; %bb.15:
	ds_read_b32 v6, v5 offset:512
; %bb.16:
	s_or_b64 exec, exec, s[6:7]
	v_xor_b32_e32 v7, 1, v12
	v_cmp_lt_i32_e64 s[6:7], v7, v9
	v_cndmask_b32_e64 v7, v12, v7, s[6:7]
	v_lshlrev_b32_e32 v7, 2, v7
	buffer_store_dword v7, off, s[40:43], 0 offset:192 ; 4-byte Folded Spill
	s_waitcnt lgkmcnt(0)
	ds_bpermute_b32 v7, v7, v6
	v_max_f32_e32 v6, v6, v6
	s_lshl_b32 s6, s19, 5
	s_min_i32 s12, s6, s33
	s_waitcnt lgkmcnt(0)
	v_max_f32_e32 v7, v7, v7
	v_max_f32_e32 v6, v6, v7
	v_lshlrev_b32_e32 v7, 2, v8
	ds_bpermute_b32 v7, v7, v6
	buffer_load_dword v6, off, s[40:43], 0 offset:632 ; 4-byte Folded Reload
	s_waitcnt vmcnt(0)
	v_cmp_gt_i32_e64 s[6:7], s12, v6
	v_mov_b32_e32 v6, 0
	s_and_saveexec_b64 s[28:29], s[6:7]
	s_cbranch_execz .LBB161_20
; %bb.17:
	buffer_load_dword v9, off, s[40:43], 0 offset:632 ; 4-byte Folded Reload
	v_mov_b32_e32 v6, 0x210
	s_mov_b64 s[30:31], 0
	s_waitcnt vmcnt(0)
	v_lshl_add_u32 v8, v9, 2, v6
	v_mov_b32_e32 v6, 0
.LBB161_18:                             ; =>This Inner Loop Header: Depth=1
	ds_read_b32 v10, v8
	v_add_u32_e32 v9, 0x80, v9
	v_cmp_le_i32_e64 s[10:11], s12, v9
	s_or_b64 s[30:31], s[10:11], s[30:31]
	s_waitcnt lgkmcnt(0)
	v_sub_f32_e32 v10, v10, v7
	v_mul_f32_e32 v10, 0x3fb8aa3b, v10
	v_exp_f32_e32 v10, v10
	ds_write_b32 v8, v10
	v_add_f32_e32 v6, v6, v10
	v_add_u32_e32 v8, 0x200, v8
	s_andn2_b64 exec, exec, s[30:31]
	s_cbranch_execnz .LBB161_18
; %bb.19:
	s_or_b64 exec, exec, s[30:31]
.LBB161_20:
	s_or_b64 exec, exec, s[28:29]
	ds_bpermute_b32 v0, v0, v6
	s_waitcnt lgkmcnt(0)
	v_add_f32_e32 v0, v6, v0
	ds_bpermute_b32 v1, v1, v0
	s_waitcnt lgkmcnt(0)
	v_add_f32_e32 v0, v0, v1
	;; [unrolled: 3-line block ×4, first 2 shown]
	buffer_load_dword v1, off, s[40:43], 0 offset:196 ; 4-byte Folded Reload
	s_waitcnt vmcnt(0)
	ds_bpermute_b32 v1, v1, v0
	s_waitcnt lgkmcnt(0)
	v_add_f32_e32 v0, v0, v1
	buffer_load_dword v1, off, s[40:43], 0 offset:192 ; 4-byte Folded Reload
	s_waitcnt vmcnt(0)
	ds_bpermute_b32 v1, v1, v0
	s_waitcnt lgkmcnt(0)
	v_add_f32_e32 v0, v0, v1
	s_and_saveexec_b64 s[10:11], vcc
; %bb.21:
	ds_write_b32 v4, v0 offset:520
; %bb.22:
	s_or_b64 exec, exec, s[10:11]
	s_waitcnt lgkmcnt(0)
	s_barrier
	s_and_saveexec_b64 s[10:11], s[4:5]
; %bb.23:
	ds_read_b32 v0, v5 offset:520
; %bb.24:
	s_or_b64 exec, exec, s[10:11]
	buffer_load_dword v1, off, s[40:43], 0 offset:192 ; 4-byte Folded Reload
	v_lshlrev_b32_e32 v2, 2, v12
	s_waitcnt vmcnt(0) lgkmcnt(0)
	ds_bpermute_b32 v1, v1, v0
	s_waitcnt lgkmcnt(0)
	v_add_f32_e32 v0, v0, v1
	v_and_b32_e32 v1, 0xffffff00, v2
	ds_bpermute_b32 v0, v1, v0
	s_and_saveexec_b64 s[4:5], s[6:7]
	s_cbranch_execz .LBB161_27
; %bb.25:
	s_waitcnt lgkmcnt(0)
	v_add_f32_e32 v1, 0x358637bd, v0
	v_div_scale_f32 v0, s[6:7], v1, v1, 1.0
	v_div_scale_f32 v2, vcc, 1.0, v1, 1.0
	s_mov_b64 s[6:7], 0
	v_rcp_f32_e32 v3, v0
	v_fma_f32 v4, -v0, v3, 1.0
	v_fmac_f32_e32 v3, v4, v3
	v_mul_f32_e32 v4, v2, v3
	v_fma_f32 v5, -v0, v4, v2
	v_fmac_f32_e32 v4, v5, v3
	v_fma_f32 v0, -v0, v4, v2
	v_div_fmas_f32 v2, v0, v3, v4
	buffer_load_dword v3, off, s[40:43], 0 offset:632 ; 4-byte Folded Reload
	v_mov_b32_e32 v0, 0x210
	v_div_fixup_f32 v1, v2, v1, 1.0
	s_waitcnt vmcnt(0)
	v_lshl_add_u32 v0, v3, 2, v0
	v_mov_b32_e32 v2, v3
.LBB161_26:                             ; =>This Inner Loop Header: Depth=1
	ds_read_b32 v3, v0
	v_add_u32_e32 v2, 0x80, v2
	v_cmp_le_i32_e32 vcc, s12, v2
	s_or_b64 s[6:7], vcc, s[6:7]
	s_waitcnt lgkmcnt(0)
	v_mul_f32_e32 v3, v1, v3
	ds_write_b32 v0, v3
	v_add_u32_e32 v0, 0x200, v0
	s_andn2_b64 exec, exec, s[6:7]
	s_cbranch_execnz .LBB161_26
.LBB161_27:
	s_or_b64 exec, exec, s[4:5]
	s_waitcnt lgkmcnt(0)
	s_barrier
	buffer_load_dword v0, off, s[40:43], 0 offset:632 ; 4-byte Folded Reload
	v_mov_b32_e32 v12, 0
	v_mov_b32_e32 v22, 0
	;; [unrolled: 1-line block ×16, first 2 shown]
	s_waitcnt vmcnt(0)
	v_and_b32_e32 v0, 3, v0
	buffer_store_dword v0, off, s[40:43], 0 offset:204 ; 4-byte Folded Spill
	s_and_saveexec_b64 s[6:7], s[2:3]
	s_cbranch_execz .LBB161_63
; %bb.28:
	v_and_b32_e32 v0, 24, v13
	v_lshl_or_b32 v17, v16, 5, v0
	buffer_load_dword v0, off, s[40:43], 0 offset:204 ; 4-byte Folded Reload
	s_ashr_i32 s15, s14, 31
	s_lshl_b64 s[2:3], s[14:15], 1
	s_add_u32 s14, s26, s2
	s_addc_u32 s4, s27, s3
	s_add_i32 s15, s19, -1
	s_lshl_b64 s[2:3], s[24:25], 2
	s_add_u32 s2, s22, s2
	v_and_b32_e32 v1, 0x1f8, v13
	s_addc_u32 s3, s23, s3
	v_or_b32_e32 v2, 0x1e00, v13
	v_mov_b32_e32 v3, s3
	s_mov_b32 s28, s13
	s_mov_b32 s26, s33
	s_mov_b64 s[10:11], 0
	s_mov_b32 s22, 0x5040100
	s_movk_i32 s23, 0x7fff
	v_mov_b32_e32 v23, 0
	v_mov_b32_e32 v63, 0
	;; [unrolled: 1-line block ×16, first 2 shown]
	s_waitcnt vmcnt(0)
	v_lshlrev_b32_e32 v0, 5, v0
	v_lshl_or_b32 v0, v16, 7, v0
	v_add_u32_e32 v5, 0x210, v0
	v_and_b32_e32 v0, 60, v14
	v_add_co_u32_e32 v6, vcc, s2, v0
	v_mov_b32_e32 v0, s4
	buffer_store_dword v0, off, s[40:43], 0 offset:180 ; 4-byte Folded Spill
	v_lshlrev_b32_e32 v0, 1, v1
	v_addc_co_u32_e32 v7, vcc, 0, v3, vcc
	buffer_store_dword v0, off, s[40:43], 0 offset:184 ; 4-byte Folded Spill
	v_lshlrev_b32_e32 v0, 1, v2
	buffer_store_dword v0, off, s[40:43], 0 offset:188 ; 4-byte Folded Spill
	s_branch .LBB161_30
.LBB161_29:                             ;   in Loop: Header=BB161_30 Depth=1
	s_or_b64 exec, exec, s[4:5]
	s_waitcnt lgkmcnt(1)
	v_bfe_u32 v0, v1, 16, 1
	v_add3_u32 v0, v0, v1, s23
	v_or_b32_e32 v13, 0x400000, v1
	v_cmp_u_f32_e32 vcc, v1, v1
	v_cndmask_b32_e32 v14, v0, v13, vcc
	v_bfe_u32 v0, v2, 16, 1
	v_add3_u32 v0, v0, v2, s23
	v_or_b32_e32 v1, 0x400000, v2
	v_cmp_u_f32_e32 vcc, v2, v2
	v_cndmask_b32_e32 v0, v0, v1, vcc
	;; [unrolled: 5-line block ×4, first 2 shown]
	s_waitcnt lgkmcnt(0)
	v_bfe_u32 v1, v57, 16, 1
	v_add3_u32 v1, v1, v57, s23
	v_or_b32_e32 v2, 0x400000, v57
	v_cmp_u_f32_e32 vcc, v57, v57
	v_cndmask_b32_e32 v16, v1, v2, vcc
	v_bfe_u32 v1, v58, 16, 1
	v_add3_u32 v1, v1, v58, s23
	v_or_b32_e32 v2, 0x400000, v58
	v_cmp_u_f32_e32 vcc, v58, v58
	v_cndmask_b32_e32 v18, v1, v2, vcc
	;; [unrolled: 5-line block ×4, first 2 shown]
	v_and_b32_e32 v1, 0xffff0000, v0
	v_and_b32_e32 v0, 0xffff0000, v9
	v_mul_f32_e32 v0, v1, v0
	v_bfe_u32 v2, v0, 16, 1
	v_add3_u32 v2, v2, v0, s23
	v_or_b32_e32 v4, 0x400000, v0
	v_cmp_u_f32_e32 vcc, v0, v0
	v_cndmask_b32_e32 v0, v2, v4, vcc
	v_and_b32_e32 v2, 0xffff0000, v14
	v_lshlrev_b32_e32 v4, 16, v9
	v_mul_f32_e32 v4, v2, v4
	v_bfe_u32 v9, v4, 16, 1
	v_add3_u32 v9, v9, v4, s23
	v_or_b32_e32 v14, 0x400000, v4
	v_cmp_u_f32_e32 vcc, v4, v4
	v_and_b32_e32 v3, 0xffff0000, v3
	v_and_b32_e32 v4, 0xffff0000, v10
	v_mul_f32_e32 v4, v3, v4
	v_cndmask_b32_e32 v14, v9, v14, vcc
	v_bfe_u32 v9, v4, 16, 1
	v_add3_u32 v9, v9, v4, s23
	v_or_b32_e32 v19, 0x400000, v4
	v_cmp_u_f32_e32 vcc, v4, v4
	v_cndmask_b32_e32 v58, v9, v19, vcc
	v_and_b32_e32 v4, 0xffff0000, v17
	v_lshlrev_b32_e32 v9, 16, v10
	v_mul_f32_e32 v9, v4, v9
	v_bfe_u32 v10, v9, 16, 1
	v_add3_u32 v10, v10, v9, s23
	v_or_b32_e32 v17, 0x400000, v9
	v_cmp_u_f32_e32 vcc, v9, v9
	v_cndmask_b32_e32 v17, v10, v17, vcc
	v_and_b32_e32 v9, 0xffff0000, v18
	v_and_b32_e32 v10, 0xffff0000, v11
	v_mul_f32_e32 v10, v9, v10
	v_bfe_u32 v18, v10, 16, 1
	v_add3_u32 v18, v18, v10, s23
	v_or_b32_e32 v19, 0x400000, v10
	v_cmp_u_f32_e32 vcc, v10, v10
	v_and_b32_e32 v10, 0xffff0000, v16
	v_lshlrev_b32_e32 v11, 16, v11
	v_mul_f32_e32 v11, v10, v11
	v_bfe_u32 v16, v11, 16, 1
	v_cndmask_b32_e32 v18, v18, v19, vcc
	v_add3_u32 v16, v16, v11, s23
	v_or_b32_e32 v19, 0x400000, v11
	v_cmp_u_f32_e32 vcc, v11, v11
	v_and_b32_e32 v11, 0xffff0000, v15
	v_and_b32_e32 v15, 0xffff0000, v12
	v_mul_f32_e32 v15, v11, v15
	v_and_b32_e32 v57, 0xffff0000, v13
	v_lshlrev_b32_e32 v12, 16, v12
	v_cndmask_b32_e32 v16, v16, v19, vcc
	v_bfe_u32 v19, v15, 16, 1
	v_mul_f32_e32 v12, v57, v12
	v_add3_u32 v19, v19, v15, s23
	v_or_b32_e32 v20, 0x400000, v15
	v_cmp_u_f32_e32 vcc, v15, v15
	v_bfe_u32 v13, v12, 16, 1
	v_cndmask_b32_e32 v15, v19, v20, vcc
	v_add3_u32 v13, v13, v12, s23
	v_or_b32_e32 v19, 0x400000, v12
	v_cmp_u_f32_e32 vcc, v12, v12
	v_cndmask_b32_e32 v12, v13, v19, vcc
	v_and_b32_e32 v13, 0xffff0000, v14
	v_and_b32_e32 v0, 0xffff0000, v0
	v_add_f32_e32 v0, v13, v0
	v_and_b32_e32 v13, 0xffff0000, v17
	v_and_b32_e32 v14, 0xffff0000, v58
	v_add_f32_e32 v13, v13, v14
	v_and_b32_e32 v14, 0xffff0000, v18
	buffer_load_dword v18, off, s[40:43], 0 offset:96 ; 4-byte Folded Reload
	buffer_load_dword v19, off, s[40:43], 0 offset:100 ; 4-byte Folded Reload
	v_add_f32_e32 v0, v13, v0
	v_and_b32_e32 v13, 0xffff0000, v16
	v_add_f32_e32 v13, v13, v14
	v_add_f32_e32 v0, v13, v0
	v_and_b32_e32 v12, 0xffff0000, v12
	v_and_b32_e32 v13, 0xffff0000, v15
	v_add_f32_e32 v12, v12, v13
	v_add_f32_e32 v0, v12, v0
	;; [unrolled: 1-line block ×3, first 2 shown]
	v_and_b32_e32 v0, 0xffff0000, v5
	v_mul_f32_e32 v0, v1, v0
	v_bfe_u32 v12, v0, 16, 1
	v_lshlrev_b32_e32 v5, 16, v5
	v_add3_u32 v12, v12, v0, s23
	v_or_b32_e32 v13, 0x400000, v0
	v_cmp_u_f32_e32 vcc, v0, v0
	v_mul_f32_e32 v5, v2, v5
	v_cndmask_b32_e32 v0, v12, v13, vcc
	v_bfe_u32 v12, v5, 16, 1
	v_add3_u32 v12, v12, v5, s23
	v_or_b32_e32 v13, 0x400000, v5
	v_cmp_u_f32_e32 vcc, v5, v5
	v_cndmask_b32_e32 v5, v12, v13, vcc
	v_and_b32_e32 v12, 0xffff0000, v6
	v_mul_f32_e32 v12, v3, v12
	v_bfe_u32 v13, v12, 16, 1
	v_lshlrev_b32_e32 v6, 16, v6
	v_add3_u32 v13, v13, v12, s23
	v_or_b32_e32 v14, 0x400000, v12
	v_cmp_u_f32_e32 vcc, v12, v12
	v_mul_f32_e32 v6, v4, v6
	v_cndmask_b32_e32 v12, v13, v14, vcc
	v_bfe_u32 v13, v6, 16, 1
	v_add3_u32 v13, v13, v6, s23
	v_or_b32_e32 v14, 0x400000, v6
	v_cmp_u_f32_e32 vcc, v6, v6
	v_cndmask_b32_e32 v6, v13, v14, vcc
	;; [unrolled: 14-line block ×3, first 2 shown]
	v_and_b32_e32 v14, 0xffff0000, v8
	v_mul_f32_e32 v14, v11, v14
	v_bfe_u32 v15, v14, 16, 1
	v_lshlrev_b32_e32 v8, 16, v8
	v_and_b32_e32 v5, 0xffff0000, v5
	v_and_b32_e32 v0, 0xffff0000, v0
	v_add3_u32 v15, v15, v14, s23
	v_or_b32_e32 v16, 0x400000, v14
	v_cmp_u_f32_e32 vcc, v14, v14
	v_mul_f32_e32 v8, v57, v8
	v_add_f32_e32 v0, v5, v0
	v_and_b32_e32 v5, 0xffff0000, v6
	v_and_b32_e32 v6, 0xffff0000, v12
	v_cndmask_b32_e32 v14, v15, v16, vcc
	v_bfe_u32 v15, v8, 16, 1
	v_add_f32_e32 v5, v5, v6
	v_add3_u32 v15, v15, v8, s23
	v_or_b32_e32 v16, 0x400000, v8
	v_cmp_u_f32_e32 vcc, v8, v8
	v_add_f32_e32 v0, v5, v0
	v_and_b32_e32 v5, 0xffff0000, v7
	v_and_b32_e32 v6, 0xffff0000, v13
	v_cndmask_b32_e32 v8, v15, v16, vcc
	v_add_f32_e32 v5, v5, v6
	v_add_f32_e32 v0, v5, v0
	v_and_b32_e32 v5, 0xffff0000, v8
	v_and_b32_e32 v6, 0xffff0000, v14
	v_add_f32_e32 v5, v5, v6
	v_add_f32_e32 v0, v5, v0
	s_waitcnt vmcnt(1)
	v_add_f32_e32 v18, v18, v0
	v_and_b32_e32 v0, 0xffff0000, v53
	v_mul_f32_e32 v0, v1, v0
	v_bfe_u32 v5, v0, 16, 1
	v_add3_u32 v5, v5, v0, s23
	v_or_b32_e32 v6, 0x400000, v0
	v_cmp_u_f32_e32 vcc, v0, v0
	v_cndmask_b32_e32 v0, v5, v6, vcc
	v_lshlrev_b32_e32 v5, 16, v53
	v_mul_f32_e32 v5, v2, v5
	v_bfe_u32 v6, v5, 16, 1
	v_add3_u32 v6, v6, v5, s23
	v_or_b32_e32 v7, 0x400000, v5
	v_cmp_u_f32_e32 vcc, v5, v5
	v_cndmask_b32_e32 v5, v6, v7, vcc
	v_and_b32_e32 v6, 0xffff0000, v54
	v_mul_f32_e32 v6, v3, v6
	v_bfe_u32 v7, v6, 16, 1
	v_add3_u32 v7, v7, v6, s23
	v_or_b32_e32 v8, 0x400000, v6
	v_cmp_u_f32_e32 vcc, v6, v6
	v_cndmask_b32_e32 v6, v7, v8, vcc
	v_lshlrev_b32_e32 v7, 16, v54
	v_mul_f32_e32 v7, v4, v7
	v_bfe_u32 v8, v7, 16, 1
	v_add3_u32 v8, v8, v7, s23
	v_or_b32_e32 v12, 0x400000, v7
	v_cmp_u_f32_e32 vcc, v7, v7
	v_cndmask_b32_e32 v7, v8, v12, vcc
	;; [unrolled: 14-line block ×3, first 2 shown]
	v_and_b32_e32 v13, 0xffff0000, v56
	v_mul_f32_e32 v13, v11, v13
	v_bfe_u32 v14, v13, 16, 1
	v_add3_u32 v14, v14, v13, s23
	v_or_b32_e32 v15, 0x400000, v13
	v_cmp_u_f32_e32 vcc, v13, v13
	v_cndmask_b32_e32 v13, v14, v15, vcc
	v_lshlrev_b32_e32 v14, 16, v56
	v_and_b32_e32 v5, 0xffff0000, v5
	v_and_b32_e32 v0, 0xffff0000, v0
	v_mul_f32_e32 v14, v57, v14
	v_add_f32_e32 v0, v5, v0
	v_and_b32_e32 v5, 0xffff0000, v7
	v_and_b32_e32 v6, 0xffff0000, v6
	v_bfe_u32 v15, v14, 16, 1
	v_add_f32_e32 v5, v5, v6
	v_add3_u32 v15, v15, v14, s23
	v_or_b32_e32 v16, 0x400000, v14
	v_cmp_u_f32_e32 vcc, v14, v14
	v_add_f32_e32 v0, v5, v0
	v_and_b32_e32 v5, 0xffff0000, v12
	v_and_b32_e32 v6, 0xffff0000, v8
	v_cndmask_b32_e32 v14, v15, v16, vcc
	v_add_f32_e32 v5, v5, v6
	v_add_f32_e32 v0, v5, v0
	v_and_b32_e32 v5, 0xffff0000, v14
	v_and_b32_e32 v6, 0xffff0000, v13
	v_add_f32_e32 v5, v5, v6
	v_add_f32_e32 v0, v5, v0
	s_waitcnt vmcnt(0)
	v_add_f32_e32 v19, v19, v0
	v_and_b32_e32 v0, 0xffff0000, v49
	v_mul_f32_e32 v0, v1, v0
	v_bfe_u32 v5, v0, 16, 1
	v_add3_u32 v5, v5, v0, s23
	v_or_b32_e32 v6, 0x400000, v0
	v_cmp_u_f32_e32 vcc, v0, v0
	v_cndmask_b32_e32 v0, v5, v6, vcc
	v_lshlrev_b32_e32 v5, 16, v49
	buffer_load_dword v49, off, s[40:43], 0 offset:104 ; 4-byte Folded Reload
	v_mul_f32_e32 v5, v2, v5
	v_bfe_u32 v6, v5, 16, 1
	v_add3_u32 v6, v6, v5, s23
	v_or_b32_e32 v7, 0x400000, v5
	v_cmp_u_f32_e32 vcc, v5, v5
	v_cndmask_b32_e32 v5, v6, v7, vcc
	v_and_b32_e32 v6, 0xffff0000, v50
	v_mul_f32_e32 v6, v3, v6
	v_bfe_u32 v7, v6, 16, 1
	v_add3_u32 v7, v7, v6, s23
	v_or_b32_e32 v8, 0x400000, v6
	v_cmp_u_f32_e32 vcc, v6, v6
	v_cndmask_b32_e32 v6, v7, v8, vcc
	v_lshlrev_b32_e32 v7, 16, v50
	v_mul_f32_e32 v7, v4, v7
	v_bfe_u32 v8, v7, 16, 1
	v_add3_u32 v8, v8, v7, s23
	v_or_b32_e32 v12, 0x400000, v7
	v_cmp_u_f32_e32 vcc, v7, v7
	v_cndmask_b32_e32 v7, v8, v12, vcc
	v_and_b32_e32 v8, 0xffff0000, v51
	v_mul_f32_e32 v8, v9, v8
	v_bfe_u32 v12, v8, 16, 1
	v_add3_u32 v12, v12, v8, s23
	v_or_b32_e32 v13, 0x400000, v8
	v_cmp_u_f32_e32 vcc, v8, v8
	v_cndmask_b32_e32 v8, v12, v13, vcc
	v_lshlrev_b32_e32 v12, 16, v51
	;; [unrolled: 14-line block ×3, first 2 shown]
	v_and_b32_e32 v5, 0xffff0000, v5
	v_and_b32_e32 v0, 0xffff0000, v0
	v_mul_f32_e32 v14, v57, v14
	v_add_f32_e32 v0, v5, v0
	v_and_b32_e32 v5, 0xffff0000, v7
	v_and_b32_e32 v6, 0xffff0000, v6
	v_bfe_u32 v15, v14, 16, 1
	v_add_f32_e32 v5, v5, v6
	v_add3_u32 v15, v15, v14, s23
	v_or_b32_e32 v16, 0x400000, v14
	v_cmp_u_f32_e32 vcc, v14, v14
	v_add_f32_e32 v0, v5, v0
	v_and_b32_e32 v5, 0xffff0000, v12
	v_and_b32_e32 v6, 0xffff0000, v8
	v_cndmask_b32_e32 v14, v15, v16, vcc
	v_add_f32_e32 v5, v5, v6
	v_add_f32_e32 v0, v5, v0
	v_and_b32_e32 v5, 0xffff0000, v14
	v_and_b32_e32 v6, 0xffff0000, v13
	v_add_f32_e32 v5, v5, v6
	v_add_f32_e32 v0, v5, v0
	s_waitcnt vmcnt(0)
	v_add_f32_e32 v49, v49, v0
	v_and_b32_e32 v0, 0xffff0000, v45
	v_mul_f32_e32 v0, v1, v0
	v_bfe_u32 v5, v0, 16, 1
	v_add3_u32 v5, v5, v0, s23
	v_or_b32_e32 v6, 0x400000, v0
	v_cmp_u_f32_e32 vcc, v0, v0
	v_cndmask_b32_e32 v0, v5, v6, vcc
	v_lshlrev_b32_e32 v5, 16, v45
	buffer_load_dword v45, off, s[40:43], 0 offset:108 ; 4-byte Folded Reload
	v_mul_f32_e32 v5, v2, v5
	v_bfe_u32 v6, v5, 16, 1
	v_add3_u32 v6, v6, v5, s23
	v_or_b32_e32 v7, 0x400000, v5
	v_cmp_u_f32_e32 vcc, v5, v5
	v_cndmask_b32_e32 v5, v6, v7, vcc
	v_and_b32_e32 v6, 0xffff0000, v46
	v_mul_f32_e32 v6, v3, v6
	v_bfe_u32 v7, v6, 16, 1
	v_add3_u32 v7, v7, v6, s23
	v_or_b32_e32 v8, 0x400000, v6
	v_cmp_u_f32_e32 vcc, v6, v6
	v_cndmask_b32_e32 v6, v7, v8, vcc
	v_lshlrev_b32_e32 v7, 16, v46
	v_mul_f32_e32 v7, v4, v7
	v_bfe_u32 v8, v7, 16, 1
	v_add3_u32 v8, v8, v7, s23
	v_or_b32_e32 v12, 0x400000, v7
	v_cmp_u_f32_e32 vcc, v7, v7
	v_cndmask_b32_e32 v7, v8, v12, vcc
	v_and_b32_e32 v8, 0xffff0000, v47
	v_mul_f32_e32 v8, v9, v8
	v_bfe_u32 v12, v8, 16, 1
	v_add3_u32 v12, v12, v8, s23
	v_or_b32_e32 v13, 0x400000, v8
	v_cmp_u_f32_e32 vcc, v8, v8
	v_cndmask_b32_e32 v8, v12, v13, vcc
	v_lshlrev_b32_e32 v12, 16, v47
	;; [unrolled: 14-line block ×3, first 2 shown]
	v_and_b32_e32 v5, 0xffff0000, v5
	v_and_b32_e32 v0, 0xffff0000, v0
	v_mul_f32_e32 v14, v57, v14
	v_add_f32_e32 v0, v5, v0
	v_and_b32_e32 v5, 0xffff0000, v7
	v_and_b32_e32 v6, 0xffff0000, v6
	v_bfe_u32 v15, v14, 16, 1
	v_add_f32_e32 v5, v5, v6
	v_add3_u32 v15, v15, v14, s23
	v_or_b32_e32 v16, 0x400000, v14
	v_cmp_u_f32_e32 vcc, v14, v14
	v_add_f32_e32 v0, v5, v0
	v_and_b32_e32 v5, 0xffff0000, v12
	v_and_b32_e32 v6, 0xffff0000, v8
	v_cndmask_b32_e32 v14, v15, v16, vcc
	v_add_f32_e32 v5, v5, v6
	v_add_f32_e32 v0, v5, v0
	v_and_b32_e32 v5, 0xffff0000, v14
	v_and_b32_e32 v6, 0xffff0000, v13
	v_add_f32_e32 v5, v5, v6
	v_add_f32_e32 v0, v5, v0
	s_waitcnt vmcnt(0)
	v_add_f32_e32 v45, v45, v0
	v_and_b32_e32 v0, 0xffff0000, v41
	v_mul_f32_e32 v0, v1, v0
	v_bfe_u32 v5, v0, 16, 1
	v_add3_u32 v5, v5, v0, s23
	v_or_b32_e32 v6, 0x400000, v0
	v_cmp_u_f32_e32 vcc, v0, v0
	v_cndmask_b32_e32 v0, v5, v6, vcc
	v_lshlrev_b32_e32 v5, 16, v41
	buffer_load_dword v41, off, s[40:43], 0 offset:112 ; 4-byte Folded Reload
	v_mul_f32_e32 v5, v2, v5
	v_bfe_u32 v6, v5, 16, 1
	v_add3_u32 v6, v6, v5, s23
	v_or_b32_e32 v7, 0x400000, v5
	v_cmp_u_f32_e32 vcc, v5, v5
	v_cndmask_b32_e32 v5, v6, v7, vcc
	v_and_b32_e32 v6, 0xffff0000, v42
	v_mul_f32_e32 v6, v3, v6
	v_bfe_u32 v7, v6, 16, 1
	v_add3_u32 v7, v7, v6, s23
	v_or_b32_e32 v8, 0x400000, v6
	v_cmp_u_f32_e32 vcc, v6, v6
	v_cndmask_b32_e32 v6, v7, v8, vcc
	v_lshlrev_b32_e32 v7, 16, v42
	v_mul_f32_e32 v7, v4, v7
	v_bfe_u32 v8, v7, 16, 1
	v_add3_u32 v8, v8, v7, s23
	v_or_b32_e32 v12, 0x400000, v7
	v_cmp_u_f32_e32 vcc, v7, v7
	v_cndmask_b32_e32 v7, v8, v12, vcc
	v_and_b32_e32 v8, 0xffff0000, v43
	v_mul_f32_e32 v8, v9, v8
	v_bfe_u32 v12, v8, 16, 1
	v_add3_u32 v12, v12, v8, s23
	v_or_b32_e32 v13, 0x400000, v8
	v_cmp_u_f32_e32 vcc, v8, v8
	v_cndmask_b32_e32 v8, v12, v13, vcc
	v_lshlrev_b32_e32 v12, 16, v43
	;; [unrolled: 14-line block ×3, first 2 shown]
	v_and_b32_e32 v5, 0xffff0000, v5
	v_and_b32_e32 v0, 0xffff0000, v0
	v_mul_f32_e32 v14, v57, v14
	v_add_f32_e32 v0, v5, v0
	v_and_b32_e32 v5, 0xffff0000, v7
	v_and_b32_e32 v6, 0xffff0000, v6
	v_bfe_u32 v15, v14, 16, 1
	v_add_f32_e32 v5, v5, v6
	v_add3_u32 v15, v15, v14, s23
	v_or_b32_e32 v16, 0x400000, v14
	v_cmp_u_f32_e32 vcc, v14, v14
	v_add_f32_e32 v0, v5, v0
	v_and_b32_e32 v5, 0xffff0000, v12
	v_and_b32_e32 v6, 0xffff0000, v8
	v_cndmask_b32_e32 v14, v15, v16, vcc
	v_add_f32_e32 v5, v5, v6
	v_add_f32_e32 v0, v5, v0
	v_and_b32_e32 v5, 0xffff0000, v14
	v_and_b32_e32 v6, 0xffff0000, v13
	v_add_f32_e32 v5, v5, v6
	v_add_f32_e32 v0, v5, v0
	s_waitcnt vmcnt(0)
	v_add_f32_e32 v41, v41, v0
	v_and_b32_e32 v0, 0xffff0000, v37
	v_mul_f32_e32 v0, v1, v0
	v_bfe_u32 v5, v0, 16, 1
	v_add3_u32 v5, v5, v0, s23
	v_or_b32_e32 v6, 0x400000, v0
	v_cmp_u_f32_e32 vcc, v0, v0
	v_cndmask_b32_e32 v0, v5, v6, vcc
	v_lshlrev_b32_e32 v5, 16, v37
	buffer_load_dword v37, off, s[40:43], 0 offset:116 ; 4-byte Folded Reload
	v_mul_f32_e32 v5, v2, v5
	v_bfe_u32 v6, v5, 16, 1
	v_add3_u32 v6, v6, v5, s23
	v_or_b32_e32 v7, 0x400000, v5
	v_cmp_u_f32_e32 vcc, v5, v5
	v_cndmask_b32_e32 v5, v6, v7, vcc
	v_and_b32_e32 v6, 0xffff0000, v38
	v_mul_f32_e32 v6, v3, v6
	v_bfe_u32 v7, v6, 16, 1
	v_add3_u32 v7, v7, v6, s23
	v_or_b32_e32 v8, 0x400000, v6
	v_cmp_u_f32_e32 vcc, v6, v6
	v_cndmask_b32_e32 v6, v7, v8, vcc
	v_lshlrev_b32_e32 v7, 16, v38
	v_mul_f32_e32 v7, v4, v7
	v_bfe_u32 v8, v7, 16, 1
	v_add3_u32 v8, v8, v7, s23
	v_or_b32_e32 v12, 0x400000, v7
	v_cmp_u_f32_e32 vcc, v7, v7
	v_cndmask_b32_e32 v7, v8, v12, vcc
	v_and_b32_e32 v8, 0xffff0000, v39
	v_mul_f32_e32 v8, v9, v8
	v_bfe_u32 v12, v8, 16, 1
	v_add3_u32 v12, v12, v8, s23
	v_or_b32_e32 v13, 0x400000, v8
	v_cmp_u_f32_e32 vcc, v8, v8
	v_cndmask_b32_e32 v8, v12, v13, vcc
	v_lshlrev_b32_e32 v12, 16, v39
	;; [unrolled: 14-line block ×3, first 2 shown]
	v_and_b32_e32 v5, 0xffff0000, v5
	v_and_b32_e32 v0, 0xffff0000, v0
	v_mul_f32_e32 v14, v57, v14
	v_add_f32_e32 v0, v5, v0
	v_and_b32_e32 v5, 0xffff0000, v7
	v_and_b32_e32 v6, 0xffff0000, v6
	v_bfe_u32 v15, v14, 16, 1
	v_add_f32_e32 v5, v5, v6
	v_add3_u32 v15, v15, v14, s23
	v_or_b32_e32 v16, 0x400000, v14
	v_cmp_u_f32_e32 vcc, v14, v14
	v_add_f32_e32 v0, v5, v0
	v_and_b32_e32 v5, 0xffff0000, v12
	v_and_b32_e32 v6, 0xffff0000, v8
	v_cndmask_b32_e32 v14, v15, v16, vcc
	v_add_f32_e32 v5, v5, v6
	v_add_f32_e32 v0, v5, v0
	v_and_b32_e32 v5, 0xffff0000, v14
	v_and_b32_e32 v6, 0xffff0000, v13
	v_add_f32_e32 v5, v5, v6
	v_add_f32_e32 v0, v5, v0
	s_waitcnt vmcnt(0)
	v_add_f32_e32 v37, v37, v0
	v_and_b32_e32 v0, 0xffff0000, v33
	v_mul_f32_e32 v0, v1, v0
	v_bfe_u32 v5, v0, 16, 1
	v_add3_u32 v5, v5, v0, s23
	v_or_b32_e32 v6, 0x400000, v0
	v_cmp_u_f32_e32 vcc, v0, v0
	v_cndmask_b32_e32 v0, v5, v6, vcc
	v_lshlrev_b32_e32 v5, 16, v33
	buffer_load_dword v33, off, s[40:43], 0 offset:120 ; 4-byte Folded Reload
	v_mul_f32_e32 v5, v2, v5
	v_bfe_u32 v6, v5, 16, 1
	v_add3_u32 v6, v6, v5, s23
	v_or_b32_e32 v7, 0x400000, v5
	v_cmp_u_f32_e32 vcc, v5, v5
	v_cndmask_b32_e32 v5, v6, v7, vcc
	v_and_b32_e32 v6, 0xffff0000, v34
	v_mul_f32_e32 v6, v3, v6
	v_bfe_u32 v7, v6, 16, 1
	v_add3_u32 v7, v7, v6, s23
	v_or_b32_e32 v8, 0x400000, v6
	v_cmp_u_f32_e32 vcc, v6, v6
	v_cndmask_b32_e32 v6, v7, v8, vcc
	v_lshlrev_b32_e32 v7, 16, v34
	v_mul_f32_e32 v7, v4, v7
	v_bfe_u32 v8, v7, 16, 1
	v_add3_u32 v8, v8, v7, s23
	v_or_b32_e32 v12, 0x400000, v7
	v_cmp_u_f32_e32 vcc, v7, v7
	v_cndmask_b32_e32 v7, v8, v12, vcc
	v_and_b32_e32 v8, 0xffff0000, v35
	v_mul_f32_e32 v8, v9, v8
	v_bfe_u32 v12, v8, 16, 1
	v_add3_u32 v12, v12, v8, s23
	v_or_b32_e32 v13, 0x400000, v8
	v_cmp_u_f32_e32 vcc, v8, v8
	v_cndmask_b32_e32 v8, v12, v13, vcc
	v_lshlrev_b32_e32 v12, 16, v35
	;; [unrolled: 14-line block ×3, first 2 shown]
	v_and_b32_e32 v5, 0xffff0000, v5
	v_and_b32_e32 v0, 0xffff0000, v0
	v_mul_f32_e32 v14, v57, v14
	v_add_f32_e32 v0, v5, v0
	v_and_b32_e32 v5, 0xffff0000, v7
	v_and_b32_e32 v6, 0xffff0000, v6
	v_bfe_u32 v15, v14, 16, 1
	v_add_f32_e32 v5, v5, v6
	v_add3_u32 v15, v15, v14, s23
	v_or_b32_e32 v16, 0x400000, v14
	v_cmp_u_f32_e32 vcc, v14, v14
	v_add_f32_e32 v0, v5, v0
	v_and_b32_e32 v5, 0xffff0000, v12
	v_and_b32_e32 v6, 0xffff0000, v8
	v_cndmask_b32_e32 v14, v15, v16, vcc
	v_add_f32_e32 v5, v5, v6
	v_add_f32_e32 v0, v5, v0
	v_and_b32_e32 v5, 0xffff0000, v14
	v_and_b32_e32 v6, 0xffff0000, v13
	v_add_f32_e32 v5, v5, v6
	v_add_f32_e32 v0, v5, v0
	s_waitcnt vmcnt(0)
	v_add_f32_e32 v33, v33, v0
	v_and_b32_e32 v0, 0xffff0000, v29
	v_mul_f32_e32 v0, v1, v0
	v_bfe_u32 v5, v0, 16, 1
	v_add3_u32 v5, v5, v0, s23
	v_or_b32_e32 v6, 0x400000, v0
	v_cmp_u_f32_e32 vcc, v0, v0
	v_cndmask_b32_e32 v0, v5, v6, vcc
	v_lshlrev_b32_e32 v5, 16, v29
	buffer_load_dword v29, off, s[40:43], 0 offset:124 ; 4-byte Folded Reload
	v_mul_f32_e32 v5, v2, v5
	v_bfe_u32 v6, v5, 16, 1
	v_add3_u32 v6, v6, v5, s23
	v_or_b32_e32 v7, 0x400000, v5
	v_cmp_u_f32_e32 vcc, v5, v5
	v_cndmask_b32_e32 v5, v6, v7, vcc
	v_and_b32_e32 v6, 0xffff0000, v30
	v_mul_f32_e32 v6, v3, v6
	v_bfe_u32 v7, v6, 16, 1
	v_add3_u32 v7, v7, v6, s23
	v_or_b32_e32 v8, 0x400000, v6
	v_cmp_u_f32_e32 vcc, v6, v6
	v_cndmask_b32_e32 v6, v7, v8, vcc
	v_lshlrev_b32_e32 v7, 16, v30
	v_mul_f32_e32 v7, v4, v7
	v_bfe_u32 v8, v7, 16, 1
	v_add3_u32 v8, v8, v7, s23
	v_or_b32_e32 v12, 0x400000, v7
	v_cmp_u_f32_e32 vcc, v7, v7
	v_cndmask_b32_e32 v7, v8, v12, vcc
	v_and_b32_e32 v8, 0xffff0000, v31
	v_mul_f32_e32 v8, v9, v8
	v_bfe_u32 v12, v8, 16, 1
	v_add3_u32 v12, v12, v8, s23
	v_or_b32_e32 v13, 0x400000, v8
	v_cmp_u_f32_e32 vcc, v8, v8
	v_cndmask_b32_e32 v8, v12, v13, vcc
	v_lshlrev_b32_e32 v12, 16, v31
	;; [unrolled: 14-line block ×3, first 2 shown]
	v_and_b32_e32 v5, 0xffff0000, v5
	v_and_b32_e32 v0, 0xffff0000, v0
	v_mul_f32_e32 v14, v57, v14
	v_add_f32_e32 v0, v5, v0
	v_and_b32_e32 v5, 0xffff0000, v7
	v_and_b32_e32 v6, 0xffff0000, v6
	v_bfe_u32 v15, v14, 16, 1
	v_add_f32_e32 v5, v5, v6
	v_add3_u32 v15, v15, v14, s23
	v_or_b32_e32 v16, 0x400000, v14
	v_cmp_u_f32_e32 vcc, v14, v14
	v_add_f32_e32 v0, v5, v0
	v_and_b32_e32 v5, 0xffff0000, v12
	v_and_b32_e32 v6, 0xffff0000, v8
	v_cndmask_b32_e32 v14, v15, v16, vcc
	v_add_f32_e32 v5, v5, v6
	v_add_f32_e32 v0, v5, v0
	v_and_b32_e32 v5, 0xffff0000, v14
	v_and_b32_e32 v6, 0xffff0000, v13
	v_add_f32_e32 v5, v5, v6
	v_add_f32_e32 v0, v5, v0
	s_waitcnt vmcnt(0)
	v_add_f32_e32 v29, v29, v0
	v_and_b32_e32 v0, 0xffff0000, v25
	v_mul_f32_e32 v0, v1, v0
	v_bfe_u32 v5, v0, 16, 1
	v_add3_u32 v5, v5, v0, s23
	v_or_b32_e32 v6, 0x400000, v0
	v_cmp_u_f32_e32 vcc, v0, v0
	v_cndmask_b32_e32 v0, v5, v6, vcc
	v_lshlrev_b32_e32 v5, 16, v25
	v_mul_f32_e32 v5, v2, v5
	v_bfe_u32 v6, v5, 16, 1
	v_add3_u32 v6, v6, v5, s23
	v_or_b32_e32 v7, 0x400000, v5
	v_cmp_u_f32_e32 vcc, v5, v5
	v_cndmask_b32_e32 v5, v6, v7, vcc
	v_and_b32_e32 v6, 0xffff0000, v26
	v_mul_f32_e32 v6, v3, v6
	v_bfe_u32 v7, v6, 16, 1
	v_add3_u32 v7, v7, v6, s23
	v_or_b32_e32 v8, 0x400000, v6
	v_cmp_u_f32_e32 vcc, v6, v6
	v_cndmask_b32_e32 v6, v7, v8, vcc
	v_lshlrev_b32_e32 v7, 16, v26
	v_mul_f32_e32 v7, v4, v7
	v_bfe_u32 v8, v7, 16, 1
	v_add3_u32 v8, v8, v7, s23
	v_or_b32_e32 v12, 0x400000, v7
	v_cmp_u_f32_e32 vcc, v7, v7
	v_cndmask_b32_e32 v7, v8, v12, vcc
	;; [unrolled: 14-line block ×3, first 2 shown]
	v_and_b32_e32 v13, 0xffff0000, v28
	v_mul_f32_e32 v13, v11, v13
	v_bfe_u32 v14, v13, 16, 1
	v_add3_u32 v14, v14, v13, s23
	v_or_b32_e32 v15, 0x400000, v13
	v_cmp_u_f32_e32 vcc, v13, v13
	v_cndmask_b32_e32 v13, v14, v15, vcc
	v_lshlrev_b32_e32 v14, 16, v28
	v_and_b32_e32 v5, 0xffff0000, v5
	v_and_b32_e32 v0, 0xffff0000, v0
	v_mul_f32_e32 v14, v57, v14
	v_add_f32_e32 v0, v5, v0
	v_and_b32_e32 v5, 0xffff0000, v7
	v_and_b32_e32 v6, 0xffff0000, v6
	v_bfe_u32 v15, v14, 16, 1
	v_add_f32_e32 v5, v5, v6
	buffer_load_dword v25, off, s[40:43], 0 offset:128 ; 4-byte Folded Reload
	v_add3_u32 v15, v15, v14, s23
	v_or_b32_e32 v16, 0x400000, v14
	v_cmp_u_f32_e32 vcc, v14, v14
	v_add_f32_e32 v0, v5, v0
	v_and_b32_e32 v5, 0xffff0000, v12
	v_and_b32_e32 v6, 0xffff0000, v8
	v_cndmask_b32_e32 v14, v15, v16, vcc
	v_add_f32_e32 v5, v5, v6
	v_add_f32_e32 v0, v5, v0
	v_and_b32_e32 v5, 0xffff0000, v14
	v_and_b32_e32 v6, 0xffff0000, v13
	buffer_load_dword v13, off, s[40:43], 0 offset:72 ; 4-byte Folded Reload
	buffer_load_dword v14, off, s[40:43], 0 offset:76 ; 4-byte Folded Reload
	;; [unrolled: 1-line block ×4, first 2 shown]
	v_add_f32_e32 v5, v5, v6
	v_add_f32_e32 v0, v5, v0
	buffer_load_dword v21, off, s[40:43], 0 offset:132 ; 4-byte Folded Reload
	s_waitcnt vmcnt(5)
	v_add_f32_e32 v25, v25, v0
	s_waitcnt vmcnt(4)
	v_and_b32_e32 v0, 0xffff0000, v13
	v_mul_f32_e32 v0, v1, v0
	v_bfe_u32 v5, v0, 16, 1
	v_add3_u32 v5, v5, v0, s23
	v_or_b32_e32 v6, 0x400000, v0
	v_cmp_u_f32_e32 vcc, v0, v0
	v_cndmask_b32_e32 v0, v5, v6, vcc
	v_lshlrev_b32_e32 v5, 16, v13
	v_mul_f32_e32 v5, v2, v5
	v_bfe_u32 v6, v5, 16, 1
	v_add3_u32 v6, v6, v5, s23
	v_or_b32_e32 v7, 0x400000, v5
	v_cmp_u_f32_e32 vcc, v5, v5
	v_cndmask_b32_e32 v5, v6, v7, vcc
	s_waitcnt vmcnt(3)
	v_and_b32_e32 v6, 0xffff0000, v14
	v_mul_f32_e32 v6, v3, v6
	v_bfe_u32 v7, v6, 16, 1
	v_add3_u32 v7, v7, v6, s23
	v_or_b32_e32 v8, 0x400000, v6
	v_cmp_u_f32_e32 vcc, v6, v6
	v_cndmask_b32_e32 v6, v7, v8, vcc
	v_lshlrev_b32_e32 v7, 16, v14
	v_mul_f32_e32 v7, v4, v7
	v_bfe_u32 v8, v7, 16, 1
	v_add3_u32 v8, v8, v7, s23
	v_or_b32_e32 v12, 0x400000, v7
	v_cmp_u_f32_e32 vcc, v7, v7
	v_cndmask_b32_e32 v7, v8, v12, vcc
	;; [unrolled: 15-line block ×3, first 2 shown]
	s_waitcnt vmcnt(1)
	v_and_b32_e32 v13, 0xffff0000, v16
	v_mul_f32_e32 v13, v11, v13
	v_bfe_u32 v14, v13, 16, 1
	v_add3_u32 v14, v14, v13, s23
	v_or_b32_e32 v15, 0x400000, v13
	v_cmp_u_f32_e32 vcc, v13, v13
	v_cndmask_b32_e32 v13, v14, v15, vcc
	v_lshlrev_b32_e32 v14, 16, v16
	v_and_b32_e32 v5, 0xffff0000, v5
	v_and_b32_e32 v0, 0xffff0000, v0
	v_mul_f32_e32 v14, v57, v14
	v_add_f32_e32 v0, v5, v0
	v_and_b32_e32 v5, 0xffff0000, v7
	v_and_b32_e32 v6, 0xffff0000, v6
	v_bfe_u32 v15, v14, 16, 1
	v_add_f32_e32 v5, v5, v6
	v_add3_u32 v15, v15, v14, s23
	v_or_b32_e32 v16, 0x400000, v14
	v_cmp_u_f32_e32 vcc, v14, v14
	v_add_f32_e32 v0, v5, v0
	v_and_b32_e32 v5, 0xffff0000, v12
	v_and_b32_e32 v6, 0xffff0000, v8
	v_cndmask_b32_e32 v14, v15, v16, vcc
	v_add_f32_e32 v5, v5, v6
	v_add_f32_e32 v0, v5, v0
	v_and_b32_e32 v5, 0xffff0000, v14
	v_and_b32_e32 v6, 0xffff0000, v13
	buffer_load_dword v13, off, s[40:43], 0 offset:164 ; 4-byte Folded Reload
	buffer_load_dword v14, off, s[40:43], 0 offset:168 ; 4-byte Folded Reload
	;; [unrolled: 1-line block ×4, first 2 shown]
	v_add_f32_e32 v5, v5, v6
	v_add_f32_e32 v0, v5, v0
	s_waitcnt vmcnt(4)
	v_add_f32_e32 v21, v21, v0
	buffer_load_dword v24, off, s[40:43], 0 offset:136 ; 4-byte Folded Reload
	s_waitcnt vmcnt(4)
	v_and_b32_e32 v0, 0xffff0000, v13
	v_mul_f32_e32 v0, v1, v0
	v_bfe_u32 v5, v0, 16, 1
	v_add3_u32 v5, v5, v0, s23
	v_or_b32_e32 v6, 0x400000, v0
	v_cmp_u_f32_e32 vcc, v0, v0
	v_cndmask_b32_e32 v0, v5, v6, vcc
	v_lshlrev_b32_e32 v5, 16, v13
	v_mul_f32_e32 v5, v2, v5
	v_bfe_u32 v6, v5, 16, 1
	v_add3_u32 v6, v6, v5, s23
	v_or_b32_e32 v7, 0x400000, v5
	v_cmp_u_f32_e32 vcc, v5, v5
	v_cndmask_b32_e32 v5, v6, v7, vcc
	s_waitcnt vmcnt(3)
	v_and_b32_e32 v6, 0xffff0000, v14
	v_mul_f32_e32 v6, v3, v6
	v_bfe_u32 v7, v6, 16, 1
	v_add3_u32 v7, v7, v6, s23
	v_or_b32_e32 v8, 0x400000, v6
	v_cmp_u_f32_e32 vcc, v6, v6
	v_cndmask_b32_e32 v6, v7, v8, vcc
	v_lshlrev_b32_e32 v7, 16, v14
	v_mul_f32_e32 v7, v4, v7
	v_bfe_u32 v8, v7, 16, 1
	v_add3_u32 v8, v8, v7, s23
	v_or_b32_e32 v12, 0x400000, v7
	v_cmp_u_f32_e32 vcc, v7, v7
	v_cndmask_b32_e32 v7, v8, v12, vcc
	;; [unrolled: 15-line block ×3, first 2 shown]
	s_waitcnt vmcnt(1)
	v_and_b32_e32 v13, 0xffff0000, v16
	v_mul_f32_e32 v13, v11, v13
	v_bfe_u32 v14, v13, 16, 1
	v_add3_u32 v14, v14, v13, s23
	v_or_b32_e32 v15, 0x400000, v13
	v_cmp_u_f32_e32 vcc, v13, v13
	v_cndmask_b32_e32 v13, v14, v15, vcc
	v_lshlrev_b32_e32 v14, 16, v16
	v_and_b32_e32 v5, 0xffff0000, v5
	v_and_b32_e32 v0, 0xffff0000, v0
	v_mul_f32_e32 v14, v57, v14
	v_add_f32_e32 v0, v5, v0
	v_and_b32_e32 v5, 0xffff0000, v7
	v_and_b32_e32 v6, 0xffff0000, v6
	v_bfe_u32 v15, v14, 16, 1
	v_add_f32_e32 v5, v5, v6
	v_add3_u32 v15, v15, v14, s23
	v_or_b32_e32 v16, 0x400000, v14
	v_cmp_u_f32_e32 vcc, v14, v14
	v_add_f32_e32 v0, v5, v0
	v_and_b32_e32 v5, 0xffff0000, v12
	v_and_b32_e32 v6, 0xffff0000, v8
	v_cndmask_b32_e32 v14, v15, v16, vcc
	v_add_f32_e32 v5, v5, v6
	v_add_f32_e32 v0, v5, v0
	v_and_b32_e32 v5, 0xffff0000, v14
	v_and_b32_e32 v6, 0xffff0000, v13
	buffer_load_dword v13, off, s[40:43], 0 offset:40 ; 4-byte Folded Reload
	buffer_load_dword v14, off, s[40:43], 0 offset:44 ; 4-byte Folded Reload
	;; [unrolled: 1-line block ×4, first 2 shown]
	v_add_f32_e32 v5, v5, v6
	v_add_f32_e32 v0, v5, v0
	s_waitcnt vmcnt(4)
	v_add_f32_e32 v24, v24, v0
	buffer_load_dword v26, off, s[40:43], 0 offset:140 ; 4-byte Folded Reload
	s_waitcnt vmcnt(4)
	v_and_b32_e32 v0, 0xffff0000, v13
	v_mul_f32_e32 v0, v1, v0
	v_bfe_u32 v5, v0, 16, 1
	v_add3_u32 v5, v5, v0, s23
	v_or_b32_e32 v6, 0x400000, v0
	v_cmp_u_f32_e32 vcc, v0, v0
	v_cndmask_b32_e32 v0, v5, v6, vcc
	v_lshlrev_b32_e32 v5, 16, v13
	v_mul_f32_e32 v5, v2, v5
	v_bfe_u32 v6, v5, 16, 1
	v_add3_u32 v6, v6, v5, s23
	v_or_b32_e32 v7, 0x400000, v5
	v_cmp_u_f32_e32 vcc, v5, v5
	v_cndmask_b32_e32 v5, v6, v7, vcc
	s_waitcnt vmcnt(3)
	v_and_b32_e32 v6, 0xffff0000, v14
	v_mul_f32_e32 v6, v3, v6
	v_bfe_u32 v7, v6, 16, 1
	v_add3_u32 v7, v7, v6, s23
	v_or_b32_e32 v8, 0x400000, v6
	v_cmp_u_f32_e32 vcc, v6, v6
	v_cndmask_b32_e32 v6, v7, v8, vcc
	v_lshlrev_b32_e32 v7, 16, v14
	v_mul_f32_e32 v7, v4, v7
	v_bfe_u32 v8, v7, 16, 1
	v_add3_u32 v8, v8, v7, s23
	v_or_b32_e32 v12, 0x400000, v7
	v_cmp_u_f32_e32 vcc, v7, v7
	v_cndmask_b32_e32 v7, v8, v12, vcc
	;; [unrolled: 15-line block ×3, first 2 shown]
	s_waitcnt vmcnt(1)
	v_and_b32_e32 v13, 0xffff0000, v16
	v_mul_f32_e32 v13, v11, v13
	v_bfe_u32 v14, v13, 16, 1
	v_add3_u32 v14, v14, v13, s23
	v_or_b32_e32 v15, 0x400000, v13
	v_cmp_u_f32_e32 vcc, v13, v13
	v_cndmask_b32_e32 v13, v14, v15, vcc
	v_lshlrev_b32_e32 v14, 16, v16
	v_and_b32_e32 v5, 0xffff0000, v5
	v_and_b32_e32 v0, 0xffff0000, v0
	v_mul_f32_e32 v14, v57, v14
	v_add_f32_e32 v0, v5, v0
	v_and_b32_e32 v5, 0xffff0000, v7
	v_and_b32_e32 v6, 0xffff0000, v6
	v_bfe_u32 v15, v14, 16, 1
	v_add_f32_e32 v5, v5, v6
	v_add3_u32 v15, v15, v14, s23
	v_or_b32_e32 v16, 0x400000, v14
	v_cmp_u_f32_e32 vcc, v14, v14
	v_add_f32_e32 v0, v5, v0
	v_and_b32_e32 v5, 0xffff0000, v12
	v_and_b32_e32 v6, 0xffff0000, v8
	v_cndmask_b32_e32 v14, v15, v16, vcc
	v_add_f32_e32 v5, v5, v6
	v_add_f32_e32 v0, v5, v0
	v_and_b32_e32 v5, 0xffff0000, v14
	v_and_b32_e32 v6, 0xffff0000, v13
	buffer_load_dword v13, off, s[40:43], 0 offset:24 ; 4-byte Folded Reload
	buffer_load_dword v14, off, s[40:43], 0 offset:28 ; 4-byte Folded Reload
	;; [unrolled: 1-line block ×4, first 2 shown]
	v_add_f32_e32 v5, v5, v6
	v_add_f32_e32 v0, v5, v0
	s_waitcnt vmcnt(4)
	v_add_f32_e32 v26, v26, v0
	buffer_load_dword v22, off, s[40:43], 0 offset:148 ; 4-byte Folded Reload
	s_waitcnt vmcnt(4)
	v_and_b32_e32 v0, 0xffff0000, v13
	v_mul_f32_e32 v0, v1, v0
	v_bfe_u32 v5, v0, 16, 1
	v_add3_u32 v5, v5, v0, s23
	v_or_b32_e32 v6, 0x400000, v0
	v_cmp_u_f32_e32 vcc, v0, v0
	v_cndmask_b32_e32 v0, v5, v6, vcc
	v_lshlrev_b32_e32 v5, 16, v13
	v_mul_f32_e32 v5, v2, v5
	v_bfe_u32 v6, v5, 16, 1
	v_add3_u32 v6, v6, v5, s23
	v_or_b32_e32 v7, 0x400000, v5
	v_cmp_u_f32_e32 vcc, v5, v5
	v_cndmask_b32_e32 v5, v6, v7, vcc
	s_waitcnt vmcnt(3)
	v_and_b32_e32 v6, 0xffff0000, v14
	v_mul_f32_e32 v6, v3, v6
	v_bfe_u32 v7, v6, 16, 1
	v_add3_u32 v7, v7, v6, s23
	v_or_b32_e32 v8, 0x400000, v6
	v_cmp_u_f32_e32 vcc, v6, v6
	v_cndmask_b32_e32 v6, v7, v8, vcc
	v_lshlrev_b32_e32 v7, 16, v14
	v_mul_f32_e32 v7, v4, v7
	v_bfe_u32 v8, v7, 16, 1
	v_add3_u32 v8, v8, v7, s23
	v_or_b32_e32 v12, 0x400000, v7
	v_cmp_u_f32_e32 vcc, v7, v7
	v_cndmask_b32_e32 v7, v8, v12, vcc
	;; [unrolled: 15-line block ×3, first 2 shown]
	s_waitcnt vmcnt(1)
	v_and_b32_e32 v13, 0xffff0000, v16
	v_mul_f32_e32 v13, v11, v13
	v_bfe_u32 v14, v13, 16, 1
	v_add3_u32 v14, v14, v13, s23
	v_or_b32_e32 v15, 0x400000, v13
	v_cmp_u_f32_e32 vcc, v13, v13
	v_cndmask_b32_e32 v13, v14, v15, vcc
	v_lshlrev_b32_e32 v14, 16, v16
	v_and_b32_e32 v5, 0xffff0000, v5
	v_and_b32_e32 v0, 0xffff0000, v0
	v_mul_f32_e32 v14, v57, v14
	v_add_f32_e32 v0, v5, v0
	v_and_b32_e32 v5, 0xffff0000, v7
	v_and_b32_e32 v6, 0xffff0000, v6
	v_bfe_u32 v15, v14, 16, 1
	v_add_f32_e32 v5, v5, v6
	v_add3_u32 v15, v15, v14, s23
	v_or_b32_e32 v16, 0x400000, v14
	v_cmp_u_f32_e32 vcc, v14, v14
	v_add_f32_e32 v0, v5, v0
	v_and_b32_e32 v5, 0xffff0000, v12
	v_and_b32_e32 v6, 0xffff0000, v8
	v_cndmask_b32_e32 v14, v15, v16, vcc
	v_add_f32_e32 v5, v5, v6
	v_add_f32_e32 v0, v5, v0
	v_and_b32_e32 v5, 0xffff0000, v14
	v_and_b32_e32 v6, 0xffff0000, v13
	buffer_load_dword v13, off, s[40:43], 0 offset:8 ; 4-byte Folded Reload
	buffer_load_dword v14, off, s[40:43], 0 offset:12 ; 4-byte Folded Reload
	;; [unrolled: 1-line block ×4, first 2 shown]
	v_add_f32_e32 v5, v5, v6
	v_add_f32_e32 v0, v5, v0
	s_waitcnt vmcnt(4)
	v_add_f32_e32 v22, v22, v0
	s_waitcnt vmcnt(3)
	v_and_b32_e32 v0, 0xffff0000, v13
	v_mul_f32_e32 v0, v1, v0
	v_bfe_u32 v5, v0, 16, 1
	v_add3_u32 v5, v5, v0, s23
	v_or_b32_e32 v6, 0x400000, v0
	v_cmp_u_f32_e32 vcc, v0, v0
	v_cndmask_b32_e32 v0, v5, v6, vcc
	v_lshlrev_b32_e32 v5, 16, v13
	v_mul_f32_e32 v5, v2, v5
	v_bfe_u32 v6, v5, 16, 1
	v_add3_u32 v6, v6, v5, s23
	v_or_b32_e32 v7, 0x400000, v5
	v_cmp_u_f32_e32 vcc, v5, v5
	v_cndmask_b32_e32 v5, v6, v7, vcc
	s_waitcnt vmcnt(2)
	v_and_b32_e32 v6, 0xffff0000, v14
	v_mul_f32_e32 v6, v3, v6
	v_bfe_u32 v7, v6, 16, 1
	v_add3_u32 v7, v7, v6, s23
	v_or_b32_e32 v8, 0x400000, v6
	v_cmp_u_f32_e32 vcc, v6, v6
	v_cndmask_b32_e32 v6, v7, v8, vcc
	v_lshlrev_b32_e32 v7, 16, v14
	v_mul_f32_e32 v7, v4, v7
	v_bfe_u32 v8, v7, 16, 1
	v_add3_u32 v8, v8, v7, s23
	v_or_b32_e32 v12, 0x400000, v7
	v_cmp_u_f32_e32 vcc, v7, v7
	v_cndmask_b32_e32 v7, v8, v12, vcc
	;; [unrolled: 15-line block ×3, first 2 shown]
	s_waitcnt vmcnt(0)
	v_and_b32_e32 v13, 0xffff0000, v16
	v_mul_f32_e32 v13, v11, v13
	v_bfe_u32 v14, v13, 16, 1
	v_add3_u32 v14, v14, v13, s23
	v_or_b32_e32 v15, 0x400000, v13
	v_cmp_u_f32_e32 vcc, v13, v13
	v_and_b32_e32 v5, 0xffff0000, v5
	v_and_b32_e32 v0, 0xffff0000, v0
	v_cndmask_b32_e32 v13, v14, v15, vcc
	v_lshlrev_b32_e32 v14, 16, v16
	v_add_f32_e32 v0, v5, v0
	v_and_b32_e32 v5, 0xffff0000, v7
	v_and_b32_e32 v6, 0xffff0000, v6
	v_mul_f32_e32 v14, v57, v14
	v_add_f32_e32 v5, v5, v6
	v_bfe_u32 v15, v14, 16, 1
	v_add_f32_e32 v0, v5, v0
	v_and_b32_e32 v5, 0xffff0000, v12
	buffer_load_dword v12, off, s[40:43], 0 offset:144 ; 4-byte Folded Reload
	v_add3_u32 v15, v15, v14, s23
	v_or_b32_e32 v16, 0x400000, v14
	v_cmp_u_f32_e32 vcc, v14, v14
	v_and_b32_e32 v6, 0xffff0000, v8
	v_cndmask_b32_e32 v14, v15, v16, vcc
	v_add_f32_e32 v5, v5, v6
	v_add_f32_e32 v0, v5, v0
	v_and_b32_e32 v5, 0xffff0000, v14
	v_and_b32_e32 v6, 0xffff0000, v13
	buffer_load_dword v13, off, s[40:43], 0 offset:56 ; 4-byte Folded Reload
	buffer_load_dword v14, off, s[40:43], 0 offset:60 ; 4-byte Folded Reload
	;; [unrolled: 1-line block ×4, first 2 shown]
	v_add_f32_e32 v5, v5, v6
	v_add_f32_e32 v0, v5, v0
	buffer_load_dword v23, off, s[40:43], 0 offset:92 ; 4-byte Folded Reload
	buffer_load_dword v17, off, s[40:43], 0 ; 4-byte Folded Reload
	s_waitcnt vmcnt(6)
	v_add_f32_e32 v12, v12, v0
	s_waitcnt vmcnt(5)
	v_lshlrev_b32_e32 v0, 16, v13
	v_mul_f32_e32 v0, v2, v0
	v_bfe_u32 v2, v0, 16, 1
	v_add3_u32 v2, v2, v0, s23
	v_or_b32_e32 v5, 0x400000, v0
	v_cmp_u_f32_e32 vcc, v0, v0
	v_cndmask_b32_e32 v0, v2, v5, vcc
	v_and_b32_e32 v2, 0xffff0000, v13
	v_mul_f32_e32 v1, v1, v2
	v_bfe_u32 v2, v1, 16, 1
	v_add3_u32 v2, v2, v1, s23
	v_or_b32_e32 v5, 0x400000, v1
	v_cmp_u_f32_e32 vcc, v1, v1
	v_cndmask_b32_e32 v1, v2, v5, vcc
	s_waitcnt vmcnt(4)
	v_lshlrev_b32_e32 v2, 16, v14
	v_mul_f32_e32 v2, v4, v2
	v_bfe_u32 v4, v2, 16, 1
	v_add3_u32 v4, v4, v2, s23
	v_or_b32_e32 v5, 0x400000, v2
	v_cmp_u_f32_e32 vcc, v2, v2
	v_cndmask_b32_e32 v2, v4, v5, vcc
	v_and_b32_e32 v4, 0xffff0000, v14
	v_mul_f32_e32 v3, v3, v4
	v_bfe_u32 v4, v3, 16, 1
	v_add3_u32 v4, v4, v3, s23
	v_or_b32_e32 v5, 0x400000, v3
	v_cmp_u_f32_e32 vcc, v3, v3
	v_cndmask_b32_e32 v3, v4, v5, vcc
	;; [unrolled: 15-line block ×3, first 2 shown]
	s_waitcnt vmcnt(2)
	v_lshlrev_b32_e32 v6, 16, v16
	v_mul_f32_e32 v6, v57, v6
	v_bfe_u32 v7, v6, 16, 1
	v_add3_u32 v7, v7, v6, s23
	v_or_b32_e32 v8, 0x400000, v6
	v_cmp_u_f32_e32 vcc, v6, v6
	v_cndmask_b32_e32 v6, v7, v8, vcc
	v_and_b32_e32 v7, 0xffff0000, v16
	v_and_b32_e32 v1, 0xffff0000, v1
	;; [unrolled: 1-line block ×3, first 2 shown]
	v_mul_f32_e32 v7, v11, v7
	v_add_f32_e32 v0, v0, v1
	v_and_b32_e32 v1, 0xffff0000, v3
	v_and_b32_e32 v2, 0xffff0000, v2
	v_bfe_u32 v8, v7, 16, 1
	v_add_f32_e32 v1, v2, v1
	v_add3_u32 v8, v8, v7, s23
	v_or_b32_e32 v9, 0x400000, v7
	v_cmp_u_f32_e32 vcc, v7, v7
	v_add_f32_e32 v0, v1, v0
	v_and_b32_e32 v1, 0xffff0000, v5
	v_and_b32_e32 v2, 0xffff0000, v4
	v_cndmask_b32_e32 v7, v8, v9, vcc
	v_add_f32_e32 v1, v2, v1
	v_add_f32_e32 v0, v1, v0
	v_and_b32_e32 v1, 0xffff0000, v7
	v_and_b32_e32 v2, 0xffff0000, v6
	buffer_load_dword v5, off, s[40:43], 0 offset:152 ; 4-byte Folded Reload
	buffer_load_dword v16, off, s[40:43], 0 offset:88 ; 4-byte Folded Reload
	;; [unrolled: 1-line block ×4, first 2 shown]
	v_add_f32_e32 v1, v2, v1
	v_add_f32_e32 v0, v1, v0
	s_waitcnt vmcnt(5)
	v_add_f32_e32 v23, v23, v0
	s_waitcnt vmcnt(4)
	v_add_u32_e32 v17, 64, v17
	s_waitcnt vmcnt(3)
	v_add_u32_e32 v5, 0x100, v5
	s_waitcnt vmcnt(1)
	v_add_co_u32_e32 v6, vcc, 8, v6
	v_add_u32_e32 v16, 2, v16
	s_waitcnt vmcnt(0)
	v_addc_co_u32_e32 v7, vcc, 0, v7, vcc
	v_cmp_le_i32_e32 vcc, s19, v16
	s_or_b64 s[10:11], vcc, s[10:11]
	s_andn2_b64 exec, exec, s[10:11]
	s_cbranch_execz .LBB161_62
.LBB161_30:                             ; =>This Inner Loop Header: Depth=1
	buffer_store_dword v19, off, s[40:43], 0 offset:100 ; 4-byte Folded Spill
	buffer_store_dword v22, off, s[40:43], 0 offset:148 ; 4-byte Folded Spill
	;; [unrolled: 1-line block ×16, first 2 shown]
	s_nop 0
	buffer_store_dword v7, off, s[40:43], 0 offset:160 ; 4-byte Folded Spill
	v_or_b32_e32 v14, 3, v17
	v_or_b32_e32 v15, 2, v17
	;; [unrolled: 1-line block ×5, first 2 shown]
	global_load_dword v0, v[6:7], off
	s_waitcnt vmcnt(0)
	v_mad_i64_i32 v[0:1], s[2:3], v0, s28, 0
	v_cmp_eq_u32_e64 s[2:3], s15, v16
	v_lshlrev_b64 v[0:1], 1, v[0:1]
	v_add_co_u32_e32 v18, vcc, s14, v0
	buffer_load_dword v0, off, s[40:43], 0 offset:180 ; 4-byte Folded Reload
	s_waitcnt vmcnt(0)
	v_addc_co_u32_e32 v1, vcc, v0, v1, vcc
	buffer_load_dword v0, off, s[40:43], 0 offset:184 ; 4-byte Folded Reload
	s_waitcnt vmcnt(0)
	v_add_co_u32_e32 v9, vcc, v18, v0
	v_addc_co_u32_e32 v10, vcc, 0, v1, vcc
	buffer_store_dword v1, off, s[40:43], 0 offset:56 ; 4-byte Folded Spill
	global_load_dwordx4 v[0:3], v[9:10], off
	s_waitcnt vmcnt(0)
	buffer_store_dword v0, off, s[40:43], 0 offset:8 ; 4-byte Folded Spill
	s_nop 0
	buffer_store_dword v1, off, s[40:43], 0 offset:12 ; 4-byte Folded Spill
	buffer_store_dword v2, off, s[40:43], 0 offset:16 ; 4-byte Folded Spill
	;; [unrolled: 1-line block ×3, first 2 shown]
	ds_read2_b64 v[1:4], v5 offset1:1
	ds_read2_b64 v[57:60], v5 offset0:2 offset1:3
	buffer_store_dword v16, off, s[40:43], 0 offset:88 ; 4-byte Folded Spill
	v_add_u32_e32 v16, 1, v17
	v_or_b32_e32 v0, 5, v17
	buffer_store_dword v5, off, s[40:43], 0 offset:152 ; 4-byte Folded Spill
	s_and_saveexec_b64 s[12:13], s[2:3]
	s_cbranch_execz .LBB161_32
; %bb.31:                               ;   in Loop: Header=BB161_30 Depth=1
	buffer_load_dword v20, off, s[40:43], 0 offset:8 ; 4-byte Folded Reload
	buffer_load_dword v21, off, s[40:43], 0 offset:12 ; 4-byte Folded Reload
	;; [unrolled: 1-line block ×4, first 2 shown]
	v_cmp_gt_i32_e32 vcc, s26, v16
	v_mov_b32_e32 v7, 0
	v_cmp_gt_i32_e64 s[4:5], s33, v15
	s_waitcnt vmcnt(3)
	v_cndmask_b32_sdwa v5, v7, v20, vcc dst_sel:DWORD dst_unused:UNUSED_PAD src0_sel:DWORD src1_sel:WORD_1
	v_cmp_gt_i32_e32 vcc, s33, v17
	v_cndmask_b32_e32 v6, 0, v20, vcc
	v_cmp_gt_i32_e32 vcc, s26, v14
	v_perm_b32 v20, v5, v6, s22
	s_waitcnt vmcnt(2)
	v_cndmask_b32_e64 v5, 0, v21, s[4:5]
	v_cndmask_b32_sdwa v6, v7, v21, vcc dst_sel:DWORD dst_unused:UNUSED_PAD src0_sel:DWORD src1_sel:WORD_1
	v_cmp_gt_i32_e32 vcc, s26, v0
	v_cmp_gt_i32_e64 s[4:5], s33, v13
	v_perm_b32 v21, v6, v5, s22
	s_waitcnt vmcnt(1)
	v_cndmask_b32_e64 v5, 0, v22, s[4:5]
	v_cndmask_b32_sdwa v6, v7, v22, vcc dst_sel:DWORD dst_unused:UNUSED_PAD src0_sel:DWORD src1_sel:WORD_1
	v_cmp_gt_i32_e32 vcc, s26, v61
	v_cmp_gt_i32_e64 s[4:5], s33, v62
	v_perm_b32 v22, v6, v5, s22
	s_waitcnt vmcnt(0)
	v_cndmask_b32_e64 v5, 0, v23, s[4:5]
	v_cndmask_b32_sdwa v6, v7, v23, vcc dst_sel:DWORD dst_unused:UNUSED_PAD src0_sel:DWORD src1_sel:WORD_1
	v_perm_b32 v23, v6, v5, s22
	buffer_store_dword v20, off, s[40:43], 0 offset:8 ; 4-byte Folded Spill
	s_nop 0
	buffer_store_dword v21, off, s[40:43], 0 offset:12 ; 4-byte Folded Spill
	buffer_store_dword v22, off, s[40:43], 0 offset:16 ; 4-byte Folded Spill
	;; [unrolled: 1-line block ×3, first 2 shown]
.LBB161_32:                             ;   in Loop: Header=BB161_30 Depth=1
	s_or_b64 exec, exec, s[12:13]
	global_load_dwordx4 v[5:8], v[9:10], off offset:1024
	s_waitcnt vmcnt(0)
	buffer_store_dword v5, off, s[40:43], 0 offset:24 ; 4-byte Folded Spill
	s_nop 0
	buffer_store_dword v6, off, s[40:43], 0 offset:28 ; 4-byte Folded Spill
	buffer_store_dword v7, off, s[40:43], 0 offset:32 ; 4-byte Folded Spill
	;; [unrolled: 1-line block ×3, first 2 shown]
	s_and_saveexec_b64 s[12:13], s[2:3]
	s_cbranch_execz .LBB161_34
; %bb.33:                               ;   in Loop: Header=BB161_30 Depth=1
	buffer_load_dword v19, off, s[40:43], 0 offset:24 ; 4-byte Folded Reload
	buffer_load_dword v20, off, s[40:43], 0 offset:28 ; 4-byte Folded Reload
	;; [unrolled: 1-line block ×4, first 2 shown]
	v_cmp_gt_i32_e32 vcc, s26, v16
	v_mov_b32_e32 v7, 0
	v_cmp_gt_i32_e64 s[4:5], s33, v15
	s_waitcnt vmcnt(3)
	v_cndmask_b32_sdwa v5, v7, v19, vcc dst_sel:DWORD dst_unused:UNUSED_PAD src0_sel:DWORD src1_sel:WORD_1
	v_cmp_gt_i32_e32 vcc, s33, v17
	v_cndmask_b32_e32 v6, 0, v19, vcc
	v_cmp_gt_i32_e32 vcc, s26, v14
	v_perm_b32 v19, v5, v6, s22
	s_waitcnt vmcnt(2)
	v_cndmask_b32_e64 v5, 0, v20, s[4:5]
	v_cndmask_b32_sdwa v6, v7, v20, vcc dst_sel:DWORD dst_unused:UNUSED_PAD src0_sel:DWORD src1_sel:WORD_1
	v_cmp_gt_i32_e32 vcc, s26, v0
	v_cmp_gt_i32_e64 s[4:5], s33, v13
	v_perm_b32 v20, v6, v5, s22
	s_waitcnt vmcnt(1)
	v_cndmask_b32_e64 v5, 0, v21, s[4:5]
	v_cndmask_b32_sdwa v6, v7, v21, vcc dst_sel:DWORD dst_unused:UNUSED_PAD src0_sel:DWORD src1_sel:WORD_1
	v_cmp_gt_i32_e32 vcc, s26, v61
	v_cmp_gt_i32_e64 s[4:5], s33, v62
	v_perm_b32 v21, v6, v5, s22
	s_waitcnt vmcnt(0)
	v_cndmask_b32_e64 v5, 0, v22, s[4:5]
	v_cndmask_b32_sdwa v6, v7, v22, vcc dst_sel:DWORD dst_unused:UNUSED_PAD src0_sel:DWORD src1_sel:WORD_1
	v_perm_b32 v22, v6, v5, s22
	buffer_store_dword v19, off, s[40:43], 0 offset:24 ; 4-byte Folded Spill
	s_nop 0
	buffer_store_dword v20, off, s[40:43], 0 offset:28 ; 4-byte Folded Spill
	buffer_store_dword v21, off, s[40:43], 0 offset:32 ; 4-byte Folded Spill
	;; [unrolled: 1-line block ×3, first 2 shown]
.LBB161_34:                             ;   in Loop: Header=BB161_30 Depth=1
	s_or_b64 exec, exec, s[12:13]
	global_load_dwordx4 v[5:8], v[9:10], off offset:2048
	s_waitcnt vmcnt(0)
	buffer_store_dword v5, off, s[40:43], 0 offset:40 ; 4-byte Folded Spill
	s_nop 0
	buffer_store_dword v6, off, s[40:43], 0 offset:44 ; 4-byte Folded Spill
	buffer_store_dword v7, off, s[40:43], 0 offset:48 ; 4-byte Folded Spill
	;; [unrolled: 1-line block ×3, first 2 shown]
	s_and_saveexec_b64 s[12:13], s[2:3]
	s_cbranch_execz .LBB161_36
; %bb.35:                               ;   in Loop: Header=BB161_30 Depth=1
	buffer_load_dword v19, off, s[40:43], 0 offset:40 ; 4-byte Folded Reload
	buffer_load_dword v20, off, s[40:43], 0 offset:44 ; 4-byte Folded Reload
	;; [unrolled: 1-line block ×4, first 2 shown]
	v_cmp_gt_i32_e32 vcc, s26, v16
	v_mov_b32_e32 v7, 0
	v_cmp_gt_i32_e64 s[4:5], s33, v15
	s_waitcnt vmcnt(3)
	v_cndmask_b32_sdwa v5, v7, v19, vcc dst_sel:DWORD dst_unused:UNUSED_PAD src0_sel:DWORD src1_sel:WORD_1
	v_cmp_gt_i32_e32 vcc, s33, v17
	v_cndmask_b32_e32 v6, 0, v19, vcc
	v_cmp_gt_i32_e32 vcc, s26, v14
	v_perm_b32 v19, v5, v6, s22
	s_waitcnt vmcnt(2)
	v_cndmask_b32_e64 v5, 0, v20, s[4:5]
	v_cndmask_b32_sdwa v6, v7, v20, vcc dst_sel:DWORD dst_unused:UNUSED_PAD src0_sel:DWORD src1_sel:WORD_1
	v_cmp_gt_i32_e32 vcc, s26, v0
	v_cmp_gt_i32_e64 s[4:5], s33, v13
	v_perm_b32 v20, v6, v5, s22
	s_waitcnt vmcnt(1)
	v_cndmask_b32_e64 v5, 0, v21, s[4:5]
	v_cndmask_b32_sdwa v6, v7, v21, vcc dst_sel:DWORD dst_unused:UNUSED_PAD src0_sel:DWORD src1_sel:WORD_1
	v_cmp_gt_i32_e32 vcc, s26, v61
	v_cmp_gt_i32_e64 s[4:5], s33, v62
	v_perm_b32 v21, v6, v5, s22
	s_waitcnt vmcnt(0)
	v_cndmask_b32_e64 v5, 0, v22, s[4:5]
	v_cndmask_b32_sdwa v6, v7, v22, vcc dst_sel:DWORD dst_unused:UNUSED_PAD src0_sel:DWORD src1_sel:WORD_1
	v_perm_b32 v22, v6, v5, s22
	buffer_store_dword v19, off, s[40:43], 0 offset:40 ; 4-byte Folded Spill
	s_nop 0
	buffer_store_dword v20, off, s[40:43], 0 offset:44 ; 4-byte Folded Spill
	buffer_store_dword v21, off, s[40:43], 0 offset:48 ; 4-byte Folded Spill
	;; [unrolled: 1-line block ×3, first 2 shown]
.LBB161_36:                             ;   in Loop: Header=BB161_30 Depth=1
	s_or_b64 exec, exec, s[12:13]
	global_load_dwordx4 v[21:24], v[9:10], off offset:3072
	s_and_saveexec_b64 s[12:13], s[2:3]
	s_cbranch_execz .LBB161_38
; %bb.37:                               ;   in Loop: Header=BB161_30 Depth=1
	v_cmp_gt_i32_e32 vcc, s26, v16
	v_mov_b32_e32 v7, 0
	s_waitcnt vmcnt(0)
	v_cndmask_b32_sdwa v5, v7, v21, vcc dst_sel:DWORD dst_unused:UNUSED_PAD src0_sel:DWORD src1_sel:WORD_1
	v_cmp_gt_i32_e32 vcc, s33, v17
	v_cndmask_b32_e32 v6, 0, v21, vcc
	v_cmp_gt_i32_e32 vcc, s26, v14
	v_cmp_gt_i32_e64 s[4:5], s33, v15
	v_perm_b32 v21, v5, v6, s22
	v_cndmask_b32_e64 v5, 0, v22, s[4:5]
	v_cndmask_b32_sdwa v6, v7, v22, vcc dst_sel:DWORD dst_unused:UNUSED_PAD src0_sel:DWORD src1_sel:WORD_1
	v_cmp_gt_i32_e32 vcc, s26, v0
	v_cmp_gt_i32_e64 s[4:5], s33, v13
	v_perm_b32 v22, v6, v5, s22
	v_cndmask_b32_e64 v5, 0, v23, s[4:5]
	v_cndmask_b32_sdwa v6, v7, v23, vcc dst_sel:DWORD dst_unused:UNUSED_PAD src0_sel:DWORD src1_sel:WORD_1
	;; [unrolled: 5-line block ×3, first 2 shown]
	v_perm_b32 v24, v6, v5, s22
.LBB161_38:                             ;   in Loop: Header=BB161_30 Depth=1
	s_or_b64 exec, exec, s[12:13]
	v_add_co_u32_e32 v5, vcc, 0x1000, v9
	v_addc_co_u32_e32 v6, vcc, 0, v10, vcc
	global_load_dwordx4 v[5:8], v[5:6], off
	s_waitcnt vmcnt(0)
	buffer_store_dword v5, off, s[40:43], 0 offset:72 ; 4-byte Folded Spill
	s_nop 0
	buffer_store_dword v6, off, s[40:43], 0 offset:76 ; 4-byte Folded Spill
	buffer_store_dword v7, off, s[40:43], 0 offset:80 ; 4-byte Folded Spill
	;; [unrolled: 1-line block ×3, first 2 shown]
	s_and_saveexec_b64 s[12:13], s[2:3]
	s_cbranch_execz .LBB161_40
; %bb.39:                               ;   in Loop: Header=BB161_30 Depth=1
	buffer_load_dword v25, off, s[40:43], 0 offset:72 ; 4-byte Folded Reload
	buffer_load_dword v26, off, s[40:43], 0 offset:76 ; 4-byte Folded Reload
	;; [unrolled: 1-line block ×4, first 2 shown]
	v_cmp_gt_i32_e32 vcc, s26, v16
	v_mov_b32_e32 v7, 0
	v_cmp_gt_i32_e64 s[4:5], s33, v15
	s_waitcnt vmcnt(3)
	v_cndmask_b32_sdwa v5, v7, v25, vcc dst_sel:DWORD dst_unused:UNUSED_PAD src0_sel:DWORD src1_sel:WORD_1
	v_cmp_gt_i32_e32 vcc, s33, v17
	v_cndmask_b32_e32 v6, 0, v25, vcc
	v_cmp_gt_i32_e32 vcc, s26, v14
	v_perm_b32 v25, v5, v6, s22
	s_waitcnt vmcnt(2)
	v_cndmask_b32_e64 v5, 0, v26, s[4:5]
	v_cndmask_b32_sdwa v6, v7, v26, vcc dst_sel:DWORD dst_unused:UNUSED_PAD src0_sel:DWORD src1_sel:WORD_1
	v_cmp_gt_i32_e32 vcc, s26, v0
	v_cmp_gt_i32_e64 s[4:5], s33, v13
	v_perm_b32 v26, v6, v5, s22
	s_waitcnt vmcnt(1)
	v_cndmask_b32_e64 v5, 0, v27, s[4:5]
	v_cndmask_b32_sdwa v6, v7, v27, vcc dst_sel:DWORD dst_unused:UNUSED_PAD src0_sel:DWORD src1_sel:WORD_1
	v_cmp_gt_i32_e32 vcc, s26, v61
	v_cmp_gt_i32_e64 s[4:5], s33, v62
	v_perm_b32 v27, v6, v5, s22
	s_waitcnt vmcnt(0)
	v_cndmask_b32_e64 v5, 0, v28, s[4:5]
	v_cndmask_b32_sdwa v6, v7, v28, vcc dst_sel:DWORD dst_unused:UNUSED_PAD src0_sel:DWORD src1_sel:WORD_1
	v_perm_b32 v28, v6, v5, s22
	buffer_store_dword v25, off, s[40:43], 0 offset:72 ; 4-byte Folded Spill
	s_nop 0
	buffer_store_dword v26, off, s[40:43], 0 offset:76 ; 4-byte Folded Spill
	buffer_store_dword v27, off, s[40:43], 0 offset:80 ; 4-byte Folded Spill
	;; [unrolled: 1-line block ×3, first 2 shown]
.LBB161_40:                             ;   in Loop: Header=BB161_30 Depth=1
	s_or_b64 exec, exec, s[12:13]
	v_add_co_u32_e32 v5, vcc, 0x1000, v9
	v_addc_co_u32_e32 v6, vcc, 0, v10, vcc
	global_load_dwordx4 v[25:28], v[5:6], off offset:1024
	s_and_saveexec_b64 s[12:13], s[2:3]
	s_cbranch_execz .LBB161_42
; %bb.41:                               ;   in Loop: Header=BB161_30 Depth=1
	v_cmp_gt_i32_e32 vcc, s26, v16
	v_mov_b32_e32 v7, 0
	s_waitcnt vmcnt(0)
	v_cndmask_b32_sdwa v5, v7, v25, vcc dst_sel:DWORD dst_unused:UNUSED_PAD src0_sel:DWORD src1_sel:WORD_1
	v_cmp_gt_i32_e32 vcc, s33, v17
	v_cndmask_b32_e32 v6, 0, v25, vcc
	v_cmp_gt_i32_e32 vcc, s26, v14
	v_cmp_gt_i32_e64 s[4:5], s33, v15
	v_perm_b32 v25, v5, v6, s22
	v_cndmask_b32_e64 v5, 0, v26, s[4:5]
	v_cndmask_b32_sdwa v6, v7, v26, vcc dst_sel:DWORD dst_unused:UNUSED_PAD src0_sel:DWORD src1_sel:WORD_1
	v_cmp_gt_i32_e32 vcc, s26, v0
	v_cmp_gt_i32_e64 s[4:5], s33, v13
	v_perm_b32 v26, v6, v5, s22
	v_cndmask_b32_e64 v5, 0, v27, s[4:5]
	v_cndmask_b32_sdwa v6, v7, v27, vcc dst_sel:DWORD dst_unused:UNUSED_PAD src0_sel:DWORD src1_sel:WORD_1
	v_cmp_gt_i32_e32 vcc, s26, v61
	v_cmp_gt_i32_e64 s[4:5], s33, v62
	v_perm_b32 v27, v6, v5, s22
	v_cndmask_b32_e64 v5, 0, v28, s[4:5]
	v_cndmask_b32_sdwa v6, v7, v28, vcc dst_sel:DWORD dst_unused:UNUSED_PAD src0_sel:DWORD src1_sel:WORD_1
	v_perm_b32 v28, v6, v5, s22
.LBB161_42:                             ;   in Loop: Header=BB161_30 Depth=1
	s_or_b64 exec, exec, s[12:13]
	v_add_co_u32_e32 v5, vcc, 0x1000, v9
	v_addc_co_u32_e32 v6, vcc, 0, v10, vcc
	global_load_dwordx4 v[29:32], v[5:6], off offset:2048
	s_and_saveexec_b64 s[12:13], s[2:3]
	s_cbranch_execz .LBB161_44
; %bb.43:                               ;   in Loop: Header=BB161_30 Depth=1
	v_cmp_gt_i32_e32 vcc, s26, v16
	v_mov_b32_e32 v7, 0
	s_waitcnt vmcnt(0)
	v_cndmask_b32_sdwa v5, v7, v29, vcc dst_sel:DWORD dst_unused:UNUSED_PAD src0_sel:DWORD src1_sel:WORD_1
	v_cmp_gt_i32_e32 vcc, s33, v17
	v_cndmask_b32_e32 v6, 0, v29, vcc
	v_cmp_gt_i32_e32 vcc, s26, v14
	v_cmp_gt_i32_e64 s[4:5], s33, v15
	v_perm_b32 v29, v5, v6, s22
	v_cndmask_b32_e64 v5, 0, v30, s[4:5]
	v_cndmask_b32_sdwa v6, v7, v30, vcc dst_sel:DWORD dst_unused:UNUSED_PAD src0_sel:DWORD src1_sel:WORD_1
	v_cmp_gt_i32_e32 vcc, s26, v0
	v_cmp_gt_i32_e64 s[4:5], s33, v13
	v_perm_b32 v30, v6, v5, s22
	v_cndmask_b32_e64 v5, 0, v31, s[4:5]
	v_cndmask_b32_sdwa v6, v7, v31, vcc dst_sel:DWORD dst_unused:UNUSED_PAD src0_sel:DWORD src1_sel:WORD_1
	v_cmp_gt_i32_e32 vcc, s26, v61
	v_cmp_gt_i32_e64 s[4:5], s33, v62
	v_perm_b32 v31, v6, v5, s22
	v_cndmask_b32_e64 v5, 0, v32, s[4:5]
	v_cndmask_b32_sdwa v6, v7, v32, vcc dst_sel:DWORD dst_unused:UNUSED_PAD src0_sel:DWORD src1_sel:WORD_1
	v_perm_b32 v32, v6, v5, s22
.LBB161_44:                             ;   in Loop: Header=BB161_30 Depth=1
	;; [unrolled: 30-line block ×3, first 2 shown]
	s_or_b64 exec, exec, s[12:13]
	v_add_co_u32_e32 v5, vcc, 0x2000, v9
	v_addc_co_u32_e32 v6, vcc, 0, v10, vcc
	global_load_dwordx4 v[37:40], v[5:6], off
	s_and_saveexec_b64 s[12:13], s[2:3]
	s_cbranch_execz .LBB161_48
; %bb.47:                               ;   in Loop: Header=BB161_30 Depth=1
	v_cmp_gt_i32_e32 vcc, s26, v16
	v_mov_b32_e32 v7, 0
	s_waitcnt vmcnt(0)
	v_cndmask_b32_sdwa v5, v7, v37, vcc dst_sel:DWORD dst_unused:UNUSED_PAD src0_sel:DWORD src1_sel:WORD_1
	v_cmp_gt_i32_e32 vcc, s33, v17
	v_cndmask_b32_e32 v6, 0, v37, vcc
	v_cmp_gt_i32_e32 vcc, s26, v14
	v_cmp_gt_i32_e64 s[4:5], s33, v15
	v_perm_b32 v37, v5, v6, s22
	v_cndmask_b32_e64 v5, 0, v38, s[4:5]
	v_cndmask_b32_sdwa v6, v7, v38, vcc dst_sel:DWORD dst_unused:UNUSED_PAD src0_sel:DWORD src1_sel:WORD_1
	v_cmp_gt_i32_e32 vcc, s26, v0
	v_cmp_gt_i32_e64 s[4:5], s33, v13
	v_perm_b32 v38, v6, v5, s22
	v_cndmask_b32_e64 v5, 0, v39, s[4:5]
	v_cndmask_b32_sdwa v6, v7, v39, vcc dst_sel:DWORD dst_unused:UNUSED_PAD src0_sel:DWORD src1_sel:WORD_1
	v_cmp_gt_i32_e32 vcc, s26, v61
	v_cmp_gt_i32_e64 s[4:5], s33, v62
	v_perm_b32 v39, v6, v5, s22
	v_cndmask_b32_e64 v5, 0, v40, s[4:5]
	v_cndmask_b32_sdwa v6, v7, v40, vcc dst_sel:DWORD dst_unused:UNUSED_PAD src0_sel:DWORD src1_sel:WORD_1
	v_perm_b32 v40, v6, v5, s22
.LBB161_48:                             ;   in Loop: Header=BB161_30 Depth=1
	s_or_b64 exec, exec, s[12:13]
	v_add_co_u32_e32 v5, vcc, 0x2000, v9
	v_addc_co_u32_e32 v6, vcc, 0, v10, vcc
	global_load_dwordx4 v[41:44], v[5:6], off offset:1024
	s_and_saveexec_b64 s[12:13], s[2:3]
	s_cbranch_execz .LBB161_50
; %bb.49:                               ;   in Loop: Header=BB161_30 Depth=1
	v_cmp_gt_i32_e32 vcc, s26, v16
	v_mov_b32_e32 v7, 0
	s_waitcnt vmcnt(0)
	v_cndmask_b32_sdwa v5, v7, v41, vcc dst_sel:DWORD dst_unused:UNUSED_PAD src0_sel:DWORD src1_sel:WORD_1
	v_cmp_gt_i32_e32 vcc, s33, v17
	v_cndmask_b32_e32 v6, 0, v41, vcc
	v_cmp_gt_i32_e32 vcc, s26, v14
	v_cmp_gt_i32_e64 s[4:5], s33, v15
	v_perm_b32 v41, v5, v6, s22
	v_cndmask_b32_e64 v5, 0, v42, s[4:5]
	v_cndmask_b32_sdwa v6, v7, v42, vcc dst_sel:DWORD dst_unused:UNUSED_PAD src0_sel:DWORD src1_sel:WORD_1
	v_cmp_gt_i32_e32 vcc, s26, v0
	v_cmp_gt_i32_e64 s[4:5], s33, v13
	v_perm_b32 v42, v6, v5, s22
	v_cndmask_b32_e64 v5, 0, v43, s[4:5]
	v_cndmask_b32_sdwa v6, v7, v43, vcc dst_sel:DWORD dst_unused:UNUSED_PAD src0_sel:DWORD src1_sel:WORD_1
	v_cmp_gt_i32_e32 vcc, s26, v61
	v_cmp_gt_i32_e64 s[4:5], s33, v62
	v_perm_b32 v43, v6, v5, s22
	v_cndmask_b32_e64 v5, 0, v44, s[4:5]
	v_cndmask_b32_sdwa v6, v7, v44, vcc dst_sel:DWORD dst_unused:UNUSED_PAD src0_sel:DWORD src1_sel:WORD_1
	v_perm_b32 v44, v6, v5, s22
.LBB161_50:                             ;   in Loop: Header=BB161_30 Depth=1
	s_or_b64 exec, exec, s[12:13]
	v_add_co_u32_e32 v5, vcc, 0x2000, v9
	v_addc_co_u32_e32 v6, vcc, 0, v10, vcc
	global_load_dwordx4 v[45:48], v[5:6], off offset:2048
	;; [unrolled: 30-line block ×3, first 2 shown]
	s_and_saveexec_b64 s[12:13], s[2:3]
	s_cbranch_execz .LBB161_54
; %bb.53:                               ;   in Loop: Header=BB161_30 Depth=1
	v_cmp_gt_i32_e32 vcc, s26, v16
	v_mov_b32_e32 v7, 0
	s_waitcnt vmcnt(0)
	v_cndmask_b32_sdwa v5, v7, v49, vcc dst_sel:DWORD dst_unused:UNUSED_PAD src0_sel:DWORD src1_sel:WORD_1
	v_cmp_gt_i32_e32 vcc, s33, v17
	v_cndmask_b32_e32 v6, 0, v49, vcc
	v_cmp_gt_i32_e32 vcc, s26, v14
	v_cmp_gt_i32_e64 s[4:5], s33, v15
	v_perm_b32 v49, v5, v6, s22
	v_cndmask_b32_e64 v5, 0, v50, s[4:5]
	v_cndmask_b32_sdwa v6, v7, v50, vcc dst_sel:DWORD dst_unused:UNUSED_PAD src0_sel:DWORD src1_sel:WORD_1
	v_cmp_gt_i32_e32 vcc, s26, v0
	v_cmp_gt_i32_e64 s[4:5], s33, v13
	v_perm_b32 v50, v6, v5, s22
	v_cndmask_b32_e64 v5, 0, v51, s[4:5]
	v_cndmask_b32_sdwa v6, v7, v51, vcc dst_sel:DWORD dst_unused:UNUSED_PAD src0_sel:DWORD src1_sel:WORD_1
	;; [unrolled: 5-line block ×3, first 2 shown]
	v_perm_b32 v52, v6, v5, s22
.LBB161_54:                             ;   in Loop: Header=BB161_30 Depth=1
	s_or_b64 exec, exec, s[12:13]
	v_add_co_u32_e32 v5, vcc, 0x3000, v9
	v_addc_co_u32_e32 v6, vcc, 0, v10, vcc
	global_load_dwordx4 v[53:56], v[5:6], off
	s_and_saveexec_b64 s[12:13], s[2:3]
	s_cbranch_execz .LBB161_56
; %bb.55:                               ;   in Loop: Header=BB161_30 Depth=1
	v_cmp_gt_i32_e32 vcc, s26, v16
	v_mov_b32_e32 v7, 0
	s_waitcnt vmcnt(0)
	v_cndmask_b32_sdwa v5, v7, v53, vcc dst_sel:DWORD dst_unused:UNUSED_PAD src0_sel:DWORD src1_sel:WORD_1
	v_cmp_gt_i32_e32 vcc, s33, v17
	v_cndmask_b32_e32 v6, 0, v53, vcc
	v_cmp_gt_i32_e32 vcc, s26, v14
	v_cmp_gt_i32_e64 s[4:5], s33, v15
	v_perm_b32 v53, v5, v6, s22
	v_cndmask_b32_e64 v5, 0, v54, s[4:5]
	v_cndmask_b32_sdwa v6, v7, v54, vcc dst_sel:DWORD dst_unused:UNUSED_PAD src0_sel:DWORD src1_sel:WORD_1
	v_cmp_gt_i32_e32 vcc, s26, v0
	v_cmp_gt_i32_e64 s[4:5], s33, v13
	v_perm_b32 v54, v6, v5, s22
	v_cndmask_b32_e64 v5, 0, v55, s[4:5]
	v_cndmask_b32_sdwa v6, v7, v55, vcc dst_sel:DWORD dst_unused:UNUSED_PAD src0_sel:DWORD src1_sel:WORD_1
	;; [unrolled: 5-line block ×3, first 2 shown]
	v_perm_b32 v56, v6, v5, s22
.LBB161_56:                             ;   in Loop: Header=BB161_30 Depth=1
	s_or_b64 exec, exec, s[12:13]
	v_add_co_u32_e32 v5, vcc, 0x3000, v9
	v_addc_co_u32_e32 v6, vcc, 0, v10, vcc
	global_load_dwordx4 v[5:8], v[5:6], off offset:1024
	s_and_saveexec_b64 s[12:13], s[2:3]
	s_cbranch_execz .LBB161_58
; %bb.57:                               ;   in Loop: Header=BB161_30 Depth=1
	v_cmp_gt_i32_e32 vcc, s26, v16
	v_mov_b32_e32 v12, 0
	s_waitcnt vmcnt(0)
	v_cndmask_b32_sdwa v11, v12, v5, vcc dst_sel:DWORD dst_unused:UNUSED_PAD src0_sel:DWORD src1_sel:WORD_1
	v_cmp_gt_i32_e32 vcc, s33, v17
	v_cndmask_b32_e32 v5, 0, v5, vcc
	v_cmp_gt_i32_e32 vcc, s26, v14
	v_cmp_gt_i32_e64 s[4:5], s33, v15
	v_perm_b32 v5, v11, v5, s22
	v_cndmask_b32_e64 v11, 0, v6, s[4:5]
	v_cndmask_b32_sdwa v6, v12, v6, vcc dst_sel:DWORD dst_unused:UNUSED_PAD src0_sel:DWORD src1_sel:WORD_1
	v_cmp_gt_i32_e32 vcc, s26, v0
	v_cmp_gt_i32_e64 s[4:5], s33, v13
	v_perm_b32 v6, v6, v11, s22
	v_cndmask_b32_e64 v11, 0, v7, s[4:5]
	v_cndmask_b32_sdwa v7, v12, v7, vcc dst_sel:DWORD dst_unused:UNUSED_PAD src0_sel:DWORD src1_sel:WORD_1
	;; [unrolled: 5-line block ×3, first 2 shown]
	v_perm_b32 v8, v8, v11, s22
.LBB161_58:                             ;   in Loop: Header=BB161_30 Depth=1
	s_or_b64 exec, exec, s[12:13]
	v_add_co_u32_e32 v9, vcc, 0x3000, v9
	v_addc_co_u32_e32 v10, vcc, 0, v10, vcc
	global_load_dwordx4 v[9:12], v[9:10], off offset:2048
	s_nop 0
	buffer_store_dword v17, off, s[40:43], 0 ; 4-byte Folded Spill
	s_and_saveexec_b64 s[12:13], s[2:3]
	s_cbranch_execz .LBB161_60
; %bb.59:                               ;   in Loop: Header=BB161_30 Depth=1
	buffer_load_dword v20, off, s[40:43], 0 ; 4-byte Folded Reload
	v_cmp_gt_i32_e32 vcc, s26, v16
	v_mov_b32_e32 v19, v63
	v_mov_b32_e32 v63, 0
	s_waitcnt vmcnt(2)
	v_cndmask_b32_sdwa v17, v63, v9, vcc dst_sel:DWORD dst_unused:UNUSED_PAD src0_sel:DWORD src1_sel:WORD_1
	v_cmp_gt_i32_e64 s[4:5], s33, v15
	s_waitcnt vmcnt(0)
	v_cmp_gt_i32_e32 vcc, s33, v20
	v_cndmask_b32_e32 v9, 0, v9, vcc
	v_cmp_gt_i32_e32 vcc, s26, v14
	v_perm_b32 v9, v17, v9, s22
	v_cndmask_b32_e64 v17, 0, v10, s[4:5]
	v_cndmask_b32_sdwa v10, v63, v10, vcc dst_sel:DWORD dst_unused:UNUSED_PAD src0_sel:DWORD src1_sel:WORD_1
	v_cmp_gt_i32_e32 vcc, s26, v0
	v_cmp_gt_i32_e64 s[4:5], s33, v13
	v_perm_b32 v10, v10, v17, s22
	v_cndmask_b32_e64 v17, 0, v11, s[4:5]
	v_cndmask_b32_sdwa v11, v63, v11, vcc dst_sel:DWORD dst_unused:UNUSED_PAD src0_sel:DWORD src1_sel:WORD_1
	v_cmp_gt_i32_e32 vcc, s26, v61
	v_cmp_gt_i32_e64 s[4:5], s33, v62
	v_perm_b32 v11, v11, v17, s22
	v_cndmask_b32_e64 v17, 0, v12, s[4:5]
	v_cndmask_b32_sdwa v12, v63, v12, vcc dst_sel:DWORD dst_unused:UNUSED_PAD src0_sel:DWORD src1_sel:WORD_1
	v_mov_b32_e32 v63, v19
	v_perm_b32 v12, v12, v17, s22
.LBB161_60:                             ;   in Loop: Header=BB161_30 Depth=1
	s_or_b64 exec, exec, s[12:13]
	buffer_store_dword v21, off, s[40:43], 0 offset:164 ; 4-byte Folded Spill
	s_nop 0
	buffer_store_dword v22, off, s[40:43], 0 offset:168 ; 4-byte Folded Spill
	buffer_store_dword v23, off, s[40:43], 0 offset:172 ; 4-byte Folded Spill
	buffer_store_dword v24, off, s[40:43], 0 offset:176 ; 4-byte Folded Spill
	buffer_load_dword v17, off, s[40:43], 0 offset:188 ; 4-byte Folded Reload
	s_waitcnt vmcnt(0)
	v_add_co_u32_e32 v17, vcc, v18, v17
	buffer_load_dword v18, off, s[40:43], 0 offset:56 ; 4-byte Folded Reload
	s_waitcnt vmcnt(0)
	v_addc_co_u32_e32 v18, vcc, 0, v18, vcc
	global_load_dwordx4 v[17:20], v[17:18], off
	s_waitcnt vmcnt(0)
	buffer_store_dword v17, off, s[40:43], 0 offset:56 ; 4-byte Folded Spill
	s_nop 0
	buffer_store_dword v18, off, s[40:43], 0 offset:60 ; 4-byte Folded Spill
	buffer_store_dword v19, off, s[40:43], 0 offset:64 ; 4-byte Folded Spill
	;; [unrolled: 1-line block ×3, first 2 shown]
	s_and_saveexec_b64 s[4:5], s[2:3]
	s_cbranch_execz .LBB161_29
; %bb.61:                               ;   in Loop: Header=BB161_30 Depth=1
	buffer_load_dword v19, off, s[40:43], 0 offset:56 ; 4-byte Folded Reload
	buffer_load_dword v20, off, s[40:43], 0 offset:60 ; 4-byte Folded Reload
	buffer_load_dword v21, off, s[40:43], 0 offset:64 ; 4-byte Folded Reload
	buffer_load_dword v22, off, s[40:43], 0 offset:68 ; 4-byte Folded Reload
	buffer_load_dword v17, off, s[40:43], 0 ; 4-byte Folded Reload
	v_cmp_gt_i32_e32 vcc, s26, v16
	v_mov_b32_e32 v18, 0
	v_cmp_gt_i32_e64 s[2:3], s33, v15
	s_waitcnt vmcnt(4)
	v_cndmask_b32_sdwa v16, v18, v19, vcc dst_sel:DWORD dst_unused:UNUSED_PAD src0_sel:DWORD src1_sel:WORD_1
	s_waitcnt vmcnt(0)
	v_cmp_gt_i32_e32 vcc, s33, v17
	v_cndmask_b32_e32 v17, 0, v19, vcc
	v_cmp_gt_i32_e32 vcc, s26, v14
	v_cndmask_b32_e64 v14, 0, v20, s[2:3]
	v_cndmask_b32_sdwa v15, v18, v20, vcc dst_sel:DWORD dst_unused:UNUSED_PAD src0_sel:DWORD src1_sel:WORD_1
	v_cmp_gt_i32_e32 vcc, s26, v0
	v_cmp_gt_i32_e64 s[2:3], s33, v13
	v_cndmask_b32_e64 v0, 0, v21, s[2:3]
	v_cndmask_b32_sdwa v13, v18, v21, vcc dst_sel:DWORD dst_unused:UNUSED_PAD src0_sel:DWORD src1_sel:WORD_1
	v_cmp_gt_i32_e32 vcc, s26, v61
	v_cmp_gt_i32_e64 s[2:3], s33, v62
	v_perm_b32 v21, v13, v0, s22
	v_cndmask_b32_e64 v0, 0, v22, s[2:3]
	v_cndmask_b32_sdwa v13, v18, v22, vcc dst_sel:DWORD dst_unused:UNUSED_PAD src0_sel:DWORD src1_sel:WORD_1
	v_perm_b32 v19, v16, v17, s22
	v_perm_b32 v20, v15, v14, s22
	;; [unrolled: 1-line block ×3, first 2 shown]
	buffer_store_dword v19, off, s[40:43], 0 offset:56 ; 4-byte Folded Spill
	s_nop 0
	buffer_store_dword v20, off, s[40:43], 0 offset:60 ; 4-byte Folded Spill
	buffer_store_dword v21, off, s[40:43], 0 offset:64 ; 4-byte Folded Spill
	;; [unrolled: 1-line block ×3, first 2 shown]
	s_branch .LBB161_29
.LBB161_62:
	s_or_b64 exec, exec, s[10:11]
.LBB161_63:
	s_or_b64 exec, exec, s[6:7]
	buffer_load_dword v17, off, s[40:43], 0 offset:196 ; 4-byte Folded Reload
	s_waitcnt vmcnt(0)
	ds_bpermute_b32 v1, v17, v22
	ds_bpermute_b32 v0, v17, v12
	;; [unrolled: 1-line block ×5, first 2 shown]
	s_waitcnt lgkmcnt(4)
	v_add_f32_e32 v1, v22, v1
	buffer_load_dword v22, off, s[40:43], 0 offset:192 ; 4-byte Folded Reload
	s_waitcnt lgkmcnt(3)
	v_add_f32_e32 v0, v12, v0
	s_waitcnt lgkmcnt(2)
	v_add_f32_e32 v2, v26, v2
	ds_bpermute_b32 v16, v17, v49
	s_waitcnt vmcnt(0) lgkmcnt(0)
	s_barrier
	ds_bpermute_b32 v3, v22, v0
	ds_bpermute_b32 v4, v22, v1
	s_waitcnt lgkmcnt(1)
	v_add_f32_e32 v12, v0, v3
	ds_bpermute_b32 v0, v22, v2
	s_waitcnt lgkmcnt(1)
	v_add_f32_e32 v7, v1, v4
	v_add_f32_e32 v1, v24, v5
	;; [unrolled: 1-line block ×3, first 2 shown]
	ds_bpermute_b32 v3, v22, v1
	s_waitcnt lgkmcnt(1)
	v_add_f32_e32 v8, v2, v0
	ds_bpermute_b32 v0, v17, v25
	ds_bpermute_b32 v5, v22, v4
	s_waitcnt lgkmcnt(2)
	v_add_f32_e32 v2, v1, v3
	ds_bpermute_b32 v3, v17, v29
	s_waitcnt lgkmcnt(2)
	v_add_f32_e32 v0, v25, v0
	s_waitcnt lgkmcnt(1)
	v_add_f32_e32 v1, v4, v5
	ds_bpermute_b32 v4, v17, v33
	ds_bpermute_b32 v5, v22, v0
	s_waitcnt lgkmcnt(2)
	v_add_f32_e32 v3, v29, v3
	ds_bpermute_b32 v6, v22, v3
	s_waitcnt lgkmcnt(2)
	v_add_f32_e32 v9, v33, v4
	s_waitcnt lgkmcnt(1)
	v_add_f32_e32 v10, v0, v5
	ds_bpermute_b32 v0, v17, v37
	ds_bpermute_b32 v11, v22, v9
	s_waitcnt lgkmcnt(2)
	v_add_f32_e32 v4, v3, v6
	ds_bpermute_b32 v5, v17, v41
	ds_bpermute_b32 v6, v17, v45
	s_waitcnt lgkmcnt(3)
	v_add_f32_e32 v0, v37, v0
	s_waitcnt lgkmcnt(2)
	v_add_f32_e32 v3, v9, v11
	ds_bpermute_b32 v9, v22, v0
	s_waitcnt lgkmcnt(2)
	v_add_f32_e32 v5, v41, v5
	s_waitcnt lgkmcnt(1)
	v_add_f32_e32 v14, v45, v6
	ds_bpermute_b32 v13, v22, v5
	ds_bpermute_b32 v15, v22, v14
	s_waitcnt lgkmcnt(2)
	v_add_f32_e32 v11, v0, v9
	ds_bpermute_b32 v0, v17, v19
	v_add_f32_e32 v9, v49, v16
	s_waitcnt lgkmcnt(2)
	v_add_f32_e32 v6, v5, v13
	s_waitcnt lgkmcnt(1)
	v_add_f32_e32 v5, v14, v15
	ds_bpermute_b32 v14, v17, v18
	s_waitcnt lgkmcnt(1)
	v_add_f32_e32 v0, v19, v0
	ds_bpermute_b32 v16, v22, v0
	ds_bpermute_b32 v15, v17, v63
	;; [unrolled: 1-line block ×3, first 2 shown]
	s_waitcnt lgkmcnt(3)
	v_add_f32_e32 v18, v18, v14
	ds_bpermute_b32 v13, v22, v9
	s_waitcnt lgkmcnt(3)
	v_add_f32_e32 v14, v0, v16
	buffer_load_dword v16, off, s[40:43], 0 offset:632 ; 4-byte Folded Reload
	s_waitcnt lgkmcnt(2)
	v_add_f32_e32 v20, v63, v15
	s_waitcnt lgkmcnt(1)
	v_add_f32_e32 v17, v23, v17
	ds_bpermute_b32 v19, v22, v18
	ds_bpermute_b32 v21, v22, v20
	;; [unrolled: 1-line block ×3, first 2 shown]
	s_waitcnt lgkmcnt(3)
	v_add_f32_e32 v15, v9, v13
	s_waitcnt lgkmcnt(2)
	v_add_f32_e32 v13, v18, v19
	;; [unrolled: 2-line block ×4, first 2 shown]
	s_waitcnt vmcnt(0)
	v_and_b32_e32 v17, 0x3c3, v16
	v_cmp_eq_u32_e32 vcc, 64, v17
	s_and_saveexec_b64 s[2:3], vcc
	s_cbranch_execz .LBB161_65
; %bb.64:
	buffer_load_dword v16, off, s[40:43], 0 offset:200 ; 4-byte Folded Reload
	s_waitcnt vmcnt(0)
	v_add_u32_e32 v16, 0x210, v16
	ds_write2_b32 v16, v12, v7 offset1:16
	ds_write2_b32 v16, v8, v2 offset0:32 offset1:48
	ds_write2_b32 v16, v1, v10 offset0:64 offset1:80
	;; [unrolled: 1-line block ×7, first 2 shown]
.LBB161_65:
	s_or_b64 exec, exec, s[2:3]
	buffer_load_dword v16, off, s[40:43], 0 offset:632 ; 4-byte Folded Reload
	s_waitcnt vmcnt(0) lgkmcnt(0)
	s_barrier
	v_lshrrev_b32_e32 v16, 2, v16
	s_and_saveexec_b64 s[2:3], s[0:1]
	s_cbranch_execz .LBB161_84
; %bb.66:
	buffer_load_dword v18, off, s[40:43], 0 offset:204 ; 4-byte Folded Reload
	s_waitcnt vmcnt(0)
	v_cmp_eq_u32_e32 vcc, 0, v18
	v_mov_b32_e32 v18, 0x210
	v_lshl_add_u32 v18, v16, 2, v18
	s_and_saveexec_b64 s[0:1], vcc
	s_cbranch_execnz .LBB161_87
; %bb.67:
	s_or_b64 exec, exec, s[0:1]
	s_and_saveexec_b64 s[0:1], vcc
	s_cbranch_execnz .LBB161_88
.LBB161_68:
	s_or_b64 exec, exec, s[0:1]
	s_and_saveexec_b64 s[0:1], vcc
	s_cbranch_execnz .LBB161_89
.LBB161_69:
	s_or_b64 exec, exec, s[0:1]
	s_and_saveexec_b64 s[0:1], vcc
	s_cbranch_execnz .LBB161_90
.LBB161_70:
	s_or_b64 exec, exec, s[0:1]
	s_and_saveexec_b64 s[0:1], vcc
	s_cbranch_execnz .LBB161_91
.LBB161_71:
	s_or_b64 exec, exec, s[0:1]
	s_and_saveexec_b64 s[0:1], vcc
	s_cbranch_execnz .LBB161_92
.LBB161_72:
	s_or_b64 exec, exec, s[0:1]
	s_and_saveexec_b64 s[0:1], vcc
	s_cbranch_execnz .LBB161_93
.LBB161_73:
	s_or_b64 exec, exec, s[0:1]
	s_and_saveexec_b64 s[0:1], vcc
	s_cbranch_execnz .LBB161_94
.LBB161_74:
	s_or_b64 exec, exec, s[0:1]
	s_and_saveexec_b64 s[0:1], vcc
	s_cbranch_execnz .LBB161_95
.LBB161_75:
	s_or_b64 exec, exec, s[0:1]
	s_and_saveexec_b64 s[0:1], vcc
	s_cbranch_execnz .LBB161_96
.LBB161_76:
	s_or_b64 exec, exec, s[0:1]
	s_and_saveexec_b64 s[0:1], vcc
	s_cbranch_execnz .LBB161_97
.LBB161_77:
	s_or_b64 exec, exec, s[0:1]
	s_and_saveexec_b64 s[0:1], vcc
	s_cbranch_execnz .LBB161_98
.LBB161_78:
	s_or_b64 exec, exec, s[0:1]
	s_and_saveexec_b64 s[0:1], vcc
	s_cbranch_execnz .LBB161_99
.LBB161_79:
	s_or_b64 exec, exec, s[0:1]
	s_and_saveexec_b64 s[0:1], vcc
	s_cbranch_execnz .LBB161_100
.LBB161_80:
	s_or_b64 exec, exec, s[0:1]
	s_and_saveexec_b64 s[0:1], vcc
	s_cbranch_execnz .LBB161_101
.LBB161_81:
	s_or_b64 exec, exec, s[0:1]
	s_and_saveexec_b64 s[0:1], vcc
	s_cbranch_execz .LBB161_83
.LBB161_82:
	ds_read_b32 v18, v18 offset:960
	s_waitcnt lgkmcnt(0)
	v_add_f32_e32 v0, v0, v18
.LBB161_83:
	s_or_b64 exec, exec, s[0:1]
.LBB161_84:
	s_or_b64 exec, exec, s[2:3]
	v_cmp_eq_u32_e32 vcc, 0, v17
	s_barrier
	s_and_saveexec_b64 s[0:1], vcc
	s_cbranch_execz .LBB161_86
; %bb.85:
	s_mul_i32 s0, s16, s17
	s_mul_i32 s0, s0, s9
	s_lshl_b32 s0, s0, 8
	s_ashr_i32 s1, s0, 31
	s_lshl_b64 s[0:1], s[0:1], 1
	s_add_u32 s2, s20, s0
	s_mul_i32 s0, s17, s18
	s_addc_u32 s3, s21, s1
	s_ashr_i32 s1, s0, 31
	s_lshl_b64 s[0:1], s[0:1], 1
	s_add_u32 s2, s2, s0
	s_addc_u32 s3, s3, s1
	s_lshl_b32 s0, s8, 8
	s_ashr_i32 s1, s0, 31
	s_lshl_b64 s[0:1], s[0:1], 1
	s_add_u32 s0, s2, s0
	v_bfe_u32 v17, v12, 16, 1
	s_movk_i32 s2, 0x7fff
	v_add3_u32 v17, v17, v12, s2
	v_or_b32_e32 v18, 0x400000, v12
	v_cmp_u_f32_e32 vcc, v12, v12
	s_addc_u32 s1, s3, s1
	v_lshlrev_b32_e32 v16, 1, v16
	v_cndmask_b32_e32 v12, v17, v18, vcc
	global_store_short_d16_hi v16, v12, s[0:1]
	v_bfe_u32 v12, v7, 16, 1
	v_add3_u32 v12, v12, v7, s2
	v_or_b32_e32 v17, 0x400000, v7
	v_cmp_u_f32_e32 vcc, v7, v7
	v_cndmask_b32_e32 v7, v12, v17, vcc
	global_store_short_d16_hi v16, v7, s[0:1] offset:32
	v_bfe_u32 v7, v8, 16, 1
	v_add3_u32 v7, v7, v8, s2
	v_or_b32_e32 v12, 0x400000, v8
	v_cmp_u_f32_e32 vcc, v8, v8
	v_cndmask_b32_e32 v7, v7, v12, vcc
	global_store_short_d16_hi v16, v7, s[0:1] offset:64
	;; [unrolled: 6-line block ×15, first 2 shown]
.LBB161_86:
	s_endpgm
.LBB161_87:
	ds_read_b32 v19, v18
	s_waitcnt lgkmcnt(0)
	v_add_f32_e32 v12, v12, v19
	s_or_b64 exec, exec, s[0:1]
	s_and_saveexec_b64 s[0:1], vcc
	s_cbranch_execz .LBB161_68
.LBB161_88:
	ds_read_b32 v19, v18 offset:64
	s_waitcnt lgkmcnt(0)
	v_add_f32_e32 v7, v7, v19
	s_or_b64 exec, exec, s[0:1]
	s_and_saveexec_b64 s[0:1], vcc
	s_cbranch_execz .LBB161_69
.LBB161_89:
	ds_read_b32 v19, v18 offset:128
	s_waitcnt lgkmcnt(0)
	v_add_f32_e32 v8, v8, v19
	s_or_b64 exec, exec, s[0:1]
	s_and_saveexec_b64 s[0:1], vcc
	s_cbranch_execz .LBB161_70
.LBB161_90:
	ds_read_b32 v19, v18 offset:192
	s_waitcnt lgkmcnt(0)
	v_add_f32_e32 v2, v2, v19
	s_or_b64 exec, exec, s[0:1]
	s_and_saveexec_b64 s[0:1], vcc
	s_cbranch_execz .LBB161_71
.LBB161_91:
	ds_read_b32 v19, v18 offset:256
	s_waitcnt lgkmcnt(0)
	v_add_f32_e32 v1, v1, v19
	s_or_b64 exec, exec, s[0:1]
	s_and_saveexec_b64 s[0:1], vcc
	s_cbranch_execz .LBB161_72
.LBB161_92:
	ds_read_b32 v19, v18 offset:320
	s_waitcnt lgkmcnt(0)
	v_add_f32_e32 v10, v10, v19
	s_or_b64 exec, exec, s[0:1]
	s_and_saveexec_b64 s[0:1], vcc
	s_cbranch_execz .LBB161_73
.LBB161_93:
	ds_read_b32 v19, v18 offset:384
	s_waitcnt lgkmcnt(0)
	v_add_f32_e32 v4, v4, v19
	s_or_b64 exec, exec, s[0:1]
	s_and_saveexec_b64 s[0:1], vcc
	s_cbranch_execz .LBB161_74
.LBB161_94:
	ds_read_b32 v19, v18 offset:448
	s_waitcnt lgkmcnt(0)
	v_add_f32_e32 v3, v3, v19
	s_or_b64 exec, exec, s[0:1]
	s_and_saveexec_b64 s[0:1], vcc
	s_cbranch_execz .LBB161_75
.LBB161_95:
	ds_read_b32 v19, v18 offset:512
	s_waitcnt lgkmcnt(0)
	v_add_f32_e32 v11, v11, v19
	s_or_b64 exec, exec, s[0:1]
	s_and_saveexec_b64 s[0:1], vcc
	s_cbranch_execz .LBB161_76
.LBB161_96:
	ds_read_b32 v19, v18 offset:576
	s_waitcnt lgkmcnt(0)
	v_add_f32_e32 v6, v6, v19
	s_or_b64 exec, exec, s[0:1]
	s_and_saveexec_b64 s[0:1], vcc
	s_cbranch_execz .LBB161_77
.LBB161_97:
	ds_read_b32 v19, v18 offset:640
	s_waitcnt lgkmcnt(0)
	v_add_f32_e32 v5, v5, v19
	s_or_b64 exec, exec, s[0:1]
	s_and_saveexec_b64 s[0:1], vcc
	s_cbranch_execz .LBB161_78
.LBB161_98:
	ds_read_b32 v19, v18 offset:704
	s_waitcnt lgkmcnt(0)
	v_add_f32_e32 v15, v15, v19
	s_or_b64 exec, exec, s[0:1]
	s_and_saveexec_b64 s[0:1], vcc
	s_cbranch_execz .LBB161_79
.LBB161_99:
	ds_read_b32 v19, v18 offset:768
	s_waitcnt lgkmcnt(0)
	v_add_f32_e32 v14, v14, v19
	s_or_b64 exec, exec, s[0:1]
	s_and_saveexec_b64 s[0:1], vcc
	s_cbranch_execz .LBB161_80
.LBB161_100:
	ds_read_b32 v19, v18 offset:832
	s_waitcnt lgkmcnt(0)
	v_add_f32_e32 v13, v13, v19
	s_or_b64 exec, exec, s[0:1]
	s_and_saveexec_b64 s[0:1], vcc
	s_cbranch_execz .LBB161_81
.LBB161_101:
	ds_read_b32 v19, v18 offset:896
	s_waitcnt lgkmcnt(0)
	v_add_f32_e32 v9, v9, v19
	s_or_b64 exec, exec, s[0:1]
	s_and_saveexec_b64 s[0:1], vcc
	s_cbranch_execnz .LBB161_82
	s_branch .LBB161_83
	.section	.rodata,"a",@progbits
	.p2align	6, 0x0
	.amdhsa_kernel _ZN4vllm25paged_attention_v1_kernelI14__hip_bfloat16S1_Li256ELi32ELi128ELNS_18Fp8KVCacheDataTypeE0ELb0EEEvPT_PKS3_PKT0_S9_ifPKiSB_iPKfiiiSD_SD_iiiii
		.amdhsa_group_segment_fixed_size 528
		.amdhsa_private_segment_fixed_size 660
		.amdhsa_kernarg_size 384
		.amdhsa_user_sgpr_count 6
		.amdhsa_user_sgpr_private_segment_buffer 1
		.amdhsa_user_sgpr_dispatch_ptr 0
		.amdhsa_user_sgpr_queue_ptr 0
		.amdhsa_user_sgpr_kernarg_segment_ptr 1
		.amdhsa_user_sgpr_dispatch_id 0
		.amdhsa_user_sgpr_flat_scratch_init 0
		.amdhsa_user_sgpr_private_segment_size 0
		.amdhsa_uses_dynamic_stack 0
		.amdhsa_system_sgpr_private_segment_wavefront_offset 1
		.amdhsa_system_sgpr_workgroup_id_x 1
		.amdhsa_system_sgpr_workgroup_id_y 1
		.amdhsa_system_sgpr_workgroup_id_z 1
		.amdhsa_system_sgpr_workgroup_info 0
		.amdhsa_system_vgpr_workitem_id 0
		.amdhsa_next_free_vgpr 64
		.amdhsa_next_free_sgpr 44
		.amdhsa_reserve_vcc 1
		.amdhsa_reserve_flat_scratch 0
		.amdhsa_float_round_mode_32 0
		.amdhsa_float_round_mode_16_64 0
		.amdhsa_float_denorm_mode_32 3
		.amdhsa_float_denorm_mode_16_64 3
		.amdhsa_dx10_clamp 1
		.amdhsa_ieee_mode 1
		.amdhsa_fp16_overflow 0
		.amdhsa_exception_fp_ieee_invalid_op 0
		.amdhsa_exception_fp_denorm_src 0
		.amdhsa_exception_fp_ieee_div_zero 0
		.amdhsa_exception_fp_ieee_overflow 0
		.amdhsa_exception_fp_ieee_underflow 0
		.amdhsa_exception_fp_ieee_inexact 0
		.amdhsa_exception_int_div_zero 0
	.end_amdhsa_kernel
	.section	.text._ZN4vllm25paged_attention_v1_kernelI14__hip_bfloat16S1_Li256ELi32ELi128ELNS_18Fp8KVCacheDataTypeE0ELb0EEEvPT_PKS3_PKT0_S9_ifPKiSB_iPKfiiiSD_SD_iiiii,"axG",@progbits,_ZN4vllm25paged_attention_v1_kernelI14__hip_bfloat16S1_Li256ELi32ELi128ELNS_18Fp8KVCacheDataTypeE0ELb0EEEvPT_PKS3_PKT0_S9_ifPKiSB_iPKfiiiSD_SD_iiiii,comdat
.Lfunc_end161:
	.size	_ZN4vllm25paged_attention_v1_kernelI14__hip_bfloat16S1_Li256ELi32ELi128ELNS_18Fp8KVCacheDataTypeE0ELb0EEEvPT_PKS3_PKT0_S9_ifPKiSB_iPKfiiiSD_SD_iiiii, .Lfunc_end161-_ZN4vllm25paged_attention_v1_kernelI14__hip_bfloat16S1_Li256ELi32ELi128ELNS_18Fp8KVCacheDataTypeE0ELb0EEEvPT_PKS3_PKT0_S9_ifPKiSB_iPKfiiiSD_SD_iiiii
                                        ; -- End function
	.set _ZN4vllm25paged_attention_v1_kernelI14__hip_bfloat16S1_Li256ELi32ELi128ELNS_18Fp8KVCacheDataTypeE0ELb0EEEvPT_PKS3_PKT0_S9_ifPKiSB_iPKfiiiSD_SD_iiiii.num_vgpr, 64
	.set _ZN4vllm25paged_attention_v1_kernelI14__hip_bfloat16S1_Li256ELi32ELi128ELNS_18Fp8KVCacheDataTypeE0ELb0EEEvPT_PKS3_PKT0_S9_ifPKiSB_iPKfiiiSD_SD_iiiii.num_agpr, 0
	.set _ZN4vllm25paged_attention_v1_kernelI14__hip_bfloat16S1_Li256ELi32ELi128ELNS_18Fp8KVCacheDataTypeE0ELb0EEEvPT_PKS3_PKT0_S9_ifPKiSB_iPKfiiiSD_SD_iiiii.numbered_sgpr, 44
	.set _ZN4vllm25paged_attention_v1_kernelI14__hip_bfloat16S1_Li256ELi32ELi128ELNS_18Fp8KVCacheDataTypeE0ELb0EEEvPT_PKS3_PKT0_S9_ifPKiSB_iPKfiiiSD_SD_iiiii.num_named_barrier, 0
	.set _ZN4vllm25paged_attention_v1_kernelI14__hip_bfloat16S1_Li256ELi32ELi128ELNS_18Fp8KVCacheDataTypeE0ELb0EEEvPT_PKS3_PKT0_S9_ifPKiSB_iPKfiiiSD_SD_iiiii.private_seg_size, 660
	.set _ZN4vllm25paged_attention_v1_kernelI14__hip_bfloat16S1_Li256ELi32ELi128ELNS_18Fp8KVCacheDataTypeE0ELb0EEEvPT_PKS3_PKT0_S9_ifPKiSB_iPKfiiiSD_SD_iiiii.uses_vcc, 1
	.set _ZN4vllm25paged_attention_v1_kernelI14__hip_bfloat16S1_Li256ELi32ELi128ELNS_18Fp8KVCacheDataTypeE0ELb0EEEvPT_PKS3_PKT0_S9_ifPKiSB_iPKfiiiSD_SD_iiiii.uses_flat_scratch, 0
	.set _ZN4vllm25paged_attention_v1_kernelI14__hip_bfloat16S1_Li256ELi32ELi128ELNS_18Fp8KVCacheDataTypeE0ELb0EEEvPT_PKS3_PKT0_S9_ifPKiSB_iPKfiiiSD_SD_iiiii.has_dyn_sized_stack, 0
	.set _ZN4vllm25paged_attention_v1_kernelI14__hip_bfloat16S1_Li256ELi32ELi128ELNS_18Fp8KVCacheDataTypeE0ELb0EEEvPT_PKS3_PKT0_S9_ifPKiSB_iPKfiiiSD_SD_iiiii.has_recursion, 0
	.set _ZN4vllm25paged_attention_v1_kernelI14__hip_bfloat16S1_Li256ELi32ELi128ELNS_18Fp8KVCacheDataTypeE0ELb0EEEvPT_PKS3_PKT0_S9_ifPKiSB_iPKfiiiSD_SD_iiiii.has_indirect_call, 0
	.section	.AMDGPU.csdata,"",@progbits
; Kernel info:
; codeLenInByte = 21612
; TotalNumSgprs: 48
; NumVgprs: 64
; ScratchSize: 660
; MemoryBound: 0
; FloatMode: 240
; IeeeMode: 1
; LDSByteSize: 528 bytes/workgroup (compile time only)
; SGPRBlocks: 5
; VGPRBlocks: 15
; NumSGPRsForWavesPerEU: 48
; NumVGPRsForWavesPerEU: 64
; Occupancy: 4
; WaveLimiterHint : 1
; COMPUTE_PGM_RSRC2:SCRATCH_EN: 1
; COMPUTE_PGM_RSRC2:USER_SGPR: 6
; COMPUTE_PGM_RSRC2:TRAP_HANDLER: 0
; COMPUTE_PGM_RSRC2:TGID_X_EN: 1
; COMPUTE_PGM_RSRC2:TGID_Y_EN: 1
; COMPUTE_PGM_RSRC2:TGID_Z_EN: 1
; COMPUTE_PGM_RSRC2:TIDIG_COMP_CNT: 0
	.section	.text._ZN4vllm25paged_attention_v1_kernelIfhLi32ELi8ELi128ELNS_18Fp8KVCacheDataTypeE1ELb1EEEvPT_PKS2_PKT0_S8_ifPKiSA_iPKfiiiSC_SC_iiiii,"axG",@progbits,_ZN4vllm25paged_attention_v1_kernelIfhLi32ELi8ELi128ELNS_18Fp8KVCacheDataTypeE1ELb1EEEvPT_PKS2_PKT0_S8_ifPKiSA_iPKfiiiSC_SC_iiiii,comdat
	.protected	_ZN4vllm25paged_attention_v1_kernelIfhLi32ELi8ELi128ELNS_18Fp8KVCacheDataTypeE1ELb1EEEvPT_PKS2_PKT0_S8_ifPKiSA_iPKfiiiSC_SC_iiiii ; -- Begin function _ZN4vllm25paged_attention_v1_kernelIfhLi32ELi8ELi128ELNS_18Fp8KVCacheDataTypeE1ELb1EEEvPT_PKS2_PKT0_S8_ifPKiSA_iPKfiiiSC_SC_iiiii
	.globl	_ZN4vllm25paged_attention_v1_kernelIfhLi32ELi8ELi128ELNS_18Fp8KVCacheDataTypeE1ELb1EEEvPT_PKS2_PKT0_S8_ifPKiSA_iPKfiiiSC_SC_iiiii
	.p2align	8
	.type	_ZN4vllm25paged_attention_v1_kernelIfhLi32ELi8ELi128ELNS_18Fp8KVCacheDataTypeE1ELb1EEEvPT_PKS2_PKT0_S8_ifPKiSA_iPKfiiiSC_SC_iiiii,@function
_ZN4vllm25paged_attention_v1_kernelIfhLi32ELi8ELi128ELNS_18Fp8KVCacheDataTypeE1ELb1EEEvPT_PKS2_PKT0_S8_ifPKiSA_iPKfiiiSC_SC_iiiii: ; @_ZN4vllm25paged_attention_v1_kernelIfhLi32ELi8ELi128ELNS_18Fp8KVCacheDataTypeE1ELb1EEEvPT_PKS2_PKT0_S8_ifPKiSA_iPKfiiiSC_SC_iiiii
; %bb.0:
	s_load_dword s9, s[4:5], 0x80
	s_load_dwordx2 s[0:1], s[4:5], 0x30
	s_load_dwordx2 s[36:37], s[4:5], 0x20
	s_mov_b32 s10, s7
	s_ashr_i32 s11, s7, 31
	s_lshl_b64 s[2:3], s[10:11], 2
	s_waitcnt lgkmcnt(0)
	s_add_u32 s0, s0, s2
	s_addc_u32 s1, s1, s3
	s_abs_i32 s2, s36
	v_cvt_f32_u32_e32 v1, s2
	s_sub_i32 s11, 0, s2
	s_abs_i32 s7, s9
	s_xor_b32 s3, s9, s36
	v_rcp_iflag_f32_e32 v1, v1
	s_ashr_i32 s3, s3, 31
	s_mov_b32 s48, 0
	v_mul_f32_e32 v1, 0x4f7ffffe, v1
	v_cvt_u32_f32_e32 v1, v1
	v_readfirstlane_b32 s12, v1
	s_mul_i32 s11, s11, s12
	s_mul_hi_u32 s11, s12, s11
	s_add_i32 s12, s12, s11
	s_mul_hi_u32 s11, s7, s12
	s_mul_i32 s12, s11, s2
	s_sub_i32 s7, s7, s12
	s_add_i32 s12, s11, 1
	s_sub_i32 s13, s7, s2
	s_cmp_ge_u32 s7, s2
	s_cselect_b32 s11, s12, s11
	s_cselect_b32 s7, s13, s7
	s_add_i32 s12, s11, 1
	s_cmp_ge_u32 s7, s2
	s_cselect_b32 s2, s12, s11
	s_xor_b32 s2, s2, s3
	s_sub_i32 s15, s2, s3
	s_abs_i32 s12, s15
	v_cvt_f32_u32_e32 v1, s12
	s_load_dwordx2 s[2:3], s[4:5], 0x40
	s_sub_i32 s7, 0, s12
	s_abs_i32 s13, s6
	v_rcp_iflag_f32_e32 v1, v1
	v_mul_f32_e32 v1, 0x4f7ffffe, v1
	v_cvt_u32_f32_e32 v1, v1
	v_readfirstlane_b32 s11, v1
	s_mul_i32 s7, s7, s11
	s_mul_hi_u32 s7, s11, s7
	s_add_i32 s11, s11, s7
	s_waitcnt lgkmcnt(0)
	s_cmp_eq_u64 s[2:3], 0
	s_mul_hi_u32 s14, s13, s11
	s_cbranch_scc1 .LBB162_2
; %bb.1:
	s_ashr_i32 s7, s6, 31
	s_lshl_b64 s[16:17], s[6:7], 2
	s_add_u32 s2, s2, s16
	s_addc_u32 s3, s3, s17
	s_load_dword s48, s[2:3], 0x0
.LBB162_2:
	s_load_dword s11, s[0:1], 0x0
	s_load_dwordx4 s[16:19], s[4:5], 0x48
	s_ashr_i32 s3, s6, 31
	s_ashr_i32 s7, s15, 31
	v_and_b32_e32 v1, 7, v0
	s_lshl_b32 s24, s6, 5
	v_cmp_gt_u32_e32 vcc, 32, v0
	v_lshlrev_b32_e32 v12, 2, v0
	v_lshrrev_b32_e32 v19, 1, v0
	s_and_saveexec_b64 s[0:1], vcc
	s_cbranch_execz .LBB162_4
; %bb.3:
	s_load_dwordx2 s[20:21], s[4:5], 0x8
	s_waitcnt lgkmcnt(0)
	s_mul_i32 s22, s16, s10
	s_ashr_i32 s23, s22, 31
	s_lshl_b64 s[22:23], s[22:23], 2
	v_and_b32_e32 v3, 0x1fc, v19
	s_add_u32 s2, s20, s22
	s_addc_u32 s15, s21, s23
	s_ashr_i32 s25, s24, 31
	s_lshl_b64 s[20:21], s[24:25], 2
	s_add_u32 s20, s2, s20
	s_addc_u32 s21, s15, s21
	global_load_dword v2, v12, s[20:21]
	v_lshl_add_u32 v3, v1, 4, v3
	s_waitcnt vmcnt(0)
	ds_write_b32 v3, v2
.LBB162_4:
	s_or_b64 exec, exec, s[0:1]
	s_mul_i32 s1, s14, s12
	s_sub_i32 s1, s13, s1
	s_xor_b32 s0, s3, s7
	s_add_i32 s3, s14, 1
	s_sub_i32 s7, s1, s12
	s_load_dwordx4 s[20:23], s[4:5], 0x68
	s_load_dword s2, s[4:5], 0x78
	s_cmp_ge_u32 s1, s12
	s_cselect_b32 s3, s3, s14
	s_cselect_b32 s1, s7, s1
	s_add_i32 s7, s3, 1
	s_cmp_ge_u32 s1, s12
	s_cselect_b32 s1, s7, s3
	s_waitcnt lgkmcnt(0)
	s_abs_i32 s25, s23
	v_cvt_f32_u32_e32 v2, s25
	s_xor_b32 s1, s1, s0
	s_sub_i32 s47, s1, s0
	s_sub_i32 s0, 0, s25
	v_rcp_iflag_f32_e32 v2, v2
	s_add_i32 s12, s11, -1
	s_abs_i32 s3, s12
	v_mul_f32_e32 v2, 0x4f7ffffe, v2
	v_cvt_u32_f32_e32 v2, v2
	s_barrier
	v_readfirstlane_b32 s33, v2
	s_mul_i32 s0, s0, s33
	s_mul_hi_u32 s0, s33, s0
	s_add_i32 s33, s33, s0
	s_cmp_lt_i32 s2, 0
	s_mul_hi_u32 s7, s3, s33
	s_cbranch_scc0 .LBB162_6
; %bb.5:
	s_mul_i32 s0, s20, s36
	s_add_i32 s0, s47, s0
	s_mul_i32 s0, s0, s2
	s_sub_i32 s36, 1, s0
	s_mov_b64 s[0:1], 0
	s_branch .LBB162_7
.LBB162_6:
	s_mov_b64 s[0:1], -1
                                        ; implicit-def: $sgpr36
.LBB162_7:
	s_load_dwordx2 s[28:29], s[4:5], 0x28
	s_ashr_i32 s16, s12, 31
	s_andn2_b64 vcc, exec, s[0:1]
	s_ashr_i32 s23, s23, 31
	s_cbranch_vccnz .LBB162_9
; %bb.8:
	s_mul_i32 s0, s9, s20
	s_add_i32 s0, s0, s6
	s_mul_i32 s0, s0, s2
	s_add_i32 s36, s0, 1
.LBB162_9:
	s_load_dword s0, s[4:5], 0x38
	s_load_dwordx2 s[26:27], s[4:5], 0x0
	s_load_dwordx2 s[34:35], s[4:5], 0x18
	s_load_dword s20, s[4:5], 0x88
	s_load_dwordx4 s[12:15], s[4:5], 0x58
	s_mul_i32 s1, s7, s25
	s_waitcnt lgkmcnt(0)
	s_mul_i32 s30, s0, s10
	s_sub_i32 s1, s3, s1
	s_ashr_i32 s31, s30, 31
	s_xor_b32 s0, s16, s23
	s_add_i32 s2, s7, 1
	s_sub_i32 s3, s1, s25
	s_cmp_ge_u32 s1, s25
	s_cselect_b32 s2, s2, s7
	s_cselect_b32 s1, s3, s1
	s_add_i32 s3, s2, 1
	s_cmp_ge_u32 s1, s25
	s_cselect_b32 s1, s3, s2
	s_xor_b32 s1, s1, s0
	s_sub_i32 s16, s1, s0
	s_add_i32 s0, s11, 7
	s_ashr_i32 s1, s0, 31
	s_lshr_b32 s1, s1, 29
	s_add_i32 s0, s0, s1
	s_ashr_i32 s46, s0, 3
	v_lshrrev_b32_e32 v20, 6, v0
	v_cmp_gt_i32_e64 s[0:1], s46, v20
	v_mov_b32_e32 v17, 0xff7fffff
	s_mul_i32 s47, s47, s18
	v_lshrrev_b32_e32 v13, 4, v0
	v_lshlrev_b32_e32 v21, 3, v20
	v_mbcnt_lo_u32_b32 v14, -1, 0
	s_and_saveexec_b64 s[18:19], s[0:1]
	s_cbranch_execz .LBB162_45
; %bb.10:
	s_load_dwordx2 s[2:3], s[4:5], 0x10
	s_sub_i32 s49, s16, s21
	s_ashr_i32 s4, s47, 31
	v_bfe_u32 v15, v0, 3, 3
	v_lshlrev_b32_e32 v3, 4, v15
	s_waitcnt lgkmcnt(0)
	s_add_u32 s5, s2, s47
	s_addc_u32 s4, s3, s4
	s_abs_i32 s50, s22
	v_cvt_f32_u32_e32 v2, s50
	v_mov_b32_e32 v4, s4
	s_sub_i32 s4, 0, s50
	v_cmp_eq_u32_e32 vcc, 0, v1
	v_rcp_iflag_f32_e32 v2, v2
	v_lshlrev_b32_e32 v16, 4, v1
	s_mov_b32 s51, s17
	v_cmp_neq_f32_e64 s[2:3], s48, 0
	v_mul_f32_e32 v2, 0x4f7ffffe, v2
	v_cvt_u32_f32_e32 v2, v2
	v_lshlrev_b32_e32 v22, 3, v20
	v_mov_b32_e32 v25, 0xff7fffff
	s_mov_b64 s[38:39], 0
	v_mul_lo_u32 v5, s4, v2
	v_add_co_u32_e64 v3, s[4:5], s5, v3
	v_addc_co_u32_e64 v4, s[4:5], 0, v4, s[4:5]
	v_mul_hi_u32 v7, v2, v5
	v_add_co_u32_e64 v5, s[4:5], v3, v1
	v_addc_co_u32_e64 v6, s[4:5], 0, v4, s[4:5]
	s_lshl_b64 s[4:5], s[30:31], 2
	s_add_u32 s4, s28, s4
	v_and_b32_e32 v1, 60, v13
	s_addc_u32 s5, s29, s5
	v_add_u32_e32 v18, v2, v7
	v_mov_b32_e32 v2, s5
	v_add_co_u32_e64 v7, s[4:5], s4, v1
	v_subrev_u32_e32 v1, s11, v15
	v_add_u32_e32 v23, 1, v1
	v_lshlrev_b32_e32 v1, 2, v15
	v_lshl_or_b32 v1, v20, 5, v1
	v_addc_co_u32_e64 v8, s[4:5], 0, v2, s[4:5]
	v_add_u32_e32 v24, 0x90, v1
	s_movk_i32 s52, 0x80
	s_movk_i32 s53, 0x7f
	v_bfrev_b32_e32 v26, 60
	v_mbcnt_hi_u32_b32 v27, -1, v14
	v_mov_b32_e32 v17, 0xff7fffff
	v_mov_b32_e32 v28, v20
	s_branch .LBB162_13
.LBB162_11:                             ;   in Loop: Header=BB162_13 Depth=1
	s_or_b64 exec, exec, s[40:41]
.LBB162_12:                             ;   in Loop: Header=BB162_13 Depth=1
	s_or_b64 exec, exec, s[6:7]
	v_add_co_u32_e64 v7, s[4:5], 8, v7
	v_add_u32_e32 v28, 2, v28
	v_addc_co_u32_e64 v8, s[4:5], 0, v8, s[4:5]
	v_cmp_le_i32_e64 s[4:5], s46, v28
	v_add_u32_e32 v22, 16, v22
	s_or_b64 s[38:39], s[4:5], s[38:39]
	v_add_u32_e32 v24, 64, v24
	s_andn2_b64 exec, exec, s[38:39]
	s_cbranch_execz .LBB162_44
.LBB162_13:                             ; =>This Inner Loop Header: Depth=1
	v_mul_hi_u32 v1, v22, s33
	s_waitcnt lgkmcnt(0)
	v_mul_lo_u32 v2, v1, s25
	v_add_u32_e32 v3, 1, v1
	v_sub_u32_e32 v2, v22, v2
	v_cmp_le_u32_e64 s[4:5], s25, v2
	v_cndmask_b32_e64 v1, v1, v3, s[4:5]
	v_subrev_u32_e32 v3, s25, v2
	v_cndmask_b32_e64 v2, v2, v3, s[4:5]
	v_add_u32_e32 v3, 1, v1
	v_cmp_le_u32_e64 s[4:5], s25, v2
	v_cndmask_b32_e64 v1, v1, v3, s[4:5]
	v_xor_b32_e32 v1, s23, v1
	v_subrev_u32_e32 v1, s23, v1
	v_add_u32_e32 v2, s36, v1
	v_sub_u32_e32 v3, 0, v2
	v_max_i32_e32 v3, v2, v3
	v_mul_hi_u32 v4, v3, v18
	v_ashrrev_i32_e32 v2, 31, v2
	v_cmp_ge_i32_e64 s[6:7], s49, v1
	v_mul_lo_u32 v4, v4, s50
	v_sub_u32_e32 v3, v3, v4
	v_subrev_u32_e32 v4, s50, v3
	v_cmp_le_u32_e64 s[4:5], s50, v3
	v_cndmask_b32_e64 v3, v3, v4, s[4:5]
	v_subrev_u32_e32 v4, s50, v3
	v_cmp_le_u32_e64 s[4:5], s50, v3
	v_cndmask_b32_e64 v3, v3, v4, s[4:5]
	v_xor_b32_e32 v3, v3, v2
	v_sub_u32_e32 v2, v3, v2
	v_cmp_ne_u32_e64 s[4:5], 0, v2
	s_and_b64 s[4:5], s[4:5], s[6:7]
	s_and_saveexec_b64 s[6:7], s[4:5]
	s_xor_b64 s[4:5], exec, s[6:7]
	s_cbranch_execz .LBB162_17
; %bb.14:                               ;   in Loop: Header=BB162_13 Depth=1
	s_and_saveexec_b64 s[6:7], vcc
; %bb.15:                               ;   in Loop: Header=BB162_13 Depth=1
	ds_write_b32 v24, v25
; %bb.16:                               ;   in Loop: Header=BB162_13 Depth=1
	s_or_b64 exec, exec, s[6:7]
.LBB162_17:                             ;   in Loop: Header=BB162_13 Depth=1
	s_andn2_saveexec_b64 s[6:7], s[4:5]
	s_cbranch_execz .LBB162_12
; %bb.18:                               ;   in Loop: Header=BB162_13 Depth=1
	global_load_dword v1, v[7:8], off
	s_load_dword s54, s[12:13], 0x0
	v_mov_b32_e32 v29, 0
	v_mov_b32_e32 v30, 0
	s_waitcnt vmcnt(0)
	v_mad_i64_i32 v[9:10], s[4:5], v1, s51, v[5:6]
	ds_read_b128 v[1:4], v16
	global_load_ubyte v31, v[9:10], off
	s_waitcnt vmcnt(0)
	v_cmp_ne_u16_e64 s[4:5], 0, v31
	s_and_saveexec_b64 s[40:41], s[4:5]
	s_cbranch_execz .LBB162_24
; %bb.19:                               ;   in Loop: Header=BB162_13 Depth=1
	v_cmp_ne_u16_e64 s[4:5], s52, v31
	v_bfrev_b32_e32 v30, 1
	s_and_saveexec_b64 s[42:43], s[4:5]
	s_cbranch_execz .LBB162_23
; %bb.20:                               ;   in Loop: Header=BB162_13 Depth=1
	v_and_b32_e32 v11, 0xffff, v31
	v_and_b32_e32 v32, 0x7f, v11
	v_cmp_ne_u32_e64 s[4:5], s53, v32
	v_mov_b32_e32 v30, 0x7f800001
	s_and_saveexec_b64 s[44:45], s[4:5]
	s_cbranch_execz .LBB162_22
; %bb.21:                               ;   in Loop: Header=BB162_13 Depth=1
	v_and_b32_e32 v30, 7, v11
	v_ffbh_u32_e32 v33, v30
	v_min_u32_e32 v36, 32, v33
	v_subrev_u32_e32 v33, 28, v36
	v_lshlrev_b64 v[33:34], v33, v[11:12]
	v_lshrrev_b32_e32 v35, 3, v32
	v_sub_u32_e32 v11, 29, v36
	v_and_b32_e32 v33, 7, v33
	v_cmp_gt_u32_e64 s[4:5], 8, v32
	v_cndmask_b32_e64 v11, v35, v11, s[4:5]
	v_cndmask_b32_e64 v30, v30, v33, s[4:5]
	v_lshlrev_b32_e32 v31, 24, v31
	v_lshlrev_b32_e32 v30, 20, v30
	v_and_b32_e32 v31, 0x80000000, v31
	v_lshl_add_u32 v11, v11, 23, v26
	v_or3_b32 v30, v31, v11, v30
.LBB162_22:                             ;   in Loop: Header=BB162_13 Depth=1
	s_or_b64 exec, exec, s[44:45]
.LBB162_23:                             ;   in Loop: Header=BB162_13 Depth=1
	s_or_b64 exec, exec, s[42:43]
.LBB162_24:                             ;   in Loop: Header=BB162_13 Depth=1
	s_or_b64 exec, exec, s[40:41]
	global_load_ubyte v31, v[9:10], off offset:8
	s_waitcnt vmcnt(0)
	v_cmp_ne_u16_e64 s[4:5], 0, v31
	s_and_saveexec_b64 s[40:41], s[4:5]
	s_cbranch_execz .LBB162_30
; %bb.25:                               ;   in Loop: Header=BB162_13 Depth=1
	v_cmp_ne_u16_e64 s[4:5], s52, v31
	v_bfrev_b32_e32 v29, 1
	s_and_saveexec_b64 s[42:43], s[4:5]
	s_cbranch_execz .LBB162_29
; %bb.26:                               ;   in Loop: Header=BB162_13 Depth=1
	v_and_b32_e32 v11, 0xffff, v31
	v_and_b32_e32 v32, 0x7f, v11
	v_cmp_ne_u32_e64 s[4:5], s53, v32
	v_mov_b32_e32 v29, 0x7f800001
	s_and_saveexec_b64 s[44:45], s[4:5]
	s_cbranch_execz .LBB162_28
; %bb.27:                               ;   in Loop: Header=BB162_13 Depth=1
	v_and_b32_e32 v29, 7, v11
	v_ffbh_u32_e32 v33, v29
	v_min_u32_e32 v36, 32, v33
	v_subrev_u32_e32 v33, 28, v36
	v_lshlrev_b64 v[33:34], v33, v[11:12]
	v_lshrrev_b32_e32 v35, 3, v32
	v_sub_u32_e32 v11, 29, v36
	v_and_b32_e32 v33, 7, v33
	v_cmp_gt_u32_e64 s[4:5], 8, v32
	v_cndmask_b32_e64 v11, v35, v11, s[4:5]
	v_cndmask_b32_e64 v29, v29, v33, s[4:5]
	v_lshlrev_b32_e32 v31, 24, v31
	v_lshlrev_b32_e32 v29, 20, v29
	v_and_b32_e32 v31, 0x80000000, v31
	v_lshl_add_u32 v11, v11, 23, v26
	v_or3_b32 v29, v31, v11, v29
.LBB162_28:                             ;   in Loop: Header=BB162_13 Depth=1
	s_or_b64 exec, exec, s[44:45]
.LBB162_29:                             ;   in Loop: Header=BB162_13 Depth=1
	s_or_b64 exec, exec, s[42:43]
.LBB162_30:                             ;   in Loop: Header=BB162_13 Depth=1
	s_or_b64 exec, exec, s[40:41]
	global_load_ubyte v33, v[9:10], off offset:128
	v_mov_b32_e32 v31, 0
	v_mov_b32_e32 v32, 0
	s_waitcnt vmcnt(0)
	v_cmp_ne_u16_e64 s[4:5], 0, v33
	s_and_saveexec_b64 s[40:41], s[4:5]
	s_cbranch_execz .LBB162_36
; %bb.31:                               ;   in Loop: Header=BB162_13 Depth=1
	v_cmp_ne_u16_e64 s[4:5], s52, v33
	v_bfrev_b32_e32 v32, 1
	s_and_saveexec_b64 s[42:43], s[4:5]
	s_cbranch_execz .LBB162_35
; %bb.32:                               ;   in Loop: Header=BB162_13 Depth=1
	v_and_b32_e32 v11, 0xffff, v33
	v_and_b32_e32 v34, 0x7f, v11
	v_cmp_ne_u32_e64 s[4:5], s53, v34
	v_mov_b32_e32 v32, 0x7f800001
	s_and_saveexec_b64 s[44:45], s[4:5]
	s_cbranch_execz .LBB162_34
; %bb.33:                               ;   in Loop: Header=BB162_13 Depth=1
	v_and_b32_e32 v32, 7, v11
	v_ffbh_u32_e32 v35, v32
	v_min_u32_e32 v38, 32, v35
	v_subrev_u32_e32 v35, 28, v38
	v_lshlrev_b64 v[35:36], v35, v[11:12]
	v_lshrrev_b32_e32 v37, 3, v34
	v_sub_u32_e32 v11, 29, v38
	v_and_b32_e32 v35, 7, v35
	v_cmp_gt_u32_e64 s[4:5], 8, v34
	v_cndmask_b32_e64 v11, v37, v11, s[4:5]
	v_cndmask_b32_e64 v32, v32, v35, s[4:5]
	v_lshlrev_b32_e32 v33, 24, v33
	v_lshlrev_b32_e32 v32, 20, v32
	v_and_b32_e32 v33, 0x80000000, v33
	v_lshl_add_u32 v11, v11, 23, v26
	v_or3_b32 v32, v33, v11, v32
.LBB162_34:                             ;   in Loop: Header=BB162_13 Depth=1
	s_or_b64 exec, exec, s[44:45]
.LBB162_35:                             ;   in Loop: Header=BB162_13 Depth=1
	s_or_b64 exec, exec, s[42:43]
.LBB162_36:                             ;   in Loop: Header=BB162_13 Depth=1
	s_or_b64 exec, exec, s[40:41]
	global_load_ubyte v10, v[9:10], off offset:136
	s_waitcnt vmcnt(0)
	v_cmp_ne_u16_e64 s[4:5], 0, v10
	s_and_saveexec_b64 s[40:41], s[4:5]
	s_cbranch_execz .LBB162_42
; %bb.37:                               ;   in Loop: Header=BB162_13 Depth=1
	v_cmp_ne_u16_e64 s[4:5], s52, v10
	v_bfrev_b32_e32 v31, 1
	s_and_saveexec_b64 s[42:43], s[4:5]
	s_cbranch_execz .LBB162_41
; %bb.38:                               ;   in Loop: Header=BB162_13 Depth=1
	v_and_b32_e32 v9, 0xffff, v10
	v_and_b32_e32 v11, 0x7f, v9
	v_cmp_ne_u32_e64 s[4:5], s53, v11
	v_mov_b32_e32 v31, 0x7f800001
	s_and_saveexec_b64 s[44:45], s[4:5]
	s_cbranch_execz .LBB162_40
; %bb.39:                               ;   in Loop: Header=BB162_13 Depth=1
	v_and_b32_e32 v31, 7, v9
	v_ffbh_u32_e32 v33, v31
	v_min_u32_e32 v36, 32, v33
	v_subrev_u32_e32 v33, 28, v36
	v_lshlrev_b64 v[33:34], v33, v[9:10]
	v_lshrrev_b32_e32 v35, 3, v11
	v_sub_u32_e32 v9, 29, v36
	v_and_b32_e32 v33, 7, v33
	v_cmp_gt_u32_e64 s[4:5], 8, v11
	v_cndmask_b32_e64 v9, v35, v9, s[4:5]
	v_cndmask_b32_e64 v11, v31, v33, s[4:5]
	v_lshlrev_b32_e32 v10, 24, v10
	v_lshlrev_b32_e32 v11, 20, v11
	v_and_b32_e32 v10, 0x80000000, v10
	v_lshl_add_u32 v9, v9, 23, v26
	v_or3_b32 v31, v10, v9, v11
.LBB162_40:                             ;   in Loop: Header=BB162_13 Depth=1
	s_or_b64 exec, exec, s[44:45]
.LBB162_41:                             ;   in Loop: Header=BB162_13 Depth=1
	s_or_b64 exec, exec, s[42:43]
.LBB162_42:                             ;   in Loop: Header=BB162_13 Depth=1
	s_or_b64 exec, exec, s[40:41]
	s_waitcnt lgkmcnt(0)
	v_mul_f32_e32 v10, s54, v29
	v_and_b32_e32 v29, 64, v27
	v_mul_f32_e32 v11, s54, v30
	v_add_u32_e32 v29, 64, v29
	v_xor_b32_e32 v30, 4, v27
	v_mul_f32_e32 v2, v2, v10
	v_mul_f32_e32 v9, s54, v32
	v_cmp_lt_i32_e64 s[4:5], v30, v29
	v_fmac_f32_e32 v2, v1, v11
	v_cndmask_b32_e64 v30, v27, v30, s[4:5]
	v_mul_f32_e32 v31, s54, v31
	v_fmac_f32_e32 v2, v3, v9
	v_lshlrev_b32_e32 v30, 2, v30
	v_fmac_f32_e32 v2, v4, v31
	ds_bpermute_b32 v1, v30, v2
	v_xor_b32_e32 v3, 2, v27
	v_cmp_lt_i32_e64 s[4:5], v3, v29
	v_cndmask_b32_e64 v3, v27, v3, s[4:5]
	v_lshlrev_b32_e32 v3, 2, v3
	s_waitcnt lgkmcnt(0)
	v_add_f32_e32 v1, v2, v1
	ds_bpermute_b32 v2, v3, v1
	v_xor_b32_e32 v3, 1, v27
	v_cmp_lt_i32_e64 s[4:5], v3, v29
	v_cndmask_b32_e64 v3, v27, v3, s[4:5]
	v_lshlrev_b32_e32 v3, 2, v3
	s_waitcnt lgkmcnt(0)
	v_add_f32_e32 v1, v1, v2
	ds_bpermute_b32 v2, v3, v1
	s_and_saveexec_b64 s[40:41], vcc
	s_cbranch_execz .LBB162_11
; %bb.43:                               ;   in Loop: Header=BB162_13 Depth=1
	v_add_u32_e32 v3, v23, v22
	v_cvt_f32_i32_e32 v3, v3
	s_waitcnt lgkmcnt(0)
	v_add_f32_e32 v1, v1, v2
	v_add_u32_e32 v4, v15, v22
	v_cmp_gt_i32_e64 s[4:5], s11, v4
	v_mul_f32_e32 v2, s48, v3
	v_cndmask_b32_e64 v2, 0, v2, s[2:3]
	v_fmac_f32_e32 v2, s37, v1
	v_cndmask_b32_e64 v1, 0, v2, s[4:5]
	ds_write_b32 v24, v1
	v_max_f32_e32 v1, v17, v17
	v_max_f32_e32 v1, v1, v2
	v_cndmask_b32_e64 v17, v17, v1, s[4:5]
	s_branch .LBB162_11
.LBB162_44:
	s_or_b64 exec, exec, s[38:39]
.LBB162_45:
	s_or_b64 exec, exec, s[18:19]
	v_mbcnt_hi_u32_b32 v1, -1, v14
	v_and_b32_e32 v8, 64, v1
	s_waitcnt lgkmcnt(0)
	v_add_u32_e32 v2, 64, v8
	v_xor_b32_e32 v3, 32, v1
	v_cmp_lt_i32_e32 vcc, v3, v2
	v_cndmask_b32_e32 v3, v1, v3, vcc
	v_lshlrev_b32_e32 v4, 2, v3
	ds_bpermute_b32 v3, v4, v17
	v_xor_b32_e32 v6, 16, v1
	v_max_f32_e32 v5, v17, v17
	v_cmp_lt_i32_e32 vcc, v6, v2
	v_xor_b32_e32 v7, 8, v1
	s_waitcnt lgkmcnt(0)
	v_max_f32_e32 v3, v3, v3
	v_max_f32_e32 v3, v5, v3
	v_cndmask_b32_e32 v5, v1, v6, vcc
	v_lshlrev_b32_e32 v6, 2, v5
	ds_bpermute_b32 v5, v6, v3
	v_cmp_lt_i32_e32 vcc, v7, v2
	v_and_b32_e32 v22, 63, v0
	s_waitcnt lgkmcnt(0)
	v_max_f32_e32 v5, v5, v5
	v_max_f32_e32 v5, v3, v5
	v_cndmask_b32_e32 v3, v1, v7, vcc
	v_lshlrev_b32_e32 v7, 2, v3
	ds_bpermute_b32 v9, v7, v5
	v_cmp_eq_u32_e32 vcc, 0, v22
	v_lshlrev_b32_e32 v3, 2, v20
	s_and_saveexec_b64 s[2:3], vcc
	s_cbranch_execz .LBB162_47
; %bb.46:
	s_waitcnt lgkmcnt(0)
	v_max_f32_e32 v9, v9, v9
	v_max_f32_e32 v5, v5, v5
	;; [unrolled: 1-line block ×3, first 2 shown]
	ds_write_b32 v3, v5 offset:128
.LBB162_47:
	s_or_b64 exec, exec, s[2:3]
	v_cmp_gt_u32_e64 s[2:3], 2, v22
	s_waitcnt lgkmcnt(0)
	v_mov_b32_e32 v9, 0xff7fffff
	v_lshlrev_b32_e32 v5, 2, v22
	s_barrier
	s_and_saveexec_b64 s[4:5], s[2:3]
; %bb.48:
	ds_read_b32 v9, v5 offset:128
; %bb.49:
	s_or_b64 exec, exec, s[4:5]
	v_xor_b32_e32 v10, 1, v1
	v_cmp_lt_i32_e64 s[4:5], v10, v2
	v_cndmask_b32_e64 v10, v1, v10, s[4:5]
	v_lshlrev_b32_e32 v23, 2, v10
	s_waitcnt lgkmcnt(0)
	ds_bpermute_b32 v10, v23, v9
	v_max_f32_e32 v9, v9, v9
	v_lshlrev_b32_e32 v8, 2, v8
	s_lshl_b32 s4, s46, 3
	s_min_i32 s37, s4, s11
	s_waitcnt lgkmcnt(0)
	v_max_f32_e32 v10, v10, v10
	v_max_f32_e32 v9, v9, v10
	ds_bpermute_b32 v9, v8, v9
	v_cmp_gt_i32_e64 s[4:5], s37, v0
	v_mov_b32_e32 v8, 0
	s_and_saveexec_b64 s[12:13], s[4:5]
	s_cbranch_execz .LBB162_53
; %bb.50:
	v_mov_b32_e32 v8, 0x90
	v_lshl_add_u32 v10, v0, 2, v8
	v_mov_b32_e32 v8, 0
	s_mov_b64 s[18:19], 0
	v_mov_b32_e32 v11, v0
.LBB162_51:                             ; =>This Inner Loop Header: Depth=1
	ds_read_b32 v14, v10
	v_add_u32_e32 v11, 0x80, v11
	v_cmp_le_i32_e64 s[6:7], s37, v11
	s_or_b64 s[18:19], s[6:7], s[18:19]
	s_waitcnt lgkmcnt(0)
	v_sub_f32_e32 v14, v14, v9
	v_mul_f32_e32 v14, 0x3fb8aa3b, v14
	v_exp_f32_e32 v14, v14
	ds_write_b32 v10, v14
	v_add_f32_e32 v8, v8, v14
	v_add_u32_e32 v10, 0x200, v10
	s_andn2_b64 exec, exec, s[18:19]
	s_cbranch_execnz .LBB162_51
; %bb.52:
	s_or_b64 exec, exec, s[18:19]
.LBB162_53:
	s_or_b64 exec, exec, s[12:13]
	ds_bpermute_b32 v4, v4, v8
	s_waitcnt lgkmcnt(0)
	v_add_f32_e32 v4, v8, v4
	ds_bpermute_b32 v6, v6, v4
	s_waitcnt lgkmcnt(0)
	v_add_f32_e32 v4, v4, v6
	ds_bpermute_b32 v6, v7, v4
	v_xor_b32_e32 v7, 4, v1
	v_cmp_lt_i32_e64 s[6:7], v7, v2
	v_cndmask_b32_e64 v7, v1, v7, s[6:7]
	v_lshlrev_b32_e32 v7, 2, v7
	s_waitcnt lgkmcnt(0)
	v_add_f32_e32 v4, v4, v6
	ds_bpermute_b32 v6, v7, v4
	v_xor_b32_e32 v7, 2, v1
	v_cmp_lt_i32_e64 s[6:7], v7, v2
	v_cndmask_b32_e64 v2, v1, v7, s[6:7]
	v_lshlrev_b32_e32 v2, 2, v2
	s_waitcnt lgkmcnt(0)
	v_add_f32_e32 v4, v4, v6
	ds_bpermute_b32 v2, v2, v4
	s_waitcnt lgkmcnt(0)
	v_add_f32_e32 v2, v4, v2
	ds_bpermute_b32 v4, v23, v2
	s_waitcnt lgkmcnt(0)
	v_add_f32_e32 v2, v2, v4
	s_and_saveexec_b64 s[6:7], vcc
; %bb.54:
	ds_write_b32 v3, v2 offset:136
; %bb.55:
	s_or_b64 exec, exec, s[6:7]
	s_waitcnt lgkmcnt(0)
	s_barrier
	s_and_saveexec_b64 s[6:7], s[2:3]
; %bb.56:
	ds_read_b32 v2, v5 offset:136
; %bb.57:
	s_or_b64 exec, exec, s[6:7]
	s_waitcnt lgkmcnt(0)
	ds_bpermute_b32 v3, v23, v2
	v_lshlrev_b32_e32 v1, 2, v1
	v_and_b32_e32 v1, 0x100, v1
	s_waitcnt lgkmcnt(0)
	v_add_f32_e32 v2, v2, v3
	ds_bpermute_b32 v1, v1, v2
	s_and_saveexec_b64 s[2:3], s[4:5]
	s_cbranch_execz .LBB162_60
; %bb.58:
	s_waitcnt lgkmcnt(0)
	v_add_f32_e32 v2, 0x358637bd, v1
	v_div_scale_f32 v1, s[4:5], v2, v2, 1.0
	v_div_scale_f32 v3, vcc, 1.0, v2, 1.0
	s_mov_b64 s[4:5], 0
	v_rcp_f32_e32 v4, v1
	v_fma_f32 v5, -v1, v4, 1.0
	v_fmac_f32_e32 v4, v5, v4
	v_mul_f32_e32 v5, v3, v4
	v_fma_f32 v6, -v1, v5, v3
	v_fmac_f32_e32 v5, v6, v4
	v_fma_f32 v1, -v1, v5, v3
	v_div_fmas_f32 v3, v1, v4, v5
	v_mov_b32_e32 v1, 0x90
	v_lshl_add_u32 v1, v0, 2, v1
	v_div_fixup_f32 v2, v3, v2, 1.0
	v_mov_b32_e32 v3, v0
.LBB162_59:                             ; =>This Inner Loop Header: Depth=1
	ds_read_b32 v4, v1
	v_add_u32_e32 v3, 0x80, v3
	v_cmp_le_i32_e32 vcc, s37, v3
	s_or_b64 s[4:5], vcc, s[4:5]
	s_waitcnt lgkmcnt(0)
	v_mul_f32_e32 v4, v2, v4
	ds_write_b32 v1, v4
	v_add_u32_e32 v1, 0x200, v1
	s_andn2_b64 exec, exec, s[4:5]
	s_cbranch_execnz .LBB162_59
.LBB162_60:
	s_or_b64 exec, exec, s[2:3]
	v_mov_b32_e32 v26, 0
	s_waitcnt lgkmcnt(0)
	s_barrier
	s_and_saveexec_b64 s[2:3], s[0:1]
	s_cbranch_execz .LBB162_92
; %bb.61:
	s_sub_i32 s18, s16, s21
	s_ashr_i32 s0, s47, 31
	s_add_u32 s1, s34, s47
	s_addc_u32 s0, s35, s0
	s_abs_i32 s19, s22
	v_cvt_f32_u32_e32 v1, s19
	s_sub_i32 s4, 0, s19
	v_and_b32_e32 v2, 0xfc, v12
	s_add_i32 s34, s46, -1
	v_rcp_iflag_f32_e32 v1, v1
	v_mov_b32_e32 v6, s0
	v_add_co_u32_e32 v7, vcc, s1, v2
	v_mul_f32_e32 v1, 0x4f7ffffe, v1
	v_cvt_u32_f32_e32 v1, v1
	s_lshl_b64 s[0:1], s[30:31], 2
	s_add_u32 s0, s28, s0
	v_and_b32_e32 v4, 60, v13
	v_mul_lo_u32 v3, s4, v1
	v_addc_co_u32_e32 v8, vcc, 0, v6, vcc
	s_addc_u32 s1, s29, s1
	v_mul_hi_u32 v3, v1, v3
	v_add_co_u32_e32 v9, vcc, s0, v4
	v_mov_b32_e32 v5, 0
	v_add_u32_e32 v25, v1, v3
	v_mov_b32_e32 v1, s1
	v_addc_co_u32_e32 v10, vcc, 0, v1, vcc
	v_and_b32_e32 v1, 1, v0
	v_lshlrev_b32_e32 v1, 4, v1
	v_lshl_or_b32 v1, v20, 5, v1
	v_and_b32_e32 v24, 4, v12
	s_mov_b32 s21, s17
	s_mov_b32 s22, 0
	v_add_u32_e32 v27, 0x90, v1
	s_mov_b64 s[4:5], 0
	s_movk_i32 s28, 0x7f
	s_movk_i32 s29, 0x80
	s_mov_b32 s30, 0xffff
	s_brev_b32 s31, 1
	s_mov_b32 s35, 0xffffff
	v_bfrev_b32_e32 v28, 60
	v_mov_b32_e32 v29, 0x7f800001
	v_bfrev_b32_e32 v6, 1
	v_mov_b32_e32 v26, v5
	s_branch .LBB162_64
.LBB162_62:                             ;   in Loop: Header=BB162_64 Depth=1
	s_or_b64 exec, exec, s[0:1]
	v_mul_f32_e32 v1, v1, v14
	v_fmac_f32_e32 v1, v2, v12
	v_fmac_f32_e32 v1, v3, v13
	;; [unrolled: 1-line block ×3, first 2 shown]
	v_add_f32_e32 v26, v26, v1
.LBB162_63:                             ;   in Loop: Header=BB162_64 Depth=1
	s_or_b64 exec, exec, s[6:7]
	v_add_co_u32_e32 v9, vcc, 8, v9
	v_add_u32_e32 v20, 2, v20
	v_addc_co_u32_e32 v10, vcc, 0, v10, vcc
	v_cmp_le_i32_e32 vcc, s46, v20
	v_add_u32_e32 v21, 16, v21
	s_or_b64 s[4:5], vcc, s[4:5]
	v_add_u32_e32 v27, 64, v27
	s_andn2_b64 exec, exec, s[4:5]
	s_cbranch_execz .LBB162_91
.LBB162_64:                             ; =>This Inner Loop Header: Depth=1
	v_mul_hi_u32 v1, v21, s33
	v_mul_lo_u32 v2, v1, s25
	v_add_u32_e32 v3, 1, v1
	v_sub_u32_e32 v2, v21, v2
	v_cmp_le_u32_e32 vcc, s25, v2
	v_cndmask_b32_e32 v1, v1, v3, vcc
	v_subrev_u32_e32 v3, s25, v2
	v_cndmask_b32_e32 v2, v2, v3, vcc
	v_add_u32_e32 v3, 1, v1
	v_cmp_le_u32_e32 vcc, s25, v2
	v_cndmask_b32_e32 v1, v1, v3, vcc
	v_xor_b32_e32 v1, s23, v1
	v_subrev_u32_e32 v1, s23, v1
	v_add_u32_e32 v2, s36, v1
	v_sub_u32_e32 v3, 0, v2
	v_max_i32_e32 v3, v2, v3
	v_mul_hi_u32 v4, v3, v25
	v_ashrrev_i32_e32 v2, 31, v2
	v_cmp_lt_i32_e64 s[0:1], s18, v1
	v_mul_lo_u32 v4, v4, s19
	v_sub_u32_e32 v3, v3, v4
	v_subrev_u32_e32 v4, s19, v3
	v_cmp_le_u32_e32 vcc, s19, v3
	v_cndmask_b32_e32 v3, v3, v4, vcc
	v_subrev_u32_e32 v4, s19, v3
	v_cmp_le_u32_e32 vcc, s19, v3
	v_cndmask_b32_e32 v3, v3, v4, vcc
	v_xor_b32_e32 v3, v3, v2
	v_sub_u32_e32 v2, v3, v2
	v_cmp_eq_u32_e32 vcc, 0, v2
	s_or_b64 s[0:1], vcc, s[0:1]
	s_and_saveexec_b64 s[6:7], s[0:1]
	s_cbranch_execz .LBB162_63
; %bb.65:                               ;   in Loop: Header=BB162_64 Depth=1
	global_load_dword v1, v[9:10], off
	s_load_dword s37, s[14:15], 0x0
	s_waitcnt vmcnt(0)
	v_mad_i64_i32 v[1:2], s[0:1], v1, s21, v[7:8]
	s_mov_b64 s[0:1], 0
	global_load_dword v11, v[1:2], off
	ds_read_b128 v[1:4], v27
	s_waitcnt vmcnt(0)
	v_cmp_gt_i16_sdwa s[12:13], v11, s28 src0_sel:BYTE_0 src1_sel:DWORD
	s_and_saveexec_b64 s[16:17], s[12:13]
	s_xor_b64 s[12:13], exec, s[16:17]
	s_cbranch_execz .LBB162_69
; %bb.66:                               ;   in Loop: Header=BB162_64 Depth=1
	v_cmp_eq_u16_sdwa s[38:39], v11, s29 src0_sel:BYTE_0 src1_sel:DWORD
	s_mov_b64 s[0:1], -1
	s_and_saveexec_b64 s[16:17], s[38:39]
; %bb.67:                               ;   in Loop: Header=BB162_64 Depth=1
	s_xor_b64 s[0:1], exec, -1
; %bb.68:                               ;   in Loop: Header=BB162_64 Depth=1
	s_or_b64 exec, exec, s[16:17]
	s_and_b64 s[0:1], s[0:1], exec
.LBB162_69:                             ;   in Loop: Header=BB162_64 Depth=1
	s_or_saveexec_b64 s[12:13], s[12:13]
	v_bfrev_b32_e32 v12, 1
	v_mov_b32_e32 v13, 0
	s_xor_b64 exec, exec, s[12:13]
; %bb.70:                               ;   in Loop: Header=BB162_64 Depth=1
	v_cmp_ne_u16_sdwa s[16:17], v11, v5 src0_sel:BYTE_0 src1_sel:DWORD
	s_andn2_b64 s[0:1], s[0:1], exec
	s_and_b64 s[16:17], s[16:17], exec
	v_and_b32_sdwa v12, s30, v11 dst_sel:DWORD dst_unused:UNUSED_PAD src0_sel:DWORD src1_sel:BYTE_0
	v_mov_b32_e32 v13, s22
	s_or_b64 s[0:1], s[0:1], s[16:17]
; %bb.71:                               ;   in Loop: Header=BB162_64 Depth=1
	s_or_b64 exec, exec, s[12:13]
	s_and_saveexec_b64 s[12:13], s[0:1]
	s_cbranch_execz .LBB162_73
; %bb.72:                               ;   in Loop: Header=BB162_64 Depth=1
	v_and_b32_e32 v16, 7, v11
	v_ffbh_u32_e32 v12, v16
	v_and_b32_e32 v15, 0x7f, v11
	v_min_u32_e32 v12, 32, v12
	v_sub_u32_e32 v13, 29, v12
	v_bfe_u32 v17, v11, 3, 4
	v_cmp_gt_u32_e32 vcc, 8, v15
	v_subrev_u32_e32 v12, 28, v12
	v_cndmask_b32_e32 v17, v17, v13, vcc
	v_lshlrev_b64 v[12:13], v12, v[11:12]
	v_and_b32_sdwa v14, sext(v11), s31 dst_sel:DWORD dst_unused:UNUSED_PAD src0_sel:BYTE_0 src1_sel:DWORD
	v_and_b32_e32 v12, 7, v12
	v_cndmask_b32_e32 v12, v16, v12, vcc
	v_lshl_add_u32 v13, v17, 23, v28
	v_lshlrev_b32_e32 v12, 20, v12
	v_or3_b32 v12, v14, v13, v12
	v_cmp_ne_u32_e32 vcc, s28, v15
	v_cndmask_b32_e32 v12, v29, v12, vcc
	v_mov_b32_e32 v13, v5
.LBB162_73:                             ;   in Loop: Header=BB162_64 Depth=1
	s_or_b64 exec, exec, s[12:13]
	v_lshrrev_b16_e32 v16, 8, v11
	v_cmp_lt_i16_e32 vcc, s28, v16
	s_mov_b64 s[0:1], 0
	s_and_saveexec_b64 s[12:13], vcc
	s_xor_b64 s[12:13], exec, s[12:13]
	s_cbranch_execz .LBB162_77
; %bb.74:                               ;   in Loop: Header=BB162_64 Depth=1
	v_cmp_eq_u16_e32 vcc, s29, v16
	s_mov_b64 s[0:1], -1
	s_and_saveexec_b64 s[16:17], vcc
; %bb.75:                               ;   in Loop: Header=BB162_64 Depth=1
	s_xor_b64 s[0:1], exec, -1
; %bb.76:                               ;   in Loop: Header=BB162_64 Depth=1
	s_or_b64 exec, exec, s[16:17]
	s_and_b64 s[0:1], s[0:1], exec
.LBB162_77:                             ;   in Loop: Header=BB162_64 Depth=1
	s_or_saveexec_b64 s[12:13], s[12:13]
	v_mov_b32_e32 v15, v6
	v_mov_b32_e32 v14, v5
	s_xor_b64 exec, exec, s[12:13]
; %bb.78:                               ;   in Loop: Header=BB162_64 Depth=1
	v_cmp_ne_u16_e32 vcc, 0, v16
	v_mov_b32_e32 v17, s22
	s_andn2_b64 s[0:1], s[0:1], exec
	s_and_b64 s[16:17], vcc, exec
	v_mov_b32_e32 v14, v16
	s_or_b64 s[0:1], s[0:1], s[16:17]
	v_mov_b32_e32 v15, v17
; %bb.79:                               ;   in Loop: Header=BB162_64 Depth=1
	s_or_b64 exec, exec, s[12:13]
	s_and_saveexec_b64 s[12:13], s[0:1]
	s_cbranch_execz .LBB162_81
; %bb.80:                               ;   in Loop: Header=BB162_64 Depth=1
	v_and_b32_e32 v18, 7, v16
	v_ffbh_u32_e32 v14, v18
	v_min_u32_e32 v32, 32, v14
	v_mov_b32_e32 v17, v5
	v_subrev_u32_e32 v14, 28, v32
	v_and_b32_e32 v30, 0x7f, v16
	v_lshlrev_b64 v[14:15], v14, v[16:17]
	v_bfe_u32 v31, v16, 3, 4
	v_sub_u32_e32 v15, 29, v32
	v_cmp_gt_u32_e32 vcc, 8, v30
	v_and_b32_e32 v14, 7, v14
	v_cndmask_b32_e32 v15, v31, v15, vcc
	v_cndmask_b32_e32 v14, v18, v14, vcc
	v_lshlrev_b32_e32 v16, 24, v16
	v_lshl_add_u32 v15, v15, 23, v28
	v_and_or_b32 v15, v16, s31, v15
	v_lshlrev_b32_e32 v14, 20, v14
	v_or_b32_e32 v14, v15, v14
	v_cmp_ne_u32_e32 vcc, s28, v30
	v_cndmask_b32_e32 v15, v29, v14, vcc
	v_mov_b32_e32 v14, v5
.LBB162_81:                             ;   in Loop: Header=BB162_64 Depth=1
	s_or_b64 exec, exec, s[12:13]
	v_lshrrev_b32_e32 v16, 16, v11
	v_cmp_gt_i16_sdwa s[12:13], v16, s28 src0_sel:BYTE_0 src1_sel:DWORD
	s_mov_b64 s[0:1], 0
	s_and_saveexec_b64 s[16:17], s[12:13]
	s_xor_b64 s[12:13], exec, s[16:17]
	s_cbranch_execz .LBB162_85
; %bb.82:                               ;   in Loop: Header=BB162_64 Depth=1
	v_cmp_eq_u16_sdwa s[38:39], v16, s29 src0_sel:BYTE_0 src1_sel:DWORD
	s_mov_b64 s[0:1], -1
	s_and_saveexec_b64 s[16:17], s[38:39]
; %bb.83:                               ;   in Loop: Header=BB162_64 Depth=1
	s_xor_b64 s[0:1], exec, -1
; %bb.84:                               ;   in Loop: Header=BB162_64 Depth=1
	s_or_b64 exec, exec, s[16:17]
	s_and_b64 s[0:1], s[0:1], exec
.LBB162_85:                             ;   in Loop: Header=BB162_64 Depth=1
	s_or_saveexec_b64 s[12:13], s[12:13]
	v_bfrev_b32_e32 v17, 1
	v_mov_b32_e32 v18, 0
	s_xor_b64 exec, exec, s[12:13]
; %bb.86:                               ;   in Loop: Header=BB162_64 Depth=1
	v_cmp_ne_u16_sdwa s[16:17], v16, v5 src0_sel:BYTE_0 src1_sel:DWORD
	s_andn2_b64 s[0:1], s[0:1], exec
	s_and_b64 s[16:17], s[16:17], exec
	v_and_b32_sdwa v17, s30, v16 dst_sel:DWORD dst_unused:UNUSED_PAD src0_sel:DWORD src1_sel:BYTE_0
	v_mov_b32_e32 v18, s22
	s_or_b64 s[0:1], s[0:1], s[16:17]
; %bb.87:                               ;   in Loop: Header=BB162_64 Depth=1
	s_or_b64 exec, exec, s[12:13]
	s_and_saveexec_b64 s[12:13], s[0:1]
	s_cbranch_execz .LBB162_89
; %bb.88:                               ;   in Loop: Header=BB162_64 Depth=1
	v_and_b32_e32 v30, 7, v16
	v_ffbh_u32_e32 v17, v30
	v_min_u32_e32 v33, 32, v17
	v_subrev_u32_e32 v17, 28, v33
	v_lshlrev_b64 v[17:18], v17, v[16:17]
	v_and_b32_e32 v31, 0x7f, v16
	v_bfe_u32 v32, v16, 3, 4
	v_sub_u32_e32 v18, 29, v33
	v_and_b32_e32 v17, 7, v17
	v_cmp_gt_u32_e32 vcc, 8, v31
	v_cndmask_b32_e32 v18, v32, v18, vcc
	v_cndmask_b32_e32 v17, v30, v17, vcc
	v_lshlrev_b32_e32 v17, 20, v17
	v_and_b32_sdwa v16, sext(v16), s31 dst_sel:DWORD dst_unused:UNUSED_PAD src0_sel:BYTE_0 src1_sel:DWORD
	v_lshl_add_u32 v18, v18, 23, v28
	v_or3_b32 v16, v16, v18, v17
	v_cmp_ne_u32_e32 vcc, s28, v31
	v_cndmask_b32_e32 v17, v29, v16, vcc
	v_mov_b32_e32 v18, v5
.LBB162_89:                             ;   in Loop: Header=BB162_64 Depth=1
	s_or_b64 exec, exec, s[12:13]
	v_bfe_u32 v32, v11, 24, 3
	v_ffbh_u32_e32 v30, v32
	v_min_u32_e32 v35, 32, v30
	v_lshrrev_b32_e32 v16, 24, v11
	v_subrev_u32_e32 v30, 28, v35
	v_bfe_u32 v33, v11, 24, 7
	v_lshlrev_b64 v[30:31], v30, v[16:17]
	v_bfe_u32 v34, v16, 3, 4
	v_sub_u32_e32 v31, 29, v35
	v_cmp_gt_u32_e32 vcc, 8, v33
	v_and_b32_e32 v30, 7, v30
	v_cndmask_b32_e32 v31, v34, v31, vcc
	v_cndmask_b32_e32 v30, v32, v30, vcc
	v_lshl_add_u32 v31, v31, 23, v28
	v_and_or_b32 v31, v11, s31, v31
	v_lshlrev_b32_e32 v30, 20, v30
	v_or_b32_e32 v30, v31, v30
	v_cmp_ne_u32_e64 s[0:1], s28, v33
	v_cndmask_b32_e64 v30, v29, v30, s[0:1]
	v_cmp_ne_u32_e64 s[0:1], s29, v16
	v_cndmask_b32_e64 v16, v6, v30, s[0:1]
	v_cmp_lt_u32_e64 s[0:1], s35, v11
	v_cndmask_b32_e64 v11, 0, v16, s[0:1]
	v_or_b32_e32 v13, v15, v13
	v_or_b32_e32 v14, v14, v12
	;; [unrolled: 1-line block ×3, first 2 shown]
	v_cmp_eq_u32_e32 vcc, s34, v20
	s_waitcnt lgkmcnt(0)
	v_mul_f32_e32 v12, s37, v13
	v_mul_f32_e32 v14, s37, v14
	;; [unrolled: 1-line block ×4, first 2 shown]
	s_and_saveexec_b64 s[0:1], vcc
	s_cbranch_execz .LBB162_62
; %bb.90:                               ;   in Loop: Header=BB162_64 Depth=1
	v_add_u32_e32 v15, v24, v21
	v_cmp_gt_i32_e32 vcc, s11, v15
	v_add_u32_e32 v16, 1, v15
	v_cndmask_b32_e32 v14, 0, v14, vcc
	v_cmp_gt_i32_e32 vcc, s11, v16
	v_add_u32_e32 v16, 2, v15
	v_cndmask_b32_e32 v12, 0, v12, vcc
	;; [unrolled: 3-line block ×3, first 2 shown]
	v_cmp_gt_i32_e32 vcc, s11, v15
	v_cndmask_b32_e32 v11, 0, v11, vcc
	s_branch .LBB162_62
.LBB162_91:
	s_or_b64 exec, exec, s[4:5]
.LBB162_92:
	s_or_b64 exec, exec, s[2:3]
	ds_bpermute_b32 v2, v23, v26
	v_and_b32_e32 v1, 0x3c1, v0
	v_cmp_eq_u32_e32 vcc, 64, v1
	s_waitcnt lgkmcnt(0)
	s_barrier
	v_add_f32_e32 v0, v26, v2
	s_and_saveexec_b64 s[0:1], vcc
; %bb.93:
	v_mov_b32_e32 v2, 0x90
	v_lshl_add_u32 v2, v22, 1, v2
	ds_write_b32 v2, v0
; %bb.94:
	s_or_b64 exec, exec, s[0:1]
	v_cmp_eq_u32_e32 vcc, 0, v1
	s_waitcnt lgkmcnt(0)
	s_barrier
	s_and_saveexec_b64 s[0:1], vcc
	s_cbranch_execz .LBB162_96
; %bb.95:
	v_mov_b32_e32 v1, 0x90
	v_lshl_add_u32 v1, v19, 2, v1
	ds_read_b32 v1, v1
	s_waitcnt lgkmcnt(0)
	v_add_f32_e32 v0, v0, v1
.LBB162_96:
	s_or_b64 exec, exec, s[0:1]
	s_barrier
	s_and_saveexec_b64 s[0:1], vcc
	s_cbranch_execz .LBB162_98
; %bb.97:
	s_mul_i32 s0, s10, s20
	s_mul_i32 s0, s0, s9
	s_lshl_b32 s0, s0, 5
	s_ashr_i32 s1, s0, 31
	s_lshl_b64 s[0:1], s[0:1], 2
	s_add_u32 s2, s26, s0
	s_mul_i32 s0, s20, s24
	s_addc_u32 s3, s27, s1
	s_ashr_i32 s1, s0, 31
	s_lshl_b64 s[0:1], s[0:1], 2
	s_add_u32 s2, s2, s0
	s_addc_u32 s3, s3, s1
	s_lshl_b32 s0, s8, 5
	s_ashr_i32 s1, s0, 31
	s_lshl_b64 s[0:1], s[0:1], 2
	s_add_u32 s0, s2, s0
	s_addc_u32 s1, s3, s1
	v_lshlrev_b32_e32 v1, 2, v19
	global_store_dword v1, v0, s[0:1]
.LBB162_98:
	s_endpgm
	.section	.rodata,"a",@progbits
	.p2align	6, 0x0
	.amdhsa_kernel _ZN4vllm25paged_attention_v1_kernelIfhLi32ELi8ELi128ELNS_18Fp8KVCacheDataTypeE1ELb1EEEvPT_PKS2_PKT0_S8_ifPKiSA_iPKfiiiSC_SC_iiiii
		.amdhsa_group_segment_fixed_size 144
		.amdhsa_private_segment_fixed_size 0
		.amdhsa_kernarg_size 384
		.amdhsa_user_sgpr_count 6
		.amdhsa_user_sgpr_private_segment_buffer 1
		.amdhsa_user_sgpr_dispatch_ptr 0
		.amdhsa_user_sgpr_queue_ptr 0
		.amdhsa_user_sgpr_kernarg_segment_ptr 1
		.amdhsa_user_sgpr_dispatch_id 0
		.amdhsa_user_sgpr_flat_scratch_init 0
		.amdhsa_user_sgpr_private_segment_size 0
		.amdhsa_uses_dynamic_stack 0
		.amdhsa_system_sgpr_private_segment_wavefront_offset 0
		.amdhsa_system_sgpr_workgroup_id_x 1
		.amdhsa_system_sgpr_workgroup_id_y 1
		.amdhsa_system_sgpr_workgroup_id_z 1
		.amdhsa_system_sgpr_workgroup_info 0
		.amdhsa_system_vgpr_workitem_id 0
		.amdhsa_next_free_vgpr 39
		.amdhsa_next_free_sgpr 55
		.amdhsa_reserve_vcc 1
		.amdhsa_reserve_flat_scratch 0
		.amdhsa_float_round_mode_32 0
		.amdhsa_float_round_mode_16_64 0
		.amdhsa_float_denorm_mode_32 3
		.amdhsa_float_denorm_mode_16_64 3
		.amdhsa_dx10_clamp 1
		.amdhsa_ieee_mode 1
		.amdhsa_fp16_overflow 0
		.amdhsa_exception_fp_ieee_invalid_op 0
		.amdhsa_exception_fp_denorm_src 0
		.amdhsa_exception_fp_ieee_div_zero 0
		.amdhsa_exception_fp_ieee_overflow 0
		.amdhsa_exception_fp_ieee_underflow 0
		.amdhsa_exception_fp_ieee_inexact 0
		.amdhsa_exception_int_div_zero 0
	.end_amdhsa_kernel
	.section	.text._ZN4vllm25paged_attention_v1_kernelIfhLi32ELi8ELi128ELNS_18Fp8KVCacheDataTypeE1ELb1EEEvPT_PKS2_PKT0_S8_ifPKiSA_iPKfiiiSC_SC_iiiii,"axG",@progbits,_ZN4vllm25paged_attention_v1_kernelIfhLi32ELi8ELi128ELNS_18Fp8KVCacheDataTypeE1ELb1EEEvPT_PKS2_PKT0_S8_ifPKiSA_iPKfiiiSC_SC_iiiii,comdat
.Lfunc_end162:
	.size	_ZN4vllm25paged_attention_v1_kernelIfhLi32ELi8ELi128ELNS_18Fp8KVCacheDataTypeE1ELb1EEEvPT_PKS2_PKT0_S8_ifPKiSA_iPKfiiiSC_SC_iiiii, .Lfunc_end162-_ZN4vllm25paged_attention_v1_kernelIfhLi32ELi8ELi128ELNS_18Fp8KVCacheDataTypeE1ELb1EEEvPT_PKS2_PKT0_S8_ifPKiSA_iPKfiiiSC_SC_iiiii
                                        ; -- End function
	.set _ZN4vllm25paged_attention_v1_kernelIfhLi32ELi8ELi128ELNS_18Fp8KVCacheDataTypeE1ELb1EEEvPT_PKS2_PKT0_S8_ifPKiSA_iPKfiiiSC_SC_iiiii.num_vgpr, 39
	.set _ZN4vllm25paged_attention_v1_kernelIfhLi32ELi8ELi128ELNS_18Fp8KVCacheDataTypeE1ELb1EEEvPT_PKS2_PKT0_S8_ifPKiSA_iPKfiiiSC_SC_iiiii.num_agpr, 0
	.set _ZN4vllm25paged_attention_v1_kernelIfhLi32ELi8ELi128ELNS_18Fp8KVCacheDataTypeE1ELb1EEEvPT_PKS2_PKT0_S8_ifPKiSA_iPKfiiiSC_SC_iiiii.numbered_sgpr, 55
	.set _ZN4vllm25paged_attention_v1_kernelIfhLi32ELi8ELi128ELNS_18Fp8KVCacheDataTypeE1ELb1EEEvPT_PKS2_PKT0_S8_ifPKiSA_iPKfiiiSC_SC_iiiii.num_named_barrier, 0
	.set _ZN4vllm25paged_attention_v1_kernelIfhLi32ELi8ELi128ELNS_18Fp8KVCacheDataTypeE1ELb1EEEvPT_PKS2_PKT0_S8_ifPKiSA_iPKfiiiSC_SC_iiiii.private_seg_size, 0
	.set _ZN4vllm25paged_attention_v1_kernelIfhLi32ELi8ELi128ELNS_18Fp8KVCacheDataTypeE1ELb1EEEvPT_PKS2_PKT0_S8_ifPKiSA_iPKfiiiSC_SC_iiiii.uses_vcc, 1
	.set _ZN4vllm25paged_attention_v1_kernelIfhLi32ELi8ELi128ELNS_18Fp8KVCacheDataTypeE1ELb1EEEvPT_PKS2_PKT0_S8_ifPKiSA_iPKfiiiSC_SC_iiiii.uses_flat_scratch, 0
	.set _ZN4vllm25paged_attention_v1_kernelIfhLi32ELi8ELi128ELNS_18Fp8KVCacheDataTypeE1ELb1EEEvPT_PKS2_PKT0_S8_ifPKiSA_iPKfiiiSC_SC_iiiii.has_dyn_sized_stack, 0
	.set _ZN4vllm25paged_attention_v1_kernelIfhLi32ELi8ELi128ELNS_18Fp8KVCacheDataTypeE1ELb1EEEvPT_PKS2_PKT0_S8_ifPKiSA_iPKfiiiSC_SC_iiiii.has_recursion, 0
	.set _ZN4vllm25paged_attention_v1_kernelIfhLi32ELi8ELi128ELNS_18Fp8KVCacheDataTypeE1ELb1EEEvPT_PKS2_PKT0_S8_ifPKiSA_iPKfiiiSC_SC_iiiii.has_indirect_call, 0
	.section	.AMDGPU.csdata,"",@progbits
; Kernel info:
; codeLenInByte = 4808
; TotalNumSgprs: 59
; NumVgprs: 39
; ScratchSize: 0
; MemoryBound: 0
; FloatMode: 240
; IeeeMode: 1
; LDSByteSize: 144 bytes/workgroup (compile time only)
; SGPRBlocks: 7
; VGPRBlocks: 9
; NumSGPRsForWavesPerEU: 59
; NumVGPRsForWavesPerEU: 39
; Occupancy: 6
; WaveLimiterHint : 1
; COMPUTE_PGM_RSRC2:SCRATCH_EN: 0
; COMPUTE_PGM_RSRC2:USER_SGPR: 6
; COMPUTE_PGM_RSRC2:TRAP_HANDLER: 0
; COMPUTE_PGM_RSRC2:TGID_X_EN: 1
; COMPUTE_PGM_RSRC2:TGID_Y_EN: 1
; COMPUTE_PGM_RSRC2:TGID_Z_EN: 1
; COMPUTE_PGM_RSRC2:TIDIG_COMP_CNT: 0
	.section	.text._ZN4vllm25paged_attention_v1_kernelIfhLi64ELi8ELi128ELNS_18Fp8KVCacheDataTypeE1ELb1EEEvPT_PKS2_PKT0_S8_ifPKiSA_iPKfiiiSC_SC_iiiii,"axG",@progbits,_ZN4vllm25paged_attention_v1_kernelIfhLi64ELi8ELi128ELNS_18Fp8KVCacheDataTypeE1ELb1EEEvPT_PKS2_PKT0_S8_ifPKiSA_iPKfiiiSC_SC_iiiii,comdat
	.protected	_ZN4vllm25paged_attention_v1_kernelIfhLi64ELi8ELi128ELNS_18Fp8KVCacheDataTypeE1ELb1EEEvPT_PKS2_PKT0_S8_ifPKiSA_iPKfiiiSC_SC_iiiii ; -- Begin function _ZN4vllm25paged_attention_v1_kernelIfhLi64ELi8ELi128ELNS_18Fp8KVCacheDataTypeE1ELb1EEEvPT_PKS2_PKT0_S8_ifPKiSA_iPKfiiiSC_SC_iiiii
	.globl	_ZN4vllm25paged_attention_v1_kernelIfhLi64ELi8ELi128ELNS_18Fp8KVCacheDataTypeE1ELb1EEEvPT_PKS2_PKT0_S8_ifPKiSA_iPKfiiiSC_SC_iiiii
	.p2align	8
	.type	_ZN4vllm25paged_attention_v1_kernelIfhLi64ELi8ELi128ELNS_18Fp8KVCacheDataTypeE1ELb1EEEvPT_PKS2_PKT0_S8_ifPKiSA_iPKfiiiSC_SC_iiiii,@function
_ZN4vllm25paged_attention_v1_kernelIfhLi64ELi8ELi128ELNS_18Fp8KVCacheDataTypeE1ELb1EEEvPT_PKS2_PKT0_S8_ifPKiSA_iPKfiiiSC_SC_iiiii: ; @_ZN4vllm25paged_attention_v1_kernelIfhLi64ELi8ELi128ELNS_18Fp8KVCacheDataTypeE1ELb1EEEvPT_PKS2_PKT0_S8_ifPKiSA_iPKfiiiSC_SC_iiiii
; %bb.0:
	s_load_dword s9, s[4:5], 0x80
	s_load_dwordx2 s[0:1], s[4:5], 0x30
	s_load_dwordx2 s[38:39], s[4:5], 0x20
	s_mov_b32 s24, s7
	s_ashr_i32 s25, s7, 31
	s_lshl_b64 s[2:3], s[24:25], 2
	s_waitcnt lgkmcnt(0)
	s_add_u32 s0, s0, s2
	s_addc_u32 s1, s1, s3
	s_abs_i32 s2, s38
	v_cvt_f32_u32_e32 v1, s2
	s_sub_i32 s10, 0, s2
	s_abs_i32 s7, s9
	s_xor_b32 s3, s9, s38
	v_rcp_iflag_f32_e32 v1, v1
	s_ashr_i32 s3, s3, 31
	s_mov_b32 s50, 0
	v_mul_f32_e32 v1, 0x4f7ffffe, v1
	v_cvt_u32_f32_e32 v1, v1
	v_readfirstlane_b32 s11, v1
	s_mul_i32 s10, s10, s11
	s_mul_hi_u32 s10, s11, s10
	s_add_i32 s11, s11, s10
	s_mul_hi_u32 s10, s7, s11
	s_mul_i32 s11, s10, s2
	s_sub_i32 s7, s7, s11
	s_add_i32 s11, s10, 1
	s_sub_i32 s12, s7, s2
	s_cmp_ge_u32 s7, s2
	s_cselect_b32 s10, s11, s10
	s_cselect_b32 s7, s12, s7
	s_add_i32 s11, s10, 1
	s_cmp_ge_u32 s7, s2
	s_cselect_b32 s2, s11, s10
	s_xor_b32 s2, s2, s3
	s_sub_i32 s14, s2, s3
	s_abs_i32 s10, s14
	v_cvt_f32_u32_e32 v1, s10
	s_load_dwordx2 s[2:3], s[4:5], 0x40
	s_sub_i32 s7, 0, s10
	s_abs_i32 s11, s6
	v_rcp_iflag_f32_e32 v1, v1
	v_mul_f32_e32 v1, 0x4f7ffffe, v1
	v_cvt_u32_f32_e32 v1, v1
	v_readfirstlane_b32 s12, v1
	s_mul_i32 s7, s7, s12
	s_mul_hi_u32 s7, s12, s7
	s_add_i32 s12, s12, s7
	s_waitcnt lgkmcnt(0)
	s_cmp_eq_u64 s[2:3], 0
	s_mul_hi_u32 s12, s11, s12
	s_cbranch_scc1 .LBB163_2
; %bb.1:
	s_ashr_i32 s7, s6, 31
	s_lshl_b64 s[16:17], s[6:7], 2
	s_add_u32 s2, s2, s16
	s_addc_u32 s3, s3, s17
	s_load_dword s50, s[2:3], 0x0
.LBB163_2:
	s_load_dword s25, s[0:1], 0x0
	s_load_dwordx4 s[16:19], s[4:5], 0x48
	s_ashr_i32 s13, s6, 31
	s_ashr_i32 s14, s14, 31
	v_and_b32_e32 v1, 7, v0
	s_lshl_b32 s26, s6, 6
	v_cmp_gt_u32_e64 s[0:1], 64, v0
	v_lshlrev_b32_e32 v16, 2, v0
	v_lshrrev_b32_e32 v24, 1, v0
	s_and_saveexec_b64 s[2:3], s[0:1]
	s_cbranch_execz .LBB163_4
; %bb.3:
	s_load_dwordx2 s[20:21], s[4:5], 0x8
	s_waitcnt lgkmcnt(0)
	s_mul_i32 s22, s16, s24
	s_ashr_i32 s23, s22, 31
	s_lshl_b64 s[22:23], s[22:23], 2
	v_and_b32_e32 v3, 0x1fc, v24
	s_add_u32 s7, s20, s22
	s_addc_u32 s15, s21, s23
	s_ashr_i32 s27, s26, 31
	s_lshl_b64 s[20:21], s[26:27], 2
	s_add_u32 s20, s7, s20
	s_addc_u32 s21, s15, s21
	global_load_dword v2, v16, s[20:21]
	v_lshl_add_u32 v3, v1, 5, v3
	s_waitcnt vmcnt(0)
	ds_write_b32 v3, v2
.LBB163_4:
	s_or_b64 exec, exec, s[2:3]
	s_mul_i32 s3, s12, s10
	s_sub_i32 s3, s11, s3
	s_xor_b32 s2, s13, s14
	s_add_i32 s11, s12, 1
	s_sub_i32 s13, s3, s10
	s_load_dwordx4 s[20:23], s[4:5], 0x68
	s_load_dword s7, s[4:5], 0x78
	s_cmp_ge_u32 s3, s10
	s_cselect_b32 s11, s11, s12
	s_cselect_b32 s3, s13, s3
	s_add_i32 s12, s11, 1
	s_cmp_ge_u32 s3, s10
	s_cselect_b32 s3, s12, s11
	s_waitcnt lgkmcnt(0)
	s_abs_i32 s27, s23
	v_cvt_f32_u32_e32 v2, s27
	s_xor_b32 s3, s3, s2
	s_sub_i32 s49, s3, s2
	s_sub_i32 s2, 0, s27
	v_rcp_iflag_f32_e32 v2, v2
	s_add_i32 s12, s25, -1
	s_abs_i32 s10, s12
	v_mul_f32_e32 v2, 0x4f7ffffe, v2
	v_cvt_u32_f32_e32 v2, v2
	s_barrier
	v_readfirstlane_b32 s33, v2
	s_mul_i32 s2, s2, s33
	s_mul_hi_u32 s2, s33, s2
	s_add_i32 s33, s33, s2
	s_cmp_lt_i32 s7, 0
	s_mul_hi_u32 s11, s10, s33
	s_cbranch_scc0 .LBB163_6
; %bb.5:
	s_mul_i32 s2, s20, s38
	s_add_i32 s2, s49, s2
	s_mul_i32 s2, s2, s7
	s_sub_i32 s38, 1, s2
	s_mov_b64 s[2:3], 0
	s_branch .LBB163_7
.LBB163_6:
	s_mov_b64 s[2:3], -1
                                        ; implicit-def: $sgpr38
.LBB163_7:
	s_load_dwordx2 s[30:31], s[4:5], 0x28
	s_ashr_i32 s16, s12, 31
	s_andn2_b64 vcc, exec, s[2:3]
	s_ashr_i32 s23, s23, 31
	s_cbranch_vccnz .LBB163_9
; %bb.8:
	s_mul_i32 s2, s9, s20
	s_add_i32 s2, s2, s6
	s_mul_i32 s2, s2, s7
	s_add_i32 s38, s2, 1
.LBB163_9:
	s_load_dword s2, s[4:5], 0x38
	s_load_dwordx2 s[28:29], s[4:5], 0x0
	s_load_dwordx2 s[36:37], s[4:5], 0x18
	s_load_dword s20, s[4:5], 0x88
	s_load_dwordx4 s[12:15], s[4:5], 0x58
	s_mul_i32 s3, s11, s27
	s_waitcnt lgkmcnt(0)
	s_mul_i32 s34, s2, s24
	s_sub_i32 s3, s10, s3
	s_ashr_i32 s35, s34, 31
	s_xor_b32 s2, s16, s23
	s_add_i32 s6, s11, 1
	s_sub_i32 s7, s3, s27
	s_cmp_ge_u32 s3, s27
	s_cselect_b32 s6, s6, s11
	s_cselect_b32 s3, s7, s3
	s_add_i32 s7, s6, 1
	s_cmp_ge_u32 s3, s27
	s_cselect_b32 s3, s7, s6
	s_xor_b32 s3, s3, s2
	s_sub_i32 s16, s3, s2
	s_add_i32 s2, s25, 7
	s_ashr_i32 s3, s2, 31
	s_lshr_b32 s3, s3, 29
	s_add_i32 s2, s2, s3
	s_ashr_i32 s48, s2, 3
	v_lshrrev_b32_e32 v25, 6, v0
	v_cmp_gt_i32_e64 s[2:3], s48, v25
	v_mov_b32_e32 v21, 0xff7fffff
	s_mul_i32 s49, s49, s18
	v_lshrrev_b32_e32 v17, 4, v0
	v_lshlrev_b32_e32 v26, 3, v25
	v_mbcnt_lo_u32_b32 v18, -1, 0
	s_and_saveexec_b64 s[18:19], s[2:3]
	s_cbranch_execz .LBB163_69
; %bb.10:
	s_load_dwordx2 s[4:5], s[4:5], 0x10
	s_sub_i32 s51, s16, s21
	s_ashr_i32 s6, s49, 31
	v_bfe_u32 v19, v0, 3, 3
	v_lshlrev_b32_e32 v3, 4, v19
	s_waitcnt lgkmcnt(0)
	s_add_u32 s7, s4, s49
	s_addc_u32 s6, s5, s6
	s_abs_i32 s52, s22
	v_cvt_f32_u32_e32 v2, s52
	v_mov_b32_e32 v4, s6
	s_sub_i32 s6, 0, s52
	v_cmp_eq_u32_e32 vcc, 0, v1
	v_rcp_iflag_f32_e32 v2, v2
	v_lshlrev_b32_e32 v20, 5, v1
	s_mov_b32 s53, s17
	v_cmp_neq_f32_e64 s[4:5], s50, 0
	v_mul_f32_e32 v2, 0x4f7ffffe, v2
	v_cvt_u32_f32_e32 v2, v2
	v_lshlrev_b32_e32 v23, 3, v25
	v_mov_b32_e32 v29, 0xff7fffff
	s_mov_b64 s[40:41], 0
	v_mul_lo_u32 v5, s6, v2
	v_add_co_u32_e64 v3, s[6:7], s7, v3
	v_addc_co_u32_e64 v4, s[6:7], 0, v4, s[6:7]
	v_add_co_u32_e64 v9, s[6:7], v3, v1
	v_mul_hi_u32 v5, v2, v5
	v_addc_co_u32_e64 v10, s[6:7], 0, v4, s[6:7]
	s_lshl_b64 s[6:7], s[34:35], 2
	s_add_u32 s6, s30, s6
	v_and_b32_e32 v1, 60, v17
	s_addc_u32 s7, s31, s7
	v_add_u32_e32 v22, v2, v5
	v_mov_b32_e32 v2, s7
	v_add_co_u32_e64 v11, s[6:7], s6, v1
	v_subrev_u32_e32 v1, s25, v19
	v_add_u32_e32 v27, 1, v1
	v_lshlrev_b32_e32 v1, 2, v19
	v_lshl_or_b32 v1, v25, 5, v1
	v_addc_co_u32_e64 v12, s[6:7], 0, v2, s[6:7]
	v_add_u32_e32 v28, 0x110, v1
	s_movk_i32 s54, 0x80
	s_movk_i32 s55, 0x7f
	v_bfrev_b32_e32 v30, 60
	v_mbcnt_hi_u32_b32 v31, -1, v18
	v_mov_b32_e32 v21, 0xff7fffff
	v_mov_b32_e32 v32, v25
	s_branch .LBB163_13
.LBB163_11:                             ;   in Loop: Header=BB163_13 Depth=1
	s_or_b64 exec, exec, s[42:43]
.LBB163_12:                             ;   in Loop: Header=BB163_13 Depth=1
	s_or_b64 exec, exec, s[10:11]
	v_add_co_u32_e64 v11, s[6:7], 8, v11
	v_add_u32_e32 v32, 2, v32
	v_addc_co_u32_e64 v12, s[6:7], 0, v12, s[6:7]
	v_cmp_le_i32_e64 s[6:7], s48, v32
	v_add_u32_e32 v23, 16, v23
	s_or_b64 s[40:41], s[6:7], s[40:41]
	v_add_u32_e32 v28, 64, v28
	s_andn2_b64 exec, exec, s[40:41]
	s_cbranch_execz .LBB163_68
.LBB163_13:                             ; =>This Inner Loop Header: Depth=1
	v_mul_hi_u32 v1, v23, s33
	s_waitcnt lgkmcnt(0)
	v_mul_lo_u32 v2, v1, s27
	v_add_u32_e32 v3, 1, v1
	v_sub_u32_e32 v2, v23, v2
	v_cmp_le_u32_e64 s[6:7], s27, v2
	v_cndmask_b32_e64 v1, v1, v3, s[6:7]
	v_subrev_u32_e32 v3, s27, v2
	v_cndmask_b32_e64 v2, v2, v3, s[6:7]
	v_add_u32_e32 v3, 1, v1
	v_cmp_le_u32_e64 s[6:7], s27, v2
	v_cndmask_b32_e64 v1, v1, v3, s[6:7]
	v_xor_b32_e32 v1, s23, v1
	v_subrev_u32_e32 v1, s23, v1
	v_add_u32_e32 v2, s38, v1
	v_sub_u32_e32 v3, 0, v2
	v_max_i32_e32 v3, v2, v3
	v_mul_hi_u32 v4, v3, v22
	v_ashrrev_i32_e32 v2, 31, v2
	v_cmp_ge_i32_e64 s[10:11], s51, v1
	v_mul_lo_u32 v4, v4, s52
	v_sub_u32_e32 v3, v3, v4
	v_subrev_u32_e32 v4, s52, v3
	v_cmp_le_u32_e64 s[6:7], s52, v3
	v_cndmask_b32_e64 v3, v3, v4, s[6:7]
	v_subrev_u32_e32 v4, s52, v3
	v_cmp_le_u32_e64 s[6:7], s52, v3
	v_cndmask_b32_e64 v3, v3, v4, s[6:7]
	v_xor_b32_e32 v3, v3, v2
	v_sub_u32_e32 v2, v3, v2
	v_cmp_ne_u32_e64 s[6:7], 0, v2
	s_and_b64 s[6:7], s[6:7], s[10:11]
	s_and_saveexec_b64 s[10:11], s[6:7]
	s_xor_b64 s[6:7], exec, s[10:11]
	s_cbranch_execz .LBB163_17
; %bb.14:                               ;   in Loop: Header=BB163_13 Depth=1
	s_and_saveexec_b64 s[10:11], vcc
; %bb.15:                               ;   in Loop: Header=BB163_13 Depth=1
	ds_write_b32 v28, v29
; %bb.16:                               ;   in Loop: Header=BB163_13 Depth=1
	s_or_b64 exec, exec, s[10:11]
.LBB163_17:                             ;   in Loop: Header=BB163_13 Depth=1
	s_andn2_saveexec_b64 s[10:11], s[6:7]
	s_cbranch_execz .LBB163_12
; %bb.18:                               ;   in Loop: Header=BB163_13 Depth=1
	global_load_dword v1, v[11:12], off
	v_mov_b32_e32 v33, 0
	v_mov_b32_e32 v34, 0
	s_waitcnt vmcnt(0)
	v_mad_i64_i32 v[13:14], s[6:7], v1, s53, v[9:10]
	global_load_ubyte v35, v[13:14], off
	ds_read_b128 v[5:8], v20
	ds_read_b128 v[1:4], v20 offset:16
	s_load_dword s56, s[12:13], 0x0
	s_waitcnt vmcnt(0)
	v_cmp_ne_u16_e64 s[6:7], 0, v35
	s_and_saveexec_b64 s[42:43], s[6:7]
	s_cbranch_execz .LBB163_24
; %bb.19:                               ;   in Loop: Header=BB163_13 Depth=1
	v_cmp_ne_u16_e64 s[6:7], s54, v35
	v_bfrev_b32_e32 v34, 1
	s_and_saveexec_b64 s[44:45], s[6:7]
	s_cbranch_execz .LBB163_23
; %bb.20:                               ;   in Loop: Header=BB163_13 Depth=1
	v_and_b32_e32 v15, 0xffff, v35
	v_and_b32_e32 v36, 0x7f, v15
	v_cmp_ne_u32_e64 s[6:7], s55, v36
	v_mov_b32_e32 v34, 0x7f800001
	s_and_saveexec_b64 s[46:47], s[6:7]
	s_cbranch_execz .LBB163_22
; %bb.21:                               ;   in Loop: Header=BB163_13 Depth=1
	v_and_b32_e32 v34, 7, v15
	v_ffbh_u32_e32 v37, v34
	v_min_u32_e32 v40, 32, v37
	v_subrev_u32_e32 v37, 28, v40
	v_lshlrev_b64 v[37:38], v37, v[15:16]
	v_lshrrev_b32_e32 v39, 3, v36
	v_sub_u32_e32 v15, 29, v40
	v_and_b32_e32 v37, 7, v37
	v_cmp_gt_u32_e64 s[6:7], 8, v36
	v_cndmask_b32_e64 v15, v39, v15, s[6:7]
	v_cndmask_b32_e64 v34, v34, v37, s[6:7]
	v_lshlrev_b32_e32 v35, 24, v35
	v_lshlrev_b32_e32 v34, 20, v34
	v_and_b32_e32 v35, 0x80000000, v35
	v_lshl_add_u32 v15, v15, 23, v30
	v_or3_b32 v34, v35, v15, v34
.LBB163_22:                             ;   in Loop: Header=BB163_13 Depth=1
	s_or_b64 exec, exec, s[46:47]
.LBB163_23:                             ;   in Loop: Header=BB163_13 Depth=1
	s_or_b64 exec, exec, s[44:45]
.LBB163_24:                             ;   in Loop: Header=BB163_13 Depth=1
	s_or_b64 exec, exec, s[42:43]
	global_load_ubyte v35, v[13:14], off offset:8
	s_waitcnt vmcnt(0)
	v_cmp_ne_u16_e64 s[6:7], 0, v35
	s_and_saveexec_b64 s[42:43], s[6:7]
	s_cbranch_execz .LBB163_30
; %bb.25:                               ;   in Loop: Header=BB163_13 Depth=1
	v_cmp_ne_u16_e64 s[6:7], s54, v35
	v_bfrev_b32_e32 v33, 1
	s_and_saveexec_b64 s[44:45], s[6:7]
	s_cbranch_execz .LBB163_29
; %bb.26:                               ;   in Loop: Header=BB163_13 Depth=1
	v_and_b32_e32 v15, 0xffff, v35
	v_and_b32_e32 v36, 0x7f, v15
	v_cmp_ne_u32_e64 s[6:7], s55, v36
	v_mov_b32_e32 v33, 0x7f800001
	s_and_saveexec_b64 s[46:47], s[6:7]
	s_cbranch_execz .LBB163_28
; %bb.27:                               ;   in Loop: Header=BB163_13 Depth=1
	v_and_b32_e32 v33, 7, v15
	v_ffbh_u32_e32 v37, v33
	v_min_u32_e32 v40, 32, v37
	v_subrev_u32_e32 v37, 28, v40
	v_lshlrev_b64 v[37:38], v37, v[15:16]
	v_lshrrev_b32_e32 v39, 3, v36
	v_sub_u32_e32 v15, 29, v40
	v_and_b32_e32 v37, 7, v37
	v_cmp_gt_u32_e64 s[6:7], 8, v36
	v_cndmask_b32_e64 v15, v39, v15, s[6:7]
	v_cndmask_b32_e64 v33, v33, v37, s[6:7]
	v_lshlrev_b32_e32 v35, 24, v35
	v_lshlrev_b32_e32 v33, 20, v33
	v_and_b32_e32 v35, 0x80000000, v35
	v_lshl_add_u32 v15, v15, 23, v30
	v_or3_b32 v33, v35, v15, v33
.LBB163_28:                             ;   in Loop: Header=BB163_13 Depth=1
	s_or_b64 exec, exec, s[46:47]
.LBB163_29:                             ;   in Loop: Header=BB163_13 Depth=1
	s_or_b64 exec, exec, s[44:45]
.LBB163_30:                             ;   in Loop: Header=BB163_13 Depth=1
	s_or_b64 exec, exec, s[42:43]
	global_load_ubyte v37, v[13:14], off offset:128
	v_mov_b32_e32 v35, 0
	v_mov_b32_e32 v36, 0
	s_waitcnt vmcnt(0)
	v_cmp_ne_u16_e64 s[6:7], 0, v37
	s_and_saveexec_b64 s[42:43], s[6:7]
	s_cbranch_execz .LBB163_36
; %bb.31:                               ;   in Loop: Header=BB163_13 Depth=1
	v_cmp_ne_u16_e64 s[6:7], s54, v37
	v_bfrev_b32_e32 v36, 1
	s_and_saveexec_b64 s[44:45], s[6:7]
	s_cbranch_execz .LBB163_35
; %bb.32:                               ;   in Loop: Header=BB163_13 Depth=1
	v_and_b32_e32 v15, 0xffff, v37
	v_and_b32_e32 v38, 0x7f, v15
	v_cmp_ne_u32_e64 s[6:7], s55, v38
	v_mov_b32_e32 v36, 0x7f800001
	s_and_saveexec_b64 s[46:47], s[6:7]
	s_cbranch_execz .LBB163_34
; %bb.33:                               ;   in Loop: Header=BB163_13 Depth=1
	v_and_b32_e32 v36, 7, v15
	v_ffbh_u32_e32 v39, v36
	v_min_u32_e32 v42, 32, v39
	v_subrev_u32_e32 v39, 28, v42
	v_lshlrev_b64 v[39:40], v39, v[15:16]
	v_lshrrev_b32_e32 v41, 3, v38
	v_sub_u32_e32 v15, 29, v42
	v_and_b32_e32 v39, 7, v39
	v_cmp_gt_u32_e64 s[6:7], 8, v38
	v_cndmask_b32_e64 v15, v41, v15, s[6:7]
	v_cndmask_b32_e64 v36, v36, v39, s[6:7]
	v_lshlrev_b32_e32 v37, 24, v37
	v_lshlrev_b32_e32 v36, 20, v36
	v_and_b32_e32 v37, 0x80000000, v37
	v_lshl_add_u32 v15, v15, 23, v30
	v_or3_b32 v36, v37, v15, v36
.LBB163_34:                             ;   in Loop: Header=BB163_13 Depth=1
	s_or_b64 exec, exec, s[46:47]
.LBB163_35:                             ;   in Loop: Header=BB163_13 Depth=1
	s_or_b64 exec, exec, s[44:45]
.LBB163_36:                             ;   in Loop: Header=BB163_13 Depth=1
	s_or_b64 exec, exec, s[42:43]
	global_load_ubyte v37, v[13:14], off offset:136
	s_waitcnt vmcnt(0)
	v_cmp_ne_u16_e64 s[6:7], 0, v37
	s_and_saveexec_b64 s[42:43], s[6:7]
	s_cbranch_execz .LBB163_42
; %bb.37:                               ;   in Loop: Header=BB163_13 Depth=1
	v_cmp_ne_u16_e64 s[6:7], s54, v37
	v_bfrev_b32_e32 v35, 1
	s_and_saveexec_b64 s[44:45], s[6:7]
	s_cbranch_execz .LBB163_41
; %bb.38:                               ;   in Loop: Header=BB163_13 Depth=1
	v_and_b32_e32 v15, 0xffff, v37
	v_and_b32_e32 v38, 0x7f, v15
	v_cmp_ne_u32_e64 s[6:7], s55, v38
	v_mov_b32_e32 v35, 0x7f800001
	s_and_saveexec_b64 s[46:47], s[6:7]
	s_cbranch_execz .LBB163_40
; %bb.39:                               ;   in Loop: Header=BB163_13 Depth=1
	v_and_b32_e32 v35, 7, v15
	v_ffbh_u32_e32 v39, v35
	v_min_u32_e32 v42, 32, v39
	v_subrev_u32_e32 v39, 28, v42
	v_lshlrev_b64 v[39:40], v39, v[15:16]
	v_lshrrev_b32_e32 v41, 3, v38
	v_sub_u32_e32 v15, 29, v42
	v_and_b32_e32 v39, 7, v39
	v_cmp_gt_u32_e64 s[6:7], 8, v38
	v_cndmask_b32_e64 v15, v41, v15, s[6:7]
	v_cndmask_b32_e64 v35, v35, v39, s[6:7]
	v_lshlrev_b32_e32 v37, 24, v37
	v_lshlrev_b32_e32 v35, 20, v35
	v_and_b32_e32 v37, 0x80000000, v37
	v_lshl_add_u32 v15, v15, 23, v30
	v_or3_b32 v35, v37, v15, v35
.LBB163_40:                             ;   in Loop: Header=BB163_13 Depth=1
	s_or_b64 exec, exec, s[46:47]
.LBB163_41:                             ;   in Loop: Header=BB163_13 Depth=1
	s_or_b64 exec, exec, s[44:45]
.LBB163_42:                             ;   in Loop: Header=BB163_13 Depth=1
	s_or_b64 exec, exec, s[42:43]
	global_load_ubyte v39, v[13:14], off offset:256
	v_mov_b32_e32 v37, 0
	v_mov_b32_e32 v38, 0
	s_waitcnt vmcnt(0)
	v_cmp_ne_u16_e64 s[6:7], 0, v39
	s_and_saveexec_b64 s[42:43], s[6:7]
	s_cbranch_execz .LBB163_48
; %bb.43:                               ;   in Loop: Header=BB163_13 Depth=1
	v_cmp_ne_u16_e64 s[6:7], s54, v39
	v_bfrev_b32_e32 v38, 1
	s_and_saveexec_b64 s[44:45], s[6:7]
	s_cbranch_execz .LBB163_47
; %bb.44:                               ;   in Loop: Header=BB163_13 Depth=1
	v_and_b32_e32 v15, 0xffff, v39
	v_and_b32_e32 v40, 0x7f, v15
	v_cmp_ne_u32_e64 s[6:7], s55, v40
	v_mov_b32_e32 v38, 0x7f800001
	s_and_saveexec_b64 s[46:47], s[6:7]
	s_cbranch_execz .LBB163_46
; %bb.45:                               ;   in Loop: Header=BB163_13 Depth=1
	v_and_b32_e32 v38, 7, v15
	v_ffbh_u32_e32 v41, v38
	v_min_u32_e32 v44, 32, v41
	v_subrev_u32_e32 v41, 28, v44
	v_lshlrev_b64 v[41:42], v41, v[15:16]
	v_lshrrev_b32_e32 v43, 3, v40
	v_sub_u32_e32 v15, 29, v44
	v_and_b32_e32 v41, 7, v41
	v_cmp_gt_u32_e64 s[6:7], 8, v40
	v_cndmask_b32_e64 v15, v43, v15, s[6:7]
	v_cndmask_b32_e64 v38, v38, v41, s[6:7]
	v_lshlrev_b32_e32 v39, 24, v39
	v_lshlrev_b32_e32 v38, 20, v38
	v_and_b32_e32 v39, 0x80000000, v39
	v_lshl_add_u32 v15, v15, 23, v30
	v_or3_b32 v38, v39, v15, v38
.LBB163_46:                             ;   in Loop: Header=BB163_13 Depth=1
	s_or_b64 exec, exec, s[46:47]
.LBB163_47:                             ;   in Loop: Header=BB163_13 Depth=1
	s_or_b64 exec, exec, s[44:45]
.LBB163_48:                             ;   in Loop: Header=BB163_13 Depth=1
	s_or_b64 exec, exec, s[42:43]
	global_load_ubyte v39, v[13:14], off offset:264
	s_waitcnt vmcnt(0)
	v_cmp_ne_u16_e64 s[6:7], 0, v39
	s_and_saveexec_b64 s[42:43], s[6:7]
	s_cbranch_execz .LBB163_54
; %bb.49:                               ;   in Loop: Header=BB163_13 Depth=1
	v_cmp_ne_u16_e64 s[6:7], s54, v39
	v_bfrev_b32_e32 v37, 1
	s_and_saveexec_b64 s[44:45], s[6:7]
	s_cbranch_execz .LBB163_53
; %bb.50:                               ;   in Loop: Header=BB163_13 Depth=1
	v_and_b32_e32 v15, 0xffff, v39
	v_and_b32_e32 v40, 0x7f, v15
	v_cmp_ne_u32_e64 s[6:7], s55, v40
	v_mov_b32_e32 v37, 0x7f800001
	s_and_saveexec_b64 s[46:47], s[6:7]
	s_cbranch_execz .LBB163_52
; %bb.51:                               ;   in Loop: Header=BB163_13 Depth=1
	v_and_b32_e32 v37, 7, v15
	v_ffbh_u32_e32 v41, v37
	v_min_u32_e32 v44, 32, v41
	v_subrev_u32_e32 v41, 28, v44
	v_lshlrev_b64 v[41:42], v41, v[15:16]
	v_lshrrev_b32_e32 v43, 3, v40
	v_sub_u32_e32 v15, 29, v44
	v_and_b32_e32 v41, 7, v41
	v_cmp_gt_u32_e64 s[6:7], 8, v40
	v_cndmask_b32_e64 v15, v43, v15, s[6:7]
	v_cndmask_b32_e64 v37, v37, v41, s[6:7]
	v_lshlrev_b32_e32 v39, 24, v39
	v_lshlrev_b32_e32 v37, 20, v37
	v_and_b32_e32 v39, 0x80000000, v39
	v_lshl_add_u32 v15, v15, 23, v30
	v_or3_b32 v37, v39, v15, v37
.LBB163_52:                             ;   in Loop: Header=BB163_13 Depth=1
	s_or_b64 exec, exec, s[46:47]
.LBB163_53:                             ;   in Loop: Header=BB163_13 Depth=1
	s_or_b64 exec, exec, s[44:45]
.LBB163_54:                             ;   in Loop: Header=BB163_13 Depth=1
	s_or_b64 exec, exec, s[42:43]
	global_load_ubyte v41, v[13:14], off offset:384
	v_mov_b32_e32 v39, 0
	v_mov_b32_e32 v40, 0
	s_waitcnt vmcnt(0)
	v_cmp_ne_u16_e64 s[6:7], 0, v41
	s_and_saveexec_b64 s[42:43], s[6:7]
	s_cbranch_execz .LBB163_60
; %bb.55:                               ;   in Loop: Header=BB163_13 Depth=1
	v_cmp_ne_u16_e64 s[6:7], s54, v41
	v_bfrev_b32_e32 v40, 1
	s_and_saveexec_b64 s[44:45], s[6:7]
	s_cbranch_execz .LBB163_59
; %bb.56:                               ;   in Loop: Header=BB163_13 Depth=1
	v_and_b32_e32 v15, 0xffff, v41
	v_and_b32_e32 v42, 0x7f, v15
	v_cmp_ne_u32_e64 s[6:7], s55, v42
	v_mov_b32_e32 v40, 0x7f800001
	s_and_saveexec_b64 s[46:47], s[6:7]
	s_cbranch_execz .LBB163_58
; %bb.57:                               ;   in Loop: Header=BB163_13 Depth=1
	v_and_b32_e32 v40, 7, v15
	v_ffbh_u32_e32 v43, v40
	v_min_u32_e32 v46, 32, v43
	v_subrev_u32_e32 v43, 28, v46
	v_lshlrev_b64 v[43:44], v43, v[15:16]
	v_lshrrev_b32_e32 v45, 3, v42
	v_sub_u32_e32 v15, 29, v46
	v_and_b32_e32 v43, 7, v43
	v_cmp_gt_u32_e64 s[6:7], 8, v42
	v_cndmask_b32_e64 v15, v45, v15, s[6:7]
	v_cndmask_b32_e64 v40, v40, v43, s[6:7]
	v_lshlrev_b32_e32 v41, 24, v41
	v_lshlrev_b32_e32 v40, 20, v40
	v_and_b32_e32 v41, 0x80000000, v41
	v_lshl_add_u32 v15, v15, 23, v30
	v_or3_b32 v40, v41, v15, v40
.LBB163_58:                             ;   in Loop: Header=BB163_13 Depth=1
	s_or_b64 exec, exec, s[46:47]
.LBB163_59:                             ;   in Loop: Header=BB163_13 Depth=1
	s_or_b64 exec, exec, s[44:45]
.LBB163_60:                             ;   in Loop: Header=BB163_13 Depth=1
	s_or_b64 exec, exec, s[42:43]
	global_load_ubyte v14, v[13:14], off offset:392
	s_waitcnt vmcnt(0)
	v_cmp_ne_u16_e64 s[6:7], 0, v14
	s_and_saveexec_b64 s[42:43], s[6:7]
	s_cbranch_execz .LBB163_66
; %bb.61:                               ;   in Loop: Header=BB163_13 Depth=1
	v_cmp_ne_u16_e64 s[6:7], s54, v14
	v_bfrev_b32_e32 v39, 1
	s_and_saveexec_b64 s[44:45], s[6:7]
	s_cbranch_execz .LBB163_65
; %bb.62:                               ;   in Loop: Header=BB163_13 Depth=1
	v_and_b32_e32 v13, 0xffff, v14
	v_and_b32_e32 v15, 0x7f, v13
	v_cmp_ne_u32_e64 s[6:7], s55, v15
	v_mov_b32_e32 v39, 0x7f800001
	s_and_saveexec_b64 s[46:47], s[6:7]
	s_cbranch_execz .LBB163_64
; %bb.63:                               ;   in Loop: Header=BB163_13 Depth=1
	v_and_b32_e32 v39, 7, v13
	v_ffbh_u32_e32 v41, v39
	v_min_u32_e32 v44, 32, v41
	v_subrev_u32_e32 v41, 28, v44
	v_lshlrev_b64 v[41:42], v41, v[13:14]
	v_lshrrev_b32_e32 v43, 3, v15
	v_sub_u32_e32 v13, 29, v44
	v_and_b32_e32 v41, 7, v41
	v_cmp_gt_u32_e64 s[6:7], 8, v15
	v_cndmask_b32_e64 v13, v43, v13, s[6:7]
	v_cndmask_b32_e64 v15, v39, v41, s[6:7]
	v_lshlrev_b32_e32 v14, 24, v14
	v_lshlrev_b32_e32 v15, 20, v15
	v_and_b32_e32 v14, 0x80000000, v14
	v_lshl_add_u32 v13, v13, 23, v30
	v_or3_b32 v39, v14, v13, v15
.LBB163_64:                             ;   in Loop: Header=BB163_13 Depth=1
	s_or_b64 exec, exec, s[46:47]
.LBB163_65:                             ;   in Loop: Header=BB163_13 Depth=1
	s_or_b64 exec, exec, s[44:45]
.LBB163_66:                             ;   in Loop: Header=BB163_13 Depth=1
	s_or_b64 exec, exec, s[42:43]
	s_waitcnt lgkmcnt(0)
	v_mul_f32_e32 v33, s56, v33
	v_mul_f32_e32 v34, s56, v34
	;; [unrolled: 1-line block ×4, first 2 shown]
	v_fmac_f32_e32 v6, v5, v34
	v_mul_f32_e32 v35, s56, v35
	v_fmac_f32_e32 v6, v7, v36
	v_mul_f32_e32 v14, s56, v37
	v_mul_f32_e32 v15, s56, v38
	v_and_b32_e32 v37, 64, v31
	v_fmac_f32_e32 v6, v8, v35
	v_add_u32_e32 v37, 64, v37
	v_xor_b32_e32 v38, 4, v31
	v_fmac_f32_e32 v6, v1, v15
	v_mul_f32_e32 v13, s56, v40
	v_cmp_lt_i32_e64 s[6:7], v38, v37
	v_fmac_f32_e32 v6, v2, v14
	v_cndmask_b32_e64 v38, v31, v38, s[6:7]
	v_mul_f32_e32 v39, s56, v39
	v_fmac_f32_e32 v6, v3, v13
	v_lshlrev_b32_e32 v38, 2, v38
	v_fmac_f32_e32 v6, v4, v39
	ds_bpermute_b32 v1, v38, v6
	v_xor_b32_e32 v2, 2, v31
	v_cmp_lt_i32_e64 s[6:7], v2, v37
	v_cndmask_b32_e64 v2, v31, v2, s[6:7]
	v_lshlrev_b32_e32 v2, 2, v2
	s_waitcnt lgkmcnt(0)
	v_add_f32_e32 v1, v6, v1
	ds_bpermute_b32 v2, v2, v1
	v_xor_b32_e32 v3, 1, v31
	v_cmp_lt_i32_e64 s[6:7], v3, v37
	v_cndmask_b32_e64 v3, v31, v3, s[6:7]
	v_lshlrev_b32_e32 v3, 2, v3
	s_waitcnt lgkmcnt(0)
	v_add_f32_e32 v1, v1, v2
	ds_bpermute_b32 v2, v3, v1
	s_and_saveexec_b64 s[42:43], vcc
	s_cbranch_execz .LBB163_11
; %bb.67:                               ;   in Loop: Header=BB163_13 Depth=1
	v_add_u32_e32 v3, v27, v23
	v_cvt_f32_i32_e32 v3, v3
	s_waitcnt lgkmcnt(0)
	v_add_f32_e32 v1, v1, v2
	v_add_u32_e32 v4, v19, v23
	v_cmp_gt_i32_e64 s[6:7], s25, v4
	v_mul_f32_e32 v2, s50, v3
	v_cndmask_b32_e64 v2, 0, v2, s[4:5]
	v_fmac_f32_e32 v2, s39, v1
	v_cndmask_b32_e64 v1, 0, v2, s[6:7]
	ds_write_b32 v28, v1
	v_max_f32_e32 v1, v21, v21
	v_max_f32_e32 v1, v1, v2
	v_cndmask_b32_e64 v21, v21, v1, s[6:7]
	s_branch .LBB163_11
.LBB163_68:
	s_or_b64 exec, exec, s[40:41]
.LBB163_69:
	s_or_b64 exec, exec, s[18:19]
	v_mbcnt_hi_u32_b32 v1, -1, v18
	v_and_b32_e32 v8, 64, v1
	s_waitcnt lgkmcnt(0)
	v_add_u32_e32 v2, 64, v8
	v_xor_b32_e32 v3, 32, v1
	v_cmp_lt_i32_e32 vcc, v3, v2
	v_cndmask_b32_e32 v3, v1, v3, vcc
	v_lshlrev_b32_e32 v4, 2, v3
	ds_bpermute_b32 v3, v4, v21
	v_xor_b32_e32 v6, 16, v1
	v_max_f32_e32 v5, v21, v21
	v_cmp_lt_i32_e32 vcc, v6, v2
	v_xor_b32_e32 v7, 8, v1
	s_waitcnt lgkmcnt(0)
	v_max_f32_e32 v3, v3, v3
	v_max_f32_e32 v3, v5, v3
	v_cndmask_b32_e32 v5, v1, v6, vcc
	v_lshlrev_b32_e32 v6, 2, v5
	ds_bpermute_b32 v5, v6, v3
	v_cmp_lt_i32_e32 vcc, v7, v2
	v_and_b32_e32 v27, 63, v0
	s_waitcnt lgkmcnt(0)
	v_max_f32_e32 v5, v5, v5
	v_max_f32_e32 v5, v3, v5
	v_cndmask_b32_e32 v3, v1, v7, vcc
	v_lshlrev_b32_e32 v7, 2, v3
	ds_bpermute_b32 v9, v7, v5
	v_cmp_eq_u32_e32 vcc, 0, v27
	v_lshlrev_b32_e32 v3, 2, v25
	s_and_saveexec_b64 s[4:5], vcc
	s_cbranch_execz .LBB163_71
; %bb.70:
	s_waitcnt lgkmcnt(0)
	v_max_f32_e32 v9, v9, v9
	v_max_f32_e32 v5, v5, v5
	;; [unrolled: 1-line block ×3, first 2 shown]
	ds_write_b32 v3, v5 offset:256
.LBB163_71:
	s_or_b64 exec, exec, s[4:5]
	v_cmp_gt_u32_e64 s[4:5], 2, v27
	s_waitcnt lgkmcnt(0)
	v_mov_b32_e32 v9, 0xff7fffff
	v_lshlrev_b32_e32 v5, 2, v27
	s_barrier
	s_and_saveexec_b64 s[6:7], s[4:5]
; %bb.72:
	ds_read_b32 v9, v5 offset:256
; %bb.73:
	s_or_b64 exec, exec, s[6:7]
	v_xor_b32_e32 v10, 1, v1
	v_cmp_lt_i32_e64 s[6:7], v10, v2
	v_cndmask_b32_e64 v10, v1, v10, s[6:7]
	v_lshlrev_b32_e32 v28, 2, v10
	s_waitcnt lgkmcnt(0)
	ds_bpermute_b32 v10, v28, v9
	v_max_f32_e32 v9, v9, v9
	v_lshlrev_b32_e32 v8, 2, v8
	s_lshl_b32 s6, s48, 3
	s_min_i32 s39, s6, s25
	s_waitcnt lgkmcnt(0)
	v_max_f32_e32 v10, v10, v10
	v_max_f32_e32 v9, v9, v10
	ds_bpermute_b32 v9, v8, v9
	v_cmp_gt_i32_e64 s[6:7], s39, v0
	v_mov_b32_e32 v8, 0
	s_and_saveexec_b64 s[12:13], s[6:7]
	s_cbranch_execz .LBB163_77
; %bb.74:
	v_mov_b32_e32 v8, 0x110
	v_lshl_add_u32 v10, v0, 2, v8
	v_mov_b32_e32 v8, 0
	s_mov_b64 s[18:19], 0
	v_mov_b32_e32 v11, v0
.LBB163_75:                             ; =>This Inner Loop Header: Depth=1
	ds_read_b32 v12, v10
	v_add_u32_e32 v11, 0x80, v11
	v_cmp_le_i32_e64 s[10:11], s39, v11
	s_or_b64 s[18:19], s[10:11], s[18:19]
	s_waitcnt lgkmcnt(0)
	v_sub_f32_e32 v12, v12, v9
	v_mul_f32_e32 v12, 0x3fb8aa3b, v12
	v_exp_f32_e32 v12, v12
	ds_write_b32 v10, v12
	v_add_f32_e32 v8, v8, v12
	v_add_u32_e32 v10, 0x200, v10
	s_andn2_b64 exec, exec, s[18:19]
	s_cbranch_execnz .LBB163_75
; %bb.76:
	s_or_b64 exec, exec, s[18:19]
.LBB163_77:
	s_or_b64 exec, exec, s[12:13]
	ds_bpermute_b32 v4, v4, v8
	s_waitcnt lgkmcnt(0)
	v_add_f32_e32 v4, v8, v4
	ds_bpermute_b32 v6, v6, v4
	s_waitcnt lgkmcnt(0)
	v_add_f32_e32 v4, v4, v6
	ds_bpermute_b32 v6, v7, v4
	v_xor_b32_e32 v7, 4, v1
	v_cmp_lt_i32_e64 s[10:11], v7, v2
	v_cndmask_b32_e64 v7, v1, v7, s[10:11]
	v_lshlrev_b32_e32 v7, 2, v7
	s_waitcnt lgkmcnt(0)
	v_add_f32_e32 v4, v4, v6
	ds_bpermute_b32 v6, v7, v4
	v_xor_b32_e32 v7, 2, v1
	v_cmp_lt_i32_e64 s[10:11], v7, v2
	v_cndmask_b32_e64 v2, v1, v7, s[10:11]
	v_lshlrev_b32_e32 v2, 2, v2
	s_waitcnt lgkmcnt(0)
	v_add_f32_e32 v4, v4, v6
	ds_bpermute_b32 v2, v2, v4
	s_waitcnt lgkmcnt(0)
	v_add_f32_e32 v2, v4, v2
	ds_bpermute_b32 v4, v28, v2
	s_waitcnt lgkmcnt(0)
	v_add_f32_e32 v2, v2, v4
	s_and_saveexec_b64 s[10:11], vcc
; %bb.78:
	ds_write_b32 v3, v2 offset:264
; %bb.79:
	s_or_b64 exec, exec, s[10:11]
	s_waitcnt lgkmcnt(0)
	s_barrier
	s_and_saveexec_b64 s[10:11], s[4:5]
; %bb.80:
	ds_read_b32 v2, v5 offset:264
; %bb.81:
	s_or_b64 exec, exec, s[10:11]
	s_waitcnt lgkmcnt(0)
	ds_bpermute_b32 v3, v28, v2
	v_lshlrev_b32_e32 v1, 2, v1
	v_and_b32_e32 v1, 0x100, v1
	s_waitcnt lgkmcnt(0)
	v_add_f32_e32 v2, v2, v3
	ds_bpermute_b32 v1, v1, v2
	s_and_saveexec_b64 s[4:5], s[6:7]
	s_cbranch_execz .LBB163_84
; %bb.82:
	s_waitcnt lgkmcnt(0)
	v_add_f32_e32 v2, 0x358637bd, v1
	v_div_scale_f32 v1, s[6:7], v2, v2, 1.0
	v_div_scale_f32 v3, vcc, 1.0, v2, 1.0
	s_mov_b64 s[6:7], 0
	v_rcp_f32_e32 v4, v1
	v_fma_f32 v5, -v1, v4, 1.0
	v_fmac_f32_e32 v4, v5, v4
	v_mul_f32_e32 v5, v3, v4
	v_fma_f32 v6, -v1, v5, v3
	v_fmac_f32_e32 v5, v6, v4
	v_fma_f32 v1, -v1, v5, v3
	v_div_fmas_f32 v3, v1, v4, v5
	v_mov_b32_e32 v1, 0x110
	v_lshl_add_u32 v1, v0, 2, v1
	v_div_fixup_f32 v2, v3, v2, 1.0
	v_mov_b32_e32 v3, v0
.LBB163_83:                             ; =>This Inner Loop Header: Depth=1
	ds_read_b32 v4, v1
	v_add_u32_e32 v3, 0x80, v3
	v_cmp_le_i32_e32 vcc, s39, v3
	s_or_b64 s[6:7], vcc, s[6:7]
	s_waitcnt lgkmcnt(0)
	v_mul_f32_e32 v4, v2, v4
	ds_write_b32 v1, v4
	v_add_u32_e32 v1, 0x200, v1
	s_andn2_b64 exec, exec, s[6:7]
	s_cbranch_execnz .LBB163_83
.LBB163_84:
	s_or_b64 exec, exec, s[4:5]
	v_mov_b32_e32 v32, 0
	v_and_b32_e32 v29, 1, v0
	v_mov_b32_e32 v33, 0
	s_waitcnt lgkmcnt(0)
	s_barrier
	s_and_saveexec_b64 s[4:5], s[2:3]
	s_cbranch_execz .LBB163_142
; %bb.85:
	s_sub_i32 s21, s16, s21
	s_ashr_i32 s2, s49, 31
	s_add_u32 s6, s36, s49
	s_addc_u32 s7, s37, s2
	s_abs_i32 s22, s22
	v_cvt_f32_u32_e32 v1, s22
	s_sub_i32 s2, 0, s22
	v_and_b32_e32 v2, 0xfc, v16
	s_add_i32 s37, s48, -1
	v_rcp_iflag_f32_e32 v1, v1
	v_mov_b32_e32 v6, s7
	v_add_co_u32_e32 v7, vcc, s6, v2
	v_mul_f32_e32 v1, 0x4f7ffffe, v1
	v_cvt_u32_f32_e32 v1, v1
	v_and_b32_e32 v3, 60, v17
	v_addc_co_u32_e32 v8, vcc, 0, v6, vcc
	v_mul_lo_u32 v4, s2, v1
	s_lshl_b64 s[2:3], s[34:35], 2
	s_add_u32 s2, s30, s2
	s_addc_u32 s3, s31, s3
	v_mul_hi_u32 v4, v1, v4
	v_add_co_u32_e32 v9, vcc, s2, v3
	v_mov_b32_e32 v5, 0
	v_add_u32_e32 v31, v1, v4
	v_mov_b32_e32 v1, s3
	v_addc_co_u32_e32 v10, vcc, 0, v1, vcc
	v_lshlrev_b32_e32 v1, 4, v29
	v_lshl_or_b32 v1, v25, 5, v1
	v_and_b32_e32 v30, 4, v16
	s_mov_b32 s36, s17
	v_add_u32_e32 v34, 0x110, v1
	s_mov_b64 s[6:7], 0
	s_movk_i32 s30, 0x80
	s_movk_i32 s31, 0x7f
	s_brev_b32 s34, 1
	s_mov_b32 s35, 0xffffff
	v_bfrev_b32_e32 v35, 60
	v_bfrev_b32_e32 v6, 1
	v_mov_b32_e32 v12, 0x7f800001
	v_mov_b32_e32 v36, 7
	;; [unrolled: 1-line block ×5, first 2 shown]
	s_branch .LBB163_88
.LBB163_86:                             ;   in Loop: Header=BB163_88 Depth=1
	s_or_b64 exec, exec, s[2:3]
	v_mul_f32_e32 v16, v1, v39
	v_mul_f32_e32 v1, v1, v15
	v_fmac_f32_e32 v16, v2, v38
	v_fmac_f32_e32 v1, v2, v11
	;; [unrolled: 1-line block ×6, first 2 shown]
	v_add_f32_e32 v32, v32, v16
	v_add_f32_e32 v33, v33, v1
.LBB163_87:                             ;   in Loop: Header=BB163_88 Depth=1
	s_or_b64 exec, exec, s[10:11]
	v_add_co_u32_e32 v9, vcc, 8, v9
	v_add_u32_e32 v25, 2, v25
	v_addc_co_u32_e32 v10, vcc, 0, v10, vcc
	v_cmp_le_i32_e32 vcc, s48, v25
	v_add_u32_e32 v26, 16, v26
	s_or_b64 s[6:7], vcc, s[6:7]
	v_add_u32_e32 v34, 64, v34
	s_andn2_b64 exec, exec, s[6:7]
	s_cbranch_execz .LBB163_141
.LBB163_88:                             ; =>This Inner Loop Header: Depth=1
	v_mul_hi_u32 v1, v26, s33
	v_mul_lo_u32 v2, v1, s27
	v_add_u32_e32 v3, 1, v1
	v_sub_u32_e32 v2, v26, v2
	v_cmp_le_u32_e32 vcc, s27, v2
	v_cndmask_b32_e32 v1, v1, v3, vcc
	v_subrev_u32_e32 v3, s27, v2
	v_cndmask_b32_e32 v2, v2, v3, vcc
	v_add_u32_e32 v3, 1, v1
	v_cmp_le_u32_e32 vcc, s27, v2
	v_cndmask_b32_e32 v1, v1, v3, vcc
	v_xor_b32_e32 v1, s23, v1
	v_subrev_u32_e32 v1, s23, v1
	v_add_u32_e32 v2, s38, v1
	v_sub_u32_e32 v3, 0, v2
	v_max_i32_e32 v3, v2, v3
	v_mul_hi_u32 v4, v3, v31
	v_ashrrev_i32_e32 v2, 31, v2
	v_cmp_lt_i32_e64 s[2:3], s21, v1
	v_mul_lo_u32 v4, v4, s22
	v_sub_u32_e32 v3, v3, v4
	v_subrev_u32_e32 v4, s22, v3
	v_cmp_le_u32_e32 vcc, s22, v3
	v_cndmask_b32_e32 v3, v3, v4, vcc
	v_subrev_u32_e32 v4, s22, v3
	v_cmp_le_u32_e32 vcc, s22, v3
	v_cndmask_b32_e32 v3, v3, v4, vcc
	v_xor_b32_e32 v3, v3, v2
	v_sub_u32_e32 v2, v3, v2
	v_cmp_eq_u32_e32 vcc, 0, v2
	s_or_b64 s[2:3], vcc, s[2:3]
	s_and_saveexec_b64 s[10:11], s[2:3]
	s_cbranch_execz .LBB163_87
; %bb.89:                               ;   in Loop: Header=BB163_88 Depth=1
	global_load_dword v1, v[9:10], off
	s_load_dword s39, s[14:15], 0x0
	v_mov_b32_e32 v18, 0
	v_mov_b32_e32 v16, 0
	;; [unrolled: 1-line block ×4, first 2 shown]
	s_waitcnt vmcnt(0)
	v_mad_i64_i32 v[13:14], s[2:3], v1, s36, v[7:8]
	ds_read_b128 v[1:4], v34
	global_load_dword v15, v[13:14], off
	s_waitcnt vmcnt(0)
	v_cmp_ne_u16_sdwa s[12:13], v15, v5 src0_sel:BYTE_0 src1_sel:DWORD
	s_and_saveexec_b64 s[2:3], s[12:13]
	s_cbranch_execz .LBB163_95
; %bb.90:                               ;   in Loop: Header=BB163_88 Depth=1
	v_bfrev_b32_e32 v16, 1
	v_mov_b32_e32 v17, 0
	v_cmp_ne_u16_sdwa s[16:17], v15, s30 src0_sel:BYTE_0 src1_sel:DWORD
	s_and_saveexec_b64 s[12:13], s[16:17]
	s_cbranch_execz .LBB163_94
; %bb.91:                               ;   in Loop: Header=BB163_88 Depth=1
	v_and_b32_e32 v11, 0x7f, v15
	v_mov_b32_e32 v16, 0x7f800001
	v_mov_b32_e32 v17, 0
	v_cmp_ne_u32_e32 vcc, s31, v11
	s_and_saveexec_b64 s[16:17], vcc
	s_cbranch_execz .LBB163_93
; %bb.92:                               ;   in Loop: Header=BB163_88 Depth=1
	v_and_b32_e32 v20, 7, v15
	v_ffbh_u32_e32 v16, v20
	v_min_u32_e32 v22, 32, v16
	v_subrev_u32_e32 v16, 28, v22
	v_lshlrev_b64 v[16:17], v16, v[15:16]
	v_lshrrev_b32_e32 v21, 3, v11
	v_sub_u32_e32 v17, 29, v22
	v_and_b32_e32 v16, 7, v16
	v_cmp_gt_u32_e32 vcc, 8, v11
	v_cndmask_b32_e32 v11, v21, v17, vcc
	v_cndmask_b32_e32 v16, v20, v16, vcc
	v_lshlrev_b32_e32 v16, 20, v16
	v_and_b32_sdwa v17, sext(v15), s34 dst_sel:DWORD dst_unused:UNUSED_PAD src0_sel:BYTE_0 src1_sel:DWORD
	v_lshl_add_u32 v11, v11, 23, v35
	v_or3_b32 v16, v17, v11, v16
	v_mov_b32_e32 v17, v5
.LBB163_93:                             ;   in Loop: Header=BB163_88 Depth=1
	s_or_b64 exec, exec, s[16:17]
.LBB163_94:                             ;   in Loop: Header=BB163_88 Depth=1
	s_or_b64 exec, exec, s[12:13]
.LBB163_95:                             ;   in Loop: Header=BB163_88 Depth=1
	s_or_b64 exec, exec, s[2:3]
	v_cmp_ne_u16_sdwa s[12:13], v15, v5 src0_sel:BYTE_1 src1_sel:DWORD
	s_and_saveexec_b64 s[2:3], s[12:13]
	s_cbranch_execz .LBB163_101
; %bb.96:                               ;   in Loop: Header=BB163_88 Depth=1
	v_mov_b32_e32 v19, v6
	v_cmp_ne_u16_sdwa s[16:17], v15, s30 src0_sel:BYTE_1 src1_sel:DWORD
	v_mov_b32_e32 v18, v5
	s_and_saveexec_b64 s[12:13], s[16:17]
	s_cbranch_execz .LBB163_100
; %bb.97:                               ;   in Loop: Header=BB163_88 Depth=1
	v_and_b32_sdwa v20, v15, s31 dst_sel:DWORD dst_unused:UNUSED_PAD src0_sel:BYTE_1 src1_sel:DWORD
	v_mov_b32_e32 v11, v5
	v_mov_b32_e32 v19, v12
	v_cmp_ne_u32_e32 vcc, s31, v20
	v_mov_b32_e32 v18, v11
	s_and_saveexec_b64 s[16:17], vcc
	s_cbranch_execz .LBB163_99
; %bb.98:                               ;   in Loop: Header=BB163_88 Depth=1
	v_and_b32_sdwa v18, v15, v36 dst_sel:DWORD dst_unused:UNUSED_PAD src0_sel:BYTE_1 src1_sel:DWORD
	v_ffbh_u32_e32 v21, v18
	v_min_u32_e32 v23, 32, v21
	v_mov_b32_e32 v19, v5
	v_subrev_u32_e32 v21, 28, v23
	v_lshlrev_b64 v[21:22], v21, v[18:19]
	v_lshrrev_b32_e32 v11, 3, v20
	v_sub_u32_e32 v19, 29, v23
	v_cmp_gt_u32_e32 vcc, 8, v20
	v_and_b32_e32 v21, 7, v21
	v_cndmask_b32_e32 v11, v11, v19, vcc
	v_cndmask_b32_e32 v18, v18, v21, vcc
	v_lshlrev_b32_e32 v19, 16, v15
	v_lshl_add_u32 v11, v11, 23, v35
	v_and_or_b32 v11, v19, s34, v11
	v_lshlrev_b32_e32 v18, 20, v18
	v_or_b32_e32 v19, v11, v18
	v_mov_b32_e32 v18, v5
.LBB163_99:                             ;   in Loop: Header=BB163_88 Depth=1
	s_or_b64 exec, exec, s[16:17]
.LBB163_100:                            ;   in Loop: Header=BB163_88 Depth=1
	s_or_b64 exec, exec, s[12:13]
.LBB163_101:                            ;   in Loop: Header=BB163_88 Depth=1
	s_or_b64 exec, exec, s[2:3]
	v_lshrrev_b32_e32 v11, 16, v15
	v_mov_b32_e32 v22, 0
	v_mov_b32_e32 v20, 0
	;; [unrolled: 1-line block ×4, first 2 shown]
	v_cmp_ne_u16_sdwa s[12:13], v11, v5 src0_sel:BYTE_0 src1_sel:DWORD
	s_and_saveexec_b64 s[2:3], s[12:13]
	s_cbranch_execz .LBB163_107
; %bb.102:                              ;   in Loop: Header=BB163_88 Depth=1
	v_bfrev_b32_e32 v20, 1
	v_mov_b32_e32 v21, 0
	v_cmp_ne_u16_sdwa s[16:17], v11, s30 src0_sel:BYTE_0 src1_sel:DWORD
	s_and_saveexec_b64 s[12:13], s[16:17]
	s_cbranch_execz .LBB163_106
; %bb.103:                              ;   in Loop: Header=BB163_88 Depth=1
	v_bfe_u32 v38, v15, 16, 7
	v_mov_b32_e32 v20, 0x7f800001
	v_mov_b32_e32 v21, 0
	v_cmp_ne_u32_e32 vcc, s31, v38
	s_and_saveexec_b64 s[16:17], vcc
	s_cbranch_execz .LBB163_105
; %bb.104:                              ;   in Loop: Header=BB163_88 Depth=1
	v_and_b32_e32 v39, 7, v11
	v_ffbh_u32_e32 v20, v39
	v_min_u32_e32 v41, 32, v20
	v_subrev_u32_e32 v20, 28, v41
	v_lshlrev_b64 v[20:21], v20, v[11:12]
	v_lshrrev_b32_e32 v40, 3, v38
	v_sub_u32_e32 v21, 29, v41
	v_and_b32_e32 v20, 7, v20
	v_cmp_gt_u32_e32 vcc, 8, v38
	v_cndmask_b32_e32 v21, v40, v21, vcc
	v_cndmask_b32_e32 v20, v39, v20, vcc
	v_lshlrev_b32_e32 v20, 20, v20
	v_and_b32_sdwa v11, sext(v11), s34 dst_sel:DWORD dst_unused:UNUSED_PAD src0_sel:BYTE_0 src1_sel:DWORD
	v_lshl_add_u32 v21, v21, 23, v35
	v_or3_b32 v20, v11, v21, v20
	v_mov_b32_e32 v21, v5
.LBB163_105:                            ;   in Loop: Header=BB163_88 Depth=1
	s_or_b64 exec, exec, s[16:17]
.LBB163_106:                            ;   in Loop: Header=BB163_88 Depth=1
	s_or_b64 exec, exec, s[12:13]
.LBB163_107:                            ;   in Loop: Header=BB163_88 Depth=1
	s_or_b64 exec, exec, s[2:3]
	v_cmp_lt_u32_e32 vcc, s35, v15
	s_and_saveexec_b64 s[2:3], vcc
	s_cbranch_execz .LBB163_113
; %bb.108:                              ;   in Loop: Header=BB163_88 Depth=1
	v_mov_b32_e32 v23, v6
	v_cmp_ne_u32_sdwa s[16:17], v15, s30 src0_sel:BYTE_3 src1_sel:DWORD
	v_mov_b32_e32 v22, v5
	s_and_saveexec_b64 s[12:13], s[16:17]
	s_cbranch_execz .LBB163_112
; %bb.109:                              ;   in Loop: Header=BB163_88 Depth=1
	v_bfe_u32 v38, v15, 24, 7
	v_mov_b32_e32 v11, v5
	v_mov_b32_e32 v23, v12
	v_cmp_ne_u32_e32 vcc, s31, v38
	v_mov_b32_e32 v22, v11
	s_and_saveexec_b64 s[16:17], vcc
	s_cbranch_execz .LBB163_111
; %bb.110:                              ;   in Loop: Header=BB163_88 Depth=1
	v_and_b32_sdwa v22, v15, v36 dst_sel:DWORD dst_unused:UNUSED_PAD src0_sel:BYTE_3 src1_sel:DWORD
	v_ffbh_u32_e32 v39, v22
	v_min_u32_e32 v41, 32, v39
	v_mov_b32_e32 v23, v5
	v_subrev_u32_e32 v39, 28, v41
	v_lshlrev_b64 v[39:40], v39, v[22:23]
	v_lshrrev_b32_e32 v11, 3, v38
	v_sub_u32_e32 v23, 29, v41
	v_cmp_gt_u32_e32 vcc, 8, v38
	v_and_b32_e32 v39, 7, v39
	v_cndmask_b32_e32 v11, v11, v23, vcc
	v_cndmask_b32_e32 v22, v22, v39, vcc
	v_lshlrev_b32_sdwa v15, v37, v15 dst_sel:DWORD dst_unused:UNUSED_PAD src0_sel:DWORD src1_sel:BYTE_3
	v_lshl_add_u32 v11, v11, 23, v35
	v_and_or_b32 v11, v15, s34, v11
	v_lshlrev_b32_e32 v15, 20, v22
	v_or_b32_e32 v23, v11, v15
	v_mov_b32_e32 v22, v5
.LBB163_111:                            ;   in Loop: Header=BB163_88 Depth=1
	s_or_b64 exec, exec, s[16:17]
.LBB163_112:                            ;   in Loop: Header=BB163_88 Depth=1
	s_or_b64 exec, exec, s[12:13]
.LBB163_113:                            ;   in Loop: Header=BB163_88 Depth=1
	s_or_b64 exec, exec, s[2:3]
	v_or_b32_e32 v11, v19, v17
	v_or_b32_e32 v15, v18, v16
	v_add_u32_e32 v40, v30, v26
	s_waitcnt lgkmcnt(0)
	v_mul_f32_e32 v38, s39, v11
	v_mul_f32_e32 v39, s39, v15
	v_or_b32_e32 v11, v23, v21
	v_or_b32_e32 v15, v22, v20
	v_cmp_eq_u32_e32 vcc, s37, v25
	v_mul_f32_e32 v23, s39, v15
	v_mul_f32_e32 v22, s39, v11
	v_add_u32_e32 v43, 1, v40
	v_add_u32_e32 v42, 2, v40
	;; [unrolled: 1-line block ×3, first 2 shown]
	s_and_saveexec_b64 s[12:13], vcc
; %bb.114:                              ;   in Loop: Header=BB163_88 Depth=1
	v_cmp_gt_i32_e64 s[2:3], s25, v40
	v_cndmask_b32_e64 v39, 0, v39, s[2:3]
	v_cmp_gt_i32_e64 s[2:3], s25, v43
	v_cndmask_b32_e64 v38, 0, v38, s[2:3]
	;; [unrolled: 2-line block ×4, first 2 shown]
; %bb.115:                              ;   in Loop: Header=BB163_88 Depth=1
	s_or_b64 exec, exec, s[12:13]
	global_load_dword v13, v[13:14], off offset:256
	v_mov_b32_e32 v16, 0
	v_mov_b32_e32 v14, 0
	;; [unrolled: 1-line block ×4, first 2 shown]
	s_waitcnt vmcnt(0)
	v_cmp_ne_u16_sdwa s[2:3], v13, v5 src0_sel:BYTE_0 src1_sel:DWORD
	s_and_saveexec_b64 s[12:13], s[2:3]
	s_cbranch_execz .LBB163_121
; %bb.116:                              ;   in Loop: Header=BB163_88 Depth=1
	v_bfrev_b32_e32 v14, 1
	v_mov_b32_e32 v15, 0
	v_cmp_ne_u16_sdwa s[2:3], v13, s30 src0_sel:BYTE_0 src1_sel:DWORD
	s_and_saveexec_b64 s[16:17], s[2:3]
	s_cbranch_execz .LBB163_120
; %bb.117:                              ;   in Loop: Header=BB163_88 Depth=1
	v_and_b32_e32 v11, 0x7f, v13
	v_mov_b32_e32 v14, 0x7f800001
	v_mov_b32_e32 v15, 0
	v_cmp_ne_u32_e64 s[2:3], s31, v11
	s_and_saveexec_b64 s[18:19], s[2:3]
	s_cbranch_execz .LBB163_119
; %bb.118:                              ;   in Loop: Header=BB163_88 Depth=1
	v_and_b32_e32 v18, 7, v13
	v_ffbh_u32_e32 v14, v18
	v_min_u32_e32 v20, 32, v14
	v_subrev_u32_e32 v14, 28, v20
	v_lshlrev_b64 v[14:15], v14, v[13:14]
	v_lshrrev_b32_e32 v19, 3, v11
	v_sub_u32_e32 v15, 29, v20
	v_and_b32_e32 v14, 7, v14
	v_cmp_gt_u32_e64 s[2:3], 8, v11
	v_cndmask_b32_e64 v11, v19, v15, s[2:3]
	v_cndmask_b32_e64 v14, v18, v14, s[2:3]
	v_lshlrev_b32_e32 v14, 20, v14
	v_and_b32_sdwa v15, sext(v13), s34 dst_sel:DWORD dst_unused:UNUSED_PAD src0_sel:BYTE_0 src1_sel:DWORD
	v_lshl_add_u32 v11, v11, 23, v35
	v_or3_b32 v14, v15, v11, v14
	v_mov_b32_e32 v15, v5
.LBB163_119:                            ;   in Loop: Header=BB163_88 Depth=1
	s_or_b64 exec, exec, s[18:19]
.LBB163_120:                            ;   in Loop: Header=BB163_88 Depth=1
	s_or_b64 exec, exec, s[16:17]
.LBB163_121:                            ;   in Loop: Header=BB163_88 Depth=1
	s_or_b64 exec, exec, s[12:13]
	v_cmp_ne_u16_sdwa s[2:3], v13, v5 src0_sel:BYTE_1 src1_sel:DWORD
	s_and_saveexec_b64 s[12:13], s[2:3]
	s_cbranch_execz .LBB163_127
; %bb.122:                              ;   in Loop: Header=BB163_88 Depth=1
	v_mov_b32_e32 v17, v6
	v_cmp_ne_u16_sdwa s[2:3], v13, s30 src0_sel:BYTE_1 src1_sel:DWORD
	v_mov_b32_e32 v16, v5
	s_and_saveexec_b64 s[16:17], s[2:3]
	s_cbranch_execz .LBB163_126
; %bb.123:                              ;   in Loop: Header=BB163_88 Depth=1
	v_and_b32_sdwa v18, v13, s31 dst_sel:DWORD dst_unused:UNUSED_PAD src0_sel:BYTE_1 src1_sel:DWORD
	v_mov_b32_e32 v11, v5
	v_mov_b32_e32 v17, v12
	v_cmp_ne_u32_e64 s[2:3], s31, v18
	v_mov_b32_e32 v16, v11
	s_and_saveexec_b64 s[18:19], s[2:3]
	s_cbranch_execz .LBB163_125
; %bb.124:                              ;   in Loop: Header=BB163_88 Depth=1
	v_and_b32_sdwa v16, v13, v36 dst_sel:DWORD dst_unused:UNUSED_PAD src0_sel:BYTE_1 src1_sel:DWORD
	v_ffbh_u32_e32 v19, v16
	v_min_u32_e32 v21, 32, v19
	v_mov_b32_e32 v17, v5
	v_subrev_u32_e32 v19, 28, v21
	v_lshlrev_b64 v[19:20], v19, v[16:17]
	v_lshrrev_b32_e32 v11, 3, v18
	v_sub_u32_e32 v17, 29, v21
	v_cmp_gt_u32_e64 s[2:3], 8, v18
	v_and_b32_e32 v19, 7, v19
	v_cndmask_b32_e64 v11, v11, v17, s[2:3]
	v_cndmask_b32_e64 v16, v16, v19, s[2:3]
	v_lshlrev_b32_e32 v17, 16, v13
	v_lshl_add_u32 v11, v11, 23, v35
	v_and_or_b32 v11, v17, s34, v11
	v_lshlrev_b32_e32 v16, 20, v16
	v_or_b32_e32 v17, v11, v16
	v_mov_b32_e32 v16, v5
.LBB163_125:                            ;   in Loop: Header=BB163_88 Depth=1
	s_or_b64 exec, exec, s[18:19]
.LBB163_126:                            ;   in Loop: Header=BB163_88 Depth=1
	s_or_b64 exec, exec, s[16:17]
.LBB163_127:                            ;   in Loop: Header=BB163_88 Depth=1
	s_or_b64 exec, exec, s[12:13]
	v_lshrrev_b32_e32 v11, 16, v13
	v_mov_b32_e32 v20, 0
	v_mov_b32_e32 v18, 0
	;; [unrolled: 1-line block ×4, first 2 shown]
	v_cmp_ne_u16_sdwa s[2:3], v11, v5 src0_sel:BYTE_0 src1_sel:DWORD
	s_and_saveexec_b64 s[12:13], s[2:3]
	s_cbranch_execz .LBB163_133
; %bb.128:                              ;   in Loop: Header=BB163_88 Depth=1
	v_bfrev_b32_e32 v18, 1
	v_mov_b32_e32 v19, 0
	v_cmp_ne_u16_sdwa s[2:3], v11, s30 src0_sel:BYTE_0 src1_sel:DWORD
	s_and_saveexec_b64 s[16:17], s[2:3]
	s_cbranch_execz .LBB163_132
; %bb.129:                              ;   in Loop: Header=BB163_88 Depth=1
	v_bfe_u32 v44, v13, 16, 7
	v_mov_b32_e32 v18, 0x7f800001
	v_mov_b32_e32 v19, 0
	v_cmp_ne_u32_e64 s[2:3], s31, v44
	s_and_saveexec_b64 s[18:19], s[2:3]
	s_cbranch_execz .LBB163_131
; %bb.130:                              ;   in Loop: Header=BB163_88 Depth=1
	v_and_b32_e32 v45, 7, v11
	v_ffbh_u32_e32 v18, v45
	v_min_u32_e32 v47, 32, v18
	v_subrev_u32_e32 v18, 28, v47
	v_lshlrev_b64 v[18:19], v18, v[11:12]
	v_lshrrev_b32_e32 v46, 3, v44
	v_sub_u32_e32 v19, 29, v47
	v_and_b32_e32 v18, 7, v18
	v_cmp_gt_u32_e64 s[2:3], 8, v44
	v_cndmask_b32_e64 v19, v46, v19, s[2:3]
	v_cndmask_b32_e64 v18, v45, v18, s[2:3]
	v_lshlrev_b32_e32 v18, 20, v18
	v_and_b32_sdwa v11, sext(v11), s34 dst_sel:DWORD dst_unused:UNUSED_PAD src0_sel:BYTE_0 src1_sel:DWORD
	v_lshl_add_u32 v19, v19, 23, v35
	v_or3_b32 v18, v11, v19, v18
	v_mov_b32_e32 v19, v5
.LBB163_131:                            ;   in Loop: Header=BB163_88 Depth=1
	s_or_b64 exec, exec, s[18:19]
.LBB163_132:                            ;   in Loop: Header=BB163_88 Depth=1
	s_or_b64 exec, exec, s[16:17]
.LBB163_133:                            ;   in Loop: Header=BB163_88 Depth=1
	s_or_b64 exec, exec, s[12:13]
	v_cmp_lt_u32_e64 s[2:3], s35, v13
	s_and_saveexec_b64 s[12:13], s[2:3]
	s_cbranch_execz .LBB163_139
; %bb.134:                              ;   in Loop: Header=BB163_88 Depth=1
	v_mov_b32_e32 v21, v6
	v_cmp_ne_u32_sdwa s[2:3], v13, s30 src0_sel:BYTE_3 src1_sel:DWORD
	v_mov_b32_e32 v20, v5
	s_and_saveexec_b64 s[16:17], s[2:3]
	s_cbranch_execz .LBB163_138
; %bb.135:                              ;   in Loop: Header=BB163_88 Depth=1
	v_bfe_u32 v44, v13, 24, 7
	v_mov_b32_e32 v11, v5
	v_mov_b32_e32 v21, v12
	v_cmp_ne_u32_e64 s[2:3], s31, v44
	v_mov_b32_e32 v20, v11
	s_and_saveexec_b64 s[18:19], s[2:3]
	s_cbranch_execz .LBB163_137
; %bb.136:                              ;   in Loop: Header=BB163_88 Depth=1
	v_and_b32_sdwa v20, v13, v36 dst_sel:DWORD dst_unused:UNUSED_PAD src0_sel:BYTE_3 src1_sel:DWORD
	v_ffbh_u32_e32 v45, v20
	v_min_u32_e32 v47, 32, v45
	v_mov_b32_e32 v21, v5
	v_subrev_u32_e32 v45, 28, v47
	v_lshlrev_b64 v[45:46], v45, v[20:21]
	v_lshrrev_b32_e32 v11, 3, v44
	v_sub_u32_e32 v21, 29, v47
	v_cmp_gt_u32_e64 s[2:3], 8, v44
	v_and_b32_e32 v45, 7, v45
	v_cndmask_b32_e64 v11, v11, v21, s[2:3]
	v_cndmask_b32_e64 v20, v20, v45, s[2:3]
	v_lshlrev_b32_sdwa v13, v37, v13 dst_sel:DWORD dst_unused:UNUSED_PAD src0_sel:DWORD src1_sel:BYTE_3
	v_lshl_add_u32 v11, v11, 23, v35
	v_and_or_b32 v11, v13, s34, v11
	v_lshlrev_b32_e32 v13, 20, v20
	v_or_b32_e32 v21, v11, v13
	v_mov_b32_e32 v20, v5
.LBB163_137:                            ;   in Loop: Header=BB163_88 Depth=1
	s_or_b64 exec, exec, s[18:19]
.LBB163_138:                            ;   in Loop: Header=BB163_88 Depth=1
	s_or_b64 exec, exec, s[16:17]
.LBB163_139:                            ;   in Loop: Header=BB163_88 Depth=1
	s_or_b64 exec, exec, s[12:13]
	v_or_b32_e32 v13, v16, v14
	s_mov_b32 s2, s39
	v_or_b32_e32 v11, v17, v15
	v_mul_f32_e32 v15, s39, v13
	v_or_b32_e32 v13, v21, v19
	v_or_b32_e32 v14, v20, v18
	v_mul_f32_e32 v11, s2, v11
	v_mul_f32_e32 v14, s39, v14
	;; [unrolled: 1-line block ×3, first 2 shown]
	s_and_saveexec_b64 s[2:3], vcc
	s_cbranch_execz .LBB163_86
; %bb.140:                              ;   in Loop: Header=BB163_88 Depth=1
	v_cmp_gt_i32_e32 vcc, s25, v40
	v_cndmask_b32_e32 v15, 0, v15, vcc
	v_cmp_gt_i32_e32 vcc, s25, v43
	v_cndmask_b32_e32 v11, 0, v11, vcc
	;; [unrolled: 2-line block ×4, first 2 shown]
	s_branch .LBB163_86
.LBB163_141:
	s_or_b64 exec, exec, s[6:7]
.LBB163_142:
	s_or_b64 exec, exec, s[4:5]
	ds_bpermute_b32 v1, v28, v32
	ds_bpermute_b32 v2, v28, v33
	v_and_b32_e32 v0, 0x3c1, v0
	v_cmp_eq_u32_e32 vcc, 64, v0
	s_waitcnt lgkmcnt(0)
	v_add_f32_e32 v1, v32, v1
	v_add_f32_e32 v2, v33, v2
	s_barrier
	s_and_saveexec_b64 s[2:3], vcc
; %bb.143:
	v_mov_b32_e32 v3, 0x110
	v_lshl_add_u32 v3, v27, 1, v3
	ds_write2_b32 v3, v1, v2 offset1:32
; %bb.144:
	s_or_b64 exec, exec, s[2:3]
	s_waitcnt lgkmcnt(0)
	s_barrier
	s_and_saveexec_b64 s[2:3], s[0:1]
	s_cbranch_execz .LBB163_150
; %bb.145:
	v_mov_b32_e32 v3, 0x110
	v_cmp_eq_u32_e32 vcc, 0, v29
	v_lshl_add_u32 v3, v24, 2, v3
	s_and_saveexec_b64 s[0:1], vcc
	s_cbranch_execz .LBB163_147
; %bb.146:
	ds_read_b32 v4, v3
	s_waitcnt lgkmcnt(0)
	v_add_f32_e32 v1, v1, v4
.LBB163_147:
	s_or_b64 exec, exec, s[0:1]
	s_and_saveexec_b64 s[0:1], vcc
	s_cbranch_execz .LBB163_149
; %bb.148:
	ds_read_b32 v3, v3 offset:128
	s_waitcnt lgkmcnt(0)
	v_add_f32_e32 v2, v2, v3
.LBB163_149:
	s_or_b64 exec, exec, s[0:1]
.LBB163_150:
	s_or_b64 exec, exec, s[2:3]
	v_cmp_eq_u32_e32 vcc, 0, v0
	s_barrier
	s_and_saveexec_b64 s[0:1], vcc
	s_cbranch_execz .LBB163_152
; %bb.151:
	s_mul_i32 s0, s24, s20
	s_mul_i32 s0, s0, s9
	s_lshl_b32 s0, s0, 6
	s_ashr_i32 s1, s0, 31
	s_lshl_b64 s[0:1], s[0:1], 2
	s_add_u32 s2, s28, s0
	s_mul_i32 s0, s20, s26
	s_addc_u32 s3, s29, s1
	s_ashr_i32 s1, s0, 31
	s_lshl_b64 s[0:1], s[0:1], 2
	s_add_u32 s2, s2, s0
	s_addc_u32 s3, s3, s1
	s_lshl_b32 s0, s8, 6
	s_ashr_i32 s1, s0, 31
	s_lshl_b64 s[0:1], s[0:1], 2
	s_add_u32 s0, s2, s0
	s_addc_u32 s1, s3, s1
	v_lshlrev_b32_e32 v0, 2, v24
	global_store_dword v0, v1, s[0:1]
	global_store_dword v0, v2, s[0:1] offset:128
.LBB163_152:
	s_endpgm
	.section	.rodata,"a",@progbits
	.p2align	6, 0x0
	.amdhsa_kernel _ZN4vllm25paged_attention_v1_kernelIfhLi64ELi8ELi128ELNS_18Fp8KVCacheDataTypeE1ELb1EEEvPT_PKS2_PKT0_S8_ifPKiSA_iPKfiiiSC_SC_iiiii
		.amdhsa_group_segment_fixed_size 272
		.amdhsa_private_segment_fixed_size 0
		.amdhsa_kernarg_size 384
		.amdhsa_user_sgpr_count 6
		.amdhsa_user_sgpr_private_segment_buffer 1
		.amdhsa_user_sgpr_dispatch_ptr 0
		.amdhsa_user_sgpr_queue_ptr 0
		.amdhsa_user_sgpr_kernarg_segment_ptr 1
		.amdhsa_user_sgpr_dispatch_id 0
		.amdhsa_user_sgpr_flat_scratch_init 0
		.amdhsa_user_sgpr_private_segment_size 0
		.amdhsa_uses_dynamic_stack 0
		.amdhsa_system_sgpr_private_segment_wavefront_offset 0
		.amdhsa_system_sgpr_workgroup_id_x 1
		.amdhsa_system_sgpr_workgroup_id_y 1
		.amdhsa_system_sgpr_workgroup_id_z 1
		.amdhsa_system_sgpr_workgroup_info 0
		.amdhsa_system_vgpr_workitem_id 0
		.amdhsa_next_free_vgpr 48
		.amdhsa_next_free_sgpr 57
		.amdhsa_reserve_vcc 1
		.amdhsa_reserve_flat_scratch 0
		.amdhsa_float_round_mode_32 0
		.amdhsa_float_round_mode_16_64 0
		.amdhsa_float_denorm_mode_32 3
		.amdhsa_float_denorm_mode_16_64 3
		.amdhsa_dx10_clamp 1
		.amdhsa_ieee_mode 1
		.amdhsa_fp16_overflow 0
		.amdhsa_exception_fp_ieee_invalid_op 0
		.amdhsa_exception_fp_denorm_src 0
		.amdhsa_exception_fp_ieee_div_zero 0
		.amdhsa_exception_fp_ieee_overflow 0
		.amdhsa_exception_fp_ieee_underflow 0
		.amdhsa_exception_fp_ieee_inexact 0
		.amdhsa_exception_int_div_zero 0
	.end_amdhsa_kernel
	.section	.text._ZN4vllm25paged_attention_v1_kernelIfhLi64ELi8ELi128ELNS_18Fp8KVCacheDataTypeE1ELb1EEEvPT_PKS2_PKT0_S8_ifPKiSA_iPKfiiiSC_SC_iiiii,"axG",@progbits,_ZN4vllm25paged_attention_v1_kernelIfhLi64ELi8ELi128ELNS_18Fp8KVCacheDataTypeE1ELb1EEEvPT_PKS2_PKT0_S8_ifPKiSA_iPKfiiiSC_SC_iiiii,comdat
.Lfunc_end163:
	.size	_ZN4vllm25paged_attention_v1_kernelIfhLi64ELi8ELi128ELNS_18Fp8KVCacheDataTypeE1ELb1EEEvPT_PKS2_PKT0_S8_ifPKiSA_iPKfiiiSC_SC_iiiii, .Lfunc_end163-_ZN4vllm25paged_attention_v1_kernelIfhLi64ELi8ELi128ELNS_18Fp8KVCacheDataTypeE1ELb1EEEvPT_PKS2_PKT0_S8_ifPKiSA_iPKfiiiSC_SC_iiiii
                                        ; -- End function
	.set _ZN4vllm25paged_attention_v1_kernelIfhLi64ELi8ELi128ELNS_18Fp8KVCacheDataTypeE1ELb1EEEvPT_PKS2_PKT0_S8_ifPKiSA_iPKfiiiSC_SC_iiiii.num_vgpr, 48
	.set _ZN4vllm25paged_attention_v1_kernelIfhLi64ELi8ELi128ELNS_18Fp8KVCacheDataTypeE1ELb1EEEvPT_PKS2_PKT0_S8_ifPKiSA_iPKfiiiSC_SC_iiiii.num_agpr, 0
	.set _ZN4vllm25paged_attention_v1_kernelIfhLi64ELi8ELi128ELNS_18Fp8KVCacheDataTypeE1ELb1EEEvPT_PKS2_PKT0_S8_ifPKiSA_iPKfiiiSC_SC_iiiii.numbered_sgpr, 57
	.set _ZN4vllm25paged_attention_v1_kernelIfhLi64ELi8ELi128ELNS_18Fp8KVCacheDataTypeE1ELb1EEEvPT_PKS2_PKT0_S8_ifPKiSA_iPKfiiiSC_SC_iiiii.num_named_barrier, 0
	.set _ZN4vllm25paged_attention_v1_kernelIfhLi64ELi8ELi128ELNS_18Fp8KVCacheDataTypeE1ELb1EEEvPT_PKS2_PKT0_S8_ifPKiSA_iPKfiiiSC_SC_iiiii.private_seg_size, 0
	.set _ZN4vllm25paged_attention_v1_kernelIfhLi64ELi8ELi128ELNS_18Fp8KVCacheDataTypeE1ELb1EEEvPT_PKS2_PKT0_S8_ifPKiSA_iPKfiiiSC_SC_iiiii.uses_vcc, 1
	.set _ZN4vllm25paged_attention_v1_kernelIfhLi64ELi8ELi128ELNS_18Fp8KVCacheDataTypeE1ELb1EEEvPT_PKS2_PKT0_S8_ifPKiSA_iPKfiiiSC_SC_iiiii.uses_flat_scratch, 0
	.set _ZN4vllm25paged_attention_v1_kernelIfhLi64ELi8ELi128ELNS_18Fp8KVCacheDataTypeE1ELb1EEEvPT_PKS2_PKT0_S8_ifPKiSA_iPKfiiiSC_SC_iiiii.has_dyn_sized_stack, 0
	.set _ZN4vllm25paged_attention_v1_kernelIfhLi64ELi8ELi128ELNS_18Fp8KVCacheDataTypeE1ELb1EEEvPT_PKS2_PKT0_S8_ifPKiSA_iPKfiiiSC_SC_iiiii.has_recursion, 0
	.set _ZN4vllm25paged_attention_v1_kernelIfhLi64ELi8ELi128ELNS_18Fp8KVCacheDataTypeE1ELb1EEEvPT_PKS2_PKT0_S8_ifPKiSA_iPKfiiiSC_SC_iiiii.has_indirect_call, 0
	.section	.AMDGPU.csdata,"",@progbits
; Kernel info:
; codeLenInByte = 6544
; TotalNumSgprs: 61
; NumVgprs: 48
; ScratchSize: 0
; MemoryBound: 0
; FloatMode: 240
; IeeeMode: 1
; LDSByteSize: 272 bytes/workgroup (compile time only)
; SGPRBlocks: 7
; VGPRBlocks: 11
; NumSGPRsForWavesPerEU: 61
; NumVGPRsForWavesPerEU: 48
; Occupancy: 5
; WaveLimiterHint : 1
; COMPUTE_PGM_RSRC2:SCRATCH_EN: 0
; COMPUTE_PGM_RSRC2:USER_SGPR: 6
; COMPUTE_PGM_RSRC2:TRAP_HANDLER: 0
; COMPUTE_PGM_RSRC2:TGID_X_EN: 1
; COMPUTE_PGM_RSRC2:TGID_Y_EN: 1
; COMPUTE_PGM_RSRC2:TGID_Z_EN: 1
; COMPUTE_PGM_RSRC2:TIDIG_COMP_CNT: 0
	.section	.text._ZN4vllm25paged_attention_v1_kernelIfhLi80ELi8ELi128ELNS_18Fp8KVCacheDataTypeE1ELb1EEEvPT_PKS2_PKT0_S8_ifPKiSA_iPKfiiiSC_SC_iiiii,"axG",@progbits,_ZN4vllm25paged_attention_v1_kernelIfhLi80ELi8ELi128ELNS_18Fp8KVCacheDataTypeE1ELb1EEEvPT_PKS2_PKT0_S8_ifPKiSA_iPKfiiiSC_SC_iiiii,comdat
	.protected	_ZN4vllm25paged_attention_v1_kernelIfhLi80ELi8ELi128ELNS_18Fp8KVCacheDataTypeE1ELb1EEEvPT_PKS2_PKT0_S8_ifPKiSA_iPKfiiiSC_SC_iiiii ; -- Begin function _ZN4vllm25paged_attention_v1_kernelIfhLi80ELi8ELi128ELNS_18Fp8KVCacheDataTypeE1ELb1EEEvPT_PKS2_PKT0_S8_ifPKiSA_iPKfiiiSC_SC_iiiii
	.globl	_ZN4vllm25paged_attention_v1_kernelIfhLi80ELi8ELi128ELNS_18Fp8KVCacheDataTypeE1ELb1EEEvPT_PKS2_PKT0_S8_ifPKiSA_iPKfiiiSC_SC_iiiii
	.p2align	8
	.type	_ZN4vllm25paged_attention_v1_kernelIfhLi80ELi8ELi128ELNS_18Fp8KVCacheDataTypeE1ELb1EEEvPT_PKS2_PKT0_S8_ifPKiSA_iPKfiiiSC_SC_iiiii,@function
_ZN4vllm25paged_attention_v1_kernelIfhLi80ELi8ELi128ELNS_18Fp8KVCacheDataTypeE1ELb1EEEvPT_PKS2_PKT0_S8_ifPKiSA_iPKfiiiSC_SC_iiiii: ; @_ZN4vllm25paged_attention_v1_kernelIfhLi80ELi8ELi128ELNS_18Fp8KVCacheDataTypeE1ELb1EEEvPT_PKS2_PKT0_S8_ifPKiSA_iPKfiiiSC_SC_iiiii
; %bb.0:
	s_load_dword s9, s[4:5], 0x80
	s_load_dwordx2 s[0:1], s[4:5], 0x30
	s_load_dwordx2 s[36:37], s[4:5], 0x20
	s_mov_b32 s10, s7
	s_ashr_i32 s11, s7, 31
	s_lshl_b64 s[2:3], s[10:11], 2
	s_waitcnt lgkmcnt(0)
	s_add_u32 s0, s0, s2
	s_addc_u32 s1, s1, s3
	s_abs_i32 s2, s36
	v_cvt_f32_u32_e32 v1, s2
	s_sub_i32 s11, 0, s2
	s_abs_i32 s7, s9
	s_xor_b32 s3, s9, s36
	v_rcp_iflag_f32_e32 v1, v1
	s_ashr_i32 s3, s3, 31
	s_mov_b32 s49, 0
	v_mul_f32_e32 v1, 0x4f7ffffe, v1
	v_cvt_u32_f32_e32 v1, v1
	v_readfirstlane_b32 s12, v1
	s_mul_i32 s11, s11, s12
	s_mul_hi_u32 s11, s12, s11
	s_add_i32 s12, s12, s11
	s_mul_hi_u32 s11, s7, s12
	s_mul_i32 s12, s11, s2
	s_sub_i32 s7, s7, s12
	s_add_i32 s12, s11, 1
	s_sub_i32 s13, s7, s2
	s_cmp_ge_u32 s7, s2
	s_cselect_b32 s11, s12, s11
	s_cselect_b32 s7, s13, s7
	s_add_i32 s12, s11, 1
	s_cmp_ge_u32 s7, s2
	s_cselect_b32 s2, s12, s11
	s_xor_b32 s2, s2, s3
	s_sub_i32 s14, s2, s3
	s_abs_i32 s11, s14
	v_cvt_f32_u32_e32 v1, s11
	s_load_dwordx2 s[2:3], s[4:5], 0x40
	s_sub_i32 s7, 0, s11
	s_abs_i32 s12, s6
	v_rcp_iflag_f32_e32 v1, v1
	v_mul_f32_e32 v1, 0x4f7ffffe, v1
	v_cvt_u32_f32_e32 v1, v1
	v_readfirstlane_b32 s13, v1
	s_mul_i32 s7, s7, s13
	s_mul_hi_u32 s7, s13, s7
	s_add_i32 s13, s13, s7
	s_waitcnt lgkmcnt(0)
	s_cmp_eq_u64 s[2:3], 0
	s_mul_hi_u32 s13, s12, s13
	s_cbranch_scc1 .LBB164_2
; %bb.1:
	s_ashr_i32 s7, s6, 31
	s_lshl_b64 s[16:17], s[6:7], 2
	s_add_u32 s2, s2, s16
	s_addc_u32 s3, s3, s17
	s_load_dword s49, s[2:3], 0x0
.LBB164_2:
	s_load_dword s33, s[0:1], 0x0
	s_load_dwordx4 s[16:19], s[4:5], 0x48
	s_movk_i32 s0, 0x50
	s_ashr_i32 s2, s6, 31
	s_ashr_i32 s7, s14, 31
	v_and_b32_e32 v1, 7, v0
	s_mul_i32 s24, s6, 0x50
	v_cmp_gt_u32_e32 vcc, s0, v0
	v_lshlrev_b32_e32 v18, 2, v0
	v_lshrrev_b32_e32 v24, 1, v0
	s_and_saveexec_b64 s[0:1], vcc
	s_cbranch_execz .LBB164_4
; %bb.3:
	s_load_dwordx2 s[14:15], s[4:5], 0x8
	s_waitcnt lgkmcnt(0)
	s_mul_i32 s20, s16, s10
	s_ashr_i32 s21, s20, 31
	s_lshl_b64 s[20:21], s[20:21], 2
	v_and_b32_e32 v3, 0x1fc, v24
	s_add_u32 s3, s14, s20
	s_addc_u32 s16, s15, s21
	s_ashr_i32 s25, s24, 31
	s_lshl_b64 s[14:15], s[24:25], 2
	s_add_u32 s14, s3, s14
	s_addc_u32 s15, s16, s15
	global_load_dword v2, v18, s[14:15]
	v_mad_u32_u24 v3, v1, 40, v3
	s_waitcnt vmcnt(0)
	ds_write_b32 v3, v2
.LBB164_4:
	s_or_b64 exec, exec, s[0:1]
	s_mul_i32 s1, s13, s11
	s_sub_i32 s1, s12, s1
	s_xor_b32 s0, s2, s7
	s_add_i32 s2, s13, 1
	s_sub_i32 s7, s1, s11
	s_load_dwordx4 s[20:23], s[4:5], 0x68
	s_load_dword s3, s[4:5], 0x78
	s_cmp_ge_u32 s1, s11
	s_cselect_b32 s2, s2, s13
	s_cselect_b32 s1, s7, s1
	s_add_i32 s7, s2, 1
	s_cmp_ge_u32 s1, s11
	s_cselect_b32 s1, s7, s2
	s_waitcnt lgkmcnt(0)
	s_abs_i32 s25, s23
	v_cvt_f32_u32_e32 v2, s25
	s_xor_b32 s1, s1, s0
	s_sub_i32 s2, s1, s0
	s_sub_i32 s0, 0, s25
	v_rcp_iflag_f32_e32 v2, v2
	s_add_i32 s11, s33, -1
	s_abs_i32 s7, s11
	v_mul_f32_e32 v2, 0x4f7ffffe, v2
	v_cvt_u32_f32_e32 v2, v2
	s_barrier
	v_readfirstlane_b32 s46, v2
	s_mul_i32 s0, s0, s46
	s_mul_hi_u32 s0, s46, s0
	s_add_i32 s46, s46, s0
	s_cmp_lt_i32 s3, 0
	s_mul_hi_u32 s16, s7, s46
	s_cbranch_scc0 .LBB164_6
; %bb.5:
	s_mul_i32 s0, s20, s36
	s_add_i32 s0, s2, s0
	s_mul_i32 s0, s0, s3
	s_sub_i32 s36, 1, s0
	s_mov_b64 s[0:1], 0
	s_branch .LBB164_7
.LBB164_6:
	s_mov_b64 s[0:1], -1
                                        ; implicit-def: $sgpr36
.LBB164_7:
	s_load_dwordx2 s[28:29], s[4:5], 0x28
	s_ashr_i32 s19, s11, 31
	s_andn2_b64 vcc, exec, s[0:1]
	s_ashr_i32 s47, s23, 31
	s_cbranch_vccnz .LBB164_9
; %bb.8:
	s_mul_i32 s0, s9, s20
	s_add_i32 s0, s0, s6
	s_mul_i32 s0, s0, s3
	s_add_i32 s36, s0, 1
.LBB164_9:
	s_load_dword s0, s[4:5], 0x38
	s_load_dwordx2 s[26:27], s[4:5], 0x0
	s_load_dwordx2 s[34:35], s[4:5], 0x18
	s_load_dword s11, s[4:5], 0x88
	s_load_dwordx4 s[12:15], s[4:5], 0x58
	s_mul_i32 s1, s16, s25
	s_waitcnt lgkmcnt(0)
	s_mul_i32 s30, s0, s10
	s_sub_i32 s1, s7, s1
	s_ashr_i32 s31, s30, 31
	s_xor_b32 s0, s19, s47
	s_add_i32 s3, s16, 1
	s_sub_i32 s6, s1, s25
	s_cmp_ge_u32 s1, s25
	s_cselect_b32 s3, s3, s16
	s_cselect_b32 s1, s6, s1
	s_add_i32 s6, s3, 1
	s_cmp_ge_u32 s1, s25
	s_cselect_b32 s1, s6, s3
	s_xor_b32 s1, s1, s0
	s_sub_i32 s16, s1, s0
	s_add_i32 s0, s33, 7
	s_ashr_i32 s1, s0, 31
	s_lshr_b32 s1, s1, 29
	s_add_i32 s0, s0, s1
	s_ashr_i32 s48, s0, 3
	v_lshrrev_b32_e32 v25, 6, v0
	v_cmp_le_i32_e64 s[0:1], s48, v25
	v_cmp_gt_i32_e32 vcc, s48, v25
	v_mov_b32_e32 v23, 0xff7fffff
	s_mul_i32 s20, s2, s18
	v_lshrrev_b32_e32 v19, 4, v0
	v_lshlrev_b32_e32 v26, 3, v25
	v_mbcnt_lo_u32_b32 v20, -1, 0
	s_and_saveexec_b64 s[18:19], vcc
	s_cbranch_execz .LBB164_81
; %bb.10:
	s_load_dwordx2 s[2:3], s[4:5], 0x10
	s_sub_i32 s23, s16, s21
	s_ashr_i32 s4, s20, 31
	v_bfe_u32 v21, v0, 3, 3
	v_lshlrev_b32_e32 v3, 4, v21
	s_waitcnt lgkmcnt(0)
	s_add_u32 s5, s2, s20
	s_addc_u32 s4, s3, s4
	s_abs_i32 s50, s22
	v_cvt_f32_u32_e32 v2, s50
	v_mov_b32_e32 v4, s4
	s_sub_i32 s4, 0, s50
	v_cmp_eq_u32_e32 vcc, 0, v1
	v_rcp_iflag_f32_e32 v2, v2
	v_mul_u32_u24_e32 v22, 40, v1
	s_mov_b32 s51, s17
	v_cmp_neq_f32_e64 s[2:3], s49, 0
	v_mul_f32_e32 v2, 0x4f7ffffe, v2
	v_cvt_u32_f32_e32 v2, v2
	v_lshlrev_b32_e32 v28, 3, v25
	v_mov_b32_e32 v31, 0xff7fffff
	s_mov_b64 s[38:39], 0
	v_mul_lo_u32 v5, s4, v2
	v_add_co_u32_e64 v3, s[4:5], s5, v3
	v_addc_co_u32_e64 v4, s[4:5], 0, v4, s[4:5]
	v_add_co_u32_e64 v9, s[4:5], v3, v1
	v_mul_hi_u32 v5, v2, v5
	v_addc_co_u32_e64 v10, s[4:5], 0, v4, s[4:5]
	s_lshl_b64 s[4:5], s[30:31], 2
	s_add_u32 s4, s28, s4
	v_and_b32_e32 v1, 60, v19
	s_addc_u32 s5, s29, s5
	v_add_u32_e32 v27, v2, v5
	v_mov_b32_e32 v2, s5
	v_add_co_u32_e64 v11, s[4:5], s4, v1
	v_subrev_u32_e32 v1, s33, v21
	v_add_u32_e32 v29, 1, v1
	v_lshlrev_b32_e32 v1, 2, v21
	v_lshl_or_b32 v1, v25, 5, v1
	v_addc_co_u32_e64 v12, s[4:5], 0, v2, s[4:5]
	v_add_u32_e32 v30, 0x150, v1
	s_movk_i32 s52, 0x80
	s_movk_i32 s53, 0x7f
	v_bfrev_b32_e32 v32, 60
	v_mbcnt_hi_u32_b32 v33, -1, v20
	v_mov_b32_e32 v23, 0xff7fffff
	v_mov_b32_e32 v34, v25
	s_branch .LBB164_13
.LBB164_11:                             ;   in Loop: Header=BB164_13 Depth=1
	s_or_b64 exec, exec, s[40:41]
.LBB164_12:                             ;   in Loop: Header=BB164_13 Depth=1
	s_or_b64 exec, exec, s[6:7]
	v_add_co_u32_e64 v11, s[4:5], 8, v11
	v_add_u32_e32 v34, 2, v34
	v_addc_co_u32_e64 v12, s[4:5], 0, v12, s[4:5]
	v_cmp_le_i32_e64 s[4:5], s48, v34
	v_add_u32_e32 v28, 16, v28
	s_or_b64 s[38:39], s[4:5], s[38:39]
	v_add_u32_e32 v30, 64, v30
	s_andn2_b64 exec, exec, s[38:39]
	s_cbranch_execz .LBB164_80
.LBB164_13:                             ; =>This Inner Loop Header: Depth=1
	v_mul_hi_u32 v1, v28, s46
	s_waitcnt lgkmcnt(0)
	v_mul_lo_u32 v2, v1, s25
	v_add_u32_e32 v3, 1, v1
	v_sub_u32_e32 v2, v28, v2
	v_cmp_le_u32_e64 s[4:5], s25, v2
	v_cndmask_b32_e64 v1, v1, v3, s[4:5]
	v_subrev_u32_e32 v3, s25, v2
	v_cndmask_b32_e64 v2, v2, v3, s[4:5]
	v_add_u32_e32 v3, 1, v1
	v_cmp_le_u32_e64 s[4:5], s25, v2
	v_cndmask_b32_e64 v1, v1, v3, s[4:5]
	v_xor_b32_e32 v1, s47, v1
	v_subrev_u32_e32 v1, s47, v1
	v_add_u32_e32 v2, s36, v1
	v_sub_u32_e32 v3, 0, v2
	v_max_i32_e32 v3, v2, v3
	v_mul_hi_u32 v4, v3, v27
	v_ashrrev_i32_e32 v2, 31, v2
	v_cmp_ge_i32_e64 s[6:7], s23, v1
	v_mul_lo_u32 v4, v4, s50
	v_sub_u32_e32 v3, v3, v4
	v_subrev_u32_e32 v4, s50, v3
	v_cmp_le_u32_e64 s[4:5], s50, v3
	v_cndmask_b32_e64 v3, v3, v4, s[4:5]
	v_subrev_u32_e32 v4, s50, v3
	v_cmp_le_u32_e64 s[4:5], s50, v3
	v_cndmask_b32_e64 v3, v3, v4, s[4:5]
	v_xor_b32_e32 v3, v3, v2
	v_sub_u32_e32 v2, v3, v2
	v_cmp_ne_u32_e64 s[4:5], 0, v2
	s_and_b64 s[4:5], s[4:5], s[6:7]
	s_and_saveexec_b64 s[6:7], s[4:5]
	s_xor_b64 s[4:5], exec, s[6:7]
	s_cbranch_execz .LBB164_17
; %bb.14:                               ;   in Loop: Header=BB164_13 Depth=1
	s_and_saveexec_b64 s[6:7], vcc
; %bb.15:                               ;   in Loop: Header=BB164_13 Depth=1
	ds_write_b32 v30, v31
; %bb.16:                               ;   in Loop: Header=BB164_13 Depth=1
	s_or_b64 exec, exec, s[6:7]
.LBB164_17:                             ;   in Loop: Header=BB164_13 Depth=1
	s_andn2_saveexec_b64 s[6:7], s[4:5]
	s_cbranch_execz .LBB164_12
; %bb.18:                               ;   in Loop: Header=BB164_13 Depth=1
	global_load_dword v1, v[11:12], off
	v_mov_b32_e32 v35, 0
	v_mov_b32_e32 v36, 0
	s_waitcnt vmcnt(0)
	v_mad_i64_i32 v[15:16], s[4:5], v1, s51, v[9:10]
	global_load_ubyte v37, v[15:16], off
	ds_read2_b64 v[5:8], v22 offset1:1
	ds_read2_b64 v[1:4], v22 offset0:2 offset1:3
	ds_read_b64 v[13:14], v22 offset:32
	s_load_dword s54, s[12:13], 0x0
	s_waitcnt vmcnt(0)
	v_cmp_ne_u16_e64 s[4:5], 0, v37
	s_and_saveexec_b64 s[40:41], s[4:5]
	s_cbranch_execz .LBB164_24
; %bb.19:                               ;   in Loop: Header=BB164_13 Depth=1
	v_cmp_ne_u16_e64 s[4:5], s52, v37
	v_bfrev_b32_e32 v36, 1
	s_and_saveexec_b64 s[42:43], s[4:5]
	s_cbranch_execz .LBB164_23
; %bb.20:                               ;   in Loop: Header=BB164_13 Depth=1
	v_and_b32_e32 v17, 0xffff, v37
	v_and_b32_e32 v38, 0x7f, v17
	v_cmp_ne_u32_e64 s[4:5], s53, v38
	v_mov_b32_e32 v36, 0x7f800001
	s_and_saveexec_b64 s[44:45], s[4:5]
	s_cbranch_execz .LBB164_22
; %bb.21:                               ;   in Loop: Header=BB164_13 Depth=1
	v_and_b32_e32 v36, 7, v17
	v_ffbh_u32_e32 v39, v36
	v_min_u32_e32 v42, 32, v39
	v_subrev_u32_e32 v39, 28, v42
	v_lshlrev_b64 v[39:40], v39, v[17:18]
	v_lshrrev_b32_e32 v41, 3, v38
	v_sub_u32_e32 v17, 29, v42
	v_and_b32_e32 v39, 7, v39
	v_cmp_gt_u32_e64 s[4:5], 8, v38
	v_cndmask_b32_e64 v17, v41, v17, s[4:5]
	v_cndmask_b32_e64 v36, v36, v39, s[4:5]
	v_lshlrev_b32_e32 v37, 24, v37
	v_lshlrev_b32_e32 v36, 20, v36
	v_and_b32_e32 v37, 0x80000000, v37
	v_lshl_add_u32 v17, v17, 23, v32
	v_or3_b32 v36, v37, v17, v36
.LBB164_22:                             ;   in Loop: Header=BB164_13 Depth=1
	s_or_b64 exec, exec, s[44:45]
.LBB164_23:                             ;   in Loop: Header=BB164_13 Depth=1
	s_or_b64 exec, exec, s[42:43]
.LBB164_24:                             ;   in Loop: Header=BB164_13 Depth=1
	s_or_b64 exec, exec, s[40:41]
	global_load_ubyte v37, v[15:16], off offset:8
	s_waitcnt vmcnt(0)
	v_cmp_ne_u16_e64 s[4:5], 0, v37
	s_and_saveexec_b64 s[40:41], s[4:5]
	s_cbranch_execz .LBB164_30
; %bb.25:                               ;   in Loop: Header=BB164_13 Depth=1
	v_cmp_ne_u16_e64 s[4:5], s52, v37
	v_bfrev_b32_e32 v35, 1
	s_and_saveexec_b64 s[42:43], s[4:5]
	s_cbranch_execz .LBB164_29
; %bb.26:                               ;   in Loop: Header=BB164_13 Depth=1
	v_and_b32_e32 v17, 0xffff, v37
	v_and_b32_e32 v38, 0x7f, v17
	v_cmp_ne_u32_e64 s[4:5], s53, v38
	v_mov_b32_e32 v35, 0x7f800001
	s_and_saveexec_b64 s[44:45], s[4:5]
	s_cbranch_execz .LBB164_28
; %bb.27:                               ;   in Loop: Header=BB164_13 Depth=1
	v_and_b32_e32 v35, 7, v17
	v_ffbh_u32_e32 v39, v35
	v_min_u32_e32 v42, 32, v39
	v_subrev_u32_e32 v39, 28, v42
	v_lshlrev_b64 v[39:40], v39, v[17:18]
	v_lshrrev_b32_e32 v41, 3, v38
	v_sub_u32_e32 v17, 29, v42
	v_and_b32_e32 v39, 7, v39
	v_cmp_gt_u32_e64 s[4:5], 8, v38
	v_cndmask_b32_e64 v17, v41, v17, s[4:5]
	v_cndmask_b32_e64 v35, v35, v39, s[4:5]
	v_lshlrev_b32_e32 v37, 24, v37
	v_lshlrev_b32_e32 v35, 20, v35
	v_and_b32_e32 v37, 0x80000000, v37
	v_lshl_add_u32 v17, v17, 23, v32
	v_or3_b32 v35, v37, v17, v35
.LBB164_28:                             ;   in Loop: Header=BB164_13 Depth=1
	s_or_b64 exec, exec, s[44:45]
.LBB164_29:                             ;   in Loop: Header=BB164_13 Depth=1
	s_or_b64 exec, exec, s[42:43]
.LBB164_30:                             ;   in Loop: Header=BB164_13 Depth=1
	s_or_b64 exec, exec, s[40:41]
	global_load_ubyte v39, v[15:16], off offset:128
	v_mov_b32_e32 v37, 0
	v_mov_b32_e32 v38, 0
	s_waitcnt vmcnt(0)
	v_cmp_ne_u16_e64 s[4:5], 0, v39
	s_and_saveexec_b64 s[40:41], s[4:5]
	s_cbranch_execz .LBB164_36
; %bb.31:                               ;   in Loop: Header=BB164_13 Depth=1
	v_cmp_ne_u16_e64 s[4:5], s52, v39
	v_bfrev_b32_e32 v38, 1
	s_and_saveexec_b64 s[42:43], s[4:5]
	s_cbranch_execz .LBB164_35
; %bb.32:                               ;   in Loop: Header=BB164_13 Depth=1
	v_and_b32_e32 v17, 0xffff, v39
	v_and_b32_e32 v40, 0x7f, v17
	v_cmp_ne_u32_e64 s[4:5], s53, v40
	v_mov_b32_e32 v38, 0x7f800001
	s_and_saveexec_b64 s[44:45], s[4:5]
	s_cbranch_execz .LBB164_34
; %bb.33:                               ;   in Loop: Header=BB164_13 Depth=1
	v_and_b32_e32 v38, 7, v17
	v_ffbh_u32_e32 v41, v38
	v_min_u32_e32 v44, 32, v41
	v_subrev_u32_e32 v41, 28, v44
	v_lshlrev_b64 v[41:42], v41, v[17:18]
	v_lshrrev_b32_e32 v43, 3, v40
	v_sub_u32_e32 v17, 29, v44
	v_and_b32_e32 v41, 7, v41
	v_cmp_gt_u32_e64 s[4:5], 8, v40
	v_cndmask_b32_e64 v17, v43, v17, s[4:5]
	v_cndmask_b32_e64 v38, v38, v41, s[4:5]
	v_lshlrev_b32_e32 v39, 24, v39
	v_lshlrev_b32_e32 v38, 20, v38
	v_and_b32_e32 v39, 0x80000000, v39
	v_lshl_add_u32 v17, v17, 23, v32
	v_or3_b32 v38, v39, v17, v38
.LBB164_34:                             ;   in Loop: Header=BB164_13 Depth=1
	s_or_b64 exec, exec, s[44:45]
.LBB164_35:                             ;   in Loop: Header=BB164_13 Depth=1
	s_or_b64 exec, exec, s[42:43]
.LBB164_36:                             ;   in Loop: Header=BB164_13 Depth=1
	s_or_b64 exec, exec, s[40:41]
	global_load_ubyte v39, v[15:16], off offset:136
	s_waitcnt vmcnt(0)
	v_cmp_ne_u16_e64 s[4:5], 0, v39
	s_and_saveexec_b64 s[40:41], s[4:5]
	s_cbranch_execz .LBB164_42
; %bb.37:                               ;   in Loop: Header=BB164_13 Depth=1
	v_cmp_ne_u16_e64 s[4:5], s52, v39
	v_bfrev_b32_e32 v37, 1
	s_and_saveexec_b64 s[42:43], s[4:5]
	s_cbranch_execz .LBB164_41
; %bb.38:                               ;   in Loop: Header=BB164_13 Depth=1
	v_and_b32_e32 v17, 0xffff, v39
	v_and_b32_e32 v40, 0x7f, v17
	v_cmp_ne_u32_e64 s[4:5], s53, v40
	v_mov_b32_e32 v37, 0x7f800001
	s_and_saveexec_b64 s[44:45], s[4:5]
	s_cbranch_execz .LBB164_40
; %bb.39:                               ;   in Loop: Header=BB164_13 Depth=1
	v_and_b32_e32 v37, 7, v17
	v_ffbh_u32_e32 v41, v37
	v_min_u32_e32 v44, 32, v41
	v_subrev_u32_e32 v41, 28, v44
	v_lshlrev_b64 v[41:42], v41, v[17:18]
	v_lshrrev_b32_e32 v43, 3, v40
	v_sub_u32_e32 v17, 29, v44
	v_and_b32_e32 v41, 7, v41
	v_cmp_gt_u32_e64 s[4:5], 8, v40
	v_cndmask_b32_e64 v17, v43, v17, s[4:5]
	v_cndmask_b32_e64 v37, v37, v41, s[4:5]
	v_lshlrev_b32_e32 v39, 24, v39
	v_lshlrev_b32_e32 v37, 20, v37
	v_and_b32_e32 v39, 0x80000000, v39
	v_lshl_add_u32 v17, v17, 23, v32
	v_or3_b32 v37, v39, v17, v37
.LBB164_40:                             ;   in Loop: Header=BB164_13 Depth=1
	s_or_b64 exec, exec, s[44:45]
.LBB164_41:                             ;   in Loop: Header=BB164_13 Depth=1
	s_or_b64 exec, exec, s[42:43]
.LBB164_42:                             ;   in Loop: Header=BB164_13 Depth=1
	s_or_b64 exec, exec, s[40:41]
	global_load_ubyte v41, v[15:16], off offset:256
	v_mov_b32_e32 v39, 0
	v_mov_b32_e32 v40, 0
	s_waitcnt vmcnt(0)
	v_cmp_ne_u16_e64 s[4:5], 0, v41
	s_and_saveexec_b64 s[40:41], s[4:5]
	s_cbranch_execz .LBB164_48
; %bb.43:                               ;   in Loop: Header=BB164_13 Depth=1
	v_cmp_ne_u16_e64 s[4:5], s52, v41
	v_bfrev_b32_e32 v40, 1
	s_and_saveexec_b64 s[42:43], s[4:5]
	s_cbranch_execz .LBB164_47
; %bb.44:                               ;   in Loop: Header=BB164_13 Depth=1
	v_and_b32_e32 v17, 0xffff, v41
	v_and_b32_e32 v42, 0x7f, v17
	v_cmp_ne_u32_e64 s[4:5], s53, v42
	v_mov_b32_e32 v40, 0x7f800001
	s_and_saveexec_b64 s[44:45], s[4:5]
	s_cbranch_execz .LBB164_46
; %bb.45:                               ;   in Loop: Header=BB164_13 Depth=1
	v_and_b32_e32 v40, 7, v17
	v_ffbh_u32_e32 v43, v40
	v_min_u32_e32 v46, 32, v43
	v_subrev_u32_e32 v43, 28, v46
	v_lshlrev_b64 v[43:44], v43, v[17:18]
	v_lshrrev_b32_e32 v45, 3, v42
	v_sub_u32_e32 v17, 29, v46
	v_and_b32_e32 v43, 7, v43
	v_cmp_gt_u32_e64 s[4:5], 8, v42
	v_cndmask_b32_e64 v17, v45, v17, s[4:5]
	v_cndmask_b32_e64 v40, v40, v43, s[4:5]
	v_lshlrev_b32_e32 v41, 24, v41
	v_lshlrev_b32_e32 v40, 20, v40
	v_and_b32_e32 v41, 0x80000000, v41
	v_lshl_add_u32 v17, v17, 23, v32
	v_or3_b32 v40, v41, v17, v40
.LBB164_46:                             ;   in Loop: Header=BB164_13 Depth=1
	s_or_b64 exec, exec, s[44:45]
.LBB164_47:                             ;   in Loop: Header=BB164_13 Depth=1
	s_or_b64 exec, exec, s[42:43]
.LBB164_48:                             ;   in Loop: Header=BB164_13 Depth=1
	s_or_b64 exec, exec, s[40:41]
	global_load_ubyte v41, v[15:16], off offset:264
	s_waitcnt vmcnt(0)
	v_cmp_ne_u16_e64 s[4:5], 0, v41
	s_and_saveexec_b64 s[40:41], s[4:5]
	s_cbranch_execz .LBB164_54
; %bb.49:                               ;   in Loop: Header=BB164_13 Depth=1
	v_cmp_ne_u16_e64 s[4:5], s52, v41
	v_bfrev_b32_e32 v39, 1
	s_and_saveexec_b64 s[42:43], s[4:5]
	s_cbranch_execz .LBB164_53
; %bb.50:                               ;   in Loop: Header=BB164_13 Depth=1
	v_and_b32_e32 v17, 0xffff, v41
	v_and_b32_e32 v42, 0x7f, v17
	v_cmp_ne_u32_e64 s[4:5], s53, v42
	v_mov_b32_e32 v39, 0x7f800001
	s_and_saveexec_b64 s[44:45], s[4:5]
	s_cbranch_execz .LBB164_52
; %bb.51:                               ;   in Loop: Header=BB164_13 Depth=1
	v_and_b32_e32 v39, 7, v17
	v_ffbh_u32_e32 v43, v39
	v_min_u32_e32 v46, 32, v43
	v_subrev_u32_e32 v43, 28, v46
	v_lshlrev_b64 v[43:44], v43, v[17:18]
	v_lshrrev_b32_e32 v45, 3, v42
	v_sub_u32_e32 v17, 29, v46
	v_and_b32_e32 v43, 7, v43
	v_cmp_gt_u32_e64 s[4:5], 8, v42
	v_cndmask_b32_e64 v17, v45, v17, s[4:5]
	v_cndmask_b32_e64 v39, v39, v43, s[4:5]
	v_lshlrev_b32_e32 v41, 24, v41
	v_lshlrev_b32_e32 v39, 20, v39
	v_and_b32_e32 v41, 0x80000000, v41
	v_lshl_add_u32 v17, v17, 23, v32
	v_or3_b32 v39, v41, v17, v39
.LBB164_52:                             ;   in Loop: Header=BB164_13 Depth=1
	s_or_b64 exec, exec, s[44:45]
.LBB164_53:                             ;   in Loop: Header=BB164_13 Depth=1
	s_or_b64 exec, exec, s[42:43]
.LBB164_54:                             ;   in Loop: Header=BB164_13 Depth=1
	s_or_b64 exec, exec, s[40:41]
	global_load_ubyte v43, v[15:16], off offset:384
	v_mov_b32_e32 v41, 0
	v_mov_b32_e32 v42, 0
	s_waitcnt vmcnt(0)
	v_cmp_ne_u16_e64 s[4:5], 0, v43
	s_and_saveexec_b64 s[40:41], s[4:5]
	s_cbranch_execz .LBB164_60
; %bb.55:                               ;   in Loop: Header=BB164_13 Depth=1
	v_cmp_ne_u16_e64 s[4:5], s52, v43
	v_bfrev_b32_e32 v42, 1
	s_and_saveexec_b64 s[42:43], s[4:5]
	s_cbranch_execz .LBB164_59
; %bb.56:                               ;   in Loop: Header=BB164_13 Depth=1
	v_and_b32_e32 v17, 0xffff, v43
	v_and_b32_e32 v44, 0x7f, v17
	v_cmp_ne_u32_e64 s[4:5], s53, v44
	v_mov_b32_e32 v42, 0x7f800001
	s_and_saveexec_b64 s[44:45], s[4:5]
	s_cbranch_execz .LBB164_58
; %bb.57:                               ;   in Loop: Header=BB164_13 Depth=1
	v_and_b32_e32 v42, 7, v17
	v_ffbh_u32_e32 v45, v42
	v_min_u32_e32 v48, 32, v45
	v_subrev_u32_e32 v45, 28, v48
	v_lshlrev_b64 v[45:46], v45, v[17:18]
	v_lshrrev_b32_e32 v47, 3, v44
	v_sub_u32_e32 v17, 29, v48
	v_and_b32_e32 v45, 7, v45
	v_cmp_gt_u32_e64 s[4:5], 8, v44
	v_cndmask_b32_e64 v17, v47, v17, s[4:5]
	v_cndmask_b32_e64 v42, v42, v45, s[4:5]
	v_lshlrev_b32_e32 v43, 24, v43
	v_lshlrev_b32_e32 v42, 20, v42
	v_and_b32_e32 v43, 0x80000000, v43
	v_lshl_add_u32 v17, v17, 23, v32
	v_or3_b32 v42, v43, v17, v42
.LBB164_58:                             ;   in Loop: Header=BB164_13 Depth=1
	s_or_b64 exec, exec, s[44:45]
.LBB164_59:                             ;   in Loop: Header=BB164_13 Depth=1
	s_or_b64 exec, exec, s[42:43]
.LBB164_60:                             ;   in Loop: Header=BB164_13 Depth=1
	s_or_b64 exec, exec, s[40:41]
	global_load_ubyte v43, v[15:16], off offset:392
	s_waitcnt vmcnt(0)
	v_cmp_ne_u16_e64 s[4:5], 0, v43
	s_and_saveexec_b64 s[40:41], s[4:5]
	s_cbranch_execz .LBB164_66
; %bb.61:                               ;   in Loop: Header=BB164_13 Depth=1
	v_cmp_ne_u16_e64 s[4:5], s52, v43
	v_bfrev_b32_e32 v41, 1
	s_and_saveexec_b64 s[42:43], s[4:5]
	s_cbranch_execz .LBB164_65
; %bb.62:                               ;   in Loop: Header=BB164_13 Depth=1
	v_and_b32_e32 v17, 0xffff, v43
	v_and_b32_e32 v44, 0x7f, v17
	v_cmp_ne_u32_e64 s[4:5], s53, v44
	v_mov_b32_e32 v41, 0x7f800001
	s_and_saveexec_b64 s[44:45], s[4:5]
	s_cbranch_execz .LBB164_64
; %bb.63:                               ;   in Loop: Header=BB164_13 Depth=1
	v_and_b32_e32 v41, 7, v17
	v_ffbh_u32_e32 v45, v41
	v_min_u32_e32 v48, 32, v45
	v_subrev_u32_e32 v45, 28, v48
	v_lshlrev_b64 v[45:46], v45, v[17:18]
	v_lshrrev_b32_e32 v47, 3, v44
	v_sub_u32_e32 v17, 29, v48
	v_and_b32_e32 v45, 7, v45
	v_cmp_gt_u32_e64 s[4:5], 8, v44
	v_cndmask_b32_e64 v17, v47, v17, s[4:5]
	v_cndmask_b32_e64 v41, v41, v45, s[4:5]
	v_lshlrev_b32_e32 v43, 24, v43
	v_lshlrev_b32_e32 v41, 20, v41
	v_and_b32_e32 v43, 0x80000000, v43
	v_lshl_add_u32 v17, v17, 23, v32
	v_or3_b32 v41, v43, v17, v41
.LBB164_64:                             ;   in Loop: Header=BB164_13 Depth=1
	s_or_b64 exec, exec, s[44:45]
.LBB164_65:                             ;   in Loop: Header=BB164_13 Depth=1
	s_or_b64 exec, exec, s[42:43]
.LBB164_66:                             ;   in Loop: Header=BB164_13 Depth=1
	s_or_b64 exec, exec, s[40:41]
	global_load_ubyte v45, v[15:16], off offset:512
	v_mov_b32_e32 v43, 0
	v_mov_b32_e32 v44, 0
	s_waitcnt vmcnt(0)
	v_cmp_ne_u16_e64 s[4:5], 0, v45
	s_and_saveexec_b64 s[40:41], s[4:5]
	s_cbranch_execz .LBB164_72
; %bb.67:                               ;   in Loop: Header=BB164_13 Depth=1
	v_cmp_ne_u16_e64 s[4:5], s52, v45
	v_bfrev_b32_e32 v44, 1
	s_and_saveexec_b64 s[42:43], s[4:5]
	s_cbranch_execz .LBB164_71
; %bb.68:                               ;   in Loop: Header=BB164_13 Depth=1
	v_and_b32_e32 v17, 0xffff, v45
	v_and_b32_e32 v46, 0x7f, v17
	v_cmp_ne_u32_e64 s[4:5], s53, v46
	v_mov_b32_e32 v44, 0x7f800001
	s_and_saveexec_b64 s[44:45], s[4:5]
	s_cbranch_execz .LBB164_70
; %bb.69:                               ;   in Loop: Header=BB164_13 Depth=1
	v_and_b32_e32 v44, 7, v17
	v_ffbh_u32_e32 v47, v44
	v_min_u32_e32 v50, 32, v47
	v_subrev_u32_e32 v47, 28, v50
	v_lshlrev_b64 v[47:48], v47, v[17:18]
	v_lshrrev_b32_e32 v49, 3, v46
	v_sub_u32_e32 v17, 29, v50
	v_and_b32_e32 v47, 7, v47
	v_cmp_gt_u32_e64 s[4:5], 8, v46
	v_cndmask_b32_e64 v17, v49, v17, s[4:5]
	v_cndmask_b32_e64 v44, v44, v47, s[4:5]
	v_lshlrev_b32_e32 v45, 24, v45
	v_lshlrev_b32_e32 v44, 20, v44
	v_and_b32_e32 v45, 0x80000000, v45
	v_lshl_add_u32 v17, v17, 23, v32
	v_or3_b32 v44, v45, v17, v44
.LBB164_70:                             ;   in Loop: Header=BB164_13 Depth=1
	s_or_b64 exec, exec, s[44:45]
.LBB164_71:                             ;   in Loop: Header=BB164_13 Depth=1
	s_or_b64 exec, exec, s[42:43]
.LBB164_72:                             ;   in Loop: Header=BB164_13 Depth=1
	s_or_b64 exec, exec, s[40:41]
	global_load_ubyte v16, v[15:16], off offset:520
	s_waitcnt vmcnt(0)
	v_cmp_ne_u16_e64 s[4:5], 0, v16
	s_and_saveexec_b64 s[40:41], s[4:5]
	s_cbranch_execz .LBB164_78
; %bb.73:                               ;   in Loop: Header=BB164_13 Depth=1
	v_cmp_ne_u16_e64 s[4:5], s52, v16
	v_bfrev_b32_e32 v43, 1
	s_and_saveexec_b64 s[42:43], s[4:5]
	s_cbranch_execz .LBB164_77
; %bb.74:                               ;   in Loop: Header=BB164_13 Depth=1
	v_and_b32_e32 v15, 0xffff, v16
	v_and_b32_e32 v17, 0x7f, v15
	v_cmp_ne_u32_e64 s[4:5], s53, v17
	v_mov_b32_e32 v43, 0x7f800001
	s_and_saveexec_b64 s[44:45], s[4:5]
	s_cbranch_execz .LBB164_76
; %bb.75:                               ;   in Loop: Header=BB164_13 Depth=1
	v_and_b32_e32 v43, 7, v15
	v_ffbh_u32_e32 v45, v43
	v_min_u32_e32 v48, 32, v45
	v_subrev_u32_e32 v45, 28, v48
	v_lshlrev_b64 v[45:46], v45, v[15:16]
	v_lshrrev_b32_e32 v47, 3, v17
	v_sub_u32_e32 v15, 29, v48
	v_and_b32_e32 v45, 7, v45
	v_cmp_gt_u32_e64 s[4:5], 8, v17
	v_cndmask_b32_e64 v15, v47, v15, s[4:5]
	v_cndmask_b32_e64 v17, v43, v45, s[4:5]
	v_lshlrev_b32_e32 v16, 24, v16
	v_lshlrev_b32_e32 v17, 20, v17
	v_and_b32_e32 v16, 0x80000000, v16
	v_lshl_add_u32 v15, v15, 23, v32
	v_or3_b32 v43, v16, v15, v17
.LBB164_76:                             ;   in Loop: Header=BB164_13 Depth=1
	s_or_b64 exec, exec, s[44:45]
.LBB164_77:                             ;   in Loop: Header=BB164_13 Depth=1
	s_or_b64 exec, exec, s[42:43]
.LBB164_78:                             ;   in Loop: Header=BB164_13 Depth=1
	s_or_b64 exec, exec, s[40:41]
	s_waitcnt lgkmcnt(0)
	v_mul_f32_e32 v35, s54, v35
	v_mul_f32_e32 v36, s54, v36
	;; [unrolled: 1-line block ×4, first 2 shown]
	v_fmac_f32_e32 v6, v5, v36
	v_mul_f32_e32 v37, s54, v37
	v_fmac_f32_e32 v6, v7, v38
	v_mul_f32_e32 v40, s54, v40
	;; [unrolled: 2-line block ×4, first 2 shown]
	v_mul_f32_e32 v17, s54, v42
	v_and_b32_e32 v41, 64, v33
	v_fmac_f32_e32 v6, v2, v39
	v_add_u32_e32 v41, 64, v41
	v_xor_b32_e32 v42, 4, v33
	v_fmac_f32_e32 v6, v3, v17
	v_mul_f32_e32 v15, s54, v44
	v_cmp_lt_i32_e64 s[4:5], v42, v41
	v_fmac_f32_e32 v6, v4, v16
	v_cndmask_b32_e64 v42, v33, v42, s[4:5]
	v_mul_f32_e32 v43, s54, v43
	v_fmac_f32_e32 v6, v13, v15
	v_lshlrev_b32_e32 v42, 2, v42
	v_fmac_f32_e32 v6, v14, v43
	ds_bpermute_b32 v1, v42, v6
	v_xor_b32_e32 v2, 2, v33
	v_cmp_lt_i32_e64 s[4:5], v2, v41
	v_cndmask_b32_e64 v2, v33, v2, s[4:5]
	v_lshlrev_b32_e32 v2, 2, v2
	s_waitcnt lgkmcnt(0)
	v_add_f32_e32 v1, v6, v1
	ds_bpermute_b32 v2, v2, v1
	v_xor_b32_e32 v3, 1, v33
	v_cmp_lt_i32_e64 s[4:5], v3, v41
	v_cndmask_b32_e64 v3, v33, v3, s[4:5]
	v_lshlrev_b32_e32 v3, 2, v3
	s_waitcnt lgkmcnt(0)
	v_add_f32_e32 v1, v1, v2
	ds_bpermute_b32 v2, v3, v1
	s_and_saveexec_b64 s[40:41], vcc
	s_cbranch_execz .LBB164_11
; %bb.79:                               ;   in Loop: Header=BB164_13 Depth=1
	v_add_u32_e32 v3, v29, v28
	v_cvt_f32_i32_e32 v3, v3
	s_waitcnt lgkmcnt(0)
	v_add_f32_e32 v1, v1, v2
	v_add_u32_e32 v4, v21, v28
	v_cmp_gt_i32_e64 s[4:5], s33, v4
	v_mul_f32_e32 v2, s49, v3
	v_cndmask_b32_e64 v2, 0, v2, s[2:3]
	v_fmac_f32_e32 v2, s37, v1
	v_cndmask_b32_e64 v1, 0, v2, s[4:5]
	ds_write_b32 v30, v1
	v_max_f32_e32 v1, v23, v23
	v_max_f32_e32 v1, v1, v2
	v_cndmask_b32_e64 v23, v23, v1, s[4:5]
	s_branch .LBB164_11
.LBB164_80:
	s_or_b64 exec, exec, s[38:39]
.LBB164_81:
	s_or_b64 exec, exec, s[18:19]
	s_waitcnt lgkmcnt(0)
	v_mbcnt_hi_u32_b32 v2, -1, v20
	v_and_b32_e32 v9, 64, v2
	v_add_u32_e32 v3, 64, v9
	v_xor_b32_e32 v1, 32, v2
	v_cmp_lt_i32_e32 vcc, v1, v3
	v_cndmask_b32_e32 v1, v2, v1, vcc
	v_lshlrev_b32_e32 v5, 2, v1
	ds_bpermute_b32 v1, v5, v23
	v_xor_b32_e32 v6, 16, v2
	v_max_f32_e32 v4, v23, v23
	v_cmp_lt_i32_e32 vcc, v6, v3
	v_xor_b32_e32 v8, 8, v2
	s_waitcnt lgkmcnt(0)
	v_max_f32_e32 v1, v1, v1
	v_max_f32_e32 v1, v4, v1
	v_cndmask_b32_e32 v4, v2, v6, vcc
	v_lshlrev_b32_e32 v7, 2, v4
	ds_bpermute_b32 v4, v7, v1
	v_cmp_lt_i32_e32 vcc, v8, v3
	s_waitcnt lgkmcnt(0)
	v_max_f32_e32 v4, v4, v4
	v_max_f32_e32 v6, v1, v4
	v_cndmask_b32_e32 v1, v2, v8, vcc
	v_lshlrev_b32_e32 v8, 2, v1
	ds_bpermute_b32 v10, v8, v6
	v_and_b32_e32 v1, 63, v0
	v_cmp_eq_u32_e32 vcc, 0, v1
	v_lshlrev_b32_e32 v4, 2, v25
	s_and_saveexec_b64 s[2:3], vcc
	s_cbranch_execz .LBB164_83
; %bb.82:
	s_waitcnt lgkmcnt(0)
	v_max_f32_e32 v10, v10, v10
	v_max_f32_e32 v6, v6, v6
	;; [unrolled: 1-line block ×3, first 2 shown]
	ds_write_b32 v4, v6 offset:320
.LBB164_83:
	s_or_b64 exec, exec, s[2:3]
	v_cmp_gt_u32_e64 s[2:3], 2, v1
	s_waitcnt lgkmcnt(0)
	v_mov_b32_e32 v10, 0xff7fffff
	v_lshlrev_b32_e32 v6, 2, v1
	s_barrier
	s_and_saveexec_b64 s[4:5], s[2:3]
; %bb.84:
	ds_read_b32 v10, v6 offset:320
; %bb.85:
	s_or_b64 exec, exec, s[4:5]
	v_xor_b32_e32 v11, 1, v2
	v_cmp_lt_i32_e64 s[4:5], v11, v3
	v_cndmask_b32_e64 v11, v2, v11, s[4:5]
	v_lshlrev_b32_e32 v27, 2, v11
	s_waitcnt lgkmcnt(0)
	ds_bpermute_b32 v11, v27, v10
	v_max_f32_e32 v10, v10, v10
	v_lshlrev_b32_e32 v9, 2, v9
	s_lshl_b32 s4, s48, 3
	s_min_i32 s23, s4, s33
	s_waitcnt lgkmcnt(0)
	v_max_f32_e32 v11, v11, v11
	v_max_f32_e32 v10, v10, v11
	ds_bpermute_b32 v10, v9, v10
	v_cmp_gt_i32_e64 s[4:5], s23, v0
	v_mov_b32_e32 v9, 0
	s_and_saveexec_b64 s[12:13], s[4:5]
	s_cbranch_execz .LBB164_89
; %bb.86:
	v_mov_b32_e32 v9, 0x150
	v_lshl_add_u32 v11, v0, 2, v9
	v_mov_b32_e32 v9, 0
	s_mov_b64 s[18:19], 0
	v_mov_b32_e32 v12, v0
.LBB164_87:                             ; =>This Inner Loop Header: Depth=1
	ds_read_b32 v13, v11
	v_add_u32_e32 v12, 0x80, v12
	v_cmp_le_i32_e64 s[6:7], s23, v12
	s_or_b64 s[18:19], s[6:7], s[18:19]
	s_waitcnt lgkmcnt(0)
	v_sub_f32_e32 v13, v13, v10
	v_mul_f32_e32 v13, 0x3fb8aa3b, v13
	v_exp_f32_e32 v13, v13
	ds_write_b32 v11, v13
	v_add_f32_e32 v9, v9, v13
	v_add_u32_e32 v11, 0x200, v11
	s_andn2_b64 exec, exec, s[18:19]
	s_cbranch_execnz .LBB164_87
; %bb.88:
	s_or_b64 exec, exec, s[18:19]
.LBB164_89:
	s_or_b64 exec, exec, s[12:13]
	ds_bpermute_b32 v5, v5, v9
	s_waitcnt lgkmcnt(0)
	v_add_f32_e32 v5, v9, v5
	ds_bpermute_b32 v7, v7, v5
	s_waitcnt lgkmcnt(0)
	v_add_f32_e32 v5, v5, v7
	ds_bpermute_b32 v7, v8, v5
	v_xor_b32_e32 v8, 4, v2
	v_cmp_lt_i32_e64 s[6:7], v8, v3
	v_cndmask_b32_e64 v8, v2, v8, s[6:7]
	v_lshlrev_b32_e32 v8, 2, v8
	s_waitcnt lgkmcnt(0)
	v_add_f32_e32 v5, v5, v7
	ds_bpermute_b32 v7, v8, v5
	v_xor_b32_e32 v8, 2, v2
	v_cmp_lt_i32_e64 s[6:7], v8, v3
	v_cndmask_b32_e64 v3, v2, v8, s[6:7]
	v_lshlrev_b32_e32 v3, 2, v3
	s_waitcnt lgkmcnt(0)
	v_add_f32_e32 v5, v5, v7
	ds_bpermute_b32 v3, v3, v5
	s_waitcnt lgkmcnt(0)
	v_add_f32_e32 v3, v5, v3
	ds_bpermute_b32 v5, v27, v3
	s_waitcnt lgkmcnt(0)
	v_add_f32_e32 v3, v3, v5
	s_and_saveexec_b64 s[6:7], vcc
; %bb.90:
	ds_write_b32 v4, v3 offset:328
; %bb.91:
	s_or_b64 exec, exec, s[6:7]
	s_waitcnt lgkmcnt(0)
	s_barrier
	s_and_saveexec_b64 s[6:7], s[2:3]
; %bb.92:
	ds_read_b32 v3, v6 offset:328
; %bb.93:
	s_or_b64 exec, exec, s[6:7]
	s_waitcnt lgkmcnt(0)
	ds_bpermute_b32 v4, v27, v3
	v_lshlrev_b32_e32 v2, 2, v2
	v_and_b32_e32 v2, 0x100, v2
	s_waitcnt lgkmcnt(0)
	v_add_f32_e32 v3, v3, v4
	ds_bpermute_b32 v2, v2, v3
	s_and_saveexec_b64 s[2:3], s[4:5]
	s_cbranch_execz .LBB164_96
; %bb.94:
	s_waitcnt lgkmcnt(0)
	v_add_f32_e32 v3, 0x358637bd, v2
	v_div_scale_f32 v2, s[4:5], v3, v3, 1.0
	v_div_scale_f32 v4, vcc, 1.0, v3, 1.0
	s_mov_b64 s[4:5], 0
	v_rcp_f32_e32 v5, v2
	v_fma_f32 v6, -v2, v5, 1.0
	v_fmac_f32_e32 v5, v6, v5
	v_mul_f32_e32 v6, v4, v5
	v_fma_f32 v7, -v2, v6, v4
	v_fmac_f32_e32 v6, v7, v5
	v_fma_f32 v2, -v2, v6, v4
	v_div_fmas_f32 v4, v2, v5, v6
	v_mov_b32_e32 v2, 0x150
	v_lshl_add_u32 v2, v0, 2, v2
	v_div_fixup_f32 v3, v4, v3, 1.0
	v_mov_b32_e32 v4, v0
.LBB164_95:                             ; =>This Inner Loop Header: Depth=1
	ds_read_b32 v5, v2
	v_add_u32_e32 v4, 0x80, v4
	v_cmp_le_i32_e32 vcc, s23, v4
	s_or_b64 s[4:5], vcc, s[4:5]
	s_waitcnt lgkmcnt(0)
	v_mul_f32_e32 v5, v3, v5
	ds_write_b32 v2, v5
	v_add_u32_e32 v2, 0x200, v2
	s_andn2_b64 exec, exec, s[4:5]
	s_cbranch_execnz .LBB164_95
.LBB164_96:
	s_or_b64 exec, exec, s[2:3]
	v_lshrrev_b32_e32 v28, 1, v1
	s_waitcnt lgkmcnt(0)
	s_barrier
	s_and_saveexec_b64 s[2:3], s[0:1]
	s_xor_b64 s[0:1], exec, s[2:3]
; %bb.97:
	v_lshrrev_b32_e32 v28, 1, v1
                                        ; implicit-def: $vgpr26
                                        ; implicit-def: $vgpr25
                                        ; implicit-def: $vgpr18
                                        ; implicit-def: $vgpr19
; %bb.98:
	s_or_saveexec_b64 s[4:5], s[0:1]
	v_mov_b32_e32 v33, 0
	v_and_b32_e32 v29, 1, v0
	v_mov_b32_e32 v34, 0
	v_mov_b32_e32 v35, 0
	s_xor_b64 exec, exec, s[4:5]
	s_cbranch_execz .LBB164_184
; %bb.99:
	s_sub_i32 s37, s16, s21
	s_ashr_i32 s0, s20, 31
	s_add_u32 s6, s34, s20
	s_addc_u32 s7, s35, s0
	s_abs_i32 s34, s22
	v_cvt_f32_u32_e32 v1, s34
	s_sub_i32 s1, 0, s34
	v_and_b32_e32 v30, 4, v18
	v_or_b32_e32 v2, 64, v28
	v_rcp_iflag_f32_e32 v1, v1
	s_movk_i32 s0, 0x50
	v_cmp_gt_u32_e32 vcc, s0, v2
	v_lshl_or_b32 v32, v2, 3, v30
	v_mul_f32_e32 v1, 0x4f7ffffe, v1
	v_cvt_u32_f32_e32 v1, v1
	s_add_i32 s38, s48, -1
	v_and_b32_e32 v3, 60, v19
	v_mov_b32_e32 v5, 0
	v_mul_lo_u32 v4, s1, v1
	s_lshl_b64 s[0:1], s[30:31], 2
	s_add_u32 s0, s28, s0
	s_addc_u32 s1, s29, s1
	v_mul_hi_u32 v2, v1, v4
	s_mov_b32 s35, s17
	v_lshl_or_b32 v31, v28, 3, v30
	s_mov_b64 s[12:13], 0
	v_add_u32_e32 v36, v1, v2
	v_mov_b32_e32 v1, s1
	v_add_co_u32_e64 v7, s[0:1], s0, v3
	v_addc_co_u32_e64 v8, s[0:1], 0, v1, s[0:1]
	v_lshlrev_b32_e32 v1, 4, v29
	v_lshl_or_b32 v1, v25, 5, v1
	v_add_u32_e32 v37, 0x150, v1
	s_movk_i32 s30, 0x80
	s_movk_i32 s31, 0x7f
	s_brev_b32 s39, 1
	s_mov_b32 s40, 0xffffff
	v_bfrev_b32_e32 v38, 60
	v_bfrev_b32_e32 v6, 1
	v_mov_b32_e32 v10, 0x7f800001
	v_mov_b32_e32 v39, 7
	;; [unrolled: 1-line block ×6, first 2 shown]
	s_branch .LBB164_103
.LBB164_100:                            ;   in Loop: Header=BB164_103 Depth=1
	s_or_b64 exec, exec, s[2:3]
	v_mul_f32_e32 v13, v1, v13
	v_fmac_f32_e32 v13, v2, v9
	v_fmac_f32_e32 v13, v3, v12
	;; [unrolled: 1-line block ×3, first 2 shown]
	v_add_f32_e32 v35, v35, v13
.LBB164_101:                            ;   in Loop: Header=BB164_103 Depth=1
	s_or_b64 exec, exec, s[18:19]
	v_mul_f32_e32 v9, v1, v45
	v_mul_f32_e32 v1, v1, v42
	v_fmac_f32_e32 v9, v2, v44
	v_fmac_f32_e32 v1, v2, v41
	;; [unrolled: 1-line block ×6, first 2 shown]
	v_add_f32_e32 v34, v34, v9
	v_add_f32_e32 v33, v33, v1
.LBB164_102:                            ;   in Loop: Header=BB164_103 Depth=1
	s_or_b64 exec, exec, s[16:17]
	v_add_co_u32_e64 v7, s[0:1], 8, v7
	v_add_u32_e32 v25, 2, v25
	v_addc_co_u32_e64 v8, s[0:1], 0, v8, s[0:1]
	v_cmp_le_i32_e64 s[0:1], s48, v25
	v_add_u32_e32 v26, 16, v26
	s_or_b64 s[12:13], s[0:1], s[12:13]
	v_add_u32_e32 v37, 64, v37
	s_andn2_b64 exec, exec, s[12:13]
	s_cbranch_execz .LBB164_183
.LBB164_103:                            ; =>This Inner Loop Header: Depth=1
	v_mul_hi_u32 v1, v26, s46
	v_mul_lo_u32 v2, v1, s25
	v_add_u32_e32 v3, 1, v1
	v_sub_u32_e32 v2, v26, v2
	v_cmp_le_u32_e64 s[0:1], s25, v2
	v_cndmask_b32_e64 v1, v1, v3, s[0:1]
	v_subrev_u32_e32 v3, s25, v2
	v_cndmask_b32_e64 v2, v2, v3, s[0:1]
	v_add_u32_e32 v3, 1, v1
	v_cmp_le_u32_e64 s[0:1], s25, v2
	v_cndmask_b32_e64 v1, v1, v3, s[0:1]
	v_xor_b32_e32 v1, s47, v1
	v_subrev_u32_e32 v1, s47, v1
	v_add_u32_e32 v2, s36, v1
	v_sub_u32_e32 v3, 0, v2
	v_max_i32_e32 v3, v2, v3
	v_mul_hi_u32 v4, v3, v36
	v_ashrrev_i32_e32 v2, 31, v2
	v_cmp_lt_i32_e64 s[2:3], s37, v1
	v_mul_lo_u32 v4, v4, s34
	v_sub_u32_e32 v3, v3, v4
	v_subrev_u32_e32 v4, s34, v3
	v_cmp_le_u32_e64 s[0:1], s34, v3
	v_cndmask_b32_e64 v3, v3, v4, s[0:1]
	v_subrev_u32_e32 v4, s34, v3
	v_cmp_le_u32_e64 s[0:1], s34, v3
	v_cndmask_b32_e64 v3, v3, v4, s[0:1]
	v_xor_b32_e32 v3, v3, v2
	v_sub_u32_e32 v2, v3, v2
	v_cmp_eq_u32_e64 s[0:1], 0, v2
	s_or_b64 s[0:1], s[0:1], s[2:3]
	s_and_saveexec_b64 s[16:17], s[0:1]
	s_cbranch_execz .LBB164_102
; %bb.104:                              ;   in Loop: Header=BB164_103 Depth=1
	global_load_dword v3, v[7:8], off
	v_mov_b32_e32 v1, s6
	v_mov_b32_e32 v2, s7
	s_load_dword s41, s[14:15], 0x0
	v_mov_b32_e32 v18, 0
	v_mov_b32_e32 v16, 0
	;; [unrolled: 1-line block ×4, first 2 shown]
	s_waitcnt vmcnt(0)
	v_mad_i64_i32 v[11:12], s[0:1], v3, s35, v[1:2]
	ds_read_b128 v[1:4], v37
	v_add_co_u32_e64 v13, s[0:1], v11, v31
	v_addc_co_u32_e64 v14, s[0:1], 0, v12, s[0:1]
	global_load_dword v15, v[13:14], off
	s_waitcnt vmcnt(0)
	v_cmp_ne_u16_sdwa s[0:1], v15, v5 src0_sel:BYTE_0 src1_sel:DWORD
	s_and_saveexec_b64 s[2:3], s[0:1]
	s_cbranch_execz .LBB164_110
; %bb.105:                              ;   in Loop: Header=BB164_103 Depth=1
	v_bfrev_b32_e32 v16, 1
	v_mov_b32_e32 v17, 0
	v_cmp_ne_u16_sdwa s[0:1], v15, s30 src0_sel:BYTE_0 src1_sel:DWORD
	s_and_saveexec_b64 s[18:19], s[0:1]
	s_cbranch_execz .LBB164_109
; %bb.106:                              ;   in Loop: Header=BB164_103 Depth=1
	v_and_b32_e32 v9, 0x7f, v15
	v_mov_b32_e32 v16, 0x7f800001
	v_mov_b32_e32 v17, 0
	v_cmp_ne_u32_e64 s[0:1], s31, v9
	s_and_saveexec_b64 s[20:21], s[0:1]
	s_cbranch_execz .LBB164_108
; %bb.107:                              ;   in Loop: Header=BB164_103 Depth=1
	v_and_b32_e32 v20, 7, v15
	v_ffbh_u32_e32 v16, v20
	v_min_u32_e32 v22, 32, v16
	v_subrev_u32_e32 v16, 28, v22
	v_lshlrev_b64 v[16:17], v16, v[15:16]
	v_lshrrev_b32_e32 v21, 3, v9
	v_sub_u32_e32 v17, 29, v22
	v_and_b32_e32 v16, 7, v16
	v_cmp_gt_u32_e64 s[0:1], 8, v9
	v_cndmask_b32_e64 v9, v21, v17, s[0:1]
	v_cndmask_b32_e64 v16, v20, v16, s[0:1]
	v_lshlrev_b32_e32 v16, 20, v16
	v_and_b32_sdwa v17, sext(v15), s39 dst_sel:DWORD dst_unused:UNUSED_PAD src0_sel:BYTE_0 src1_sel:DWORD
	v_lshl_add_u32 v9, v9, 23, v38
	v_or3_b32 v16, v17, v9, v16
	v_mov_b32_e32 v17, v5
.LBB164_108:                            ;   in Loop: Header=BB164_103 Depth=1
	s_or_b64 exec, exec, s[20:21]
.LBB164_109:                            ;   in Loop: Header=BB164_103 Depth=1
	s_or_b64 exec, exec, s[18:19]
.LBB164_110:                            ;   in Loop: Header=BB164_103 Depth=1
	s_or_b64 exec, exec, s[2:3]
	v_cmp_ne_u16_sdwa s[0:1], v15, v5 src0_sel:BYTE_1 src1_sel:DWORD
	s_and_saveexec_b64 s[2:3], s[0:1]
	s_cbranch_execz .LBB164_116
; %bb.111:                              ;   in Loop: Header=BB164_103 Depth=1
	v_mov_b32_e32 v19, v6
	v_cmp_ne_u16_sdwa s[0:1], v15, s30 src0_sel:BYTE_1 src1_sel:DWORD
	v_mov_b32_e32 v18, v5
	s_and_saveexec_b64 s[18:19], s[0:1]
	s_cbranch_execz .LBB164_115
; %bb.112:                              ;   in Loop: Header=BB164_103 Depth=1
	v_and_b32_sdwa v20, v15, s31 dst_sel:DWORD dst_unused:UNUSED_PAD src0_sel:BYTE_1 src1_sel:DWORD
	v_mov_b32_e32 v9, v5
	v_mov_b32_e32 v19, v10
	v_cmp_ne_u32_e64 s[0:1], s31, v20
	v_mov_b32_e32 v18, v9
	s_and_saveexec_b64 s[20:21], s[0:1]
	s_cbranch_execz .LBB164_114
; %bb.113:                              ;   in Loop: Header=BB164_103 Depth=1
	v_and_b32_sdwa v18, v15, v39 dst_sel:DWORD dst_unused:UNUSED_PAD src0_sel:BYTE_1 src1_sel:DWORD
	v_ffbh_u32_e32 v21, v18
	v_min_u32_e32 v23, 32, v21
	v_mov_b32_e32 v19, v5
	v_subrev_u32_e32 v21, 28, v23
	v_lshlrev_b64 v[21:22], v21, v[18:19]
	v_lshrrev_b32_e32 v9, 3, v20
	v_sub_u32_e32 v19, 29, v23
	v_cmp_gt_u32_e64 s[0:1], 8, v20
	v_and_b32_e32 v21, 7, v21
	v_cndmask_b32_e64 v9, v9, v19, s[0:1]
	v_cndmask_b32_e64 v18, v18, v21, s[0:1]
	v_lshlrev_b32_e32 v19, 16, v15
	v_lshl_add_u32 v9, v9, 23, v38
	v_and_or_b32 v9, v19, s39, v9
	v_lshlrev_b32_e32 v18, 20, v18
	v_or_b32_e32 v19, v9, v18
	v_mov_b32_e32 v18, v5
.LBB164_114:                            ;   in Loop: Header=BB164_103 Depth=1
	s_or_b64 exec, exec, s[20:21]
.LBB164_115:                            ;   in Loop: Header=BB164_103 Depth=1
	s_or_b64 exec, exec, s[18:19]
.LBB164_116:                            ;   in Loop: Header=BB164_103 Depth=1
	s_or_b64 exec, exec, s[2:3]
	v_lshrrev_b32_e32 v9, 16, v15
	v_mov_b32_e32 v22, 0
	v_mov_b32_e32 v20, 0
	;; [unrolled: 1-line block ×4, first 2 shown]
	v_cmp_ne_u16_sdwa s[0:1], v9, v5 src0_sel:BYTE_0 src1_sel:DWORD
	s_and_saveexec_b64 s[2:3], s[0:1]
	s_cbranch_execz .LBB164_122
; %bb.117:                              ;   in Loop: Header=BB164_103 Depth=1
	v_bfrev_b32_e32 v20, 1
	v_mov_b32_e32 v21, 0
	v_cmp_ne_u16_sdwa s[0:1], v9, s30 src0_sel:BYTE_0 src1_sel:DWORD
	s_and_saveexec_b64 s[18:19], s[0:1]
	s_cbranch_execz .LBB164_121
; %bb.118:                              ;   in Loop: Header=BB164_103 Depth=1
	v_bfe_u32 v41, v15, 16, 7
	v_mov_b32_e32 v20, 0x7f800001
	v_mov_b32_e32 v21, 0
	v_cmp_ne_u32_e64 s[0:1], s31, v41
	s_and_saveexec_b64 s[20:21], s[0:1]
	s_cbranch_execz .LBB164_120
; %bb.119:                              ;   in Loop: Header=BB164_103 Depth=1
	v_and_b32_e32 v42, 7, v9
	v_ffbh_u32_e32 v20, v42
	v_min_u32_e32 v44, 32, v20
	v_subrev_u32_e32 v20, 28, v44
	v_lshlrev_b64 v[20:21], v20, v[9:10]
	v_lshrrev_b32_e32 v43, 3, v41
	v_sub_u32_e32 v21, 29, v44
	v_and_b32_e32 v20, 7, v20
	v_cmp_gt_u32_e64 s[0:1], 8, v41
	v_cndmask_b32_e64 v21, v43, v21, s[0:1]
	v_cndmask_b32_e64 v20, v42, v20, s[0:1]
	v_lshlrev_b32_e32 v20, 20, v20
	v_and_b32_sdwa v9, sext(v9), s39 dst_sel:DWORD dst_unused:UNUSED_PAD src0_sel:BYTE_0 src1_sel:DWORD
	v_lshl_add_u32 v21, v21, 23, v38
	v_or3_b32 v20, v9, v21, v20
	v_mov_b32_e32 v21, v5
.LBB164_120:                            ;   in Loop: Header=BB164_103 Depth=1
	s_or_b64 exec, exec, s[20:21]
.LBB164_121:                            ;   in Loop: Header=BB164_103 Depth=1
	s_or_b64 exec, exec, s[18:19]
.LBB164_122:                            ;   in Loop: Header=BB164_103 Depth=1
	s_or_b64 exec, exec, s[2:3]
	v_cmp_lt_u32_e64 s[0:1], s40, v15
	s_and_saveexec_b64 s[2:3], s[0:1]
	s_cbranch_execz .LBB164_128
; %bb.123:                              ;   in Loop: Header=BB164_103 Depth=1
	v_mov_b32_e32 v23, v6
	v_cmp_ne_u32_sdwa s[0:1], v15, s30 src0_sel:BYTE_3 src1_sel:DWORD
	v_mov_b32_e32 v22, v5
	s_and_saveexec_b64 s[18:19], s[0:1]
	s_cbranch_execz .LBB164_127
; %bb.124:                              ;   in Loop: Header=BB164_103 Depth=1
	v_bfe_u32 v41, v15, 24, 7
	v_mov_b32_e32 v9, v5
	v_mov_b32_e32 v23, v10
	v_cmp_ne_u32_e64 s[0:1], s31, v41
	v_mov_b32_e32 v22, v9
	s_and_saveexec_b64 s[20:21], s[0:1]
	s_cbranch_execz .LBB164_126
; %bb.125:                              ;   in Loop: Header=BB164_103 Depth=1
	v_and_b32_sdwa v22, v15, v39 dst_sel:DWORD dst_unused:UNUSED_PAD src0_sel:BYTE_3 src1_sel:DWORD
	v_ffbh_u32_e32 v42, v22
	v_min_u32_e32 v44, 32, v42
	v_mov_b32_e32 v23, v5
	v_subrev_u32_e32 v42, 28, v44
	v_lshlrev_b64 v[42:43], v42, v[22:23]
	v_lshrrev_b32_e32 v9, 3, v41
	v_sub_u32_e32 v23, 29, v44
	v_cmp_gt_u32_e64 s[0:1], 8, v41
	v_and_b32_e32 v42, 7, v42
	v_cndmask_b32_e64 v9, v9, v23, s[0:1]
	v_cndmask_b32_e64 v22, v22, v42, s[0:1]
	v_lshlrev_b32_sdwa v15, v40, v15 dst_sel:DWORD dst_unused:UNUSED_PAD src0_sel:DWORD src1_sel:BYTE_3
	v_lshl_add_u32 v9, v9, 23, v38
	v_and_or_b32 v9, v15, s39, v9
	v_lshlrev_b32_e32 v15, 20, v22
	v_or_b32_e32 v23, v9, v15
	v_mov_b32_e32 v22, v5
.LBB164_126:                            ;   in Loop: Header=BB164_103 Depth=1
	s_or_b64 exec, exec, s[20:21]
.LBB164_127:                            ;   in Loop: Header=BB164_103 Depth=1
	s_or_b64 exec, exec, s[18:19]
.LBB164_128:                            ;   in Loop: Header=BB164_103 Depth=1
	s_or_b64 exec, exec, s[2:3]
	v_or_b32_e32 v9, v19, v17
	v_or_b32_e32 v15, v18, v16
	s_waitcnt lgkmcnt(0)
	v_mul_f32_e32 v41, s41, v9
	v_mul_f32_e32 v42, s41, v15
	v_or_b32_e32 v9, v23, v21
	v_or_b32_e32 v15, v22, v20
	v_add_u32_e32 v43, v30, v26
	v_cmp_eq_u32_e64 s[0:1], s38, v25
	v_mul_f32_e32 v23, s41, v15
	v_mul_f32_e32 v22, s41, v9
	s_and_saveexec_b64 s[18:19], s[0:1]
	s_cbranch_execz .LBB164_130
; %bb.129:                              ;   in Loop: Header=BB164_103 Depth=1
	v_cmp_gt_i32_e64 s[2:3], s33, v43
	v_add_u32_e32 v9, 1, v43
	v_cndmask_b32_e64 v42, 0, v42, s[2:3]
	v_cmp_gt_i32_e64 s[2:3], s33, v9
	v_add_u32_e32 v9, 2, v43
	v_cndmask_b32_e64 v41, 0, v41, s[2:3]
	;; [unrolled: 3-line block ×3, first 2 shown]
	v_cmp_gt_i32_e64 s[2:3], s33, v9
	v_cndmask_b32_e64 v22, 0, v22, s[2:3]
.LBB164_130:                            ;   in Loop: Header=BB164_103 Depth=1
	s_or_b64 exec, exec, s[18:19]
	global_load_dword v13, v[13:14], off offset:256
	v_mov_b32_e32 v16, 0
	v_mov_b32_e32 v14, 0
	v_mov_b32_e32 v17, 0
	v_mov_b32_e32 v15, 0
	s_waitcnt vmcnt(0)
	v_cmp_ne_u16_sdwa s[2:3], v13, v5 src0_sel:BYTE_0 src1_sel:DWORD
	s_and_saveexec_b64 s[18:19], s[2:3]
	s_cbranch_execz .LBB164_136
; %bb.131:                              ;   in Loop: Header=BB164_103 Depth=1
	v_bfrev_b32_e32 v14, 1
	v_mov_b32_e32 v15, 0
	v_cmp_ne_u16_sdwa s[2:3], v13, s30 src0_sel:BYTE_0 src1_sel:DWORD
	s_and_saveexec_b64 s[20:21], s[2:3]
	s_cbranch_execz .LBB164_135
; %bb.132:                              ;   in Loop: Header=BB164_103 Depth=1
	v_and_b32_e32 v9, 0x7f, v13
	v_mov_b32_e32 v14, 0x7f800001
	v_mov_b32_e32 v15, 0
	v_cmp_ne_u32_e64 s[2:3], s31, v9
	s_and_saveexec_b64 s[22:23], s[2:3]
	s_cbranch_execz .LBB164_134
; %bb.133:                              ;   in Loop: Header=BB164_103 Depth=1
	v_and_b32_e32 v18, 7, v13
	v_ffbh_u32_e32 v14, v18
	v_min_u32_e32 v20, 32, v14
	v_subrev_u32_e32 v14, 28, v20
	v_lshlrev_b64 v[14:15], v14, v[13:14]
	v_lshrrev_b32_e32 v19, 3, v9
	v_sub_u32_e32 v15, 29, v20
	v_and_b32_e32 v14, 7, v14
	v_cmp_gt_u32_e64 s[2:3], 8, v9
	v_cndmask_b32_e64 v9, v19, v15, s[2:3]
	v_cndmask_b32_e64 v14, v18, v14, s[2:3]
	v_lshlrev_b32_e32 v14, 20, v14
	v_and_b32_sdwa v15, sext(v13), s39 dst_sel:DWORD dst_unused:UNUSED_PAD src0_sel:BYTE_0 src1_sel:DWORD
	v_lshl_add_u32 v9, v9, 23, v38
	v_or3_b32 v14, v15, v9, v14
	v_mov_b32_e32 v15, v5
.LBB164_134:                            ;   in Loop: Header=BB164_103 Depth=1
	s_or_b64 exec, exec, s[22:23]
.LBB164_135:                            ;   in Loop: Header=BB164_103 Depth=1
	s_or_b64 exec, exec, s[20:21]
.LBB164_136:                            ;   in Loop: Header=BB164_103 Depth=1
	s_or_b64 exec, exec, s[18:19]
	v_cmp_ne_u16_sdwa s[2:3], v13, v5 src0_sel:BYTE_1 src1_sel:DWORD
	s_and_saveexec_b64 s[18:19], s[2:3]
	s_cbranch_execz .LBB164_142
; %bb.137:                              ;   in Loop: Header=BB164_103 Depth=1
	v_mov_b32_e32 v17, v6
	v_cmp_ne_u16_sdwa s[2:3], v13, s30 src0_sel:BYTE_1 src1_sel:DWORD
	v_mov_b32_e32 v16, v5
	s_and_saveexec_b64 s[20:21], s[2:3]
	s_cbranch_execz .LBB164_141
; %bb.138:                              ;   in Loop: Header=BB164_103 Depth=1
	v_and_b32_sdwa v18, v13, s31 dst_sel:DWORD dst_unused:UNUSED_PAD src0_sel:BYTE_1 src1_sel:DWORD
	v_mov_b32_e32 v9, v5
	v_mov_b32_e32 v17, v10
	v_cmp_ne_u32_e64 s[2:3], s31, v18
	v_mov_b32_e32 v16, v9
	s_and_saveexec_b64 s[22:23], s[2:3]
	s_cbranch_execz .LBB164_140
; %bb.139:                              ;   in Loop: Header=BB164_103 Depth=1
	v_and_b32_sdwa v16, v13, v39 dst_sel:DWORD dst_unused:UNUSED_PAD src0_sel:BYTE_1 src1_sel:DWORD
	v_ffbh_u32_e32 v19, v16
	v_min_u32_e32 v21, 32, v19
	v_mov_b32_e32 v17, v5
	v_subrev_u32_e32 v19, 28, v21
	v_lshlrev_b64 v[19:20], v19, v[16:17]
	v_lshrrev_b32_e32 v9, 3, v18
	v_sub_u32_e32 v17, 29, v21
	v_cmp_gt_u32_e64 s[2:3], 8, v18
	v_and_b32_e32 v19, 7, v19
	v_cndmask_b32_e64 v9, v9, v17, s[2:3]
	v_cndmask_b32_e64 v16, v16, v19, s[2:3]
	v_lshlrev_b32_e32 v17, 16, v13
	v_lshl_add_u32 v9, v9, 23, v38
	v_and_or_b32 v9, v17, s39, v9
	v_lshlrev_b32_e32 v16, 20, v16
	v_or_b32_e32 v17, v9, v16
	v_mov_b32_e32 v16, v5
.LBB164_140:                            ;   in Loop: Header=BB164_103 Depth=1
	s_or_b64 exec, exec, s[22:23]
.LBB164_141:                            ;   in Loop: Header=BB164_103 Depth=1
	s_or_b64 exec, exec, s[20:21]
.LBB164_142:                            ;   in Loop: Header=BB164_103 Depth=1
	s_or_b64 exec, exec, s[18:19]
	v_lshrrev_b32_e32 v9, 16, v13
	v_mov_b32_e32 v20, 0
	v_mov_b32_e32 v18, 0
	;; [unrolled: 1-line block ×4, first 2 shown]
	v_cmp_ne_u16_sdwa s[2:3], v9, v5 src0_sel:BYTE_0 src1_sel:DWORD
	s_and_saveexec_b64 s[18:19], s[2:3]
	s_cbranch_execz .LBB164_148
; %bb.143:                              ;   in Loop: Header=BB164_103 Depth=1
	v_bfrev_b32_e32 v18, 1
	v_mov_b32_e32 v19, 0
	v_cmp_ne_u16_sdwa s[2:3], v9, s30 src0_sel:BYTE_0 src1_sel:DWORD
	s_and_saveexec_b64 s[20:21], s[2:3]
	s_cbranch_execz .LBB164_147
; %bb.144:                              ;   in Loop: Header=BB164_103 Depth=1
	v_bfe_u32 v44, v13, 16, 7
	v_mov_b32_e32 v18, 0x7f800001
	v_mov_b32_e32 v19, 0
	v_cmp_ne_u32_e64 s[2:3], s31, v44
	s_and_saveexec_b64 s[22:23], s[2:3]
	s_cbranch_execz .LBB164_146
; %bb.145:                              ;   in Loop: Header=BB164_103 Depth=1
	v_and_b32_e32 v45, 7, v9
	v_ffbh_u32_e32 v18, v45
	v_min_u32_e32 v47, 32, v18
	v_subrev_u32_e32 v18, 28, v47
	v_lshlrev_b64 v[18:19], v18, v[9:10]
	v_lshrrev_b32_e32 v46, 3, v44
	v_sub_u32_e32 v19, 29, v47
	v_and_b32_e32 v18, 7, v18
	v_cmp_gt_u32_e64 s[2:3], 8, v44
	v_cndmask_b32_e64 v19, v46, v19, s[2:3]
	v_cndmask_b32_e64 v18, v45, v18, s[2:3]
	v_lshlrev_b32_e32 v18, 20, v18
	v_and_b32_sdwa v9, sext(v9), s39 dst_sel:DWORD dst_unused:UNUSED_PAD src0_sel:BYTE_0 src1_sel:DWORD
	v_lshl_add_u32 v19, v19, 23, v38
	v_or3_b32 v18, v9, v19, v18
	v_mov_b32_e32 v19, v5
.LBB164_146:                            ;   in Loop: Header=BB164_103 Depth=1
	s_or_b64 exec, exec, s[22:23]
.LBB164_147:                            ;   in Loop: Header=BB164_103 Depth=1
	s_or_b64 exec, exec, s[20:21]
.LBB164_148:                            ;   in Loop: Header=BB164_103 Depth=1
	s_or_b64 exec, exec, s[18:19]
	v_cmp_lt_u32_e64 s[2:3], s40, v13
	s_and_saveexec_b64 s[18:19], s[2:3]
	s_cbranch_execz .LBB164_154
; %bb.149:                              ;   in Loop: Header=BB164_103 Depth=1
	v_mov_b32_e32 v21, v6
	v_cmp_ne_u32_sdwa s[2:3], v13, s30 src0_sel:BYTE_3 src1_sel:DWORD
	v_mov_b32_e32 v20, v5
	s_and_saveexec_b64 s[20:21], s[2:3]
	s_cbranch_execz .LBB164_153
; %bb.150:                              ;   in Loop: Header=BB164_103 Depth=1
	v_bfe_u32 v44, v13, 24, 7
	v_mov_b32_e32 v9, v5
	v_mov_b32_e32 v21, v10
	v_cmp_ne_u32_e64 s[2:3], s31, v44
	v_mov_b32_e32 v20, v9
	s_and_saveexec_b64 s[22:23], s[2:3]
	s_cbranch_execz .LBB164_152
; %bb.151:                              ;   in Loop: Header=BB164_103 Depth=1
	v_and_b32_sdwa v20, v13, v39 dst_sel:DWORD dst_unused:UNUSED_PAD src0_sel:BYTE_3 src1_sel:DWORD
	v_ffbh_u32_e32 v45, v20
	v_min_u32_e32 v47, 32, v45
	v_mov_b32_e32 v21, v5
	v_subrev_u32_e32 v45, 28, v47
	v_lshlrev_b64 v[45:46], v45, v[20:21]
	v_lshrrev_b32_e32 v9, 3, v44
	v_sub_u32_e32 v21, 29, v47
	v_cmp_gt_u32_e64 s[2:3], 8, v44
	v_and_b32_e32 v45, 7, v45
	v_cndmask_b32_e64 v9, v9, v21, s[2:3]
	v_cndmask_b32_e64 v20, v20, v45, s[2:3]
	v_lshlrev_b32_sdwa v13, v40, v13 dst_sel:DWORD dst_unused:UNUSED_PAD src0_sel:DWORD src1_sel:BYTE_3
	v_lshl_add_u32 v9, v9, 23, v38
	v_and_or_b32 v9, v13, s39, v9
	v_lshlrev_b32_e32 v13, 20, v20
	v_or_b32_e32 v21, v9, v13
	v_mov_b32_e32 v20, v5
.LBB164_152:                            ;   in Loop: Header=BB164_103 Depth=1
	s_or_b64 exec, exec, s[22:23]
.LBB164_153:                            ;   in Loop: Header=BB164_103 Depth=1
	s_or_b64 exec, exec, s[20:21]
.LBB164_154:                            ;   in Loop: Header=BB164_103 Depth=1
	s_or_b64 exec, exec, s[18:19]
	s_mov_b32 s42, s41
	v_or_b32_e32 v9, v17, v15
	v_or_b32_e32 v13, v16, v14
	v_mul_f32_e32 v44, s42, v9
	v_mul_f32_e32 v45, s41, v13
	v_or_b32_e32 v9, v21, v19
	v_or_b32_e32 v13, v20, v18
	v_mul_f32_e32 v21, s41, v13
	v_mul_f32_e32 v20, s42, v9
	s_and_saveexec_b64 s[18:19], s[0:1]
	s_cbranch_execz .LBB164_156
; %bb.155:                              ;   in Loop: Header=BB164_103 Depth=1
	v_cmp_gt_i32_e64 s[2:3], s33, v43
	v_add_u32_e32 v9, 1, v43
	v_cndmask_b32_e64 v45, 0, v45, s[2:3]
	v_cmp_gt_i32_e64 s[2:3], s33, v9
	v_add_u32_e32 v9, 2, v43
	v_cndmask_b32_e64 v44, 0, v44, s[2:3]
	;; [unrolled: 3-line block ×3, first 2 shown]
	v_cmp_gt_i32_e64 s[2:3], s33, v9
	v_cndmask_b32_e64 v20, 0, v20, s[2:3]
.LBB164_156:                            ;   in Loop: Header=BB164_103 Depth=1
	s_or_b64 exec, exec, s[18:19]
	s_and_saveexec_b64 s[18:19], vcc
	s_cbranch_execz .LBB164_101
; %bb.157:                              ;   in Loop: Header=BB164_103 Depth=1
	v_add_co_u32_e64 v11, s[2:3], v11, v32
	v_addc_co_u32_e64 v12, s[2:3], 0, v12, s[2:3]
	global_load_dword v11, v[11:12], off
	v_mov_b32_e32 v14, 0
	v_mov_b32_e32 v12, 0
	v_mov_b32_e32 v15, 0
	v_mov_b32_e32 v13, 0
	s_waitcnt vmcnt(0)
	v_cmp_ne_u16_sdwa s[2:3], v11, v5 src0_sel:BYTE_0 src1_sel:DWORD
	s_and_saveexec_b64 s[20:21], s[2:3]
	s_cbranch_execz .LBB164_163
; %bb.158:                              ;   in Loop: Header=BB164_103 Depth=1
	v_bfrev_b32_e32 v12, 1
	v_mov_b32_e32 v13, 0
	v_cmp_ne_u16_sdwa s[2:3], v11, s30 src0_sel:BYTE_0 src1_sel:DWORD
	s_and_saveexec_b64 s[22:23], s[2:3]
	s_cbranch_execz .LBB164_162
; %bb.159:                              ;   in Loop: Header=BB164_103 Depth=1
	v_and_b32_e32 v9, 0x7f, v11
	v_mov_b32_e32 v12, 0x7f800001
	v_mov_b32_e32 v13, 0
	v_cmp_ne_u32_e64 s[2:3], s31, v9
	s_and_saveexec_b64 s[28:29], s[2:3]
	s_cbranch_execz .LBB164_161
; %bb.160:                              ;   in Loop: Header=BB164_103 Depth=1
	v_and_b32_e32 v16, 7, v11
	v_ffbh_u32_e32 v12, v16
	v_min_u32_e32 v18, 32, v12
	v_subrev_u32_e32 v12, 28, v18
	v_lshlrev_b64 v[12:13], v12, v[11:12]
	v_lshrrev_b32_e32 v17, 3, v9
	v_sub_u32_e32 v13, 29, v18
	v_and_b32_e32 v12, 7, v12
	v_cmp_gt_u32_e64 s[2:3], 8, v9
	v_cndmask_b32_e64 v9, v17, v13, s[2:3]
	v_cndmask_b32_e64 v12, v16, v12, s[2:3]
	v_lshlrev_b32_e32 v12, 20, v12
	v_and_b32_sdwa v13, sext(v11), s39 dst_sel:DWORD dst_unused:UNUSED_PAD src0_sel:BYTE_0 src1_sel:DWORD
	v_lshl_add_u32 v9, v9, 23, v38
	v_or3_b32 v12, v13, v9, v12
	v_mov_b32_e32 v13, v5
.LBB164_161:                            ;   in Loop: Header=BB164_103 Depth=1
	s_or_b64 exec, exec, s[28:29]
.LBB164_162:                            ;   in Loop: Header=BB164_103 Depth=1
	s_or_b64 exec, exec, s[22:23]
.LBB164_163:                            ;   in Loop: Header=BB164_103 Depth=1
	s_or_b64 exec, exec, s[20:21]
	v_cmp_ne_u16_sdwa s[2:3], v11, v5 src0_sel:BYTE_1 src1_sel:DWORD
	s_and_saveexec_b64 s[20:21], s[2:3]
	s_cbranch_execz .LBB164_169
; %bb.164:                              ;   in Loop: Header=BB164_103 Depth=1
	v_mov_b32_e32 v15, v6
	v_cmp_ne_u16_sdwa s[2:3], v11, s30 src0_sel:BYTE_1 src1_sel:DWORD
	v_mov_b32_e32 v14, v5
	s_and_saveexec_b64 s[22:23], s[2:3]
	s_cbranch_execz .LBB164_168
; %bb.165:                              ;   in Loop: Header=BB164_103 Depth=1
	v_and_b32_sdwa v16, v11, s31 dst_sel:DWORD dst_unused:UNUSED_PAD src0_sel:BYTE_1 src1_sel:DWORD
	v_mov_b32_e32 v9, v5
	v_mov_b32_e32 v15, v10
	v_cmp_ne_u32_e64 s[2:3], s31, v16
	v_mov_b32_e32 v14, v9
	s_and_saveexec_b64 s[28:29], s[2:3]
	s_cbranch_execz .LBB164_167
; %bb.166:                              ;   in Loop: Header=BB164_103 Depth=1
	v_and_b32_sdwa v14, v11, v39 dst_sel:DWORD dst_unused:UNUSED_PAD src0_sel:BYTE_1 src1_sel:DWORD
	v_ffbh_u32_e32 v17, v14
	v_min_u32_e32 v19, 32, v17
	v_mov_b32_e32 v15, v5
	v_subrev_u32_e32 v17, 28, v19
	v_lshlrev_b64 v[17:18], v17, v[14:15]
	v_lshrrev_b32_e32 v9, 3, v16
	v_sub_u32_e32 v15, 29, v19
	v_cmp_gt_u32_e64 s[2:3], 8, v16
	v_and_b32_e32 v17, 7, v17
	v_cndmask_b32_e64 v9, v9, v15, s[2:3]
	v_cndmask_b32_e64 v14, v14, v17, s[2:3]
	v_lshlrev_b32_e32 v15, 16, v11
	v_lshl_add_u32 v9, v9, 23, v38
	v_and_or_b32 v9, v15, s39, v9
	v_lshlrev_b32_e32 v14, 20, v14
	v_or_b32_e32 v15, v9, v14
	v_mov_b32_e32 v14, v5
.LBB164_167:                            ;   in Loop: Header=BB164_103 Depth=1
	s_or_b64 exec, exec, s[28:29]
.LBB164_168:                            ;   in Loop: Header=BB164_103 Depth=1
	s_or_b64 exec, exec, s[22:23]
.LBB164_169:                            ;   in Loop: Header=BB164_103 Depth=1
	s_or_b64 exec, exec, s[20:21]
	v_lshrrev_b32_e32 v9, 16, v11
	v_mov_b32_e32 v18, 0
	v_mov_b32_e32 v16, 0
	;; [unrolled: 1-line block ×4, first 2 shown]
	v_cmp_ne_u16_sdwa s[2:3], v9, v5 src0_sel:BYTE_0 src1_sel:DWORD
	s_and_saveexec_b64 s[20:21], s[2:3]
	s_cbranch_execz .LBB164_175
; %bb.170:                              ;   in Loop: Header=BB164_103 Depth=1
	v_bfrev_b32_e32 v16, 1
	v_mov_b32_e32 v17, 0
	v_cmp_ne_u16_sdwa s[2:3], v9, s30 src0_sel:BYTE_0 src1_sel:DWORD
	s_and_saveexec_b64 s[22:23], s[2:3]
	s_cbranch_execz .LBB164_174
; %bb.171:                              ;   in Loop: Header=BB164_103 Depth=1
	v_bfe_u32 v46, v11, 16, 7
	v_mov_b32_e32 v16, 0x7f800001
	v_mov_b32_e32 v17, 0
	v_cmp_ne_u32_e64 s[2:3], s31, v46
	s_and_saveexec_b64 s[28:29], s[2:3]
	s_cbranch_execz .LBB164_173
; %bb.172:                              ;   in Loop: Header=BB164_103 Depth=1
	v_and_b32_e32 v47, 7, v9
	v_ffbh_u32_e32 v16, v47
	v_min_u32_e32 v49, 32, v16
	v_subrev_u32_e32 v16, 28, v49
	v_lshlrev_b64 v[16:17], v16, v[9:10]
	v_lshrrev_b32_e32 v48, 3, v46
	v_sub_u32_e32 v17, 29, v49
	v_and_b32_e32 v16, 7, v16
	v_cmp_gt_u32_e64 s[2:3], 8, v46
	v_cndmask_b32_e64 v17, v48, v17, s[2:3]
	v_cndmask_b32_e64 v16, v47, v16, s[2:3]
	v_lshlrev_b32_e32 v16, 20, v16
	v_and_b32_sdwa v9, sext(v9), s39 dst_sel:DWORD dst_unused:UNUSED_PAD src0_sel:BYTE_0 src1_sel:DWORD
	v_lshl_add_u32 v17, v17, 23, v38
	v_or3_b32 v16, v9, v17, v16
	v_mov_b32_e32 v17, v5
.LBB164_173:                            ;   in Loop: Header=BB164_103 Depth=1
	s_or_b64 exec, exec, s[28:29]
.LBB164_174:                            ;   in Loop: Header=BB164_103 Depth=1
	s_or_b64 exec, exec, s[22:23]
.LBB164_175:                            ;   in Loop: Header=BB164_103 Depth=1
	s_or_b64 exec, exec, s[20:21]
	v_cmp_lt_u32_e64 s[2:3], s40, v11
	s_and_saveexec_b64 s[20:21], s[2:3]
	s_cbranch_execz .LBB164_181
; %bb.176:                              ;   in Loop: Header=BB164_103 Depth=1
	v_mov_b32_e32 v19, v6
	v_cmp_ne_u32_sdwa s[2:3], v11, s30 src0_sel:BYTE_3 src1_sel:DWORD
	v_mov_b32_e32 v18, v5
	s_and_saveexec_b64 s[22:23], s[2:3]
	s_cbranch_execz .LBB164_180
; %bb.177:                              ;   in Loop: Header=BB164_103 Depth=1
	v_bfe_u32 v46, v11, 24, 7
	v_mov_b32_e32 v9, v5
	v_mov_b32_e32 v19, v10
	v_cmp_ne_u32_e64 s[2:3], s31, v46
	v_mov_b32_e32 v18, v9
	s_and_saveexec_b64 s[28:29], s[2:3]
	s_cbranch_execz .LBB164_179
; %bb.178:                              ;   in Loop: Header=BB164_103 Depth=1
	v_and_b32_sdwa v18, v11, v39 dst_sel:DWORD dst_unused:UNUSED_PAD src0_sel:BYTE_3 src1_sel:DWORD
	v_ffbh_u32_e32 v47, v18
	v_min_u32_e32 v49, 32, v47
	v_mov_b32_e32 v19, v5
	v_subrev_u32_e32 v47, 28, v49
	v_lshlrev_b64 v[47:48], v47, v[18:19]
	v_lshrrev_b32_e32 v9, 3, v46
	v_sub_u32_e32 v19, 29, v49
	v_cmp_gt_u32_e64 s[2:3], 8, v46
	v_and_b32_e32 v47, 7, v47
	v_cndmask_b32_e64 v9, v9, v19, s[2:3]
	v_cndmask_b32_e64 v18, v18, v47, s[2:3]
	v_lshlrev_b32_sdwa v11, v40, v11 dst_sel:DWORD dst_unused:UNUSED_PAD src0_sel:DWORD src1_sel:BYTE_3
	v_lshl_add_u32 v9, v9, 23, v38
	v_and_or_b32 v9, v11, s39, v9
	v_lshlrev_b32_e32 v11, 20, v18
	v_or_b32_e32 v19, v9, v11
	v_mov_b32_e32 v18, v5
.LBB164_179:                            ;   in Loop: Header=BB164_103 Depth=1
	s_or_b64 exec, exec, s[28:29]
.LBB164_180:                            ;   in Loop: Header=BB164_103 Depth=1
	s_or_b64 exec, exec, s[22:23]
.LBB164_181:                            ;   in Loop: Header=BB164_103 Depth=1
	s_or_b64 exec, exec, s[20:21]
	v_or_b32_e32 v11, v14, v12
	v_or_b32_e32 v9, v15, v13
	v_mul_f32_e32 v13, s41, v11
	v_or_b32_e32 v11, v19, v17
	v_or_b32_e32 v12, v18, v16
	v_mul_f32_e32 v9, s42, v9
	v_mul_f32_e32 v12, s41, v12
	;; [unrolled: 1-line block ×3, first 2 shown]
	s_and_saveexec_b64 s[2:3], s[0:1]
	s_cbranch_execz .LBB164_100
; %bb.182:                              ;   in Loop: Header=BB164_103 Depth=1
	v_cmp_gt_i32_e64 s[0:1], s33, v43
	v_add_u32_e32 v14, 1, v43
	v_cndmask_b32_e64 v13, 0, v13, s[0:1]
	v_cmp_gt_i32_e64 s[0:1], s33, v14
	v_add_u32_e32 v14, 2, v43
	v_cndmask_b32_e64 v9, 0, v9, s[0:1]
	;; [unrolled: 3-line block ×3, first 2 shown]
	v_cmp_gt_i32_e64 s[0:1], s33, v14
	v_cndmask_b32_e64 v11, 0, v11, s[0:1]
	s_branch .LBB164_100
.LBB164_183:
	s_or_b64 exec, exec, s[12:13]
.LBB164_184:
	s_or_b64 exec, exec, s[4:5]
	ds_bpermute_b32 v1, v27, v33
	ds_bpermute_b32 v4, v27, v35
	;; [unrolled: 1-line block ×3, first 2 shown]
	v_cmp_eq_u32_e32 vcc, 0, v29
	s_waitcnt lgkmcnt(0)
	v_add_f32_e32 v3, v33, v1
	v_add_f32_e32 v1, v35, v4
	v_and_b32_e32 v4, 0x3c0, v0
	v_add_f32_e32 v2, v34, v2
	v_cmp_eq_u32_e64 s[0:1], 64, v4
	s_barrier
	s_and_saveexec_b64 s[2:3], s[0:1]
	s_cbranch_execz .LBB164_189
; %bb.185:
	s_and_saveexec_b64 s[0:1], vcc
; %bb.186:
	v_mov_b32_e32 v4, 0x150
	v_lshl_add_u32 v4, v28, 2, v4
	ds_write2_b32 v4, v3, v2 offset1:32
; %bb.187:
	s_or_b64 exec, exec, s[0:1]
	v_or_b32_e32 v4, 64, v28
	s_movk_i32 s0, 0x50
	v_cmp_gt_u32_e64 s[0:1], s0, v4
	s_and_b64 s[0:1], vcc, s[0:1]
	s_and_b64 exec, exec, s[0:1]
; %bb.188:
	v_mov_b32_e32 v4, 0x150
	v_lshl_add_u32 v4, v28, 2, v4
	ds_write_b32 v4, v1 offset:256
.LBB164_189:
	s_or_b64 exec, exec, s[2:3]
	v_cmp_gt_u32_e64 s[0:1], 64, v0
	s_waitcnt lgkmcnt(0)
	s_barrier
	s_and_saveexec_b64 s[4:5], s[0:1]
	s_cbranch_execz .LBB164_197
; %bb.190:
	s_and_saveexec_b64 s[2:3], vcc
	s_cbranch_execz .LBB164_192
; %bb.191:
	v_mov_b32_e32 v0, 0x150
	v_lshl_add_u32 v0, v24, 2, v0
	ds_read_b32 v0, v0
	s_waitcnt lgkmcnt(0)
	v_add_f32_e32 v3, v3, v0
.LBB164_192:
	s_or_b64 exec, exec, s[2:3]
	v_or_b32_e32 v0, 32, v24
	s_movk_i32 s6, 0x50
	v_cmp_gt_u32_e64 s[2:3], s6, v0
	s_and_b64 s[12:13], vcc, s[2:3]
	s_and_saveexec_b64 s[2:3], s[12:13]
	s_cbranch_execz .LBB164_194
; %bb.193:
	v_mov_b32_e32 v0, 0x150
	v_lshl_add_u32 v0, v24, 2, v0
	ds_read_b32 v0, v0 offset:128
	s_waitcnt lgkmcnt(0)
	v_add_f32_e32 v2, v2, v0
.LBB164_194:
	s_or_b64 exec, exec, s[2:3]
	v_or_b32_e32 v0, 64, v24
	v_cmp_gt_u32_e64 s[2:3], s6, v0
	s_and_b64 s[6:7], vcc, s[2:3]
	s_and_saveexec_b64 s[2:3], s[6:7]
	s_cbranch_execz .LBB164_196
; %bb.195:
	v_mov_b32_e32 v0, 0x150
	v_lshl_add_u32 v0, v24, 2, v0
	ds_read_b32 v0, v0 offset:256
	s_waitcnt lgkmcnt(0)
	v_add_f32_e32 v1, v1, v0
.LBB164_196:
	s_or_b64 exec, exec, s[2:3]
.LBB164_197:
	s_or_b64 exec, exec, s[4:5]
	s_barrier
	s_and_saveexec_b64 s[2:3], s[0:1]
	s_cbranch_execz .LBB164_204
; %bb.198:
	s_mul_i32 s0, s10, s11
	s_mul_i32 s0, s0, s9
	s_mulk_i32 s0, 0x50
	s_ashr_i32 s1, s0, 31
	s_lshl_b64 s[0:1], s[0:1], 2
	s_add_u32 s2, s26, s0
	s_mul_i32 s0, s11, s24
	s_addc_u32 s3, s27, s1
	s_ashr_i32 s1, s0, 31
	s_lshl_b64 s[0:1], s[0:1], 2
	s_add_u32 s2, s2, s0
	s_mul_i32 s0, s8, 0x50
	s_addc_u32 s3, s3, s1
	s_ashr_i32 s1, s0, 31
	s_lshl_b64 s[0:1], s[0:1], 2
	s_add_u32 s2, s2, s0
	s_movk_i32 s4, 0x50
	s_addc_u32 s3, s3, s1
	v_lshlrev_b32_e32 v0, 2, v24
	s_and_saveexec_b64 s[0:1], vcc
	s_cbranch_execz .LBB164_200
; %bb.199:
	global_store_dword v0, v3, s[2:3]
.LBB164_200:
	s_or_b64 exec, exec, s[0:1]
	v_or_b32_e32 v3, 32, v24
	v_cmp_gt_u32_e64 s[0:1], s4, v3
	s_and_b64 s[4:5], vcc, s[0:1]
	s_and_saveexec_b64 s[0:1], s[4:5]
	s_cbranch_execz .LBB164_202
; %bb.201:
	global_store_dword v0, v2, s[2:3] offset:128
.LBB164_202:
	s_or_b64 exec, exec, s[0:1]
	v_or_b32_e32 v2, 64, v24
	s_movk_i32 s0, 0x50
	v_cmp_gt_u32_e64 s[0:1], s0, v2
	s_and_b64 s[0:1], vcc, s[0:1]
	s_and_b64 exec, exec, s[0:1]
	s_cbranch_execz .LBB164_204
; %bb.203:
	global_store_dword v0, v1, s[2:3] offset:256
.LBB164_204:
	s_endpgm
	.section	.rodata,"a",@progbits
	.p2align	6, 0x0
	.amdhsa_kernel _ZN4vllm25paged_attention_v1_kernelIfhLi80ELi8ELi128ELNS_18Fp8KVCacheDataTypeE1ELb1EEEvPT_PKS2_PKT0_S8_ifPKiSA_iPKfiiiSC_SC_iiiii
		.amdhsa_group_segment_fixed_size 336
		.amdhsa_private_segment_fixed_size 0
		.amdhsa_kernarg_size 384
		.amdhsa_user_sgpr_count 6
		.amdhsa_user_sgpr_private_segment_buffer 1
		.amdhsa_user_sgpr_dispatch_ptr 0
		.amdhsa_user_sgpr_queue_ptr 0
		.amdhsa_user_sgpr_kernarg_segment_ptr 1
		.amdhsa_user_sgpr_dispatch_id 0
		.amdhsa_user_sgpr_flat_scratch_init 0
		.amdhsa_user_sgpr_private_segment_size 0
		.amdhsa_uses_dynamic_stack 0
		.amdhsa_system_sgpr_private_segment_wavefront_offset 0
		.amdhsa_system_sgpr_workgroup_id_x 1
		.amdhsa_system_sgpr_workgroup_id_y 1
		.amdhsa_system_sgpr_workgroup_id_z 1
		.amdhsa_system_sgpr_workgroup_info 0
		.amdhsa_system_vgpr_workitem_id 0
		.amdhsa_next_free_vgpr 51
		.amdhsa_next_free_sgpr 55
		.amdhsa_reserve_vcc 1
		.amdhsa_reserve_flat_scratch 0
		.amdhsa_float_round_mode_32 0
		.amdhsa_float_round_mode_16_64 0
		.amdhsa_float_denorm_mode_32 3
		.amdhsa_float_denorm_mode_16_64 3
		.amdhsa_dx10_clamp 1
		.amdhsa_ieee_mode 1
		.amdhsa_fp16_overflow 0
		.amdhsa_exception_fp_ieee_invalid_op 0
		.amdhsa_exception_fp_denorm_src 0
		.amdhsa_exception_fp_ieee_div_zero 0
		.amdhsa_exception_fp_ieee_overflow 0
		.amdhsa_exception_fp_ieee_underflow 0
		.amdhsa_exception_fp_ieee_inexact 0
		.amdhsa_exception_int_div_zero 0
	.end_amdhsa_kernel
	.section	.text._ZN4vllm25paged_attention_v1_kernelIfhLi80ELi8ELi128ELNS_18Fp8KVCacheDataTypeE1ELb1EEEvPT_PKS2_PKT0_S8_ifPKiSA_iPKfiiiSC_SC_iiiii,"axG",@progbits,_ZN4vllm25paged_attention_v1_kernelIfhLi80ELi8ELi128ELNS_18Fp8KVCacheDataTypeE1ELb1EEEvPT_PKS2_PKT0_S8_ifPKiSA_iPKfiiiSC_SC_iiiii,comdat
.Lfunc_end164:
	.size	_ZN4vllm25paged_attention_v1_kernelIfhLi80ELi8ELi128ELNS_18Fp8KVCacheDataTypeE1ELb1EEEvPT_PKS2_PKT0_S8_ifPKiSA_iPKfiiiSC_SC_iiiii, .Lfunc_end164-_ZN4vllm25paged_attention_v1_kernelIfhLi80ELi8ELi128ELNS_18Fp8KVCacheDataTypeE1ELb1EEEvPT_PKS2_PKT0_S8_ifPKiSA_iPKfiiiSC_SC_iiiii
                                        ; -- End function
	.set _ZN4vllm25paged_attention_v1_kernelIfhLi80ELi8ELi128ELNS_18Fp8KVCacheDataTypeE1ELb1EEEvPT_PKS2_PKT0_S8_ifPKiSA_iPKfiiiSC_SC_iiiii.num_vgpr, 51
	.set _ZN4vllm25paged_attention_v1_kernelIfhLi80ELi8ELi128ELNS_18Fp8KVCacheDataTypeE1ELb1EEEvPT_PKS2_PKT0_S8_ifPKiSA_iPKfiiiSC_SC_iiiii.num_agpr, 0
	.set _ZN4vllm25paged_attention_v1_kernelIfhLi80ELi8ELi128ELNS_18Fp8KVCacheDataTypeE1ELb1EEEvPT_PKS2_PKT0_S8_ifPKiSA_iPKfiiiSC_SC_iiiii.numbered_sgpr, 55
	.set _ZN4vllm25paged_attention_v1_kernelIfhLi80ELi8ELi128ELNS_18Fp8KVCacheDataTypeE1ELb1EEEvPT_PKS2_PKT0_S8_ifPKiSA_iPKfiiiSC_SC_iiiii.num_named_barrier, 0
	.set _ZN4vllm25paged_attention_v1_kernelIfhLi80ELi8ELi128ELNS_18Fp8KVCacheDataTypeE1ELb1EEEvPT_PKS2_PKT0_S8_ifPKiSA_iPKfiiiSC_SC_iiiii.private_seg_size, 0
	.set _ZN4vllm25paged_attention_v1_kernelIfhLi80ELi8ELi128ELNS_18Fp8KVCacheDataTypeE1ELb1EEEvPT_PKS2_PKT0_S8_ifPKiSA_iPKfiiiSC_SC_iiiii.uses_vcc, 1
	.set _ZN4vllm25paged_attention_v1_kernelIfhLi80ELi8ELi128ELNS_18Fp8KVCacheDataTypeE1ELb1EEEvPT_PKS2_PKT0_S8_ifPKiSA_iPKfiiiSC_SC_iiiii.uses_flat_scratch, 0
	.set _ZN4vllm25paged_attention_v1_kernelIfhLi80ELi8ELi128ELNS_18Fp8KVCacheDataTypeE1ELb1EEEvPT_PKS2_PKT0_S8_ifPKiSA_iPKfiiiSC_SC_iiiii.has_dyn_sized_stack, 0
	.set _ZN4vllm25paged_attention_v1_kernelIfhLi80ELi8ELi128ELNS_18Fp8KVCacheDataTypeE1ELb1EEEvPT_PKS2_PKT0_S8_ifPKiSA_iPKfiiiSC_SC_iiiii.has_recursion, 0
	.set _ZN4vllm25paged_attention_v1_kernelIfhLi80ELi8ELi128ELNS_18Fp8KVCacheDataTypeE1ELb1EEEvPT_PKS2_PKT0_S8_ifPKiSA_iPKfiiiSC_SC_iiiii.has_indirect_call, 0
	.section	.AMDGPU.csdata,"",@progbits
; Kernel info:
; codeLenInByte = 8424
; TotalNumSgprs: 59
; NumVgprs: 51
; ScratchSize: 0
; MemoryBound: 0
; FloatMode: 240
; IeeeMode: 1
; LDSByteSize: 336 bytes/workgroup (compile time only)
; SGPRBlocks: 7
; VGPRBlocks: 12
; NumSGPRsForWavesPerEU: 59
; NumVGPRsForWavesPerEU: 51
; Occupancy: 4
; WaveLimiterHint : 1
; COMPUTE_PGM_RSRC2:SCRATCH_EN: 0
; COMPUTE_PGM_RSRC2:USER_SGPR: 6
; COMPUTE_PGM_RSRC2:TRAP_HANDLER: 0
; COMPUTE_PGM_RSRC2:TGID_X_EN: 1
; COMPUTE_PGM_RSRC2:TGID_Y_EN: 1
; COMPUTE_PGM_RSRC2:TGID_Z_EN: 1
; COMPUTE_PGM_RSRC2:TIDIG_COMP_CNT: 0
	.section	.text._ZN4vllm25paged_attention_v1_kernelIfhLi96ELi8ELi128ELNS_18Fp8KVCacheDataTypeE1ELb1EEEvPT_PKS2_PKT0_S8_ifPKiSA_iPKfiiiSC_SC_iiiii,"axG",@progbits,_ZN4vllm25paged_attention_v1_kernelIfhLi96ELi8ELi128ELNS_18Fp8KVCacheDataTypeE1ELb1EEEvPT_PKS2_PKT0_S8_ifPKiSA_iPKfiiiSC_SC_iiiii,comdat
	.protected	_ZN4vllm25paged_attention_v1_kernelIfhLi96ELi8ELi128ELNS_18Fp8KVCacheDataTypeE1ELb1EEEvPT_PKS2_PKT0_S8_ifPKiSA_iPKfiiiSC_SC_iiiii ; -- Begin function _ZN4vllm25paged_attention_v1_kernelIfhLi96ELi8ELi128ELNS_18Fp8KVCacheDataTypeE1ELb1EEEvPT_PKS2_PKT0_S8_ifPKiSA_iPKfiiiSC_SC_iiiii
	.globl	_ZN4vllm25paged_attention_v1_kernelIfhLi96ELi8ELi128ELNS_18Fp8KVCacheDataTypeE1ELb1EEEvPT_PKS2_PKT0_S8_ifPKiSA_iPKfiiiSC_SC_iiiii
	.p2align	8
	.type	_ZN4vllm25paged_attention_v1_kernelIfhLi96ELi8ELi128ELNS_18Fp8KVCacheDataTypeE1ELb1EEEvPT_PKS2_PKT0_S8_ifPKiSA_iPKfiiiSC_SC_iiiii,@function
_ZN4vllm25paged_attention_v1_kernelIfhLi96ELi8ELi128ELNS_18Fp8KVCacheDataTypeE1ELb1EEEvPT_PKS2_PKT0_S8_ifPKiSA_iPKfiiiSC_SC_iiiii: ; @_ZN4vllm25paged_attention_v1_kernelIfhLi96ELi8ELi128ELNS_18Fp8KVCacheDataTypeE1ELb1EEEvPT_PKS2_PKT0_S8_ifPKiSA_iPKfiiiSC_SC_iiiii
; %bb.0:
	s_load_dword s9, s[4:5], 0x80
	s_load_dwordx2 s[0:1], s[4:5], 0x30
	s_load_dwordx2 s[36:37], s[4:5], 0x20
	s_mov_b32 s10, s7
	s_ashr_i32 s11, s7, 31
	s_lshl_b64 s[2:3], s[10:11], 2
	s_waitcnt lgkmcnt(0)
	s_add_u32 s0, s0, s2
	s_addc_u32 s1, s1, s3
	s_abs_i32 s2, s36
	v_cvt_f32_u32_e32 v1, s2
	s_sub_i32 s11, 0, s2
	s_abs_i32 s7, s9
	s_xor_b32 s3, s9, s36
	v_rcp_iflag_f32_e32 v1, v1
	s_ashr_i32 s3, s3, 31
	s_mov_b32 s48, 0
	v_mul_f32_e32 v1, 0x4f7ffffe, v1
	v_cvt_u32_f32_e32 v1, v1
	v_readfirstlane_b32 s12, v1
	s_mul_i32 s11, s11, s12
	s_mul_hi_u32 s11, s12, s11
	s_add_i32 s12, s12, s11
	s_mul_hi_u32 s11, s7, s12
	s_mul_i32 s12, s11, s2
	s_sub_i32 s7, s7, s12
	s_add_i32 s12, s11, 1
	s_sub_i32 s13, s7, s2
	s_cmp_ge_u32 s7, s2
	s_cselect_b32 s11, s12, s11
	s_cselect_b32 s7, s13, s7
	s_add_i32 s12, s11, 1
	s_cmp_ge_u32 s7, s2
	s_cselect_b32 s2, s12, s11
	s_xor_b32 s2, s2, s3
	s_sub_i32 s14, s2, s3
	s_abs_i32 s11, s14
	v_cvt_f32_u32_e32 v1, s11
	s_load_dwordx2 s[2:3], s[4:5], 0x40
	s_sub_i32 s7, 0, s11
	s_abs_i32 s12, s6
	v_rcp_iflag_f32_e32 v1, v1
	v_mul_f32_e32 v1, 0x4f7ffffe, v1
	v_cvt_u32_f32_e32 v1, v1
	v_readfirstlane_b32 s13, v1
	s_mul_i32 s7, s7, s13
	s_mul_hi_u32 s7, s13, s7
	s_add_i32 s13, s13, s7
	s_waitcnt lgkmcnt(0)
	s_cmp_eq_u64 s[2:3], 0
	s_mul_hi_u32 s13, s12, s13
	s_cbranch_scc1 .LBB165_2
; %bb.1:
	s_ashr_i32 s7, s6, 31
	s_lshl_b64 s[16:17], s[6:7], 2
	s_add_u32 s2, s2, s16
	s_addc_u32 s3, s3, s17
	s_load_dword s48, s[2:3], 0x0
.LBB165_2:
	s_load_dword s33, s[0:1], 0x0
	s_load_dwordx4 s[16:19], s[4:5], 0x48
	s_movk_i32 s0, 0x60
	s_ashr_i32 s3, s6, 31
	s_ashr_i32 s7, s14, 31
	v_and_b32_e32 v1, 7, v0
	s_mul_i32 s24, s6, 0x60
	v_cmp_gt_u32_e32 vcc, s0, v0
	v_lshlrev_b32_e32 v20, 2, v0
	v_lshrrev_b32_e32 v24, 1, v0
	s_and_saveexec_b64 s[0:1], vcc
	s_cbranch_execz .LBB165_4
; %bb.3:
	s_load_dwordx2 s[14:15], s[4:5], 0x8
	s_waitcnt lgkmcnt(0)
	s_mul_i32 s20, s16, s10
	s_ashr_i32 s21, s20, 31
	s_lshl_b64 s[20:21], s[20:21], 2
	v_and_b32_e32 v3, 0x1fc, v24
	s_add_u32 s2, s14, s20
	s_addc_u32 s16, s15, s21
	s_ashr_i32 s25, s24, 31
	s_lshl_b64 s[14:15], s[24:25], 2
	s_add_u32 s14, s2, s14
	s_addc_u32 s15, s16, s15
	global_load_dword v2, v20, s[14:15]
	v_mad_u32_u24 v3, v1, 48, v3
	s_waitcnt vmcnt(0)
	ds_write_b32 v3, v2
.LBB165_4:
	s_or_b64 exec, exec, s[0:1]
	s_mul_i32 s1, s13, s11
	s_sub_i32 s1, s12, s1
	s_xor_b32 s0, s3, s7
	s_add_i32 s3, s13, 1
	s_sub_i32 s7, s1, s11
	s_load_dwordx4 s[20:23], s[4:5], 0x68
	s_load_dword s2, s[4:5], 0x78
	s_cmp_ge_u32 s1, s11
	s_cselect_b32 s3, s3, s13
	s_cselect_b32 s1, s7, s1
	s_add_i32 s7, s3, 1
	s_cmp_ge_u32 s1, s11
	s_cselect_b32 s1, s7, s3
	s_waitcnt lgkmcnt(0)
	s_abs_i32 s25, s23
	v_cvt_f32_u32_e32 v2, s25
	s_xor_b32 s1, s1, s0
	s_sub_i32 s47, s1, s0
	s_sub_i32 s0, 0, s25
	v_rcp_iflag_f32_e32 v2, v2
	s_add_i32 s11, s33, -1
	s_abs_i32 s3, s11
	v_mul_f32_e32 v2, 0x4f7ffffe, v2
	v_cvt_u32_f32_e32 v2, v2
	s_barrier
	v_readfirstlane_b32 s46, v2
	s_mul_i32 s0, s0, s46
	s_mul_hi_u32 s0, s46, s0
	s_add_i32 s46, s46, s0
	s_cmp_lt_i32 s2, 0
	s_mul_hi_u32 s7, s3, s46
	s_cbranch_scc0 .LBB165_6
; %bb.5:
	s_mul_i32 s0, s20, s36
	s_add_i32 s0, s47, s0
	s_mul_i32 s0, s0, s2
	s_sub_i32 s36, 1, s0
	s_mov_b64 s[0:1], 0
	s_branch .LBB165_7
.LBB165_6:
	s_mov_b64 s[0:1], -1
                                        ; implicit-def: $sgpr36
.LBB165_7:
	s_load_dwordx2 s[28:29], s[4:5], 0x28
	s_ashr_i32 s16, s11, 31
	s_andn2_b64 vcc, exec, s[0:1]
	s_ashr_i32 s23, s23, 31
	s_cbranch_vccnz .LBB165_9
; %bb.8:
	s_mul_i32 s0, s9, s20
	s_add_i32 s0, s0, s6
	s_mul_i32 s0, s0, s2
	s_add_i32 s36, s0, 1
.LBB165_9:
	s_load_dword s0, s[4:5], 0x38
	s_load_dwordx2 s[26:27], s[4:5], 0x0
	s_load_dwordx2 s[34:35], s[4:5], 0x18
	s_load_dword s11, s[4:5], 0x88
	s_load_dwordx4 s[12:15], s[4:5], 0x58
	s_mul_i32 s1, s7, s25
	s_waitcnt lgkmcnt(0)
	s_mul_i32 s30, s0, s10
	s_sub_i32 s1, s3, s1
	s_ashr_i32 s31, s30, 31
	s_xor_b32 s0, s16, s23
	s_add_i32 s2, s7, 1
	s_sub_i32 s3, s1, s25
	s_cmp_ge_u32 s1, s25
	s_cselect_b32 s2, s2, s7
	s_cselect_b32 s1, s3, s1
	s_add_i32 s3, s2, 1
	s_cmp_ge_u32 s1, s25
	s_cselect_b32 s1, s3, s2
	s_xor_b32 s1, s1, s0
	s_sub_i32 s16, s1, s0
	s_add_i32 s0, s33, 7
	s_ashr_i32 s1, s0, 31
	s_lshr_b32 s1, s1, 29
	s_add_i32 s0, s0, s1
	s_ashr_i32 s20, s0, 3
	v_lshrrev_b32_e32 v25, 6, v0
	v_cmp_gt_i32_e64 s[0:1], s20, v25
	v_mov_b32_e32 v28, 0xff7fffff
	s_mul_i32 s47, s47, s18
	v_lshrrev_b32_e32 v21, 4, v0
	v_lshlrev_b32_e32 v26, 3, v25
	v_mbcnt_lo_u32_b32 v22, -1, 0
	s_and_saveexec_b64 s[18:19], s[0:1]
	s_cbranch_execz .LBB165_93
; %bb.10:
	s_load_dwordx2 s[2:3], s[4:5], 0x10
	s_sub_i32 s49, s16, s21
	s_ashr_i32 s4, s47, 31
	v_bfe_u32 v23, v0, 3, 3
	v_lshlrev_b32_e32 v3, 4, v23
	s_waitcnt lgkmcnt(0)
	s_add_u32 s5, s2, s47
	s_addc_u32 s4, s3, s4
	s_abs_i32 s50, s22
	v_cvt_f32_u32_e32 v2, s50
	v_mov_b32_e32 v4, s4
	s_sub_i32 s4, 0, s50
	v_cmp_eq_u32_e32 vcc, 0, v1
	v_rcp_iflag_f32_e32 v2, v2
	v_mul_u32_u24_e32 v27, 48, v1
	s_mov_b32 s51, s17
	v_cmp_neq_f32_e64 s[2:3], s48, 0
	v_mul_f32_e32 v2, 0x4f7ffffe, v2
	v_cvt_u32_f32_e32 v2, v2
	v_lshlrev_b32_e32 v30, 3, v25
	v_mov_b32_e32 v33, 0xff7fffff
	s_mov_b64 s[38:39], 0
	v_mul_lo_u32 v5, s4, v2
	v_add_co_u32_e64 v3, s[4:5], s5, v3
	v_addc_co_u32_e64 v4, s[4:5], 0, v4, s[4:5]
	v_add_co_u32_e64 v13, s[4:5], v3, v1
	v_mul_hi_u32 v5, v2, v5
	v_addc_co_u32_e64 v14, s[4:5], 0, v4, s[4:5]
	s_lshl_b64 s[4:5], s[30:31], 2
	s_add_u32 s4, s28, s4
	v_and_b32_e32 v1, 60, v21
	s_addc_u32 s5, s29, s5
	v_add_u32_e32 v29, v2, v5
	v_mov_b32_e32 v2, s5
	v_add_co_u32_e64 v15, s[4:5], s4, v1
	v_subrev_u32_e32 v1, s33, v23
	v_add_u32_e32 v31, 1, v1
	v_lshlrev_b32_e32 v1, 2, v23
	v_lshl_or_b32 v1, v25, 5, v1
	v_addc_co_u32_e64 v16, s[4:5], 0, v2, s[4:5]
	v_add_u32_e32 v32, 0x190, v1
	s_movk_i32 s52, 0x80
	s_movk_i32 s53, 0x7f
	v_bfrev_b32_e32 v34, 60
	v_mbcnt_hi_u32_b32 v35, -1, v22
	v_mov_b32_e32 v28, 0xff7fffff
	v_mov_b32_e32 v36, v25
	s_branch .LBB165_13
.LBB165_11:                             ;   in Loop: Header=BB165_13 Depth=1
	s_or_b64 exec, exec, s[40:41]
.LBB165_12:                             ;   in Loop: Header=BB165_13 Depth=1
	s_or_b64 exec, exec, s[6:7]
	v_add_co_u32_e64 v15, s[4:5], 8, v15
	v_add_u32_e32 v36, 2, v36
	v_addc_co_u32_e64 v16, s[4:5], 0, v16, s[4:5]
	v_cmp_le_i32_e64 s[4:5], s20, v36
	v_add_u32_e32 v30, 16, v30
	s_or_b64 s[38:39], s[4:5], s[38:39]
	v_add_u32_e32 v32, 64, v32
	s_andn2_b64 exec, exec, s[38:39]
	s_cbranch_execz .LBB165_92
.LBB165_13:                             ; =>This Inner Loop Header: Depth=1
	v_mul_hi_u32 v1, v30, s46
	s_waitcnt lgkmcnt(0)
	v_mul_lo_u32 v2, v1, s25
	v_add_u32_e32 v3, 1, v1
	v_sub_u32_e32 v2, v30, v2
	v_cmp_le_u32_e64 s[4:5], s25, v2
	v_cndmask_b32_e64 v1, v1, v3, s[4:5]
	v_subrev_u32_e32 v3, s25, v2
	v_cndmask_b32_e64 v2, v2, v3, s[4:5]
	v_add_u32_e32 v3, 1, v1
	v_cmp_le_u32_e64 s[4:5], s25, v2
	v_cndmask_b32_e64 v1, v1, v3, s[4:5]
	v_xor_b32_e32 v1, s23, v1
	v_subrev_u32_e32 v1, s23, v1
	v_add_u32_e32 v2, s36, v1
	v_sub_u32_e32 v3, 0, v2
	v_max_i32_e32 v3, v2, v3
	v_mul_hi_u32 v4, v3, v29
	v_ashrrev_i32_e32 v2, 31, v2
	v_cmp_ge_i32_e64 s[6:7], s49, v1
	v_mul_lo_u32 v4, v4, s50
	v_sub_u32_e32 v3, v3, v4
	v_subrev_u32_e32 v4, s50, v3
	v_cmp_le_u32_e64 s[4:5], s50, v3
	v_cndmask_b32_e64 v3, v3, v4, s[4:5]
	v_subrev_u32_e32 v4, s50, v3
	v_cmp_le_u32_e64 s[4:5], s50, v3
	v_cndmask_b32_e64 v3, v3, v4, s[4:5]
	v_xor_b32_e32 v3, v3, v2
	v_sub_u32_e32 v2, v3, v2
	v_cmp_ne_u32_e64 s[4:5], 0, v2
	s_and_b64 s[4:5], s[4:5], s[6:7]
	s_and_saveexec_b64 s[6:7], s[4:5]
	s_xor_b64 s[4:5], exec, s[6:7]
	s_cbranch_execz .LBB165_17
; %bb.14:                               ;   in Loop: Header=BB165_13 Depth=1
	s_and_saveexec_b64 s[6:7], vcc
; %bb.15:                               ;   in Loop: Header=BB165_13 Depth=1
	ds_write_b32 v32, v33
; %bb.16:                               ;   in Loop: Header=BB165_13 Depth=1
	s_or_b64 exec, exec, s[6:7]
.LBB165_17:                             ;   in Loop: Header=BB165_13 Depth=1
	s_andn2_saveexec_b64 s[6:7], s[4:5]
	s_cbranch_execz .LBB165_12
; %bb.18:                               ;   in Loop: Header=BB165_13 Depth=1
	global_load_dword v1, v[15:16], off
	v_mov_b32_e32 v37, 0
	v_mov_b32_e32 v38, 0
	s_waitcnt vmcnt(0)
	v_mad_i64_i32 v[17:18], s[4:5], v1, s51, v[13:14]
	global_load_ubyte v39, v[17:18], off
	ds_read_b128 v[9:12], v27
	ds_read_b128 v[5:8], v27 offset:16
	ds_read_b128 v[1:4], v27 offset:32
	s_load_dword s54, s[12:13], 0x0
	s_waitcnt vmcnt(0)
	v_cmp_ne_u16_e64 s[4:5], 0, v39
	s_and_saveexec_b64 s[40:41], s[4:5]
	s_cbranch_execz .LBB165_24
; %bb.19:                               ;   in Loop: Header=BB165_13 Depth=1
	v_cmp_ne_u16_e64 s[4:5], s52, v39
	v_bfrev_b32_e32 v38, 1
	s_and_saveexec_b64 s[42:43], s[4:5]
	s_cbranch_execz .LBB165_23
; %bb.20:                               ;   in Loop: Header=BB165_13 Depth=1
	v_and_b32_e32 v19, 0xffff, v39
	v_and_b32_e32 v40, 0x7f, v19
	v_cmp_ne_u32_e64 s[4:5], s53, v40
	v_mov_b32_e32 v38, 0x7f800001
	s_and_saveexec_b64 s[44:45], s[4:5]
	s_cbranch_execz .LBB165_22
; %bb.21:                               ;   in Loop: Header=BB165_13 Depth=1
	v_and_b32_e32 v38, 7, v19
	v_ffbh_u32_e32 v41, v38
	v_min_u32_e32 v44, 32, v41
	v_subrev_u32_e32 v41, 28, v44
	v_lshlrev_b64 v[41:42], v41, v[19:20]
	v_lshrrev_b32_e32 v43, 3, v40
	v_sub_u32_e32 v19, 29, v44
	v_and_b32_e32 v41, 7, v41
	v_cmp_gt_u32_e64 s[4:5], 8, v40
	v_cndmask_b32_e64 v19, v43, v19, s[4:5]
	v_cndmask_b32_e64 v38, v38, v41, s[4:5]
	v_lshlrev_b32_e32 v39, 24, v39
	v_lshlrev_b32_e32 v38, 20, v38
	v_and_b32_e32 v39, 0x80000000, v39
	v_lshl_add_u32 v19, v19, 23, v34
	v_or3_b32 v38, v39, v19, v38
.LBB165_22:                             ;   in Loop: Header=BB165_13 Depth=1
	s_or_b64 exec, exec, s[44:45]
.LBB165_23:                             ;   in Loop: Header=BB165_13 Depth=1
	s_or_b64 exec, exec, s[42:43]
.LBB165_24:                             ;   in Loop: Header=BB165_13 Depth=1
	s_or_b64 exec, exec, s[40:41]
	global_load_ubyte v39, v[17:18], off offset:8
	s_waitcnt vmcnt(0)
	v_cmp_ne_u16_e64 s[4:5], 0, v39
	s_and_saveexec_b64 s[40:41], s[4:5]
	s_cbranch_execz .LBB165_30
; %bb.25:                               ;   in Loop: Header=BB165_13 Depth=1
	v_cmp_ne_u16_e64 s[4:5], s52, v39
	v_bfrev_b32_e32 v37, 1
	s_and_saveexec_b64 s[42:43], s[4:5]
	s_cbranch_execz .LBB165_29
; %bb.26:                               ;   in Loop: Header=BB165_13 Depth=1
	v_and_b32_e32 v19, 0xffff, v39
	v_and_b32_e32 v40, 0x7f, v19
	v_cmp_ne_u32_e64 s[4:5], s53, v40
	v_mov_b32_e32 v37, 0x7f800001
	s_and_saveexec_b64 s[44:45], s[4:5]
	s_cbranch_execz .LBB165_28
; %bb.27:                               ;   in Loop: Header=BB165_13 Depth=1
	v_and_b32_e32 v37, 7, v19
	v_ffbh_u32_e32 v41, v37
	v_min_u32_e32 v44, 32, v41
	v_subrev_u32_e32 v41, 28, v44
	v_lshlrev_b64 v[41:42], v41, v[19:20]
	v_lshrrev_b32_e32 v43, 3, v40
	v_sub_u32_e32 v19, 29, v44
	v_and_b32_e32 v41, 7, v41
	v_cmp_gt_u32_e64 s[4:5], 8, v40
	v_cndmask_b32_e64 v19, v43, v19, s[4:5]
	v_cndmask_b32_e64 v37, v37, v41, s[4:5]
	v_lshlrev_b32_e32 v39, 24, v39
	v_lshlrev_b32_e32 v37, 20, v37
	v_and_b32_e32 v39, 0x80000000, v39
	v_lshl_add_u32 v19, v19, 23, v34
	v_or3_b32 v37, v39, v19, v37
.LBB165_28:                             ;   in Loop: Header=BB165_13 Depth=1
	s_or_b64 exec, exec, s[44:45]
.LBB165_29:                             ;   in Loop: Header=BB165_13 Depth=1
	s_or_b64 exec, exec, s[42:43]
.LBB165_30:                             ;   in Loop: Header=BB165_13 Depth=1
	s_or_b64 exec, exec, s[40:41]
	global_load_ubyte v41, v[17:18], off offset:128
	v_mov_b32_e32 v39, 0
	v_mov_b32_e32 v40, 0
	s_waitcnt vmcnt(0)
	v_cmp_ne_u16_e64 s[4:5], 0, v41
	s_and_saveexec_b64 s[40:41], s[4:5]
	s_cbranch_execz .LBB165_36
; %bb.31:                               ;   in Loop: Header=BB165_13 Depth=1
	v_cmp_ne_u16_e64 s[4:5], s52, v41
	v_bfrev_b32_e32 v40, 1
	s_and_saveexec_b64 s[42:43], s[4:5]
	s_cbranch_execz .LBB165_35
; %bb.32:                               ;   in Loop: Header=BB165_13 Depth=1
	v_and_b32_e32 v19, 0xffff, v41
	v_and_b32_e32 v42, 0x7f, v19
	v_cmp_ne_u32_e64 s[4:5], s53, v42
	v_mov_b32_e32 v40, 0x7f800001
	s_and_saveexec_b64 s[44:45], s[4:5]
	s_cbranch_execz .LBB165_34
; %bb.33:                               ;   in Loop: Header=BB165_13 Depth=1
	v_and_b32_e32 v40, 7, v19
	v_ffbh_u32_e32 v43, v40
	v_min_u32_e32 v46, 32, v43
	v_subrev_u32_e32 v43, 28, v46
	v_lshlrev_b64 v[43:44], v43, v[19:20]
	v_lshrrev_b32_e32 v45, 3, v42
	v_sub_u32_e32 v19, 29, v46
	v_and_b32_e32 v43, 7, v43
	v_cmp_gt_u32_e64 s[4:5], 8, v42
	v_cndmask_b32_e64 v19, v45, v19, s[4:5]
	v_cndmask_b32_e64 v40, v40, v43, s[4:5]
	v_lshlrev_b32_e32 v41, 24, v41
	v_lshlrev_b32_e32 v40, 20, v40
	v_and_b32_e32 v41, 0x80000000, v41
	v_lshl_add_u32 v19, v19, 23, v34
	v_or3_b32 v40, v41, v19, v40
.LBB165_34:                             ;   in Loop: Header=BB165_13 Depth=1
	s_or_b64 exec, exec, s[44:45]
.LBB165_35:                             ;   in Loop: Header=BB165_13 Depth=1
	s_or_b64 exec, exec, s[42:43]
.LBB165_36:                             ;   in Loop: Header=BB165_13 Depth=1
	s_or_b64 exec, exec, s[40:41]
	global_load_ubyte v41, v[17:18], off offset:136
	s_waitcnt vmcnt(0)
	v_cmp_ne_u16_e64 s[4:5], 0, v41
	s_and_saveexec_b64 s[40:41], s[4:5]
	s_cbranch_execz .LBB165_42
; %bb.37:                               ;   in Loop: Header=BB165_13 Depth=1
	v_cmp_ne_u16_e64 s[4:5], s52, v41
	v_bfrev_b32_e32 v39, 1
	s_and_saveexec_b64 s[42:43], s[4:5]
	s_cbranch_execz .LBB165_41
; %bb.38:                               ;   in Loop: Header=BB165_13 Depth=1
	v_and_b32_e32 v19, 0xffff, v41
	v_and_b32_e32 v42, 0x7f, v19
	v_cmp_ne_u32_e64 s[4:5], s53, v42
	v_mov_b32_e32 v39, 0x7f800001
	s_and_saveexec_b64 s[44:45], s[4:5]
	s_cbranch_execz .LBB165_40
; %bb.39:                               ;   in Loop: Header=BB165_13 Depth=1
	v_and_b32_e32 v39, 7, v19
	v_ffbh_u32_e32 v43, v39
	v_min_u32_e32 v46, 32, v43
	v_subrev_u32_e32 v43, 28, v46
	v_lshlrev_b64 v[43:44], v43, v[19:20]
	v_lshrrev_b32_e32 v45, 3, v42
	v_sub_u32_e32 v19, 29, v46
	v_and_b32_e32 v43, 7, v43
	v_cmp_gt_u32_e64 s[4:5], 8, v42
	v_cndmask_b32_e64 v19, v45, v19, s[4:5]
	v_cndmask_b32_e64 v39, v39, v43, s[4:5]
	v_lshlrev_b32_e32 v41, 24, v41
	v_lshlrev_b32_e32 v39, 20, v39
	v_and_b32_e32 v41, 0x80000000, v41
	v_lshl_add_u32 v19, v19, 23, v34
	v_or3_b32 v39, v41, v19, v39
.LBB165_40:                             ;   in Loop: Header=BB165_13 Depth=1
	s_or_b64 exec, exec, s[44:45]
.LBB165_41:                             ;   in Loop: Header=BB165_13 Depth=1
	s_or_b64 exec, exec, s[42:43]
.LBB165_42:                             ;   in Loop: Header=BB165_13 Depth=1
	s_or_b64 exec, exec, s[40:41]
	global_load_ubyte v43, v[17:18], off offset:256
	v_mov_b32_e32 v41, 0
	v_mov_b32_e32 v42, 0
	s_waitcnt vmcnt(0)
	v_cmp_ne_u16_e64 s[4:5], 0, v43
	s_and_saveexec_b64 s[40:41], s[4:5]
	s_cbranch_execz .LBB165_48
; %bb.43:                               ;   in Loop: Header=BB165_13 Depth=1
	v_cmp_ne_u16_e64 s[4:5], s52, v43
	v_bfrev_b32_e32 v42, 1
	s_and_saveexec_b64 s[42:43], s[4:5]
	s_cbranch_execz .LBB165_47
; %bb.44:                               ;   in Loop: Header=BB165_13 Depth=1
	v_and_b32_e32 v19, 0xffff, v43
	v_and_b32_e32 v44, 0x7f, v19
	v_cmp_ne_u32_e64 s[4:5], s53, v44
	v_mov_b32_e32 v42, 0x7f800001
	s_and_saveexec_b64 s[44:45], s[4:5]
	s_cbranch_execz .LBB165_46
; %bb.45:                               ;   in Loop: Header=BB165_13 Depth=1
	v_and_b32_e32 v42, 7, v19
	v_ffbh_u32_e32 v45, v42
	v_min_u32_e32 v48, 32, v45
	v_subrev_u32_e32 v45, 28, v48
	v_lshlrev_b64 v[45:46], v45, v[19:20]
	v_lshrrev_b32_e32 v47, 3, v44
	v_sub_u32_e32 v19, 29, v48
	v_and_b32_e32 v45, 7, v45
	v_cmp_gt_u32_e64 s[4:5], 8, v44
	v_cndmask_b32_e64 v19, v47, v19, s[4:5]
	v_cndmask_b32_e64 v42, v42, v45, s[4:5]
	v_lshlrev_b32_e32 v43, 24, v43
	v_lshlrev_b32_e32 v42, 20, v42
	v_and_b32_e32 v43, 0x80000000, v43
	v_lshl_add_u32 v19, v19, 23, v34
	v_or3_b32 v42, v43, v19, v42
.LBB165_46:                             ;   in Loop: Header=BB165_13 Depth=1
	s_or_b64 exec, exec, s[44:45]
.LBB165_47:                             ;   in Loop: Header=BB165_13 Depth=1
	s_or_b64 exec, exec, s[42:43]
.LBB165_48:                             ;   in Loop: Header=BB165_13 Depth=1
	s_or_b64 exec, exec, s[40:41]
	global_load_ubyte v43, v[17:18], off offset:264
	s_waitcnt vmcnt(0)
	v_cmp_ne_u16_e64 s[4:5], 0, v43
	s_and_saveexec_b64 s[40:41], s[4:5]
	s_cbranch_execz .LBB165_54
; %bb.49:                               ;   in Loop: Header=BB165_13 Depth=1
	v_cmp_ne_u16_e64 s[4:5], s52, v43
	v_bfrev_b32_e32 v41, 1
	s_and_saveexec_b64 s[42:43], s[4:5]
	s_cbranch_execz .LBB165_53
; %bb.50:                               ;   in Loop: Header=BB165_13 Depth=1
	v_and_b32_e32 v19, 0xffff, v43
	v_and_b32_e32 v44, 0x7f, v19
	v_cmp_ne_u32_e64 s[4:5], s53, v44
	v_mov_b32_e32 v41, 0x7f800001
	s_and_saveexec_b64 s[44:45], s[4:5]
	s_cbranch_execz .LBB165_52
; %bb.51:                               ;   in Loop: Header=BB165_13 Depth=1
	v_and_b32_e32 v41, 7, v19
	v_ffbh_u32_e32 v45, v41
	v_min_u32_e32 v48, 32, v45
	v_subrev_u32_e32 v45, 28, v48
	v_lshlrev_b64 v[45:46], v45, v[19:20]
	v_lshrrev_b32_e32 v47, 3, v44
	v_sub_u32_e32 v19, 29, v48
	v_and_b32_e32 v45, 7, v45
	v_cmp_gt_u32_e64 s[4:5], 8, v44
	v_cndmask_b32_e64 v19, v47, v19, s[4:5]
	v_cndmask_b32_e64 v41, v41, v45, s[4:5]
	v_lshlrev_b32_e32 v43, 24, v43
	v_lshlrev_b32_e32 v41, 20, v41
	v_and_b32_e32 v43, 0x80000000, v43
	v_lshl_add_u32 v19, v19, 23, v34
	v_or3_b32 v41, v43, v19, v41
.LBB165_52:                             ;   in Loop: Header=BB165_13 Depth=1
	s_or_b64 exec, exec, s[44:45]
.LBB165_53:                             ;   in Loop: Header=BB165_13 Depth=1
	s_or_b64 exec, exec, s[42:43]
.LBB165_54:                             ;   in Loop: Header=BB165_13 Depth=1
	s_or_b64 exec, exec, s[40:41]
	global_load_ubyte v45, v[17:18], off offset:384
	v_mov_b32_e32 v43, 0
	v_mov_b32_e32 v44, 0
	s_waitcnt vmcnt(0)
	v_cmp_ne_u16_e64 s[4:5], 0, v45
	s_and_saveexec_b64 s[40:41], s[4:5]
	s_cbranch_execz .LBB165_60
; %bb.55:                               ;   in Loop: Header=BB165_13 Depth=1
	v_cmp_ne_u16_e64 s[4:5], s52, v45
	v_bfrev_b32_e32 v44, 1
	s_and_saveexec_b64 s[42:43], s[4:5]
	s_cbranch_execz .LBB165_59
; %bb.56:                               ;   in Loop: Header=BB165_13 Depth=1
	v_and_b32_e32 v19, 0xffff, v45
	v_and_b32_e32 v46, 0x7f, v19
	v_cmp_ne_u32_e64 s[4:5], s53, v46
	v_mov_b32_e32 v44, 0x7f800001
	s_and_saveexec_b64 s[44:45], s[4:5]
	s_cbranch_execz .LBB165_58
; %bb.57:                               ;   in Loop: Header=BB165_13 Depth=1
	v_and_b32_e32 v44, 7, v19
	v_ffbh_u32_e32 v47, v44
	v_min_u32_e32 v50, 32, v47
	v_subrev_u32_e32 v47, 28, v50
	v_lshlrev_b64 v[47:48], v47, v[19:20]
	v_lshrrev_b32_e32 v49, 3, v46
	v_sub_u32_e32 v19, 29, v50
	v_and_b32_e32 v47, 7, v47
	v_cmp_gt_u32_e64 s[4:5], 8, v46
	v_cndmask_b32_e64 v19, v49, v19, s[4:5]
	v_cndmask_b32_e64 v44, v44, v47, s[4:5]
	v_lshlrev_b32_e32 v45, 24, v45
	v_lshlrev_b32_e32 v44, 20, v44
	v_and_b32_e32 v45, 0x80000000, v45
	v_lshl_add_u32 v19, v19, 23, v34
	v_or3_b32 v44, v45, v19, v44
.LBB165_58:                             ;   in Loop: Header=BB165_13 Depth=1
	s_or_b64 exec, exec, s[44:45]
.LBB165_59:                             ;   in Loop: Header=BB165_13 Depth=1
	s_or_b64 exec, exec, s[42:43]
.LBB165_60:                             ;   in Loop: Header=BB165_13 Depth=1
	s_or_b64 exec, exec, s[40:41]
	global_load_ubyte v45, v[17:18], off offset:392
	s_waitcnt vmcnt(0)
	v_cmp_ne_u16_e64 s[4:5], 0, v45
	s_and_saveexec_b64 s[40:41], s[4:5]
	s_cbranch_execz .LBB165_66
; %bb.61:                               ;   in Loop: Header=BB165_13 Depth=1
	v_cmp_ne_u16_e64 s[4:5], s52, v45
	v_bfrev_b32_e32 v43, 1
	s_and_saveexec_b64 s[42:43], s[4:5]
	s_cbranch_execz .LBB165_65
; %bb.62:                               ;   in Loop: Header=BB165_13 Depth=1
	v_and_b32_e32 v19, 0xffff, v45
	v_and_b32_e32 v46, 0x7f, v19
	v_cmp_ne_u32_e64 s[4:5], s53, v46
	v_mov_b32_e32 v43, 0x7f800001
	s_and_saveexec_b64 s[44:45], s[4:5]
	s_cbranch_execz .LBB165_64
; %bb.63:                               ;   in Loop: Header=BB165_13 Depth=1
	v_and_b32_e32 v43, 7, v19
	v_ffbh_u32_e32 v47, v43
	v_min_u32_e32 v50, 32, v47
	v_subrev_u32_e32 v47, 28, v50
	v_lshlrev_b64 v[47:48], v47, v[19:20]
	v_lshrrev_b32_e32 v49, 3, v46
	v_sub_u32_e32 v19, 29, v50
	v_and_b32_e32 v47, 7, v47
	v_cmp_gt_u32_e64 s[4:5], 8, v46
	v_cndmask_b32_e64 v19, v49, v19, s[4:5]
	v_cndmask_b32_e64 v43, v43, v47, s[4:5]
	v_lshlrev_b32_e32 v45, 24, v45
	v_lshlrev_b32_e32 v43, 20, v43
	v_and_b32_e32 v45, 0x80000000, v45
	v_lshl_add_u32 v19, v19, 23, v34
	v_or3_b32 v43, v45, v19, v43
.LBB165_64:                             ;   in Loop: Header=BB165_13 Depth=1
	s_or_b64 exec, exec, s[44:45]
.LBB165_65:                             ;   in Loop: Header=BB165_13 Depth=1
	s_or_b64 exec, exec, s[42:43]
.LBB165_66:                             ;   in Loop: Header=BB165_13 Depth=1
	s_or_b64 exec, exec, s[40:41]
	global_load_ubyte v47, v[17:18], off offset:512
	v_mov_b32_e32 v45, 0
	v_mov_b32_e32 v46, 0
	s_waitcnt vmcnt(0)
	v_cmp_ne_u16_e64 s[4:5], 0, v47
	s_and_saveexec_b64 s[40:41], s[4:5]
	s_cbranch_execz .LBB165_72
; %bb.67:                               ;   in Loop: Header=BB165_13 Depth=1
	v_cmp_ne_u16_e64 s[4:5], s52, v47
	v_bfrev_b32_e32 v46, 1
	s_and_saveexec_b64 s[42:43], s[4:5]
	s_cbranch_execz .LBB165_71
; %bb.68:                               ;   in Loop: Header=BB165_13 Depth=1
	v_and_b32_e32 v19, 0xffff, v47
	v_and_b32_e32 v48, 0x7f, v19
	v_cmp_ne_u32_e64 s[4:5], s53, v48
	v_mov_b32_e32 v46, 0x7f800001
	s_and_saveexec_b64 s[44:45], s[4:5]
	s_cbranch_execz .LBB165_70
; %bb.69:                               ;   in Loop: Header=BB165_13 Depth=1
	v_and_b32_e32 v46, 7, v19
	v_ffbh_u32_e32 v49, v46
	v_min_u32_e32 v52, 32, v49
	v_subrev_u32_e32 v49, 28, v52
	v_lshlrev_b64 v[49:50], v49, v[19:20]
	v_lshrrev_b32_e32 v51, 3, v48
	v_sub_u32_e32 v19, 29, v52
	v_and_b32_e32 v49, 7, v49
	v_cmp_gt_u32_e64 s[4:5], 8, v48
	v_cndmask_b32_e64 v19, v51, v19, s[4:5]
	v_cndmask_b32_e64 v46, v46, v49, s[4:5]
	v_lshlrev_b32_e32 v47, 24, v47
	v_lshlrev_b32_e32 v46, 20, v46
	v_and_b32_e32 v47, 0x80000000, v47
	v_lshl_add_u32 v19, v19, 23, v34
	v_or3_b32 v46, v47, v19, v46
.LBB165_70:                             ;   in Loop: Header=BB165_13 Depth=1
	s_or_b64 exec, exec, s[44:45]
.LBB165_71:                             ;   in Loop: Header=BB165_13 Depth=1
	s_or_b64 exec, exec, s[42:43]
.LBB165_72:                             ;   in Loop: Header=BB165_13 Depth=1
	s_or_b64 exec, exec, s[40:41]
	global_load_ubyte v47, v[17:18], off offset:520
	s_waitcnt vmcnt(0)
	v_cmp_ne_u16_e64 s[4:5], 0, v47
	s_and_saveexec_b64 s[40:41], s[4:5]
	s_cbranch_execz .LBB165_78
; %bb.73:                               ;   in Loop: Header=BB165_13 Depth=1
	v_cmp_ne_u16_e64 s[4:5], s52, v47
	v_bfrev_b32_e32 v45, 1
	s_and_saveexec_b64 s[42:43], s[4:5]
	s_cbranch_execz .LBB165_77
; %bb.74:                               ;   in Loop: Header=BB165_13 Depth=1
	v_and_b32_e32 v19, 0xffff, v47
	v_and_b32_e32 v48, 0x7f, v19
	v_cmp_ne_u32_e64 s[4:5], s53, v48
	v_mov_b32_e32 v45, 0x7f800001
	s_and_saveexec_b64 s[44:45], s[4:5]
	s_cbranch_execz .LBB165_76
; %bb.75:                               ;   in Loop: Header=BB165_13 Depth=1
	v_and_b32_e32 v45, 7, v19
	v_ffbh_u32_e32 v49, v45
	v_min_u32_e32 v52, 32, v49
	v_subrev_u32_e32 v49, 28, v52
	v_lshlrev_b64 v[49:50], v49, v[19:20]
	v_lshrrev_b32_e32 v51, 3, v48
	v_sub_u32_e32 v19, 29, v52
	v_and_b32_e32 v49, 7, v49
	v_cmp_gt_u32_e64 s[4:5], 8, v48
	v_cndmask_b32_e64 v19, v51, v19, s[4:5]
	v_cndmask_b32_e64 v45, v45, v49, s[4:5]
	v_lshlrev_b32_e32 v47, 24, v47
	v_lshlrev_b32_e32 v45, 20, v45
	v_and_b32_e32 v47, 0x80000000, v47
	v_lshl_add_u32 v19, v19, 23, v34
	v_or3_b32 v45, v47, v19, v45
.LBB165_76:                             ;   in Loop: Header=BB165_13 Depth=1
	s_or_b64 exec, exec, s[44:45]
.LBB165_77:                             ;   in Loop: Header=BB165_13 Depth=1
	s_or_b64 exec, exec, s[42:43]
.LBB165_78:                             ;   in Loop: Header=BB165_13 Depth=1
	s_or_b64 exec, exec, s[40:41]
	global_load_ubyte v49, v[17:18], off offset:640
	v_mov_b32_e32 v47, 0
	v_mov_b32_e32 v48, 0
	s_waitcnt vmcnt(0)
	v_cmp_ne_u16_e64 s[4:5], 0, v49
	s_and_saveexec_b64 s[40:41], s[4:5]
	s_cbranch_execz .LBB165_84
; %bb.79:                               ;   in Loop: Header=BB165_13 Depth=1
	v_cmp_ne_u16_e64 s[4:5], s52, v49
	v_bfrev_b32_e32 v48, 1
	s_and_saveexec_b64 s[42:43], s[4:5]
	s_cbranch_execz .LBB165_83
; %bb.80:                               ;   in Loop: Header=BB165_13 Depth=1
	v_and_b32_e32 v19, 0xffff, v49
	v_and_b32_e32 v50, 0x7f, v19
	v_cmp_ne_u32_e64 s[4:5], s53, v50
	v_mov_b32_e32 v48, 0x7f800001
	s_and_saveexec_b64 s[44:45], s[4:5]
	s_cbranch_execz .LBB165_82
; %bb.81:                               ;   in Loop: Header=BB165_13 Depth=1
	v_and_b32_e32 v48, 7, v19
	v_ffbh_u32_e32 v51, v48
	v_min_u32_e32 v54, 32, v51
	v_subrev_u32_e32 v51, 28, v54
	v_lshlrev_b64 v[51:52], v51, v[19:20]
	v_lshrrev_b32_e32 v53, 3, v50
	v_sub_u32_e32 v19, 29, v54
	v_and_b32_e32 v51, 7, v51
	v_cmp_gt_u32_e64 s[4:5], 8, v50
	v_cndmask_b32_e64 v19, v53, v19, s[4:5]
	v_cndmask_b32_e64 v48, v48, v51, s[4:5]
	v_lshlrev_b32_e32 v49, 24, v49
	v_lshlrev_b32_e32 v48, 20, v48
	v_and_b32_e32 v49, 0x80000000, v49
	v_lshl_add_u32 v19, v19, 23, v34
	v_or3_b32 v48, v49, v19, v48
.LBB165_82:                             ;   in Loop: Header=BB165_13 Depth=1
	s_or_b64 exec, exec, s[44:45]
.LBB165_83:                             ;   in Loop: Header=BB165_13 Depth=1
	s_or_b64 exec, exec, s[42:43]
.LBB165_84:                             ;   in Loop: Header=BB165_13 Depth=1
	s_or_b64 exec, exec, s[40:41]
	global_load_ubyte v18, v[17:18], off offset:648
	s_waitcnt vmcnt(0)
	v_cmp_ne_u16_e64 s[4:5], 0, v18
	s_and_saveexec_b64 s[40:41], s[4:5]
	s_cbranch_execz .LBB165_90
; %bb.85:                               ;   in Loop: Header=BB165_13 Depth=1
	v_cmp_ne_u16_e64 s[4:5], s52, v18
	v_bfrev_b32_e32 v47, 1
	s_and_saveexec_b64 s[42:43], s[4:5]
	s_cbranch_execz .LBB165_89
; %bb.86:                               ;   in Loop: Header=BB165_13 Depth=1
	v_and_b32_e32 v17, 0xffff, v18
	v_and_b32_e32 v19, 0x7f, v17
	v_cmp_ne_u32_e64 s[4:5], s53, v19
	v_mov_b32_e32 v47, 0x7f800001
	s_and_saveexec_b64 s[44:45], s[4:5]
	s_cbranch_execz .LBB165_88
; %bb.87:                               ;   in Loop: Header=BB165_13 Depth=1
	v_and_b32_e32 v47, 7, v17
	v_ffbh_u32_e32 v49, v47
	v_min_u32_e32 v52, 32, v49
	v_subrev_u32_e32 v49, 28, v52
	v_lshlrev_b64 v[49:50], v49, v[17:18]
	v_lshrrev_b32_e32 v51, 3, v19
	v_sub_u32_e32 v17, 29, v52
	v_and_b32_e32 v49, 7, v49
	v_cmp_gt_u32_e64 s[4:5], 8, v19
	v_cndmask_b32_e64 v17, v51, v17, s[4:5]
	v_cndmask_b32_e64 v19, v47, v49, s[4:5]
	v_lshlrev_b32_e32 v18, 24, v18
	v_lshlrev_b32_e32 v19, 20, v19
	v_and_b32_e32 v18, 0x80000000, v18
	v_lshl_add_u32 v17, v17, 23, v34
	v_or3_b32 v47, v18, v17, v19
.LBB165_88:                             ;   in Loop: Header=BB165_13 Depth=1
	s_or_b64 exec, exec, s[44:45]
.LBB165_89:                             ;   in Loop: Header=BB165_13 Depth=1
	s_or_b64 exec, exec, s[42:43]
.LBB165_90:                             ;   in Loop: Header=BB165_13 Depth=1
	s_or_b64 exec, exec, s[40:41]
	s_waitcnt lgkmcnt(0)
	v_mul_f32_e32 v37, s54, v37
	v_mul_f32_e32 v38, s54, v38
	;; [unrolled: 1-line block ×4, first 2 shown]
	v_fmac_f32_e32 v10, v9, v38
	v_mul_f32_e32 v39, s54, v39
	v_fmac_f32_e32 v10, v11, v40
	v_mul_f32_e32 v42, s54, v42
	;; [unrolled: 2-line block ×6, first 2 shown]
	v_mul_f32_e32 v19, s54, v46
	v_and_b32_e32 v45, 64, v35
	v_fmac_f32_e32 v10, v8, v43
	v_add_u32_e32 v45, 64, v45
	v_xor_b32_e32 v46, 4, v35
	v_fmac_f32_e32 v10, v1, v19
	v_mul_f32_e32 v17, s54, v48
	v_cmp_lt_i32_e64 s[4:5], v46, v45
	v_fmac_f32_e32 v10, v2, v18
	v_cndmask_b32_e64 v46, v35, v46, s[4:5]
	v_mul_f32_e32 v47, s54, v47
	v_fmac_f32_e32 v10, v3, v17
	v_lshlrev_b32_e32 v46, 2, v46
	v_fmac_f32_e32 v10, v4, v47
	ds_bpermute_b32 v1, v46, v10
	v_xor_b32_e32 v2, 2, v35
	v_cmp_lt_i32_e64 s[4:5], v2, v45
	v_cndmask_b32_e64 v2, v35, v2, s[4:5]
	v_lshlrev_b32_e32 v2, 2, v2
	s_waitcnt lgkmcnt(0)
	v_add_f32_e32 v1, v10, v1
	ds_bpermute_b32 v2, v2, v1
	v_xor_b32_e32 v3, 1, v35
	v_cmp_lt_i32_e64 s[4:5], v3, v45
	v_cndmask_b32_e64 v3, v35, v3, s[4:5]
	v_lshlrev_b32_e32 v3, 2, v3
	s_waitcnt lgkmcnt(0)
	v_add_f32_e32 v1, v1, v2
	ds_bpermute_b32 v2, v3, v1
	s_and_saveexec_b64 s[40:41], vcc
	s_cbranch_execz .LBB165_11
; %bb.91:                               ;   in Loop: Header=BB165_13 Depth=1
	v_add_u32_e32 v3, v31, v30
	v_cvt_f32_i32_e32 v3, v3
	s_waitcnt lgkmcnt(0)
	v_add_f32_e32 v1, v1, v2
	v_add_u32_e32 v4, v23, v30
	v_cmp_gt_i32_e64 s[4:5], s33, v4
	v_mul_f32_e32 v2, s48, v3
	v_cndmask_b32_e64 v2, 0, v2, s[2:3]
	v_fmac_f32_e32 v2, s37, v1
	v_cndmask_b32_e64 v1, 0, v2, s[4:5]
	ds_write_b32 v32, v1
	v_max_f32_e32 v1, v28, v28
	v_max_f32_e32 v1, v1, v2
	v_cndmask_b32_e64 v28, v28, v1, s[4:5]
	s_branch .LBB165_11
.LBB165_92:
	s_or_b64 exec, exec, s[38:39]
.LBB165_93:
	s_or_b64 exec, exec, s[18:19]
	v_mbcnt_hi_u32_b32 v1, -1, v22
	v_and_b32_e32 v8, 64, v1
	s_waitcnt lgkmcnt(0)
	v_add_u32_e32 v2, 64, v8
	v_xor_b32_e32 v3, 32, v1
	v_cmp_lt_i32_e32 vcc, v3, v2
	v_cndmask_b32_e32 v3, v1, v3, vcc
	v_lshlrev_b32_e32 v4, 2, v3
	ds_bpermute_b32 v3, v4, v28
	v_xor_b32_e32 v6, 16, v1
	v_max_f32_e32 v5, v28, v28
	v_cmp_lt_i32_e32 vcc, v6, v2
	v_xor_b32_e32 v7, 8, v1
	s_waitcnt lgkmcnt(0)
	v_max_f32_e32 v3, v3, v3
	v_max_f32_e32 v3, v5, v3
	v_cndmask_b32_e32 v5, v1, v6, vcc
	v_lshlrev_b32_e32 v6, 2, v5
	ds_bpermute_b32 v5, v6, v3
	v_cmp_lt_i32_e32 vcc, v7, v2
	v_and_b32_e32 v27, 63, v0
	s_waitcnt lgkmcnt(0)
	v_max_f32_e32 v5, v5, v5
	v_max_f32_e32 v5, v3, v5
	v_cndmask_b32_e32 v3, v1, v7, vcc
	v_lshlrev_b32_e32 v7, 2, v3
	ds_bpermute_b32 v9, v7, v5
	v_cmp_eq_u32_e32 vcc, 0, v27
	v_lshlrev_b32_e32 v3, 2, v25
	s_and_saveexec_b64 s[2:3], vcc
	s_cbranch_execz .LBB165_95
; %bb.94:
	s_waitcnt lgkmcnt(0)
	v_max_f32_e32 v9, v9, v9
	v_max_f32_e32 v5, v5, v5
	;; [unrolled: 1-line block ×3, first 2 shown]
	ds_write_b32 v3, v5 offset:384
.LBB165_95:
	s_or_b64 exec, exec, s[2:3]
	v_cmp_gt_u32_e64 s[2:3], 2, v27
	s_waitcnt lgkmcnt(0)
	v_mov_b32_e32 v9, 0xff7fffff
	v_lshlrev_b32_e32 v5, 2, v27
	s_barrier
	s_and_saveexec_b64 s[4:5], s[2:3]
; %bb.96:
	ds_read_b32 v9, v5 offset:384
; %bb.97:
	s_or_b64 exec, exec, s[4:5]
	v_xor_b32_e32 v10, 1, v1
	v_cmp_lt_i32_e64 s[4:5], v10, v2
	v_cndmask_b32_e64 v10, v1, v10, s[4:5]
	v_lshlrev_b32_e32 v28, 2, v10
	s_waitcnt lgkmcnt(0)
	ds_bpermute_b32 v10, v28, v9
	v_max_f32_e32 v9, v9, v9
	v_lshlrev_b32_e32 v8, 2, v8
	s_lshl_b32 s4, s20, 3
	s_min_i32 s37, s4, s33
	s_waitcnt lgkmcnt(0)
	v_max_f32_e32 v10, v10, v10
	v_max_f32_e32 v9, v9, v10
	ds_bpermute_b32 v9, v8, v9
	v_cmp_gt_i32_e64 s[4:5], s37, v0
	v_mov_b32_e32 v8, 0
	s_and_saveexec_b64 s[12:13], s[4:5]
	s_cbranch_execz .LBB165_101
; %bb.98:
	v_mov_b32_e32 v8, 0x190
	v_lshl_add_u32 v10, v0, 2, v8
	v_mov_b32_e32 v8, 0
	s_mov_b64 s[18:19], 0
	v_mov_b32_e32 v11, v0
.LBB165_99:                             ; =>This Inner Loop Header: Depth=1
	ds_read_b32 v12, v10
	v_add_u32_e32 v11, 0x80, v11
	v_cmp_le_i32_e64 s[6:7], s37, v11
	s_or_b64 s[18:19], s[6:7], s[18:19]
	s_waitcnt lgkmcnt(0)
	v_sub_f32_e32 v12, v12, v9
	v_mul_f32_e32 v12, 0x3fb8aa3b, v12
	v_exp_f32_e32 v12, v12
	ds_write_b32 v10, v12
	v_add_f32_e32 v8, v8, v12
	v_add_u32_e32 v10, 0x200, v10
	s_andn2_b64 exec, exec, s[18:19]
	s_cbranch_execnz .LBB165_99
; %bb.100:
	s_or_b64 exec, exec, s[18:19]
.LBB165_101:
	s_or_b64 exec, exec, s[12:13]
	ds_bpermute_b32 v4, v4, v8
	s_waitcnt lgkmcnt(0)
	v_add_f32_e32 v4, v8, v4
	ds_bpermute_b32 v6, v6, v4
	s_waitcnt lgkmcnt(0)
	v_add_f32_e32 v4, v4, v6
	ds_bpermute_b32 v6, v7, v4
	v_xor_b32_e32 v7, 4, v1
	v_cmp_lt_i32_e64 s[6:7], v7, v2
	v_cndmask_b32_e64 v7, v1, v7, s[6:7]
	v_lshlrev_b32_e32 v7, 2, v7
	s_waitcnt lgkmcnt(0)
	v_add_f32_e32 v4, v4, v6
	ds_bpermute_b32 v6, v7, v4
	v_xor_b32_e32 v7, 2, v1
	v_cmp_lt_i32_e64 s[6:7], v7, v2
	v_cndmask_b32_e64 v2, v1, v7, s[6:7]
	v_lshlrev_b32_e32 v2, 2, v2
	s_waitcnt lgkmcnt(0)
	v_add_f32_e32 v4, v4, v6
	ds_bpermute_b32 v2, v2, v4
	s_waitcnt lgkmcnt(0)
	v_add_f32_e32 v2, v4, v2
	ds_bpermute_b32 v4, v28, v2
	s_waitcnt lgkmcnt(0)
	v_add_f32_e32 v2, v2, v4
	s_and_saveexec_b64 s[6:7], vcc
; %bb.102:
	ds_write_b32 v3, v2 offset:392
; %bb.103:
	s_or_b64 exec, exec, s[6:7]
	s_waitcnt lgkmcnt(0)
	s_barrier
	s_and_saveexec_b64 s[6:7], s[2:3]
; %bb.104:
	ds_read_b32 v2, v5 offset:392
; %bb.105:
	s_or_b64 exec, exec, s[6:7]
	s_waitcnt lgkmcnt(0)
	ds_bpermute_b32 v3, v28, v2
	v_lshlrev_b32_e32 v1, 2, v1
	v_and_b32_e32 v1, 0x100, v1
	s_waitcnt lgkmcnt(0)
	v_add_f32_e32 v2, v2, v3
	ds_bpermute_b32 v1, v1, v2
	s_and_saveexec_b64 s[2:3], s[4:5]
	s_cbranch_execz .LBB165_108
; %bb.106:
	s_waitcnt lgkmcnt(0)
	v_add_f32_e32 v2, 0x358637bd, v1
	v_div_scale_f32 v1, s[4:5], v2, v2, 1.0
	v_div_scale_f32 v3, vcc, 1.0, v2, 1.0
	s_mov_b64 s[4:5], 0
	v_rcp_f32_e32 v4, v1
	v_fma_f32 v5, -v1, v4, 1.0
	v_fmac_f32_e32 v4, v5, v4
	v_mul_f32_e32 v5, v3, v4
	v_fma_f32 v6, -v1, v5, v3
	v_fmac_f32_e32 v5, v6, v4
	v_fma_f32 v1, -v1, v5, v3
	v_div_fmas_f32 v3, v1, v4, v5
	v_mov_b32_e32 v1, 0x190
	v_lshl_add_u32 v1, v0, 2, v1
	v_div_fixup_f32 v2, v3, v2, 1.0
	v_mov_b32_e32 v3, v0
.LBB165_107:                            ; =>This Inner Loop Header: Depth=1
	ds_read_b32 v4, v1
	v_add_u32_e32 v3, 0x80, v3
	v_cmp_le_i32_e32 vcc, s37, v3
	s_or_b64 s[4:5], vcc, s[4:5]
	s_waitcnt lgkmcnt(0)
	v_mul_f32_e32 v4, v2, v4
	ds_write_b32 v1, v4
	v_add_u32_e32 v1, 0x200, v1
	s_andn2_b64 exec, exec, s[4:5]
	s_cbranch_execnz .LBB165_107
.LBB165_108:
	s_or_b64 exec, exec, s[2:3]
	v_mov_b32_e32 v33, 0
	v_and_b32_e32 v29, 1, v0
	v_mov_b32_e32 v34, 0
	v_mov_b32_e32 v32, 0
	s_waitcnt lgkmcnt(0)
	s_barrier
	s_and_saveexec_b64 s[2:3], s[0:1]
	s_cbranch_execz .LBB165_192
; %bb.109:
	s_sub_i32 s21, s16, s21
	s_ashr_i32 s0, s47, 31
	s_add_u32 s4, s34, s47
	s_addc_u32 s5, s35, s0
	s_abs_i32 s22, s22
	v_cvt_f32_u32_e32 v1, s22
	s_sub_i32 s0, 0, s22
	v_and_b32_e32 v2, 0xfc, v20
	s_add_i32 s35, s20, -1
	v_rcp_iflag_f32_e32 v1, v1
	v_mov_b32_e32 v6, s5
	v_add_co_u32_e32 v7, vcc, s4, v2
	v_mul_f32_e32 v1, 0x4f7ffffe, v1
	v_cvt_u32_f32_e32 v1, v1
	v_and_b32_e32 v3, 60, v21
	v_addc_co_u32_e32 v8, vcc, 0, v6, vcc
	v_mul_lo_u32 v4, s0, v1
	s_lshl_b64 s[0:1], s[30:31], 2
	s_add_u32 s0, s28, s0
	s_addc_u32 s1, s29, s1
	v_mul_hi_u32 v4, v1, v4
	v_add_co_u32_e32 v9, vcc, s0, v3
	v_mov_b32_e32 v5, 0
	v_add_u32_e32 v31, v1, v4
	v_mov_b32_e32 v1, s1
	v_addc_co_u32_e32 v10, vcc, 0, v1, vcc
	v_lshlrev_b32_e32 v1, 4, v29
	v_lshl_or_b32 v1, v25, 5, v1
	v_and_b32_e32 v30, 4, v20
	s_mov_b32 s34, s17
	v_add_u32_e32 v35, 0x190, v1
	s_mov_b64 s[4:5], 0
	s_movk_i32 s28, 0x80
	s_movk_i32 s29, 0x7f
	s_brev_b32 s30, 1
	s_mov_b32 s31, 0xffffff
	v_bfrev_b32_e32 v36, 60
	v_bfrev_b32_e32 v6, 1
	v_mov_b32_e32 v12, 0x7f800001
	v_mov_b32_e32 v37, 7
	;; [unrolled: 1-line block ×6, first 2 shown]
	s_branch .LBB165_112
.LBB165_110:                            ;   in Loop: Header=BB165_112 Depth=1
	s_or_b64 exec, exec, s[0:1]
	v_mul_f32_e32 v16, v1, v48
	v_fmac_f32_e32 v16, v2, v47
	v_fmac_f32_e32 v16, v3, v23
	;; [unrolled: 1-line block ×3, first 2 shown]
	v_add_f32_e32 v34, v34, v16
	v_mul_f32_e32 v16, v1, v42
	v_mul_f32_e32 v1, v1, v15
	v_fmac_f32_e32 v16, v2, v39
	v_fmac_f32_e32 v1, v2, v11
	;; [unrolled: 1-line block ×6, first 2 shown]
	v_add_f32_e32 v33, v33, v16
	v_add_f32_e32 v32, v32, v1
.LBB165_111:                            ;   in Loop: Header=BB165_112 Depth=1
	s_or_b64 exec, exec, s[6:7]
	v_add_co_u32_e32 v9, vcc, 8, v9
	v_add_u32_e32 v25, 2, v25
	v_addc_co_u32_e32 v10, vcc, 0, v10, vcc
	v_cmp_le_i32_e32 vcc, s20, v25
	v_add_u32_e32 v26, 16, v26
	s_or_b64 s[4:5], vcc, s[4:5]
	v_add_u32_e32 v35, 64, v35
	s_andn2_b64 exec, exec, s[4:5]
	s_cbranch_execz .LBB165_191
.LBB165_112:                            ; =>This Inner Loop Header: Depth=1
	v_mul_hi_u32 v1, v26, s46
	v_mul_lo_u32 v2, v1, s25
	v_add_u32_e32 v3, 1, v1
	v_sub_u32_e32 v2, v26, v2
	v_cmp_le_u32_e32 vcc, s25, v2
	v_cndmask_b32_e32 v1, v1, v3, vcc
	v_subrev_u32_e32 v3, s25, v2
	v_cndmask_b32_e32 v2, v2, v3, vcc
	v_add_u32_e32 v3, 1, v1
	v_cmp_le_u32_e32 vcc, s25, v2
	v_cndmask_b32_e32 v1, v1, v3, vcc
	v_xor_b32_e32 v1, s23, v1
	v_subrev_u32_e32 v1, s23, v1
	v_add_u32_e32 v2, s36, v1
	v_sub_u32_e32 v3, 0, v2
	v_max_i32_e32 v3, v2, v3
	v_mul_hi_u32 v4, v3, v31
	v_ashrrev_i32_e32 v2, 31, v2
	v_cmp_lt_i32_e64 s[0:1], s21, v1
	v_mul_lo_u32 v4, v4, s22
	v_sub_u32_e32 v3, v3, v4
	v_subrev_u32_e32 v4, s22, v3
	v_cmp_le_u32_e32 vcc, s22, v3
	v_cndmask_b32_e32 v3, v3, v4, vcc
	v_subrev_u32_e32 v4, s22, v3
	v_cmp_le_u32_e32 vcc, s22, v3
	v_cndmask_b32_e32 v3, v3, v4, vcc
	v_xor_b32_e32 v3, v3, v2
	v_sub_u32_e32 v2, v3, v2
	v_cmp_eq_u32_e32 vcc, 0, v2
	s_or_b64 s[0:1], vcc, s[0:1]
	s_and_saveexec_b64 s[6:7], s[0:1]
	s_cbranch_execz .LBB165_111
; %bb.113:                              ;   in Loop: Header=BB165_112 Depth=1
	global_load_dword v1, v[9:10], off
	s_load_dword s37, s[14:15], 0x0
	v_mov_b32_e32 v18, 0
	v_mov_b32_e32 v16, 0
	;; [unrolled: 1-line block ×4, first 2 shown]
	s_waitcnt vmcnt(0)
	v_mad_i64_i32 v[13:14], s[0:1], v1, s34, v[7:8]
	ds_read_b128 v[1:4], v35
	global_load_dword v15, v[13:14], off
	s_waitcnt vmcnt(0)
	v_cmp_ne_u16_sdwa s[12:13], v15, v5 src0_sel:BYTE_0 src1_sel:DWORD
	s_and_saveexec_b64 s[0:1], s[12:13]
	s_cbranch_execz .LBB165_119
; %bb.114:                              ;   in Loop: Header=BB165_112 Depth=1
	v_bfrev_b32_e32 v16, 1
	v_mov_b32_e32 v17, 0
	v_cmp_ne_u16_sdwa s[16:17], v15, s28 src0_sel:BYTE_0 src1_sel:DWORD
	s_and_saveexec_b64 s[12:13], s[16:17]
	s_cbranch_execz .LBB165_118
; %bb.115:                              ;   in Loop: Header=BB165_112 Depth=1
	v_and_b32_e32 v11, 0x7f, v15
	v_mov_b32_e32 v16, 0x7f800001
	v_mov_b32_e32 v17, 0
	v_cmp_ne_u32_e32 vcc, s29, v11
	s_and_saveexec_b64 s[16:17], vcc
	s_cbranch_execz .LBB165_117
; %bb.116:                              ;   in Loop: Header=BB165_112 Depth=1
	v_and_b32_e32 v20, 7, v15
	v_ffbh_u32_e32 v16, v20
	v_min_u32_e32 v22, 32, v16
	v_subrev_u32_e32 v16, 28, v22
	v_lshlrev_b64 v[16:17], v16, v[15:16]
	v_lshrrev_b32_e32 v21, 3, v11
	v_sub_u32_e32 v17, 29, v22
	v_and_b32_e32 v16, 7, v16
	v_cmp_gt_u32_e32 vcc, 8, v11
	v_cndmask_b32_e32 v11, v21, v17, vcc
	v_cndmask_b32_e32 v16, v20, v16, vcc
	v_lshlrev_b32_e32 v16, 20, v16
	v_and_b32_sdwa v17, sext(v15), s30 dst_sel:DWORD dst_unused:UNUSED_PAD src0_sel:BYTE_0 src1_sel:DWORD
	v_lshl_add_u32 v11, v11, 23, v36
	v_or3_b32 v16, v17, v11, v16
	v_mov_b32_e32 v17, v5
.LBB165_117:                            ;   in Loop: Header=BB165_112 Depth=1
	s_or_b64 exec, exec, s[16:17]
.LBB165_118:                            ;   in Loop: Header=BB165_112 Depth=1
	s_or_b64 exec, exec, s[12:13]
.LBB165_119:                            ;   in Loop: Header=BB165_112 Depth=1
	s_or_b64 exec, exec, s[0:1]
	v_cmp_ne_u16_sdwa s[12:13], v15, v5 src0_sel:BYTE_1 src1_sel:DWORD
	s_and_saveexec_b64 s[0:1], s[12:13]
	s_cbranch_execz .LBB165_125
; %bb.120:                              ;   in Loop: Header=BB165_112 Depth=1
	v_mov_b32_e32 v19, v6
	v_cmp_ne_u16_sdwa s[16:17], v15, s28 src0_sel:BYTE_1 src1_sel:DWORD
	v_mov_b32_e32 v18, v5
	s_and_saveexec_b64 s[12:13], s[16:17]
	s_cbranch_execz .LBB165_124
; %bb.121:                              ;   in Loop: Header=BB165_112 Depth=1
	v_and_b32_sdwa v20, v15, s29 dst_sel:DWORD dst_unused:UNUSED_PAD src0_sel:BYTE_1 src1_sel:DWORD
	v_mov_b32_e32 v11, v5
	v_mov_b32_e32 v19, v12
	v_cmp_ne_u32_e32 vcc, s29, v20
	v_mov_b32_e32 v18, v11
	s_and_saveexec_b64 s[16:17], vcc
	s_cbranch_execz .LBB165_123
; %bb.122:                              ;   in Loop: Header=BB165_112 Depth=1
	v_and_b32_sdwa v18, v15, v37 dst_sel:DWORD dst_unused:UNUSED_PAD src0_sel:BYTE_1 src1_sel:DWORD
	v_ffbh_u32_e32 v21, v18
	v_min_u32_e32 v23, 32, v21
	v_mov_b32_e32 v19, v5
	v_subrev_u32_e32 v21, 28, v23
	v_lshlrev_b64 v[21:22], v21, v[18:19]
	v_lshrrev_b32_e32 v11, 3, v20
	v_sub_u32_e32 v19, 29, v23
	v_cmp_gt_u32_e32 vcc, 8, v20
	v_and_b32_e32 v21, 7, v21
	v_cndmask_b32_e32 v11, v11, v19, vcc
	v_cndmask_b32_e32 v18, v18, v21, vcc
	v_lshlrev_b32_e32 v19, 16, v15
	v_lshl_add_u32 v11, v11, 23, v36
	v_and_or_b32 v11, v19, s30, v11
	v_lshlrev_b32_e32 v18, 20, v18
	v_or_b32_e32 v19, v11, v18
	v_mov_b32_e32 v18, v5
.LBB165_123:                            ;   in Loop: Header=BB165_112 Depth=1
	s_or_b64 exec, exec, s[16:17]
.LBB165_124:                            ;   in Loop: Header=BB165_112 Depth=1
	s_or_b64 exec, exec, s[12:13]
.LBB165_125:                            ;   in Loop: Header=BB165_112 Depth=1
	s_or_b64 exec, exec, s[0:1]
	v_lshrrev_b32_e32 v11, 16, v15
	v_mov_b32_e32 v22, 0
	v_mov_b32_e32 v20, 0
	;; [unrolled: 1-line block ×4, first 2 shown]
	v_cmp_ne_u16_sdwa s[12:13], v11, v5 src0_sel:BYTE_0 src1_sel:DWORD
	s_and_saveexec_b64 s[0:1], s[12:13]
	s_cbranch_execz .LBB165_131
; %bb.126:                              ;   in Loop: Header=BB165_112 Depth=1
	v_bfrev_b32_e32 v20, 1
	v_mov_b32_e32 v21, 0
	v_cmp_ne_u16_sdwa s[16:17], v11, s28 src0_sel:BYTE_0 src1_sel:DWORD
	s_and_saveexec_b64 s[12:13], s[16:17]
	s_cbranch_execz .LBB165_130
; %bb.127:                              ;   in Loop: Header=BB165_112 Depth=1
	v_bfe_u32 v39, v15, 16, 7
	v_mov_b32_e32 v20, 0x7f800001
	v_mov_b32_e32 v21, 0
	v_cmp_ne_u32_e32 vcc, s29, v39
	s_and_saveexec_b64 s[16:17], vcc
	s_cbranch_execz .LBB165_129
; %bb.128:                              ;   in Loop: Header=BB165_112 Depth=1
	v_and_b32_e32 v40, 7, v11
	v_ffbh_u32_e32 v20, v40
	v_min_u32_e32 v42, 32, v20
	v_subrev_u32_e32 v20, 28, v42
	v_lshlrev_b64 v[20:21], v20, v[11:12]
	v_lshrrev_b32_e32 v41, 3, v39
	v_sub_u32_e32 v21, 29, v42
	v_and_b32_e32 v20, 7, v20
	v_cmp_gt_u32_e32 vcc, 8, v39
	v_cndmask_b32_e32 v21, v41, v21, vcc
	v_cndmask_b32_e32 v20, v40, v20, vcc
	v_lshlrev_b32_e32 v20, 20, v20
	v_and_b32_sdwa v11, sext(v11), s30 dst_sel:DWORD dst_unused:UNUSED_PAD src0_sel:BYTE_0 src1_sel:DWORD
	v_lshl_add_u32 v21, v21, 23, v36
	v_or3_b32 v20, v11, v21, v20
	v_mov_b32_e32 v21, v5
.LBB165_129:                            ;   in Loop: Header=BB165_112 Depth=1
	s_or_b64 exec, exec, s[16:17]
.LBB165_130:                            ;   in Loop: Header=BB165_112 Depth=1
	s_or_b64 exec, exec, s[12:13]
.LBB165_131:                            ;   in Loop: Header=BB165_112 Depth=1
	s_or_b64 exec, exec, s[0:1]
	v_cmp_lt_u32_e32 vcc, s31, v15
	s_and_saveexec_b64 s[0:1], vcc
	s_cbranch_execz .LBB165_137
; %bb.132:                              ;   in Loop: Header=BB165_112 Depth=1
	v_mov_b32_e32 v23, v6
	v_cmp_ne_u32_sdwa s[16:17], v15, s28 src0_sel:BYTE_3 src1_sel:DWORD
	v_mov_b32_e32 v22, v5
	s_and_saveexec_b64 s[12:13], s[16:17]
	s_cbranch_execz .LBB165_136
; %bb.133:                              ;   in Loop: Header=BB165_112 Depth=1
	v_bfe_u32 v39, v15, 24, 7
	v_mov_b32_e32 v11, v5
	v_mov_b32_e32 v23, v12
	v_cmp_ne_u32_e32 vcc, s29, v39
	v_mov_b32_e32 v22, v11
	s_and_saveexec_b64 s[16:17], vcc
	s_cbranch_execz .LBB165_135
; %bb.134:                              ;   in Loop: Header=BB165_112 Depth=1
	v_and_b32_sdwa v22, v15, v37 dst_sel:DWORD dst_unused:UNUSED_PAD src0_sel:BYTE_3 src1_sel:DWORD
	v_ffbh_u32_e32 v40, v22
	v_min_u32_e32 v42, 32, v40
	v_mov_b32_e32 v23, v5
	v_subrev_u32_e32 v40, 28, v42
	v_lshlrev_b64 v[40:41], v40, v[22:23]
	v_lshrrev_b32_e32 v11, 3, v39
	v_sub_u32_e32 v23, 29, v42
	v_cmp_gt_u32_e32 vcc, 8, v39
	v_and_b32_e32 v40, 7, v40
	v_cndmask_b32_e32 v11, v11, v23, vcc
	v_cndmask_b32_e32 v22, v22, v40, vcc
	v_lshlrev_b32_sdwa v15, v38, v15 dst_sel:DWORD dst_unused:UNUSED_PAD src0_sel:DWORD src1_sel:BYTE_3
	v_lshl_add_u32 v11, v11, 23, v36
	v_and_or_b32 v11, v15, s30, v11
	v_lshlrev_b32_e32 v15, 20, v22
	v_or_b32_e32 v23, v11, v15
	v_mov_b32_e32 v22, v5
.LBB165_135:                            ;   in Loop: Header=BB165_112 Depth=1
	s_or_b64 exec, exec, s[16:17]
.LBB165_136:                            ;   in Loop: Header=BB165_112 Depth=1
	s_or_b64 exec, exec, s[12:13]
.LBB165_137:                            ;   in Loop: Header=BB165_112 Depth=1
	s_or_b64 exec, exec, s[0:1]
	v_or_b32_e32 v11, v19, v17
	v_or_b32_e32 v15, v18, v16
	v_add_u32_e32 v43, v30, v26
	s_waitcnt lgkmcnt(0)
	v_mul_f32_e32 v39, s37, v11
	v_mul_f32_e32 v42, s37, v15
	v_or_b32_e32 v11, v23, v21
	v_or_b32_e32 v15, v22, v20
	v_cmp_eq_u32_e32 vcc, s35, v25
	v_mul_f32_e32 v41, s37, v15
	v_mul_f32_e32 v40, s37, v11
	v_add_u32_e32 v46, 1, v43
	v_add_u32_e32 v45, 2, v43
	;; [unrolled: 1-line block ×3, first 2 shown]
	s_and_saveexec_b64 s[12:13], vcc
; %bb.138:                              ;   in Loop: Header=BB165_112 Depth=1
	v_cmp_gt_i32_e64 s[0:1], s33, v43
	v_cndmask_b32_e64 v42, 0, v42, s[0:1]
	v_cmp_gt_i32_e64 s[0:1], s33, v46
	v_cndmask_b32_e64 v39, 0, v39, s[0:1]
	;; [unrolled: 2-line block ×4, first 2 shown]
; %bb.139:                              ;   in Loop: Header=BB165_112 Depth=1
	s_or_b64 exec, exec, s[12:13]
	global_load_dword v15, v[13:14], off offset:256
	v_mov_b32_e32 v18, 0
	v_mov_b32_e32 v16, 0
	;; [unrolled: 1-line block ×4, first 2 shown]
	s_waitcnt vmcnt(0)
	v_cmp_ne_u16_sdwa s[0:1], v15, v5 src0_sel:BYTE_0 src1_sel:DWORD
	s_and_saveexec_b64 s[12:13], s[0:1]
	s_cbranch_execz .LBB165_145
; %bb.140:                              ;   in Loop: Header=BB165_112 Depth=1
	v_bfrev_b32_e32 v16, 1
	v_mov_b32_e32 v17, 0
	v_cmp_ne_u16_sdwa s[0:1], v15, s28 src0_sel:BYTE_0 src1_sel:DWORD
	s_and_saveexec_b64 s[16:17], s[0:1]
	s_cbranch_execz .LBB165_144
; %bb.141:                              ;   in Loop: Header=BB165_112 Depth=1
	v_and_b32_e32 v11, 0x7f, v15
	v_mov_b32_e32 v16, 0x7f800001
	v_mov_b32_e32 v17, 0
	v_cmp_ne_u32_e64 s[0:1], s29, v11
	s_and_saveexec_b64 s[18:19], s[0:1]
	s_cbranch_execz .LBB165_143
; %bb.142:                              ;   in Loop: Header=BB165_112 Depth=1
	v_and_b32_e32 v20, 7, v15
	v_ffbh_u32_e32 v16, v20
	v_min_u32_e32 v22, 32, v16
	v_subrev_u32_e32 v16, 28, v22
	v_lshlrev_b64 v[16:17], v16, v[15:16]
	v_lshrrev_b32_e32 v21, 3, v11
	v_sub_u32_e32 v17, 29, v22
	v_and_b32_e32 v16, 7, v16
	v_cmp_gt_u32_e64 s[0:1], 8, v11
	v_cndmask_b32_e64 v11, v21, v17, s[0:1]
	v_cndmask_b32_e64 v16, v20, v16, s[0:1]
	v_lshlrev_b32_e32 v16, 20, v16
	v_and_b32_sdwa v17, sext(v15), s30 dst_sel:DWORD dst_unused:UNUSED_PAD src0_sel:BYTE_0 src1_sel:DWORD
	v_lshl_add_u32 v11, v11, 23, v36
	v_or3_b32 v16, v17, v11, v16
	v_mov_b32_e32 v17, v5
.LBB165_143:                            ;   in Loop: Header=BB165_112 Depth=1
	s_or_b64 exec, exec, s[18:19]
.LBB165_144:                            ;   in Loop: Header=BB165_112 Depth=1
	s_or_b64 exec, exec, s[16:17]
.LBB165_145:                            ;   in Loop: Header=BB165_112 Depth=1
	s_or_b64 exec, exec, s[12:13]
	v_cmp_ne_u16_sdwa s[0:1], v15, v5 src0_sel:BYTE_1 src1_sel:DWORD
	s_and_saveexec_b64 s[12:13], s[0:1]
	s_cbranch_execz .LBB165_151
; %bb.146:                              ;   in Loop: Header=BB165_112 Depth=1
	v_mov_b32_e32 v19, v6
	v_cmp_ne_u16_sdwa s[0:1], v15, s28 src0_sel:BYTE_1 src1_sel:DWORD
	v_mov_b32_e32 v18, v5
	s_and_saveexec_b64 s[16:17], s[0:1]
	s_cbranch_execz .LBB165_150
; %bb.147:                              ;   in Loop: Header=BB165_112 Depth=1
	v_and_b32_sdwa v20, v15, s29 dst_sel:DWORD dst_unused:UNUSED_PAD src0_sel:BYTE_1 src1_sel:DWORD
	v_mov_b32_e32 v11, v5
	v_mov_b32_e32 v19, v12
	v_cmp_ne_u32_e64 s[0:1], s29, v20
	v_mov_b32_e32 v18, v11
	s_and_saveexec_b64 s[18:19], s[0:1]
	s_cbranch_execz .LBB165_149
; %bb.148:                              ;   in Loop: Header=BB165_112 Depth=1
	v_and_b32_sdwa v18, v15, v37 dst_sel:DWORD dst_unused:UNUSED_PAD src0_sel:BYTE_1 src1_sel:DWORD
	v_ffbh_u32_e32 v21, v18
	v_min_u32_e32 v23, 32, v21
	v_mov_b32_e32 v19, v5
	v_subrev_u32_e32 v21, 28, v23
	v_lshlrev_b64 v[21:22], v21, v[18:19]
	v_lshrrev_b32_e32 v11, 3, v20
	v_sub_u32_e32 v19, 29, v23
	v_cmp_gt_u32_e64 s[0:1], 8, v20
	v_and_b32_e32 v21, 7, v21
	v_cndmask_b32_e64 v11, v11, v19, s[0:1]
	v_cndmask_b32_e64 v18, v18, v21, s[0:1]
	v_lshlrev_b32_e32 v19, 16, v15
	v_lshl_add_u32 v11, v11, 23, v36
	v_and_or_b32 v11, v19, s30, v11
	v_lshlrev_b32_e32 v18, 20, v18
	v_or_b32_e32 v19, v11, v18
	v_mov_b32_e32 v18, v5
.LBB165_149:                            ;   in Loop: Header=BB165_112 Depth=1
	s_or_b64 exec, exec, s[18:19]
.LBB165_150:                            ;   in Loop: Header=BB165_112 Depth=1
	s_or_b64 exec, exec, s[16:17]
.LBB165_151:                            ;   in Loop: Header=BB165_112 Depth=1
	s_or_b64 exec, exec, s[12:13]
	v_lshrrev_b32_e32 v11, 16, v15
	v_mov_b32_e32 v22, 0
	v_mov_b32_e32 v20, 0
	;; [unrolled: 1-line block ×4, first 2 shown]
	v_cmp_ne_u16_sdwa s[0:1], v11, v5 src0_sel:BYTE_0 src1_sel:DWORD
	s_and_saveexec_b64 s[12:13], s[0:1]
	s_cbranch_execz .LBB165_157
; %bb.152:                              ;   in Loop: Header=BB165_112 Depth=1
	v_bfrev_b32_e32 v20, 1
	v_mov_b32_e32 v21, 0
	v_cmp_ne_u16_sdwa s[0:1], v11, s28 src0_sel:BYTE_0 src1_sel:DWORD
	s_and_saveexec_b64 s[16:17], s[0:1]
	s_cbranch_execz .LBB165_156
; %bb.153:                              ;   in Loop: Header=BB165_112 Depth=1
	v_bfe_u32 v47, v15, 16, 7
	v_mov_b32_e32 v20, 0x7f800001
	v_mov_b32_e32 v21, 0
	v_cmp_ne_u32_e64 s[0:1], s29, v47
	s_and_saveexec_b64 s[18:19], s[0:1]
	s_cbranch_execz .LBB165_155
; %bb.154:                              ;   in Loop: Header=BB165_112 Depth=1
	v_and_b32_e32 v48, 7, v11
	v_ffbh_u32_e32 v20, v48
	v_min_u32_e32 v50, 32, v20
	v_subrev_u32_e32 v20, 28, v50
	v_lshlrev_b64 v[20:21], v20, v[11:12]
	v_lshrrev_b32_e32 v49, 3, v47
	v_sub_u32_e32 v21, 29, v50
	v_and_b32_e32 v20, 7, v20
	v_cmp_gt_u32_e64 s[0:1], 8, v47
	v_cndmask_b32_e64 v21, v49, v21, s[0:1]
	v_cndmask_b32_e64 v20, v48, v20, s[0:1]
	v_lshlrev_b32_e32 v20, 20, v20
	v_and_b32_sdwa v11, sext(v11), s30 dst_sel:DWORD dst_unused:UNUSED_PAD src0_sel:BYTE_0 src1_sel:DWORD
	v_lshl_add_u32 v21, v21, 23, v36
	v_or3_b32 v20, v11, v21, v20
	v_mov_b32_e32 v21, v5
.LBB165_155:                            ;   in Loop: Header=BB165_112 Depth=1
	s_or_b64 exec, exec, s[18:19]
.LBB165_156:                            ;   in Loop: Header=BB165_112 Depth=1
	s_or_b64 exec, exec, s[16:17]
.LBB165_157:                            ;   in Loop: Header=BB165_112 Depth=1
	s_or_b64 exec, exec, s[12:13]
	v_cmp_lt_u32_e64 s[0:1], s31, v15
	s_and_saveexec_b64 s[12:13], s[0:1]
	s_cbranch_execz .LBB165_163
; %bb.158:                              ;   in Loop: Header=BB165_112 Depth=1
	v_mov_b32_e32 v23, v6
	v_cmp_ne_u32_sdwa s[0:1], v15, s28 src0_sel:BYTE_3 src1_sel:DWORD
	v_mov_b32_e32 v22, v5
	s_and_saveexec_b64 s[16:17], s[0:1]
	s_cbranch_execz .LBB165_162
; %bb.159:                              ;   in Loop: Header=BB165_112 Depth=1
	v_bfe_u32 v47, v15, 24, 7
	v_mov_b32_e32 v11, v5
	v_mov_b32_e32 v23, v12
	v_cmp_ne_u32_e64 s[0:1], s29, v47
	v_mov_b32_e32 v22, v11
	s_and_saveexec_b64 s[18:19], s[0:1]
	s_cbranch_execz .LBB165_161
; %bb.160:                              ;   in Loop: Header=BB165_112 Depth=1
	v_and_b32_sdwa v22, v15, v37 dst_sel:DWORD dst_unused:UNUSED_PAD src0_sel:BYTE_3 src1_sel:DWORD
	v_ffbh_u32_e32 v48, v22
	v_min_u32_e32 v50, 32, v48
	v_mov_b32_e32 v23, v5
	v_subrev_u32_e32 v48, 28, v50
	v_lshlrev_b64 v[48:49], v48, v[22:23]
	v_lshrrev_b32_e32 v11, 3, v47
	v_sub_u32_e32 v23, 29, v50
	v_cmp_gt_u32_e64 s[0:1], 8, v47
	v_and_b32_e32 v48, 7, v48
	v_cndmask_b32_e64 v11, v11, v23, s[0:1]
	v_cndmask_b32_e64 v22, v22, v48, s[0:1]
	v_lshlrev_b32_sdwa v15, v38, v15 dst_sel:DWORD dst_unused:UNUSED_PAD src0_sel:DWORD src1_sel:BYTE_3
	v_lshl_add_u32 v11, v11, 23, v36
	v_and_or_b32 v11, v15, s30, v11
	v_lshlrev_b32_e32 v15, 20, v22
	v_or_b32_e32 v23, v11, v15
	v_mov_b32_e32 v22, v5
.LBB165_161:                            ;   in Loop: Header=BB165_112 Depth=1
	s_or_b64 exec, exec, s[18:19]
.LBB165_162:                            ;   in Loop: Header=BB165_112 Depth=1
	s_or_b64 exec, exec, s[16:17]
.LBB165_163:                            ;   in Loop: Header=BB165_112 Depth=1
	s_or_b64 exec, exec, s[12:13]
	s_mov_b32 s38, s37
	v_or_b32_e32 v11, v19, v17
	v_or_b32_e32 v15, v18, v16
	v_mul_f32_e32 v47, s38, v11
	v_mul_f32_e32 v48, s37, v15
	v_or_b32_e32 v11, v23, v21
	v_or_b32_e32 v15, v22, v20
	v_mul_f32_e32 v23, s37, v15
	v_mul_f32_e32 v22, s38, v11
	s_and_saveexec_b64 s[12:13], vcc
; %bb.164:                              ;   in Loop: Header=BB165_112 Depth=1
	v_cmp_gt_i32_e64 s[0:1], s33, v43
	v_cndmask_b32_e64 v48, 0, v48, s[0:1]
	v_cmp_gt_i32_e64 s[0:1], s33, v46
	v_cndmask_b32_e64 v47, 0, v47, s[0:1]
	;; [unrolled: 2-line block ×4, first 2 shown]
; %bb.165:                              ;   in Loop: Header=BB165_112 Depth=1
	s_or_b64 exec, exec, s[12:13]
	global_load_dword v13, v[13:14], off offset:512
	v_mov_b32_e32 v16, 0
	v_mov_b32_e32 v14, 0
	;; [unrolled: 1-line block ×4, first 2 shown]
	s_waitcnt vmcnt(0)
	v_cmp_ne_u16_sdwa s[0:1], v13, v5 src0_sel:BYTE_0 src1_sel:DWORD
	s_and_saveexec_b64 s[12:13], s[0:1]
	s_cbranch_execz .LBB165_171
; %bb.166:                              ;   in Loop: Header=BB165_112 Depth=1
	v_bfrev_b32_e32 v14, 1
	v_mov_b32_e32 v15, 0
	v_cmp_ne_u16_sdwa s[0:1], v13, s28 src0_sel:BYTE_0 src1_sel:DWORD
	s_and_saveexec_b64 s[16:17], s[0:1]
	s_cbranch_execz .LBB165_170
; %bb.167:                              ;   in Loop: Header=BB165_112 Depth=1
	v_and_b32_e32 v11, 0x7f, v13
	v_mov_b32_e32 v14, 0x7f800001
	v_mov_b32_e32 v15, 0
	v_cmp_ne_u32_e64 s[0:1], s29, v11
	s_and_saveexec_b64 s[18:19], s[0:1]
	s_cbranch_execz .LBB165_169
; %bb.168:                              ;   in Loop: Header=BB165_112 Depth=1
	v_and_b32_e32 v18, 7, v13
	v_ffbh_u32_e32 v14, v18
	v_min_u32_e32 v20, 32, v14
	v_subrev_u32_e32 v14, 28, v20
	v_lshlrev_b64 v[14:15], v14, v[13:14]
	v_lshrrev_b32_e32 v19, 3, v11
	v_sub_u32_e32 v15, 29, v20
	v_and_b32_e32 v14, 7, v14
	v_cmp_gt_u32_e64 s[0:1], 8, v11
	v_cndmask_b32_e64 v11, v19, v15, s[0:1]
	v_cndmask_b32_e64 v14, v18, v14, s[0:1]
	v_lshlrev_b32_e32 v14, 20, v14
	v_and_b32_sdwa v15, sext(v13), s30 dst_sel:DWORD dst_unused:UNUSED_PAD src0_sel:BYTE_0 src1_sel:DWORD
	v_lshl_add_u32 v11, v11, 23, v36
	v_or3_b32 v14, v15, v11, v14
	v_mov_b32_e32 v15, v5
.LBB165_169:                            ;   in Loop: Header=BB165_112 Depth=1
	s_or_b64 exec, exec, s[18:19]
.LBB165_170:                            ;   in Loop: Header=BB165_112 Depth=1
	s_or_b64 exec, exec, s[16:17]
.LBB165_171:                            ;   in Loop: Header=BB165_112 Depth=1
	s_or_b64 exec, exec, s[12:13]
	v_cmp_ne_u16_sdwa s[0:1], v13, v5 src0_sel:BYTE_1 src1_sel:DWORD
	s_and_saveexec_b64 s[12:13], s[0:1]
	s_cbranch_execz .LBB165_177
; %bb.172:                              ;   in Loop: Header=BB165_112 Depth=1
	v_mov_b32_e32 v17, v6
	v_cmp_ne_u16_sdwa s[0:1], v13, s28 src0_sel:BYTE_1 src1_sel:DWORD
	v_mov_b32_e32 v16, v5
	s_and_saveexec_b64 s[16:17], s[0:1]
	s_cbranch_execz .LBB165_176
; %bb.173:                              ;   in Loop: Header=BB165_112 Depth=1
	v_and_b32_sdwa v18, v13, s29 dst_sel:DWORD dst_unused:UNUSED_PAD src0_sel:BYTE_1 src1_sel:DWORD
	v_mov_b32_e32 v11, v5
	v_mov_b32_e32 v17, v12
	v_cmp_ne_u32_e64 s[0:1], s29, v18
	v_mov_b32_e32 v16, v11
	s_and_saveexec_b64 s[18:19], s[0:1]
	s_cbranch_execz .LBB165_175
; %bb.174:                              ;   in Loop: Header=BB165_112 Depth=1
	v_and_b32_sdwa v16, v13, v37 dst_sel:DWORD dst_unused:UNUSED_PAD src0_sel:BYTE_1 src1_sel:DWORD
	v_ffbh_u32_e32 v19, v16
	v_min_u32_e32 v21, 32, v19
	v_mov_b32_e32 v17, v5
	v_subrev_u32_e32 v19, 28, v21
	v_lshlrev_b64 v[19:20], v19, v[16:17]
	v_lshrrev_b32_e32 v11, 3, v18
	v_sub_u32_e32 v17, 29, v21
	v_cmp_gt_u32_e64 s[0:1], 8, v18
	v_and_b32_e32 v19, 7, v19
	v_cndmask_b32_e64 v11, v11, v17, s[0:1]
	v_cndmask_b32_e64 v16, v16, v19, s[0:1]
	v_lshlrev_b32_e32 v17, 16, v13
	v_lshl_add_u32 v11, v11, 23, v36
	v_and_or_b32 v11, v17, s30, v11
	v_lshlrev_b32_e32 v16, 20, v16
	v_or_b32_e32 v17, v11, v16
	v_mov_b32_e32 v16, v5
.LBB165_175:                            ;   in Loop: Header=BB165_112 Depth=1
	s_or_b64 exec, exec, s[18:19]
.LBB165_176:                            ;   in Loop: Header=BB165_112 Depth=1
	s_or_b64 exec, exec, s[16:17]
.LBB165_177:                            ;   in Loop: Header=BB165_112 Depth=1
	s_or_b64 exec, exec, s[12:13]
	v_lshrrev_b32_e32 v11, 16, v13
	v_mov_b32_e32 v20, 0
	v_mov_b32_e32 v18, 0
	;; [unrolled: 1-line block ×4, first 2 shown]
	v_cmp_ne_u16_sdwa s[0:1], v11, v5 src0_sel:BYTE_0 src1_sel:DWORD
	s_and_saveexec_b64 s[12:13], s[0:1]
	s_cbranch_execz .LBB165_183
; %bb.178:                              ;   in Loop: Header=BB165_112 Depth=1
	v_bfrev_b32_e32 v18, 1
	v_mov_b32_e32 v19, 0
	v_cmp_ne_u16_sdwa s[0:1], v11, s28 src0_sel:BYTE_0 src1_sel:DWORD
	s_and_saveexec_b64 s[16:17], s[0:1]
	s_cbranch_execz .LBB165_182
; %bb.179:                              ;   in Loop: Header=BB165_112 Depth=1
	v_bfe_u32 v49, v13, 16, 7
	v_mov_b32_e32 v18, 0x7f800001
	v_mov_b32_e32 v19, 0
	v_cmp_ne_u32_e64 s[0:1], s29, v49
	s_and_saveexec_b64 s[18:19], s[0:1]
	s_cbranch_execz .LBB165_181
; %bb.180:                              ;   in Loop: Header=BB165_112 Depth=1
	v_and_b32_e32 v50, 7, v11
	v_ffbh_u32_e32 v18, v50
	v_min_u32_e32 v52, 32, v18
	v_subrev_u32_e32 v18, 28, v52
	v_lshlrev_b64 v[18:19], v18, v[11:12]
	v_lshrrev_b32_e32 v51, 3, v49
	v_sub_u32_e32 v19, 29, v52
	v_and_b32_e32 v18, 7, v18
	v_cmp_gt_u32_e64 s[0:1], 8, v49
	v_cndmask_b32_e64 v19, v51, v19, s[0:1]
	v_cndmask_b32_e64 v18, v50, v18, s[0:1]
	v_lshlrev_b32_e32 v18, 20, v18
	v_and_b32_sdwa v11, sext(v11), s30 dst_sel:DWORD dst_unused:UNUSED_PAD src0_sel:BYTE_0 src1_sel:DWORD
	v_lshl_add_u32 v19, v19, 23, v36
	v_or3_b32 v18, v11, v19, v18
	v_mov_b32_e32 v19, v5
.LBB165_181:                            ;   in Loop: Header=BB165_112 Depth=1
	s_or_b64 exec, exec, s[18:19]
.LBB165_182:                            ;   in Loop: Header=BB165_112 Depth=1
	s_or_b64 exec, exec, s[16:17]
.LBB165_183:                            ;   in Loop: Header=BB165_112 Depth=1
	s_or_b64 exec, exec, s[12:13]
	v_cmp_lt_u32_e64 s[0:1], s31, v13
	s_and_saveexec_b64 s[12:13], s[0:1]
	s_cbranch_execz .LBB165_189
; %bb.184:                              ;   in Loop: Header=BB165_112 Depth=1
	v_mov_b32_e32 v21, v6
	v_cmp_ne_u32_sdwa s[0:1], v13, s28 src0_sel:BYTE_3 src1_sel:DWORD
	v_mov_b32_e32 v20, v5
	s_and_saveexec_b64 s[16:17], s[0:1]
	s_cbranch_execz .LBB165_188
; %bb.185:                              ;   in Loop: Header=BB165_112 Depth=1
	v_bfe_u32 v49, v13, 24, 7
	v_mov_b32_e32 v11, v5
	v_mov_b32_e32 v21, v12
	v_cmp_ne_u32_e64 s[0:1], s29, v49
	v_mov_b32_e32 v20, v11
	s_and_saveexec_b64 s[18:19], s[0:1]
	s_cbranch_execz .LBB165_187
; %bb.186:                              ;   in Loop: Header=BB165_112 Depth=1
	v_and_b32_sdwa v20, v13, v37 dst_sel:DWORD dst_unused:UNUSED_PAD src0_sel:BYTE_3 src1_sel:DWORD
	v_ffbh_u32_e32 v50, v20
	v_min_u32_e32 v52, 32, v50
	v_mov_b32_e32 v21, v5
	v_subrev_u32_e32 v50, 28, v52
	v_lshlrev_b64 v[50:51], v50, v[20:21]
	v_lshrrev_b32_e32 v11, 3, v49
	v_sub_u32_e32 v21, 29, v52
	v_cmp_gt_u32_e64 s[0:1], 8, v49
	v_and_b32_e32 v50, 7, v50
	v_cndmask_b32_e64 v11, v11, v21, s[0:1]
	v_cndmask_b32_e64 v20, v20, v50, s[0:1]
	v_lshlrev_b32_sdwa v13, v38, v13 dst_sel:DWORD dst_unused:UNUSED_PAD src0_sel:DWORD src1_sel:BYTE_3
	v_lshl_add_u32 v11, v11, 23, v36
	v_and_or_b32 v11, v13, s30, v11
	v_lshlrev_b32_e32 v13, 20, v20
	v_or_b32_e32 v21, v11, v13
	v_mov_b32_e32 v20, v5
.LBB165_187:                            ;   in Loop: Header=BB165_112 Depth=1
	s_or_b64 exec, exec, s[18:19]
.LBB165_188:                            ;   in Loop: Header=BB165_112 Depth=1
	s_or_b64 exec, exec, s[16:17]
.LBB165_189:                            ;   in Loop: Header=BB165_112 Depth=1
	s_or_b64 exec, exec, s[12:13]
	v_or_b32_e32 v13, v16, v14
	v_or_b32_e32 v11, v17, v15
	v_mul_f32_e32 v15, s37, v13
	v_or_b32_e32 v13, v21, v19
	v_or_b32_e32 v14, v20, v18
	v_mul_f32_e32 v11, s38, v11
	v_mul_f32_e32 v14, s37, v14
	v_mul_f32_e32 v13, s38, v13
	s_and_saveexec_b64 s[0:1], vcc
	s_cbranch_execz .LBB165_110
; %bb.190:                              ;   in Loop: Header=BB165_112 Depth=1
	v_cmp_gt_i32_e32 vcc, s33, v43
	v_cndmask_b32_e32 v15, 0, v15, vcc
	v_cmp_gt_i32_e32 vcc, s33, v46
	v_cndmask_b32_e32 v11, 0, v11, vcc
	;; [unrolled: 2-line block ×4, first 2 shown]
	s_branch .LBB165_110
.LBB165_191:
	s_or_b64 exec, exec, s[4:5]
.LBB165_192:
	s_or_b64 exec, exec, s[2:3]
	ds_bpermute_b32 v1, v28, v33
	ds_bpermute_b32 v2, v28, v34
	;; [unrolled: 1-line block ×3, first 2 shown]
	v_and_b32_e32 v4, 0x3c1, v0
	v_cmp_eq_u32_e32 vcc, 64, v4
	s_waitcnt lgkmcnt(2)
	v_add_f32_e32 v1, v33, v1
	s_waitcnt lgkmcnt(1)
	v_add_f32_e32 v2, v34, v2
	;; [unrolled: 2-line block ×3, first 2 shown]
	s_barrier
	s_and_saveexec_b64 s[0:1], vcc
	s_cbranch_execz .LBB165_194
; %bb.193:
	v_mov_b32_e32 v5, 0x190
	v_lshl_add_u32 v5, v27, 1, v5
	ds_write2_b32 v5, v1, v2 offset1:32
	ds_write_b32 v5, v3 offset:256
.LBB165_194:
	s_or_b64 exec, exec, s[0:1]
	v_cmp_gt_u32_e32 vcc, 64, v0
	s_waitcnt lgkmcnt(0)
	s_barrier
	s_and_saveexec_b64 s[0:1], vcc
	s_cbranch_execz .LBB165_200
; %bb.195:
	v_mov_b32_e32 v0, 0x190
	v_cmp_eq_u32_e32 vcc, 0, v29
	v_lshl_add_u32 v0, v24, 2, v0
	s_and_saveexec_b64 s[2:3], vcc
	s_cbranch_execnz .LBB165_203
; %bb.196:
	s_or_b64 exec, exec, s[2:3]
	s_and_saveexec_b64 s[2:3], vcc
	s_cbranch_execnz .LBB165_204
.LBB165_197:
	s_or_b64 exec, exec, s[2:3]
	s_and_saveexec_b64 s[2:3], vcc
	s_cbranch_execz .LBB165_199
.LBB165_198:
	ds_read_b32 v0, v0 offset:256
	s_waitcnt lgkmcnt(0)
	v_add_f32_e32 v3, v3, v0
.LBB165_199:
	s_or_b64 exec, exec, s[2:3]
.LBB165_200:
	s_or_b64 exec, exec, s[0:1]
	v_cmp_eq_u32_e32 vcc, 0, v4
	s_barrier
	s_and_saveexec_b64 s[0:1], vcc
	s_cbranch_execz .LBB165_202
; %bb.201:
	s_mul_i32 s0, s10, s11
	s_mul_i32 s0, s0, s9
	s_mulk_i32 s0, 0x60
	s_ashr_i32 s1, s0, 31
	s_lshl_b64 s[0:1], s[0:1], 2
	s_add_u32 s2, s26, s0
	s_mul_i32 s0, s11, s24
	s_addc_u32 s3, s27, s1
	s_ashr_i32 s1, s0, 31
	s_lshl_b64 s[0:1], s[0:1], 2
	s_add_u32 s2, s2, s0
	s_mul_i32 s0, s8, 0x60
	s_addc_u32 s3, s3, s1
	s_ashr_i32 s1, s0, 31
	s_lshl_b64 s[0:1], s[0:1], 2
	s_add_u32 s0, s2, s0
	s_addc_u32 s1, s3, s1
	v_lshlrev_b32_e32 v0, 2, v24
	global_store_dword v0, v1, s[0:1]
	global_store_dword v0, v2, s[0:1] offset:128
	global_store_dword v0, v3, s[0:1] offset:256
.LBB165_202:
	s_endpgm
.LBB165_203:
	ds_read_b32 v5, v0
	s_waitcnt lgkmcnt(0)
	v_add_f32_e32 v1, v1, v5
	s_or_b64 exec, exec, s[2:3]
	s_and_saveexec_b64 s[2:3], vcc
	s_cbranch_execz .LBB165_197
.LBB165_204:
	ds_read_b32 v5, v0 offset:128
	s_waitcnt lgkmcnt(0)
	v_add_f32_e32 v2, v2, v5
	s_or_b64 exec, exec, s[2:3]
	s_and_saveexec_b64 s[2:3], vcc
	s_cbranch_execnz .LBB165_198
	s_branch .LBB165_199
	.section	.rodata,"a",@progbits
	.p2align	6, 0x0
	.amdhsa_kernel _ZN4vllm25paged_attention_v1_kernelIfhLi96ELi8ELi128ELNS_18Fp8KVCacheDataTypeE1ELb1EEEvPT_PKS2_PKT0_S8_ifPKiSA_iPKfiiiSC_SC_iiiii
		.amdhsa_group_segment_fixed_size 400
		.amdhsa_private_segment_fixed_size 0
		.amdhsa_kernarg_size 384
		.amdhsa_user_sgpr_count 6
		.amdhsa_user_sgpr_private_segment_buffer 1
		.amdhsa_user_sgpr_dispatch_ptr 0
		.amdhsa_user_sgpr_queue_ptr 0
		.amdhsa_user_sgpr_kernarg_segment_ptr 1
		.amdhsa_user_sgpr_dispatch_id 0
		.amdhsa_user_sgpr_flat_scratch_init 0
		.amdhsa_user_sgpr_private_segment_size 0
		.amdhsa_uses_dynamic_stack 0
		.amdhsa_system_sgpr_private_segment_wavefront_offset 0
		.amdhsa_system_sgpr_workgroup_id_x 1
		.amdhsa_system_sgpr_workgroup_id_y 1
		.amdhsa_system_sgpr_workgroup_id_z 1
		.amdhsa_system_sgpr_workgroup_info 0
		.amdhsa_system_vgpr_workitem_id 0
		.amdhsa_next_free_vgpr 55
		.amdhsa_next_free_sgpr 55
		.amdhsa_reserve_vcc 1
		.amdhsa_reserve_flat_scratch 0
		.amdhsa_float_round_mode_32 0
		.amdhsa_float_round_mode_16_64 0
		.amdhsa_float_denorm_mode_32 3
		.amdhsa_float_denorm_mode_16_64 3
		.amdhsa_dx10_clamp 1
		.amdhsa_ieee_mode 1
		.amdhsa_fp16_overflow 0
		.amdhsa_exception_fp_ieee_invalid_op 0
		.amdhsa_exception_fp_denorm_src 0
		.amdhsa_exception_fp_ieee_div_zero 0
		.amdhsa_exception_fp_ieee_overflow 0
		.amdhsa_exception_fp_ieee_underflow 0
		.amdhsa_exception_fp_ieee_inexact 0
		.amdhsa_exception_int_div_zero 0
	.end_amdhsa_kernel
	.section	.text._ZN4vllm25paged_attention_v1_kernelIfhLi96ELi8ELi128ELNS_18Fp8KVCacheDataTypeE1ELb1EEEvPT_PKS2_PKT0_S8_ifPKiSA_iPKfiiiSC_SC_iiiii,"axG",@progbits,_ZN4vllm25paged_attention_v1_kernelIfhLi96ELi8ELi128ELNS_18Fp8KVCacheDataTypeE1ELb1EEEvPT_PKS2_PKT0_S8_ifPKiSA_iPKfiiiSC_SC_iiiii,comdat
.Lfunc_end165:
	.size	_ZN4vllm25paged_attention_v1_kernelIfhLi96ELi8ELi128ELNS_18Fp8KVCacheDataTypeE1ELb1EEEvPT_PKS2_PKT0_S8_ifPKiSA_iPKfiiiSC_SC_iiiii, .Lfunc_end165-_ZN4vllm25paged_attention_v1_kernelIfhLi96ELi8ELi128ELNS_18Fp8KVCacheDataTypeE1ELb1EEEvPT_PKS2_PKT0_S8_ifPKiSA_iPKfiiiSC_SC_iiiii
                                        ; -- End function
	.set _ZN4vllm25paged_attention_v1_kernelIfhLi96ELi8ELi128ELNS_18Fp8KVCacheDataTypeE1ELb1EEEvPT_PKS2_PKT0_S8_ifPKiSA_iPKfiiiSC_SC_iiiii.num_vgpr, 55
	.set _ZN4vllm25paged_attention_v1_kernelIfhLi96ELi8ELi128ELNS_18Fp8KVCacheDataTypeE1ELb1EEEvPT_PKS2_PKT0_S8_ifPKiSA_iPKfiiiSC_SC_iiiii.num_agpr, 0
	.set _ZN4vllm25paged_attention_v1_kernelIfhLi96ELi8ELi128ELNS_18Fp8KVCacheDataTypeE1ELb1EEEvPT_PKS2_PKT0_S8_ifPKiSA_iPKfiiiSC_SC_iiiii.numbered_sgpr, 55
	.set _ZN4vllm25paged_attention_v1_kernelIfhLi96ELi8ELi128ELNS_18Fp8KVCacheDataTypeE1ELb1EEEvPT_PKS2_PKT0_S8_ifPKiSA_iPKfiiiSC_SC_iiiii.num_named_barrier, 0
	.set _ZN4vllm25paged_attention_v1_kernelIfhLi96ELi8ELi128ELNS_18Fp8KVCacheDataTypeE1ELb1EEEvPT_PKS2_PKT0_S8_ifPKiSA_iPKfiiiSC_SC_iiiii.private_seg_size, 0
	.set _ZN4vllm25paged_attention_v1_kernelIfhLi96ELi8ELi128ELNS_18Fp8KVCacheDataTypeE1ELb1EEEvPT_PKS2_PKT0_S8_ifPKiSA_iPKfiiiSC_SC_iiiii.uses_vcc, 1
	.set _ZN4vllm25paged_attention_v1_kernelIfhLi96ELi8ELi128ELNS_18Fp8KVCacheDataTypeE1ELb1EEEvPT_PKS2_PKT0_S8_ifPKiSA_iPKfiiiSC_SC_iiiii.uses_flat_scratch, 0
	.set _ZN4vllm25paged_attention_v1_kernelIfhLi96ELi8ELi128ELNS_18Fp8KVCacheDataTypeE1ELb1EEEvPT_PKS2_PKT0_S8_ifPKiSA_iPKfiiiSC_SC_iiiii.has_dyn_sized_stack, 0
	.set _ZN4vllm25paged_attention_v1_kernelIfhLi96ELi8ELi128ELNS_18Fp8KVCacheDataTypeE1ELb1EEEvPT_PKS2_PKT0_S8_ifPKiSA_iPKfiiiSC_SC_iiiii.has_recursion, 0
	.set _ZN4vllm25paged_attention_v1_kernelIfhLi96ELi8ELi128ELNS_18Fp8KVCacheDataTypeE1ELb1EEEvPT_PKS2_PKT0_S8_ifPKiSA_iPKfiiiSC_SC_iiiii.has_indirect_call, 0
	.section	.AMDGPU.csdata,"",@progbits
; Kernel info:
; codeLenInByte = 8396
; TotalNumSgprs: 59
; NumVgprs: 55
; ScratchSize: 0
; MemoryBound: 0
; FloatMode: 240
; IeeeMode: 1
; LDSByteSize: 400 bytes/workgroup (compile time only)
; SGPRBlocks: 7
; VGPRBlocks: 13
; NumSGPRsForWavesPerEU: 59
; NumVGPRsForWavesPerEU: 55
; Occupancy: 4
; WaveLimiterHint : 1
; COMPUTE_PGM_RSRC2:SCRATCH_EN: 0
; COMPUTE_PGM_RSRC2:USER_SGPR: 6
; COMPUTE_PGM_RSRC2:TRAP_HANDLER: 0
; COMPUTE_PGM_RSRC2:TGID_X_EN: 1
; COMPUTE_PGM_RSRC2:TGID_Y_EN: 1
; COMPUTE_PGM_RSRC2:TGID_Z_EN: 1
; COMPUTE_PGM_RSRC2:TIDIG_COMP_CNT: 0
	.section	.text._ZN4vllm25paged_attention_v1_kernelIfhLi112ELi8ELi128ELNS_18Fp8KVCacheDataTypeE1ELb1EEEvPT_PKS2_PKT0_S8_ifPKiSA_iPKfiiiSC_SC_iiiii,"axG",@progbits,_ZN4vllm25paged_attention_v1_kernelIfhLi112ELi8ELi128ELNS_18Fp8KVCacheDataTypeE1ELb1EEEvPT_PKS2_PKT0_S8_ifPKiSA_iPKfiiiSC_SC_iiiii,comdat
	.protected	_ZN4vllm25paged_attention_v1_kernelIfhLi112ELi8ELi128ELNS_18Fp8KVCacheDataTypeE1ELb1EEEvPT_PKS2_PKT0_S8_ifPKiSA_iPKfiiiSC_SC_iiiii ; -- Begin function _ZN4vllm25paged_attention_v1_kernelIfhLi112ELi8ELi128ELNS_18Fp8KVCacheDataTypeE1ELb1EEEvPT_PKS2_PKT0_S8_ifPKiSA_iPKfiiiSC_SC_iiiii
	.globl	_ZN4vllm25paged_attention_v1_kernelIfhLi112ELi8ELi128ELNS_18Fp8KVCacheDataTypeE1ELb1EEEvPT_PKS2_PKT0_S8_ifPKiSA_iPKfiiiSC_SC_iiiii
	.p2align	8
	.type	_ZN4vllm25paged_attention_v1_kernelIfhLi112ELi8ELi128ELNS_18Fp8KVCacheDataTypeE1ELb1EEEvPT_PKS2_PKT0_S8_ifPKiSA_iPKfiiiSC_SC_iiiii,@function
_ZN4vllm25paged_attention_v1_kernelIfhLi112ELi8ELi128ELNS_18Fp8KVCacheDataTypeE1ELb1EEEvPT_PKS2_PKT0_S8_ifPKiSA_iPKfiiiSC_SC_iiiii: ; @_ZN4vllm25paged_attention_v1_kernelIfhLi112ELi8ELi128ELNS_18Fp8KVCacheDataTypeE1ELb1EEEvPT_PKS2_PKT0_S8_ifPKiSA_iPKfiiiSC_SC_iiiii
; %bb.0:
	s_load_dword s9, s[4:5], 0x80
	s_load_dwordx2 s[0:1], s[4:5], 0x30
	s_load_dwordx2 s[36:37], s[4:5], 0x20
	s_mov_b32 s10, s7
	s_ashr_i32 s11, s7, 31
	s_lshl_b64 s[2:3], s[10:11], 2
	s_waitcnt lgkmcnt(0)
	s_add_u32 s0, s0, s2
	s_addc_u32 s1, s1, s3
	s_abs_i32 s2, s36
	v_cvt_f32_u32_e32 v1, s2
	s_sub_i32 s11, 0, s2
	s_abs_i32 s7, s9
	s_xor_b32 s3, s9, s36
	v_rcp_iflag_f32_e32 v1, v1
	s_ashr_i32 s3, s3, 31
	s_mov_b32 s49, 0
	v_mul_f32_e32 v1, 0x4f7ffffe, v1
	v_cvt_u32_f32_e32 v1, v1
	v_readfirstlane_b32 s12, v1
	s_mul_i32 s11, s11, s12
	s_mul_hi_u32 s11, s12, s11
	s_add_i32 s12, s12, s11
	s_mul_hi_u32 s11, s7, s12
	s_mul_i32 s12, s11, s2
	s_sub_i32 s7, s7, s12
	s_add_i32 s12, s11, 1
	s_sub_i32 s13, s7, s2
	s_cmp_ge_u32 s7, s2
	s_cselect_b32 s11, s12, s11
	s_cselect_b32 s7, s13, s7
	s_add_i32 s12, s11, 1
	s_cmp_ge_u32 s7, s2
	s_cselect_b32 s2, s12, s11
	s_xor_b32 s2, s2, s3
	s_sub_i32 s14, s2, s3
	s_abs_i32 s11, s14
	v_cvt_f32_u32_e32 v1, s11
	s_load_dwordx2 s[2:3], s[4:5], 0x40
	s_sub_i32 s7, 0, s11
	s_abs_i32 s12, s6
	v_rcp_iflag_f32_e32 v1, v1
	v_mul_f32_e32 v1, 0x4f7ffffe, v1
	v_cvt_u32_f32_e32 v1, v1
	v_readfirstlane_b32 s13, v1
	s_mul_i32 s7, s7, s13
	s_mul_hi_u32 s7, s13, s7
	s_add_i32 s13, s13, s7
	s_waitcnt lgkmcnt(0)
	s_cmp_eq_u64 s[2:3], 0
	s_mul_hi_u32 s13, s12, s13
	s_cbranch_scc1 .LBB166_2
; %bb.1:
	s_ashr_i32 s7, s6, 31
	s_lshl_b64 s[16:17], s[6:7], 2
	s_add_u32 s2, s2, s16
	s_addc_u32 s3, s3, s17
	s_load_dword s49, s[2:3], 0x0
.LBB166_2:
	s_load_dword s33, s[0:1], 0x0
	s_load_dwordx4 s[16:19], s[4:5], 0x48
	s_movk_i32 s0, 0x70
	s_ashr_i32 s2, s6, 31
	s_ashr_i32 s7, s14, 31
	v_and_b32_e32 v1, 7, v0
	s_mul_i32 s24, s6, 0x70
	v_cmp_gt_u32_e32 vcc, s0, v0
	v_lshlrev_b32_e32 v22, 2, v0
	v_lshrrev_b32_e32 v24, 1, v0
	s_and_saveexec_b64 s[0:1], vcc
	s_cbranch_execz .LBB166_4
; %bb.3:
	s_load_dwordx2 s[14:15], s[4:5], 0x8
	s_waitcnt lgkmcnt(0)
	s_mul_i32 s20, s16, s10
	s_ashr_i32 s21, s20, 31
	s_lshl_b64 s[20:21], s[20:21], 2
	v_and_b32_e32 v3, 0x1fc, v24
	s_add_u32 s3, s14, s20
	s_addc_u32 s16, s15, s21
	s_ashr_i32 s25, s24, 31
	s_lshl_b64 s[14:15], s[24:25], 2
	s_add_u32 s14, s3, s14
	s_addc_u32 s15, s16, s15
	global_load_dword v2, v22, s[14:15]
	v_mad_u32_u24 v3, v1, 56, v3
	s_waitcnt vmcnt(0)
	ds_write_b32 v3, v2
.LBB166_4:
	s_or_b64 exec, exec, s[0:1]
	s_mul_i32 s1, s13, s11
	s_sub_i32 s1, s12, s1
	s_xor_b32 s0, s2, s7
	s_add_i32 s2, s13, 1
	s_sub_i32 s7, s1, s11
	s_load_dwordx4 s[20:23], s[4:5], 0x68
	s_load_dword s3, s[4:5], 0x78
	s_cmp_ge_u32 s1, s11
	s_cselect_b32 s2, s2, s13
	s_cselect_b32 s1, s7, s1
	s_add_i32 s7, s2, 1
	s_cmp_ge_u32 s1, s11
	s_cselect_b32 s1, s7, s2
	s_waitcnt lgkmcnt(0)
	s_abs_i32 s25, s23
	v_cvt_f32_u32_e32 v2, s25
	s_xor_b32 s1, s1, s0
	s_sub_i32 s2, s1, s0
	s_sub_i32 s0, 0, s25
	v_rcp_iflag_f32_e32 v2, v2
	s_add_i32 s11, s33, -1
	s_abs_i32 s7, s11
	v_mul_f32_e32 v2, 0x4f7ffffe, v2
	v_cvt_u32_f32_e32 v2, v2
	s_barrier
	v_readfirstlane_b32 s46, v2
	s_mul_i32 s0, s0, s46
	s_mul_hi_u32 s0, s46, s0
	s_add_i32 s46, s46, s0
	s_cmp_lt_i32 s3, 0
	s_mul_hi_u32 s16, s7, s46
	s_cbranch_scc0 .LBB166_6
; %bb.5:
	s_mul_i32 s0, s20, s36
	s_add_i32 s0, s2, s0
	s_mul_i32 s0, s0, s3
	s_sub_i32 s36, 1, s0
	s_mov_b64 s[0:1], 0
	s_branch .LBB166_7
.LBB166_6:
	s_mov_b64 s[0:1], -1
                                        ; implicit-def: $sgpr36
.LBB166_7:
	s_load_dwordx2 s[28:29], s[4:5], 0x28
	s_ashr_i32 s19, s11, 31
	s_andn2_b64 vcc, exec, s[0:1]
	s_ashr_i32 s47, s23, 31
	s_cbranch_vccnz .LBB166_9
; %bb.8:
	s_mul_i32 s0, s9, s20
	s_add_i32 s0, s0, s6
	s_mul_i32 s0, s0, s3
	s_add_i32 s36, s0, 1
.LBB166_9:
	s_load_dword s0, s[4:5], 0x38
	s_load_dwordx2 s[26:27], s[4:5], 0x0
	s_load_dwordx2 s[34:35], s[4:5], 0x18
	s_load_dword s11, s[4:5], 0x88
	s_load_dwordx4 s[12:15], s[4:5], 0x58
	s_mul_i32 s1, s16, s25
	s_waitcnt lgkmcnt(0)
	s_mul_i32 s30, s0, s10
	s_sub_i32 s1, s7, s1
	s_ashr_i32 s31, s30, 31
	s_xor_b32 s0, s19, s47
	s_add_i32 s3, s16, 1
	s_sub_i32 s6, s1, s25
	s_cmp_ge_u32 s1, s25
	s_cselect_b32 s3, s3, s16
	s_cselect_b32 s1, s6, s1
	s_add_i32 s6, s3, 1
	s_cmp_ge_u32 s1, s25
	s_cselect_b32 s1, s6, s3
	s_xor_b32 s1, s1, s0
	s_sub_i32 s16, s1, s0
	s_add_i32 s0, s33, 7
	s_ashr_i32 s1, s0, 31
	s_lshr_b32 s1, s1, 29
	s_add_i32 s0, s0, s1
	s_ashr_i32 s48, s0, 3
	v_lshrrev_b32_e32 v25, 6, v0
	v_cmp_le_i32_e64 s[0:1], s48, v25
	v_cmp_gt_i32_e32 vcc, s48, v25
	v_mov_b32_e32 v30, 0xff7fffff
	s_mul_i32 s20, s2, s18
	v_lshrrev_b32_e32 v23, 4, v0
	v_lshlrev_b32_e32 v26, 3, v25
	v_mbcnt_lo_u32_b32 v27, -1, 0
	s_and_saveexec_b64 s[18:19], vcc
	s_cbranch_execz .LBB166_105
; %bb.10:
	s_load_dwordx2 s[2:3], s[4:5], 0x10
	s_sub_i32 s23, s16, s21
	s_ashr_i32 s4, s20, 31
	v_bfe_u32 v28, v0, 3, 3
	v_lshlrev_b32_e32 v3, 4, v28
	s_waitcnt lgkmcnt(0)
	s_add_u32 s5, s2, s20
	s_addc_u32 s4, s3, s4
	s_abs_i32 s50, s22
	v_cvt_f32_u32_e32 v2, s50
	v_mov_b32_e32 v4, s4
	s_sub_i32 s4, 0, s50
	v_cmp_eq_u32_e32 vcc, 0, v1
	v_rcp_iflag_f32_e32 v2, v2
	v_mul_u32_u24_e32 v29, 56, v1
	s_mov_b32 s51, s17
	v_cmp_neq_f32_e64 s[2:3], s49, 0
	v_mul_f32_e32 v2, 0x4f7ffffe, v2
	v_cvt_u32_f32_e32 v2, v2
	v_lshlrev_b32_e32 v32, 3, v25
	v_mov_b32_e32 v35, 0xff7fffff
	s_mov_b64 s[38:39], 0
	v_mul_lo_u32 v5, s4, v2
	v_add_co_u32_e64 v3, s[4:5], s5, v3
	v_addc_co_u32_e64 v4, s[4:5], 0, v4, s[4:5]
	v_add_co_u32_e64 v13, s[4:5], v3, v1
	v_mul_hi_u32 v5, v2, v5
	v_addc_co_u32_e64 v14, s[4:5], 0, v4, s[4:5]
	s_lshl_b64 s[4:5], s[30:31], 2
	s_add_u32 s4, s28, s4
	v_and_b32_e32 v1, 60, v23
	s_addc_u32 s5, s29, s5
	v_add_u32_e32 v31, v2, v5
	v_mov_b32_e32 v2, s5
	v_add_co_u32_e64 v15, s[4:5], s4, v1
	v_subrev_u32_e32 v1, s33, v28
	v_add_u32_e32 v33, 1, v1
	v_lshlrev_b32_e32 v1, 2, v28
	v_lshl_or_b32 v1, v25, 5, v1
	v_addc_co_u32_e64 v16, s[4:5], 0, v2, s[4:5]
	v_add_u32_e32 v34, 0x1d0, v1
	s_movk_i32 s52, 0x80
	s_movk_i32 s53, 0x7f
	v_bfrev_b32_e32 v36, 60
	v_mbcnt_hi_u32_b32 v37, -1, v27
	v_mov_b32_e32 v30, 0xff7fffff
	v_mov_b32_e32 v38, v25
	s_branch .LBB166_13
.LBB166_11:                             ;   in Loop: Header=BB166_13 Depth=1
	s_or_b64 exec, exec, s[40:41]
.LBB166_12:                             ;   in Loop: Header=BB166_13 Depth=1
	s_or_b64 exec, exec, s[6:7]
	v_add_co_u32_e64 v15, s[4:5], 8, v15
	v_add_u32_e32 v38, 2, v38
	v_addc_co_u32_e64 v16, s[4:5], 0, v16, s[4:5]
	v_cmp_le_i32_e64 s[4:5], s48, v38
	v_add_u32_e32 v32, 16, v32
	s_or_b64 s[38:39], s[4:5], s[38:39]
	v_add_u32_e32 v34, 64, v34
	s_andn2_b64 exec, exec, s[38:39]
	s_cbranch_execz .LBB166_104
.LBB166_13:                             ; =>This Inner Loop Header: Depth=1
	v_mul_hi_u32 v1, v32, s46
	s_waitcnt lgkmcnt(0)
	v_mul_lo_u32 v2, v1, s25
	v_add_u32_e32 v3, 1, v1
	v_sub_u32_e32 v2, v32, v2
	v_cmp_le_u32_e64 s[4:5], s25, v2
	v_cndmask_b32_e64 v1, v1, v3, s[4:5]
	v_subrev_u32_e32 v3, s25, v2
	v_cndmask_b32_e64 v2, v2, v3, s[4:5]
	v_add_u32_e32 v3, 1, v1
	v_cmp_le_u32_e64 s[4:5], s25, v2
	v_cndmask_b32_e64 v1, v1, v3, s[4:5]
	v_xor_b32_e32 v1, s47, v1
	v_subrev_u32_e32 v1, s47, v1
	v_add_u32_e32 v2, s36, v1
	v_sub_u32_e32 v3, 0, v2
	v_max_i32_e32 v3, v2, v3
	v_mul_hi_u32 v4, v3, v31
	v_ashrrev_i32_e32 v2, 31, v2
	v_cmp_ge_i32_e64 s[6:7], s23, v1
	v_mul_lo_u32 v4, v4, s50
	v_sub_u32_e32 v3, v3, v4
	v_subrev_u32_e32 v4, s50, v3
	v_cmp_le_u32_e64 s[4:5], s50, v3
	v_cndmask_b32_e64 v3, v3, v4, s[4:5]
	v_subrev_u32_e32 v4, s50, v3
	v_cmp_le_u32_e64 s[4:5], s50, v3
	v_cndmask_b32_e64 v3, v3, v4, s[4:5]
	v_xor_b32_e32 v3, v3, v2
	v_sub_u32_e32 v2, v3, v2
	v_cmp_ne_u32_e64 s[4:5], 0, v2
	s_and_b64 s[4:5], s[4:5], s[6:7]
	s_and_saveexec_b64 s[6:7], s[4:5]
	s_xor_b64 s[4:5], exec, s[6:7]
	s_cbranch_execz .LBB166_17
; %bb.14:                               ;   in Loop: Header=BB166_13 Depth=1
	s_and_saveexec_b64 s[6:7], vcc
; %bb.15:                               ;   in Loop: Header=BB166_13 Depth=1
	ds_write_b32 v34, v35
; %bb.16:                               ;   in Loop: Header=BB166_13 Depth=1
	s_or_b64 exec, exec, s[6:7]
.LBB166_17:                             ;   in Loop: Header=BB166_13 Depth=1
	s_andn2_saveexec_b64 s[6:7], s[4:5]
	s_cbranch_execz .LBB166_12
; %bb.18:                               ;   in Loop: Header=BB166_13 Depth=1
	global_load_dword v1, v[15:16], off
	v_mov_b32_e32 v39, 0
	v_mov_b32_e32 v40, 0
	s_waitcnt vmcnt(0)
	v_mad_i64_i32 v[19:20], s[4:5], v1, s51, v[13:14]
	global_load_ubyte v41, v[19:20], off
	ds_read2_b64 v[9:12], v29 offset1:1
	ds_read2_b64 v[5:8], v29 offset0:2 offset1:3
	ds_read2_b64 v[1:4], v29 offset0:4 offset1:5
	ds_read_b64 v[17:18], v29 offset:48
	s_load_dword s54, s[12:13], 0x0
	s_waitcnt vmcnt(0)
	v_cmp_ne_u16_e64 s[4:5], 0, v41
	s_and_saveexec_b64 s[40:41], s[4:5]
	s_cbranch_execz .LBB166_24
; %bb.19:                               ;   in Loop: Header=BB166_13 Depth=1
	v_cmp_ne_u16_e64 s[4:5], s52, v41
	v_bfrev_b32_e32 v40, 1
	s_and_saveexec_b64 s[42:43], s[4:5]
	s_cbranch_execz .LBB166_23
; %bb.20:                               ;   in Loop: Header=BB166_13 Depth=1
	v_and_b32_e32 v21, 0xffff, v41
	v_and_b32_e32 v42, 0x7f, v21
	v_cmp_ne_u32_e64 s[4:5], s53, v42
	v_mov_b32_e32 v40, 0x7f800001
	s_and_saveexec_b64 s[44:45], s[4:5]
	s_cbranch_execz .LBB166_22
; %bb.21:                               ;   in Loop: Header=BB166_13 Depth=1
	v_and_b32_e32 v40, 7, v21
	v_ffbh_u32_e32 v43, v40
	v_min_u32_e32 v46, 32, v43
	v_subrev_u32_e32 v43, 28, v46
	v_lshlrev_b64 v[43:44], v43, v[21:22]
	v_lshrrev_b32_e32 v45, 3, v42
	v_sub_u32_e32 v21, 29, v46
	v_and_b32_e32 v43, 7, v43
	v_cmp_gt_u32_e64 s[4:5], 8, v42
	v_cndmask_b32_e64 v21, v45, v21, s[4:5]
	v_cndmask_b32_e64 v40, v40, v43, s[4:5]
	v_lshlrev_b32_e32 v41, 24, v41
	v_lshlrev_b32_e32 v40, 20, v40
	v_and_b32_e32 v41, 0x80000000, v41
	v_lshl_add_u32 v21, v21, 23, v36
	v_or3_b32 v40, v41, v21, v40
.LBB166_22:                             ;   in Loop: Header=BB166_13 Depth=1
	s_or_b64 exec, exec, s[44:45]
.LBB166_23:                             ;   in Loop: Header=BB166_13 Depth=1
	s_or_b64 exec, exec, s[42:43]
.LBB166_24:                             ;   in Loop: Header=BB166_13 Depth=1
	s_or_b64 exec, exec, s[40:41]
	global_load_ubyte v41, v[19:20], off offset:8
	s_waitcnt vmcnt(0)
	v_cmp_ne_u16_e64 s[4:5], 0, v41
	s_and_saveexec_b64 s[40:41], s[4:5]
	s_cbranch_execz .LBB166_30
; %bb.25:                               ;   in Loop: Header=BB166_13 Depth=1
	v_cmp_ne_u16_e64 s[4:5], s52, v41
	v_bfrev_b32_e32 v39, 1
	s_and_saveexec_b64 s[42:43], s[4:5]
	s_cbranch_execz .LBB166_29
; %bb.26:                               ;   in Loop: Header=BB166_13 Depth=1
	v_and_b32_e32 v21, 0xffff, v41
	v_and_b32_e32 v42, 0x7f, v21
	v_cmp_ne_u32_e64 s[4:5], s53, v42
	v_mov_b32_e32 v39, 0x7f800001
	s_and_saveexec_b64 s[44:45], s[4:5]
	s_cbranch_execz .LBB166_28
; %bb.27:                               ;   in Loop: Header=BB166_13 Depth=1
	v_and_b32_e32 v39, 7, v21
	v_ffbh_u32_e32 v43, v39
	v_min_u32_e32 v46, 32, v43
	v_subrev_u32_e32 v43, 28, v46
	v_lshlrev_b64 v[43:44], v43, v[21:22]
	v_lshrrev_b32_e32 v45, 3, v42
	v_sub_u32_e32 v21, 29, v46
	v_and_b32_e32 v43, 7, v43
	v_cmp_gt_u32_e64 s[4:5], 8, v42
	v_cndmask_b32_e64 v21, v45, v21, s[4:5]
	v_cndmask_b32_e64 v39, v39, v43, s[4:5]
	v_lshlrev_b32_e32 v41, 24, v41
	v_lshlrev_b32_e32 v39, 20, v39
	v_and_b32_e32 v41, 0x80000000, v41
	v_lshl_add_u32 v21, v21, 23, v36
	v_or3_b32 v39, v41, v21, v39
.LBB166_28:                             ;   in Loop: Header=BB166_13 Depth=1
	s_or_b64 exec, exec, s[44:45]
.LBB166_29:                             ;   in Loop: Header=BB166_13 Depth=1
	s_or_b64 exec, exec, s[42:43]
.LBB166_30:                             ;   in Loop: Header=BB166_13 Depth=1
	s_or_b64 exec, exec, s[40:41]
	global_load_ubyte v43, v[19:20], off offset:128
	v_mov_b32_e32 v41, 0
	v_mov_b32_e32 v42, 0
	s_waitcnt vmcnt(0)
	v_cmp_ne_u16_e64 s[4:5], 0, v43
	s_and_saveexec_b64 s[40:41], s[4:5]
	s_cbranch_execz .LBB166_36
; %bb.31:                               ;   in Loop: Header=BB166_13 Depth=1
	v_cmp_ne_u16_e64 s[4:5], s52, v43
	v_bfrev_b32_e32 v42, 1
	s_and_saveexec_b64 s[42:43], s[4:5]
	s_cbranch_execz .LBB166_35
; %bb.32:                               ;   in Loop: Header=BB166_13 Depth=1
	v_and_b32_e32 v21, 0xffff, v43
	v_and_b32_e32 v44, 0x7f, v21
	v_cmp_ne_u32_e64 s[4:5], s53, v44
	v_mov_b32_e32 v42, 0x7f800001
	s_and_saveexec_b64 s[44:45], s[4:5]
	s_cbranch_execz .LBB166_34
; %bb.33:                               ;   in Loop: Header=BB166_13 Depth=1
	v_and_b32_e32 v42, 7, v21
	v_ffbh_u32_e32 v45, v42
	v_min_u32_e32 v48, 32, v45
	v_subrev_u32_e32 v45, 28, v48
	v_lshlrev_b64 v[45:46], v45, v[21:22]
	v_lshrrev_b32_e32 v47, 3, v44
	v_sub_u32_e32 v21, 29, v48
	v_and_b32_e32 v45, 7, v45
	v_cmp_gt_u32_e64 s[4:5], 8, v44
	v_cndmask_b32_e64 v21, v47, v21, s[4:5]
	v_cndmask_b32_e64 v42, v42, v45, s[4:5]
	v_lshlrev_b32_e32 v43, 24, v43
	v_lshlrev_b32_e32 v42, 20, v42
	v_and_b32_e32 v43, 0x80000000, v43
	v_lshl_add_u32 v21, v21, 23, v36
	v_or3_b32 v42, v43, v21, v42
.LBB166_34:                             ;   in Loop: Header=BB166_13 Depth=1
	s_or_b64 exec, exec, s[44:45]
.LBB166_35:                             ;   in Loop: Header=BB166_13 Depth=1
	s_or_b64 exec, exec, s[42:43]
.LBB166_36:                             ;   in Loop: Header=BB166_13 Depth=1
	s_or_b64 exec, exec, s[40:41]
	global_load_ubyte v43, v[19:20], off offset:136
	s_waitcnt vmcnt(0)
	v_cmp_ne_u16_e64 s[4:5], 0, v43
	s_and_saveexec_b64 s[40:41], s[4:5]
	s_cbranch_execz .LBB166_42
; %bb.37:                               ;   in Loop: Header=BB166_13 Depth=1
	v_cmp_ne_u16_e64 s[4:5], s52, v43
	v_bfrev_b32_e32 v41, 1
	s_and_saveexec_b64 s[42:43], s[4:5]
	s_cbranch_execz .LBB166_41
; %bb.38:                               ;   in Loop: Header=BB166_13 Depth=1
	v_and_b32_e32 v21, 0xffff, v43
	v_and_b32_e32 v44, 0x7f, v21
	v_cmp_ne_u32_e64 s[4:5], s53, v44
	v_mov_b32_e32 v41, 0x7f800001
	s_and_saveexec_b64 s[44:45], s[4:5]
	s_cbranch_execz .LBB166_40
; %bb.39:                               ;   in Loop: Header=BB166_13 Depth=1
	v_and_b32_e32 v41, 7, v21
	v_ffbh_u32_e32 v45, v41
	v_min_u32_e32 v48, 32, v45
	v_subrev_u32_e32 v45, 28, v48
	v_lshlrev_b64 v[45:46], v45, v[21:22]
	v_lshrrev_b32_e32 v47, 3, v44
	v_sub_u32_e32 v21, 29, v48
	v_and_b32_e32 v45, 7, v45
	v_cmp_gt_u32_e64 s[4:5], 8, v44
	v_cndmask_b32_e64 v21, v47, v21, s[4:5]
	v_cndmask_b32_e64 v41, v41, v45, s[4:5]
	v_lshlrev_b32_e32 v43, 24, v43
	v_lshlrev_b32_e32 v41, 20, v41
	v_and_b32_e32 v43, 0x80000000, v43
	v_lshl_add_u32 v21, v21, 23, v36
	v_or3_b32 v41, v43, v21, v41
.LBB166_40:                             ;   in Loop: Header=BB166_13 Depth=1
	s_or_b64 exec, exec, s[44:45]
.LBB166_41:                             ;   in Loop: Header=BB166_13 Depth=1
	s_or_b64 exec, exec, s[42:43]
.LBB166_42:                             ;   in Loop: Header=BB166_13 Depth=1
	s_or_b64 exec, exec, s[40:41]
	global_load_ubyte v45, v[19:20], off offset:256
	v_mov_b32_e32 v43, 0
	v_mov_b32_e32 v44, 0
	s_waitcnt vmcnt(0)
	v_cmp_ne_u16_e64 s[4:5], 0, v45
	s_and_saveexec_b64 s[40:41], s[4:5]
	s_cbranch_execz .LBB166_48
; %bb.43:                               ;   in Loop: Header=BB166_13 Depth=1
	v_cmp_ne_u16_e64 s[4:5], s52, v45
	v_bfrev_b32_e32 v44, 1
	s_and_saveexec_b64 s[42:43], s[4:5]
	s_cbranch_execz .LBB166_47
; %bb.44:                               ;   in Loop: Header=BB166_13 Depth=1
	v_and_b32_e32 v21, 0xffff, v45
	v_and_b32_e32 v46, 0x7f, v21
	v_cmp_ne_u32_e64 s[4:5], s53, v46
	v_mov_b32_e32 v44, 0x7f800001
	s_and_saveexec_b64 s[44:45], s[4:5]
	s_cbranch_execz .LBB166_46
; %bb.45:                               ;   in Loop: Header=BB166_13 Depth=1
	v_and_b32_e32 v44, 7, v21
	v_ffbh_u32_e32 v47, v44
	v_min_u32_e32 v50, 32, v47
	v_subrev_u32_e32 v47, 28, v50
	v_lshlrev_b64 v[47:48], v47, v[21:22]
	v_lshrrev_b32_e32 v49, 3, v46
	v_sub_u32_e32 v21, 29, v50
	v_and_b32_e32 v47, 7, v47
	v_cmp_gt_u32_e64 s[4:5], 8, v46
	v_cndmask_b32_e64 v21, v49, v21, s[4:5]
	v_cndmask_b32_e64 v44, v44, v47, s[4:5]
	v_lshlrev_b32_e32 v45, 24, v45
	v_lshlrev_b32_e32 v44, 20, v44
	v_and_b32_e32 v45, 0x80000000, v45
	v_lshl_add_u32 v21, v21, 23, v36
	v_or3_b32 v44, v45, v21, v44
.LBB166_46:                             ;   in Loop: Header=BB166_13 Depth=1
	s_or_b64 exec, exec, s[44:45]
.LBB166_47:                             ;   in Loop: Header=BB166_13 Depth=1
	s_or_b64 exec, exec, s[42:43]
.LBB166_48:                             ;   in Loop: Header=BB166_13 Depth=1
	s_or_b64 exec, exec, s[40:41]
	global_load_ubyte v45, v[19:20], off offset:264
	s_waitcnt vmcnt(0)
	v_cmp_ne_u16_e64 s[4:5], 0, v45
	s_and_saveexec_b64 s[40:41], s[4:5]
	s_cbranch_execz .LBB166_54
; %bb.49:                               ;   in Loop: Header=BB166_13 Depth=1
	v_cmp_ne_u16_e64 s[4:5], s52, v45
	v_bfrev_b32_e32 v43, 1
	s_and_saveexec_b64 s[42:43], s[4:5]
	s_cbranch_execz .LBB166_53
; %bb.50:                               ;   in Loop: Header=BB166_13 Depth=1
	v_and_b32_e32 v21, 0xffff, v45
	v_and_b32_e32 v46, 0x7f, v21
	v_cmp_ne_u32_e64 s[4:5], s53, v46
	v_mov_b32_e32 v43, 0x7f800001
	s_and_saveexec_b64 s[44:45], s[4:5]
	s_cbranch_execz .LBB166_52
; %bb.51:                               ;   in Loop: Header=BB166_13 Depth=1
	v_and_b32_e32 v43, 7, v21
	v_ffbh_u32_e32 v47, v43
	v_min_u32_e32 v50, 32, v47
	v_subrev_u32_e32 v47, 28, v50
	v_lshlrev_b64 v[47:48], v47, v[21:22]
	v_lshrrev_b32_e32 v49, 3, v46
	v_sub_u32_e32 v21, 29, v50
	v_and_b32_e32 v47, 7, v47
	v_cmp_gt_u32_e64 s[4:5], 8, v46
	v_cndmask_b32_e64 v21, v49, v21, s[4:5]
	v_cndmask_b32_e64 v43, v43, v47, s[4:5]
	v_lshlrev_b32_e32 v45, 24, v45
	v_lshlrev_b32_e32 v43, 20, v43
	v_and_b32_e32 v45, 0x80000000, v45
	v_lshl_add_u32 v21, v21, 23, v36
	v_or3_b32 v43, v45, v21, v43
.LBB166_52:                             ;   in Loop: Header=BB166_13 Depth=1
	s_or_b64 exec, exec, s[44:45]
.LBB166_53:                             ;   in Loop: Header=BB166_13 Depth=1
	s_or_b64 exec, exec, s[42:43]
.LBB166_54:                             ;   in Loop: Header=BB166_13 Depth=1
	s_or_b64 exec, exec, s[40:41]
	global_load_ubyte v47, v[19:20], off offset:384
	v_mov_b32_e32 v45, 0
	v_mov_b32_e32 v46, 0
	s_waitcnt vmcnt(0)
	v_cmp_ne_u16_e64 s[4:5], 0, v47
	s_and_saveexec_b64 s[40:41], s[4:5]
	s_cbranch_execz .LBB166_60
; %bb.55:                               ;   in Loop: Header=BB166_13 Depth=1
	v_cmp_ne_u16_e64 s[4:5], s52, v47
	v_bfrev_b32_e32 v46, 1
	s_and_saveexec_b64 s[42:43], s[4:5]
	s_cbranch_execz .LBB166_59
; %bb.56:                               ;   in Loop: Header=BB166_13 Depth=1
	v_and_b32_e32 v21, 0xffff, v47
	v_and_b32_e32 v48, 0x7f, v21
	v_cmp_ne_u32_e64 s[4:5], s53, v48
	v_mov_b32_e32 v46, 0x7f800001
	s_and_saveexec_b64 s[44:45], s[4:5]
	s_cbranch_execz .LBB166_58
; %bb.57:                               ;   in Loop: Header=BB166_13 Depth=1
	v_and_b32_e32 v46, 7, v21
	v_ffbh_u32_e32 v49, v46
	v_min_u32_e32 v52, 32, v49
	v_subrev_u32_e32 v49, 28, v52
	v_lshlrev_b64 v[49:50], v49, v[21:22]
	v_lshrrev_b32_e32 v51, 3, v48
	v_sub_u32_e32 v21, 29, v52
	v_and_b32_e32 v49, 7, v49
	v_cmp_gt_u32_e64 s[4:5], 8, v48
	v_cndmask_b32_e64 v21, v51, v21, s[4:5]
	v_cndmask_b32_e64 v46, v46, v49, s[4:5]
	v_lshlrev_b32_e32 v47, 24, v47
	v_lshlrev_b32_e32 v46, 20, v46
	v_and_b32_e32 v47, 0x80000000, v47
	v_lshl_add_u32 v21, v21, 23, v36
	v_or3_b32 v46, v47, v21, v46
.LBB166_58:                             ;   in Loop: Header=BB166_13 Depth=1
	s_or_b64 exec, exec, s[44:45]
.LBB166_59:                             ;   in Loop: Header=BB166_13 Depth=1
	s_or_b64 exec, exec, s[42:43]
.LBB166_60:                             ;   in Loop: Header=BB166_13 Depth=1
	s_or_b64 exec, exec, s[40:41]
	global_load_ubyte v47, v[19:20], off offset:392
	s_waitcnt vmcnt(0)
	v_cmp_ne_u16_e64 s[4:5], 0, v47
	s_and_saveexec_b64 s[40:41], s[4:5]
	s_cbranch_execz .LBB166_66
; %bb.61:                               ;   in Loop: Header=BB166_13 Depth=1
	v_cmp_ne_u16_e64 s[4:5], s52, v47
	v_bfrev_b32_e32 v45, 1
	s_and_saveexec_b64 s[42:43], s[4:5]
	s_cbranch_execz .LBB166_65
; %bb.62:                               ;   in Loop: Header=BB166_13 Depth=1
	v_and_b32_e32 v21, 0xffff, v47
	v_and_b32_e32 v48, 0x7f, v21
	v_cmp_ne_u32_e64 s[4:5], s53, v48
	v_mov_b32_e32 v45, 0x7f800001
	s_and_saveexec_b64 s[44:45], s[4:5]
	s_cbranch_execz .LBB166_64
; %bb.63:                               ;   in Loop: Header=BB166_13 Depth=1
	v_and_b32_e32 v45, 7, v21
	v_ffbh_u32_e32 v49, v45
	v_min_u32_e32 v52, 32, v49
	v_subrev_u32_e32 v49, 28, v52
	v_lshlrev_b64 v[49:50], v49, v[21:22]
	v_lshrrev_b32_e32 v51, 3, v48
	v_sub_u32_e32 v21, 29, v52
	v_and_b32_e32 v49, 7, v49
	v_cmp_gt_u32_e64 s[4:5], 8, v48
	v_cndmask_b32_e64 v21, v51, v21, s[4:5]
	v_cndmask_b32_e64 v45, v45, v49, s[4:5]
	v_lshlrev_b32_e32 v47, 24, v47
	v_lshlrev_b32_e32 v45, 20, v45
	v_and_b32_e32 v47, 0x80000000, v47
	v_lshl_add_u32 v21, v21, 23, v36
	v_or3_b32 v45, v47, v21, v45
.LBB166_64:                             ;   in Loop: Header=BB166_13 Depth=1
	s_or_b64 exec, exec, s[44:45]
.LBB166_65:                             ;   in Loop: Header=BB166_13 Depth=1
	s_or_b64 exec, exec, s[42:43]
.LBB166_66:                             ;   in Loop: Header=BB166_13 Depth=1
	s_or_b64 exec, exec, s[40:41]
	global_load_ubyte v49, v[19:20], off offset:512
	v_mov_b32_e32 v47, 0
	v_mov_b32_e32 v48, 0
	s_waitcnt vmcnt(0)
	v_cmp_ne_u16_e64 s[4:5], 0, v49
	s_and_saveexec_b64 s[40:41], s[4:5]
	s_cbranch_execz .LBB166_72
; %bb.67:                               ;   in Loop: Header=BB166_13 Depth=1
	v_cmp_ne_u16_e64 s[4:5], s52, v49
	v_bfrev_b32_e32 v48, 1
	s_and_saveexec_b64 s[42:43], s[4:5]
	s_cbranch_execz .LBB166_71
; %bb.68:                               ;   in Loop: Header=BB166_13 Depth=1
	v_and_b32_e32 v21, 0xffff, v49
	v_and_b32_e32 v50, 0x7f, v21
	v_cmp_ne_u32_e64 s[4:5], s53, v50
	v_mov_b32_e32 v48, 0x7f800001
	s_and_saveexec_b64 s[44:45], s[4:5]
	s_cbranch_execz .LBB166_70
; %bb.69:                               ;   in Loop: Header=BB166_13 Depth=1
	v_and_b32_e32 v48, 7, v21
	v_ffbh_u32_e32 v51, v48
	v_min_u32_e32 v54, 32, v51
	v_subrev_u32_e32 v51, 28, v54
	v_lshlrev_b64 v[51:52], v51, v[21:22]
	v_lshrrev_b32_e32 v53, 3, v50
	v_sub_u32_e32 v21, 29, v54
	v_and_b32_e32 v51, 7, v51
	v_cmp_gt_u32_e64 s[4:5], 8, v50
	v_cndmask_b32_e64 v21, v53, v21, s[4:5]
	v_cndmask_b32_e64 v48, v48, v51, s[4:5]
	v_lshlrev_b32_e32 v49, 24, v49
	v_lshlrev_b32_e32 v48, 20, v48
	v_and_b32_e32 v49, 0x80000000, v49
	v_lshl_add_u32 v21, v21, 23, v36
	v_or3_b32 v48, v49, v21, v48
.LBB166_70:                             ;   in Loop: Header=BB166_13 Depth=1
	s_or_b64 exec, exec, s[44:45]
.LBB166_71:                             ;   in Loop: Header=BB166_13 Depth=1
	s_or_b64 exec, exec, s[42:43]
.LBB166_72:                             ;   in Loop: Header=BB166_13 Depth=1
	s_or_b64 exec, exec, s[40:41]
	global_load_ubyte v49, v[19:20], off offset:520
	s_waitcnt vmcnt(0)
	v_cmp_ne_u16_e64 s[4:5], 0, v49
	s_and_saveexec_b64 s[40:41], s[4:5]
	s_cbranch_execz .LBB166_78
; %bb.73:                               ;   in Loop: Header=BB166_13 Depth=1
	v_cmp_ne_u16_e64 s[4:5], s52, v49
	v_bfrev_b32_e32 v47, 1
	s_and_saveexec_b64 s[42:43], s[4:5]
	s_cbranch_execz .LBB166_77
; %bb.74:                               ;   in Loop: Header=BB166_13 Depth=1
	v_and_b32_e32 v21, 0xffff, v49
	v_and_b32_e32 v50, 0x7f, v21
	v_cmp_ne_u32_e64 s[4:5], s53, v50
	v_mov_b32_e32 v47, 0x7f800001
	s_and_saveexec_b64 s[44:45], s[4:5]
	s_cbranch_execz .LBB166_76
; %bb.75:                               ;   in Loop: Header=BB166_13 Depth=1
	v_and_b32_e32 v47, 7, v21
	v_ffbh_u32_e32 v51, v47
	v_min_u32_e32 v54, 32, v51
	v_subrev_u32_e32 v51, 28, v54
	v_lshlrev_b64 v[51:52], v51, v[21:22]
	v_lshrrev_b32_e32 v53, 3, v50
	v_sub_u32_e32 v21, 29, v54
	v_and_b32_e32 v51, 7, v51
	v_cmp_gt_u32_e64 s[4:5], 8, v50
	v_cndmask_b32_e64 v21, v53, v21, s[4:5]
	v_cndmask_b32_e64 v47, v47, v51, s[4:5]
	v_lshlrev_b32_e32 v49, 24, v49
	v_lshlrev_b32_e32 v47, 20, v47
	v_and_b32_e32 v49, 0x80000000, v49
	v_lshl_add_u32 v21, v21, 23, v36
	v_or3_b32 v47, v49, v21, v47
.LBB166_76:                             ;   in Loop: Header=BB166_13 Depth=1
	s_or_b64 exec, exec, s[44:45]
.LBB166_77:                             ;   in Loop: Header=BB166_13 Depth=1
	s_or_b64 exec, exec, s[42:43]
.LBB166_78:                             ;   in Loop: Header=BB166_13 Depth=1
	s_or_b64 exec, exec, s[40:41]
	global_load_ubyte v51, v[19:20], off offset:640
	v_mov_b32_e32 v49, 0
	v_mov_b32_e32 v50, 0
	s_waitcnt vmcnt(0)
	v_cmp_ne_u16_e64 s[4:5], 0, v51
	s_and_saveexec_b64 s[40:41], s[4:5]
	s_cbranch_execz .LBB166_84
; %bb.79:                               ;   in Loop: Header=BB166_13 Depth=1
	v_cmp_ne_u16_e64 s[4:5], s52, v51
	v_bfrev_b32_e32 v50, 1
	s_and_saveexec_b64 s[42:43], s[4:5]
	s_cbranch_execz .LBB166_83
; %bb.80:                               ;   in Loop: Header=BB166_13 Depth=1
	v_and_b32_e32 v21, 0xffff, v51
	v_and_b32_e32 v52, 0x7f, v21
	v_cmp_ne_u32_e64 s[4:5], s53, v52
	v_mov_b32_e32 v50, 0x7f800001
	s_and_saveexec_b64 s[44:45], s[4:5]
	s_cbranch_execz .LBB166_82
; %bb.81:                               ;   in Loop: Header=BB166_13 Depth=1
	v_and_b32_e32 v50, 7, v21
	v_ffbh_u32_e32 v53, v50
	v_min_u32_e32 v56, 32, v53
	v_subrev_u32_e32 v53, 28, v56
	v_lshlrev_b64 v[53:54], v53, v[21:22]
	v_lshrrev_b32_e32 v55, 3, v52
	v_sub_u32_e32 v21, 29, v56
	v_and_b32_e32 v53, 7, v53
	v_cmp_gt_u32_e64 s[4:5], 8, v52
	v_cndmask_b32_e64 v21, v55, v21, s[4:5]
	v_cndmask_b32_e64 v50, v50, v53, s[4:5]
	v_lshlrev_b32_e32 v51, 24, v51
	v_lshlrev_b32_e32 v50, 20, v50
	v_and_b32_e32 v51, 0x80000000, v51
	v_lshl_add_u32 v21, v21, 23, v36
	v_or3_b32 v50, v51, v21, v50
.LBB166_82:                             ;   in Loop: Header=BB166_13 Depth=1
	s_or_b64 exec, exec, s[44:45]
.LBB166_83:                             ;   in Loop: Header=BB166_13 Depth=1
	s_or_b64 exec, exec, s[42:43]
.LBB166_84:                             ;   in Loop: Header=BB166_13 Depth=1
	s_or_b64 exec, exec, s[40:41]
	global_load_ubyte v51, v[19:20], off offset:648
	s_waitcnt vmcnt(0)
	v_cmp_ne_u16_e64 s[4:5], 0, v51
	s_and_saveexec_b64 s[40:41], s[4:5]
	s_cbranch_execz .LBB166_90
; %bb.85:                               ;   in Loop: Header=BB166_13 Depth=1
	v_cmp_ne_u16_e64 s[4:5], s52, v51
	v_bfrev_b32_e32 v49, 1
	s_and_saveexec_b64 s[42:43], s[4:5]
	s_cbranch_execz .LBB166_89
; %bb.86:                               ;   in Loop: Header=BB166_13 Depth=1
	v_and_b32_e32 v21, 0xffff, v51
	v_and_b32_e32 v52, 0x7f, v21
	v_cmp_ne_u32_e64 s[4:5], s53, v52
	v_mov_b32_e32 v49, 0x7f800001
	s_and_saveexec_b64 s[44:45], s[4:5]
	s_cbranch_execz .LBB166_88
; %bb.87:                               ;   in Loop: Header=BB166_13 Depth=1
	v_and_b32_e32 v49, 7, v21
	v_ffbh_u32_e32 v53, v49
	v_min_u32_e32 v56, 32, v53
	v_subrev_u32_e32 v53, 28, v56
	v_lshlrev_b64 v[53:54], v53, v[21:22]
	v_lshrrev_b32_e32 v55, 3, v52
	v_sub_u32_e32 v21, 29, v56
	v_and_b32_e32 v53, 7, v53
	v_cmp_gt_u32_e64 s[4:5], 8, v52
	v_cndmask_b32_e64 v21, v55, v21, s[4:5]
	v_cndmask_b32_e64 v49, v49, v53, s[4:5]
	v_lshlrev_b32_e32 v51, 24, v51
	v_lshlrev_b32_e32 v49, 20, v49
	v_and_b32_e32 v51, 0x80000000, v51
	v_lshl_add_u32 v21, v21, 23, v36
	v_or3_b32 v49, v51, v21, v49
.LBB166_88:                             ;   in Loop: Header=BB166_13 Depth=1
	s_or_b64 exec, exec, s[44:45]
.LBB166_89:                             ;   in Loop: Header=BB166_13 Depth=1
	s_or_b64 exec, exec, s[42:43]
.LBB166_90:                             ;   in Loop: Header=BB166_13 Depth=1
	s_or_b64 exec, exec, s[40:41]
	global_load_ubyte v53, v[19:20], off offset:768
	v_mov_b32_e32 v51, 0
	v_mov_b32_e32 v52, 0
	s_waitcnt vmcnt(0)
	v_cmp_ne_u16_e64 s[4:5], 0, v53
	s_and_saveexec_b64 s[40:41], s[4:5]
	s_cbranch_execz .LBB166_96
; %bb.91:                               ;   in Loop: Header=BB166_13 Depth=1
	v_cmp_ne_u16_e64 s[4:5], s52, v53
	v_bfrev_b32_e32 v52, 1
	s_and_saveexec_b64 s[42:43], s[4:5]
	s_cbranch_execz .LBB166_95
; %bb.92:                               ;   in Loop: Header=BB166_13 Depth=1
	v_and_b32_e32 v21, 0xffff, v53
	v_and_b32_e32 v54, 0x7f, v21
	v_cmp_ne_u32_e64 s[4:5], s53, v54
	v_mov_b32_e32 v52, 0x7f800001
	s_and_saveexec_b64 s[44:45], s[4:5]
	s_cbranch_execz .LBB166_94
; %bb.93:                               ;   in Loop: Header=BB166_13 Depth=1
	v_and_b32_e32 v52, 7, v21
	v_ffbh_u32_e32 v55, v52
	v_min_u32_e32 v58, 32, v55
	v_subrev_u32_e32 v55, 28, v58
	v_lshlrev_b64 v[55:56], v55, v[21:22]
	v_lshrrev_b32_e32 v57, 3, v54
	v_sub_u32_e32 v21, 29, v58
	v_and_b32_e32 v55, 7, v55
	v_cmp_gt_u32_e64 s[4:5], 8, v54
	v_cndmask_b32_e64 v21, v57, v21, s[4:5]
	v_cndmask_b32_e64 v52, v52, v55, s[4:5]
	v_lshlrev_b32_e32 v53, 24, v53
	v_lshlrev_b32_e32 v52, 20, v52
	v_and_b32_e32 v53, 0x80000000, v53
	v_lshl_add_u32 v21, v21, 23, v36
	v_or3_b32 v52, v53, v21, v52
.LBB166_94:                             ;   in Loop: Header=BB166_13 Depth=1
	s_or_b64 exec, exec, s[44:45]
.LBB166_95:                             ;   in Loop: Header=BB166_13 Depth=1
	s_or_b64 exec, exec, s[42:43]
.LBB166_96:                             ;   in Loop: Header=BB166_13 Depth=1
	s_or_b64 exec, exec, s[40:41]
	global_load_ubyte v20, v[19:20], off offset:776
	s_waitcnt vmcnt(0)
	v_cmp_ne_u16_e64 s[4:5], 0, v20
	s_and_saveexec_b64 s[40:41], s[4:5]
	s_cbranch_execz .LBB166_102
; %bb.97:                               ;   in Loop: Header=BB166_13 Depth=1
	v_cmp_ne_u16_e64 s[4:5], s52, v20
	v_bfrev_b32_e32 v51, 1
	s_and_saveexec_b64 s[42:43], s[4:5]
	s_cbranch_execz .LBB166_101
; %bb.98:                               ;   in Loop: Header=BB166_13 Depth=1
	v_and_b32_e32 v19, 0xffff, v20
	v_and_b32_e32 v21, 0x7f, v19
	v_cmp_ne_u32_e64 s[4:5], s53, v21
	v_mov_b32_e32 v51, 0x7f800001
	s_and_saveexec_b64 s[44:45], s[4:5]
	s_cbranch_execz .LBB166_100
; %bb.99:                               ;   in Loop: Header=BB166_13 Depth=1
	v_and_b32_e32 v51, 7, v19
	v_ffbh_u32_e32 v53, v51
	v_min_u32_e32 v56, 32, v53
	v_subrev_u32_e32 v53, 28, v56
	v_lshlrev_b64 v[53:54], v53, v[19:20]
	v_lshrrev_b32_e32 v55, 3, v21
	v_sub_u32_e32 v19, 29, v56
	v_and_b32_e32 v53, 7, v53
	v_cmp_gt_u32_e64 s[4:5], 8, v21
	v_cndmask_b32_e64 v19, v55, v19, s[4:5]
	v_cndmask_b32_e64 v21, v51, v53, s[4:5]
	v_lshlrev_b32_e32 v20, 24, v20
	v_lshlrev_b32_e32 v21, 20, v21
	v_and_b32_e32 v20, 0x80000000, v20
	v_lshl_add_u32 v19, v19, 23, v36
	v_or3_b32 v51, v20, v19, v21
.LBB166_100:                            ;   in Loop: Header=BB166_13 Depth=1
	s_or_b64 exec, exec, s[44:45]
.LBB166_101:                            ;   in Loop: Header=BB166_13 Depth=1
	s_or_b64 exec, exec, s[42:43]
.LBB166_102:                            ;   in Loop: Header=BB166_13 Depth=1
	s_or_b64 exec, exec, s[40:41]
	s_waitcnt lgkmcnt(0)
	v_mul_f32_e32 v39, s54, v39
	v_mul_f32_e32 v40, s54, v40
	;; [unrolled: 1-line block ×4, first 2 shown]
	v_fmac_f32_e32 v10, v9, v40
	v_mul_f32_e32 v41, s54, v41
	v_fmac_f32_e32 v10, v11, v42
	v_mul_f32_e32 v44, s54, v44
	;; [unrolled: 2-line block ×8, first 2 shown]
	v_mul_f32_e32 v21, s54, v50
	v_and_b32_e32 v49, 64, v37
	v_fmac_f32_e32 v10, v2, v47
	v_add_u32_e32 v49, 64, v49
	v_xor_b32_e32 v50, 4, v37
	v_fmac_f32_e32 v10, v3, v21
	v_mul_f32_e32 v19, s54, v52
	v_cmp_lt_i32_e64 s[4:5], v50, v49
	v_fmac_f32_e32 v10, v4, v20
	v_cndmask_b32_e64 v50, v37, v50, s[4:5]
	v_mul_f32_e32 v51, s54, v51
	v_fmac_f32_e32 v10, v17, v19
	v_lshlrev_b32_e32 v50, 2, v50
	v_fmac_f32_e32 v10, v18, v51
	ds_bpermute_b32 v1, v50, v10
	v_xor_b32_e32 v2, 2, v37
	v_cmp_lt_i32_e64 s[4:5], v2, v49
	v_cndmask_b32_e64 v2, v37, v2, s[4:5]
	v_lshlrev_b32_e32 v2, 2, v2
	s_waitcnt lgkmcnt(0)
	v_add_f32_e32 v1, v10, v1
	ds_bpermute_b32 v2, v2, v1
	v_xor_b32_e32 v3, 1, v37
	v_cmp_lt_i32_e64 s[4:5], v3, v49
	v_cndmask_b32_e64 v3, v37, v3, s[4:5]
	v_lshlrev_b32_e32 v3, 2, v3
	s_waitcnt lgkmcnt(0)
	v_add_f32_e32 v1, v1, v2
	ds_bpermute_b32 v2, v3, v1
	s_and_saveexec_b64 s[40:41], vcc
	s_cbranch_execz .LBB166_11
; %bb.103:                              ;   in Loop: Header=BB166_13 Depth=1
	v_add_u32_e32 v3, v33, v32
	v_cvt_f32_i32_e32 v3, v3
	s_waitcnt lgkmcnt(0)
	v_add_f32_e32 v1, v1, v2
	v_add_u32_e32 v4, v28, v32
	v_cmp_gt_i32_e64 s[4:5], s33, v4
	v_mul_f32_e32 v2, s49, v3
	v_cndmask_b32_e64 v2, 0, v2, s[2:3]
	v_fmac_f32_e32 v2, s37, v1
	v_cndmask_b32_e64 v1, 0, v2, s[4:5]
	ds_write_b32 v34, v1
	v_max_f32_e32 v1, v30, v30
	v_max_f32_e32 v1, v1, v2
	v_cndmask_b32_e64 v30, v30, v1, s[4:5]
	s_branch .LBB166_11
.LBB166_104:
	s_or_b64 exec, exec, s[38:39]
.LBB166_105:
	s_or_b64 exec, exec, s[18:19]
	s_waitcnt lgkmcnt(0)
	v_mbcnt_hi_u32_b32 v2, -1, v27
	v_and_b32_e32 v9, 64, v2
	v_add_u32_e32 v3, 64, v9
	v_xor_b32_e32 v1, 32, v2
	v_cmp_lt_i32_e32 vcc, v1, v3
	v_cndmask_b32_e32 v1, v2, v1, vcc
	v_lshlrev_b32_e32 v5, 2, v1
	ds_bpermute_b32 v1, v5, v30
	v_xor_b32_e32 v6, 16, v2
	v_max_f32_e32 v4, v30, v30
	v_cmp_lt_i32_e32 vcc, v6, v3
	v_xor_b32_e32 v8, 8, v2
	s_waitcnt lgkmcnt(0)
	v_max_f32_e32 v1, v1, v1
	v_max_f32_e32 v1, v4, v1
	v_cndmask_b32_e32 v4, v2, v6, vcc
	v_lshlrev_b32_e32 v7, 2, v4
	ds_bpermute_b32 v4, v7, v1
	v_cmp_lt_i32_e32 vcc, v8, v3
	s_waitcnt lgkmcnt(0)
	v_max_f32_e32 v4, v4, v4
	v_max_f32_e32 v6, v1, v4
	v_cndmask_b32_e32 v1, v2, v8, vcc
	v_lshlrev_b32_e32 v8, 2, v1
	ds_bpermute_b32 v10, v8, v6
	v_and_b32_e32 v1, 63, v0
	v_cmp_eq_u32_e32 vcc, 0, v1
	v_lshlrev_b32_e32 v4, 2, v25
	s_and_saveexec_b64 s[2:3], vcc
	s_cbranch_execz .LBB166_107
; %bb.106:
	s_waitcnt lgkmcnt(0)
	v_max_f32_e32 v10, v10, v10
	v_max_f32_e32 v6, v6, v6
	;; [unrolled: 1-line block ×3, first 2 shown]
	ds_write_b32 v4, v6 offset:448
.LBB166_107:
	s_or_b64 exec, exec, s[2:3]
	v_cmp_gt_u32_e64 s[2:3], 2, v1
	s_waitcnt lgkmcnt(0)
	v_mov_b32_e32 v10, 0xff7fffff
	v_lshlrev_b32_e32 v6, 2, v1
	s_barrier
	s_and_saveexec_b64 s[4:5], s[2:3]
; %bb.108:
	ds_read_b32 v10, v6 offset:448
; %bb.109:
	s_or_b64 exec, exec, s[4:5]
	v_xor_b32_e32 v11, 1, v2
	v_cmp_lt_i32_e64 s[4:5], v11, v3
	v_cndmask_b32_e64 v11, v2, v11, s[4:5]
	v_lshlrev_b32_e32 v27, 2, v11
	s_waitcnt lgkmcnt(0)
	ds_bpermute_b32 v11, v27, v10
	v_max_f32_e32 v10, v10, v10
	v_lshlrev_b32_e32 v9, 2, v9
	s_lshl_b32 s4, s48, 3
	s_min_i32 s23, s4, s33
	s_waitcnt lgkmcnt(0)
	v_max_f32_e32 v11, v11, v11
	v_max_f32_e32 v10, v10, v11
	ds_bpermute_b32 v10, v9, v10
	v_cmp_gt_i32_e64 s[4:5], s23, v0
	v_mov_b32_e32 v9, 0
	s_and_saveexec_b64 s[12:13], s[4:5]
	s_cbranch_execz .LBB166_113
; %bb.110:
	v_mov_b32_e32 v9, 0x1d0
	v_lshl_add_u32 v11, v0, 2, v9
	v_mov_b32_e32 v9, 0
	s_mov_b64 s[18:19], 0
	v_mov_b32_e32 v12, v0
.LBB166_111:                            ; =>This Inner Loop Header: Depth=1
	ds_read_b32 v13, v11
	v_add_u32_e32 v12, 0x80, v12
	v_cmp_le_i32_e64 s[6:7], s23, v12
	s_or_b64 s[18:19], s[6:7], s[18:19]
	s_waitcnt lgkmcnt(0)
	v_sub_f32_e32 v13, v13, v10
	v_mul_f32_e32 v13, 0x3fb8aa3b, v13
	v_exp_f32_e32 v13, v13
	ds_write_b32 v11, v13
	v_add_f32_e32 v9, v9, v13
	v_add_u32_e32 v11, 0x200, v11
	s_andn2_b64 exec, exec, s[18:19]
	s_cbranch_execnz .LBB166_111
; %bb.112:
	s_or_b64 exec, exec, s[18:19]
.LBB166_113:
	s_or_b64 exec, exec, s[12:13]
	ds_bpermute_b32 v5, v5, v9
	s_waitcnt lgkmcnt(0)
	v_add_f32_e32 v5, v9, v5
	ds_bpermute_b32 v7, v7, v5
	s_waitcnt lgkmcnt(0)
	v_add_f32_e32 v5, v5, v7
	ds_bpermute_b32 v7, v8, v5
	v_xor_b32_e32 v8, 4, v2
	v_cmp_lt_i32_e64 s[6:7], v8, v3
	v_cndmask_b32_e64 v8, v2, v8, s[6:7]
	v_lshlrev_b32_e32 v8, 2, v8
	s_waitcnt lgkmcnt(0)
	v_add_f32_e32 v5, v5, v7
	ds_bpermute_b32 v7, v8, v5
	v_xor_b32_e32 v8, 2, v2
	v_cmp_lt_i32_e64 s[6:7], v8, v3
	v_cndmask_b32_e64 v3, v2, v8, s[6:7]
	v_lshlrev_b32_e32 v3, 2, v3
	s_waitcnt lgkmcnt(0)
	v_add_f32_e32 v5, v5, v7
	ds_bpermute_b32 v3, v3, v5
	s_waitcnt lgkmcnt(0)
	v_add_f32_e32 v3, v5, v3
	ds_bpermute_b32 v5, v27, v3
	s_waitcnt lgkmcnt(0)
	v_add_f32_e32 v3, v3, v5
	s_and_saveexec_b64 s[6:7], vcc
; %bb.114:
	ds_write_b32 v4, v3 offset:456
; %bb.115:
	s_or_b64 exec, exec, s[6:7]
	s_waitcnt lgkmcnt(0)
	s_barrier
	s_and_saveexec_b64 s[6:7], s[2:3]
; %bb.116:
	ds_read_b32 v3, v6 offset:456
; %bb.117:
	s_or_b64 exec, exec, s[6:7]
	s_waitcnt lgkmcnt(0)
	ds_bpermute_b32 v4, v27, v3
	v_lshlrev_b32_e32 v2, 2, v2
	v_and_b32_e32 v2, 0x100, v2
	s_waitcnt lgkmcnt(0)
	v_add_f32_e32 v3, v3, v4
	ds_bpermute_b32 v2, v2, v3
	s_and_saveexec_b64 s[2:3], s[4:5]
	s_cbranch_execz .LBB166_120
; %bb.118:
	s_waitcnt lgkmcnt(0)
	v_add_f32_e32 v3, 0x358637bd, v2
	v_div_scale_f32 v2, s[4:5], v3, v3, 1.0
	v_div_scale_f32 v4, vcc, 1.0, v3, 1.0
	s_mov_b64 s[4:5], 0
	v_rcp_f32_e32 v5, v2
	v_fma_f32 v6, -v2, v5, 1.0
	v_fmac_f32_e32 v5, v6, v5
	v_mul_f32_e32 v6, v4, v5
	v_fma_f32 v7, -v2, v6, v4
	v_fmac_f32_e32 v6, v7, v5
	v_fma_f32 v2, -v2, v6, v4
	v_div_fmas_f32 v4, v2, v5, v6
	v_mov_b32_e32 v2, 0x1d0
	v_lshl_add_u32 v2, v0, 2, v2
	v_div_fixup_f32 v3, v4, v3, 1.0
	v_mov_b32_e32 v4, v0
.LBB166_119:                            ; =>This Inner Loop Header: Depth=1
	ds_read_b32 v5, v2
	v_add_u32_e32 v4, 0x80, v4
	v_cmp_le_i32_e32 vcc, s23, v4
	s_or_b64 s[4:5], vcc, s[4:5]
	s_waitcnt lgkmcnt(0)
	v_mul_f32_e32 v5, v3, v5
	ds_write_b32 v2, v5
	v_add_u32_e32 v2, 0x200, v2
	s_andn2_b64 exec, exec, s[4:5]
	s_cbranch_execnz .LBB166_119
.LBB166_120:
	s_or_b64 exec, exec, s[2:3]
	v_lshrrev_b32_e32 v28, 1, v1
	s_waitcnt lgkmcnt(0)
	s_barrier
	s_and_saveexec_b64 s[2:3], s[0:1]
	s_xor_b64 s[0:1], exec, s[2:3]
; %bb.121:
	v_lshrrev_b32_e32 v28, 1, v1
                                        ; implicit-def: $vgpr26
                                        ; implicit-def: $vgpr25
                                        ; implicit-def: $vgpr22
                                        ; implicit-def: $vgpr23
; %bb.122:
	s_or_saveexec_b64 s[4:5], s[0:1]
	v_mov_b32_e32 v32, 0
	v_and_b32_e32 v29, 1, v0
	v_mov_b32_e32 v33, 0
	v_mov_b32_e32 v31, 0
	v_mov_b32_e32 v35, 0
	s_xor_b64 exec, exec, s[4:5]
	s_cbranch_execz .LBB166_234
; %bb.123:
	s_sub_i32 s37, s16, s21
	s_ashr_i32 s0, s20, 31
	s_add_u32 s6, s34, s20
	s_addc_u32 s7, s35, s0
	s_abs_i32 s34, s22
	v_cvt_f32_u32_e32 v1, s34
	s_sub_i32 s1, 0, s34
	v_and_b32_e32 v30, 4, v22
	v_or_b32_e32 v2, 0x60, v28
	v_rcp_iflag_f32_e32 v1, v1
	s_movk_i32 s0, 0x70
	v_cmp_gt_u32_e32 vcc, s0, v2
	v_lshl_or_b32 v36, v2, 3, v30
	v_mul_f32_e32 v1, 0x4f7ffffe, v1
	v_cvt_u32_f32_e32 v1, v1
	s_add_i32 s38, s48, -1
	v_and_b32_e32 v3, 60, v23
	v_mov_b32_e32 v5, 0
	v_mul_lo_u32 v4, s1, v1
	s_lshl_b64 s[0:1], s[30:31], 2
	s_add_u32 s0, s28, s0
	s_addc_u32 s1, s29, s1
	v_mul_hi_u32 v2, v1, v4
	s_mov_b32 s35, s17
	v_lshl_or_b32 v34, v28, 3, v30
	s_mov_b64 s[12:13], 0
	v_add_u32_e32 v37, v1, v2
	v_mov_b32_e32 v1, s1
	v_add_co_u32_e64 v7, s[0:1], s0, v3
	v_addc_co_u32_e64 v8, s[0:1], 0, v1, s[0:1]
	v_lshlrev_b32_e32 v1, 4, v29
	v_lshl_or_b32 v1, v25, 5, v1
	v_add_u32_e32 v38, 0x1d0, v1
	s_movk_i32 s30, 0x80
	s_movk_i32 s31, 0x7f
	s_brev_b32 s39, 1
	s_mov_b32 s40, 0xffffff
	v_bfrev_b32_e32 v39, 60
	v_bfrev_b32_e32 v6, 1
	v_mov_b32_e32 v10, 0x7f800001
	v_mov_b32_e32 v40, 7
	;; [unrolled: 1-line block ×7, first 2 shown]
	s_branch .LBB166_127
.LBB166_124:                            ;   in Loop: Header=BB166_127 Depth=1
	s_or_b64 exec, exec, s[2:3]
	v_mul_f32_e32 v13, v1, v13
	v_fmac_f32_e32 v13, v2, v9
	v_fmac_f32_e32 v13, v3, v12
	;; [unrolled: 1-line block ×3, first 2 shown]
	v_add_f32_e32 v35, v35, v13
.LBB166_125:                            ;   in Loop: Header=BB166_127 Depth=1
	s_or_b64 exec, exec, s[18:19]
	v_mul_f32_e32 v9, v1, v50
	v_fmac_f32_e32 v9, v2, v49
	v_fmac_f32_e32 v9, v3, v21
	;; [unrolled: 1-line block ×3, first 2 shown]
	v_add_f32_e32 v31, v31, v9
	v_mul_f32_e32 v9, v1, v48
	v_mul_f32_e32 v1, v1, v45
	v_fmac_f32_e32 v9, v2, v47
	v_fmac_f32_e32 v1, v2, v42
	;; [unrolled: 1-line block ×6, first 2 shown]
	v_add_f32_e32 v33, v33, v9
	v_add_f32_e32 v32, v32, v1
.LBB166_126:                            ;   in Loop: Header=BB166_127 Depth=1
	s_or_b64 exec, exec, s[16:17]
	v_add_co_u32_e64 v7, s[0:1], 8, v7
	v_add_u32_e32 v25, 2, v25
	v_addc_co_u32_e64 v8, s[0:1], 0, v8, s[0:1]
	v_cmp_le_i32_e64 s[0:1], s48, v25
	v_add_u32_e32 v26, 16, v26
	s_or_b64 s[12:13], s[0:1], s[12:13]
	v_add_u32_e32 v38, 64, v38
	s_andn2_b64 exec, exec, s[12:13]
	s_cbranch_execz .LBB166_233
.LBB166_127:                            ; =>This Inner Loop Header: Depth=1
	v_mul_hi_u32 v1, v26, s46
	v_mul_lo_u32 v2, v1, s25
	v_add_u32_e32 v3, 1, v1
	v_sub_u32_e32 v2, v26, v2
	v_cmp_le_u32_e64 s[0:1], s25, v2
	v_cndmask_b32_e64 v1, v1, v3, s[0:1]
	v_subrev_u32_e32 v3, s25, v2
	v_cndmask_b32_e64 v2, v2, v3, s[0:1]
	v_add_u32_e32 v3, 1, v1
	v_cmp_le_u32_e64 s[0:1], s25, v2
	v_cndmask_b32_e64 v1, v1, v3, s[0:1]
	v_xor_b32_e32 v1, s47, v1
	v_subrev_u32_e32 v1, s47, v1
	v_add_u32_e32 v2, s36, v1
	v_sub_u32_e32 v3, 0, v2
	v_max_i32_e32 v3, v2, v3
	v_mul_hi_u32 v4, v3, v37
	v_ashrrev_i32_e32 v2, 31, v2
	v_cmp_lt_i32_e64 s[2:3], s37, v1
	v_mul_lo_u32 v4, v4, s34
	v_sub_u32_e32 v3, v3, v4
	v_subrev_u32_e32 v4, s34, v3
	v_cmp_le_u32_e64 s[0:1], s34, v3
	v_cndmask_b32_e64 v3, v3, v4, s[0:1]
	v_subrev_u32_e32 v4, s34, v3
	v_cmp_le_u32_e64 s[0:1], s34, v3
	v_cndmask_b32_e64 v3, v3, v4, s[0:1]
	v_xor_b32_e32 v3, v3, v2
	v_sub_u32_e32 v2, v3, v2
	v_cmp_eq_u32_e64 s[0:1], 0, v2
	s_or_b64 s[0:1], s[0:1], s[2:3]
	s_and_saveexec_b64 s[16:17], s[0:1]
	s_cbranch_execz .LBB166_126
; %bb.128:                              ;   in Loop: Header=BB166_127 Depth=1
	global_load_dword v3, v[7:8], off
	v_mov_b32_e32 v1, s6
	v_mov_b32_e32 v2, s7
	s_load_dword s41, s[14:15], 0x0
	v_mov_b32_e32 v18, 0
	v_mov_b32_e32 v16, 0
	;; [unrolled: 1-line block ×4, first 2 shown]
	s_waitcnt vmcnt(0)
	v_mad_i64_i32 v[11:12], s[0:1], v3, s35, v[1:2]
	ds_read_b128 v[1:4], v38
	v_add_co_u32_e64 v13, s[0:1], v11, v34
	v_addc_co_u32_e64 v14, s[0:1], 0, v12, s[0:1]
	global_load_dword v15, v[13:14], off
	s_waitcnt vmcnt(0)
	v_cmp_ne_u16_sdwa s[0:1], v15, v5 src0_sel:BYTE_0 src1_sel:DWORD
	s_and_saveexec_b64 s[2:3], s[0:1]
	s_cbranch_execz .LBB166_134
; %bb.129:                              ;   in Loop: Header=BB166_127 Depth=1
	v_bfrev_b32_e32 v16, 1
	v_mov_b32_e32 v17, 0
	v_cmp_ne_u16_sdwa s[0:1], v15, s30 src0_sel:BYTE_0 src1_sel:DWORD
	s_and_saveexec_b64 s[18:19], s[0:1]
	s_cbranch_execz .LBB166_133
; %bb.130:                              ;   in Loop: Header=BB166_127 Depth=1
	v_and_b32_e32 v9, 0x7f, v15
	v_mov_b32_e32 v16, 0x7f800001
	v_mov_b32_e32 v17, 0
	v_cmp_ne_u32_e64 s[0:1], s31, v9
	s_and_saveexec_b64 s[20:21], s[0:1]
	s_cbranch_execz .LBB166_132
; %bb.131:                              ;   in Loop: Header=BB166_127 Depth=1
	v_and_b32_e32 v20, 7, v15
	v_ffbh_u32_e32 v16, v20
	v_min_u32_e32 v22, 32, v16
	v_subrev_u32_e32 v16, 28, v22
	v_lshlrev_b64 v[16:17], v16, v[15:16]
	v_lshrrev_b32_e32 v21, 3, v9
	v_sub_u32_e32 v17, 29, v22
	v_and_b32_e32 v16, 7, v16
	v_cmp_gt_u32_e64 s[0:1], 8, v9
	v_cndmask_b32_e64 v9, v21, v17, s[0:1]
	v_cndmask_b32_e64 v16, v20, v16, s[0:1]
	v_lshlrev_b32_e32 v16, 20, v16
	v_and_b32_sdwa v17, sext(v15), s39 dst_sel:DWORD dst_unused:UNUSED_PAD src0_sel:BYTE_0 src1_sel:DWORD
	v_lshl_add_u32 v9, v9, 23, v39
	v_or3_b32 v16, v17, v9, v16
	v_mov_b32_e32 v17, v5
.LBB166_132:                            ;   in Loop: Header=BB166_127 Depth=1
	s_or_b64 exec, exec, s[20:21]
.LBB166_133:                            ;   in Loop: Header=BB166_127 Depth=1
	s_or_b64 exec, exec, s[18:19]
.LBB166_134:                            ;   in Loop: Header=BB166_127 Depth=1
	s_or_b64 exec, exec, s[2:3]
	v_cmp_ne_u16_sdwa s[0:1], v15, v5 src0_sel:BYTE_1 src1_sel:DWORD
	s_and_saveexec_b64 s[2:3], s[0:1]
	s_cbranch_execz .LBB166_140
; %bb.135:                              ;   in Loop: Header=BB166_127 Depth=1
	v_mov_b32_e32 v19, v6
	v_cmp_ne_u16_sdwa s[0:1], v15, s30 src0_sel:BYTE_1 src1_sel:DWORD
	v_mov_b32_e32 v18, v5
	s_and_saveexec_b64 s[18:19], s[0:1]
	s_cbranch_execz .LBB166_139
; %bb.136:                              ;   in Loop: Header=BB166_127 Depth=1
	v_and_b32_sdwa v20, v15, s31 dst_sel:DWORD dst_unused:UNUSED_PAD src0_sel:BYTE_1 src1_sel:DWORD
	v_mov_b32_e32 v9, v5
	v_mov_b32_e32 v19, v10
	v_cmp_ne_u32_e64 s[0:1], s31, v20
	v_mov_b32_e32 v18, v9
	s_and_saveexec_b64 s[20:21], s[0:1]
	s_cbranch_execz .LBB166_138
; %bb.137:                              ;   in Loop: Header=BB166_127 Depth=1
	v_and_b32_sdwa v18, v15, v40 dst_sel:DWORD dst_unused:UNUSED_PAD src0_sel:BYTE_1 src1_sel:DWORD
	v_ffbh_u32_e32 v21, v18
	v_min_u32_e32 v23, 32, v21
	v_mov_b32_e32 v19, v5
	v_subrev_u32_e32 v21, 28, v23
	v_lshlrev_b64 v[21:22], v21, v[18:19]
	v_lshrrev_b32_e32 v9, 3, v20
	v_sub_u32_e32 v19, 29, v23
	v_cmp_gt_u32_e64 s[0:1], 8, v20
	v_and_b32_e32 v21, 7, v21
	v_cndmask_b32_e64 v9, v9, v19, s[0:1]
	v_cndmask_b32_e64 v18, v18, v21, s[0:1]
	v_lshlrev_b32_e32 v19, 16, v15
	v_lshl_add_u32 v9, v9, 23, v39
	v_and_or_b32 v9, v19, s39, v9
	v_lshlrev_b32_e32 v18, 20, v18
	v_or_b32_e32 v19, v9, v18
	v_mov_b32_e32 v18, v5
.LBB166_138:                            ;   in Loop: Header=BB166_127 Depth=1
	s_or_b64 exec, exec, s[20:21]
.LBB166_139:                            ;   in Loop: Header=BB166_127 Depth=1
	s_or_b64 exec, exec, s[18:19]
.LBB166_140:                            ;   in Loop: Header=BB166_127 Depth=1
	s_or_b64 exec, exec, s[2:3]
	v_lshrrev_b32_e32 v9, 16, v15
	v_mov_b32_e32 v22, 0
	v_mov_b32_e32 v20, 0
	;; [unrolled: 1-line block ×4, first 2 shown]
	v_cmp_ne_u16_sdwa s[0:1], v9, v5 src0_sel:BYTE_0 src1_sel:DWORD
	s_and_saveexec_b64 s[2:3], s[0:1]
	s_cbranch_execz .LBB166_146
; %bb.141:                              ;   in Loop: Header=BB166_127 Depth=1
	v_bfrev_b32_e32 v20, 1
	v_mov_b32_e32 v21, 0
	v_cmp_ne_u16_sdwa s[0:1], v9, s30 src0_sel:BYTE_0 src1_sel:DWORD
	s_and_saveexec_b64 s[18:19], s[0:1]
	s_cbranch_execz .LBB166_145
; %bb.142:                              ;   in Loop: Header=BB166_127 Depth=1
	v_bfe_u32 v42, v15, 16, 7
	v_mov_b32_e32 v20, 0x7f800001
	v_mov_b32_e32 v21, 0
	v_cmp_ne_u32_e64 s[0:1], s31, v42
	s_and_saveexec_b64 s[20:21], s[0:1]
	s_cbranch_execz .LBB166_144
; %bb.143:                              ;   in Loop: Header=BB166_127 Depth=1
	v_and_b32_e32 v43, 7, v9
	v_ffbh_u32_e32 v20, v43
	v_min_u32_e32 v45, 32, v20
	v_subrev_u32_e32 v20, 28, v45
	v_lshlrev_b64 v[20:21], v20, v[9:10]
	v_lshrrev_b32_e32 v44, 3, v42
	v_sub_u32_e32 v21, 29, v45
	v_and_b32_e32 v20, 7, v20
	v_cmp_gt_u32_e64 s[0:1], 8, v42
	v_cndmask_b32_e64 v21, v44, v21, s[0:1]
	v_cndmask_b32_e64 v20, v43, v20, s[0:1]
	v_lshlrev_b32_e32 v20, 20, v20
	v_and_b32_sdwa v9, sext(v9), s39 dst_sel:DWORD dst_unused:UNUSED_PAD src0_sel:BYTE_0 src1_sel:DWORD
	v_lshl_add_u32 v21, v21, 23, v39
	v_or3_b32 v20, v9, v21, v20
	v_mov_b32_e32 v21, v5
.LBB166_144:                            ;   in Loop: Header=BB166_127 Depth=1
	s_or_b64 exec, exec, s[20:21]
.LBB166_145:                            ;   in Loop: Header=BB166_127 Depth=1
	s_or_b64 exec, exec, s[18:19]
.LBB166_146:                            ;   in Loop: Header=BB166_127 Depth=1
	s_or_b64 exec, exec, s[2:3]
	v_cmp_lt_u32_e64 s[0:1], s40, v15
	s_and_saveexec_b64 s[2:3], s[0:1]
	s_cbranch_execz .LBB166_152
; %bb.147:                              ;   in Loop: Header=BB166_127 Depth=1
	v_mov_b32_e32 v23, v6
	v_cmp_ne_u32_sdwa s[0:1], v15, s30 src0_sel:BYTE_3 src1_sel:DWORD
	v_mov_b32_e32 v22, v5
	s_and_saveexec_b64 s[18:19], s[0:1]
	s_cbranch_execz .LBB166_151
; %bb.148:                              ;   in Loop: Header=BB166_127 Depth=1
	v_bfe_u32 v42, v15, 24, 7
	v_mov_b32_e32 v9, v5
	v_mov_b32_e32 v23, v10
	v_cmp_ne_u32_e64 s[0:1], s31, v42
	v_mov_b32_e32 v22, v9
	s_and_saveexec_b64 s[20:21], s[0:1]
	s_cbranch_execz .LBB166_150
; %bb.149:                              ;   in Loop: Header=BB166_127 Depth=1
	v_and_b32_sdwa v22, v15, v40 dst_sel:DWORD dst_unused:UNUSED_PAD src0_sel:BYTE_3 src1_sel:DWORD
	v_ffbh_u32_e32 v43, v22
	v_min_u32_e32 v45, 32, v43
	v_mov_b32_e32 v23, v5
	v_subrev_u32_e32 v43, 28, v45
	v_lshlrev_b64 v[43:44], v43, v[22:23]
	v_lshrrev_b32_e32 v9, 3, v42
	v_sub_u32_e32 v23, 29, v45
	v_cmp_gt_u32_e64 s[0:1], 8, v42
	v_and_b32_e32 v43, 7, v43
	v_cndmask_b32_e64 v9, v9, v23, s[0:1]
	v_cndmask_b32_e64 v22, v22, v43, s[0:1]
	v_lshlrev_b32_sdwa v15, v41, v15 dst_sel:DWORD dst_unused:UNUSED_PAD src0_sel:DWORD src1_sel:BYTE_3
	v_lshl_add_u32 v9, v9, 23, v39
	v_and_or_b32 v9, v15, s39, v9
	v_lshlrev_b32_e32 v15, 20, v22
	v_or_b32_e32 v23, v9, v15
	v_mov_b32_e32 v22, v5
.LBB166_150:                            ;   in Loop: Header=BB166_127 Depth=1
	s_or_b64 exec, exec, s[20:21]
.LBB166_151:                            ;   in Loop: Header=BB166_127 Depth=1
	s_or_b64 exec, exec, s[18:19]
.LBB166_152:                            ;   in Loop: Header=BB166_127 Depth=1
	s_or_b64 exec, exec, s[2:3]
	v_or_b32_e32 v9, v19, v17
	v_or_b32_e32 v15, v18, v16
	s_waitcnt lgkmcnt(0)
	v_mul_f32_e32 v42, s41, v9
	v_mul_f32_e32 v45, s41, v15
	v_or_b32_e32 v9, v23, v21
	v_or_b32_e32 v15, v22, v20
	v_add_u32_e32 v46, v30, v26
	v_cmp_eq_u32_e64 s[0:1], s38, v25
	v_mul_f32_e32 v44, s41, v15
	v_mul_f32_e32 v43, s41, v9
	s_and_saveexec_b64 s[18:19], s[0:1]
	s_cbranch_execz .LBB166_154
; %bb.153:                              ;   in Loop: Header=BB166_127 Depth=1
	v_cmp_gt_i32_e64 s[2:3], s33, v46
	v_add_u32_e32 v9, 1, v46
	v_cndmask_b32_e64 v45, 0, v45, s[2:3]
	v_cmp_gt_i32_e64 s[2:3], s33, v9
	v_add_u32_e32 v9, 2, v46
	v_cndmask_b32_e64 v42, 0, v42, s[2:3]
	;; [unrolled: 3-line block ×3, first 2 shown]
	v_cmp_gt_i32_e64 s[2:3], s33, v9
	v_cndmask_b32_e64 v43, 0, v43, s[2:3]
.LBB166_154:                            ;   in Loop: Header=BB166_127 Depth=1
	s_or_b64 exec, exec, s[18:19]
	global_load_dword v15, v[13:14], off offset:256
	v_mov_b32_e32 v18, 0
	v_mov_b32_e32 v16, 0
	;; [unrolled: 1-line block ×4, first 2 shown]
	s_waitcnt vmcnt(0)
	v_cmp_ne_u16_sdwa s[2:3], v15, v5 src0_sel:BYTE_0 src1_sel:DWORD
	s_and_saveexec_b64 s[18:19], s[2:3]
	s_cbranch_execz .LBB166_160
; %bb.155:                              ;   in Loop: Header=BB166_127 Depth=1
	v_bfrev_b32_e32 v16, 1
	v_mov_b32_e32 v17, 0
	v_cmp_ne_u16_sdwa s[2:3], v15, s30 src0_sel:BYTE_0 src1_sel:DWORD
	s_and_saveexec_b64 s[20:21], s[2:3]
	s_cbranch_execz .LBB166_159
; %bb.156:                              ;   in Loop: Header=BB166_127 Depth=1
	v_and_b32_e32 v9, 0x7f, v15
	v_mov_b32_e32 v16, 0x7f800001
	v_mov_b32_e32 v17, 0
	v_cmp_ne_u32_e64 s[2:3], s31, v9
	s_and_saveexec_b64 s[22:23], s[2:3]
	s_cbranch_execz .LBB166_158
; %bb.157:                              ;   in Loop: Header=BB166_127 Depth=1
	v_and_b32_e32 v20, 7, v15
	v_ffbh_u32_e32 v16, v20
	v_min_u32_e32 v22, 32, v16
	v_subrev_u32_e32 v16, 28, v22
	v_lshlrev_b64 v[16:17], v16, v[15:16]
	v_lshrrev_b32_e32 v21, 3, v9
	v_sub_u32_e32 v17, 29, v22
	v_and_b32_e32 v16, 7, v16
	v_cmp_gt_u32_e64 s[2:3], 8, v9
	v_cndmask_b32_e64 v9, v21, v17, s[2:3]
	v_cndmask_b32_e64 v16, v20, v16, s[2:3]
	v_lshlrev_b32_e32 v16, 20, v16
	v_and_b32_sdwa v17, sext(v15), s39 dst_sel:DWORD dst_unused:UNUSED_PAD src0_sel:BYTE_0 src1_sel:DWORD
	v_lshl_add_u32 v9, v9, 23, v39
	v_or3_b32 v16, v17, v9, v16
	v_mov_b32_e32 v17, v5
.LBB166_158:                            ;   in Loop: Header=BB166_127 Depth=1
	s_or_b64 exec, exec, s[22:23]
.LBB166_159:                            ;   in Loop: Header=BB166_127 Depth=1
	s_or_b64 exec, exec, s[20:21]
.LBB166_160:                            ;   in Loop: Header=BB166_127 Depth=1
	s_or_b64 exec, exec, s[18:19]
	v_cmp_ne_u16_sdwa s[2:3], v15, v5 src0_sel:BYTE_1 src1_sel:DWORD
	s_and_saveexec_b64 s[18:19], s[2:3]
	s_cbranch_execz .LBB166_166
; %bb.161:                              ;   in Loop: Header=BB166_127 Depth=1
	v_mov_b32_e32 v19, v6
	v_cmp_ne_u16_sdwa s[2:3], v15, s30 src0_sel:BYTE_1 src1_sel:DWORD
	v_mov_b32_e32 v18, v5
	s_and_saveexec_b64 s[20:21], s[2:3]
	s_cbranch_execz .LBB166_165
; %bb.162:                              ;   in Loop: Header=BB166_127 Depth=1
	v_and_b32_sdwa v20, v15, s31 dst_sel:DWORD dst_unused:UNUSED_PAD src0_sel:BYTE_1 src1_sel:DWORD
	v_mov_b32_e32 v9, v5
	v_mov_b32_e32 v19, v10
	v_cmp_ne_u32_e64 s[2:3], s31, v20
	v_mov_b32_e32 v18, v9
	s_and_saveexec_b64 s[22:23], s[2:3]
	s_cbranch_execz .LBB166_164
; %bb.163:                              ;   in Loop: Header=BB166_127 Depth=1
	v_and_b32_sdwa v18, v15, v40 dst_sel:DWORD dst_unused:UNUSED_PAD src0_sel:BYTE_1 src1_sel:DWORD
	v_ffbh_u32_e32 v21, v18
	v_min_u32_e32 v23, 32, v21
	v_mov_b32_e32 v19, v5
	v_subrev_u32_e32 v21, 28, v23
	v_lshlrev_b64 v[21:22], v21, v[18:19]
	v_lshrrev_b32_e32 v9, 3, v20
	v_sub_u32_e32 v19, 29, v23
	v_cmp_gt_u32_e64 s[2:3], 8, v20
	v_and_b32_e32 v21, 7, v21
	v_cndmask_b32_e64 v9, v9, v19, s[2:3]
	v_cndmask_b32_e64 v18, v18, v21, s[2:3]
	v_lshlrev_b32_e32 v19, 16, v15
	v_lshl_add_u32 v9, v9, 23, v39
	v_and_or_b32 v9, v19, s39, v9
	v_lshlrev_b32_e32 v18, 20, v18
	v_or_b32_e32 v19, v9, v18
	v_mov_b32_e32 v18, v5
.LBB166_164:                            ;   in Loop: Header=BB166_127 Depth=1
	s_or_b64 exec, exec, s[22:23]
.LBB166_165:                            ;   in Loop: Header=BB166_127 Depth=1
	s_or_b64 exec, exec, s[20:21]
.LBB166_166:                            ;   in Loop: Header=BB166_127 Depth=1
	s_or_b64 exec, exec, s[18:19]
	v_lshrrev_b32_e32 v9, 16, v15
	v_mov_b32_e32 v22, 0
	v_mov_b32_e32 v20, 0
	v_mov_b32_e32 v23, 0
	v_mov_b32_e32 v21, 0
	v_cmp_ne_u16_sdwa s[2:3], v9, v5 src0_sel:BYTE_0 src1_sel:DWORD
	s_and_saveexec_b64 s[18:19], s[2:3]
	s_cbranch_execz .LBB166_172
; %bb.167:                              ;   in Loop: Header=BB166_127 Depth=1
	v_bfrev_b32_e32 v20, 1
	v_mov_b32_e32 v21, 0
	v_cmp_ne_u16_sdwa s[2:3], v9, s30 src0_sel:BYTE_0 src1_sel:DWORD
	s_and_saveexec_b64 s[20:21], s[2:3]
	s_cbranch_execz .LBB166_171
; %bb.168:                              ;   in Loop: Header=BB166_127 Depth=1
	v_bfe_u32 v47, v15, 16, 7
	v_mov_b32_e32 v20, 0x7f800001
	v_mov_b32_e32 v21, 0
	v_cmp_ne_u32_e64 s[2:3], s31, v47
	s_and_saveexec_b64 s[22:23], s[2:3]
	s_cbranch_execz .LBB166_170
; %bb.169:                              ;   in Loop: Header=BB166_127 Depth=1
	v_and_b32_e32 v48, 7, v9
	v_ffbh_u32_e32 v20, v48
	v_min_u32_e32 v50, 32, v20
	v_subrev_u32_e32 v20, 28, v50
	v_lshlrev_b64 v[20:21], v20, v[9:10]
	v_lshrrev_b32_e32 v49, 3, v47
	v_sub_u32_e32 v21, 29, v50
	v_and_b32_e32 v20, 7, v20
	v_cmp_gt_u32_e64 s[2:3], 8, v47
	v_cndmask_b32_e64 v21, v49, v21, s[2:3]
	v_cndmask_b32_e64 v20, v48, v20, s[2:3]
	v_lshlrev_b32_e32 v20, 20, v20
	v_and_b32_sdwa v9, sext(v9), s39 dst_sel:DWORD dst_unused:UNUSED_PAD src0_sel:BYTE_0 src1_sel:DWORD
	v_lshl_add_u32 v21, v21, 23, v39
	v_or3_b32 v20, v9, v21, v20
	v_mov_b32_e32 v21, v5
.LBB166_170:                            ;   in Loop: Header=BB166_127 Depth=1
	s_or_b64 exec, exec, s[22:23]
.LBB166_171:                            ;   in Loop: Header=BB166_127 Depth=1
	s_or_b64 exec, exec, s[20:21]
.LBB166_172:                            ;   in Loop: Header=BB166_127 Depth=1
	s_or_b64 exec, exec, s[18:19]
	v_cmp_lt_u32_e64 s[2:3], s40, v15
	s_and_saveexec_b64 s[18:19], s[2:3]
	s_cbranch_execz .LBB166_178
; %bb.173:                              ;   in Loop: Header=BB166_127 Depth=1
	v_mov_b32_e32 v23, v6
	v_cmp_ne_u32_sdwa s[2:3], v15, s30 src0_sel:BYTE_3 src1_sel:DWORD
	v_mov_b32_e32 v22, v5
	s_and_saveexec_b64 s[20:21], s[2:3]
	s_cbranch_execz .LBB166_177
; %bb.174:                              ;   in Loop: Header=BB166_127 Depth=1
	v_bfe_u32 v47, v15, 24, 7
	v_mov_b32_e32 v9, v5
	v_mov_b32_e32 v23, v10
	v_cmp_ne_u32_e64 s[2:3], s31, v47
	v_mov_b32_e32 v22, v9
	s_and_saveexec_b64 s[22:23], s[2:3]
	s_cbranch_execz .LBB166_176
; %bb.175:                              ;   in Loop: Header=BB166_127 Depth=1
	v_and_b32_sdwa v22, v15, v40 dst_sel:DWORD dst_unused:UNUSED_PAD src0_sel:BYTE_3 src1_sel:DWORD
	v_ffbh_u32_e32 v48, v22
	v_min_u32_e32 v50, 32, v48
	v_mov_b32_e32 v23, v5
	v_subrev_u32_e32 v48, 28, v50
	v_lshlrev_b64 v[48:49], v48, v[22:23]
	v_lshrrev_b32_e32 v9, 3, v47
	v_sub_u32_e32 v23, 29, v50
	v_cmp_gt_u32_e64 s[2:3], 8, v47
	v_and_b32_e32 v48, 7, v48
	v_cndmask_b32_e64 v9, v9, v23, s[2:3]
	v_cndmask_b32_e64 v22, v22, v48, s[2:3]
	v_lshlrev_b32_sdwa v15, v41, v15 dst_sel:DWORD dst_unused:UNUSED_PAD src0_sel:DWORD src1_sel:BYTE_3
	v_lshl_add_u32 v9, v9, 23, v39
	v_and_or_b32 v9, v15, s39, v9
	v_lshlrev_b32_e32 v15, 20, v22
	v_or_b32_e32 v23, v9, v15
	v_mov_b32_e32 v22, v5
.LBB166_176:                            ;   in Loop: Header=BB166_127 Depth=1
	s_or_b64 exec, exec, s[22:23]
.LBB166_177:                            ;   in Loop: Header=BB166_127 Depth=1
	s_or_b64 exec, exec, s[20:21]
.LBB166_178:                            ;   in Loop: Header=BB166_127 Depth=1
	s_or_b64 exec, exec, s[18:19]
	s_mov_b32 s42, s41
	v_or_b32_e32 v9, v19, v17
	v_or_b32_e32 v15, v18, v16
	v_mul_f32_e32 v47, s42, v9
	v_mul_f32_e32 v48, s41, v15
	v_or_b32_e32 v9, v23, v21
	v_or_b32_e32 v15, v22, v20
	v_mul_f32_e32 v23, s41, v15
	v_mul_f32_e32 v22, s42, v9
	s_and_saveexec_b64 s[18:19], s[0:1]
	s_cbranch_execz .LBB166_180
; %bb.179:                              ;   in Loop: Header=BB166_127 Depth=1
	v_cmp_gt_i32_e64 s[2:3], s33, v46
	v_add_u32_e32 v9, 1, v46
	v_cndmask_b32_e64 v48, 0, v48, s[2:3]
	v_cmp_gt_i32_e64 s[2:3], s33, v9
	v_add_u32_e32 v9, 2, v46
	v_cndmask_b32_e64 v47, 0, v47, s[2:3]
	;; [unrolled: 3-line block ×3, first 2 shown]
	v_cmp_gt_i32_e64 s[2:3], s33, v9
	v_cndmask_b32_e64 v22, 0, v22, s[2:3]
.LBB166_180:                            ;   in Loop: Header=BB166_127 Depth=1
	s_or_b64 exec, exec, s[18:19]
	global_load_dword v13, v[13:14], off offset:512
	v_mov_b32_e32 v16, 0
	v_mov_b32_e32 v14, 0
	;; [unrolled: 1-line block ×4, first 2 shown]
	s_waitcnt vmcnt(0)
	v_cmp_ne_u16_sdwa s[2:3], v13, v5 src0_sel:BYTE_0 src1_sel:DWORD
	s_and_saveexec_b64 s[18:19], s[2:3]
	s_cbranch_execz .LBB166_186
; %bb.181:                              ;   in Loop: Header=BB166_127 Depth=1
	v_bfrev_b32_e32 v14, 1
	v_mov_b32_e32 v15, 0
	v_cmp_ne_u16_sdwa s[2:3], v13, s30 src0_sel:BYTE_0 src1_sel:DWORD
	s_and_saveexec_b64 s[20:21], s[2:3]
	s_cbranch_execz .LBB166_185
; %bb.182:                              ;   in Loop: Header=BB166_127 Depth=1
	v_and_b32_e32 v9, 0x7f, v13
	v_mov_b32_e32 v14, 0x7f800001
	v_mov_b32_e32 v15, 0
	v_cmp_ne_u32_e64 s[2:3], s31, v9
	s_and_saveexec_b64 s[22:23], s[2:3]
	s_cbranch_execz .LBB166_184
; %bb.183:                              ;   in Loop: Header=BB166_127 Depth=1
	v_and_b32_e32 v18, 7, v13
	v_ffbh_u32_e32 v14, v18
	v_min_u32_e32 v20, 32, v14
	v_subrev_u32_e32 v14, 28, v20
	v_lshlrev_b64 v[14:15], v14, v[13:14]
	v_lshrrev_b32_e32 v19, 3, v9
	v_sub_u32_e32 v15, 29, v20
	v_and_b32_e32 v14, 7, v14
	v_cmp_gt_u32_e64 s[2:3], 8, v9
	v_cndmask_b32_e64 v9, v19, v15, s[2:3]
	v_cndmask_b32_e64 v14, v18, v14, s[2:3]
	v_lshlrev_b32_e32 v14, 20, v14
	v_and_b32_sdwa v15, sext(v13), s39 dst_sel:DWORD dst_unused:UNUSED_PAD src0_sel:BYTE_0 src1_sel:DWORD
	v_lshl_add_u32 v9, v9, 23, v39
	v_or3_b32 v14, v15, v9, v14
	v_mov_b32_e32 v15, v5
.LBB166_184:                            ;   in Loop: Header=BB166_127 Depth=1
	s_or_b64 exec, exec, s[22:23]
.LBB166_185:                            ;   in Loop: Header=BB166_127 Depth=1
	s_or_b64 exec, exec, s[20:21]
.LBB166_186:                            ;   in Loop: Header=BB166_127 Depth=1
	s_or_b64 exec, exec, s[18:19]
	v_cmp_ne_u16_sdwa s[2:3], v13, v5 src0_sel:BYTE_1 src1_sel:DWORD
	s_and_saveexec_b64 s[18:19], s[2:3]
	s_cbranch_execz .LBB166_192
; %bb.187:                              ;   in Loop: Header=BB166_127 Depth=1
	v_mov_b32_e32 v17, v6
	v_cmp_ne_u16_sdwa s[2:3], v13, s30 src0_sel:BYTE_1 src1_sel:DWORD
	v_mov_b32_e32 v16, v5
	s_and_saveexec_b64 s[20:21], s[2:3]
	s_cbranch_execz .LBB166_191
; %bb.188:                              ;   in Loop: Header=BB166_127 Depth=1
	v_and_b32_sdwa v18, v13, s31 dst_sel:DWORD dst_unused:UNUSED_PAD src0_sel:BYTE_1 src1_sel:DWORD
	v_mov_b32_e32 v9, v5
	v_mov_b32_e32 v17, v10
	v_cmp_ne_u32_e64 s[2:3], s31, v18
	v_mov_b32_e32 v16, v9
	s_and_saveexec_b64 s[22:23], s[2:3]
	s_cbranch_execz .LBB166_190
; %bb.189:                              ;   in Loop: Header=BB166_127 Depth=1
	v_and_b32_sdwa v16, v13, v40 dst_sel:DWORD dst_unused:UNUSED_PAD src0_sel:BYTE_1 src1_sel:DWORD
	v_ffbh_u32_e32 v19, v16
	v_min_u32_e32 v21, 32, v19
	v_mov_b32_e32 v17, v5
	v_subrev_u32_e32 v19, 28, v21
	v_lshlrev_b64 v[19:20], v19, v[16:17]
	v_lshrrev_b32_e32 v9, 3, v18
	v_sub_u32_e32 v17, 29, v21
	v_cmp_gt_u32_e64 s[2:3], 8, v18
	v_and_b32_e32 v19, 7, v19
	v_cndmask_b32_e64 v9, v9, v17, s[2:3]
	v_cndmask_b32_e64 v16, v16, v19, s[2:3]
	v_lshlrev_b32_e32 v17, 16, v13
	v_lshl_add_u32 v9, v9, 23, v39
	v_and_or_b32 v9, v17, s39, v9
	v_lshlrev_b32_e32 v16, 20, v16
	v_or_b32_e32 v17, v9, v16
	v_mov_b32_e32 v16, v5
.LBB166_190:                            ;   in Loop: Header=BB166_127 Depth=1
	s_or_b64 exec, exec, s[22:23]
.LBB166_191:                            ;   in Loop: Header=BB166_127 Depth=1
	s_or_b64 exec, exec, s[20:21]
.LBB166_192:                            ;   in Loop: Header=BB166_127 Depth=1
	s_or_b64 exec, exec, s[18:19]
	v_lshrrev_b32_e32 v9, 16, v13
	v_mov_b32_e32 v20, 0
	v_mov_b32_e32 v18, 0
	v_mov_b32_e32 v21, 0
	v_mov_b32_e32 v19, 0
	v_cmp_ne_u16_sdwa s[2:3], v9, v5 src0_sel:BYTE_0 src1_sel:DWORD
	s_and_saveexec_b64 s[18:19], s[2:3]
	s_cbranch_execz .LBB166_198
; %bb.193:                              ;   in Loop: Header=BB166_127 Depth=1
	v_bfrev_b32_e32 v18, 1
	v_mov_b32_e32 v19, 0
	v_cmp_ne_u16_sdwa s[2:3], v9, s30 src0_sel:BYTE_0 src1_sel:DWORD
	s_and_saveexec_b64 s[20:21], s[2:3]
	s_cbranch_execz .LBB166_197
; %bb.194:                              ;   in Loop: Header=BB166_127 Depth=1
	v_bfe_u32 v49, v13, 16, 7
	v_mov_b32_e32 v18, 0x7f800001
	v_mov_b32_e32 v19, 0
	v_cmp_ne_u32_e64 s[2:3], s31, v49
	s_and_saveexec_b64 s[22:23], s[2:3]
	s_cbranch_execz .LBB166_196
; %bb.195:                              ;   in Loop: Header=BB166_127 Depth=1
	v_and_b32_e32 v50, 7, v9
	v_ffbh_u32_e32 v18, v50
	v_min_u32_e32 v52, 32, v18
	v_subrev_u32_e32 v18, 28, v52
	v_lshlrev_b64 v[18:19], v18, v[9:10]
	v_lshrrev_b32_e32 v51, 3, v49
	v_sub_u32_e32 v19, 29, v52
	v_and_b32_e32 v18, 7, v18
	v_cmp_gt_u32_e64 s[2:3], 8, v49
	v_cndmask_b32_e64 v19, v51, v19, s[2:3]
	v_cndmask_b32_e64 v18, v50, v18, s[2:3]
	v_lshlrev_b32_e32 v18, 20, v18
	v_and_b32_sdwa v9, sext(v9), s39 dst_sel:DWORD dst_unused:UNUSED_PAD src0_sel:BYTE_0 src1_sel:DWORD
	v_lshl_add_u32 v19, v19, 23, v39
	v_or3_b32 v18, v9, v19, v18
	v_mov_b32_e32 v19, v5
.LBB166_196:                            ;   in Loop: Header=BB166_127 Depth=1
	s_or_b64 exec, exec, s[22:23]
.LBB166_197:                            ;   in Loop: Header=BB166_127 Depth=1
	s_or_b64 exec, exec, s[20:21]
.LBB166_198:                            ;   in Loop: Header=BB166_127 Depth=1
	s_or_b64 exec, exec, s[18:19]
	v_cmp_lt_u32_e64 s[2:3], s40, v13
	s_and_saveexec_b64 s[18:19], s[2:3]
	s_cbranch_execz .LBB166_204
; %bb.199:                              ;   in Loop: Header=BB166_127 Depth=1
	v_mov_b32_e32 v21, v6
	v_cmp_ne_u32_sdwa s[2:3], v13, s30 src0_sel:BYTE_3 src1_sel:DWORD
	v_mov_b32_e32 v20, v5
	s_and_saveexec_b64 s[20:21], s[2:3]
	s_cbranch_execz .LBB166_203
; %bb.200:                              ;   in Loop: Header=BB166_127 Depth=1
	v_bfe_u32 v49, v13, 24, 7
	v_mov_b32_e32 v9, v5
	v_mov_b32_e32 v21, v10
	v_cmp_ne_u32_e64 s[2:3], s31, v49
	v_mov_b32_e32 v20, v9
	s_and_saveexec_b64 s[22:23], s[2:3]
	s_cbranch_execz .LBB166_202
; %bb.201:                              ;   in Loop: Header=BB166_127 Depth=1
	v_and_b32_sdwa v20, v13, v40 dst_sel:DWORD dst_unused:UNUSED_PAD src0_sel:BYTE_3 src1_sel:DWORD
	v_ffbh_u32_e32 v50, v20
	v_min_u32_e32 v52, 32, v50
	v_mov_b32_e32 v21, v5
	v_subrev_u32_e32 v50, 28, v52
	v_lshlrev_b64 v[50:51], v50, v[20:21]
	v_lshrrev_b32_e32 v9, 3, v49
	v_sub_u32_e32 v21, 29, v52
	v_cmp_gt_u32_e64 s[2:3], 8, v49
	v_and_b32_e32 v50, 7, v50
	v_cndmask_b32_e64 v9, v9, v21, s[2:3]
	v_cndmask_b32_e64 v20, v20, v50, s[2:3]
	v_lshlrev_b32_sdwa v13, v41, v13 dst_sel:DWORD dst_unused:UNUSED_PAD src0_sel:DWORD src1_sel:BYTE_3
	v_lshl_add_u32 v9, v9, 23, v39
	v_and_or_b32 v9, v13, s39, v9
	v_lshlrev_b32_e32 v13, 20, v20
	v_or_b32_e32 v21, v9, v13
	v_mov_b32_e32 v20, v5
.LBB166_202:                            ;   in Loop: Header=BB166_127 Depth=1
	s_or_b64 exec, exec, s[22:23]
.LBB166_203:                            ;   in Loop: Header=BB166_127 Depth=1
	s_or_b64 exec, exec, s[20:21]
.LBB166_204:                            ;   in Loop: Header=BB166_127 Depth=1
	s_or_b64 exec, exec, s[18:19]
	v_or_b32_e32 v9, v17, v15
	v_or_b32_e32 v13, v16, v14
	v_mul_f32_e32 v49, s42, v9
	v_mul_f32_e32 v50, s41, v13
	v_or_b32_e32 v9, v21, v19
	v_or_b32_e32 v13, v20, v18
	v_mul_f32_e32 v21, s41, v13
	v_mul_f32_e32 v20, s42, v9
	s_and_saveexec_b64 s[18:19], s[0:1]
	s_cbranch_execz .LBB166_206
; %bb.205:                              ;   in Loop: Header=BB166_127 Depth=1
	v_cmp_gt_i32_e64 s[2:3], s33, v46
	v_add_u32_e32 v9, 1, v46
	v_cndmask_b32_e64 v50, 0, v50, s[2:3]
	v_cmp_gt_i32_e64 s[2:3], s33, v9
	v_add_u32_e32 v9, 2, v46
	v_cndmask_b32_e64 v49, 0, v49, s[2:3]
	;; [unrolled: 3-line block ×3, first 2 shown]
	v_cmp_gt_i32_e64 s[2:3], s33, v9
	v_cndmask_b32_e64 v20, 0, v20, s[2:3]
.LBB166_206:                            ;   in Loop: Header=BB166_127 Depth=1
	s_or_b64 exec, exec, s[18:19]
	s_and_saveexec_b64 s[18:19], vcc
	s_cbranch_execz .LBB166_125
; %bb.207:                              ;   in Loop: Header=BB166_127 Depth=1
	v_add_co_u32_e64 v11, s[2:3], v11, v36
	v_addc_co_u32_e64 v12, s[2:3], 0, v12, s[2:3]
	global_load_dword v11, v[11:12], off
	v_mov_b32_e32 v14, 0
	v_mov_b32_e32 v12, 0
	;; [unrolled: 1-line block ×4, first 2 shown]
	s_waitcnt vmcnt(0)
	v_cmp_ne_u16_sdwa s[2:3], v11, v5 src0_sel:BYTE_0 src1_sel:DWORD
	s_and_saveexec_b64 s[20:21], s[2:3]
	s_cbranch_execz .LBB166_213
; %bb.208:                              ;   in Loop: Header=BB166_127 Depth=1
	v_bfrev_b32_e32 v12, 1
	v_mov_b32_e32 v13, 0
	v_cmp_ne_u16_sdwa s[2:3], v11, s30 src0_sel:BYTE_0 src1_sel:DWORD
	s_and_saveexec_b64 s[22:23], s[2:3]
	s_cbranch_execz .LBB166_212
; %bb.209:                              ;   in Loop: Header=BB166_127 Depth=1
	v_and_b32_e32 v9, 0x7f, v11
	v_mov_b32_e32 v12, 0x7f800001
	v_mov_b32_e32 v13, 0
	v_cmp_ne_u32_e64 s[2:3], s31, v9
	s_and_saveexec_b64 s[28:29], s[2:3]
	s_cbranch_execz .LBB166_211
; %bb.210:                              ;   in Loop: Header=BB166_127 Depth=1
	v_and_b32_e32 v16, 7, v11
	v_ffbh_u32_e32 v12, v16
	v_min_u32_e32 v18, 32, v12
	v_subrev_u32_e32 v12, 28, v18
	v_lshlrev_b64 v[12:13], v12, v[11:12]
	v_lshrrev_b32_e32 v17, 3, v9
	v_sub_u32_e32 v13, 29, v18
	v_and_b32_e32 v12, 7, v12
	v_cmp_gt_u32_e64 s[2:3], 8, v9
	v_cndmask_b32_e64 v9, v17, v13, s[2:3]
	v_cndmask_b32_e64 v12, v16, v12, s[2:3]
	v_lshlrev_b32_e32 v12, 20, v12
	v_and_b32_sdwa v13, sext(v11), s39 dst_sel:DWORD dst_unused:UNUSED_PAD src0_sel:BYTE_0 src1_sel:DWORD
	v_lshl_add_u32 v9, v9, 23, v39
	v_or3_b32 v12, v13, v9, v12
	v_mov_b32_e32 v13, v5
.LBB166_211:                            ;   in Loop: Header=BB166_127 Depth=1
	s_or_b64 exec, exec, s[28:29]
.LBB166_212:                            ;   in Loop: Header=BB166_127 Depth=1
	s_or_b64 exec, exec, s[22:23]
.LBB166_213:                            ;   in Loop: Header=BB166_127 Depth=1
	s_or_b64 exec, exec, s[20:21]
	v_cmp_ne_u16_sdwa s[2:3], v11, v5 src0_sel:BYTE_1 src1_sel:DWORD
	s_and_saveexec_b64 s[20:21], s[2:3]
	s_cbranch_execz .LBB166_219
; %bb.214:                              ;   in Loop: Header=BB166_127 Depth=1
	v_mov_b32_e32 v15, v6
	v_cmp_ne_u16_sdwa s[2:3], v11, s30 src0_sel:BYTE_1 src1_sel:DWORD
	v_mov_b32_e32 v14, v5
	s_and_saveexec_b64 s[22:23], s[2:3]
	s_cbranch_execz .LBB166_218
; %bb.215:                              ;   in Loop: Header=BB166_127 Depth=1
	v_and_b32_sdwa v16, v11, s31 dst_sel:DWORD dst_unused:UNUSED_PAD src0_sel:BYTE_1 src1_sel:DWORD
	v_mov_b32_e32 v9, v5
	v_mov_b32_e32 v15, v10
	v_cmp_ne_u32_e64 s[2:3], s31, v16
	v_mov_b32_e32 v14, v9
	s_and_saveexec_b64 s[28:29], s[2:3]
	s_cbranch_execz .LBB166_217
; %bb.216:                              ;   in Loop: Header=BB166_127 Depth=1
	v_and_b32_sdwa v14, v11, v40 dst_sel:DWORD dst_unused:UNUSED_PAD src0_sel:BYTE_1 src1_sel:DWORD
	v_ffbh_u32_e32 v17, v14
	v_min_u32_e32 v19, 32, v17
	v_mov_b32_e32 v15, v5
	v_subrev_u32_e32 v17, 28, v19
	v_lshlrev_b64 v[17:18], v17, v[14:15]
	v_lshrrev_b32_e32 v9, 3, v16
	v_sub_u32_e32 v15, 29, v19
	v_cmp_gt_u32_e64 s[2:3], 8, v16
	v_and_b32_e32 v17, 7, v17
	v_cndmask_b32_e64 v9, v9, v15, s[2:3]
	v_cndmask_b32_e64 v14, v14, v17, s[2:3]
	v_lshlrev_b32_e32 v15, 16, v11
	v_lshl_add_u32 v9, v9, 23, v39
	v_and_or_b32 v9, v15, s39, v9
	v_lshlrev_b32_e32 v14, 20, v14
	v_or_b32_e32 v15, v9, v14
	v_mov_b32_e32 v14, v5
.LBB166_217:                            ;   in Loop: Header=BB166_127 Depth=1
	s_or_b64 exec, exec, s[28:29]
.LBB166_218:                            ;   in Loop: Header=BB166_127 Depth=1
	s_or_b64 exec, exec, s[22:23]
.LBB166_219:                            ;   in Loop: Header=BB166_127 Depth=1
	s_or_b64 exec, exec, s[20:21]
	v_lshrrev_b32_e32 v9, 16, v11
	v_mov_b32_e32 v18, 0
	v_mov_b32_e32 v16, 0
	;; [unrolled: 1-line block ×4, first 2 shown]
	v_cmp_ne_u16_sdwa s[2:3], v9, v5 src0_sel:BYTE_0 src1_sel:DWORD
	s_and_saveexec_b64 s[20:21], s[2:3]
	s_cbranch_execz .LBB166_225
; %bb.220:                              ;   in Loop: Header=BB166_127 Depth=1
	v_bfrev_b32_e32 v16, 1
	v_mov_b32_e32 v17, 0
	v_cmp_ne_u16_sdwa s[2:3], v9, s30 src0_sel:BYTE_0 src1_sel:DWORD
	s_and_saveexec_b64 s[22:23], s[2:3]
	s_cbranch_execz .LBB166_224
; %bb.221:                              ;   in Loop: Header=BB166_127 Depth=1
	v_bfe_u32 v51, v11, 16, 7
	v_mov_b32_e32 v16, 0x7f800001
	v_mov_b32_e32 v17, 0
	v_cmp_ne_u32_e64 s[2:3], s31, v51
	s_and_saveexec_b64 s[28:29], s[2:3]
	s_cbranch_execz .LBB166_223
; %bb.222:                              ;   in Loop: Header=BB166_127 Depth=1
	v_and_b32_e32 v52, 7, v9
	v_ffbh_u32_e32 v16, v52
	v_min_u32_e32 v54, 32, v16
	v_subrev_u32_e32 v16, 28, v54
	v_lshlrev_b64 v[16:17], v16, v[9:10]
	v_lshrrev_b32_e32 v53, 3, v51
	v_sub_u32_e32 v17, 29, v54
	v_and_b32_e32 v16, 7, v16
	v_cmp_gt_u32_e64 s[2:3], 8, v51
	v_cndmask_b32_e64 v17, v53, v17, s[2:3]
	v_cndmask_b32_e64 v16, v52, v16, s[2:3]
	v_lshlrev_b32_e32 v16, 20, v16
	v_and_b32_sdwa v9, sext(v9), s39 dst_sel:DWORD dst_unused:UNUSED_PAD src0_sel:BYTE_0 src1_sel:DWORD
	v_lshl_add_u32 v17, v17, 23, v39
	v_or3_b32 v16, v9, v17, v16
	v_mov_b32_e32 v17, v5
.LBB166_223:                            ;   in Loop: Header=BB166_127 Depth=1
	s_or_b64 exec, exec, s[28:29]
.LBB166_224:                            ;   in Loop: Header=BB166_127 Depth=1
	s_or_b64 exec, exec, s[22:23]
.LBB166_225:                            ;   in Loop: Header=BB166_127 Depth=1
	s_or_b64 exec, exec, s[20:21]
	v_cmp_lt_u32_e64 s[2:3], s40, v11
	s_and_saveexec_b64 s[20:21], s[2:3]
	s_cbranch_execz .LBB166_231
; %bb.226:                              ;   in Loop: Header=BB166_127 Depth=1
	v_mov_b32_e32 v19, v6
	v_cmp_ne_u32_sdwa s[2:3], v11, s30 src0_sel:BYTE_3 src1_sel:DWORD
	v_mov_b32_e32 v18, v5
	s_and_saveexec_b64 s[22:23], s[2:3]
	s_cbranch_execz .LBB166_230
; %bb.227:                              ;   in Loop: Header=BB166_127 Depth=1
	v_bfe_u32 v51, v11, 24, 7
	v_mov_b32_e32 v9, v5
	v_mov_b32_e32 v19, v10
	v_cmp_ne_u32_e64 s[2:3], s31, v51
	v_mov_b32_e32 v18, v9
	s_and_saveexec_b64 s[28:29], s[2:3]
	s_cbranch_execz .LBB166_229
; %bb.228:                              ;   in Loop: Header=BB166_127 Depth=1
	v_and_b32_sdwa v18, v11, v40 dst_sel:DWORD dst_unused:UNUSED_PAD src0_sel:BYTE_3 src1_sel:DWORD
	v_ffbh_u32_e32 v52, v18
	v_min_u32_e32 v54, 32, v52
	v_mov_b32_e32 v19, v5
	v_subrev_u32_e32 v52, 28, v54
	v_lshlrev_b64 v[52:53], v52, v[18:19]
	v_lshrrev_b32_e32 v9, 3, v51
	v_sub_u32_e32 v19, 29, v54
	v_cmp_gt_u32_e64 s[2:3], 8, v51
	v_and_b32_e32 v52, 7, v52
	v_cndmask_b32_e64 v9, v9, v19, s[2:3]
	v_cndmask_b32_e64 v18, v18, v52, s[2:3]
	v_lshlrev_b32_sdwa v11, v41, v11 dst_sel:DWORD dst_unused:UNUSED_PAD src0_sel:DWORD src1_sel:BYTE_3
	v_lshl_add_u32 v9, v9, 23, v39
	v_and_or_b32 v9, v11, s39, v9
	v_lshlrev_b32_e32 v11, 20, v18
	v_or_b32_e32 v19, v9, v11
	v_mov_b32_e32 v18, v5
.LBB166_229:                            ;   in Loop: Header=BB166_127 Depth=1
	s_or_b64 exec, exec, s[28:29]
.LBB166_230:                            ;   in Loop: Header=BB166_127 Depth=1
	s_or_b64 exec, exec, s[22:23]
.LBB166_231:                            ;   in Loop: Header=BB166_127 Depth=1
	s_or_b64 exec, exec, s[20:21]
	v_or_b32_e32 v11, v14, v12
	v_or_b32_e32 v9, v15, v13
	v_mul_f32_e32 v13, s41, v11
	v_or_b32_e32 v11, v19, v17
	v_or_b32_e32 v12, v18, v16
	v_mul_f32_e32 v9, s42, v9
	v_mul_f32_e32 v12, s41, v12
	;; [unrolled: 1-line block ×3, first 2 shown]
	s_and_saveexec_b64 s[2:3], s[0:1]
	s_cbranch_execz .LBB166_124
; %bb.232:                              ;   in Loop: Header=BB166_127 Depth=1
	v_cmp_gt_i32_e64 s[0:1], s33, v46
	v_add_u32_e32 v14, 1, v46
	v_cndmask_b32_e64 v13, 0, v13, s[0:1]
	v_cmp_gt_i32_e64 s[0:1], s33, v14
	v_add_u32_e32 v14, 2, v46
	v_cndmask_b32_e64 v9, 0, v9, s[0:1]
	;; [unrolled: 3-line block ×3, first 2 shown]
	v_cmp_gt_i32_e64 s[0:1], s33, v14
	v_cndmask_b32_e64 v11, 0, v11, s[0:1]
	s_branch .LBB166_124
.LBB166_233:
	s_or_b64 exec, exec, s[12:13]
.LBB166_234:
	s_or_b64 exec, exec, s[4:5]
	ds_bpermute_b32 v2, v27, v33
	ds_bpermute_b32 v5, v27, v31
	;; [unrolled: 1-line block ×4, first 2 shown]
	v_cmp_eq_u32_e32 vcc, 0, v29
	s_waitcnt lgkmcnt(3)
	v_add_f32_e32 v3, v33, v2
	s_waitcnt lgkmcnt(2)
	v_add_f32_e32 v2, v31, v5
	v_and_b32_e32 v5, 0x3c0, v0
	s_waitcnt lgkmcnt(1)
	v_add_f32_e32 v4, v32, v1
	s_waitcnt lgkmcnt(0)
	v_add_f32_e32 v1, v35, v6
	v_cmp_eq_u32_e64 s[0:1], 64, v5
	s_barrier
	s_and_saveexec_b64 s[2:3], s[0:1]
	s_cbranch_execz .LBB166_239
; %bb.235:
	s_and_saveexec_b64 s[0:1], vcc
	s_cbranch_execz .LBB166_237
; %bb.236:
	v_mov_b32_e32 v5, 0x1d0
	v_lshl_add_u32 v5, v28, 2, v5
	ds_write2_b32 v5, v4, v3 offset1:32
	ds_write_b32 v5, v2 offset:256
.LBB166_237:
	s_or_b64 exec, exec, s[0:1]
	v_or_b32_e32 v5, 0x60, v28
	s_movk_i32 s0, 0x70
	v_cmp_gt_u32_e64 s[0:1], s0, v5
	s_and_b64 s[0:1], vcc, s[0:1]
	s_and_b64 exec, exec, s[0:1]
; %bb.238:
	v_mov_b32_e32 v5, 0x1d0
	v_lshl_add_u32 v5, v28, 2, v5
	ds_write_b32 v5, v1 offset:384
.LBB166_239:
	s_or_b64 exec, exec, s[2:3]
	v_cmp_gt_u32_e64 s[0:1], 64, v0
	s_waitcnt lgkmcnt(0)
	s_barrier
	s_and_saveexec_b64 s[4:5], s[0:1]
	s_cbranch_execz .LBB166_249
; %bb.240:
	s_and_saveexec_b64 s[2:3], vcc
	s_cbranch_execz .LBB166_242
; %bb.241:
	v_mov_b32_e32 v0, 0x1d0
	v_lshl_add_u32 v0, v24, 2, v0
	ds_read_b32 v0, v0
	s_waitcnt lgkmcnt(0)
	v_add_f32_e32 v4, v4, v0
.LBB166_242:
	s_or_b64 exec, exec, s[2:3]
	v_or_b32_e32 v0, 32, v24
	s_movk_i32 s6, 0x70
	v_cmp_gt_u32_e64 s[2:3], s6, v0
	s_and_b64 s[12:13], vcc, s[2:3]
	s_and_saveexec_b64 s[2:3], s[12:13]
	s_cbranch_execz .LBB166_244
; %bb.243:
	v_mov_b32_e32 v0, 0x1d0
	v_lshl_add_u32 v0, v24, 2, v0
	ds_read_b32 v0, v0 offset:128
	s_waitcnt lgkmcnt(0)
	v_add_f32_e32 v3, v3, v0
.LBB166_244:
	s_or_b64 exec, exec, s[2:3]
	v_or_b32_e32 v0, 64, v24
	v_cmp_gt_u32_e64 s[2:3], s6, v0
	s_and_b64 s[6:7], vcc, s[2:3]
	s_and_saveexec_b64 s[2:3], s[6:7]
	s_cbranch_execz .LBB166_246
; %bb.245:
	v_mov_b32_e32 v0, 0x1d0
	v_lshl_add_u32 v0, v24, 2, v0
	ds_read_b32 v0, v0 offset:256
	s_waitcnt lgkmcnt(0)
	v_add_f32_e32 v2, v2, v0
.LBB166_246:
	s_or_b64 exec, exec, s[2:3]
	v_or_b32_e32 v0, 0x60, v24
	s_movk_i32 s2, 0x70
	v_cmp_gt_u32_e64 s[2:3], s2, v0
	s_and_b64 s[6:7], vcc, s[2:3]
	s_and_saveexec_b64 s[2:3], s[6:7]
	s_cbranch_execz .LBB166_248
; %bb.247:
	v_mov_b32_e32 v0, 0x1d0
	v_lshl_add_u32 v0, v24, 2, v0
	ds_read_b32 v0, v0 offset:384
	s_waitcnt lgkmcnt(0)
	v_add_f32_e32 v1, v1, v0
.LBB166_248:
	s_or_b64 exec, exec, s[2:3]
.LBB166_249:
	s_or_b64 exec, exec, s[4:5]
	s_barrier
	s_and_saveexec_b64 s[2:3], s[0:1]
	s_cbranch_execz .LBB166_258
; %bb.250:
	s_mul_i32 s0, s10, s11
	s_mul_i32 s0, s0, s9
	s_mulk_i32 s0, 0x70
	s_ashr_i32 s1, s0, 31
	s_lshl_b64 s[0:1], s[0:1], 2
	s_add_u32 s2, s26, s0
	s_mul_i32 s0, s11, s24
	s_addc_u32 s3, s27, s1
	s_ashr_i32 s1, s0, 31
	s_lshl_b64 s[0:1], s[0:1], 2
	s_add_u32 s2, s2, s0
	s_mul_i32 s0, s8, 0x70
	s_addc_u32 s3, s3, s1
	s_ashr_i32 s1, s0, 31
	s_lshl_b64 s[0:1], s[0:1], 2
	s_add_u32 s2, s2, s0
	s_movk_i32 s4, 0x70
	s_addc_u32 s3, s3, s1
	v_lshlrev_b32_e32 v0, 2, v24
	s_and_saveexec_b64 s[0:1], vcc
	s_cbranch_execz .LBB166_252
; %bb.251:
	global_store_dword v0, v4, s[2:3]
.LBB166_252:
	s_or_b64 exec, exec, s[0:1]
	v_or_b32_e32 v4, 32, v24
	v_cmp_gt_u32_e64 s[0:1], s4, v4
	s_and_b64 s[4:5], vcc, s[0:1]
	s_and_saveexec_b64 s[0:1], s[4:5]
	s_cbranch_execz .LBB166_254
; %bb.253:
	global_store_dword v0, v3, s[2:3] offset:128
.LBB166_254:
	s_or_b64 exec, exec, s[0:1]
	v_or_b32_e32 v3, 64, v24
	s_movk_i32 s4, 0x70
	v_cmp_gt_u32_e64 s[0:1], s4, v3
	s_and_b64 s[6:7], vcc, s[0:1]
	s_and_saveexec_b64 s[0:1], s[6:7]
	s_cbranch_execz .LBB166_256
; %bb.255:
	global_store_dword v0, v2, s[2:3] offset:256
.LBB166_256:
	s_or_b64 exec, exec, s[0:1]
	v_or_b32_e32 v2, 0x60, v24
	v_cmp_gt_u32_e64 s[0:1], s4, v2
	s_and_b64 s[0:1], vcc, s[0:1]
	s_and_b64 exec, exec, s[0:1]
	s_cbranch_execz .LBB166_258
; %bb.257:
	global_store_dword v0, v1, s[2:3] offset:384
.LBB166_258:
	s_endpgm
	.section	.rodata,"a",@progbits
	.p2align	6, 0x0
	.amdhsa_kernel _ZN4vllm25paged_attention_v1_kernelIfhLi112ELi8ELi128ELNS_18Fp8KVCacheDataTypeE1ELb1EEEvPT_PKS2_PKT0_S8_ifPKiSA_iPKfiiiSC_SC_iiiii
		.amdhsa_group_segment_fixed_size 464
		.amdhsa_private_segment_fixed_size 0
		.amdhsa_kernarg_size 384
		.amdhsa_user_sgpr_count 6
		.amdhsa_user_sgpr_private_segment_buffer 1
		.amdhsa_user_sgpr_dispatch_ptr 0
		.amdhsa_user_sgpr_queue_ptr 0
		.amdhsa_user_sgpr_kernarg_segment_ptr 1
		.amdhsa_user_sgpr_dispatch_id 0
		.amdhsa_user_sgpr_flat_scratch_init 0
		.amdhsa_user_sgpr_private_segment_size 0
		.amdhsa_uses_dynamic_stack 0
		.amdhsa_system_sgpr_private_segment_wavefront_offset 0
		.amdhsa_system_sgpr_workgroup_id_x 1
		.amdhsa_system_sgpr_workgroup_id_y 1
		.amdhsa_system_sgpr_workgroup_id_z 1
		.amdhsa_system_sgpr_workgroup_info 0
		.amdhsa_system_vgpr_workitem_id 0
		.amdhsa_next_free_vgpr 59
		.amdhsa_next_free_sgpr 55
		.amdhsa_reserve_vcc 1
		.amdhsa_reserve_flat_scratch 0
		.amdhsa_float_round_mode_32 0
		.amdhsa_float_round_mode_16_64 0
		.amdhsa_float_denorm_mode_32 3
		.amdhsa_float_denorm_mode_16_64 3
		.amdhsa_dx10_clamp 1
		.amdhsa_ieee_mode 1
		.amdhsa_fp16_overflow 0
		.amdhsa_exception_fp_ieee_invalid_op 0
		.amdhsa_exception_fp_denorm_src 0
		.amdhsa_exception_fp_ieee_div_zero 0
		.amdhsa_exception_fp_ieee_overflow 0
		.amdhsa_exception_fp_ieee_underflow 0
		.amdhsa_exception_fp_ieee_inexact 0
		.amdhsa_exception_int_div_zero 0
	.end_amdhsa_kernel
	.section	.text._ZN4vllm25paged_attention_v1_kernelIfhLi112ELi8ELi128ELNS_18Fp8KVCacheDataTypeE1ELb1EEEvPT_PKS2_PKT0_S8_ifPKiSA_iPKfiiiSC_SC_iiiii,"axG",@progbits,_ZN4vllm25paged_attention_v1_kernelIfhLi112ELi8ELi128ELNS_18Fp8KVCacheDataTypeE1ELb1EEEvPT_PKS2_PKT0_S8_ifPKiSA_iPKfiiiSC_SC_iiiii,comdat
.Lfunc_end166:
	.size	_ZN4vllm25paged_attention_v1_kernelIfhLi112ELi8ELi128ELNS_18Fp8KVCacheDataTypeE1ELb1EEEvPT_PKS2_PKT0_S8_ifPKiSA_iPKfiiiSC_SC_iiiii, .Lfunc_end166-_ZN4vllm25paged_attention_v1_kernelIfhLi112ELi8ELi128ELNS_18Fp8KVCacheDataTypeE1ELb1EEEvPT_PKS2_PKT0_S8_ifPKiSA_iPKfiiiSC_SC_iiiii
                                        ; -- End function
	.set _ZN4vllm25paged_attention_v1_kernelIfhLi112ELi8ELi128ELNS_18Fp8KVCacheDataTypeE1ELb1EEEvPT_PKS2_PKT0_S8_ifPKiSA_iPKfiiiSC_SC_iiiii.num_vgpr, 59
	.set _ZN4vllm25paged_attention_v1_kernelIfhLi112ELi8ELi128ELNS_18Fp8KVCacheDataTypeE1ELb1EEEvPT_PKS2_PKT0_S8_ifPKiSA_iPKfiiiSC_SC_iiiii.num_agpr, 0
	.set _ZN4vllm25paged_attention_v1_kernelIfhLi112ELi8ELi128ELNS_18Fp8KVCacheDataTypeE1ELb1EEEvPT_PKS2_PKT0_S8_ifPKiSA_iPKfiiiSC_SC_iiiii.numbered_sgpr, 55
	.set _ZN4vllm25paged_attention_v1_kernelIfhLi112ELi8ELi128ELNS_18Fp8KVCacheDataTypeE1ELb1EEEvPT_PKS2_PKT0_S8_ifPKiSA_iPKfiiiSC_SC_iiiii.num_named_barrier, 0
	.set _ZN4vllm25paged_attention_v1_kernelIfhLi112ELi8ELi128ELNS_18Fp8KVCacheDataTypeE1ELb1EEEvPT_PKS2_PKT0_S8_ifPKiSA_iPKfiiiSC_SC_iiiii.private_seg_size, 0
	.set _ZN4vllm25paged_attention_v1_kernelIfhLi112ELi8ELi128ELNS_18Fp8KVCacheDataTypeE1ELb1EEEvPT_PKS2_PKT0_S8_ifPKiSA_iPKfiiiSC_SC_iiiii.uses_vcc, 1
	.set _ZN4vllm25paged_attention_v1_kernelIfhLi112ELi8ELi128ELNS_18Fp8KVCacheDataTypeE1ELb1EEEvPT_PKS2_PKT0_S8_ifPKiSA_iPKfiiiSC_SC_iiiii.uses_flat_scratch, 0
	.set _ZN4vllm25paged_attention_v1_kernelIfhLi112ELi8ELi128ELNS_18Fp8KVCacheDataTypeE1ELb1EEEvPT_PKS2_PKT0_S8_ifPKiSA_iPKfiiiSC_SC_iiiii.has_dyn_sized_stack, 0
	.set _ZN4vllm25paged_attention_v1_kernelIfhLi112ELi8ELi128ELNS_18Fp8KVCacheDataTypeE1ELb1EEEvPT_PKS2_PKT0_S8_ifPKiSA_iPKfiiiSC_SC_iiiii.has_recursion, 0
	.set _ZN4vllm25paged_attention_v1_kernelIfhLi112ELi8ELi128ELNS_18Fp8KVCacheDataTypeE1ELb1EEEvPT_PKS2_PKT0_S8_ifPKiSA_iPKfiiiSC_SC_iiiii.has_indirect_call, 0
	.section	.AMDGPU.csdata,"",@progbits
; Kernel info:
; codeLenInByte = 10336
; TotalNumSgprs: 59
; NumVgprs: 59
; ScratchSize: 0
; MemoryBound: 0
; FloatMode: 240
; IeeeMode: 1
; LDSByteSize: 464 bytes/workgroup (compile time only)
; SGPRBlocks: 7
; VGPRBlocks: 14
; NumSGPRsForWavesPerEU: 59
; NumVGPRsForWavesPerEU: 59
; Occupancy: 4
; WaveLimiterHint : 1
; COMPUTE_PGM_RSRC2:SCRATCH_EN: 0
; COMPUTE_PGM_RSRC2:USER_SGPR: 6
; COMPUTE_PGM_RSRC2:TRAP_HANDLER: 0
; COMPUTE_PGM_RSRC2:TGID_X_EN: 1
; COMPUTE_PGM_RSRC2:TGID_Y_EN: 1
; COMPUTE_PGM_RSRC2:TGID_Z_EN: 1
; COMPUTE_PGM_RSRC2:TIDIG_COMP_CNT: 0
	.section	.text._ZN4vllm25paged_attention_v1_kernelIfhLi120ELi8ELi128ELNS_18Fp8KVCacheDataTypeE1ELb1EEEvPT_PKS2_PKT0_S8_ifPKiSA_iPKfiiiSC_SC_iiiii,"axG",@progbits,_ZN4vllm25paged_attention_v1_kernelIfhLi120ELi8ELi128ELNS_18Fp8KVCacheDataTypeE1ELb1EEEvPT_PKS2_PKT0_S8_ifPKiSA_iPKfiiiSC_SC_iiiii,comdat
	.protected	_ZN4vllm25paged_attention_v1_kernelIfhLi120ELi8ELi128ELNS_18Fp8KVCacheDataTypeE1ELb1EEEvPT_PKS2_PKT0_S8_ifPKiSA_iPKfiiiSC_SC_iiiii ; -- Begin function _ZN4vllm25paged_attention_v1_kernelIfhLi120ELi8ELi128ELNS_18Fp8KVCacheDataTypeE1ELb1EEEvPT_PKS2_PKT0_S8_ifPKiSA_iPKfiiiSC_SC_iiiii
	.globl	_ZN4vllm25paged_attention_v1_kernelIfhLi120ELi8ELi128ELNS_18Fp8KVCacheDataTypeE1ELb1EEEvPT_PKS2_PKT0_S8_ifPKiSA_iPKfiiiSC_SC_iiiii
	.p2align	8
	.type	_ZN4vllm25paged_attention_v1_kernelIfhLi120ELi8ELi128ELNS_18Fp8KVCacheDataTypeE1ELb1EEEvPT_PKS2_PKT0_S8_ifPKiSA_iPKfiiiSC_SC_iiiii,@function
_ZN4vllm25paged_attention_v1_kernelIfhLi120ELi8ELi128ELNS_18Fp8KVCacheDataTypeE1ELb1EEEvPT_PKS2_PKT0_S8_ifPKiSA_iPKfiiiSC_SC_iiiii: ; @_ZN4vllm25paged_attention_v1_kernelIfhLi120ELi8ELi128ELNS_18Fp8KVCacheDataTypeE1ELb1EEEvPT_PKS2_PKT0_S8_ifPKiSA_iPKfiiiSC_SC_iiiii
; %bb.0:
	s_load_dword s9, s[4:5], 0x80
	s_load_dwordx2 s[0:1], s[4:5], 0x30
	s_load_dwordx2 s[36:37], s[4:5], 0x20
	s_mov_b32 s10, s7
	s_ashr_i32 s11, s7, 31
	s_lshl_b64 s[2:3], s[10:11], 2
	s_waitcnt lgkmcnt(0)
	s_add_u32 s0, s0, s2
	s_addc_u32 s1, s1, s3
	s_abs_i32 s2, s36
	v_cvt_f32_u32_e32 v1, s2
	s_sub_i32 s11, 0, s2
	s_abs_i32 s7, s9
	s_xor_b32 s3, s9, s36
	v_rcp_iflag_f32_e32 v1, v1
	s_ashr_i32 s3, s3, 31
	s_mov_b32 s49, 0
	v_mul_f32_e32 v1, 0x4f7ffffe, v1
	v_cvt_u32_f32_e32 v1, v1
	v_readfirstlane_b32 s12, v1
	s_mul_i32 s11, s11, s12
	s_mul_hi_u32 s11, s12, s11
	s_add_i32 s12, s12, s11
	s_mul_hi_u32 s11, s7, s12
	s_mul_i32 s12, s11, s2
	s_sub_i32 s7, s7, s12
	s_add_i32 s12, s11, 1
	s_sub_i32 s13, s7, s2
	s_cmp_ge_u32 s7, s2
	s_cselect_b32 s11, s12, s11
	s_cselect_b32 s7, s13, s7
	s_add_i32 s12, s11, 1
	s_cmp_ge_u32 s7, s2
	s_cselect_b32 s2, s12, s11
	s_xor_b32 s2, s2, s3
	s_sub_i32 s14, s2, s3
	s_abs_i32 s11, s14
	v_cvt_f32_u32_e32 v1, s11
	s_load_dwordx2 s[2:3], s[4:5], 0x40
	s_sub_i32 s7, 0, s11
	s_abs_i32 s12, s6
	v_rcp_iflag_f32_e32 v1, v1
	v_mul_f32_e32 v1, 0x4f7ffffe, v1
	v_cvt_u32_f32_e32 v1, v1
	v_readfirstlane_b32 s13, v1
	s_mul_i32 s7, s7, s13
	s_mul_hi_u32 s7, s13, s7
	s_add_i32 s13, s13, s7
	s_waitcnt lgkmcnt(0)
	s_cmp_eq_u64 s[2:3], 0
	s_mul_hi_u32 s13, s12, s13
	s_cbranch_scc1 .LBB167_2
; %bb.1:
	s_ashr_i32 s7, s6, 31
	s_lshl_b64 s[16:17], s[6:7], 2
	s_add_u32 s2, s2, s16
	s_addc_u32 s3, s3, s17
	s_load_dword s49, s[2:3], 0x0
.LBB167_2:
	s_load_dword s33, s[0:1], 0x0
	s_load_dwordx4 s[16:19], s[4:5], 0x48
	s_movk_i32 s0, 0x78
	s_ashr_i32 s2, s6, 31
	s_ashr_i32 s7, s14, 31
	v_and_b32_e32 v1, 7, v0
	s_mul_i32 s24, s6, 0x78
	v_cmp_gt_u32_e32 vcc, s0, v0
	v_lshlrev_b32_e32 v22, 2, v0
	v_lshrrev_b32_e32 v24, 1, v0
	s_and_saveexec_b64 s[0:1], vcc
	s_cbranch_execz .LBB167_4
; %bb.3:
	s_load_dwordx2 s[14:15], s[4:5], 0x8
	s_waitcnt lgkmcnt(0)
	s_mul_i32 s20, s16, s10
	s_ashr_i32 s21, s20, 31
	s_lshl_b64 s[20:21], s[20:21], 2
	v_and_b32_e32 v3, 0x1fc, v24
	s_add_u32 s3, s14, s20
	s_addc_u32 s16, s15, s21
	s_ashr_i32 s25, s24, 31
	s_lshl_b64 s[14:15], s[24:25], 2
	s_add_u32 s14, s3, s14
	s_addc_u32 s15, s16, s15
	global_load_dword v2, v22, s[14:15]
	v_mad_u32_u24 v3, v1, 60, v3
	s_waitcnt vmcnt(0)
	ds_write_b32 v3, v2
.LBB167_4:
	s_or_b64 exec, exec, s[0:1]
	s_mul_i32 s1, s13, s11
	s_sub_i32 s1, s12, s1
	s_xor_b32 s0, s2, s7
	s_add_i32 s2, s13, 1
	s_sub_i32 s7, s1, s11
	s_load_dwordx4 s[20:23], s[4:5], 0x68
	s_load_dword s3, s[4:5], 0x78
	s_cmp_ge_u32 s1, s11
	s_cselect_b32 s2, s2, s13
	s_cselect_b32 s1, s7, s1
	s_add_i32 s7, s2, 1
	s_cmp_ge_u32 s1, s11
	s_cselect_b32 s1, s7, s2
	s_waitcnt lgkmcnt(0)
	s_abs_i32 s25, s23
	v_cvt_f32_u32_e32 v2, s25
	s_xor_b32 s1, s1, s0
	s_sub_i32 s2, s1, s0
	s_sub_i32 s0, 0, s25
	v_rcp_iflag_f32_e32 v2, v2
	s_add_i32 s11, s33, -1
	s_abs_i32 s7, s11
	v_mul_f32_e32 v2, 0x4f7ffffe, v2
	v_cvt_u32_f32_e32 v2, v2
	s_barrier
	v_readfirstlane_b32 s46, v2
	s_mul_i32 s0, s0, s46
	s_mul_hi_u32 s0, s46, s0
	s_add_i32 s46, s46, s0
	s_cmp_lt_i32 s3, 0
	s_mul_hi_u32 s16, s7, s46
	s_cbranch_scc0 .LBB167_6
; %bb.5:
	s_mul_i32 s0, s20, s36
	s_add_i32 s0, s2, s0
	s_mul_i32 s0, s0, s3
	s_sub_i32 s36, 1, s0
	s_mov_b64 s[0:1], 0
	s_branch .LBB167_7
.LBB167_6:
	s_mov_b64 s[0:1], -1
                                        ; implicit-def: $sgpr36
.LBB167_7:
	s_load_dwordx2 s[28:29], s[4:5], 0x28
	s_ashr_i32 s19, s11, 31
	s_andn2_b64 vcc, exec, s[0:1]
	s_ashr_i32 s47, s23, 31
	s_cbranch_vccnz .LBB167_9
; %bb.8:
	s_mul_i32 s0, s9, s20
	s_add_i32 s0, s0, s6
	s_mul_i32 s0, s0, s3
	s_add_i32 s36, s0, 1
.LBB167_9:
	s_load_dword s0, s[4:5], 0x38
	s_load_dwordx2 s[26:27], s[4:5], 0x0
	s_load_dwordx2 s[34:35], s[4:5], 0x18
	s_load_dword s11, s[4:5], 0x88
	s_load_dwordx4 s[12:15], s[4:5], 0x58
	s_mul_i32 s1, s16, s25
	s_waitcnt lgkmcnt(0)
	s_mul_i32 s30, s0, s10
	s_sub_i32 s1, s7, s1
	s_ashr_i32 s31, s30, 31
	s_xor_b32 s0, s19, s47
	s_add_i32 s3, s16, 1
	s_sub_i32 s6, s1, s25
	s_cmp_ge_u32 s1, s25
	s_cselect_b32 s3, s3, s16
	s_cselect_b32 s1, s6, s1
	s_add_i32 s6, s3, 1
	s_cmp_ge_u32 s1, s25
	s_cselect_b32 s1, s6, s3
	s_xor_b32 s1, s1, s0
	s_sub_i32 s16, s1, s0
	s_add_i32 s0, s33, 7
	s_ashr_i32 s1, s0, 31
	s_lshr_b32 s1, s1, 29
	s_add_i32 s0, s0, s1
	s_ashr_i32 s48, s0, 3
	v_lshrrev_b32_e32 v25, 6, v0
	v_cmp_le_i32_e64 s[0:1], s48, v25
	v_cmp_gt_i32_e32 vcc, s48, v25
	v_mov_b32_e32 v30, 0xff7fffff
	s_mul_i32 s20, s2, s18
	v_lshrrev_b32_e32 v23, 4, v0
	v_lshlrev_b32_e32 v26, 3, v25
	v_mbcnt_lo_u32_b32 v27, -1, 0
	s_and_saveexec_b64 s[18:19], vcc
	s_cbranch_execz .LBB167_111
; %bb.10:
	s_load_dwordx2 s[2:3], s[4:5], 0x10
	s_sub_i32 s23, s16, s21
	s_ashr_i32 s4, s20, 31
	v_bfe_u32 v28, v0, 3, 3
	v_cmp_eq_u32_e32 vcc, 0, v1
	s_waitcnt lgkmcnt(0)
	s_add_u32 s5, s2, s20
	s_addc_u32 s4, s3, s4
	s_abs_i32 s50, s22
	v_cvt_f32_u32_e32 v2, s50
	v_mov_b32_e32 v4, s4
	s_sub_i32 s4, 0, s50
	v_mul_u32_u24_e32 v29, 60, v1
	v_rcp_iflag_f32_e32 v2, v2
	s_mov_b32 s51, s17
	v_cmp_neq_f32_e64 s[2:3], s49, 0
	v_lshlrev_b32_e32 v32, 3, v25
	v_mul_f32_e32 v2, 0x4f7ffffe, v2
	v_cvt_u32_f32_e32 v3, v2
	v_lshlrev_b32_e32 v2, 4, v28
	v_mov_b32_e32 v35, 0xff7fffff
	s_mov_b64 s[38:39], 0
	v_mul_lo_u32 v5, s4, v3
	v_add_co_u32_e64 v2, s[4:5], s5, v2
	v_addc_co_u32_e64 v4, s[4:5], 0, v4, s[4:5]
	v_mul_hi_u32 v5, v3, v5
	v_add_co_u32_e64 v1, s[4:5], v2, v1
	v_addc_co_u32_e64 v2, s[4:5], 0, v4, s[4:5]
	s_lshl_b64 s[4:5], s[30:31], 2
	v_add_u32_e32 v31, v3, v5
	s_add_u32 s4, s28, s4
	v_subrev_u32_e32 v5, s33, v28
	v_and_b32_e32 v3, 60, v23
	s_addc_u32 s5, s29, s5
	v_add_u32_e32 v33, 1, v5
	v_lshlrev_b32_e32 v5, 2, v28
	v_mov_b32_e32 v4, s5
	v_add_co_u32_e64 v3, s[4:5], s4, v3
	v_lshl_or_b32 v5, v25, 5, v5
	v_addc_co_u32_e64 v4, s[4:5], 0, v4, s[4:5]
	v_add_u32_e32 v34, 0x1f0, v5
	s_movk_i32 s52, 0x80
	s_movk_i32 s53, 0x7f
	v_bfrev_b32_e32 v36, 60
	v_mbcnt_hi_u32_b32 v37, -1, v27
	v_mov_b32_e32 v30, 0xff7fffff
	v_mov_b32_e32 v38, v25
	s_branch .LBB167_13
.LBB167_11:                             ;   in Loop: Header=BB167_13 Depth=1
	s_or_b64 exec, exec, s[40:41]
.LBB167_12:                             ;   in Loop: Header=BB167_13 Depth=1
	s_or_b64 exec, exec, s[6:7]
	v_add_co_u32_e64 v3, s[4:5], 8, v3
	v_add_u32_e32 v38, 2, v38
	v_addc_co_u32_e64 v4, s[4:5], 0, v4, s[4:5]
	v_cmp_le_i32_e64 s[4:5], s48, v38
	v_add_u32_e32 v32, 16, v32
	s_or_b64 s[38:39], s[4:5], s[38:39]
	v_add_u32_e32 v34, 64, v34
	s_andn2_b64 exec, exec, s[38:39]
	s_cbranch_execz .LBB167_110
.LBB167_13:                             ; =>This Inner Loop Header: Depth=1
	v_mul_hi_u32 v5, v32, s46
	s_waitcnt lgkmcnt(0)
	v_mul_lo_u32 v6, v5, s25
	v_add_u32_e32 v7, 1, v5
	v_sub_u32_e32 v6, v32, v6
	v_cmp_le_u32_e64 s[4:5], s25, v6
	v_cndmask_b32_e64 v5, v5, v7, s[4:5]
	v_subrev_u32_e32 v7, s25, v6
	v_cndmask_b32_e64 v6, v6, v7, s[4:5]
	v_add_u32_e32 v7, 1, v5
	v_cmp_le_u32_e64 s[4:5], s25, v6
	v_cndmask_b32_e64 v5, v5, v7, s[4:5]
	v_xor_b32_e32 v5, s47, v5
	v_subrev_u32_e32 v5, s47, v5
	v_add_u32_e32 v6, s36, v5
	v_sub_u32_e32 v7, 0, v6
	v_max_i32_e32 v7, v6, v7
	v_mul_hi_u32 v8, v7, v31
	v_ashrrev_i32_e32 v6, 31, v6
	v_cmp_ge_i32_e64 s[6:7], s23, v5
	v_mul_lo_u32 v8, v8, s50
	v_sub_u32_e32 v7, v7, v8
	v_subrev_u32_e32 v8, s50, v7
	v_cmp_le_u32_e64 s[4:5], s50, v7
	v_cndmask_b32_e64 v7, v7, v8, s[4:5]
	v_subrev_u32_e32 v8, s50, v7
	v_cmp_le_u32_e64 s[4:5], s50, v7
	v_cndmask_b32_e64 v7, v7, v8, s[4:5]
	v_xor_b32_e32 v7, v7, v6
	v_sub_u32_e32 v6, v7, v6
	v_cmp_ne_u32_e64 s[4:5], 0, v6
	s_and_b64 s[4:5], s[4:5], s[6:7]
	s_and_saveexec_b64 s[6:7], s[4:5]
	s_xor_b64 s[4:5], exec, s[6:7]
	s_cbranch_execz .LBB167_17
; %bb.14:                               ;   in Loop: Header=BB167_13 Depth=1
	s_and_saveexec_b64 s[6:7], vcc
; %bb.15:                               ;   in Loop: Header=BB167_13 Depth=1
	ds_write_b32 v34, v35
; %bb.16:                               ;   in Loop: Header=BB167_13 Depth=1
	s_or_b64 exec, exec, s[6:7]
.LBB167_17:                             ;   in Loop: Header=BB167_13 Depth=1
	s_andn2_saveexec_b64 s[6:7], s[4:5]
	s_cbranch_execz .LBB167_12
; %bb.18:                               ;   in Loop: Header=BB167_13 Depth=1
	global_load_dword v5, v[3:4], off
	v_mov_b32_e32 v40, 0
	v_mov_b32_e32 v41, 0
	s_waitcnt vmcnt(0)
	v_mad_i64_i32 v[19:20], s[4:5], v5, s51, v[1:2]
	global_load_ubyte v42, v[19:20], off
	ds_read2_b32 v[17:18], v29 offset1:1
	ds_read2_b32 v[15:16], v29 offset0:2 offset1:3
	ds_read2_b32 v[13:14], v29 offset0:4 offset1:5
	;; [unrolled: 1-line block ×6, first 2 shown]
	ds_read_b32 v39, v29 offset:56
	s_load_dword s54, s[12:13], 0x0
	s_waitcnt vmcnt(0)
	v_cmp_ne_u16_e64 s[4:5], 0, v42
	s_and_saveexec_b64 s[40:41], s[4:5]
	s_cbranch_execz .LBB167_24
; %bb.19:                               ;   in Loop: Header=BB167_13 Depth=1
	v_cmp_ne_u16_e64 s[4:5], s52, v42
	v_bfrev_b32_e32 v41, 1
	s_and_saveexec_b64 s[42:43], s[4:5]
	s_cbranch_execz .LBB167_23
; %bb.20:                               ;   in Loop: Header=BB167_13 Depth=1
	v_and_b32_e32 v21, 0xffff, v42
	v_and_b32_e32 v43, 0x7f, v21
	v_cmp_ne_u32_e64 s[4:5], s53, v43
	v_mov_b32_e32 v41, 0x7f800001
	s_and_saveexec_b64 s[44:45], s[4:5]
	s_cbranch_execz .LBB167_22
; %bb.21:                               ;   in Loop: Header=BB167_13 Depth=1
	v_and_b32_e32 v41, 7, v21
	v_ffbh_u32_e32 v44, v41
	v_min_u32_e32 v47, 32, v44
	v_subrev_u32_e32 v44, 28, v47
	v_lshlrev_b64 v[44:45], v44, v[21:22]
	v_lshrrev_b32_e32 v46, 3, v43
	v_sub_u32_e32 v21, 29, v47
	v_and_b32_e32 v44, 7, v44
	v_cmp_gt_u32_e64 s[4:5], 8, v43
	v_cndmask_b32_e64 v21, v46, v21, s[4:5]
	v_cndmask_b32_e64 v41, v41, v44, s[4:5]
	v_lshlrev_b32_e32 v42, 24, v42
	v_lshlrev_b32_e32 v41, 20, v41
	v_and_b32_e32 v42, 0x80000000, v42
	v_lshl_add_u32 v21, v21, 23, v36
	v_or3_b32 v41, v42, v21, v41
.LBB167_22:                             ;   in Loop: Header=BB167_13 Depth=1
	s_or_b64 exec, exec, s[44:45]
.LBB167_23:                             ;   in Loop: Header=BB167_13 Depth=1
	s_or_b64 exec, exec, s[42:43]
.LBB167_24:                             ;   in Loop: Header=BB167_13 Depth=1
	s_or_b64 exec, exec, s[40:41]
	global_load_ubyte v42, v[19:20], off offset:8
	s_waitcnt vmcnt(0)
	v_cmp_ne_u16_e64 s[4:5], 0, v42
	s_and_saveexec_b64 s[40:41], s[4:5]
	s_cbranch_execz .LBB167_30
; %bb.25:                               ;   in Loop: Header=BB167_13 Depth=1
	v_cmp_ne_u16_e64 s[4:5], s52, v42
	v_bfrev_b32_e32 v40, 1
	s_and_saveexec_b64 s[42:43], s[4:5]
	s_cbranch_execz .LBB167_29
; %bb.26:                               ;   in Loop: Header=BB167_13 Depth=1
	v_and_b32_e32 v21, 0xffff, v42
	v_and_b32_e32 v43, 0x7f, v21
	v_cmp_ne_u32_e64 s[4:5], s53, v43
	v_mov_b32_e32 v40, 0x7f800001
	s_and_saveexec_b64 s[44:45], s[4:5]
	s_cbranch_execz .LBB167_28
; %bb.27:                               ;   in Loop: Header=BB167_13 Depth=1
	v_and_b32_e32 v40, 7, v21
	v_ffbh_u32_e32 v44, v40
	v_min_u32_e32 v47, 32, v44
	v_subrev_u32_e32 v44, 28, v47
	v_lshlrev_b64 v[44:45], v44, v[21:22]
	v_lshrrev_b32_e32 v46, 3, v43
	v_sub_u32_e32 v21, 29, v47
	v_and_b32_e32 v44, 7, v44
	v_cmp_gt_u32_e64 s[4:5], 8, v43
	v_cndmask_b32_e64 v21, v46, v21, s[4:5]
	v_cndmask_b32_e64 v40, v40, v44, s[4:5]
	v_lshlrev_b32_e32 v42, 24, v42
	v_lshlrev_b32_e32 v40, 20, v40
	v_and_b32_e32 v42, 0x80000000, v42
	v_lshl_add_u32 v21, v21, 23, v36
	v_or3_b32 v40, v42, v21, v40
.LBB167_28:                             ;   in Loop: Header=BB167_13 Depth=1
	s_or_b64 exec, exec, s[44:45]
.LBB167_29:                             ;   in Loop: Header=BB167_13 Depth=1
	s_or_b64 exec, exec, s[42:43]
.LBB167_30:                             ;   in Loop: Header=BB167_13 Depth=1
	s_or_b64 exec, exec, s[40:41]
	global_load_ubyte v44, v[19:20], off offset:128
	v_mov_b32_e32 v42, 0
	v_mov_b32_e32 v43, 0
	s_waitcnt vmcnt(0)
	v_cmp_ne_u16_e64 s[4:5], 0, v44
	s_and_saveexec_b64 s[40:41], s[4:5]
	s_cbranch_execz .LBB167_36
; %bb.31:                               ;   in Loop: Header=BB167_13 Depth=1
	v_cmp_ne_u16_e64 s[4:5], s52, v44
	v_bfrev_b32_e32 v43, 1
	s_and_saveexec_b64 s[42:43], s[4:5]
	s_cbranch_execz .LBB167_35
; %bb.32:                               ;   in Loop: Header=BB167_13 Depth=1
	v_and_b32_e32 v21, 0xffff, v44
	v_and_b32_e32 v45, 0x7f, v21
	v_cmp_ne_u32_e64 s[4:5], s53, v45
	v_mov_b32_e32 v43, 0x7f800001
	s_and_saveexec_b64 s[44:45], s[4:5]
	s_cbranch_execz .LBB167_34
; %bb.33:                               ;   in Loop: Header=BB167_13 Depth=1
	v_and_b32_e32 v43, 7, v21
	v_ffbh_u32_e32 v46, v43
	v_min_u32_e32 v49, 32, v46
	v_subrev_u32_e32 v46, 28, v49
	v_lshlrev_b64 v[46:47], v46, v[21:22]
	v_lshrrev_b32_e32 v48, 3, v45
	v_sub_u32_e32 v21, 29, v49
	v_and_b32_e32 v46, 7, v46
	v_cmp_gt_u32_e64 s[4:5], 8, v45
	v_cndmask_b32_e64 v21, v48, v21, s[4:5]
	v_cndmask_b32_e64 v43, v43, v46, s[4:5]
	v_lshlrev_b32_e32 v44, 24, v44
	v_lshlrev_b32_e32 v43, 20, v43
	v_and_b32_e32 v44, 0x80000000, v44
	v_lshl_add_u32 v21, v21, 23, v36
	v_or3_b32 v43, v44, v21, v43
.LBB167_34:                             ;   in Loop: Header=BB167_13 Depth=1
	s_or_b64 exec, exec, s[44:45]
.LBB167_35:                             ;   in Loop: Header=BB167_13 Depth=1
	s_or_b64 exec, exec, s[42:43]
.LBB167_36:                             ;   in Loop: Header=BB167_13 Depth=1
	s_or_b64 exec, exec, s[40:41]
	global_load_ubyte v44, v[19:20], off offset:136
	s_waitcnt vmcnt(0)
	v_cmp_ne_u16_e64 s[4:5], 0, v44
	s_and_saveexec_b64 s[40:41], s[4:5]
	s_cbranch_execz .LBB167_42
; %bb.37:                               ;   in Loop: Header=BB167_13 Depth=1
	v_cmp_ne_u16_e64 s[4:5], s52, v44
	v_bfrev_b32_e32 v42, 1
	s_and_saveexec_b64 s[42:43], s[4:5]
	s_cbranch_execz .LBB167_41
; %bb.38:                               ;   in Loop: Header=BB167_13 Depth=1
	v_and_b32_e32 v21, 0xffff, v44
	v_and_b32_e32 v45, 0x7f, v21
	v_cmp_ne_u32_e64 s[4:5], s53, v45
	v_mov_b32_e32 v42, 0x7f800001
	s_and_saveexec_b64 s[44:45], s[4:5]
	s_cbranch_execz .LBB167_40
; %bb.39:                               ;   in Loop: Header=BB167_13 Depth=1
	v_and_b32_e32 v42, 7, v21
	v_ffbh_u32_e32 v46, v42
	v_min_u32_e32 v49, 32, v46
	v_subrev_u32_e32 v46, 28, v49
	v_lshlrev_b64 v[46:47], v46, v[21:22]
	v_lshrrev_b32_e32 v48, 3, v45
	v_sub_u32_e32 v21, 29, v49
	v_and_b32_e32 v46, 7, v46
	v_cmp_gt_u32_e64 s[4:5], 8, v45
	v_cndmask_b32_e64 v21, v48, v21, s[4:5]
	v_cndmask_b32_e64 v42, v42, v46, s[4:5]
	v_lshlrev_b32_e32 v44, 24, v44
	v_lshlrev_b32_e32 v42, 20, v42
	v_and_b32_e32 v44, 0x80000000, v44
	v_lshl_add_u32 v21, v21, 23, v36
	v_or3_b32 v42, v44, v21, v42
.LBB167_40:                             ;   in Loop: Header=BB167_13 Depth=1
	s_or_b64 exec, exec, s[44:45]
.LBB167_41:                             ;   in Loop: Header=BB167_13 Depth=1
	s_or_b64 exec, exec, s[42:43]
.LBB167_42:                             ;   in Loop: Header=BB167_13 Depth=1
	s_or_b64 exec, exec, s[40:41]
	global_load_ubyte v46, v[19:20], off offset:256
	v_mov_b32_e32 v44, 0
	v_mov_b32_e32 v45, 0
	s_waitcnt vmcnt(0)
	v_cmp_ne_u16_e64 s[4:5], 0, v46
	s_and_saveexec_b64 s[40:41], s[4:5]
	s_cbranch_execz .LBB167_48
; %bb.43:                               ;   in Loop: Header=BB167_13 Depth=1
	v_cmp_ne_u16_e64 s[4:5], s52, v46
	v_bfrev_b32_e32 v45, 1
	s_and_saveexec_b64 s[42:43], s[4:5]
	s_cbranch_execz .LBB167_47
; %bb.44:                               ;   in Loop: Header=BB167_13 Depth=1
	v_and_b32_e32 v21, 0xffff, v46
	v_and_b32_e32 v47, 0x7f, v21
	v_cmp_ne_u32_e64 s[4:5], s53, v47
	v_mov_b32_e32 v45, 0x7f800001
	s_and_saveexec_b64 s[44:45], s[4:5]
	s_cbranch_execz .LBB167_46
; %bb.45:                               ;   in Loop: Header=BB167_13 Depth=1
	v_and_b32_e32 v45, 7, v21
	v_ffbh_u32_e32 v48, v45
	v_min_u32_e32 v51, 32, v48
	v_subrev_u32_e32 v48, 28, v51
	v_lshlrev_b64 v[48:49], v48, v[21:22]
	v_lshrrev_b32_e32 v50, 3, v47
	v_sub_u32_e32 v21, 29, v51
	v_and_b32_e32 v48, 7, v48
	v_cmp_gt_u32_e64 s[4:5], 8, v47
	v_cndmask_b32_e64 v21, v50, v21, s[4:5]
	v_cndmask_b32_e64 v45, v45, v48, s[4:5]
	v_lshlrev_b32_e32 v46, 24, v46
	v_lshlrev_b32_e32 v45, 20, v45
	v_and_b32_e32 v46, 0x80000000, v46
	v_lshl_add_u32 v21, v21, 23, v36
	v_or3_b32 v45, v46, v21, v45
.LBB167_46:                             ;   in Loop: Header=BB167_13 Depth=1
	s_or_b64 exec, exec, s[44:45]
.LBB167_47:                             ;   in Loop: Header=BB167_13 Depth=1
	s_or_b64 exec, exec, s[42:43]
.LBB167_48:                             ;   in Loop: Header=BB167_13 Depth=1
	s_or_b64 exec, exec, s[40:41]
	global_load_ubyte v46, v[19:20], off offset:264
	s_waitcnt vmcnt(0)
	v_cmp_ne_u16_e64 s[4:5], 0, v46
	s_and_saveexec_b64 s[40:41], s[4:5]
	s_cbranch_execz .LBB167_54
; %bb.49:                               ;   in Loop: Header=BB167_13 Depth=1
	v_cmp_ne_u16_e64 s[4:5], s52, v46
	v_bfrev_b32_e32 v44, 1
	s_and_saveexec_b64 s[42:43], s[4:5]
	s_cbranch_execz .LBB167_53
; %bb.50:                               ;   in Loop: Header=BB167_13 Depth=1
	v_and_b32_e32 v21, 0xffff, v46
	v_and_b32_e32 v47, 0x7f, v21
	v_cmp_ne_u32_e64 s[4:5], s53, v47
	v_mov_b32_e32 v44, 0x7f800001
	s_and_saveexec_b64 s[44:45], s[4:5]
	s_cbranch_execz .LBB167_52
; %bb.51:                               ;   in Loop: Header=BB167_13 Depth=1
	v_and_b32_e32 v44, 7, v21
	v_ffbh_u32_e32 v48, v44
	v_min_u32_e32 v51, 32, v48
	v_subrev_u32_e32 v48, 28, v51
	v_lshlrev_b64 v[48:49], v48, v[21:22]
	v_lshrrev_b32_e32 v50, 3, v47
	v_sub_u32_e32 v21, 29, v51
	v_and_b32_e32 v48, 7, v48
	v_cmp_gt_u32_e64 s[4:5], 8, v47
	v_cndmask_b32_e64 v21, v50, v21, s[4:5]
	v_cndmask_b32_e64 v44, v44, v48, s[4:5]
	v_lshlrev_b32_e32 v46, 24, v46
	v_lshlrev_b32_e32 v44, 20, v44
	v_and_b32_e32 v46, 0x80000000, v46
	v_lshl_add_u32 v21, v21, 23, v36
	v_or3_b32 v44, v46, v21, v44
.LBB167_52:                             ;   in Loop: Header=BB167_13 Depth=1
	s_or_b64 exec, exec, s[44:45]
.LBB167_53:                             ;   in Loop: Header=BB167_13 Depth=1
	s_or_b64 exec, exec, s[42:43]
.LBB167_54:                             ;   in Loop: Header=BB167_13 Depth=1
	s_or_b64 exec, exec, s[40:41]
	global_load_ubyte v48, v[19:20], off offset:384
	v_mov_b32_e32 v46, 0
	v_mov_b32_e32 v47, 0
	s_waitcnt vmcnt(0)
	v_cmp_ne_u16_e64 s[4:5], 0, v48
	s_and_saveexec_b64 s[40:41], s[4:5]
	s_cbranch_execz .LBB167_60
; %bb.55:                               ;   in Loop: Header=BB167_13 Depth=1
	v_cmp_ne_u16_e64 s[4:5], s52, v48
	v_bfrev_b32_e32 v47, 1
	s_and_saveexec_b64 s[42:43], s[4:5]
	s_cbranch_execz .LBB167_59
; %bb.56:                               ;   in Loop: Header=BB167_13 Depth=1
	v_and_b32_e32 v21, 0xffff, v48
	v_and_b32_e32 v49, 0x7f, v21
	v_cmp_ne_u32_e64 s[4:5], s53, v49
	v_mov_b32_e32 v47, 0x7f800001
	s_and_saveexec_b64 s[44:45], s[4:5]
	s_cbranch_execz .LBB167_58
; %bb.57:                               ;   in Loop: Header=BB167_13 Depth=1
	v_and_b32_e32 v47, 7, v21
	v_ffbh_u32_e32 v50, v47
	v_min_u32_e32 v53, 32, v50
	v_subrev_u32_e32 v50, 28, v53
	v_lshlrev_b64 v[50:51], v50, v[21:22]
	v_lshrrev_b32_e32 v52, 3, v49
	v_sub_u32_e32 v21, 29, v53
	v_and_b32_e32 v50, 7, v50
	v_cmp_gt_u32_e64 s[4:5], 8, v49
	v_cndmask_b32_e64 v21, v52, v21, s[4:5]
	v_cndmask_b32_e64 v47, v47, v50, s[4:5]
	v_lshlrev_b32_e32 v48, 24, v48
	v_lshlrev_b32_e32 v47, 20, v47
	v_and_b32_e32 v48, 0x80000000, v48
	v_lshl_add_u32 v21, v21, 23, v36
	v_or3_b32 v47, v48, v21, v47
.LBB167_58:                             ;   in Loop: Header=BB167_13 Depth=1
	s_or_b64 exec, exec, s[44:45]
.LBB167_59:                             ;   in Loop: Header=BB167_13 Depth=1
	s_or_b64 exec, exec, s[42:43]
.LBB167_60:                             ;   in Loop: Header=BB167_13 Depth=1
	s_or_b64 exec, exec, s[40:41]
	global_load_ubyte v48, v[19:20], off offset:392
	s_waitcnt vmcnt(0)
	v_cmp_ne_u16_e64 s[4:5], 0, v48
	s_and_saveexec_b64 s[40:41], s[4:5]
	s_cbranch_execz .LBB167_66
; %bb.61:                               ;   in Loop: Header=BB167_13 Depth=1
	v_cmp_ne_u16_e64 s[4:5], s52, v48
	v_bfrev_b32_e32 v46, 1
	s_and_saveexec_b64 s[42:43], s[4:5]
	s_cbranch_execz .LBB167_65
; %bb.62:                               ;   in Loop: Header=BB167_13 Depth=1
	v_and_b32_e32 v21, 0xffff, v48
	v_and_b32_e32 v49, 0x7f, v21
	v_cmp_ne_u32_e64 s[4:5], s53, v49
	v_mov_b32_e32 v46, 0x7f800001
	s_and_saveexec_b64 s[44:45], s[4:5]
	s_cbranch_execz .LBB167_64
; %bb.63:                               ;   in Loop: Header=BB167_13 Depth=1
	v_and_b32_e32 v46, 7, v21
	v_ffbh_u32_e32 v50, v46
	v_min_u32_e32 v53, 32, v50
	v_subrev_u32_e32 v50, 28, v53
	v_lshlrev_b64 v[50:51], v50, v[21:22]
	v_lshrrev_b32_e32 v52, 3, v49
	v_sub_u32_e32 v21, 29, v53
	v_and_b32_e32 v50, 7, v50
	v_cmp_gt_u32_e64 s[4:5], 8, v49
	v_cndmask_b32_e64 v21, v52, v21, s[4:5]
	v_cndmask_b32_e64 v46, v46, v50, s[4:5]
	v_lshlrev_b32_e32 v48, 24, v48
	v_lshlrev_b32_e32 v46, 20, v46
	v_and_b32_e32 v48, 0x80000000, v48
	v_lshl_add_u32 v21, v21, 23, v36
	v_or3_b32 v46, v48, v21, v46
.LBB167_64:                             ;   in Loop: Header=BB167_13 Depth=1
	s_or_b64 exec, exec, s[44:45]
.LBB167_65:                             ;   in Loop: Header=BB167_13 Depth=1
	s_or_b64 exec, exec, s[42:43]
.LBB167_66:                             ;   in Loop: Header=BB167_13 Depth=1
	s_or_b64 exec, exec, s[40:41]
	global_load_ubyte v50, v[19:20], off offset:512
	v_mov_b32_e32 v48, 0
	v_mov_b32_e32 v49, 0
	s_waitcnt vmcnt(0)
	v_cmp_ne_u16_e64 s[4:5], 0, v50
	s_and_saveexec_b64 s[40:41], s[4:5]
	s_cbranch_execz .LBB167_72
; %bb.67:                               ;   in Loop: Header=BB167_13 Depth=1
	v_cmp_ne_u16_e64 s[4:5], s52, v50
	v_bfrev_b32_e32 v49, 1
	s_and_saveexec_b64 s[42:43], s[4:5]
	s_cbranch_execz .LBB167_71
; %bb.68:                               ;   in Loop: Header=BB167_13 Depth=1
	v_and_b32_e32 v21, 0xffff, v50
	v_and_b32_e32 v51, 0x7f, v21
	v_cmp_ne_u32_e64 s[4:5], s53, v51
	v_mov_b32_e32 v49, 0x7f800001
	s_and_saveexec_b64 s[44:45], s[4:5]
	s_cbranch_execz .LBB167_70
; %bb.69:                               ;   in Loop: Header=BB167_13 Depth=1
	v_and_b32_e32 v49, 7, v21
	v_ffbh_u32_e32 v52, v49
	v_min_u32_e32 v55, 32, v52
	v_subrev_u32_e32 v52, 28, v55
	v_lshlrev_b64 v[52:53], v52, v[21:22]
	v_lshrrev_b32_e32 v54, 3, v51
	v_sub_u32_e32 v21, 29, v55
	v_and_b32_e32 v52, 7, v52
	v_cmp_gt_u32_e64 s[4:5], 8, v51
	v_cndmask_b32_e64 v21, v54, v21, s[4:5]
	v_cndmask_b32_e64 v49, v49, v52, s[4:5]
	v_lshlrev_b32_e32 v50, 24, v50
	v_lshlrev_b32_e32 v49, 20, v49
	v_and_b32_e32 v50, 0x80000000, v50
	v_lshl_add_u32 v21, v21, 23, v36
	v_or3_b32 v49, v50, v21, v49
.LBB167_70:                             ;   in Loop: Header=BB167_13 Depth=1
	s_or_b64 exec, exec, s[44:45]
.LBB167_71:                             ;   in Loop: Header=BB167_13 Depth=1
	s_or_b64 exec, exec, s[42:43]
.LBB167_72:                             ;   in Loop: Header=BB167_13 Depth=1
	s_or_b64 exec, exec, s[40:41]
	global_load_ubyte v50, v[19:20], off offset:520
	s_waitcnt vmcnt(0)
	v_cmp_ne_u16_e64 s[4:5], 0, v50
	s_and_saveexec_b64 s[40:41], s[4:5]
	s_cbranch_execz .LBB167_78
; %bb.73:                               ;   in Loop: Header=BB167_13 Depth=1
	v_cmp_ne_u16_e64 s[4:5], s52, v50
	v_bfrev_b32_e32 v48, 1
	s_and_saveexec_b64 s[42:43], s[4:5]
	s_cbranch_execz .LBB167_77
; %bb.74:                               ;   in Loop: Header=BB167_13 Depth=1
	v_and_b32_e32 v21, 0xffff, v50
	v_and_b32_e32 v51, 0x7f, v21
	v_cmp_ne_u32_e64 s[4:5], s53, v51
	v_mov_b32_e32 v48, 0x7f800001
	s_and_saveexec_b64 s[44:45], s[4:5]
	s_cbranch_execz .LBB167_76
; %bb.75:                               ;   in Loop: Header=BB167_13 Depth=1
	v_and_b32_e32 v48, 7, v21
	v_ffbh_u32_e32 v52, v48
	v_min_u32_e32 v55, 32, v52
	v_subrev_u32_e32 v52, 28, v55
	v_lshlrev_b64 v[52:53], v52, v[21:22]
	v_lshrrev_b32_e32 v54, 3, v51
	v_sub_u32_e32 v21, 29, v55
	v_and_b32_e32 v52, 7, v52
	v_cmp_gt_u32_e64 s[4:5], 8, v51
	v_cndmask_b32_e64 v21, v54, v21, s[4:5]
	v_cndmask_b32_e64 v48, v48, v52, s[4:5]
	v_lshlrev_b32_e32 v50, 24, v50
	v_lshlrev_b32_e32 v48, 20, v48
	v_and_b32_e32 v50, 0x80000000, v50
	v_lshl_add_u32 v21, v21, 23, v36
	v_or3_b32 v48, v50, v21, v48
.LBB167_76:                             ;   in Loop: Header=BB167_13 Depth=1
	s_or_b64 exec, exec, s[44:45]
.LBB167_77:                             ;   in Loop: Header=BB167_13 Depth=1
	s_or_b64 exec, exec, s[42:43]
.LBB167_78:                             ;   in Loop: Header=BB167_13 Depth=1
	s_or_b64 exec, exec, s[40:41]
	global_load_ubyte v52, v[19:20], off offset:640
	v_mov_b32_e32 v50, 0
	v_mov_b32_e32 v51, 0
	s_waitcnt vmcnt(0)
	v_cmp_ne_u16_e64 s[4:5], 0, v52
	s_and_saveexec_b64 s[40:41], s[4:5]
	s_cbranch_execz .LBB167_84
; %bb.79:                               ;   in Loop: Header=BB167_13 Depth=1
	v_cmp_ne_u16_e64 s[4:5], s52, v52
	v_bfrev_b32_e32 v51, 1
	s_and_saveexec_b64 s[42:43], s[4:5]
	s_cbranch_execz .LBB167_83
; %bb.80:                               ;   in Loop: Header=BB167_13 Depth=1
	v_and_b32_e32 v21, 0xffff, v52
	v_and_b32_e32 v53, 0x7f, v21
	v_cmp_ne_u32_e64 s[4:5], s53, v53
	v_mov_b32_e32 v51, 0x7f800001
	s_and_saveexec_b64 s[44:45], s[4:5]
	s_cbranch_execz .LBB167_82
; %bb.81:                               ;   in Loop: Header=BB167_13 Depth=1
	v_and_b32_e32 v51, 7, v21
	v_ffbh_u32_e32 v54, v51
	v_min_u32_e32 v57, 32, v54
	v_subrev_u32_e32 v54, 28, v57
	v_lshlrev_b64 v[54:55], v54, v[21:22]
	v_lshrrev_b32_e32 v56, 3, v53
	v_sub_u32_e32 v21, 29, v57
	v_and_b32_e32 v54, 7, v54
	v_cmp_gt_u32_e64 s[4:5], 8, v53
	v_cndmask_b32_e64 v21, v56, v21, s[4:5]
	v_cndmask_b32_e64 v51, v51, v54, s[4:5]
	v_lshlrev_b32_e32 v52, 24, v52
	v_lshlrev_b32_e32 v51, 20, v51
	v_and_b32_e32 v52, 0x80000000, v52
	v_lshl_add_u32 v21, v21, 23, v36
	v_or3_b32 v51, v52, v21, v51
.LBB167_82:                             ;   in Loop: Header=BB167_13 Depth=1
	s_or_b64 exec, exec, s[44:45]
.LBB167_83:                             ;   in Loop: Header=BB167_13 Depth=1
	s_or_b64 exec, exec, s[42:43]
.LBB167_84:                             ;   in Loop: Header=BB167_13 Depth=1
	s_or_b64 exec, exec, s[40:41]
	global_load_ubyte v52, v[19:20], off offset:648
	s_waitcnt vmcnt(0)
	v_cmp_ne_u16_e64 s[4:5], 0, v52
	s_and_saveexec_b64 s[40:41], s[4:5]
	s_cbranch_execz .LBB167_90
; %bb.85:                               ;   in Loop: Header=BB167_13 Depth=1
	v_cmp_ne_u16_e64 s[4:5], s52, v52
	v_bfrev_b32_e32 v50, 1
	s_and_saveexec_b64 s[42:43], s[4:5]
	s_cbranch_execz .LBB167_89
; %bb.86:                               ;   in Loop: Header=BB167_13 Depth=1
	v_and_b32_e32 v21, 0xffff, v52
	v_and_b32_e32 v53, 0x7f, v21
	v_cmp_ne_u32_e64 s[4:5], s53, v53
	v_mov_b32_e32 v50, 0x7f800001
	s_and_saveexec_b64 s[44:45], s[4:5]
	s_cbranch_execz .LBB167_88
; %bb.87:                               ;   in Loop: Header=BB167_13 Depth=1
	v_and_b32_e32 v50, 7, v21
	v_ffbh_u32_e32 v54, v50
	v_min_u32_e32 v57, 32, v54
	v_subrev_u32_e32 v54, 28, v57
	v_lshlrev_b64 v[54:55], v54, v[21:22]
	v_lshrrev_b32_e32 v56, 3, v53
	v_sub_u32_e32 v21, 29, v57
	v_and_b32_e32 v54, 7, v54
	v_cmp_gt_u32_e64 s[4:5], 8, v53
	v_cndmask_b32_e64 v21, v56, v21, s[4:5]
	v_cndmask_b32_e64 v50, v50, v54, s[4:5]
	v_lshlrev_b32_e32 v52, 24, v52
	v_lshlrev_b32_e32 v50, 20, v50
	v_and_b32_e32 v52, 0x80000000, v52
	v_lshl_add_u32 v21, v21, 23, v36
	v_or3_b32 v50, v52, v21, v50
.LBB167_88:                             ;   in Loop: Header=BB167_13 Depth=1
	s_or_b64 exec, exec, s[44:45]
.LBB167_89:                             ;   in Loop: Header=BB167_13 Depth=1
	s_or_b64 exec, exec, s[42:43]
.LBB167_90:                             ;   in Loop: Header=BB167_13 Depth=1
	s_or_b64 exec, exec, s[40:41]
	global_load_ubyte v54, v[19:20], off offset:768
	v_mov_b32_e32 v52, 0
	v_mov_b32_e32 v53, 0
	s_waitcnt vmcnt(0)
	v_cmp_ne_u16_e64 s[4:5], 0, v54
	s_and_saveexec_b64 s[40:41], s[4:5]
	s_cbranch_execz .LBB167_96
; %bb.91:                               ;   in Loop: Header=BB167_13 Depth=1
	v_cmp_ne_u16_e64 s[4:5], s52, v54
	v_bfrev_b32_e32 v53, 1
	s_and_saveexec_b64 s[42:43], s[4:5]
	s_cbranch_execz .LBB167_95
; %bb.92:                               ;   in Loop: Header=BB167_13 Depth=1
	v_and_b32_e32 v21, 0xffff, v54
	v_and_b32_e32 v55, 0x7f, v21
	v_cmp_ne_u32_e64 s[4:5], s53, v55
	v_mov_b32_e32 v53, 0x7f800001
	s_and_saveexec_b64 s[44:45], s[4:5]
	s_cbranch_execz .LBB167_94
; %bb.93:                               ;   in Loop: Header=BB167_13 Depth=1
	v_and_b32_e32 v53, 7, v21
	v_ffbh_u32_e32 v56, v53
	v_min_u32_e32 v59, 32, v56
	v_subrev_u32_e32 v56, 28, v59
	v_lshlrev_b64 v[56:57], v56, v[21:22]
	v_lshrrev_b32_e32 v58, 3, v55
	v_sub_u32_e32 v21, 29, v59
	v_and_b32_e32 v56, 7, v56
	v_cmp_gt_u32_e64 s[4:5], 8, v55
	v_cndmask_b32_e64 v21, v58, v21, s[4:5]
	v_cndmask_b32_e64 v53, v53, v56, s[4:5]
	v_lshlrev_b32_e32 v54, 24, v54
	v_lshlrev_b32_e32 v53, 20, v53
	v_and_b32_e32 v54, 0x80000000, v54
	v_lshl_add_u32 v21, v21, 23, v36
	v_or3_b32 v53, v54, v21, v53
.LBB167_94:                             ;   in Loop: Header=BB167_13 Depth=1
	s_or_b64 exec, exec, s[44:45]
.LBB167_95:                             ;   in Loop: Header=BB167_13 Depth=1
	s_or_b64 exec, exec, s[42:43]
.LBB167_96:                             ;   in Loop: Header=BB167_13 Depth=1
	s_or_b64 exec, exec, s[40:41]
	global_load_ubyte v54, v[19:20], off offset:776
	s_waitcnt vmcnt(0)
	v_cmp_ne_u16_e64 s[4:5], 0, v54
	s_and_saveexec_b64 s[40:41], s[4:5]
	s_cbranch_execz .LBB167_102
; %bb.97:                               ;   in Loop: Header=BB167_13 Depth=1
	v_cmp_ne_u16_e64 s[4:5], s52, v54
	v_bfrev_b32_e32 v52, 1
	s_and_saveexec_b64 s[42:43], s[4:5]
	s_cbranch_execz .LBB167_101
; %bb.98:                               ;   in Loop: Header=BB167_13 Depth=1
	v_and_b32_e32 v21, 0xffff, v54
	v_and_b32_e32 v55, 0x7f, v21
	v_cmp_ne_u32_e64 s[4:5], s53, v55
	v_mov_b32_e32 v52, 0x7f800001
	s_and_saveexec_b64 s[44:45], s[4:5]
	s_cbranch_execz .LBB167_100
; %bb.99:                               ;   in Loop: Header=BB167_13 Depth=1
	v_and_b32_e32 v52, 7, v21
	v_ffbh_u32_e32 v56, v52
	v_min_u32_e32 v59, 32, v56
	v_subrev_u32_e32 v56, 28, v59
	v_lshlrev_b64 v[56:57], v56, v[21:22]
	v_lshrrev_b32_e32 v58, 3, v55
	v_sub_u32_e32 v21, 29, v59
	v_and_b32_e32 v56, 7, v56
	v_cmp_gt_u32_e64 s[4:5], 8, v55
	v_cndmask_b32_e64 v21, v58, v21, s[4:5]
	v_cndmask_b32_e64 v52, v52, v56, s[4:5]
	v_lshlrev_b32_e32 v54, 24, v54
	v_lshlrev_b32_e32 v52, 20, v52
	v_and_b32_e32 v54, 0x80000000, v54
	v_lshl_add_u32 v21, v21, 23, v36
	v_or3_b32 v52, v54, v21, v52
.LBB167_100:                            ;   in Loop: Header=BB167_13 Depth=1
	s_or_b64 exec, exec, s[44:45]
.LBB167_101:                            ;   in Loop: Header=BB167_13 Depth=1
	s_or_b64 exec, exec, s[42:43]
.LBB167_102:                            ;   in Loop: Header=BB167_13 Depth=1
	s_or_b64 exec, exec, s[40:41]
	global_load_ubyte v21, v[19:20], off offset:896
	v_mov_b32_e32 v20, 0
	s_waitcnt vmcnt(0)
	v_cmp_ne_u16_e64 s[4:5], 0, v21
	s_and_saveexec_b64 s[40:41], s[4:5]
	s_cbranch_execz .LBB167_108
; %bb.103:                              ;   in Loop: Header=BB167_13 Depth=1
	v_cmp_ne_u16_e64 s[4:5], s52, v21
	v_bfrev_b32_e32 v20, 1
	s_and_saveexec_b64 s[42:43], s[4:5]
	s_cbranch_execz .LBB167_107
; %bb.104:                              ;   in Loop: Header=BB167_13 Depth=1
	v_and_b32_e32 v19, 0xffff, v21
	v_and_b32_e32 v54, 0x7f, v19
	v_cmp_ne_u32_e64 s[4:5], s53, v54
	v_mov_b32_e32 v20, 0x7f800001
	s_and_saveexec_b64 s[44:45], s[4:5]
	s_cbranch_execz .LBB167_106
; %bb.105:                              ;   in Loop: Header=BB167_13 Depth=1
	v_and_b32_e32 v55, 7, v19
	v_ffbh_u32_e32 v20, v55
	v_min_u32_e32 v57, 32, v20
	v_subrev_u32_e32 v20, 28, v57
	v_lshlrev_b64 v[19:20], v20, v[19:20]
	v_lshrrev_b32_e32 v56, 3, v54
	v_sub_u32_e32 v20, 29, v57
	v_and_b32_e32 v19, 7, v19
	v_cmp_gt_u32_e64 s[4:5], 8, v54
	v_cndmask_b32_e64 v20, v56, v20, s[4:5]
	v_cndmask_b32_e64 v19, v55, v19, s[4:5]
	v_lshlrev_b32_e32 v21, 24, v21
	v_lshlrev_b32_e32 v19, 20, v19
	v_and_b32_e32 v21, 0x80000000, v21
	v_lshl_add_u32 v20, v20, 23, v36
	v_or3_b32 v20, v21, v20, v19
.LBB167_106:                            ;   in Loop: Header=BB167_13 Depth=1
	s_or_b64 exec, exec, s[44:45]
.LBB167_107:                            ;   in Loop: Header=BB167_13 Depth=1
	s_or_b64 exec, exec, s[42:43]
.LBB167_108:                            ;   in Loop: Header=BB167_13 Depth=1
	s_or_b64 exec, exec, s[40:41]
	s_waitcnt lgkmcnt(0)
	v_mul_f32_e32 v40, s54, v40
	v_mul_f32_e32 v41, s54, v41
	;; [unrolled: 1-line block ×4, first 2 shown]
	v_fmac_f32_e32 v18, v17, v41
	v_mul_f32_e32 v42, s54, v42
	v_fmac_f32_e32 v18, v15, v43
	v_mul_f32_e32 v45, s54, v45
	;; [unrolled: 2-line block ×9, first 2 shown]
	v_mul_f32_e32 v50, s54, v50
	v_and_b32_e32 v52, 64, v37
	v_fmac_f32_e32 v18, v7, v51
	v_mul_f32_e32 v21, s54, v53
	v_add_u32_e32 v52, 64, v52
	v_xor_b32_e32 v53, 4, v37
	v_fmac_f32_e32 v18, v8, v50
	v_cmp_lt_i32_e64 s[4:5], v53, v52
	v_fmac_f32_e32 v18, v5, v21
	v_cndmask_b32_e64 v53, v37, v53, s[4:5]
	v_mul_f32_e32 v20, s54, v20
	v_fmac_f32_e32 v18, v6, v19
	v_lshlrev_b32_e32 v53, 2, v53
	v_fmac_f32_e32 v18, v39, v20
	ds_bpermute_b32 v5, v53, v18
	v_xor_b32_e32 v6, 2, v37
	v_cmp_lt_i32_e64 s[4:5], v6, v52
	v_cndmask_b32_e64 v6, v37, v6, s[4:5]
	v_lshlrev_b32_e32 v6, 2, v6
	s_waitcnt lgkmcnt(0)
	v_add_f32_e32 v5, v18, v5
	ds_bpermute_b32 v6, v6, v5
	v_xor_b32_e32 v7, 1, v37
	v_cmp_lt_i32_e64 s[4:5], v7, v52
	v_cndmask_b32_e64 v7, v37, v7, s[4:5]
	v_lshlrev_b32_e32 v7, 2, v7
	s_waitcnt lgkmcnt(0)
	v_add_f32_e32 v5, v5, v6
	ds_bpermute_b32 v6, v7, v5
	s_and_saveexec_b64 s[40:41], vcc
	s_cbranch_execz .LBB167_11
; %bb.109:                              ;   in Loop: Header=BB167_13 Depth=1
	v_add_u32_e32 v7, v33, v32
	v_cvt_f32_i32_e32 v7, v7
	s_waitcnt lgkmcnt(0)
	v_add_f32_e32 v5, v5, v6
	v_add_u32_e32 v8, v28, v32
	v_cmp_gt_i32_e64 s[4:5], s33, v8
	v_mul_f32_e32 v6, s49, v7
	v_cndmask_b32_e64 v6, 0, v6, s[2:3]
	v_fmac_f32_e32 v6, s37, v5
	v_cndmask_b32_e64 v5, 0, v6, s[4:5]
	ds_write_b32 v34, v5
	v_max_f32_e32 v5, v30, v30
	v_max_f32_e32 v5, v5, v6
	v_cndmask_b32_e64 v30, v30, v5, s[4:5]
	s_branch .LBB167_11
.LBB167_110:
	s_or_b64 exec, exec, s[38:39]
.LBB167_111:
	s_or_b64 exec, exec, s[18:19]
	v_mbcnt_hi_u32_b32 v2, -1, v27
	v_and_b32_e32 v9, 64, v2
	v_add_u32_e32 v3, 64, v9
	v_xor_b32_e32 v1, 32, v2
	v_cmp_lt_i32_e32 vcc, v1, v3
	v_cndmask_b32_e32 v1, v2, v1, vcc
	v_lshlrev_b32_e32 v5, 2, v1
	ds_bpermute_b32 v1, v5, v30
	s_waitcnt lgkmcnt(1)
	v_xor_b32_e32 v6, 16, v2
	v_max_f32_e32 v4, v30, v30
	v_cmp_lt_i32_e32 vcc, v6, v3
	v_xor_b32_e32 v8, 8, v2
	s_waitcnt lgkmcnt(0)
	v_max_f32_e32 v1, v1, v1
	v_max_f32_e32 v1, v4, v1
	v_cndmask_b32_e32 v4, v2, v6, vcc
	v_lshlrev_b32_e32 v7, 2, v4
	ds_bpermute_b32 v4, v7, v1
	v_cmp_lt_i32_e32 vcc, v8, v3
	s_waitcnt lgkmcnt(0)
	v_max_f32_e32 v4, v4, v4
	v_max_f32_e32 v6, v1, v4
	v_cndmask_b32_e32 v1, v2, v8, vcc
	v_lshlrev_b32_e32 v8, 2, v1
	ds_bpermute_b32 v10, v8, v6
	v_and_b32_e32 v1, 63, v0
	v_cmp_eq_u32_e32 vcc, 0, v1
	v_lshlrev_b32_e32 v4, 2, v25
	s_and_saveexec_b64 s[2:3], vcc
	s_cbranch_execz .LBB167_113
; %bb.112:
	s_waitcnt lgkmcnt(0)
	v_max_f32_e32 v10, v10, v10
	v_max_f32_e32 v6, v6, v6
	;; [unrolled: 1-line block ×3, first 2 shown]
	ds_write_b32 v4, v6 offset:480
.LBB167_113:
	s_or_b64 exec, exec, s[2:3]
	v_cmp_gt_u32_e64 s[2:3], 2, v1
	s_waitcnt lgkmcnt(0)
	v_mov_b32_e32 v10, 0xff7fffff
	v_lshlrev_b32_e32 v6, 2, v1
	s_barrier
	s_and_saveexec_b64 s[4:5], s[2:3]
; %bb.114:
	ds_read_b32 v10, v6 offset:480
; %bb.115:
	s_or_b64 exec, exec, s[4:5]
	v_xor_b32_e32 v11, 1, v2
	v_cmp_lt_i32_e64 s[4:5], v11, v3
	v_cndmask_b32_e64 v11, v2, v11, s[4:5]
	v_lshlrev_b32_e32 v27, 2, v11
	s_waitcnt lgkmcnt(0)
	ds_bpermute_b32 v11, v27, v10
	v_max_f32_e32 v10, v10, v10
	v_lshlrev_b32_e32 v9, 2, v9
	s_lshl_b32 s4, s48, 3
	s_min_i32 s23, s4, s33
	s_waitcnt lgkmcnt(0)
	v_max_f32_e32 v11, v11, v11
	v_max_f32_e32 v10, v10, v11
	ds_bpermute_b32 v10, v9, v10
	v_cmp_gt_i32_e64 s[4:5], s23, v0
	v_mov_b32_e32 v9, 0
	s_and_saveexec_b64 s[12:13], s[4:5]
	s_cbranch_execz .LBB167_119
; %bb.116:
	v_mov_b32_e32 v9, 0x1f0
	v_lshl_add_u32 v11, v0, 2, v9
	v_mov_b32_e32 v9, 0
	s_mov_b64 s[18:19], 0
	v_mov_b32_e32 v12, v0
.LBB167_117:                            ; =>This Inner Loop Header: Depth=1
	ds_read_b32 v13, v11
	v_add_u32_e32 v12, 0x80, v12
	v_cmp_le_i32_e64 s[6:7], s23, v12
	s_or_b64 s[18:19], s[6:7], s[18:19]
	s_waitcnt lgkmcnt(0)
	v_sub_f32_e32 v13, v13, v10
	v_mul_f32_e32 v13, 0x3fb8aa3b, v13
	v_exp_f32_e32 v13, v13
	ds_write_b32 v11, v13
	v_add_f32_e32 v9, v9, v13
	v_add_u32_e32 v11, 0x200, v11
	s_andn2_b64 exec, exec, s[18:19]
	s_cbranch_execnz .LBB167_117
; %bb.118:
	s_or_b64 exec, exec, s[18:19]
.LBB167_119:
	s_or_b64 exec, exec, s[12:13]
	ds_bpermute_b32 v5, v5, v9
	s_waitcnt lgkmcnt(0)
	v_add_f32_e32 v5, v9, v5
	ds_bpermute_b32 v7, v7, v5
	s_waitcnt lgkmcnt(0)
	v_add_f32_e32 v5, v5, v7
	ds_bpermute_b32 v7, v8, v5
	v_xor_b32_e32 v8, 4, v2
	v_cmp_lt_i32_e64 s[6:7], v8, v3
	v_cndmask_b32_e64 v8, v2, v8, s[6:7]
	v_lshlrev_b32_e32 v8, 2, v8
	s_waitcnt lgkmcnt(0)
	v_add_f32_e32 v5, v5, v7
	ds_bpermute_b32 v7, v8, v5
	v_xor_b32_e32 v8, 2, v2
	v_cmp_lt_i32_e64 s[6:7], v8, v3
	v_cndmask_b32_e64 v3, v2, v8, s[6:7]
	v_lshlrev_b32_e32 v3, 2, v3
	s_waitcnt lgkmcnt(0)
	v_add_f32_e32 v5, v5, v7
	ds_bpermute_b32 v3, v3, v5
	s_waitcnt lgkmcnt(0)
	v_add_f32_e32 v3, v5, v3
	ds_bpermute_b32 v5, v27, v3
	s_waitcnt lgkmcnt(0)
	v_add_f32_e32 v3, v3, v5
	s_and_saveexec_b64 s[6:7], vcc
; %bb.120:
	ds_write_b32 v4, v3 offset:488
; %bb.121:
	s_or_b64 exec, exec, s[6:7]
	s_waitcnt lgkmcnt(0)
	s_barrier
	s_and_saveexec_b64 s[6:7], s[2:3]
; %bb.122:
	ds_read_b32 v3, v6 offset:488
; %bb.123:
	s_or_b64 exec, exec, s[6:7]
	s_waitcnt lgkmcnt(0)
	ds_bpermute_b32 v4, v27, v3
	v_lshlrev_b32_e32 v2, 2, v2
	v_and_b32_e32 v2, 0x100, v2
	s_waitcnt lgkmcnt(0)
	v_add_f32_e32 v3, v3, v4
	ds_bpermute_b32 v2, v2, v3
	s_and_saveexec_b64 s[2:3], s[4:5]
	s_cbranch_execz .LBB167_126
; %bb.124:
	s_waitcnt lgkmcnt(0)
	v_add_f32_e32 v3, 0x358637bd, v2
	v_div_scale_f32 v2, s[4:5], v3, v3, 1.0
	v_div_scale_f32 v4, vcc, 1.0, v3, 1.0
	s_mov_b64 s[4:5], 0
	v_rcp_f32_e32 v5, v2
	v_fma_f32 v6, -v2, v5, 1.0
	v_fmac_f32_e32 v5, v6, v5
	v_mul_f32_e32 v6, v4, v5
	v_fma_f32 v7, -v2, v6, v4
	v_fmac_f32_e32 v6, v7, v5
	v_fma_f32 v2, -v2, v6, v4
	v_div_fmas_f32 v4, v2, v5, v6
	v_mov_b32_e32 v2, 0x1f0
	v_lshl_add_u32 v2, v0, 2, v2
	v_div_fixup_f32 v3, v4, v3, 1.0
	v_mov_b32_e32 v4, v0
.LBB167_125:                            ; =>This Inner Loop Header: Depth=1
	ds_read_b32 v5, v2
	v_add_u32_e32 v4, 0x80, v4
	v_cmp_le_i32_e32 vcc, s23, v4
	s_or_b64 s[4:5], vcc, s[4:5]
	s_waitcnt lgkmcnt(0)
	v_mul_f32_e32 v5, v3, v5
	ds_write_b32 v2, v5
	v_add_u32_e32 v2, 0x200, v2
	s_andn2_b64 exec, exec, s[4:5]
	s_cbranch_execnz .LBB167_125
.LBB167_126:
	s_or_b64 exec, exec, s[2:3]
	v_lshrrev_b32_e32 v28, 1, v1
	s_waitcnt lgkmcnt(0)
	s_barrier
	s_and_saveexec_b64 s[2:3], s[0:1]
	s_xor_b64 s[0:1], exec, s[2:3]
; %bb.127:
	v_lshrrev_b32_e32 v28, 1, v1
                                        ; implicit-def: $vgpr26
                                        ; implicit-def: $vgpr25
                                        ; implicit-def: $vgpr22
                                        ; implicit-def: $vgpr23
; %bb.128:
	s_or_saveexec_b64 s[4:5], s[0:1]
	v_mov_b32_e32 v32, 0
	v_and_b32_e32 v29, 1, v0
	v_mov_b32_e32 v33, 0
	v_mov_b32_e32 v31, 0
	;; [unrolled: 1-line block ×3, first 2 shown]
	s_xor_b64 exec, exec, s[4:5]
	s_cbranch_execz .LBB167_240
; %bb.129:
	s_sub_i32 s37, s16, s21
	s_ashr_i32 s0, s20, 31
	s_add_u32 s6, s34, s20
	s_addc_u32 s7, s35, s0
	s_abs_i32 s34, s22
	v_cvt_f32_u32_e32 v1, s34
	s_sub_i32 s1, 0, s34
	v_and_b32_e32 v30, 4, v22
	v_or_b32_e32 v2, 0x60, v28
	v_rcp_iflag_f32_e32 v1, v1
	s_movk_i32 s0, 0x78
	v_cmp_gt_u32_e32 vcc, s0, v2
	v_lshl_or_b32 v36, v2, 3, v30
	v_mul_f32_e32 v1, 0x4f7ffffe, v1
	v_cvt_u32_f32_e32 v1, v1
	s_add_i32 s38, s48, -1
	v_and_b32_e32 v3, 60, v23
	v_mov_b32_e32 v5, 0
	v_mul_lo_u32 v4, s1, v1
	s_lshl_b64 s[0:1], s[30:31], 2
	s_add_u32 s0, s28, s0
	s_addc_u32 s1, s29, s1
	v_mul_hi_u32 v2, v1, v4
	s_mov_b32 s35, s17
	v_lshl_or_b32 v34, v28, 3, v30
	s_mov_b64 s[12:13], 0
	v_add_u32_e32 v37, v1, v2
	v_mov_b32_e32 v1, s1
	v_add_co_u32_e64 v7, s[0:1], s0, v3
	v_addc_co_u32_e64 v8, s[0:1], 0, v1, s[0:1]
	v_lshlrev_b32_e32 v1, 4, v29
	v_lshl_or_b32 v1, v25, 5, v1
	v_add_u32_e32 v38, 0x1f0, v1
	s_movk_i32 s30, 0x80
	s_movk_i32 s31, 0x7f
	s_brev_b32 s39, 1
	s_mov_b32 s40, 0xffffff
	v_bfrev_b32_e32 v39, 60
	v_bfrev_b32_e32 v6, 1
	v_mov_b32_e32 v10, 0x7f800001
	v_mov_b32_e32 v40, 7
	;; [unrolled: 1-line block ×7, first 2 shown]
	s_branch .LBB167_133
.LBB167_130:                            ;   in Loop: Header=BB167_133 Depth=1
	s_or_b64 exec, exec, s[2:3]
	v_mul_f32_e32 v13, v1, v13
	v_fmac_f32_e32 v13, v2, v9
	v_fmac_f32_e32 v13, v3, v12
	;; [unrolled: 1-line block ×3, first 2 shown]
	v_add_f32_e32 v35, v35, v13
.LBB167_131:                            ;   in Loop: Header=BB167_133 Depth=1
	s_or_b64 exec, exec, s[18:19]
	v_mul_f32_e32 v9, v1, v50
	v_fmac_f32_e32 v9, v2, v49
	v_fmac_f32_e32 v9, v3, v21
	;; [unrolled: 1-line block ×3, first 2 shown]
	v_add_f32_e32 v31, v31, v9
	v_mul_f32_e32 v9, v1, v48
	v_mul_f32_e32 v1, v1, v45
	v_fmac_f32_e32 v9, v2, v47
	v_fmac_f32_e32 v1, v2, v42
	v_fmac_f32_e32 v9, v3, v23
	v_fmac_f32_e32 v1, v3, v44
	v_fmac_f32_e32 v9, v4, v22
	v_fmac_f32_e32 v1, v4, v43
	v_add_f32_e32 v33, v33, v9
	v_add_f32_e32 v32, v32, v1
.LBB167_132:                            ;   in Loop: Header=BB167_133 Depth=1
	s_or_b64 exec, exec, s[16:17]
	v_add_co_u32_e64 v7, s[0:1], 8, v7
	v_add_u32_e32 v25, 2, v25
	v_addc_co_u32_e64 v8, s[0:1], 0, v8, s[0:1]
	v_cmp_le_i32_e64 s[0:1], s48, v25
	v_add_u32_e32 v26, 16, v26
	s_or_b64 s[12:13], s[0:1], s[12:13]
	v_add_u32_e32 v38, 64, v38
	s_andn2_b64 exec, exec, s[12:13]
	s_cbranch_execz .LBB167_239
.LBB167_133:                            ; =>This Inner Loop Header: Depth=1
	v_mul_hi_u32 v1, v26, s46
	v_mul_lo_u32 v2, v1, s25
	v_add_u32_e32 v3, 1, v1
	v_sub_u32_e32 v2, v26, v2
	v_cmp_le_u32_e64 s[0:1], s25, v2
	v_cndmask_b32_e64 v1, v1, v3, s[0:1]
	v_subrev_u32_e32 v3, s25, v2
	v_cndmask_b32_e64 v2, v2, v3, s[0:1]
	v_add_u32_e32 v3, 1, v1
	v_cmp_le_u32_e64 s[0:1], s25, v2
	v_cndmask_b32_e64 v1, v1, v3, s[0:1]
	v_xor_b32_e32 v1, s47, v1
	v_subrev_u32_e32 v1, s47, v1
	v_add_u32_e32 v2, s36, v1
	v_sub_u32_e32 v3, 0, v2
	v_max_i32_e32 v3, v2, v3
	v_mul_hi_u32 v4, v3, v37
	v_ashrrev_i32_e32 v2, 31, v2
	v_cmp_lt_i32_e64 s[2:3], s37, v1
	v_mul_lo_u32 v4, v4, s34
	v_sub_u32_e32 v3, v3, v4
	v_subrev_u32_e32 v4, s34, v3
	v_cmp_le_u32_e64 s[0:1], s34, v3
	v_cndmask_b32_e64 v3, v3, v4, s[0:1]
	v_subrev_u32_e32 v4, s34, v3
	v_cmp_le_u32_e64 s[0:1], s34, v3
	v_cndmask_b32_e64 v3, v3, v4, s[0:1]
	v_xor_b32_e32 v3, v3, v2
	v_sub_u32_e32 v2, v3, v2
	v_cmp_eq_u32_e64 s[0:1], 0, v2
	s_or_b64 s[0:1], s[0:1], s[2:3]
	s_and_saveexec_b64 s[16:17], s[0:1]
	s_cbranch_execz .LBB167_132
; %bb.134:                              ;   in Loop: Header=BB167_133 Depth=1
	global_load_dword v3, v[7:8], off
	v_mov_b32_e32 v1, s6
	v_mov_b32_e32 v2, s7
	s_load_dword s41, s[14:15], 0x0
	v_mov_b32_e32 v18, 0
	v_mov_b32_e32 v16, 0
	;; [unrolled: 1-line block ×4, first 2 shown]
	s_waitcnt vmcnt(0)
	v_mad_i64_i32 v[11:12], s[0:1], v3, s35, v[1:2]
	ds_read_b128 v[1:4], v38
	v_add_co_u32_e64 v13, s[0:1], v11, v34
	v_addc_co_u32_e64 v14, s[0:1], 0, v12, s[0:1]
	global_load_dword v15, v[13:14], off
	s_waitcnt vmcnt(0)
	v_cmp_ne_u16_sdwa s[0:1], v15, v5 src0_sel:BYTE_0 src1_sel:DWORD
	s_and_saveexec_b64 s[2:3], s[0:1]
	s_cbranch_execz .LBB167_140
; %bb.135:                              ;   in Loop: Header=BB167_133 Depth=1
	v_bfrev_b32_e32 v16, 1
	v_mov_b32_e32 v17, 0
	v_cmp_ne_u16_sdwa s[0:1], v15, s30 src0_sel:BYTE_0 src1_sel:DWORD
	s_and_saveexec_b64 s[18:19], s[0:1]
	s_cbranch_execz .LBB167_139
; %bb.136:                              ;   in Loop: Header=BB167_133 Depth=1
	v_and_b32_e32 v9, 0x7f, v15
	v_mov_b32_e32 v16, 0x7f800001
	v_mov_b32_e32 v17, 0
	v_cmp_ne_u32_e64 s[0:1], s31, v9
	s_and_saveexec_b64 s[20:21], s[0:1]
	s_cbranch_execz .LBB167_138
; %bb.137:                              ;   in Loop: Header=BB167_133 Depth=1
	v_and_b32_e32 v20, 7, v15
	v_ffbh_u32_e32 v16, v20
	v_min_u32_e32 v22, 32, v16
	v_subrev_u32_e32 v16, 28, v22
	v_lshlrev_b64 v[16:17], v16, v[15:16]
	v_lshrrev_b32_e32 v21, 3, v9
	v_sub_u32_e32 v17, 29, v22
	v_and_b32_e32 v16, 7, v16
	v_cmp_gt_u32_e64 s[0:1], 8, v9
	v_cndmask_b32_e64 v9, v21, v17, s[0:1]
	v_cndmask_b32_e64 v16, v20, v16, s[0:1]
	v_lshlrev_b32_e32 v16, 20, v16
	v_and_b32_sdwa v17, sext(v15), s39 dst_sel:DWORD dst_unused:UNUSED_PAD src0_sel:BYTE_0 src1_sel:DWORD
	v_lshl_add_u32 v9, v9, 23, v39
	v_or3_b32 v16, v17, v9, v16
	v_mov_b32_e32 v17, v5
.LBB167_138:                            ;   in Loop: Header=BB167_133 Depth=1
	s_or_b64 exec, exec, s[20:21]
.LBB167_139:                            ;   in Loop: Header=BB167_133 Depth=1
	s_or_b64 exec, exec, s[18:19]
.LBB167_140:                            ;   in Loop: Header=BB167_133 Depth=1
	s_or_b64 exec, exec, s[2:3]
	v_cmp_ne_u16_sdwa s[0:1], v15, v5 src0_sel:BYTE_1 src1_sel:DWORD
	s_and_saveexec_b64 s[2:3], s[0:1]
	s_cbranch_execz .LBB167_146
; %bb.141:                              ;   in Loop: Header=BB167_133 Depth=1
	v_mov_b32_e32 v19, v6
	v_cmp_ne_u16_sdwa s[0:1], v15, s30 src0_sel:BYTE_1 src1_sel:DWORD
	v_mov_b32_e32 v18, v5
	s_and_saveexec_b64 s[18:19], s[0:1]
	s_cbranch_execz .LBB167_145
; %bb.142:                              ;   in Loop: Header=BB167_133 Depth=1
	v_and_b32_sdwa v20, v15, s31 dst_sel:DWORD dst_unused:UNUSED_PAD src0_sel:BYTE_1 src1_sel:DWORD
	v_mov_b32_e32 v9, v5
	v_mov_b32_e32 v19, v10
	v_cmp_ne_u32_e64 s[0:1], s31, v20
	v_mov_b32_e32 v18, v9
	s_and_saveexec_b64 s[20:21], s[0:1]
	s_cbranch_execz .LBB167_144
; %bb.143:                              ;   in Loop: Header=BB167_133 Depth=1
	v_and_b32_sdwa v18, v15, v40 dst_sel:DWORD dst_unused:UNUSED_PAD src0_sel:BYTE_1 src1_sel:DWORD
	v_ffbh_u32_e32 v21, v18
	v_min_u32_e32 v23, 32, v21
	v_mov_b32_e32 v19, v5
	v_subrev_u32_e32 v21, 28, v23
	v_lshlrev_b64 v[21:22], v21, v[18:19]
	v_lshrrev_b32_e32 v9, 3, v20
	v_sub_u32_e32 v19, 29, v23
	v_cmp_gt_u32_e64 s[0:1], 8, v20
	v_and_b32_e32 v21, 7, v21
	v_cndmask_b32_e64 v9, v9, v19, s[0:1]
	v_cndmask_b32_e64 v18, v18, v21, s[0:1]
	v_lshlrev_b32_e32 v19, 16, v15
	v_lshl_add_u32 v9, v9, 23, v39
	v_and_or_b32 v9, v19, s39, v9
	v_lshlrev_b32_e32 v18, 20, v18
	v_or_b32_e32 v19, v9, v18
	v_mov_b32_e32 v18, v5
.LBB167_144:                            ;   in Loop: Header=BB167_133 Depth=1
	s_or_b64 exec, exec, s[20:21]
.LBB167_145:                            ;   in Loop: Header=BB167_133 Depth=1
	s_or_b64 exec, exec, s[18:19]
.LBB167_146:                            ;   in Loop: Header=BB167_133 Depth=1
	s_or_b64 exec, exec, s[2:3]
	v_lshrrev_b32_e32 v9, 16, v15
	v_mov_b32_e32 v22, 0
	v_mov_b32_e32 v20, 0
	;; [unrolled: 1-line block ×4, first 2 shown]
	v_cmp_ne_u16_sdwa s[0:1], v9, v5 src0_sel:BYTE_0 src1_sel:DWORD
	s_and_saveexec_b64 s[2:3], s[0:1]
	s_cbranch_execz .LBB167_152
; %bb.147:                              ;   in Loop: Header=BB167_133 Depth=1
	v_bfrev_b32_e32 v20, 1
	v_mov_b32_e32 v21, 0
	v_cmp_ne_u16_sdwa s[0:1], v9, s30 src0_sel:BYTE_0 src1_sel:DWORD
	s_and_saveexec_b64 s[18:19], s[0:1]
	s_cbranch_execz .LBB167_151
; %bb.148:                              ;   in Loop: Header=BB167_133 Depth=1
	v_bfe_u32 v42, v15, 16, 7
	v_mov_b32_e32 v20, 0x7f800001
	v_mov_b32_e32 v21, 0
	v_cmp_ne_u32_e64 s[0:1], s31, v42
	s_and_saveexec_b64 s[20:21], s[0:1]
	s_cbranch_execz .LBB167_150
; %bb.149:                              ;   in Loop: Header=BB167_133 Depth=1
	v_and_b32_e32 v43, 7, v9
	v_ffbh_u32_e32 v20, v43
	v_min_u32_e32 v45, 32, v20
	v_subrev_u32_e32 v20, 28, v45
	v_lshlrev_b64 v[20:21], v20, v[9:10]
	v_lshrrev_b32_e32 v44, 3, v42
	v_sub_u32_e32 v21, 29, v45
	v_and_b32_e32 v20, 7, v20
	v_cmp_gt_u32_e64 s[0:1], 8, v42
	v_cndmask_b32_e64 v21, v44, v21, s[0:1]
	v_cndmask_b32_e64 v20, v43, v20, s[0:1]
	v_lshlrev_b32_e32 v20, 20, v20
	v_and_b32_sdwa v9, sext(v9), s39 dst_sel:DWORD dst_unused:UNUSED_PAD src0_sel:BYTE_0 src1_sel:DWORD
	v_lshl_add_u32 v21, v21, 23, v39
	v_or3_b32 v20, v9, v21, v20
	v_mov_b32_e32 v21, v5
.LBB167_150:                            ;   in Loop: Header=BB167_133 Depth=1
	s_or_b64 exec, exec, s[20:21]
.LBB167_151:                            ;   in Loop: Header=BB167_133 Depth=1
	s_or_b64 exec, exec, s[18:19]
.LBB167_152:                            ;   in Loop: Header=BB167_133 Depth=1
	s_or_b64 exec, exec, s[2:3]
	v_cmp_lt_u32_e64 s[0:1], s40, v15
	s_and_saveexec_b64 s[2:3], s[0:1]
	s_cbranch_execz .LBB167_158
; %bb.153:                              ;   in Loop: Header=BB167_133 Depth=1
	v_mov_b32_e32 v23, v6
	v_cmp_ne_u32_sdwa s[0:1], v15, s30 src0_sel:BYTE_3 src1_sel:DWORD
	v_mov_b32_e32 v22, v5
	s_and_saveexec_b64 s[18:19], s[0:1]
	s_cbranch_execz .LBB167_157
; %bb.154:                              ;   in Loop: Header=BB167_133 Depth=1
	v_bfe_u32 v42, v15, 24, 7
	v_mov_b32_e32 v9, v5
	v_mov_b32_e32 v23, v10
	v_cmp_ne_u32_e64 s[0:1], s31, v42
	v_mov_b32_e32 v22, v9
	s_and_saveexec_b64 s[20:21], s[0:1]
	s_cbranch_execz .LBB167_156
; %bb.155:                              ;   in Loop: Header=BB167_133 Depth=1
	v_and_b32_sdwa v22, v15, v40 dst_sel:DWORD dst_unused:UNUSED_PAD src0_sel:BYTE_3 src1_sel:DWORD
	v_ffbh_u32_e32 v43, v22
	v_min_u32_e32 v45, 32, v43
	v_mov_b32_e32 v23, v5
	v_subrev_u32_e32 v43, 28, v45
	v_lshlrev_b64 v[43:44], v43, v[22:23]
	v_lshrrev_b32_e32 v9, 3, v42
	v_sub_u32_e32 v23, 29, v45
	v_cmp_gt_u32_e64 s[0:1], 8, v42
	v_and_b32_e32 v43, 7, v43
	v_cndmask_b32_e64 v9, v9, v23, s[0:1]
	v_cndmask_b32_e64 v22, v22, v43, s[0:1]
	v_lshlrev_b32_sdwa v15, v41, v15 dst_sel:DWORD dst_unused:UNUSED_PAD src0_sel:DWORD src1_sel:BYTE_3
	v_lshl_add_u32 v9, v9, 23, v39
	v_and_or_b32 v9, v15, s39, v9
	v_lshlrev_b32_e32 v15, 20, v22
	v_or_b32_e32 v23, v9, v15
	v_mov_b32_e32 v22, v5
.LBB167_156:                            ;   in Loop: Header=BB167_133 Depth=1
	s_or_b64 exec, exec, s[20:21]
.LBB167_157:                            ;   in Loop: Header=BB167_133 Depth=1
	s_or_b64 exec, exec, s[18:19]
.LBB167_158:                            ;   in Loop: Header=BB167_133 Depth=1
	s_or_b64 exec, exec, s[2:3]
	v_or_b32_e32 v9, v19, v17
	v_or_b32_e32 v15, v18, v16
	s_waitcnt lgkmcnt(0)
	v_mul_f32_e32 v42, s41, v9
	v_mul_f32_e32 v45, s41, v15
	v_or_b32_e32 v9, v23, v21
	v_or_b32_e32 v15, v22, v20
	v_add_u32_e32 v46, v30, v26
	v_cmp_eq_u32_e64 s[0:1], s38, v25
	v_mul_f32_e32 v44, s41, v15
	v_mul_f32_e32 v43, s41, v9
	s_and_saveexec_b64 s[18:19], s[0:1]
	s_cbranch_execz .LBB167_160
; %bb.159:                              ;   in Loop: Header=BB167_133 Depth=1
	v_cmp_gt_i32_e64 s[2:3], s33, v46
	v_add_u32_e32 v9, 1, v46
	v_cndmask_b32_e64 v45, 0, v45, s[2:3]
	v_cmp_gt_i32_e64 s[2:3], s33, v9
	v_add_u32_e32 v9, 2, v46
	v_cndmask_b32_e64 v42, 0, v42, s[2:3]
	;; [unrolled: 3-line block ×3, first 2 shown]
	v_cmp_gt_i32_e64 s[2:3], s33, v9
	v_cndmask_b32_e64 v43, 0, v43, s[2:3]
.LBB167_160:                            ;   in Loop: Header=BB167_133 Depth=1
	s_or_b64 exec, exec, s[18:19]
	global_load_dword v15, v[13:14], off offset:256
	v_mov_b32_e32 v18, 0
	v_mov_b32_e32 v16, 0
	;; [unrolled: 1-line block ×4, first 2 shown]
	s_waitcnt vmcnt(0)
	v_cmp_ne_u16_sdwa s[2:3], v15, v5 src0_sel:BYTE_0 src1_sel:DWORD
	s_and_saveexec_b64 s[18:19], s[2:3]
	s_cbranch_execz .LBB167_166
; %bb.161:                              ;   in Loop: Header=BB167_133 Depth=1
	v_bfrev_b32_e32 v16, 1
	v_mov_b32_e32 v17, 0
	v_cmp_ne_u16_sdwa s[2:3], v15, s30 src0_sel:BYTE_0 src1_sel:DWORD
	s_and_saveexec_b64 s[20:21], s[2:3]
	s_cbranch_execz .LBB167_165
; %bb.162:                              ;   in Loop: Header=BB167_133 Depth=1
	v_and_b32_e32 v9, 0x7f, v15
	v_mov_b32_e32 v16, 0x7f800001
	v_mov_b32_e32 v17, 0
	v_cmp_ne_u32_e64 s[2:3], s31, v9
	s_and_saveexec_b64 s[22:23], s[2:3]
	s_cbranch_execz .LBB167_164
; %bb.163:                              ;   in Loop: Header=BB167_133 Depth=1
	v_and_b32_e32 v20, 7, v15
	v_ffbh_u32_e32 v16, v20
	v_min_u32_e32 v22, 32, v16
	v_subrev_u32_e32 v16, 28, v22
	v_lshlrev_b64 v[16:17], v16, v[15:16]
	v_lshrrev_b32_e32 v21, 3, v9
	v_sub_u32_e32 v17, 29, v22
	v_and_b32_e32 v16, 7, v16
	v_cmp_gt_u32_e64 s[2:3], 8, v9
	v_cndmask_b32_e64 v9, v21, v17, s[2:3]
	v_cndmask_b32_e64 v16, v20, v16, s[2:3]
	v_lshlrev_b32_e32 v16, 20, v16
	v_and_b32_sdwa v17, sext(v15), s39 dst_sel:DWORD dst_unused:UNUSED_PAD src0_sel:BYTE_0 src1_sel:DWORD
	v_lshl_add_u32 v9, v9, 23, v39
	v_or3_b32 v16, v17, v9, v16
	v_mov_b32_e32 v17, v5
.LBB167_164:                            ;   in Loop: Header=BB167_133 Depth=1
	s_or_b64 exec, exec, s[22:23]
.LBB167_165:                            ;   in Loop: Header=BB167_133 Depth=1
	s_or_b64 exec, exec, s[20:21]
.LBB167_166:                            ;   in Loop: Header=BB167_133 Depth=1
	s_or_b64 exec, exec, s[18:19]
	v_cmp_ne_u16_sdwa s[2:3], v15, v5 src0_sel:BYTE_1 src1_sel:DWORD
	s_and_saveexec_b64 s[18:19], s[2:3]
	s_cbranch_execz .LBB167_172
; %bb.167:                              ;   in Loop: Header=BB167_133 Depth=1
	v_mov_b32_e32 v19, v6
	v_cmp_ne_u16_sdwa s[2:3], v15, s30 src0_sel:BYTE_1 src1_sel:DWORD
	v_mov_b32_e32 v18, v5
	s_and_saveexec_b64 s[20:21], s[2:3]
	s_cbranch_execz .LBB167_171
; %bb.168:                              ;   in Loop: Header=BB167_133 Depth=1
	v_and_b32_sdwa v20, v15, s31 dst_sel:DWORD dst_unused:UNUSED_PAD src0_sel:BYTE_1 src1_sel:DWORD
	v_mov_b32_e32 v9, v5
	v_mov_b32_e32 v19, v10
	v_cmp_ne_u32_e64 s[2:3], s31, v20
	v_mov_b32_e32 v18, v9
	s_and_saveexec_b64 s[22:23], s[2:3]
	s_cbranch_execz .LBB167_170
; %bb.169:                              ;   in Loop: Header=BB167_133 Depth=1
	v_and_b32_sdwa v18, v15, v40 dst_sel:DWORD dst_unused:UNUSED_PAD src0_sel:BYTE_1 src1_sel:DWORD
	v_ffbh_u32_e32 v21, v18
	v_min_u32_e32 v23, 32, v21
	v_mov_b32_e32 v19, v5
	v_subrev_u32_e32 v21, 28, v23
	v_lshlrev_b64 v[21:22], v21, v[18:19]
	v_lshrrev_b32_e32 v9, 3, v20
	v_sub_u32_e32 v19, 29, v23
	v_cmp_gt_u32_e64 s[2:3], 8, v20
	v_and_b32_e32 v21, 7, v21
	v_cndmask_b32_e64 v9, v9, v19, s[2:3]
	v_cndmask_b32_e64 v18, v18, v21, s[2:3]
	v_lshlrev_b32_e32 v19, 16, v15
	v_lshl_add_u32 v9, v9, 23, v39
	v_and_or_b32 v9, v19, s39, v9
	v_lshlrev_b32_e32 v18, 20, v18
	v_or_b32_e32 v19, v9, v18
	v_mov_b32_e32 v18, v5
.LBB167_170:                            ;   in Loop: Header=BB167_133 Depth=1
	s_or_b64 exec, exec, s[22:23]
.LBB167_171:                            ;   in Loop: Header=BB167_133 Depth=1
	s_or_b64 exec, exec, s[20:21]
.LBB167_172:                            ;   in Loop: Header=BB167_133 Depth=1
	s_or_b64 exec, exec, s[18:19]
	v_lshrrev_b32_e32 v9, 16, v15
	v_mov_b32_e32 v22, 0
	v_mov_b32_e32 v20, 0
	;; [unrolled: 1-line block ×4, first 2 shown]
	v_cmp_ne_u16_sdwa s[2:3], v9, v5 src0_sel:BYTE_0 src1_sel:DWORD
	s_and_saveexec_b64 s[18:19], s[2:3]
	s_cbranch_execz .LBB167_178
; %bb.173:                              ;   in Loop: Header=BB167_133 Depth=1
	v_bfrev_b32_e32 v20, 1
	v_mov_b32_e32 v21, 0
	v_cmp_ne_u16_sdwa s[2:3], v9, s30 src0_sel:BYTE_0 src1_sel:DWORD
	s_and_saveexec_b64 s[20:21], s[2:3]
	s_cbranch_execz .LBB167_177
; %bb.174:                              ;   in Loop: Header=BB167_133 Depth=1
	v_bfe_u32 v47, v15, 16, 7
	v_mov_b32_e32 v20, 0x7f800001
	v_mov_b32_e32 v21, 0
	v_cmp_ne_u32_e64 s[2:3], s31, v47
	s_and_saveexec_b64 s[22:23], s[2:3]
	s_cbranch_execz .LBB167_176
; %bb.175:                              ;   in Loop: Header=BB167_133 Depth=1
	v_and_b32_e32 v48, 7, v9
	v_ffbh_u32_e32 v20, v48
	v_min_u32_e32 v50, 32, v20
	v_subrev_u32_e32 v20, 28, v50
	v_lshlrev_b64 v[20:21], v20, v[9:10]
	v_lshrrev_b32_e32 v49, 3, v47
	v_sub_u32_e32 v21, 29, v50
	v_and_b32_e32 v20, 7, v20
	v_cmp_gt_u32_e64 s[2:3], 8, v47
	v_cndmask_b32_e64 v21, v49, v21, s[2:3]
	v_cndmask_b32_e64 v20, v48, v20, s[2:3]
	v_lshlrev_b32_e32 v20, 20, v20
	v_and_b32_sdwa v9, sext(v9), s39 dst_sel:DWORD dst_unused:UNUSED_PAD src0_sel:BYTE_0 src1_sel:DWORD
	v_lshl_add_u32 v21, v21, 23, v39
	v_or3_b32 v20, v9, v21, v20
	v_mov_b32_e32 v21, v5
.LBB167_176:                            ;   in Loop: Header=BB167_133 Depth=1
	s_or_b64 exec, exec, s[22:23]
.LBB167_177:                            ;   in Loop: Header=BB167_133 Depth=1
	s_or_b64 exec, exec, s[20:21]
.LBB167_178:                            ;   in Loop: Header=BB167_133 Depth=1
	s_or_b64 exec, exec, s[18:19]
	v_cmp_lt_u32_e64 s[2:3], s40, v15
	s_and_saveexec_b64 s[18:19], s[2:3]
	s_cbranch_execz .LBB167_184
; %bb.179:                              ;   in Loop: Header=BB167_133 Depth=1
	v_mov_b32_e32 v23, v6
	v_cmp_ne_u32_sdwa s[2:3], v15, s30 src0_sel:BYTE_3 src1_sel:DWORD
	v_mov_b32_e32 v22, v5
	s_and_saveexec_b64 s[20:21], s[2:3]
	s_cbranch_execz .LBB167_183
; %bb.180:                              ;   in Loop: Header=BB167_133 Depth=1
	v_bfe_u32 v47, v15, 24, 7
	v_mov_b32_e32 v9, v5
	v_mov_b32_e32 v23, v10
	v_cmp_ne_u32_e64 s[2:3], s31, v47
	v_mov_b32_e32 v22, v9
	s_and_saveexec_b64 s[22:23], s[2:3]
	s_cbranch_execz .LBB167_182
; %bb.181:                              ;   in Loop: Header=BB167_133 Depth=1
	v_and_b32_sdwa v22, v15, v40 dst_sel:DWORD dst_unused:UNUSED_PAD src0_sel:BYTE_3 src1_sel:DWORD
	v_ffbh_u32_e32 v48, v22
	v_min_u32_e32 v50, 32, v48
	v_mov_b32_e32 v23, v5
	v_subrev_u32_e32 v48, 28, v50
	v_lshlrev_b64 v[48:49], v48, v[22:23]
	v_lshrrev_b32_e32 v9, 3, v47
	v_sub_u32_e32 v23, 29, v50
	v_cmp_gt_u32_e64 s[2:3], 8, v47
	v_and_b32_e32 v48, 7, v48
	v_cndmask_b32_e64 v9, v9, v23, s[2:3]
	v_cndmask_b32_e64 v22, v22, v48, s[2:3]
	v_lshlrev_b32_sdwa v15, v41, v15 dst_sel:DWORD dst_unused:UNUSED_PAD src0_sel:DWORD src1_sel:BYTE_3
	v_lshl_add_u32 v9, v9, 23, v39
	v_and_or_b32 v9, v15, s39, v9
	v_lshlrev_b32_e32 v15, 20, v22
	v_or_b32_e32 v23, v9, v15
	v_mov_b32_e32 v22, v5
.LBB167_182:                            ;   in Loop: Header=BB167_133 Depth=1
	s_or_b64 exec, exec, s[22:23]
.LBB167_183:                            ;   in Loop: Header=BB167_133 Depth=1
	s_or_b64 exec, exec, s[20:21]
.LBB167_184:                            ;   in Loop: Header=BB167_133 Depth=1
	s_or_b64 exec, exec, s[18:19]
	s_mov_b32 s42, s41
	v_or_b32_e32 v9, v19, v17
	v_or_b32_e32 v15, v18, v16
	v_mul_f32_e32 v47, s42, v9
	v_mul_f32_e32 v48, s41, v15
	v_or_b32_e32 v9, v23, v21
	v_or_b32_e32 v15, v22, v20
	v_mul_f32_e32 v23, s41, v15
	v_mul_f32_e32 v22, s42, v9
	s_and_saveexec_b64 s[18:19], s[0:1]
	s_cbranch_execz .LBB167_186
; %bb.185:                              ;   in Loop: Header=BB167_133 Depth=1
	v_cmp_gt_i32_e64 s[2:3], s33, v46
	v_add_u32_e32 v9, 1, v46
	v_cndmask_b32_e64 v48, 0, v48, s[2:3]
	v_cmp_gt_i32_e64 s[2:3], s33, v9
	v_add_u32_e32 v9, 2, v46
	v_cndmask_b32_e64 v47, 0, v47, s[2:3]
	;; [unrolled: 3-line block ×3, first 2 shown]
	v_cmp_gt_i32_e64 s[2:3], s33, v9
	v_cndmask_b32_e64 v22, 0, v22, s[2:3]
.LBB167_186:                            ;   in Loop: Header=BB167_133 Depth=1
	s_or_b64 exec, exec, s[18:19]
	global_load_dword v13, v[13:14], off offset:512
	v_mov_b32_e32 v16, 0
	v_mov_b32_e32 v14, 0
	;; [unrolled: 1-line block ×4, first 2 shown]
	s_waitcnt vmcnt(0)
	v_cmp_ne_u16_sdwa s[2:3], v13, v5 src0_sel:BYTE_0 src1_sel:DWORD
	s_and_saveexec_b64 s[18:19], s[2:3]
	s_cbranch_execz .LBB167_192
; %bb.187:                              ;   in Loop: Header=BB167_133 Depth=1
	v_bfrev_b32_e32 v14, 1
	v_mov_b32_e32 v15, 0
	v_cmp_ne_u16_sdwa s[2:3], v13, s30 src0_sel:BYTE_0 src1_sel:DWORD
	s_and_saveexec_b64 s[20:21], s[2:3]
	s_cbranch_execz .LBB167_191
; %bb.188:                              ;   in Loop: Header=BB167_133 Depth=1
	v_and_b32_e32 v9, 0x7f, v13
	v_mov_b32_e32 v14, 0x7f800001
	v_mov_b32_e32 v15, 0
	v_cmp_ne_u32_e64 s[2:3], s31, v9
	s_and_saveexec_b64 s[22:23], s[2:3]
	s_cbranch_execz .LBB167_190
; %bb.189:                              ;   in Loop: Header=BB167_133 Depth=1
	v_and_b32_e32 v18, 7, v13
	v_ffbh_u32_e32 v14, v18
	v_min_u32_e32 v20, 32, v14
	v_subrev_u32_e32 v14, 28, v20
	v_lshlrev_b64 v[14:15], v14, v[13:14]
	v_lshrrev_b32_e32 v19, 3, v9
	v_sub_u32_e32 v15, 29, v20
	v_and_b32_e32 v14, 7, v14
	v_cmp_gt_u32_e64 s[2:3], 8, v9
	v_cndmask_b32_e64 v9, v19, v15, s[2:3]
	v_cndmask_b32_e64 v14, v18, v14, s[2:3]
	v_lshlrev_b32_e32 v14, 20, v14
	v_and_b32_sdwa v15, sext(v13), s39 dst_sel:DWORD dst_unused:UNUSED_PAD src0_sel:BYTE_0 src1_sel:DWORD
	v_lshl_add_u32 v9, v9, 23, v39
	v_or3_b32 v14, v15, v9, v14
	v_mov_b32_e32 v15, v5
.LBB167_190:                            ;   in Loop: Header=BB167_133 Depth=1
	s_or_b64 exec, exec, s[22:23]
.LBB167_191:                            ;   in Loop: Header=BB167_133 Depth=1
	s_or_b64 exec, exec, s[20:21]
.LBB167_192:                            ;   in Loop: Header=BB167_133 Depth=1
	s_or_b64 exec, exec, s[18:19]
	v_cmp_ne_u16_sdwa s[2:3], v13, v5 src0_sel:BYTE_1 src1_sel:DWORD
	s_and_saveexec_b64 s[18:19], s[2:3]
	s_cbranch_execz .LBB167_198
; %bb.193:                              ;   in Loop: Header=BB167_133 Depth=1
	v_mov_b32_e32 v17, v6
	v_cmp_ne_u16_sdwa s[2:3], v13, s30 src0_sel:BYTE_1 src1_sel:DWORD
	v_mov_b32_e32 v16, v5
	s_and_saveexec_b64 s[20:21], s[2:3]
	s_cbranch_execz .LBB167_197
; %bb.194:                              ;   in Loop: Header=BB167_133 Depth=1
	v_and_b32_sdwa v18, v13, s31 dst_sel:DWORD dst_unused:UNUSED_PAD src0_sel:BYTE_1 src1_sel:DWORD
	v_mov_b32_e32 v9, v5
	v_mov_b32_e32 v17, v10
	v_cmp_ne_u32_e64 s[2:3], s31, v18
	v_mov_b32_e32 v16, v9
	s_and_saveexec_b64 s[22:23], s[2:3]
	s_cbranch_execz .LBB167_196
; %bb.195:                              ;   in Loop: Header=BB167_133 Depth=1
	v_and_b32_sdwa v16, v13, v40 dst_sel:DWORD dst_unused:UNUSED_PAD src0_sel:BYTE_1 src1_sel:DWORD
	v_ffbh_u32_e32 v19, v16
	v_min_u32_e32 v21, 32, v19
	v_mov_b32_e32 v17, v5
	v_subrev_u32_e32 v19, 28, v21
	v_lshlrev_b64 v[19:20], v19, v[16:17]
	v_lshrrev_b32_e32 v9, 3, v18
	v_sub_u32_e32 v17, 29, v21
	v_cmp_gt_u32_e64 s[2:3], 8, v18
	v_and_b32_e32 v19, 7, v19
	v_cndmask_b32_e64 v9, v9, v17, s[2:3]
	v_cndmask_b32_e64 v16, v16, v19, s[2:3]
	v_lshlrev_b32_e32 v17, 16, v13
	v_lshl_add_u32 v9, v9, 23, v39
	v_and_or_b32 v9, v17, s39, v9
	v_lshlrev_b32_e32 v16, 20, v16
	v_or_b32_e32 v17, v9, v16
	v_mov_b32_e32 v16, v5
.LBB167_196:                            ;   in Loop: Header=BB167_133 Depth=1
	s_or_b64 exec, exec, s[22:23]
.LBB167_197:                            ;   in Loop: Header=BB167_133 Depth=1
	s_or_b64 exec, exec, s[20:21]
.LBB167_198:                            ;   in Loop: Header=BB167_133 Depth=1
	s_or_b64 exec, exec, s[18:19]
	v_lshrrev_b32_e32 v9, 16, v13
	v_mov_b32_e32 v20, 0
	v_mov_b32_e32 v18, 0
	;; [unrolled: 1-line block ×4, first 2 shown]
	v_cmp_ne_u16_sdwa s[2:3], v9, v5 src0_sel:BYTE_0 src1_sel:DWORD
	s_and_saveexec_b64 s[18:19], s[2:3]
	s_cbranch_execz .LBB167_204
; %bb.199:                              ;   in Loop: Header=BB167_133 Depth=1
	v_bfrev_b32_e32 v18, 1
	v_mov_b32_e32 v19, 0
	v_cmp_ne_u16_sdwa s[2:3], v9, s30 src0_sel:BYTE_0 src1_sel:DWORD
	s_and_saveexec_b64 s[20:21], s[2:3]
	s_cbranch_execz .LBB167_203
; %bb.200:                              ;   in Loop: Header=BB167_133 Depth=1
	v_bfe_u32 v49, v13, 16, 7
	v_mov_b32_e32 v18, 0x7f800001
	v_mov_b32_e32 v19, 0
	v_cmp_ne_u32_e64 s[2:3], s31, v49
	s_and_saveexec_b64 s[22:23], s[2:3]
	s_cbranch_execz .LBB167_202
; %bb.201:                              ;   in Loop: Header=BB167_133 Depth=1
	v_and_b32_e32 v50, 7, v9
	v_ffbh_u32_e32 v18, v50
	v_min_u32_e32 v52, 32, v18
	v_subrev_u32_e32 v18, 28, v52
	v_lshlrev_b64 v[18:19], v18, v[9:10]
	v_lshrrev_b32_e32 v51, 3, v49
	v_sub_u32_e32 v19, 29, v52
	v_and_b32_e32 v18, 7, v18
	v_cmp_gt_u32_e64 s[2:3], 8, v49
	v_cndmask_b32_e64 v19, v51, v19, s[2:3]
	v_cndmask_b32_e64 v18, v50, v18, s[2:3]
	v_lshlrev_b32_e32 v18, 20, v18
	v_and_b32_sdwa v9, sext(v9), s39 dst_sel:DWORD dst_unused:UNUSED_PAD src0_sel:BYTE_0 src1_sel:DWORD
	v_lshl_add_u32 v19, v19, 23, v39
	v_or3_b32 v18, v9, v19, v18
	v_mov_b32_e32 v19, v5
.LBB167_202:                            ;   in Loop: Header=BB167_133 Depth=1
	s_or_b64 exec, exec, s[22:23]
.LBB167_203:                            ;   in Loop: Header=BB167_133 Depth=1
	s_or_b64 exec, exec, s[20:21]
.LBB167_204:                            ;   in Loop: Header=BB167_133 Depth=1
	s_or_b64 exec, exec, s[18:19]
	v_cmp_lt_u32_e64 s[2:3], s40, v13
	s_and_saveexec_b64 s[18:19], s[2:3]
	s_cbranch_execz .LBB167_210
; %bb.205:                              ;   in Loop: Header=BB167_133 Depth=1
	v_mov_b32_e32 v21, v6
	v_cmp_ne_u32_sdwa s[2:3], v13, s30 src0_sel:BYTE_3 src1_sel:DWORD
	v_mov_b32_e32 v20, v5
	s_and_saveexec_b64 s[20:21], s[2:3]
	s_cbranch_execz .LBB167_209
; %bb.206:                              ;   in Loop: Header=BB167_133 Depth=1
	v_bfe_u32 v49, v13, 24, 7
	v_mov_b32_e32 v9, v5
	v_mov_b32_e32 v21, v10
	v_cmp_ne_u32_e64 s[2:3], s31, v49
	v_mov_b32_e32 v20, v9
	s_and_saveexec_b64 s[22:23], s[2:3]
	s_cbranch_execz .LBB167_208
; %bb.207:                              ;   in Loop: Header=BB167_133 Depth=1
	v_and_b32_sdwa v20, v13, v40 dst_sel:DWORD dst_unused:UNUSED_PAD src0_sel:BYTE_3 src1_sel:DWORD
	v_ffbh_u32_e32 v50, v20
	v_min_u32_e32 v52, 32, v50
	v_mov_b32_e32 v21, v5
	v_subrev_u32_e32 v50, 28, v52
	v_lshlrev_b64 v[50:51], v50, v[20:21]
	v_lshrrev_b32_e32 v9, 3, v49
	v_sub_u32_e32 v21, 29, v52
	v_cmp_gt_u32_e64 s[2:3], 8, v49
	v_and_b32_e32 v50, 7, v50
	v_cndmask_b32_e64 v9, v9, v21, s[2:3]
	v_cndmask_b32_e64 v20, v20, v50, s[2:3]
	v_lshlrev_b32_sdwa v13, v41, v13 dst_sel:DWORD dst_unused:UNUSED_PAD src0_sel:DWORD src1_sel:BYTE_3
	v_lshl_add_u32 v9, v9, 23, v39
	v_and_or_b32 v9, v13, s39, v9
	v_lshlrev_b32_e32 v13, 20, v20
	v_or_b32_e32 v21, v9, v13
	v_mov_b32_e32 v20, v5
.LBB167_208:                            ;   in Loop: Header=BB167_133 Depth=1
	s_or_b64 exec, exec, s[22:23]
.LBB167_209:                            ;   in Loop: Header=BB167_133 Depth=1
	s_or_b64 exec, exec, s[20:21]
.LBB167_210:                            ;   in Loop: Header=BB167_133 Depth=1
	s_or_b64 exec, exec, s[18:19]
	v_or_b32_e32 v9, v17, v15
	v_or_b32_e32 v13, v16, v14
	v_mul_f32_e32 v49, s42, v9
	v_mul_f32_e32 v50, s41, v13
	v_or_b32_e32 v9, v21, v19
	v_or_b32_e32 v13, v20, v18
	v_mul_f32_e32 v21, s41, v13
	v_mul_f32_e32 v20, s42, v9
	s_and_saveexec_b64 s[18:19], s[0:1]
	s_cbranch_execz .LBB167_212
; %bb.211:                              ;   in Loop: Header=BB167_133 Depth=1
	v_cmp_gt_i32_e64 s[2:3], s33, v46
	v_add_u32_e32 v9, 1, v46
	v_cndmask_b32_e64 v50, 0, v50, s[2:3]
	v_cmp_gt_i32_e64 s[2:3], s33, v9
	v_add_u32_e32 v9, 2, v46
	v_cndmask_b32_e64 v49, 0, v49, s[2:3]
	;; [unrolled: 3-line block ×3, first 2 shown]
	v_cmp_gt_i32_e64 s[2:3], s33, v9
	v_cndmask_b32_e64 v20, 0, v20, s[2:3]
.LBB167_212:                            ;   in Loop: Header=BB167_133 Depth=1
	s_or_b64 exec, exec, s[18:19]
	s_and_saveexec_b64 s[18:19], vcc
	s_cbranch_execz .LBB167_131
; %bb.213:                              ;   in Loop: Header=BB167_133 Depth=1
	v_add_co_u32_e64 v11, s[2:3], v11, v36
	v_addc_co_u32_e64 v12, s[2:3], 0, v12, s[2:3]
	global_load_dword v11, v[11:12], off
	v_mov_b32_e32 v14, 0
	v_mov_b32_e32 v12, 0
	;; [unrolled: 1-line block ×4, first 2 shown]
	s_waitcnt vmcnt(0)
	v_cmp_ne_u16_sdwa s[2:3], v11, v5 src0_sel:BYTE_0 src1_sel:DWORD
	s_and_saveexec_b64 s[20:21], s[2:3]
	s_cbranch_execz .LBB167_219
; %bb.214:                              ;   in Loop: Header=BB167_133 Depth=1
	v_bfrev_b32_e32 v12, 1
	v_mov_b32_e32 v13, 0
	v_cmp_ne_u16_sdwa s[2:3], v11, s30 src0_sel:BYTE_0 src1_sel:DWORD
	s_and_saveexec_b64 s[22:23], s[2:3]
	s_cbranch_execz .LBB167_218
; %bb.215:                              ;   in Loop: Header=BB167_133 Depth=1
	v_and_b32_e32 v9, 0x7f, v11
	v_mov_b32_e32 v12, 0x7f800001
	v_mov_b32_e32 v13, 0
	v_cmp_ne_u32_e64 s[2:3], s31, v9
	s_and_saveexec_b64 s[28:29], s[2:3]
	s_cbranch_execz .LBB167_217
; %bb.216:                              ;   in Loop: Header=BB167_133 Depth=1
	v_and_b32_e32 v16, 7, v11
	v_ffbh_u32_e32 v12, v16
	v_min_u32_e32 v18, 32, v12
	v_subrev_u32_e32 v12, 28, v18
	v_lshlrev_b64 v[12:13], v12, v[11:12]
	v_lshrrev_b32_e32 v17, 3, v9
	v_sub_u32_e32 v13, 29, v18
	v_and_b32_e32 v12, 7, v12
	v_cmp_gt_u32_e64 s[2:3], 8, v9
	v_cndmask_b32_e64 v9, v17, v13, s[2:3]
	v_cndmask_b32_e64 v12, v16, v12, s[2:3]
	v_lshlrev_b32_e32 v12, 20, v12
	v_and_b32_sdwa v13, sext(v11), s39 dst_sel:DWORD dst_unused:UNUSED_PAD src0_sel:BYTE_0 src1_sel:DWORD
	v_lshl_add_u32 v9, v9, 23, v39
	v_or3_b32 v12, v13, v9, v12
	v_mov_b32_e32 v13, v5
.LBB167_217:                            ;   in Loop: Header=BB167_133 Depth=1
	s_or_b64 exec, exec, s[28:29]
.LBB167_218:                            ;   in Loop: Header=BB167_133 Depth=1
	s_or_b64 exec, exec, s[22:23]
.LBB167_219:                            ;   in Loop: Header=BB167_133 Depth=1
	s_or_b64 exec, exec, s[20:21]
	v_cmp_ne_u16_sdwa s[2:3], v11, v5 src0_sel:BYTE_1 src1_sel:DWORD
	s_and_saveexec_b64 s[20:21], s[2:3]
	s_cbranch_execz .LBB167_225
; %bb.220:                              ;   in Loop: Header=BB167_133 Depth=1
	v_mov_b32_e32 v15, v6
	v_cmp_ne_u16_sdwa s[2:3], v11, s30 src0_sel:BYTE_1 src1_sel:DWORD
	v_mov_b32_e32 v14, v5
	s_and_saveexec_b64 s[22:23], s[2:3]
	s_cbranch_execz .LBB167_224
; %bb.221:                              ;   in Loop: Header=BB167_133 Depth=1
	v_and_b32_sdwa v16, v11, s31 dst_sel:DWORD dst_unused:UNUSED_PAD src0_sel:BYTE_1 src1_sel:DWORD
	v_mov_b32_e32 v9, v5
	v_mov_b32_e32 v15, v10
	v_cmp_ne_u32_e64 s[2:3], s31, v16
	v_mov_b32_e32 v14, v9
	s_and_saveexec_b64 s[28:29], s[2:3]
	s_cbranch_execz .LBB167_223
; %bb.222:                              ;   in Loop: Header=BB167_133 Depth=1
	v_and_b32_sdwa v14, v11, v40 dst_sel:DWORD dst_unused:UNUSED_PAD src0_sel:BYTE_1 src1_sel:DWORD
	v_ffbh_u32_e32 v17, v14
	v_min_u32_e32 v19, 32, v17
	v_mov_b32_e32 v15, v5
	v_subrev_u32_e32 v17, 28, v19
	v_lshlrev_b64 v[17:18], v17, v[14:15]
	v_lshrrev_b32_e32 v9, 3, v16
	v_sub_u32_e32 v15, 29, v19
	v_cmp_gt_u32_e64 s[2:3], 8, v16
	v_and_b32_e32 v17, 7, v17
	v_cndmask_b32_e64 v9, v9, v15, s[2:3]
	v_cndmask_b32_e64 v14, v14, v17, s[2:3]
	v_lshlrev_b32_e32 v15, 16, v11
	v_lshl_add_u32 v9, v9, 23, v39
	v_and_or_b32 v9, v15, s39, v9
	v_lshlrev_b32_e32 v14, 20, v14
	v_or_b32_e32 v15, v9, v14
	v_mov_b32_e32 v14, v5
.LBB167_223:                            ;   in Loop: Header=BB167_133 Depth=1
	s_or_b64 exec, exec, s[28:29]
.LBB167_224:                            ;   in Loop: Header=BB167_133 Depth=1
	s_or_b64 exec, exec, s[22:23]
.LBB167_225:                            ;   in Loop: Header=BB167_133 Depth=1
	s_or_b64 exec, exec, s[20:21]
	v_lshrrev_b32_e32 v9, 16, v11
	v_mov_b32_e32 v18, 0
	v_mov_b32_e32 v16, 0
	;; [unrolled: 1-line block ×4, first 2 shown]
	v_cmp_ne_u16_sdwa s[2:3], v9, v5 src0_sel:BYTE_0 src1_sel:DWORD
	s_and_saveexec_b64 s[20:21], s[2:3]
	s_cbranch_execz .LBB167_231
; %bb.226:                              ;   in Loop: Header=BB167_133 Depth=1
	v_bfrev_b32_e32 v16, 1
	v_mov_b32_e32 v17, 0
	v_cmp_ne_u16_sdwa s[2:3], v9, s30 src0_sel:BYTE_0 src1_sel:DWORD
	s_and_saveexec_b64 s[22:23], s[2:3]
	s_cbranch_execz .LBB167_230
; %bb.227:                              ;   in Loop: Header=BB167_133 Depth=1
	v_bfe_u32 v51, v11, 16, 7
	v_mov_b32_e32 v16, 0x7f800001
	v_mov_b32_e32 v17, 0
	v_cmp_ne_u32_e64 s[2:3], s31, v51
	s_and_saveexec_b64 s[28:29], s[2:3]
	s_cbranch_execz .LBB167_229
; %bb.228:                              ;   in Loop: Header=BB167_133 Depth=1
	v_and_b32_e32 v52, 7, v9
	v_ffbh_u32_e32 v16, v52
	v_min_u32_e32 v54, 32, v16
	v_subrev_u32_e32 v16, 28, v54
	v_lshlrev_b64 v[16:17], v16, v[9:10]
	v_lshrrev_b32_e32 v53, 3, v51
	v_sub_u32_e32 v17, 29, v54
	v_and_b32_e32 v16, 7, v16
	v_cmp_gt_u32_e64 s[2:3], 8, v51
	v_cndmask_b32_e64 v17, v53, v17, s[2:3]
	v_cndmask_b32_e64 v16, v52, v16, s[2:3]
	v_lshlrev_b32_e32 v16, 20, v16
	v_and_b32_sdwa v9, sext(v9), s39 dst_sel:DWORD dst_unused:UNUSED_PAD src0_sel:BYTE_0 src1_sel:DWORD
	v_lshl_add_u32 v17, v17, 23, v39
	v_or3_b32 v16, v9, v17, v16
	v_mov_b32_e32 v17, v5
.LBB167_229:                            ;   in Loop: Header=BB167_133 Depth=1
	s_or_b64 exec, exec, s[28:29]
.LBB167_230:                            ;   in Loop: Header=BB167_133 Depth=1
	s_or_b64 exec, exec, s[22:23]
.LBB167_231:                            ;   in Loop: Header=BB167_133 Depth=1
	s_or_b64 exec, exec, s[20:21]
	v_cmp_lt_u32_e64 s[2:3], s40, v11
	s_and_saveexec_b64 s[20:21], s[2:3]
	s_cbranch_execz .LBB167_237
; %bb.232:                              ;   in Loop: Header=BB167_133 Depth=1
	v_mov_b32_e32 v19, v6
	v_cmp_ne_u32_sdwa s[2:3], v11, s30 src0_sel:BYTE_3 src1_sel:DWORD
	v_mov_b32_e32 v18, v5
	s_and_saveexec_b64 s[22:23], s[2:3]
	s_cbranch_execz .LBB167_236
; %bb.233:                              ;   in Loop: Header=BB167_133 Depth=1
	v_bfe_u32 v51, v11, 24, 7
	v_mov_b32_e32 v9, v5
	v_mov_b32_e32 v19, v10
	v_cmp_ne_u32_e64 s[2:3], s31, v51
	v_mov_b32_e32 v18, v9
	s_and_saveexec_b64 s[28:29], s[2:3]
	s_cbranch_execz .LBB167_235
; %bb.234:                              ;   in Loop: Header=BB167_133 Depth=1
	v_and_b32_sdwa v18, v11, v40 dst_sel:DWORD dst_unused:UNUSED_PAD src0_sel:BYTE_3 src1_sel:DWORD
	v_ffbh_u32_e32 v52, v18
	v_min_u32_e32 v54, 32, v52
	v_mov_b32_e32 v19, v5
	v_subrev_u32_e32 v52, 28, v54
	v_lshlrev_b64 v[52:53], v52, v[18:19]
	v_lshrrev_b32_e32 v9, 3, v51
	v_sub_u32_e32 v19, 29, v54
	v_cmp_gt_u32_e64 s[2:3], 8, v51
	v_and_b32_e32 v52, 7, v52
	v_cndmask_b32_e64 v9, v9, v19, s[2:3]
	v_cndmask_b32_e64 v18, v18, v52, s[2:3]
	v_lshlrev_b32_sdwa v11, v41, v11 dst_sel:DWORD dst_unused:UNUSED_PAD src0_sel:DWORD src1_sel:BYTE_3
	v_lshl_add_u32 v9, v9, 23, v39
	v_and_or_b32 v9, v11, s39, v9
	v_lshlrev_b32_e32 v11, 20, v18
	v_or_b32_e32 v19, v9, v11
	v_mov_b32_e32 v18, v5
.LBB167_235:                            ;   in Loop: Header=BB167_133 Depth=1
	s_or_b64 exec, exec, s[28:29]
.LBB167_236:                            ;   in Loop: Header=BB167_133 Depth=1
	s_or_b64 exec, exec, s[22:23]
.LBB167_237:                            ;   in Loop: Header=BB167_133 Depth=1
	s_or_b64 exec, exec, s[20:21]
	v_or_b32_e32 v11, v14, v12
	v_or_b32_e32 v9, v15, v13
	v_mul_f32_e32 v13, s41, v11
	v_or_b32_e32 v11, v19, v17
	v_or_b32_e32 v12, v18, v16
	v_mul_f32_e32 v9, s42, v9
	v_mul_f32_e32 v12, s41, v12
	;; [unrolled: 1-line block ×3, first 2 shown]
	s_and_saveexec_b64 s[2:3], s[0:1]
	s_cbranch_execz .LBB167_130
; %bb.238:                              ;   in Loop: Header=BB167_133 Depth=1
	v_cmp_gt_i32_e64 s[0:1], s33, v46
	v_add_u32_e32 v14, 1, v46
	v_cndmask_b32_e64 v13, 0, v13, s[0:1]
	v_cmp_gt_i32_e64 s[0:1], s33, v14
	v_add_u32_e32 v14, 2, v46
	v_cndmask_b32_e64 v9, 0, v9, s[0:1]
	;; [unrolled: 3-line block ×3, first 2 shown]
	v_cmp_gt_i32_e64 s[0:1], s33, v14
	v_cndmask_b32_e64 v11, 0, v11, s[0:1]
	s_branch .LBB167_130
.LBB167_239:
	s_or_b64 exec, exec, s[12:13]
.LBB167_240:
	s_or_b64 exec, exec, s[4:5]
	ds_bpermute_b32 v2, v27, v33
	ds_bpermute_b32 v5, v27, v31
	;; [unrolled: 1-line block ×4, first 2 shown]
	v_cmp_eq_u32_e32 vcc, 0, v29
	s_waitcnt lgkmcnt(3)
	v_add_f32_e32 v3, v33, v2
	s_waitcnt lgkmcnt(2)
	v_add_f32_e32 v2, v31, v5
	v_and_b32_e32 v5, 0x3c0, v0
	s_waitcnt lgkmcnt(1)
	v_add_f32_e32 v4, v32, v1
	s_waitcnt lgkmcnt(0)
	v_add_f32_e32 v1, v35, v6
	v_cmp_eq_u32_e64 s[0:1], 64, v5
	s_barrier
	s_and_saveexec_b64 s[2:3], s[0:1]
	s_cbranch_execz .LBB167_245
; %bb.241:
	s_and_saveexec_b64 s[0:1], vcc
	s_cbranch_execz .LBB167_243
; %bb.242:
	v_mov_b32_e32 v5, 0x1f0
	v_lshl_add_u32 v5, v28, 2, v5
	ds_write2_b32 v5, v4, v3 offset1:32
	ds_write_b32 v5, v2 offset:256
.LBB167_243:
	s_or_b64 exec, exec, s[0:1]
	v_or_b32_e32 v5, 0x60, v28
	s_movk_i32 s0, 0x78
	v_cmp_gt_u32_e64 s[0:1], s0, v5
	s_and_b64 s[0:1], vcc, s[0:1]
	s_and_b64 exec, exec, s[0:1]
; %bb.244:
	v_mov_b32_e32 v5, 0x1f0
	v_lshl_add_u32 v5, v28, 2, v5
	ds_write_b32 v5, v1 offset:384
.LBB167_245:
	s_or_b64 exec, exec, s[2:3]
	v_cmp_gt_u32_e64 s[0:1], 64, v0
	s_waitcnt lgkmcnt(0)
	s_barrier
	s_and_saveexec_b64 s[4:5], s[0:1]
	s_cbranch_execz .LBB167_255
; %bb.246:
	s_and_saveexec_b64 s[2:3], vcc
	s_cbranch_execz .LBB167_248
; %bb.247:
	v_mov_b32_e32 v0, 0x1f0
	v_lshl_add_u32 v0, v24, 2, v0
	ds_read_b32 v0, v0
	s_waitcnt lgkmcnt(0)
	v_add_f32_e32 v4, v4, v0
.LBB167_248:
	s_or_b64 exec, exec, s[2:3]
	v_or_b32_e32 v0, 32, v24
	s_movk_i32 s6, 0x78
	v_cmp_gt_u32_e64 s[2:3], s6, v0
	s_and_b64 s[12:13], vcc, s[2:3]
	s_and_saveexec_b64 s[2:3], s[12:13]
	s_cbranch_execz .LBB167_250
; %bb.249:
	v_mov_b32_e32 v0, 0x1f0
	v_lshl_add_u32 v0, v24, 2, v0
	ds_read_b32 v0, v0 offset:128
	s_waitcnt lgkmcnt(0)
	v_add_f32_e32 v3, v3, v0
.LBB167_250:
	s_or_b64 exec, exec, s[2:3]
	v_or_b32_e32 v0, 64, v24
	v_cmp_gt_u32_e64 s[2:3], s6, v0
	s_and_b64 s[6:7], vcc, s[2:3]
	s_and_saveexec_b64 s[2:3], s[6:7]
	s_cbranch_execz .LBB167_252
; %bb.251:
	v_mov_b32_e32 v0, 0x1f0
	v_lshl_add_u32 v0, v24, 2, v0
	ds_read_b32 v0, v0 offset:256
	s_waitcnt lgkmcnt(0)
	v_add_f32_e32 v2, v2, v0
.LBB167_252:
	s_or_b64 exec, exec, s[2:3]
	v_or_b32_e32 v0, 0x60, v24
	s_movk_i32 s2, 0x78
	v_cmp_gt_u32_e64 s[2:3], s2, v0
	s_and_b64 s[6:7], vcc, s[2:3]
	s_and_saveexec_b64 s[2:3], s[6:7]
	s_cbranch_execz .LBB167_254
; %bb.253:
	v_mov_b32_e32 v0, 0x1f0
	v_lshl_add_u32 v0, v24, 2, v0
	ds_read_b32 v0, v0 offset:384
	s_waitcnt lgkmcnt(0)
	v_add_f32_e32 v1, v1, v0
.LBB167_254:
	s_or_b64 exec, exec, s[2:3]
.LBB167_255:
	s_or_b64 exec, exec, s[4:5]
	s_barrier
	s_and_saveexec_b64 s[2:3], s[0:1]
	s_cbranch_execz .LBB167_264
; %bb.256:
	s_mul_i32 s0, s10, s11
	s_mul_i32 s0, s0, s9
	s_mulk_i32 s0, 0x78
	s_ashr_i32 s1, s0, 31
	s_lshl_b64 s[0:1], s[0:1], 2
	s_add_u32 s2, s26, s0
	s_mul_i32 s0, s11, s24
	s_addc_u32 s3, s27, s1
	s_ashr_i32 s1, s0, 31
	s_lshl_b64 s[0:1], s[0:1], 2
	s_add_u32 s2, s2, s0
	s_mul_i32 s0, s8, 0x78
	s_addc_u32 s3, s3, s1
	s_ashr_i32 s1, s0, 31
	s_lshl_b64 s[0:1], s[0:1], 2
	s_add_u32 s2, s2, s0
	s_movk_i32 s4, 0x78
	s_addc_u32 s3, s3, s1
	v_lshlrev_b32_e32 v0, 2, v24
	s_and_saveexec_b64 s[0:1], vcc
	s_cbranch_execz .LBB167_258
; %bb.257:
	global_store_dword v0, v4, s[2:3]
.LBB167_258:
	s_or_b64 exec, exec, s[0:1]
	v_or_b32_e32 v4, 32, v24
	v_cmp_gt_u32_e64 s[0:1], s4, v4
	s_and_b64 s[4:5], vcc, s[0:1]
	s_and_saveexec_b64 s[0:1], s[4:5]
	s_cbranch_execz .LBB167_260
; %bb.259:
	global_store_dword v0, v3, s[2:3] offset:128
.LBB167_260:
	s_or_b64 exec, exec, s[0:1]
	v_or_b32_e32 v3, 64, v24
	s_movk_i32 s4, 0x78
	v_cmp_gt_u32_e64 s[0:1], s4, v3
	s_and_b64 s[6:7], vcc, s[0:1]
	s_and_saveexec_b64 s[0:1], s[6:7]
	s_cbranch_execz .LBB167_262
; %bb.261:
	global_store_dword v0, v2, s[2:3] offset:256
.LBB167_262:
	s_or_b64 exec, exec, s[0:1]
	v_or_b32_e32 v2, 0x60, v24
	v_cmp_gt_u32_e64 s[0:1], s4, v2
	s_and_b64 s[0:1], vcc, s[0:1]
	s_and_b64 exec, exec, s[0:1]
	s_cbranch_execz .LBB167_264
; %bb.263:
	global_store_dword v0, v1, s[2:3] offset:384
.LBB167_264:
	s_endpgm
	.section	.rodata,"a",@progbits
	.p2align	6, 0x0
	.amdhsa_kernel _ZN4vllm25paged_attention_v1_kernelIfhLi120ELi8ELi128ELNS_18Fp8KVCacheDataTypeE1ELb1EEEvPT_PKS2_PKT0_S8_ifPKiSA_iPKfiiiSC_SC_iiiii
		.amdhsa_group_segment_fixed_size 496
		.amdhsa_private_segment_fixed_size 0
		.amdhsa_kernarg_size 384
		.amdhsa_user_sgpr_count 6
		.amdhsa_user_sgpr_private_segment_buffer 1
		.amdhsa_user_sgpr_dispatch_ptr 0
		.amdhsa_user_sgpr_queue_ptr 0
		.amdhsa_user_sgpr_kernarg_segment_ptr 1
		.amdhsa_user_sgpr_dispatch_id 0
		.amdhsa_user_sgpr_flat_scratch_init 0
		.amdhsa_user_sgpr_private_segment_size 0
		.amdhsa_uses_dynamic_stack 0
		.amdhsa_system_sgpr_private_segment_wavefront_offset 0
		.amdhsa_system_sgpr_workgroup_id_x 1
		.amdhsa_system_sgpr_workgroup_id_y 1
		.amdhsa_system_sgpr_workgroup_id_z 1
		.amdhsa_system_sgpr_workgroup_info 0
		.amdhsa_system_vgpr_workitem_id 0
		.amdhsa_next_free_vgpr 60
		.amdhsa_next_free_sgpr 55
		.amdhsa_reserve_vcc 1
		.amdhsa_reserve_flat_scratch 0
		.amdhsa_float_round_mode_32 0
		.amdhsa_float_round_mode_16_64 0
		.amdhsa_float_denorm_mode_32 3
		.amdhsa_float_denorm_mode_16_64 3
		.amdhsa_dx10_clamp 1
		.amdhsa_ieee_mode 1
		.amdhsa_fp16_overflow 0
		.amdhsa_exception_fp_ieee_invalid_op 0
		.amdhsa_exception_fp_denorm_src 0
		.amdhsa_exception_fp_ieee_div_zero 0
		.amdhsa_exception_fp_ieee_overflow 0
		.amdhsa_exception_fp_ieee_underflow 0
		.amdhsa_exception_fp_ieee_inexact 0
		.amdhsa_exception_int_div_zero 0
	.end_amdhsa_kernel
	.section	.text._ZN4vllm25paged_attention_v1_kernelIfhLi120ELi8ELi128ELNS_18Fp8KVCacheDataTypeE1ELb1EEEvPT_PKS2_PKT0_S8_ifPKiSA_iPKfiiiSC_SC_iiiii,"axG",@progbits,_ZN4vllm25paged_attention_v1_kernelIfhLi120ELi8ELi128ELNS_18Fp8KVCacheDataTypeE1ELb1EEEvPT_PKS2_PKT0_S8_ifPKiSA_iPKfiiiSC_SC_iiiii,comdat
.Lfunc_end167:
	.size	_ZN4vllm25paged_attention_v1_kernelIfhLi120ELi8ELi128ELNS_18Fp8KVCacheDataTypeE1ELb1EEEvPT_PKS2_PKT0_S8_ifPKiSA_iPKfiiiSC_SC_iiiii, .Lfunc_end167-_ZN4vllm25paged_attention_v1_kernelIfhLi120ELi8ELi128ELNS_18Fp8KVCacheDataTypeE1ELb1EEEvPT_PKS2_PKT0_S8_ifPKiSA_iPKfiiiSC_SC_iiiii
                                        ; -- End function
	.set _ZN4vllm25paged_attention_v1_kernelIfhLi120ELi8ELi128ELNS_18Fp8KVCacheDataTypeE1ELb1EEEvPT_PKS2_PKT0_S8_ifPKiSA_iPKfiiiSC_SC_iiiii.num_vgpr, 60
	.set _ZN4vllm25paged_attention_v1_kernelIfhLi120ELi8ELi128ELNS_18Fp8KVCacheDataTypeE1ELb1EEEvPT_PKS2_PKT0_S8_ifPKiSA_iPKfiiiSC_SC_iiiii.num_agpr, 0
	.set _ZN4vllm25paged_attention_v1_kernelIfhLi120ELi8ELi128ELNS_18Fp8KVCacheDataTypeE1ELb1EEEvPT_PKS2_PKT0_S8_ifPKiSA_iPKfiiiSC_SC_iiiii.numbered_sgpr, 55
	.set _ZN4vllm25paged_attention_v1_kernelIfhLi120ELi8ELi128ELNS_18Fp8KVCacheDataTypeE1ELb1EEEvPT_PKS2_PKT0_S8_ifPKiSA_iPKfiiiSC_SC_iiiii.num_named_barrier, 0
	.set _ZN4vllm25paged_attention_v1_kernelIfhLi120ELi8ELi128ELNS_18Fp8KVCacheDataTypeE1ELb1EEEvPT_PKS2_PKT0_S8_ifPKiSA_iPKfiiiSC_SC_iiiii.private_seg_size, 0
	.set _ZN4vllm25paged_attention_v1_kernelIfhLi120ELi8ELi128ELNS_18Fp8KVCacheDataTypeE1ELb1EEEvPT_PKS2_PKT0_S8_ifPKiSA_iPKfiiiSC_SC_iiiii.uses_vcc, 1
	.set _ZN4vllm25paged_attention_v1_kernelIfhLi120ELi8ELi128ELNS_18Fp8KVCacheDataTypeE1ELb1EEEvPT_PKS2_PKT0_S8_ifPKiSA_iPKfiiiSC_SC_iiiii.uses_flat_scratch, 0
	.set _ZN4vllm25paged_attention_v1_kernelIfhLi120ELi8ELi128ELNS_18Fp8KVCacheDataTypeE1ELb1EEEvPT_PKS2_PKT0_S8_ifPKiSA_iPKfiiiSC_SC_iiiii.has_dyn_sized_stack, 0
	.set _ZN4vllm25paged_attention_v1_kernelIfhLi120ELi8ELi128ELNS_18Fp8KVCacheDataTypeE1ELb1EEEvPT_PKS2_PKT0_S8_ifPKiSA_iPKfiiiSC_SC_iiiii.has_recursion, 0
	.set _ZN4vllm25paged_attention_v1_kernelIfhLi120ELi8ELi128ELNS_18Fp8KVCacheDataTypeE1ELb1EEEvPT_PKS2_PKT0_S8_ifPKiSA_iPKfiiiSC_SC_iiiii.has_indirect_call, 0
	.section	.AMDGPU.csdata,"",@progbits
; Kernel info:
; codeLenInByte = 10572
; TotalNumSgprs: 59
; NumVgprs: 60
; ScratchSize: 0
; MemoryBound: 0
; FloatMode: 240
; IeeeMode: 1
; LDSByteSize: 496 bytes/workgroup (compile time only)
; SGPRBlocks: 7
; VGPRBlocks: 14
; NumSGPRsForWavesPerEU: 59
; NumVGPRsForWavesPerEU: 60
; Occupancy: 4
; WaveLimiterHint : 1
; COMPUTE_PGM_RSRC2:SCRATCH_EN: 0
; COMPUTE_PGM_RSRC2:USER_SGPR: 6
; COMPUTE_PGM_RSRC2:TRAP_HANDLER: 0
; COMPUTE_PGM_RSRC2:TGID_X_EN: 1
; COMPUTE_PGM_RSRC2:TGID_Y_EN: 1
; COMPUTE_PGM_RSRC2:TGID_Z_EN: 1
; COMPUTE_PGM_RSRC2:TIDIG_COMP_CNT: 0
	.section	.text._ZN4vllm25paged_attention_v1_kernelIfhLi128ELi8ELi128ELNS_18Fp8KVCacheDataTypeE1ELb1EEEvPT_PKS2_PKT0_S8_ifPKiSA_iPKfiiiSC_SC_iiiii,"axG",@progbits,_ZN4vllm25paged_attention_v1_kernelIfhLi128ELi8ELi128ELNS_18Fp8KVCacheDataTypeE1ELb1EEEvPT_PKS2_PKT0_S8_ifPKiSA_iPKfiiiSC_SC_iiiii,comdat
	.protected	_ZN4vllm25paged_attention_v1_kernelIfhLi128ELi8ELi128ELNS_18Fp8KVCacheDataTypeE1ELb1EEEvPT_PKS2_PKT0_S8_ifPKiSA_iPKfiiiSC_SC_iiiii ; -- Begin function _ZN4vllm25paged_attention_v1_kernelIfhLi128ELi8ELi128ELNS_18Fp8KVCacheDataTypeE1ELb1EEEvPT_PKS2_PKT0_S8_ifPKiSA_iPKfiiiSC_SC_iiiii
	.globl	_ZN4vllm25paged_attention_v1_kernelIfhLi128ELi8ELi128ELNS_18Fp8KVCacheDataTypeE1ELb1EEEvPT_PKS2_PKT0_S8_ifPKiSA_iPKfiiiSC_SC_iiiii
	.p2align	8
	.type	_ZN4vllm25paged_attention_v1_kernelIfhLi128ELi8ELi128ELNS_18Fp8KVCacheDataTypeE1ELb1EEEvPT_PKS2_PKT0_S8_ifPKiSA_iPKfiiiSC_SC_iiiii,@function
_ZN4vllm25paged_attention_v1_kernelIfhLi128ELi8ELi128ELNS_18Fp8KVCacheDataTypeE1ELb1EEEvPT_PKS2_PKT0_S8_ifPKiSA_iPKfiiiSC_SC_iiiii: ; @_ZN4vllm25paged_attention_v1_kernelIfhLi128ELi8ELi128ELNS_18Fp8KVCacheDataTypeE1ELb1EEEvPT_PKS2_PKT0_S8_ifPKiSA_iPKfiiiSC_SC_iiiii
; %bb.0:
	s_load_dword s9, s[4:5], 0x80
	s_load_dwordx2 s[0:1], s[4:5], 0x30
	s_load_dwordx2 s[36:37], s[4:5], 0x20
	s_mov_b32 s10, s7
	s_ashr_i32 s11, s7, 31
	s_lshl_b64 s[2:3], s[10:11], 2
	s_waitcnt lgkmcnt(0)
	s_add_u32 s0, s0, s2
	s_addc_u32 s1, s1, s3
	s_abs_i32 s2, s36
	v_cvt_f32_u32_e32 v1, s2
	s_sub_i32 s11, 0, s2
	s_abs_i32 s7, s9
	s_xor_b32 s3, s9, s36
	v_rcp_iflag_f32_e32 v1, v1
	s_ashr_i32 s3, s3, 31
	s_mov_b32 s48, 0
	v_mul_f32_e32 v1, 0x4f7ffffe, v1
	v_cvt_u32_f32_e32 v1, v1
	v_readfirstlane_b32 s12, v1
	s_mul_i32 s11, s11, s12
	s_mul_hi_u32 s11, s12, s11
	s_add_i32 s12, s12, s11
	s_mul_hi_u32 s11, s7, s12
	s_mul_i32 s12, s11, s2
	s_sub_i32 s7, s7, s12
	s_add_i32 s12, s11, 1
	s_sub_i32 s13, s7, s2
	s_cmp_ge_u32 s7, s2
	s_cselect_b32 s11, s12, s11
	s_cselect_b32 s7, s13, s7
	s_add_i32 s12, s11, 1
	s_cmp_ge_u32 s7, s2
	s_cselect_b32 s2, s12, s11
	s_xor_b32 s2, s2, s3
	s_sub_i32 s14, s2, s3
	s_abs_i32 s11, s14
	v_cvt_f32_u32_e32 v1, s11
	s_load_dwordx2 s[2:3], s[4:5], 0x40
	s_sub_i32 s7, 0, s11
	s_abs_i32 s12, s6
	v_rcp_iflag_f32_e32 v1, v1
	v_mul_f32_e32 v1, 0x4f7ffffe, v1
	v_cvt_u32_f32_e32 v1, v1
	v_readfirstlane_b32 s13, v1
	s_mul_i32 s7, s7, s13
	s_mul_hi_u32 s7, s13, s7
	s_add_i32 s13, s13, s7
	s_waitcnt lgkmcnt(0)
	s_cmp_eq_u64 s[2:3], 0
	s_mul_hi_u32 s13, s12, s13
	s_cbranch_scc1 .LBB168_2
; %bb.1:
	s_ashr_i32 s7, s6, 31
	s_lshl_b64 s[16:17], s[6:7], 2
	s_add_u32 s2, s2, s16
	s_addc_u32 s3, s3, s17
	s_load_dword s48, s[2:3], 0x0
.LBB168_2:
	s_load_dword s33, s[0:1], 0x0
	s_load_dwordx4 s[16:19], s[4:5], 0x48
	s_movk_i32 s0, 0x80
	s_ashr_i32 s3, s6, 31
	s_ashr_i32 s7, s14, 31
	v_and_b32_e32 v1, 7, v0
	s_lshl_b32 s24, s6, 7
	v_cmp_gt_u32_e32 vcc, s0, v0
	v_lshlrev_b32_e32 v27, 2, v0
	v_lshrrev_b32_e32 v24, 1, v0
	s_and_saveexec_b64 s[0:1], vcc
	s_cbranch_execz .LBB168_4
; %bb.3:
	s_load_dwordx2 s[14:15], s[4:5], 0x8
	s_waitcnt lgkmcnt(0)
	s_mul_i32 s20, s16, s10
	s_ashr_i32 s21, s20, 31
	s_lshl_b64 s[20:21], s[20:21], 2
	v_and_b32_e32 v3, 0x1fc, v24
	s_add_u32 s2, s14, s20
	s_addc_u32 s16, s15, s21
	s_ashr_i32 s25, s24, 31
	s_lshl_b64 s[14:15], s[24:25], 2
	s_add_u32 s14, s2, s14
	s_addc_u32 s15, s16, s15
	global_load_dword v2, v27, s[14:15]
	v_lshl_add_u32 v3, v1, 6, v3
	s_waitcnt vmcnt(0)
	ds_write_b32 v3, v2
.LBB168_4:
	s_or_b64 exec, exec, s[0:1]
	s_mul_i32 s1, s13, s11
	s_sub_i32 s1, s12, s1
	s_xor_b32 s0, s3, s7
	s_add_i32 s3, s13, 1
	s_sub_i32 s7, s1, s11
	s_load_dwordx4 s[20:23], s[4:5], 0x68
	s_load_dword s2, s[4:5], 0x78
	s_cmp_ge_u32 s1, s11
	s_cselect_b32 s3, s3, s13
	s_cselect_b32 s1, s7, s1
	s_add_i32 s7, s3, 1
	s_cmp_ge_u32 s1, s11
	s_cselect_b32 s1, s7, s3
	s_waitcnt lgkmcnt(0)
	s_abs_i32 s25, s23
	v_cvt_f32_u32_e32 v2, s25
	s_xor_b32 s1, s1, s0
	s_sub_i32 s47, s1, s0
	s_sub_i32 s0, 0, s25
	v_rcp_iflag_f32_e32 v2, v2
	s_add_i32 s11, s33, -1
	s_abs_i32 s3, s11
	v_mul_f32_e32 v2, 0x4f7ffffe, v2
	v_cvt_u32_f32_e32 v2, v2
	s_barrier
	v_readfirstlane_b32 s46, v2
	s_mul_i32 s0, s0, s46
	s_mul_hi_u32 s0, s46, s0
	s_add_i32 s46, s46, s0
	s_cmp_lt_i32 s2, 0
	s_mul_hi_u32 s7, s3, s46
	s_cbranch_scc0 .LBB168_6
; %bb.5:
	s_mul_i32 s0, s20, s36
	s_add_i32 s0, s47, s0
	s_mul_i32 s0, s0, s2
	s_sub_i32 s36, 1, s0
	s_mov_b64 s[0:1], 0
	s_branch .LBB168_7
.LBB168_6:
	s_mov_b64 s[0:1], -1
                                        ; implicit-def: $sgpr36
.LBB168_7:
	s_load_dwordx2 s[28:29], s[4:5], 0x28
	s_ashr_i32 s16, s11, 31
	s_andn2_b64 vcc, exec, s[0:1]
	s_ashr_i32 s23, s23, 31
	s_cbranch_vccnz .LBB168_9
; %bb.8:
	s_mul_i32 s0, s9, s20
	s_add_i32 s0, s0, s6
	s_mul_i32 s0, s0, s2
	s_add_i32 s36, s0, 1
.LBB168_9:
	s_load_dword s0, s[4:5], 0x38
	s_load_dwordx2 s[26:27], s[4:5], 0x0
	s_load_dwordx2 s[34:35], s[4:5], 0x18
	s_load_dword s11, s[4:5], 0x88
	s_load_dwordx4 s[12:15], s[4:5], 0x58
	s_mul_i32 s1, s7, s25
	s_waitcnt lgkmcnt(0)
	s_mul_i32 s30, s0, s10
	s_sub_i32 s1, s3, s1
	s_ashr_i32 s31, s30, 31
	s_xor_b32 s0, s16, s23
	s_add_i32 s2, s7, 1
	s_sub_i32 s3, s1, s25
	s_cmp_ge_u32 s1, s25
	s_cselect_b32 s2, s2, s7
	s_cselect_b32 s1, s3, s1
	s_add_i32 s3, s2, 1
	s_cmp_ge_u32 s1, s25
	s_cselect_b32 s1, s3, s2
	s_xor_b32 s1, s1, s0
	s_sub_i32 s16, s1, s0
	s_add_i32 s0, s33, 7
	s_ashr_i32 s1, s0, 31
	s_lshr_b32 s1, s1, 29
	s_add_i32 s0, s0, s1
	s_ashr_i32 s20, s0, 3
	v_lshrrev_b32_e32 v25, 6, v0
	v_cmp_gt_i32_e64 s[0:1], s20, v25
	v_mov_b32_e32 v32, 0xff7fffff
	s_mul_i32 s47, s47, s18
	v_lshrrev_b32_e32 v30, 4, v0
	v_lshlrev_b32_e32 v26, 3, v25
	v_mbcnt_lo_u32_b32 v28, -1, 0
	s_and_saveexec_b64 s[18:19], s[0:1]
	s_cbranch_execz .LBB168_117
; %bb.10:
	s_load_dwordx2 s[2:3], s[4:5], 0x10
	s_sub_i32 s49, s16, s21
	s_ashr_i32 s4, s47, 31
	v_bfe_u32 v29, v0, 3, 3
	v_lshlrev_b32_e32 v3, 4, v29
	s_waitcnt lgkmcnt(0)
	s_add_u32 s5, s2, s47
	s_addc_u32 s4, s3, s4
	s_abs_i32 s50, s22
	v_cvt_f32_u32_e32 v2, s50
	v_mov_b32_e32 v4, s4
	s_sub_i32 s4, 0, s50
	v_cmp_eq_u32_e32 vcc, 0, v1
	v_rcp_iflag_f32_e32 v2, v2
	v_lshlrev_b32_e32 v31, 6, v1
	s_mov_b32 s51, s17
	v_cmp_neq_f32_e64 s[2:3], s48, 0
	v_mul_f32_e32 v2, 0x4f7ffffe, v2
	v_cvt_u32_f32_e32 v2, v2
	v_lshlrev_b32_e32 v34, 3, v25
	v_mov_b32_e32 v37, 0xff7fffff
	s_mov_b64 s[38:39], 0
	v_mul_lo_u32 v5, s4, v2
	v_add_co_u32_e64 v3, s[4:5], s5, v3
	v_addc_co_u32_e64 v4, s[4:5], 0, v4, s[4:5]
	v_add_co_u32_e64 v17, s[4:5], v3, v1
	v_mul_hi_u32 v5, v2, v5
	v_addc_co_u32_e64 v18, s[4:5], 0, v4, s[4:5]
	s_lshl_b64 s[4:5], s[30:31], 2
	s_add_u32 s4, s28, s4
	v_and_b32_e32 v1, 60, v30
	s_addc_u32 s5, s29, s5
	v_add_u32_e32 v33, v2, v5
	v_mov_b32_e32 v2, s5
	v_add_co_u32_e64 v19, s[4:5], s4, v1
	v_subrev_u32_e32 v1, s33, v29
	v_add_u32_e32 v35, 1, v1
	v_lshlrev_b32_e32 v1, 2, v29
	v_lshl_or_b32 v1, v25, 5, v1
	v_addc_co_u32_e64 v20, s[4:5], 0, v2, s[4:5]
	v_add_u32_e32 v36, 0x210, v1
	s_movk_i32 s52, 0x80
	s_movk_i32 s53, 0x7f
	v_bfrev_b32_e32 v38, 60
	v_mbcnt_hi_u32_b32 v39, -1, v28
	v_mov_b32_e32 v32, 0xff7fffff
	v_mov_b32_e32 v40, v25
	s_branch .LBB168_13
.LBB168_11:                             ;   in Loop: Header=BB168_13 Depth=1
	s_or_b64 exec, exec, s[40:41]
.LBB168_12:                             ;   in Loop: Header=BB168_13 Depth=1
	s_or_b64 exec, exec, s[6:7]
	v_add_co_u32_e64 v19, s[4:5], 8, v19
	v_add_u32_e32 v40, 2, v40
	v_addc_co_u32_e64 v20, s[4:5], 0, v20, s[4:5]
	v_cmp_le_i32_e64 s[4:5], s20, v40
	v_add_u32_e32 v34, 16, v34
	s_or_b64 s[38:39], s[4:5], s[38:39]
	v_add_u32_e32 v36, 64, v36
	s_andn2_b64 exec, exec, s[38:39]
	s_cbranch_execz .LBB168_116
.LBB168_13:                             ; =>This Inner Loop Header: Depth=1
	v_mul_hi_u32 v1, v34, s46
	s_waitcnt lgkmcnt(0)
	v_mul_lo_u32 v2, v1, s25
	v_add_u32_e32 v3, 1, v1
	v_sub_u32_e32 v2, v34, v2
	v_cmp_le_u32_e64 s[4:5], s25, v2
	v_cndmask_b32_e64 v1, v1, v3, s[4:5]
	v_subrev_u32_e32 v3, s25, v2
	v_cndmask_b32_e64 v2, v2, v3, s[4:5]
	v_add_u32_e32 v3, 1, v1
	v_cmp_le_u32_e64 s[4:5], s25, v2
	v_cndmask_b32_e64 v1, v1, v3, s[4:5]
	v_xor_b32_e32 v1, s23, v1
	v_subrev_u32_e32 v1, s23, v1
	v_add_u32_e32 v2, s36, v1
	v_sub_u32_e32 v3, 0, v2
	v_max_i32_e32 v3, v2, v3
	v_mul_hi_u32 v4, v3, v33
	v_ashrrev_i32_e32 v2, 31, v2
	v_cmp_ge_i32_e64 s[6:7], s49, v1
	v_mul_lo_u32 v4, v4, s50
	v_sub_u32_e32 v3, v3, v4
	v_subrev_u32_e32 v4, s50, v3
	v_cmp_le_u32_e64 s[4:5], s50, v3
	v_cndmask_b32_e64 v3, v3, v4, s[4:5]
	v_subrev_u32_e32 v4, s50, v3
	v_cmp_le_u32_e64 s[4:5], s50, v3
	v_cndmask_b32_e64 v3, v3, v4, s[4:5]
	v_xor_b32_e32 v3, v3, v2
	v_sub_u32_e32 v2, v3, v2
	v_cmp_ne_u32_e64 s[4:5], 0, v2
	s_and_b64 s[4:5], s[4:5], s[6:7]
	s_and_saveexec_b64 s[6:7], s[4:5]
	s_xor_b64 s[4:5], exec, s[6:7]
	s_cbranch_execz .LBB168_17
; %bb.14:                               ;   in Loop: Header=BB168_13 Depth=1
	s_and_saveexec_b64 s[6:7], vcc
; %bb.15:                               ;   in Loop: Header=BB168_13 Depth=1
	ds_write_b32 v36, v37
; %bb.16:                               ;   in Loop: Header=BB168_13 Depth=1
	s_or_b64 exec, exec, s[6:7]
.LBB168_17:                             ;   in Loop: Header=BB168_13 Depth=1
	s_andn2_saveexec_b64 s[6:7], s[4:5]
	s_cbranch_execz .LBB168_12
; %bb.18:                               ;   in Loop: Header=BB168_13 Depth=1
	global_load_dword v1, v[19:20], off
	v_mov_b32_e32 v42, 0
	v_mov_b32_e32 v41, 0
	s_waitcnt vmcnt(0)
	v_mad_i64_i32 v[21:22], s[4:5], v1, s51, v[17:18]
	global_load_ubyte v43, v[21:22], off
	ds_read_b128 v[13:16], v31
	ds_read_b128 v[9:12], v31 offset:16
	s_load_dword s54, s[12:13], 0x0
	ds_read_b128 v[5:8], v31 offset:32
	ds_read_b128 v[1:4], v31 offset:48
	s_waitcnt vmcnt(0)
	v_cmp_ne_u16_e64 s[4:5], 0, v43
	s_and_saveexec_b64 s[40:41], s[4:5]
	s_cbranch_execz .LBB168_24
; %bb.19:                               ;   in Loop: Header=BB168_13 Depth=1
	v_cmp_ne_u16_e64 s[4:5], s52, v43
	v_bfrev_b32_e32 v41, 1
	s_and_saveexec_b64 s[42:43], s[4:5]
	s_cbranch_execz .LBB168_23
; %bb.20:                               ;   in Loop: Header=BB168_13 Depth=1
	v_and_b32_e32 v23, 0xffff, v43
	v_and_b32_e32 v44, 0x7f, v23
	v_cmp_ne_u32_e64 s[4:5], s53, v44
	v_mov_b32_e32 v41, 0x7f800001
	s_and_saveexec_b64 s[44:45], s[4:5]
	s_cbranch_execz .LBB168_22
; %bb.21:                               ;   in Loop: Header=BB168_13 Depth=1
	v_and_b32_e32 v41, 7, v23
	v_ffbh_u32_e32 v45, v41
	v_min_u32_e32 v48, 32, v45
	v_subrev_u32_e32 v45, 28, v48
	v_lshlrev_b64 v[45:46], v45, v[23:24]
	v_lshrrev_b32_e32 v47, 3, v44
	v_sub_u32_e32 v23, 29, v48
	v_and_b32_e32 v45, 7, v45
	v_cmp_gt_u32_e64 s[4:5], 8, v44
	v_cndmask_b32_e64 v23, v47, v23, s[4:5]
	v_cndmask_b32_e64 v41, v41, v45, s[4:5]
	v_lshlrev_b32_e32 v43, 24, v43
	v_lshlrev_b32_e32 v41, 20, v41
	v_and_b32_e32 v43, 0x80000000, v43
	v_lshl_add_u32 v23, v23, 23, v38
	v_or3_b32 v41, v43, v23, v41
.LBB168_22:                             ;   in Loop: Header=BB168_13 Depth=1
	s_or_b64 exec, exec, s[44:45]
.LBB168_23:                             ;   in Loop: Header=BB168_13 Depth=1
	s_or_b64 exec, exec, s[42:43]
.LBB168_24:                             ;   in Loop: Header=BB168_13 Depth=1
	s_or_b64 exec, exec, s[40:41]
	global_load_ubyte v43, v[21:22], off offset:8
	s_waitcnt vmcnt(0)
	v_cmp_ne_u16_e64 s[4:5], 0, v43
	s_and_saveexec_b64 s[40:41], s[4:5]
	s_cbranch_execz .LBB168_30
; %bb.25:                               ;   in Loop: Header=BB168_13 Depth=1
	v_cmp_ne_u16_e64 s[4:5], s52, v43
	v_bfrev_b32_e32 v42, 1
	s_and_saveexec_b64 s[42:43], s[4:5]
	s_cbranch_execz .LBB168_29
; %bb.26:                               ;   in Loop: Header=BB168_13 Depth=1
	v_and_b32_e32 v23, 0xffff, v43
	v_and_b32_e32 v44, 0x7f, v23
	v_cmp_ne_u32_e64 s[4:5], s53, v44
	v_mov_b32_e32 v42, 0x7f800001
	s_and_saveexec_b64 s[44:45], s[4:5]
	s_cbranch_execz .LBB168_28
; %bb.27:                               ;   in Loop: Header=BB168_13 Depth=1
	v_and_b32_e32 v42, 7, v23
	v_ffbh_u32_e32 v45, v42
	v_min_u32_e32 v48, 32, v45
	v_subrev_u32_e32 v45, 28, v48
	v_lshlrev_b64 v[45:46], v45, v[23:24]
	v_lshrrev_b32_e32 v47, 3, v44
	v_sub_u32_e32 v23, 29, v48
	v_and_b32_e32 v45, 7, v45
	v_cmp_gt_u32_e64 s[4:5], 8, v44
	v_cndmask_b32_e64 v23, v47, v23, s[4:5]
	v_cndmask_b32_e64 v42, v42, v45, s[4:5]
	v_lshlrev_b32_e32 v43, 24, v43
	v_lshlrev_b32_e32 v42, 20, v42
	v_and_b32_e32 v43, 0x80000000, v43
	v_lshl_add_u32 v23, v23, 23, v38
	v_or3_b32 v42, v43, v23, v42
.LBB168_28:                             ;   in Loop: Header=BB168_13 Depth=1
	s_or_b64 exec, exec, s[44:45]
.LBB168_29:                             ;   in Loop: Header=BB168_13 Depth=1
	s_or_b64 exec, exec, s[42:43]
.LBB168_30:                             ;   in Loop: Header=BB168_13 Depth=1
	s_or_b64 exec, exec, s[40:41]
	global_load_ubyte v45, v[21:22], off offset:128
	v_mov_b32_e32 v43, 0
	v_mov_b32_e32 v44, 0
	s_waitcnt vmcnt(0)
	v_cmp_ne_u16_e64 s[4:5], 0, v45
	s_and_saveexec_b64 s[40:41], s[4:5]
	s_cbranch_execz .LBB168_36
; %bb.31:                               ;   in Loop: Header=BB168_13 Depth=1
	v_cmp_ne_u16_e64 s[4:5], s52, v45
	v_bfrev_b32_e32 v44, 1
	s_and_saveexec_b64 s[42:43], s[4:5]
	s_cbranch_execz .LBB168_35
; %bb.32:                               ;   in Loop: Header=BB168_13 Depth=1
	v_and_b32_e32 v23, 0xffff, v45
	v_and_b32_e32 v46, 0x7f, v23
	v_cmp_ne_u32_e64 s[4:5], s53, v46
	v_mov_b32_e32 v44, 0x7f800001
	s_and_saveexec_b64 s[44:45], s[4:5]
	s_cbranch_execz .LBB168_34
; %bb.33:                               ;   in Loop: Header=BB168_13 Depth=1
	v_and_b32_e32 v44, 7, v23
	v_ffbh_u32_e32 v47, v44
	v_min_u32_e32 v50, 32, v47
	v_subrev_u32_e32 v47, 28, v50
	v_lshlrev_b64 v[47:48], v47, v[23:24]
	v_lshrrev_b32_e32 v49, 3, v46
	v_sub_u32_e32 v23, 29, v50
	v_and_b32_e32 v47, 7, v47
	v_cmp_gt_u32_e64 s[4:5], 8, v46
	v_cndmask_b32_e64 v23, v49, v23, s[4:5]
	v_cndmask_b32_e64 v44, v44, v47, s[4:5]
	v_lshlrev_b32_e32 v45, 24, v45
	v_lshlrev_b32_e32 v44, 20, v44
	v_and_b32_e32 v45, 0x80000000, v45
	v_lshl_add_u32 v23, v23, 23, v38
	v_or3_b32 v44, v45, v23, v44
.LBB168_34:                             ;   in Loop: Header=BB168_13 Depth=1
	s_or_b64 exec, exec, s[44:45]
.LBB168_35:                             ;   in Loop: Header=BB168_13 Depth=1
	s_or_b64 exec, exec, s[42:43]
.LBB168_36:                             ;   in Loop: Header=BB168_13 Depth=1
	s_or_b64 exec, exec, s[40:41]
	global_load_ubyte v45, v[21:22], off offset:136
	s_waitcnt vmcnt(0)
	v_cmp_ne_u16_e64 s[4:5], 0, v45
	s_and_saveexec_b64 s[40:41], s[4:5]
	s_cbranch_execz .LBB168_42
; %bb.37:                               ;   in Loop: Header=BB168_13 Depth=1
	v_cmp_ne_u16_e64 s[4:5], s52, v45
	v_bfrev_b32_e32 v43, 1
	s_and_saveexec_b64 s[42:43], s[4:5]
	s_cbranch_execz .LBB168_41
; %bb.38:                               ;   in Loop: Header=BB168_13 Depth=1
	v_and_b32_e32 v23, 0xffff, v45
	v_and_b32_e32 v46, 0x7f, v23
	v_cmp_ne_u32_e64 s[4:5], s53, v46
	v_mov_b32_e32 v43, 0x7f800001
	s_and_saveexec_b64 s[44:45], s[4:5]
	s_cbranch_execz .LBB168_40
; %bb.39:                               ;   in Loop: Header=BB168_13 Depth=1
	v_and_b32_e32 v43, 7, v23
	v_ffbh_u32_e32 v47, v43
	v_min_u32_e32 v50, 32, v47
	v_subrev_u32_e32 v47, 28, v50
	v_lshlrev_b64 v[47:48], v47, v[23:24]
	v_lshrrev_b32_e32 v49, 3, v46
	v_sub_u32_e32 v23, 29, v50
	v_and_b32_e32 v47, 7, v47
	v_cmp_gt_u32_e64 s[4:5], 8, v46
	v_cndmask_b32_e64 v23, v49, v23, s[4:5]
	v_cndmask_b32_e64 v43, v43, v47, s[4:5]
	v_lshlrev_b32_e32 v45, 24, v45
	v_lshlrev_b32_e32 v43, 20, v43
	v_and_b32_e32 v45, 0x80000000, v45
	v_lshl_add_u32 v23, v23, 23, v38
	v_or3_b32 v43, v45, v23, v43
.LBB168_40:                             ;   in Loop: Header=BB168_13 Depth=1
	s_or_b64 exec, exec, s[44:45]
.LBB168_41:                             ;   in Loop: Header=BB168_13 Depth=1
	s_or_b64 exec, exec, s[42:43]
.LBB168_42:                             ;   in Loop: Header=BB168_13 Depth=1
	s_or_b64 exec, exec, s[40:41]
	global_load_ubyte v47, v[21:22], off offset:256
	v_mov_b32_e32 v45, 0
	v_mov_b32_e32 v46, 0
	s_waitcnt vmcnt(0)
	v_cmp_ne_u16_e64 s[4:5], 0, v47
	s_and_saveexec_b64 s[40:41], s[4:5]
	s_cbranch_execz .LBB168_48
; %bb.43:                               ;   in Loop: Header=BB168_13 Depth=1
	v_cmp_ne_u16_e64 s[4:5], s52, v47
	v_bfrev_b32_e32 v46, 1
	s_and_saveexec_b64 s[42:43], s[4:5]
	s_cbranch_execz .LBB168_47
; %bb.44:                               ;   in Loop: Header=BB168_13 Depth=1
	v_and_b32_e32 v23, 0xffff, v47
	v_and_b32_e32 v48, 0x7f, v23
	v_cmp_ne_u32_e64 s[4:5], s53, v48
	v_mov_b32_e32 v46, 0x7f800001
	s_and_saveexec_b64 s[44:45], s[4:5]
	s_cbranch_execz .LBB168_46
; %bb.45:                               ;   in Loop: Header=BB168_13 Depth=1
	v_and_b32_e32 v46, 7, v23
	v_ffbh_u32_e32 v49, v46
	v_min_u32_e32 v52, 32, v49
	v_subrev_u32_e32 v49, 28, v52
	v_lshlrev_b64 v[49:50], v49, v[23:24]
	v_lshrrev_b32_e32 v51, 3, v48
	v_sub_u32_e32 v23, 29, v52
	v_and_b32_e32 v49, 7, v49
	v_cmp_gt_u32_e64 s[4:5], 8, v48
	v_cndmask_b32_e64 v23, v51, v23, s[4:5]
	v_cndmask_b32_e64 v46, v46, v49, s[4:5]
	v_lshlrev_b32_e32 v47, 24, v47
	v_lshlrev_b32_e32 v46, 20, v46
	v_and_b32_e32 v47, 0x80000000, v47
	v_lshl_add_u32 v23, v23, 23, v38
	v_or3_b32 v46, v47, v23, v46
.LBB168_46:                             ;   in Loop: Header=BB168_13 Depth=1
	s_or_b64 exec, exec, s[44:45]
.LBB168_47:                             ;   in Loop: Header=BB168_13 Depth=1
	s_or_b64 exec, exec, s[42:43]
.LBB168_48:                             ;   in Loop: Header=BB168_13 Depth=1
	s_or_b64 exec, exec, s[40:41]
	global_load_ubyte v47, v[21:22], off offset:264
	s_waitcnt vmcnt(0)
	v_cmp_ne_u16_e64 s[4:5], 0, v47
	s_and_saveexec_b64 s[40:41], s[4:5]
	s_cbranch_execz .LBB168_54
; %bb.49:                               ;   in Loop: Header=BB168_13 Depth=1
	v_cmp_ne_u16_e64 s[4:5], s52, v47
	v_bfrev_b32_e32 v45, 1
	s_and_saveexec_b64 s[42:43], s[4:5]
	s_cbranch_execz .LBB168_53
; %bb.50:                               ;   in Loop: Header=BB168_13 Depth=1
	v_and_b32_e32 v23, 0xffff, v47
	v_and_b32_e32 v48, 0x7f, v23
	v_cmp_ne_u32_e64 s[4:5], s53, v48
	v_mov_b32_e32 v45, 0x7f800001
	s_and_saveexec_b64 s[44:45], s[4:5]
	s_cbranch_execz .LBB168_52
; %bb.51:                               ;   in Loop: Header=BB168_13 Depth=1
	v_and_b32_e32 v45, 7, v23
	v_ffbh_u32_e32 v49, v45
	v_min_u32_e32 v52, 32, v49
	v_subrev_u32_e32 v49, 28, v52
	v_lshlrev_b64 v[49:50], v49, v[23:24]
	v_lshrrev_b32_e32 v51, 3, v48
	v_sub_u32_e32 v23, 29, v52
	v_and_b32_e32 v49, 7, v49
	v_cmp_gt_u32_e64 s[4:5], 8, v48
	v_cndmask_b32_e64 v23, v51, v23, s[4:5]
	v_cndmask_b32_e64 v45, v45, v49, s[4:5]
	v_lshlrev_b32_e32 v47, 24, v47
	v_lshlrev_b32_e32 v45, 20, v45
	v_and_b32_e32 v47, 0x80000000, v47
	v_lshl_add_u32 v23, v23, 23, v38
	v_or3_b32 v45, v47, v23, v45
.LBB168_52:                             ;   in Loop: Header=BB168_13 Depth=1
	s_or_b64 exec, exec, s[44:45]
.LBB168_53:                             ;   in Loop: Header=BB168_13 Depth=1
	s_or_b64 exec, exec, s[42:43]
.LBB168_54:                             ;   in Loop: Header=BB168_13 Depth=1
	s_or_b64 exec, exec, s[40:41]
	global_load_ubyte v49, v[21:22], off offset:384
	v_mov_b32_e32 v47, 0
	v_mov_b32_e32 v48, 0
	s_waitcnt vmcnt(0)
	v_cmp_ne_u16_e64 s[4:5], 0, v49
	s_and_saveexec_b64 s[40:41], s[4:5]
	s_cbranch_execz .LBB168_60
; %bb.55:                               ;   in Loop: Header=BB168_13 Depth=1
	v_cmp_ne_u16_e64 s[4:5], s52, v49
	v_bfrev_b32_e32 v48, 1
	s_and_saveexec_b64 s[42:43], s[4:5]
	s_cbranch_execz .LBB168_59
; %bb.56:                               ;   in Loop: Header=BB168_13 Depth=1
	v_and_b32_e32 v23, 0xffff, v49
	v_and_b32_e32 v50, 0x7f, v23
	v_cmp_ne_u32_e64 s[4:5], s53, v50
	v_mov_b32_e32 v48, 0x7f800001
	s_and_saveexec_b64 s[44:45], s[4:5]
	s_cbranch_execz .LBB168_58
; %bb.57:                               ;   in Loop: Header=BB168_13 Depth=1
	v_and_b32_e32 v48, 7, v23
	v_ffbh_u32_e32 v51, v48
	v_min_u32_e32 v54, 32, v51
	v_subrev_u32_e32 v51, 28, v54
	v_lshlrev_b64 v[51:52], v51, v[23:24]
	v_lshrrev_b32_e32 v53, 3, v50
	v_sub_u32_e32 v23, 29, v54
	v_and_b32_e32 v51, 7, v51
	v_cmp_gt_u32_e64 s[4:5], 8, v50
	v_cndmask_b32_e64 v23, v53, v23, s[4:5]
	v_cndmask_b32_e64 v48, v48, v51, s[4:5]
	v_lshlrev_b32_e32 v49, 24, v49
	v_lshlrev_b32_e32 v48, 20, v48
	v_and_b32_e32 v49, 0x80000000, v49
	v_lshl_add_u32 v23, v23, 23, v38
	v_or3_b32 v48, v49, v23, v48
.LBB168_58:                             ;   in Loop: Header=BB168_13 Depth=1
	s_or_b64 exec, exec, s[44:45]
.LBB168_59:                             ;   in Loop: Header=BB168_13 Depth=1
	s_or_b64 exec, exec, s[42:43]
.LBB168_60:                             ;   in Loop: Header=BB168_13 Depth=1
	s_or_b64 exec, exec, s[40:41]
	global_load_ubyte v49, v[21:22], off offset:392
	s_waitcnt vmcnt(0)
	v_cmp_ne_u16_e64 s[4:5], 0, v49
	s_and_saveexec_b64 s[40:41], s[4:5]
	s_cbranch_execz .LBB168_66
; %bb.61:                               ;   in Loop: Header=BB168_13 Depth=1
	v_cmp_ne_u16_e64 s[4:5], s52, v49
	v_bfrev_b32_e32 v47, 1
	s_and_saveexec_b64 s[42:43], s[4:5]
	s_cbranch_execz .LBB168_65
; %bb.62:                               ;   in Loop: Header=BB168_13 Depth=1
	v_and_b32_e32 v23, 0xffff, v49
	v_and_b32_e32 v50, 0x7f, v23
	v_cmp_ne_u32_e64 s[4:5], s53, v50
	v_mov_b32_e32 v47, 0x7f800001
	s_and_saveexec_b64 s[44:45], s[4:5]
	s_cbranch_execz .LBB168_64
; %bb.63:                               ;   in Loop: Header=BB168_13 Depth=1
	v_and_b32_e32 v47, 7, v23
	v_ffbh_u32_e32 v51, v47
	v_min_u32_e32 v54, 32, v51
	v_subrev_u32_e32 v51, 28, v54
	v_lshlrev_b64 v[51:52], v51, v[23:24]
	v_lshrrev_b32_e32 v53, 3, v50
	v_sub_u32_e32 v23, 29, v54
	v_and_b32_e32 v51, 7, v51
	v_cmp_gt_u32_e64 s[4:5], 8, v50
	v_cndmask_b32_e64 v23, v53, v23, s[4:5]
	v_cndmask_b32_e64 v47, v47, v51, s[4:5]
	v_lshlrev_b32_e32 v49, 24, v49
	v_lshlrev_b32_e32 v47, 20, v47
	v_and_b32_e32 v49, 0x80000000, v49
	v_lshl_add_u32 v23, v23, 23, v38
	v_or3_b32 v47, v49, v23, v47
.LBB168_64:                             ;   in Loop: Header=BB168_13 Depth=1
	s_or_b64 exec, exec, s[44:45]
.LBB168_65:                             ;   in Loop: Header=BB168_13 Depth=1
	s_or_b64 exec, exec, s[42:43]
.LBB168_66:                             ;   in Loop: Header=BB168_13 Depth=1
	s_or_b64 exec, exec, s[40:41]
	global_load_ubyte v51, v[21:22], off offset:512
	v_mov_b32_e32 v49, 0
	v_mov_b32_e32 v50, 0
	s_waitcnt vmcnt(0)
	v_cmp_ne_u16_e64 s[4:5], 0, v51
	s_and_saveexec_b64 s[40:41], s[4:5]
	s_cbranch_execz .LBB168_72
; %bb.67:                               ;   in Loop: Header=BB168_13 Depth=1
	v_cmp_ne_u16_e64 s[4:5], s52, v51
	v_bfrev_b32_e32 v50, 1
	s_and_saveexec_b64 s[42:43], s[4:5]
	s_cbranch_execz .LBB168_71
; %bb.68:                               ;   in Loop: Header=BB168_13 Depth=1
	v_and_b32_e32 v23, 0xffff, v51
	v_and_b32_e32 v52, 0x7f, v23
	v_cmp_ne_u32_e64 s[4:5], s53, v52
	v_mov_b32_e32 v50, 0x7f800001
	s_and_saveexec_b64 s[44:45], s[4:5]
	s_cbranch_execz .LBB168_70
; %bb.69:                               ;   in Loop: Header=BB168_13 Depth=1
	v_and_b32_e32 v50, 7, v23
	v_ffbh_u32_e32 v53, v50
	v_min_u32_e32 v56, 32, v53
	v_subrev_u32_e32 v53, 28, v56
	v_lshlrev_b64 v[53:54], v53, v[23:24]
	v_lshrrev_b32_e32 v55, 3, v52
	v_sub_u32_e32 v23, 29, v56
	v_and_b32_e32 v53, 7, v53
	v_cmp_gt_u32_e64 s[4:5], 8, v52
	v_cndmask_b32_e64 v23, v55, v23, s[4:5]
	v_cndmask_b32_e64 v50, v50, v53, s[4:5]
	v_lshlrev_b32_e32 v51, 24, v51
	v_lshlrev_b32_e32 v50, 20, v50
	v_and_b32_e32 v51, 0x80000000, v51
	v_lshl_add_u32 v23, v23, 23, v38
	v_or3_b32 v50, v51, v23, v50
.LBB168_70:                             ;   in Loop: Header=BB168_13 Depth=1
	s_or_b64 exec, exec, s[44:45]
.LBB168_71:                             ;   in Loop: Header=BB168_13 Depth=1
	s_or_b64 exec, exec, s[42:43]
.LBB168_72:                             ;   in Loop: Header=BB168_13 Depth=1
	s_or_b64 exec, exec, s[40:41]
	global_load_ubyte v51, v[21:22], off offset:520
	s_waitcnt vmcnt(0)
	v_cmp_ne_u16_e64 s[4:5], 0, v51
	s_and_saveexec_b64 s[40:41], s[4:5]
	s_cbranch_execz .LBB168_78
; %bb.73:                               ;   in Loop: Header=BB168_13 Depth=1
	v_cmp_ne_u16_e64 s[4:5], s52, v51
	v_bfrev_b32_e32 v49, 1
	s_and_saveexec_b64 s[42:43], s[4:5]
	s_cbranch_execz .LBB168_77
; %bb.74:                               ;   in Loop: Header=BB168_13 Depth=1
	v_and_b32_e32 v23, 0xffff, v51
	v_and_b32_e32 v52, 0x7f, v23
	v_cmp_ne_u32_e64 s[4:5], s53, v52
	v_mov_b32_e32 v49, 0x7f800001
	s_and_saveexec_b64 s[44:45], s[4:5]
	s_cbranch_execz .LBB168_76
; %bb.75:                               ;   in Loop: Header=BB168_13 Depth=1
	v_and_b32_e32 v49, 7, v23
	v_ffbh_u32_e32 v53, v49
	v_min_u32_e32 v56, 32, v53
	v_subrev_u32_e32 v53, 28, v56
	v_lshlrev_b64 v[53:54], v53, v[23:24]
	v_lshrrev_b32_e32 v55, 3, v52
	v_sub_u32_e32 v23, 29, v56
	v_and_b32_e32 v53, 7, v53
	v_cmp_gt_u32_e64 s[4:5], 8, v52
	v_cndmask_b32_e64 v23, v55, v23, s[4:5]
	v_cndmask_b32_e64 v49, v49, v53, s[4:5]
	v_lshlrev_b32_e32 v51, 24, v51
	v_lshlrev_b32_e32 v49, 20, v49
	v_and_b32_e32 v51, 0x80000000, v51
	v_lshl_add_u32 v23, v23, 23, v38
	v_or3_b32 v49, v51, v23, v49
.LBB168_76:                             ;   in Loop: Header=BB168_13 Depth=1
	s_or_b64 exec, exec, s[44:45]
.LBB168_77:                             ;   in Loop: Header=BB168_13 Depth=1
	s_or_b64 exec, exec, s[42:43]
.LBB168_78:                             ;   in Loop: Header=BB168_13 Depth=1
	s_or_b64 exec, exec, s[40:41]
	global_load_ubyte v53, v[21:22], off offset:640
	v_mov_b32_e32 v51, 0
	v_mov_b32_e32 v52, 0
	s_waitcnt vmcnt(0)
	v_cmp_ne_u16_e64 s[4:5], 0, v53
	s_and_saveexec_b64 s[40:41], s[4:5]
	s_cbranch_execz .LBB168_84
; %bb.79:                               ;   in Loop: Header=BB168_13 Depth=1
	v_cmp_ne_u16_e64 s[4:5], s52, v53
	v_bfrev_b32_e32 v52, 1
	s_and_saveexec_b64 s[42:43], s[4:5]
	s_cbranch_execz .LBB168_83
; %bb.80:                               ;   in Loop: Header=BB168_13 Depth=1
	v_and_b32_e32 v23, 0xffff, v53
	v_and_b32_e32 v54, 0x7f, v23
	v_cmp_ne_u32_e64 s[4:5], s53, v54
	v_mov_b32_e32 v52, 0x7f800001
	s_and_saveexec_b64 s[44:45], s[4:5]
	s_cbranch_execz .LBB168_82
; %bb.81:                               ;   in Loop: Header=BB168_13 Depth=1
	v_and_b32_e32 v52, 7, v23
	v_ffbh_u32_e32 v55, v52
	v_min_u32_e32 v58, 32, v55
	v_subrev_u32_e32 v55, 28, v58
	v_lshlrev_b64 v[55:56], v55, v[23:24]
	v_lshrrev_b32_e32 v57, 3, v54
	v_sub_u32_e32 v23, 29, v58
	v_and_b32_e32 v55, 7, v55
	v_cmp_gt_u32_e64 s[4:5], 8, v54
	v_cndmask_b32_e64 v23, v57, v23, s[4:5]
	v_cndmask_b32_e64 v52, v52, v55, s[4:5]
	v_lshlrev_b32_e32 v53, 24, v53
	v_lshlrev_b32_e32 v52, 20, v52
	v_and_b32_e32 v53, 0x80000000, v53
	v_lshl_add_u32 v23, v23, 23, v38
	v_or3_b32 v52, v53, v23, v52
.LBB168_82:                             ;   in Loop: Header=BB168_13 Depth=1
	s_or_b64 exec, exec, s[44:45]
.LBB168_83:                             ;   in Loop: Header=BB168_13 Depth=1
	s_or_b64 exec, exec, s[42:43]
.LBB168_84:                             ;   in Loop: Header=BB168_13 Depth=1
	s_or_b64 exec, exec, s[40:41]
	global_load_ubyte v53, v[21:22], off offset:648
	s_waitcnt vmcnt(0)
	v_cmp_ne_u16_e64 s[4:5], 0, v53
	s_and_saveexec_b64 s[40:41], s[4:5]
	s_cbranch_execz .LBB168_90
; %bb.85:                               ;   in Loop: Header=BB168_13 Depth=1
	v_cmp_ne_u16_e64 s[4:5], s52, v53
	v_bfrev_b32_e32 v51, 1
	s_and_saveexec_b64 s[42:43], s[4:5]
	s_cbranch_execz .LBB168_89
; %bb.86:                               ;   in Loop: Header=BB168_13 Depth=1
	v_and_b32_e32 v23, 0xffff, v53
	v_and_b32_e32 v54, 0x7f, v23
	v_cmp_ne_u32_e64 s[4:5], s53, v54
	v_mov_b32_e32 v51, 0x7f800001
	s_and_saveexec_b64 s[44:45], s[4:5]
	s_cbranch_execz .LBB168_88
; %bb.87:                               ;   in Loop: Header=BB168_13 Depth=1
	v_and_b32_e32 v51, 7, v23
	v_ffbh_u32_e32 v55, v51
	v_min_u32_e32 v58, 32, v55
	v_subrev_u32_e32 v55, 28, v58
	v_lshlrev_b64 v[55:56], v55, v[23:24]
	v_lshrrev_b32_e32 v57, 3, v54
	v_sub_u32_e32 v23, 29, v58
	v_and_b32_e32 v55, 7, v55
	v_cmp_gt_u32_e64 s[4:5], 8, v54
	v_cndmask_b32_e64 v23, v57, v23, s[4:5]
	v_cndmask_b32_e64 v51, v51, v55, s[4:5]
	v_lshlrev_b32_e32 v53, 24, v53
	v_lshlrev_b32_e32 v51, 20, v51
	v_and_b32_e32 v53, 0x80000000, v53
	v_lshl_add_u32 v23, v23, 23, v38
	v_or3_b32 v51, v53, v23, v51
.LBB168_88:                             ;   in Loop: Header=BB168_13 Depth=1
	s_or_b64 exec, exec, s[44:45]
.LBB168_89:                             ;   in Loop: Header=BB168_13 Depth=1
	s_or_b64 exec, exec, s[42:43]
.LBB168_90:                             ;   in Loop: Header=BB168_13 Depth=1
	s_or_b64 exec, exec, s[40:41]
	global_load_ubyte v55, v[21:22], off offset:768
	v_mov_b32_e32 v53, 0
	v_mov_b32_e32 v54, 0
	s_waitcnt vmcnt(0)
	v_cmp_ne_u16_e64 s[4:5], 0, v55
	s_and_saveexec_b64 s[40:41], s[4:5]
	s_cbranch_execz .LBB168_96
; %bb.91:                               ;   in Loop: Header=BB168_13 Depth=1
	v_cmp_ne_u16_e64 s[4:5], s52, v55
	v_bfrev_b32_e32 v54, 1
	s_and_saveexec_b64 s[42:43], s[4:5]
	s_cbranch_execz .LBB168_95
; %bb.92:                               ;   in Loop: Header=BB168_13 Depth=1
	v_and_b32_e32 v23, 0xffff, v55
	v_and_b32_e32 v56, 0x7f, v23
	v_cmp_ne_u32_e64 s[4:5], s53, v56
	v_mov_b32_e32 v54, 0x7f800001
	s_and_saveexec_b64 s[44:45], s[4:5]
	s_cbranch_execz .LBB168_94
; %bb.93:                               ;   in Loop: Header=BB168_13 Depth=1
	v_and_b32_e32 v54, 7, v23
	v_ffbh_u32_e32 v57, v54
	v_min_u32_e32 v60, 32, v57
	v_subrev_u32_e32 v57, 28, v60
	v_lshlrev_b64 v[57:58], v57, v[23:24]
	v_lshrrev_b32_e32 v59, 3, v56
	v_sub_u32_e32 v23, 29, v60
	v_and_b32_e32 v57, 7, v57
	v_cmp_gt_u32_e64 s[4:5], 8, v56
	v_cndmask_b32_e64 v23, v59, v23, s[4:5]
	v_cndmask_b32_e64 v54, v54, v57, s[4:5]
	v_lshlrev_b32_e32 v55, 24, v55
	v_lshlrev_b32_e32 v54, 20, v54
	v_and_b32_e32 v55, 0x80000000, v55
	v_lshl_add_u32 v23, v23, 23, v38
	v_or3_b32 v54, v55, v23, v54
.LBB168_94:                             ;   in Loop: Header=BB168_13 Depth=1
	s_or_b64 exec, exec, s[44:45]
.LBB168_95:                             ;   in Loop: Header=BB168_13 Depth=1
	s_or_b64 exec, exec, s[42:43]
.LBB168_96:                             ;   in Loop: Header=BB168_13 Depth=1
	s_or_b64 exec, exec, s[40:41]
	global_load_ubyte v55, v[21:22], off offset:776
	s_waitcnt vmcnt(0)
	v_cmp_ne_u16_e64 s[4:5], 0, v55
	s_and_saveexec_b64 s[40:41], s[4:5]
	s_cbranch_execz .LBB168_102
; %bb.97:                               ;   in Loop: Header=BB168_13 Depth=1
	v_cmp_ne_u16_e64 s[4:5], s52, v55
	v_bfrev_b32_e32 v53, 1
	s_and_saveexec_b64 s[42:43], s[4:5]
	s_cbranch_execz .LBB168_101
; %bb.98:                               ;   in Loop: Header=BB168_13 Depth=1
	v_and_b32_e32 v23, 0xffff, v55
	v_and_b32_e32 v56, 0x7f, v23
	v_cmp_ne_u32_e64 s[4:5], s53, v56
	v_mov_b32_e32 v53, 0x7f800001
	s_and_saveexec_b64 s[44:45], s[4:5]
	s_cbranch_execz .LBB168_100
; %bb.99:                               ;   in Loop: Header=BB168_13 Depth=1
	v_and_b32_e32 v53, 7, v23
	v_ffbh_u32_e32 v57, v53
	v_min_u32_e32 v60, 32, v57
	v_subrev_u32_e32 v57, 28, v60
	v_lshlrev_b64 v[57:58], v57, v[23:24]
	v_lshrrev_b32_e32 v59, 3, v56
	v_sub_u32_e32 v23, 29, v60
	v_and_b32_e32 v57, 7, v57
	v_cmp_gt_u32_e64 s[4:5], 8, v56
	v_cndmask_b32_e64 v23, v59, v23, s[4:5]
	v_cndmask_b32_e64 v53, v53, v57, s[4:5]
	v_lshlrev_b32_e32 v55, 24, v55
	v_lshlrev_b32_e32 v53, 20, v53
	v_and_b32_e32 v55, 0x80000000, v55
	v_lshl_add_u32 v23, v23, 23, v38
	v_or3_b32 v53, v55, v23, v53
.LBB168_100:                            ;   in Loop: Header=BB168_13 Depth=1
	s_or_b64 exec, exec, s[44:45]
.LBB168_101:                            ;   in Loop: Header=BB168_13 Depth=1
	s_or_b64 exec, exec, s[42:43]
.LBB168_102:                            ;   in Loop: Header=BB168_13 Depth=1
	s_or_b64 exec, exec, s[40:41]
	global_load_ubyte v57, v[21:22], off offset:896
	v_mov_b32_e32 v55, 0
	v_mov_b32_e32 v56, 0
	s_waitcnt vmcnt(0)
	v_cmp_ne_u16_e64 s[4:5], 0, v57
	s_and_saveexec_b64 s[40:41], s[4:5]
	s_cbranch_execz .LBB168_108
; %bb.103:                              ;   in Loop: Header=BB168_13 Depth=1
	v_cmp_ne_u16_e64 s[4:5], s52, v57
	v_bfrev_b32_e32 v56, 1
	s_and_saveexec_b64 s[42:43], s[4:5]
	s_cbranch_execz .LBB168_107
; %bb.104:                              ;   in Loop: Header=BB168_13 Depth=1
	v_and_b32_e32 v23, 0xffff, v57
	v_and_b32_e32 v58, 0x7f, v23
	v_cmp_ne_u32_e64 s[4:5], s53, v58
	v_mov_b32_e32 v56, 0x7f800001
	s_and_saveexec_b64 s[44:45], s[4:5]
	s_cbranch_execz .LBB168_106
; %bb.105:                              ;   in Loop: Header=BB168_13 Depth=1
	v_and_b32_e32 v56, 7, v23
	v_ffbh_u32_e32 v59, v56
	v_min_u32_e32 v62, 32, v59
	v_subrev_u32_e32 v59, 28, v62
	v_lshlrev_b64 v[59:60], v59, v[23:24]
	v_lshrrev_b32_e32 v61, 3, v58
	v_sub_u32_e32 v23, 29, v62
	v_and_b32_e32 v59, 7, v59
	v_cmp_gt_u32_e64 s[4:5], 8, v58
	v_cndmask_b32_e64 v23, v61, v23, s[4:5]
	v_cndmask_b32_e64 v56, v56, v59, s[4:5]
	v_lshlrev_b32_e32 v57, 24, v57
	v_lshlrev_b32_e32 v56, 20, v56
	v_and_b32_e32 v57, 0x80000000, v57
	v_lshl_add_u32 v23, v23, 23, v38
	v_or3_b32 v56, v57, v23, v56
.LBB168_106:                            ;   in Loop: Header=BB168_13 Depth=1
	s_or_b64 exec, exec, s[44:45]
.LBB168_107:                            ;   in Loop: Header=BB168_13 Depth=1
	s_or_b64 exec, exec, s[42:43]
.LBB168_108:                            ;   in Loop: Header=BB168_13 Depth=1
	s_or_b64 exec, exec, s[40:41]
	global_load_ubyte v22, v[21:22], off offset:904
	s_waitcnt vmcnt(0)
	v_cmp_ne_u16_e64 s[4:5], 0, v22
	s_and_saveexec_b64 s[40:41], s[4:5]
	s_cbranch_execz .LBB168_114
; %bb.109:                              ;   in Loop: Header=BB168_13 Depth=1
	v_cmp_ne_u16_e64 s[4:5], s52, v22
	v_bfrev_b32_e32 v55, 1
	s_and_saveexec_b64 s[42:43], s[4:5]
	s_cbranch_execz .LBB168_113
; %bb.110:                              ;   in Loop: Header=BB168_13 Depth=1
	v_and_b32_e32 v21, 0xffff, v22
	v_and_b32_e32 v23, 0x7f, v21
	v_cmp_ne_u32_e64 s[4:5], s53, v23
	v_mov_b32_e32 v55, 0x7f800001
	s_and_saveexec_b64 s[44:45], s[4:5]
	s_cbranch_execz .LBB168_112
; %bb.111:                              ;   in Loop: Header=BB168_13 Depth=1
	v_and_b32_e32 v55, 7, v21
	v_ffbh_u32_e32 v57, v55
	v_min_u32_e32 v60, 32, v57
	v_subrev_u32_e32 v57, 28, v60
	v_lshlrev_b64 v[57:58], v57, v[21:22]
	v_lshrrev_b32_e32 v59, 3, v23
	v_sub_u32_e32 v21, 29, v60
	v_and_b32_e32 v57, 7, v57
	v_cmp_gt_u32_e64 s[4:5], 8, v23
	v_cndmask_b32_e64 v21, v59, v21, s[4:5]
	v_cndmask_b32_e64 v23, v55, v57, s[4:5]
	v_lshlrev_b32_e32 v22, 24, v22
	v_lshlrev_b32_e32 v23, 20, v23
	v_and_b32_e32 v22, 0x80000000, v22
	v_lshl_add_u32 v21, v21, 23, v38
	v_or3_b32 v55, v22, v21, v23
.LBB168_112:                            ;   in Loop: Header=BB168_13 Depth=1
	s_or_b64 exec, exec, s[44:45]
.LBB168_113:                            ;   in Loop: Header=BB168_13 Depth=1
	s_or_b64 exec, exec, s[42:43]
.LBB168_114:                            ;   in Loop: Header=BB168_13 Depth=1
	s_or_b64 exec, exec, s[40:41]
	s_waitcnt lgkmcnt(0)
	v_mul_f32_e32 v42, s54, v42
	v_mul_f32_e32 v41, s54, v41
	;; [unrolled: 1-line block ×4, first 2 shown]
	v_fmac_f32_e32 v14, v13, v41
	v_mul_f32_e32 v43, s54, v43
	v_fmac_f32_e32 v14, v15, v44
	v_mul_f32_e32 v46, s54, v46
	;; [unrolled: 2-line block ×10, first 2 shown]
	v_mul_f32_e32 v23, s54, v54
	v_and_b32_e32 v53, 64, v39
	v_fmac_f32_e32 v14, v8, v51
	v_add_u32_e32 v53, 64, v53
	v_xor_b32_e32 v54, 4, v39
	v_fmac_f32_e32 v14, v1, v23
	v_mul_f32_e32 v21, s54, v56
	v_cmp_lt_i32_e64 s[4:5], v54, v53
	v_fmac_f32_e32 v14, v2, v22
	v_cndmask_b32_e64 v54, v39, v54, s[4:5]
	v_mul_f32_e32 v55, s54, v55
	v_fmac_f32_e32 v14, v3, v21
	v_lshlrev_b32_e32 v54, 2, v54
	v_fmac_f32_e32 v14, v4, v55
	ds_bpermute_b32 v1, v54, v14
	v_xor_b32_e32 v2, 2, v39
	v_cmp_lt_i32_e64 s[4:5], v2, v53
	v_cndmask_b32_e64 v2, v39, v2, s[4:5]
	v_lshlrev_b32_e32 v2, 2, v2
	s_waitcnt lgkmcnt(0)
	v_add_f32_e32 v1, v14, v1
	ds_bpermute_b32 v2, v2, v1
	v_xor_b32_e32 v3, 1, v39
	v_cmp_lt_i32_e64 s[4:5], v3, v53
	v_cndmask_b32_e64 v3, v39, v3, s[4:5]
	v_lshlrev_b32_e32 v3, 2, v3
	s_waitcnt lgkmcnt(0)
	v_add_f32_e32 v1, v1, v2
	ds_bpermute_b32 v2, v3, v1
	s_and_saveexec_b64 s[40:41], vcc
	s_cbranch_execz .LBB168_11
; %bb.115:                              ;   in Loop: Header=BB168_13 Depth=1
	v_add_u32_e32 v3, v35, v34
	v_cvt_f32_i32_e32 v3, v3
	s_waitcnt lgkmcnt(0)
	v_add_f32_e32 v1, v1, v2
	v_add_u32_e32 v4, v29, v34
	v_cmp_gt_i32_e64 s[4:5], s33, v4
	v_mul_f32_e32 v2, s48, v3
	v_cndmask_b32_e64 v2, 0, v2, s[2:3]
	v_fmac_f32_e32 v2, s37, v1
	v_cndmask_b32_e64 v1, 0, v2, s[4:5]
	ds_write_b32 v36, v1
	v_max_f32_e32 v1, v32, v32
	v_max_f32_e32 v1, v1, v2
	v_cndmask_b32_e64 v32, v32, v1, s[4:5]
	s_branch .LBB168_11
.LBB168_116:
	s_or_b64 exec, exec, s[38:39]
.LBB168_117:
	s_or_b64 exec, exec, s[18:19]
	v_mbcnt_hi_u32_b32 v1, -1, v28
	v_and_b32_e32 v8, 64, v1
	s_waitcnt lgkmcnt(0)
	v_add_u32_e32 v2, 64, v8
	v_xor_b32_e32 v3, 32, v1
	v_cmp_lt_i32_e32 vcc, v3, v2
	v_cndmask_b32_e32 v3, v1, v3, vcc
	v_lshlrev_b32_e32 v4, 2, v3
	ds_bpermute_b32 v3, v4, v32
	v_xor_b32_e32 v6, 16, v1
	v_max_f32_e32 v5, v32, v32
	v_cmp_lt_i32_e32 vcc, v6, v2
	v_xor_b32_e32 v7, 8, v1
	s_waitcnt lgkmcnt(0)
	v_max_f32_e32 v3, v3, v3
	v_max_f32_e32 v3, v5, v3
	v_cndmask_b32_e32 v5, v1, v6, vcc
	v_lshlrev_b32_e32 v6, 2, v5
	ds_bpermute_b32 v5, v6, v3
	v_cmp_lt_i32_e32 vcc, v7, v2
	v_and_b32_e32 v28, 63, v0
	s_waitcnt lgkmcnt(0)
	v_max_f32_e32 v5, v5, v5
	v_max_f32_e32 v5, v3, v5
	v_cndmask_b32_e32 v3, v1, v7, vcc
	v_lshlrev_b32_e32 v7, 2, v3
	ds_bpermute_b32 v9, v7, v5
	v_cmp_eq_u32_e32 vcc, 0, v28
	v_lshlrev_b32_e32 v3, 2, v25
	s_and_saveexec_b64 s[2:3], vcc
	s_cbranch_execz .LBB168_119
; %bb.118:
	s_waitcnt lgkmcnt(0)
	v_max_f32_e32 v9, v9, v9
	v_max_f32_e32 v5, v5, v5
	;; [unrolled: 1-line block ×3, first 2 shown]
	ds_write_b32 v3, v5 offset:512
.LBB168_119:
	s_or_b64 exec, exec, s[2:3]
	v_cmp_gt_u32_e64 s[2:3], 2, v28
	s_waitcnt lgkmcnt(0)
	v_mov_b32_e32 v9, 0xff7fffff
	v_lshlrev_b32_e32 v5, 2, v28
	s_barrier
	s_and_saveexec_b64 s[4:5], s[2:3]
; %bb.120:
	ds_read_b32 v9, v5 offset:512
; %bb.121:
	s_or_b64 exec, exec, s[4:5]
	v_xor_b32_e32 v10, 1, v1
	v_cmp_lt_i32_e64 s[4:5], v10, v2
	v_cndmask_b32_e64 v10, v1, v10, s[4:5]
	v_lshlrev_b32_e32 v29, 2, v10
	s_waitcnt lgkmcnt(0)
	ds_bpermute_b32 v10, v29, v9
	v_max_f32_e32 v9, v9, v9
	v_lshlrev_b32_e32 v8, 2, v8
	s_lshl_b32 s4, s20, 3
	s_min_i32 s37, s4, s33
	s_waitcnt lgkmcnt(0)
	v_max_f32_e32 v10, v10, v10
	v_max_f32_e32 v9, v9, v10
	ds_bpermute_b32 v9, v8, v9
	v_cmp_gt_i32_e64 s[4:5], s37, v0
	v_mov_b32_e32 v8, 0
	s_and_saveexec_b64 s[12:13], s[4:5]
	s_cbranch_execz .LBB168_125
; %bb.122:
	v_mov_b32_e32 v8, 0x210
	v_lshl_add_u32 v10, v0, 2, v8
	v_mov_b32_e32 v8, 0
	s_mov_b64 s[18:19], 0
	v_mov_b32_e32 v11, v0
.LBB168_123:                            ; =>This Inner Loop Header: Depth=1
	ds_read_b32 v12, v10
	v_add_u32_e32 v11, 0x80, v11
	v_cmp_le_i32_e64 s[6:7], s37, v11
	s_or_b64 s[18:19], s[6:7], s[18:19]
	s_waitcnt lgkmcnt(0)
	v_sub_f32_e32 v12, v12, v9
	v_mul_f32_e32 v12, 0x3fb8aa3b, v12
	v_exp_f32_e32 v12, v12
	ds_write_b32 v10, v12
	v_add_f32_e32 v8, v8, v12
	v_add_u32_e32 v10, 0x200, v10
	s_andn2_b64 exec, exec, s[18:19]
	s_cbranch_execnz .LBB168_123
; %bb.124:
	s_or_b64 exec, exec, s[18:19]
.LBB168_125:
	s_or_b64 exec, exec, s[12:13]
	ds_bpermute_b32 v4, v4, v8
	s_waitcnt lgkmcnt(0)
	v_add_f32_e32 v4, v8, v4
	ds_bpermute_b32 v6, v6, v4
	s_waitcnt lgkmcnt(0)
	v_add_f32_e32 v4, v4, v6
	ds_bpermute_b32 v6, v7, v4
	v_xor_b32_e32 v7, 4, v1
	v_cmp_lt_i32_e64 s[6:7], v7, v2
	v_cndmask_b32_e64 v7, v1, v7, s[6:7]
	v_lshlrev_b32_e32 v7, 2, v7
	s_waitcnt lgkmcnt(0)
	v_add_f32_e32 v4, v4, v6
	ds_bpermute_b32 v6, v7, v4
	v_xor_b32_e32 v7, 2, v1
	v_cmp_lt_i32_e64 s[6:7], v7, v2
	v_cndmask_b32_e64 v2, v1, v7, s[6:7]
	v_lshlrev_b32_e32 v2, 2, v2
	s_waitcnt lgkmcnt(0)
	v_add_f32_e32 v4, v4, v6
	ds_bpermute_b32 v2, v2, v4
	s_waitcnt lgkmcnt(0)
	v_add_f32_e32 v2, v4, v2
	ds_bpermute_b32 v4, v29, v2
	s_waitcnt lgkmcnt(0)
	v_add_f32_e32 v2, v2, v4
	s_and_saveexec_b64 s[6:7], vcc
; %bb.126:
	ds_write_b32 v3, v2 offset:520
; %bb.127:
	s_or_b64 exec, exec, s[6:7]
	s_waitcnt lgkmcnt(0)
	s_barrier
	s_and_saveexec_b64 s[6:7], s[2:3]
; %bb.128:
	ds_read_b32 v2, v5 offset:520
; %bb.129:
	s_or_b64 exec, exec, s[6:7]
	s_waitcnt lgkmcnt(0)
	ds_bpermute_b32 v3, v29, v2
	v_lshlrev_b32_e32 v1, 2, v1
	v_and_b32_e32 v1, 0x100, v1
	s_waitcnt lgkmcnt(0)
	v_add_f32_e32 v2, v2, v3
	ds_bpermute_b32 v1, v1, v2
	s_and_saveexec_b64 s[2:3], s[4:5]
	s_cbranch_execz .LBB168_132
; %bb.130:
	s_waitcnt lgkmcnt(0)
	v_add_f32_e32 v2, 0x358637bd, v1
	v_div_scale_f32 v1, s[4:5], v2, v2, 1.0
	v_div_scale_f32 v3, vcc, 1.0, v2, 1.0
	s_mov_b64 s[4:5], 0
	v_rcp_f32_e32 v4, v1
	v_fma_f32 v5, -v1, v4, 1.0
	v_fmac_f32_e32 v4, v5, v4
	v_mul_f32_e32 v5, v3, v4
	v_fma_f32 v6, -v1, v5, v3
	v_fmac_f32_e32 v5, v6, v4
	v_fma_f32 v1, -v1, v5, v3
	v_div_fmas_f32 v3, v1, v4, v5
	v_mov_b32_e32 v1, 0x210
	v_lshl_add_u32 v1, v0, 2, v1
	v_div_fixup_f32 v2, v3, v2, 1.0
	v_mov_b32_e32 v3, v0
.LBB168_131:                            ; =>This Inner Loop Header: Depth=1
	ds_read_b32 v4, v1
	v_add_u32_e32 v3, 0x80, v3
	v_cmp_le_i32_e32 vcc, s37, v3
	s_or_b64 s[4:5], vcc, s[4:5]
	s_waitcnt lgkmcnt(0)
	v_mul_f32_e32 v4, v2, v4
	ds_write_b32 v1, v4
	v_add_u32_e32 v1, 0x200, v1
	s_andn2_b64 exec, exec, s[4:5]
	s_cbranch_execnz .LBB168_131
.LBB168_132:
	s_or_b64 exec, exec, s[2:3]
	v_mov_b32_e32 v35, 0
	v_and_b32_e32 v31, 1, v0
	v_mov_b32_e32 v36, 0
	v_mov_b32_e32 v34, 0
	;; [unrolled: 1-line block ×3, first 2 shown]
	s_waitcnt lgkmcnt(0)
	s_barrier
	s_and_saveexec_b64 s[2:3], s[0:1]
	s_cbranch_execz .LBB168_242
; %bb.133:
	s_sub_i32 s21, s16, s21
	s_ashr_i32 s0, s47, 31
	s_add_u32 s4, s34, s47
	s_addc_u32 s5, s35, s0
	s_abs_i32 s22, s22
	v_cvt_f32_u32_e32 v1, s22
	s_sub_i32 s0, 0, s22
	v_and_b32_e32 v2, 0xfc, v27
	s_add_i32 s35, s20, -1
	v_rcp_iflag_f32_e32 v1, v1
	v_mov_b32_e32 v6, s5
	v_add_co_u32_e32 v7, vcc, s4, v2
	v_mul_f32_e32 v1, 0x4f7ffffe, v1
	v_cvt_u32_f32_e32 v1, v1
	v_and_b32_e32 v3, 60, v30
	v_addc_co_u32_e32 v8, vcc, 0, v6, vcc
	v_mul_lo_u32 v4, s0, v1
	s_lshl_b64 s[0:1], s[30:31], 2
	s_add_u32 s0, s28, s0
	s_addc_u32 s1, s29, s1
	v_mul_hi_u32 v4, v1, v4
	v_and_b32_e32 v32, 4, v27
	v_add_co_u32_e32 v9, vcc, s0, v3
	v_add_u32_e32 v27, v1, v4
	v_mov_b32_e32 v1, s1
	v_addc_co_u32_e32 v10, vcc, 0, v1, vcc
	v_lshlrev_b32_e32 v1, 4, v31
	v_mov_b32_e32 v5, 0
	v_lshl_or_b32 v1, v25, 5, v1
	s_mov_b32 s34, s17
	v_add_u32_e32 v30, 0x210, v1
	s_mov_b64 s[4:5], 0
	s_movk_i32 s28, 0x80
	s_movk_i32 s29, 0x7f
	s_brev_b32 s30, 1
	s_mov_b32 s31, 0xffffff
	v_bfrev_b32_e32 v37, 60
	v_bfrev_b32_e32 v6, 1
	v_mov_b32_e32 v12, 0x7f800001
	v_mov_b32_e32 v38, 7
	;; [unrolled: 1-line block ×7, first 2 shown]
	s_branch .LBB168_136
.LBB168_134:                            ;   in Loop: Header=BB168_136 Depth=1
	s_or_b64 exec, exec, s[0:1]
	v_mul_f32_e32 v16, v1, v53
	v_fmac_f32_e32 v16, v2, v52
	v_fmac_f32_e32 v16, v3, v23
	;; [unrolled: 1-line block ×3, first 2 shown]
	v_add_f32_e32 v34, v34, v16
	v_mul_f32_e32 v16, v1, v51
	v_fmac_f32_e32 v16, v2, v48
	v_fmac_f32_e32 v16, v3, v50
	;; [unrolled: 1-line block ×3, first 2 shown]
	v_add_f32_e32 v36, v36, v16
	v_mul_f32_e32 v16, v1, v43
	v_mul_f32_e32 v1, v1, v15
	v_fmac_f32_e32 v16, v2, v40
	v_fmac_f32_e32 v1, v2, v11
	;; [unrolled: 1-line block ×6, first 2 shown]
	v_add_f32_e32 v35, v35, v16
	v_add_f32_e32 v33, v33, v1
.LBB168_135:                            ;   in Loop: Header=BB168_136 Depth=1
	s_or_b64 exec, exec, s[6:7]
	v_add_co_u32_e32 v9, vcc, 8, v9
	v_add_u32_e32 v25, 2, v25
	v_addc_co_u32_e32 v10, vcc, 0, v10, vcc
	v_cmp_le_i32_e32 vcc, s20, v25
	v_add_u32_e32 v26, 16, v26
	s_or_b64 s[4:5], vcc, s[4:5]
	v_add_u32_e32 v30, 64, v30
	s_andn2_b64 exec, exec, s[4:5]
	s_cbranch_execz .LBB168_241
.LBB168_136:                            ; =>This Inner Loop Header: Depth=1
	v_mul_hi_u32 v1, v26, s46
	v_mul_lo_u32 v2, v1, s25
	v_add_u32_e32 v3, 1, v1
	v_sub_u32_e32 v2, v26, v2
	v_cmp_le_u32_e32 vcc, s25, v2
	v_cndmask_b32_e32 v1, v1, v3, vcc
	v_subrev_u32_e32 v3, s25, v2
	v_cndmask_b32_e32 v2, v2, v3, vcc
	v_add_u32_e32 v3, 1, v1
	v_cmp_le_u32_e32 vcc, s25, v2
	v_cndmask_b32_e32 v1, v1, v3, vcc
	v_xor_b32_e32 v1, s23, v1
	v_subrev_u32_e32 v1, s23, v1
	v_add_u32_e32 v2, s36, v1
	v_sub_u32_e32 v3, 0, v2
	v_max_i32_e32 v3, v2, v3
	v_mul_hi_u32 v4, v3, v27
	v_ashrrev_i32_e32 v2, 31, v2
	v_cmp_lt_i32_e64 s[0:1], s21, v1
	v_mul_lo_u32 v4, v4, s22
	v_sub_u32_e32 v3, v3, v4
	v_subrev_u32_e32 v4, s22, v3
	v_cmp_le_u32_e32 vcc, s22, v3
	v_cndmask_b32_e32 v3, v3, v4, vcc
	v_subrev_u32_e32 v4, s22, v3
	v_cmp_le_u32_e32 vcc, s22, v3
	v_cndmask_b32_e32 v3, v3, v4, vcc
	v_xor_b32_e32 v3, v3, v2
	v_sub_u32_e32 v2, v3, v2
	v_cmp_eq_u32_e32 vcc, 0, v2
	s_or_b64 s[0:1], vcc, s[0:1]
	s_and_saveexec_b64 s[6:7], s[0:1]
	s_cbranch_execz .LBB168_135
; %bb.137:                              ;   in Loop: Header=BB168_136 Depth=1
	global_load_dword v1, v[9:10], off
	s_load_dword s37, s[14:15], 0x0
	v_mov_b32_e32 v18, 0
	v_mov_b32_e32 v16, 0
	;; [unrolled: 1-line block ×4, first 2 shown]
	s_waitcnt vmcnt(0)
	v_mad_i64_i32 v[13:14], s[0:1], v1, s34, v[7:8]
	ds_read_b128 v[1:4], v30
	global_load_dword v15, v[13:14], off
	s_waitcnt vmcnt(0)
	v_cmp_ne_u16_sdwa s[12:13], v15, v5 src0_sel:BYTE_0 src1_sel:DWORD
	s_and_saveexec_b64 s[0:1], s[12:13]
	s_cbranch_execz .LBB168_143
; %bb.138:                              ;   in Loop: Header=BB168_136 Depth=1
	v_bfrev_b32_e32 v16, 1
	v_mov_b32_e32 v17, 0
	v_cmp_ne_u16_sdwa s[16:17], v15, s28 src0_sel:BYTE_0 src1_sel:DWORD
	s_and_saveexec_b64 s[12:13], s[16:17]
	s_cbranch_execz .LBB168_142
; %bb.139:                              ;   in Loop: Header=BB168_136 Depth=1
	v_and_b32_e32 v11, 0x7f, v15
	v_mov_b32_e32 v16, 0x7f800001
	v_mov_b32_e32 v17, 0
	v_cmp_ne_u32_e32 vcc, s29, v11
	s_and_saveexec_b64 s[16:17], vcc
	s_cbranch_execz .LBB168_141
; %bb.140:                              ;   in Loop: Header=BB168_136 Depth=1
	v_and_b32_e32 v20, 7, v15
	v_ffbh_u32_e32 v16, v20
	v_min_u32_e32 v22, 32, v16
	v_subrev_u32_e32 v16, 28, v22
	v_lshlrev_b64 v[16:17], v16, v[15:16]
	v_lshrrev_b32_e32 v21, 3, v11
	v_sub_u32_e32 v17, 29, v22
	v_and_b32_e32 v16, 7, v16
	v_cmp_gt_u32_e32 vcc, 8, v11
	v_cndmask_b32_e32 v11, v21, v17, vcc
	v_cndmask_b32_e32 v16, v20, v16, vcc
	v_lshlrev_b32_e32 v16, 20, v16
	v_and_b32_sdwa v17, sext(v15), s30 dst_sel:DWORD dst_unused:UNUSED_PAD src0_sel:BYTE_0 src1_sel:DWORD
	v_lshl_add_u32 v11, v11, 23, v37
	v_or3_b32 v16, v17, v11, v16
	v_mov_b32_e32 v17, v5
.LBB168_141:                            ;   in Loop: Header=BB168_136 Depth=1
	s_or_b64 exec, exec, s[16:17]
.LBB168_142:                            ;   in Loop: Header=BB168_136 Depth=1
	s_or_b64 exec, exec, s[12:13]
.LBB168_143:                            ;   in Loop: Header=BB168_136 Depth=1
	s_or_b64 exec, exec, s[0:1]
	v_cmp_ne_u16_sdwa s[12:13], v15, v5 src0_sel:BYTE_1 src1_sel:DWORD
	s_and_saveexec_b64 s[0:1], s[12:13]
	s_cbranch_execz .LBB168_149
; %bb.144:                              ;   in Loop: Header=BB168_136 Depth=1
	v_mov_b32_e32 v19, v6
	v_cmp_ne_u16_sdwa s[16:17], v15, s28 src0_sel:BYTE_1 src1_sel:DWORD
	v_mov_b32_e32 v18, v5
	s_and_saveexec_b64 s[12:13], s[16:17]
	s_cbranch_execz .LBB168_148
; %bb.145:                              ;   in Loop: Header=BB168_136 Depth=1
	v_and_b32_sdwa v20, v15, s29 dst_sel:DWORD dst_unused:UNUSED_PAD src0_sel:BYTE_1 src1_sel:DWORD
	v_mov_b32_e32 v11, v5
	v_mov_b32_e32 v19, v12
	v_cmp_ne_u32_e32 vcc, s29, v20
	v_mov_b32_e32 v18, v11
	s_and_saveexec_b64 s[16:17], vcc
	s_cbranch_execz .LBB168_147
; %bb.146:                              ;   in Loop: Header=BB168_136 Depth=1
	v_and_b32_sdwa v18, v15, v38 dst_sel:DWORD dst_unused:UNUSED_PAD src0_sel:BYTE_1 src1_sel:DWORD
	v_ffbh_u32_e32 v21, v18
	v_min_u32_e32 v23, 32, v21
	v_mov_b32_e32 v19, v5
	v_subrev_u32_e32 v21, 28, v23
	v_lshlrev_b64 v[21:22], v21, v[18:19]
	v_lshrrev_b32_e32 v11, 3, v20
	v_sub_u32_e32 v19, 29, v23
	v_cmp_gt_u32_e32 vcc, 8, v20
	v_and_b32_e32 v21, 7, v21
	v_cndmask_b32_e32 v11, v11, v19, vcc
	v_cndmask_b32_e32 v18, v18, v21, vcc
	v_lshlrev_b32_e32 v19, 16, v15
	v_lshl_add_u32 v11, v11, 23, v37
	v_and_or_b32 v11, v19, s30, v11
	v_lshlrev_b32_e32 v18, 20, v18
	v_or_b32_e32 v19, v11, v18
	v_mov_b32_e32 v18, v5
.LBB168_147:                            ;   in Loop: Header=BB168_136 Depth=1
	s_or_b64 exec, exec, s[16:17]
.LBB168_148:                            ;   in Loop: Header=BB168_136 Depth=1
	s_or_b64 exec, exec, s[12:13]
.LBB168_149:                            ;   in Loop: Header=BB168_136 Depth=1
	s_or_b64 exec, exec, s[0:1]
	v_lshrrev_b32_e32 v11, 16, v15
	v_mov_b32_e32 v22, 0
	v_mov_b32_e32 v20, 0
	;; [unrolled: 1-line block ×4, first 2 shown]
	v_cmp_ne_u16_sdwa s[12:13], v11, v5 src0_sel:BYTE_0 src1_sel:DWORD
	s_and_saveexec_b64 s[0:1], s[12:13]
	s_cbranch_execz .LBB168_155
; %bb.150:                              ;   in Loop: Header=BB168_136 Depth=1
	v_bfrev_b32_e32 v20, 1
	v_mov_b32_e32 v21, 0
	v_cmp_ne_u16_sdwa s[16:17], v11, s28 src0_sel:BYTE_0 src1_sel:DWORD
	s_and_saveexec_b64 s[12:13], s[16:17]
	s_cbranch_execz .LBB168_154
; %bb.151:                              ;   in Loop: Header=BB168_136 Depth=1
	v_bfe_u32 v40, v15, 16, 7
	v_mov_b32_e32 v20, 0x7f800001
	v_mov_b32_e32 v21, 0
	v_cmp_ne_u32_e32 vcc, s29, v40
	s_and_saveexec_b64 s[16:17], vcc
	s_cbranch_execz .LBB168_153
; %bb.152:                              ;   in Loop: Header=BB168_136 Depth=1
	v_and_b32_e32 v41, 7, v11
	v_ffbh_u32_e32 v20, v41
	v_min_u32_e32 v43, 32, v20
	v_subrev_u32_e32 v20, 28, v43
	v_lshlrev_b64 v[20:21], v20, v[11:12]
	v_lshrrev_b32_e32 v42, 3, v40
	v_sub_u32_e32 v21, 29, v43
	v_and_b32_e32 v20, 7, v20
	v_cmp_gt_u32_e32 vcc, 8, v40
	v_cndmask_b32_e32 v21, v42, v21, vcc
	v_cndmask_b32_e32 v20, v41, v20, vcc
	v_lshlrev_b32_e32 v20, 20, v20
	v_and_b32_sdwa v11, sext(v11), s30 dst_sel:DWORD dst_unused:UNUSED_PAD src0_sel:BYTE_0 src1_sel:DWORD
	v_lshl_add_u32 v21, v21, 23, v37
	v_or3_b32 v20, v11, v21, v20
	v_mov_b32_e32 v21, v5
.LBB168_153:                            ;   in Loop: Header=BB168_136 Depth=1
	s_or_b64 exec, exec, s[16:17]
.LBB168_154:                            ;   in Loop: Header=BB168_136 Depth=1
	s_or_b64 exec, exec, s[12:13]
.LBB168_155:                            ;   in Loop: Header=BB168_136 Depth=1
	s_or_b64 exec, exec, s[0:1]
	v_cmp_lt_u32_e32 vcc, s31, v15
	s_and_saveexec_b64 s[0:1], vcc
	s_cbranch_execz .LBB168_161
; %bb.156:                              ;   in Loop: Header=BB168_136 Depth=1
	v_mov_b32_e32 v23, v6
	v_cmp_ne_u32_sdwa s[16:17], v15, s28 src0_sel:BYTE_3 src1_sel:DWORD
	v_mov_b32_e32 v22, v5
	s_and_saveexec_b64 s[12:13], s[16:17]
	s_cbranch_execz .LBB168_160
; %bb.157:                              ;   in Loop: Header=BB168_136 Depth=1
	v_bfe_u32 v40, v15, 24, 7
	v_mov_b32_e32 v11, v5
	v_mov_b32_e32 v23, v12
	v_cmp_ne_u32_e32 vcc, s29, v40
	v_mov_b32_e32 v22, v11
	s_and_saveexec_b64 s[16:17], vcc
	s_cbranch_execz .LBB168_159
; %bb.158:                              ;   in Loop: Header=BB168_136 Depth=1
	v_and_b32_sdwa v22, v15, v38 dst_sel:DWORD dst_unused:UNUSED_PAD src0_sel:BYTE_3 src1_sel:DWORD
	v_ffbh_u32_e32 v41, v22
	v_min_u32_e32 v43, 32, v41
	v_mov_b32_e32 v23, v5
	v_subrev_u32_e32 v41, 28, v43
	v_lshlrev_b64 v[41:42], v41, v[22:23]
	v_lshrrev_b32_e32 v11, 3, v40
	v_sub_u32_e32 v23, 29, v43
	v_cmp_gt_u32_e32 vcc, 8, v40
	v_and_b32_e32 v41, 7, v41
	v_cndmask_b32_e32 v11, v11, v23, vcc
	v_cndmask_b32_e32 v22, v22, v41, vcc
	v_lshlrev_b32_sdwa v15, v39, v15 dst_sel:DWORD dst_unused:UNUSED_PAD src0_sel:DWORD src1_sel:BYTE_3
	v_lshl_add_u32 v11, v11, 23, v37
	v_and_or_b32 v11, v15, s30, v11
	v_lshlrev_b32_e32 v15, 20, v22
	v_or_b32_e32 v23, v11, v15
	v_mov_b32_e32 v22, v5
.LBB168_159:                            ;   in Loop: Header=BB168_136 Depth=1
	s_or_b64 exec, exec, s[16:17]
.LBB168_160:                            ;   in Loop: Header=BB168_136 Depth=1
	s_or_b64 exec, exec, s[12:13]
.LBB168_161:                            ;   in Loop: Header=BB168_136 Depth=1
	s_or_b64 exec, exec, s[0:1]
	v_or_b32_e32 v11, v19, v17
	v_or_b32_e32 v15, v18, v16
	v_add_u32_e32 v44, v32, v26
	s_waitcnt lgkmcnt(0)
	v_mul_f32_e32 v40, s37, v11
	v_mul_f32_e32 v43, s37, v15
	v_or_b32_e32 v11, v23, v21
	v_or_b32_e32 v15, v22, v20
	v_cmp_eq_u32_e32 vcc, s35, v25
	v_mul_f32_e32 v42, s37, v15
	v_mul_f32_e32 v41, s37, v11
	v_add_u32_e32 v47, 1, v44
	v_add_u32_e32 v46, 2, v44
	;; [unrolled: 1-line block ×3, first 2 shown]
	s_and_saveexec_b64 s[12:13], vcc
; %bb.162:                              ;   in Loop: Header=BB168_136 Depth=1
	v_cmp_gt_i32_e64 s[0:1], s33, v44
	v_cndmask_b32_e64 v43, 0, v43, s[0:1]
	v_cmp_gt_i32_e64 s[0:1], s33, v47
	v_cndmask_b32_e64 v40, 0, v40, s[0:1]
	;; [unrolled: 2-line block ×4, first 2 shown]
; %bb.163:                              ;   in Loop: Header=BB168_136 Depth=1
	s_or_b64 exec, exec, s[12:13]
	global_load_dword v15, v[13:14], off offset:256
	v_mov_b32_e32 v18, 0
	v_mov_b32_e32 v16, 0
	;; [unrolled: 1-line block ×4, first 2 shown]
	s_waitcnt vmcnt(0)
	v_cmp_ne_u16_sdwa s[0:1], v15, v5 src0_sel:BYTE_0 src1_sel:DWORD
	s_and_saveexec_b64 s[12:13], s[0:1]
	s_cbranch_execz .LBB168_169
; %bb.164:                              ;   in Loop: Header=BB168_136 Depth=1
	v_bfrev_b32_e32 v16, 1
	v_mov_b32_e32 v17, 0
	v_cmp_ne_u16_sdwa s[0:1], v15, s28 src0_sel:BYTE_0 src1_sel:DWORD
	s_and_saveexec_b64 s[16:17], s[0:1]
	s_cbranch_execz .LBB168_168
; %bb.165:                              ;   in Loop: Header=BB168_136 Depth=1
	v_and_b32_e32 v11, 0x7f, v15
	v_mov_b32_e32 v16, 0x7f800001
	v_mov_b32_e32 v17, 0
	v_cmp_ne_u32_e64 s[0:1], s29, v11
	s_and_saveexec_b64 s[18:19], s[0:1]
	s_cbranch_execz .LBB168_167
; %bb.166:                              ;   in Loop: Header=BB168_136 Depth=1
	v_and_b32_e32 v20, 7, v15
	v_ffbh_u32_e32 v16, v20
	v_min_u32_e32 v22, 32, v16
	v_subrev_u32_e32 v16, 28, v22
	v_lshlrev_b64 v[16:17], v16, v[15:16]
	v_lshrrev_b32_e32 v21, 3, v11
	v_sub_u32_e32 v17, 29, v22
	v_and_b32_e32 v16, 7, v16
	v_cmp_gt_u32_e64 s[0:1], 8, v11
	v_cndmask_b32_e64 v11, v21, v17, s[0:1]
	v_cndmask_b32_e64 v16, v20, v16, s[0:1]
	v_lshlrev_b32_e32 v16, 20, v16
	v_and_b32_sdwa v17, sext(v15), s30 dst_sel:DWORD dst_unused:UNUSED_PAD src0_sel:BYTE_0 src1_sel:DWORD
	v_lshl_add_u32 v11, v11, 23, v37
	v_or3_b32 v16, v17, v11, v16
	v_mov_b32_e32 v17, v5
.LBB168_167:                            ;   in Loop: Header=BB168_136 Depth=1
	s_or_b64 exec, exec, s[18:19]
.LBB168_168:                            ;   in Loop: Header=BB168_136 Depth=1
	s_or_b64 exec, exec, s[16:17]
.LBB168_169:                            ;   in Loop: Header=BB168_136 Depth=1
	s_or_b64 exec, exec, s[12:13]
	v_cmp_ne_u16_sdwa s[0:1], v15, v5 src0_sel:BYTE_1 src1_sel:DWORD
	s_and_saveexec_b64 s[12:13], s[0:1]
	s_cbranch_execz .LBB168_175
; %bb.170:                              ;   in Loop: Header=BB168_136 Depth=1
	v_mov_b32_e32 v19, v6
	v_cmp_ne_u16_sdwa s[0:1], v15, s28 src0_sel:BYTE_1 src1_sel:DWORD
	v_mov_b32_e32 v18, v5
	s_and_saveexec_b64 s[16:17], s[0:1]
	s_cbranch_execz .LBB168_174
; %bb.171:                              ;   in Loop: Header=BB168_136 Depth=1
	v_and_b32_sdwa v20, v15, s29 dst_sel:DWORD dst_unused:UNUSED_PAD src0_sel:BYTE_1 src1_sel:DWORD
	v_mov_b32_e32 v11, v5
	v_mov_b32_e32 v19, v12
	v_cmp_ne_u32_e64 s[0:1], s29, v20
	v_mov_b32_e32 v18, v11
	s_and_saveexec_b64 s[18:19], s[0:1]
	s_cbranch_execz .LBB168_173
; %bb.172:                              ;   in Loop: Header=BB168_136 Depth=1
	v_and_b32_sdwa v18, v15, v38 dst_sel:DWORD dst_unused:UNUSED_PAD src0_sel:BYTE_1 src1_sel:DWORD
	v_ffbh_u32_e32 v21, v18
	v_min_u32_e32 v23, 32, v21
	v_mov_b32_e32 v19, v5
	v_subrev_u32_e32 v21, 28, v23
	v_lshlrev_b64 v[21:22], v21, v[18:19]
	v_lshrrev_b32_e32 v11, 3, v20
	v_sub_u32_e32 v19, 29, v23
	v_cmp_gt_u32_e64 s[0:1], 8, v20
	v_and_b32_e32 v21, 7, v21
	v_cndmask_b32_e64 v11, v11, v19, s[0:1]
	v_cndmask_b32_e64 v18, v18, v21, s[0:1]
	v_lshlrev_b32_e32 v19, 16, v15
	v_lshl_add_u32 v11, v11, 23, v37
	v_and_or_b32 v11, v19, s30, v11
	v_lshlrev_b32_e32 v18, 20, v18
	v_or_b32_e32 v19, v11, v18
	v_mov_b32_e32 v18, v5
.LBB168_173:                            ;   in Loop: Header=BB168_136 Depth=1
	s_or_b64 exec, exec, s[18:19]
.LBB168_174:                            ;   in Loop: Header=BB168_136 Depth=1
	s_or_b64 exec, exec, s[16:17]
.LBB168_175:                            ;   in Loop: Header=BB168_136 Depth=1
	s_or_b64 exec, exec, s[12:13]
	v_lshrrev_b32_e32 v11, 16, v15
	v_mov_b32_e32 v22, 0
	v_mov_b32_e32 v20, 0
	;; [unrolled: 1-line block ×4, first 2 shown]
	v_cmp_ne_u16_sdwa s[0:1], v11, v5 src0_sel:BYTE_0 src1_sel:DWORD
	s_and_saveexec_b64 s[12:13], s[0:1]
	s_cbranch_execz .LBB168_181
; %bb.176:                              ;   in Loop: Header=BB168_136 Depth=1
	v_bfrev_b32_e32 v20, 1
	v_mov_b32_e32 v21, 0
	v_cmp_ne_u16_sdwa s[0:1], v11, s28 src0_sel:BYTE_0 src1_sel:DWORD
	s_and_saveexec_b64 s[16:17], s[0:1]
	s_cbranch_execz .LBB168_180
; %bb.177:                              ;   in Loop: Header=BB168_136 Depth=1
	v_bfe_u32 v48, v15, 16, 7
	v_mov_b32_e32 v20, 0x7f800001
	v_mov_b32_e32 v21, 0
	v_cmp_ne_u32_e64 s[0:1], s29, v48
	s_and_saveexec_b64 s[18:19], s[0:1]
	s_cbranch_execz .LBB168_179
; %bb.178:                              ;   in Loop: Header=BB168_136 Depth=1
	v_and_b32_e32 v49, 7, v11
	v_ffbh_u32_e32 v20, v49
	v_min_u32_e32 v51, 32, v20
	v_subrev_u32_e32 v20, 28, v51
	v_lshlrev_b64 v[20:21], v20, v[11:12]
	v_lshrrev_b32_e32 v50, 3, v48
	v_sub_u32_e32 v21, 29, v51
	v_and_b32_e32 v20, 7, v20
	v_cmp_gt_u32_e64 s[0:1], 8, v48
	v_cndmask_b32_e64 v21, v50, v21, s[0:1]
	v_cndmask_b32_e64 v20, v49, v20, s[0:1]
	v_lshlrev_b32_e32 v20, 20, v20
	v_and_b32_sdwa v11, sext(v11), s30 dst_sel:DWORD dst_unused:UNUSED_PAD src0_sel:BYTE_0 src1_sel:DWORD
	v_lshl_add_u32 v21, v21, 23, v37
	v_or3_b32 v20, v11, v21, v20
	v_mov_b32_e32 v21, v5
.LBB168_179:                            ;   in Loop: Header=BB168_136 Depth=1
	s_or_b64 exec, exec, s[18:19]
.LBB168_180:                            ;   in Loop: Header=BB168_136 Depth=1
	s_or_b64 exec, exec, s[16:17]
.LBB168_181:                            ;   in Loop: Header=BB168_136 Depth=1
	s_or_b64 exec, exec, s[12:13]
	v_cmp_lt_u32_e64 s[0:1], s31, v15
	s_and_saveexec_b64 s[12:13], s[0:1]
	s_cbranch_execz .LBB168_187
; %bb.182:                              ;   in Loop: Header=BB168_136 Depth=1
	v_mov_b32_e32 v23, v6
	v_cmp_ne_u32_sdwa s[0:1], v15, s28 src0_sel:BYTE_3 src1_sel:DWORD
	v_mov_b32_e32 v22, v5
	s_and_saveexec_b64 s[16:17], s[0:1]
	s_cbranch_execz .LBB168_186
; %bb.183:                              ;   in Loop: Header=BB168_136 Depth=1
	v_bfe_u32 v48, v15, 24, 7
	v_mov_b32_e32 v11, v5
	v_mov_b32_e32 v23, v12
	v_cmp_ne_u32_e64 s[0:1], s29, v48
	v_mov_b32_e32 v22, v11
	s_and_saveexec_b64 s[18:19], s[0:1]
	s_cbranch_execz .LBB168_185
; %bb.184:                              ;   in Loop: Header=BB168_136 Depth=1
	v_and_b32_sdwa v22, v15, v38 dst_sel:DWORD dst_unused:UNUSED_PAD src0_sel:BYTE_3 src1_sel:DWORD
	v_ffbh_u32_e32 v49, v22
	v_min_u32_e32 v51, 32, v49
	v_mov_b32_e32 v23, v5
	v_subrev_u32_e32 v49, 28, v51
	v_lshlrev_b64 v[49:50], v49, v[22:23]
	v_lshrrev_b32_e32 v11, 3, v48
	v_sub_u32_e32 v23, 29, v51
	v_cmp_gt_u32_e64 s[0:1], 8, v48
	v_and_b32_e32 v49, 7, v49
	v_cndmask_b32_e64 v11, v11, v23, s[0:1]
	v_cndmask_b32_e64 v22, v22, v49, s[0:1]
	v_lshlrev_b32_sdwa v15, v39, v15 dst_sel:DWORD dst_unused:UNUSED_PAD src0_sel:DWORD src1_sel:BYTE_3
	v_lshl_add_u32 v11, v11, 23, v37
	v_and_or_b32 v11, v15, s30, v11
	v_lshlrev_b32_e32 v15, 20, v22
	v_or_b32_e32 v23, v11, v15
	v_mov_b32_e32 v22, v5
.LBB168_185:                            ;   in Loop: Header=BB168_136 Depth=1
	s_or_b64 exec, exec, s[18:19]
.LBB168_186:                            ;   in Loop: Header=BB168_136 Depth=1
	s_or_b64 exec, exec, s[16:17]
.LBB168_187:                            ;   in Loop: Header=BB168_136 Depth=1
	s_or_b64 exec, exec, s[12:13]
	s_mov_b32 s38, s37
	v_or_b32_e32 v11, v19, v17
	v_or_b32_e32 v15, v18, v16
	v_mul_f32_e32 v48, s38, v11
	v_mul_f32_e32 v51, s37, v15
	v_or_b32_e32 v11, v23, v21
	v_or_b32_e32 v15, v22, v20
	v_mul_f32_e32 v50, s37, v15
	v_mul_f32_e32 v49, s38, v11
	s_and_saveexec_b64 s[12:13], vcc
; %bb.188:                              ;   in Loop: Header=BB168_136 Depth=1
	v_cmp_gt_i32_e64 s[0:1], s33, v44
	v_cndmask_b32_e64 v51, 0, v51, s[0:1]
	v_cmp_gt_i32_e64 s[0:1], s33, v47
	v_cndmask_b32_e64 v48, 0, v48, s[0:1]
	;; [unrolled: 2-line block ×4, first 2 shown]
; %bb.189:                              ;   in Loop: Header=BB168_136 Depth=1
	s_or_b64 exec, exec, s[12:13]
	global_load_dword v15, v[13:14], off offset:512
	v_mov_b32_e32 v18, 0
	v_mov_b32_e32 v16, 0
	;; [unrolled: 1-line block ×4, first 2 shown]
	s_waitcnt vmcnt(0)
	v_cmp_ne_u16_sdwa s[0:1], v15, v5 src0_sel:BYTE_0 src1_sel:DWORD
	s_and_saveexec_b64 s[12:13], s[0:1]
	s_cbranch_execz .LBB168_195
; %bb.190:                              ;   in Loop: Header=BB168_136 Depth=1
	v_bfrev_b32_e32 v16, 1
	v_mov_b32_e32 v17, 0
	v_cmp_ne_u16_sdwa s[0:1], v15, s28 src0_sel:BYTE_0 src1_sel:DWORD
	s_and_saveexec_b64 s[16:17], s[0:1]
	s_cbranch_execz .LBB168_194
; %bb.191:                              ;   in Loop: Header=BB168_136 Depth=1
	v_and_b32_e32 v11, 0x7f, v15
	v_mov_b32_e32 v16, 0x7f800001
	v_mov_b32_e32 v17, 0
	v_cmp_ne_u32_e64 s[0:1], s29, v11
	s_and_saveexec_b64 s[18:19], s[0:1]
	s_cbranch_execz .LBB168_193
; %bb.192:                              ;   in Loop: Header=BB168_136 Depth=1
	v_and_b32_e32 v20, 7, v15
	v_ffbh_u32_e32 v16, v20
	v_min_u32_e32 v22, 32, v16
	v_subrev_u32_e32 v16, 28, v22
	v_lshlrev_b64 v[16:17], v16, v[15:16]
	v_lshrrev_b32_e32 v21, 3, v11
	v_sub_u32_e32 v17, 29, v22
	v_and_b32_e32 v16, 7, v16
	v_cmp_gt_u32_e64 s[0:1], 8, v11
	v_cndmask_b32_e64 v11, v21, v17, s[0:1]
	v_cndmask_b32_e64 v16, v20, v16, s[0:1]
	v_lshlrev_b32_e32 v16, 20, v16
	v_and_b32_sdwa v17, sext(v15), s30 dst_sel:DWORD dst_unused:UNUSED_PAD src0_sel:BYTE_0 src1_sel:DWORD
	v_lshl_add_u32 v11, v11, 23, v37
	v_or3_b32 v16, v17, v11, v16
	v_mov_b32_e32 v17, v5
.LBB168_193:                            ;   in Loop: Header=BB168_136 Depth=1
	s_or_b64 exec, exec, s[18:19]
.LBB168_194:                            ;   in Loop: Header=BB168_136 Depth=1
	s_or_b64 exec, exec, s[16:17]
.LBB168_195:                            ;   in Loop: Header=BB168_136 Depth=1
	s_or_b64 exec, exec, s[12:13]
	v_cmp_ne_u16_sdwa s[0:1], v15, v5 src0_sel:BYTE_1 src1_sel:DWORD
	s_and_saveexec_b64 s[12:13], s[0:1]
	s_cbranch_execz .LBB168_201
; %bb.196:                              ;   in Loop: Header=BB168_136 Depth=1
	v_mov_b32_e32 v19, v6
	v_cmp_ne_u16_sdwa s[0:1], v15, s28 src0_sel:BYTE_1 src1_sel:DWORD
	v_mov_b32_e32 v18, v5
	s_and_saveexec_b64 s[16:17], s[0:1]
	s_cbranch_execz .LBB168_200
; %bb.197:                              ;   in Loop: Header=BB168_136 Depth=1
	v_and_b32_sdwa v20, v15, s29 dst_sel:DWORD dst_unused:UNUSED_PAD src0_sel:BYTE_1 src1_sel:DWORD
	v_mov_b32_e32 v11, v5
	v_mov_b32_e32 v19, v12
	v_cmp_ne_u32_e64 s[0:1], s29, v20
	v_mov_b32_e32 v18, v11
	s_and_saveexec_b64 s[18:19], s[0:1]
	s_cbranch_execz .LBB168_199
; %bb.198:                              ;   in Loop: Header=BB168_136 Depth=1
	v_and_b32_sdwa v18, v15, v38 dst_sel:DWORD dst_unused:UNUSED_PAD src0_sel:BYTE_1 src1_sel:DWORD
	v_ffbh_u32_e32 v21, v18
	v_min_u32_e32 v23, 32, v21
	v_mov_b32_e32 v19, v5
	v_subrev_u32_e32 v21, 28, v23
	v_lshlrev_b64 v[21:22], v21, v[18:19]
	v_lshrrev_b32_e32 v11, 3, v20
	v_sub_u32_e32 v19, 29, v23
	v_cmp_gt_u32_e64 s[0:1], 8, v20
	v_and_b32_e32 v21, 7, v21
	v_cndmask_b32_e64 v11, v11, v19, s[0:1]
	v_cndmask_b32_e64 v18, v18, v21, s[0:1]
	v_lshlrev_b32_e32 v19, 16, v15
	v_lshl_add_u32 v11, v11, 23, v37
	v_and_or_b32 v11, v19, s30, v11
	v_lshlrev_b32_e32 v18, 20, v18
	v_or_b32_e32 v19, v11, v18
	v_mov_b32_e32 v18, v5
.LBB168_199:                            ;   in Loop: Header=BB168_136 Depth=1
	s_or_b64 exec, exec, s[18:19]
.LBB168_200:                            ;   in Loop: Header=BB168_136 Depth=1
	s_or_b64 exec, exec, s[16:17]
.LBB168_201:                            ;   in Loop: Header=BB168_136 Depth=1
	s_or_b64 exec, exec, s[12:13]
	v_lshrrev_b32_e32 v11, 16, v15
	v_mov_b32_e32 v22, 0
	v_mov_b32_e32 v20, 0
	;; [unrolled: 1-line block ×4, first 2 shown]
	v_cmp_ne_u16_sdwa s[0:1], v11, v5 src0_sel:BYTE_0 src1_sel:DWORD
	s_and_saveexec_b64 s[12:13], s[0:1]
	s_cbranch_execz .LBB168_207
; %bb.202:                              ;   in Loop: Header=BB168_136 Depth=1
	v_bfrev_b32_e32 v20, 1
	v_mov_b32_e32 v21, 0
	v_cmp_ne_u16_sdwa s[0:1], v11, s28 src0_sel:BYTE_0 src1_sel:DWORD
	s_and_saveexec_b64 s[16:17], s[0:1]
	s_cbranch_execz .LBB168_206
; %bb.203:                              ;   in Loop: Header=BB168_136 Depth=1
	v_bfe_u32 v52, v15, 16, 7
	v_mov_b32_e32 v20, 0x7f800001
	v_mov_b32_e32 v21, 0
	v_cmp_ne_u32_e64 s[0:1], s29, v52
	s_and_saveexec_b64 s[18:19], s[0:1]
	s_cbranch_execz .LBB168_205
; %bb.204:                              ;   in Loop: Header=BB168_136 Depth=1
	v_and_b32_e32 v53, 7, v11
	v_ffbh_u32_e32 v20, v53
	v_min_u32_e32 v55, 32, v20
	v_subrev_u32_e32 v20, 28, v55
	v_lshlrev_b64 v[20:21], v20, v[11:12]
	v_lshrrev_b32_e32 v54, 3, v52
	v_sub_u32_e32 v21, 29, v55
	v_and_b32_e32 v20, 7, v20
	v_cmp_gt_u32_e64 s[0:1], 8, v52
	v_cndmask_b32_e64 v21, v54, v21, s[0:1]
	v_cndmask_b32_e64 v20, v53, v20, s[0:1]
	v_lshlrev_b32_e32 v20, 20, v20
	v_and_b32_sdwa v11, sext(v11), s30 dst_sel:DWORD dst_unused:UNUSED_PAD src0_sel:BYTE_0 src1_sel:DWORD
	v_lshl_add_u32 v21, v21, 23, v37
	v_or3_b32 v20, v11, v21, v20
	v_mov_b32_e32 v21, v5
.LBB168_205:                            ;   in Loop: Header=BB168_136 Depth=1
	s_or_b64 exec, exec, s[18:19]
.LBB168_206:                            ;   in Loop: Header=BB168_136 Depth=1
	s_or_b64 exec, exec, s[16:17]
.LBB168_207:                            ;   in Loop: Header=BB168_136 Depth=1
	s_or_b64 exec, exec, s[12:13]
	v_cmp_lt_u32_e64 s[0:1], s31, v15
	s_and_saveexec_b64 s[12:13], s[0:1]
	s_cbranch_execz .LBB168_213
; %bb.208:                              ;   in Loop: Header=BB168_136 Depth=1
	v_mov_b32_e32 v23, v6
	v_cmp_ne_u32_sdwa s[0:1], v15, s28 src0_sel:BYTE_3 src1_sel:DWORD
	v_mov_b32_e32 v22, v5
	s_and_saveexec_b64 s[16:17], s[0:1]
	s_cbranch_execz .LBB168_212
; %bb.209:                              ;   in Loop: Header=BB168_136 Depth=1
	v_bfe_u32 v52, v15, 24, 7
	v_mov_b32_e32 v11, v5
	v_mov_b32_e32 v23, v12
	v_cmp_ne_u32_e64 s[0:1], s29, v52
	v_mov_b32_e32 v22, v11
	s_and_saveexec_b64 s[18:19], s[0:1]
	s_cbranch_execz .LBB168_211
; %bb.210:                              ;   in Loop: Header=BB168_136 Depth=1
	v_and_b32_sdwa v22, v15, v38 dst_sel:DWORD dst_unused:UNUSED_PAD src0_sel:BYTE_3 src1_sel:DWORD
	v_ffbh_u32_e32 v53, v22
	v_min_u32_e32 v55, 32, v53
	v_mov_b32_e32 v23, v5
	v_subrev_u32_e32 v53, 28, v55
	v_lshlrev_b64 v[53:54], v53, v[22:23]
	v_lshrrev_b32_e32 v11, 3, v52
	v_sub_u32_e32 v23, 29, v55
	v_cmp_gt_u32_e64 s[0:1], 8, v52
	v_and_b32_e32 v53, 7, v53
	v_cndmask_b32_e64 v11, v11, v23, s[0:1]
	v_cndmask_b32_e64 v22, v22, v53, s[0:1]
	v_lshlrev_b32_sdwa v15, v39, v15 dst_sel:DWORD dst_unused:UNUSED_PAD src0_sel:DWORD src1_sel:BYTE_3
	v_lshl_add_u32 v11, v11, 23, v37
	v_and_or_b32 v11, v15, s30, v11
	v_lshlrev_b32_e32 v15, 20, v22
	v_or_b32_e32 v23, v11, v15
	v_mov_b32_e32 v22, v5
.LBB168_211:                            ;   in Loop: Header=BB168_136 Depth=1
	s_or_b64 exec, exec, s[18:19]
.LBB168_212:                            ;   in Loop: Header=BB168_136 Depth=1
	s_or_b64 exec, exec, s[16:17]
.LBB168_213:                            ;   in Loop: Header=BB168_136 Depth=1
	s_or_b64 exec, exec, s[12:13]
	v_or_b32_e32 v11, v19, v17
	v_or_b32_e32 v15, v18, v16
	v_mul_f32_e32 v52, s38, v11
	v_mul_f32_e32 v53, s37, v15
	v_or_b32_e32 v11, v23, v21
	v_or_b32_e32 v15, v22, v20
	v_mul_f32_e32 v23, s37, v15
	v_mul_f32_e32 v22, s38, v11
	s_and_saveexec_b64 s[12:13], vcc
; %bb.214:                              ;   in Loop: Header=BB168_136 Depth=1
	v_cmp_gt_i32_e64 s[0:1], s33, v44
	v_cndmask_b32_e64 v53, 0, v53, s[0:1]
	v_cmp_gt_i32_e64 s[0:1], s33, v47
	v_cndmask_b32_e64 v52, 0, v52, s[0:1]
	;; [unrolled: 2-line block ×4, first 2 shown]
; %bb.215:                              ;   in Loop: Header=BB168_136 Depth=1
	s_or_b64 exec, exec, s[12:13]
	global_load_dword v13, v[13:14], off offset:768
	v_mov_b32_e32 v16, 0
	v_mov_b32_e32 v14, 0
	;; [unrolled: 1-line block ×4, first 2 shown]
	s_waitcnt vmcnt(0)
	v_cmp_ne_u16_sdwa s[0:1], v13, v5 src0_sel:BYTE_0 src1_sel:DWORD
	s_and_saveexec_b64 s[12:13], s[0:1]
	s_cbranch_execz .LBB168_221
; %bb.216:                              ;   in Loop: Header=BB168_136 Depth=1
	v_bfrev_b32_e32 v14, 1
	v_mov_b32_e32 v15, 0
	v_cmp_ne_u16_sdwa s[0:1], v13, s28 src0_sel:BYTE_0 src1_sel:DWORD
	s_and_saveexec_b64 s[16:17], s[0:1]
	s_cbranch_execz .LBB168_220
; %bb.217:                              ;   in Loop: Header=BB168_136 Depth=1
	v_and_b32_e32 v11, 0x7f, v13
	v_mov_b32_e32 v14, 0x7f800001
	v_mov_b32_e32 v15, 0
	v_cmp_ne_u32_e64 s[0:1], s29, v11
	s_and_saveexec_b64 s[18:19], s[0:1]
	s_cbranch_execz .LBB168_219
; %bb.218:                              ;   in Loop: Header=BB168_136 Depth=1
	v_and_b32_e32 v18, 7, v13
	v_ffbh_u32_e32 v14, v18
	v_min_u32_e32 v20, 32, v14
	v_subrev_u32_e32 v14, 28, v20
	v_lshlrev_b64 v[14:15], v14, v[13:14]
	v_lshrrev_b32_e32 v19, 3, v11
	v_sub_u32_e32 v15, 29, v20
	v_and_b32_e32 v14, 7, v14
	v_cmp_gt_u32_e64 s[0:1], 8, v11
	v_cndmask_b32_e64 v11, v19, v15, s[0:1]
	v_cndmask_b32_e64 v14, v18, v14, s[0:1]
	v_lshlrev_b32_e32 v14, 20, v14
	v_and_b32_sdwa v15, sext(v13), s30 dst_sel:DWORD dst_unused:UNUSED_PAD src0_sel:BYTE_0 src1_sel:DWORD
	v_lshl_add_u32 v11, v11, 23, v37
	v_or3_b32 v14, v15, v11, v14
	v_mov_b32_e32 v15, v5
.LBB168_219:                            ;   in Loop: Header=BB168_136 Depth=1
	s_or_b64 exec, exec, s[18:19]
.LBB168_220:                            ;   in Loop: Header=BB168_136 Depth=1
	s_or_b64 exec, exec, s[16:17]
.LBB168_221:                            ;   in Loop: Header=BB168_136 Depth=1
	s_or_b64 exec, exec, s[12:13]
	v_cmp_ne_u16_sdwa s[0:1], v13, v5 src0_sel:BYTE_1 src1_sel:DWORD
	s_and_saveexec_b64 s[12:13], s[0:1]
	s_cbranch_execz .LBB168_227
; %bb.222:                              ;   in Loop: Header=BB168_136 Depth=1
	v_mov_b32_e32 v17, v6
	v_cmp_ne_u16_sdwa s[0:1], v13, s28 src0_sel:BYTE_1 src1_sel:DWORD
	v_mov_b32_e32 v16, v5
	s_and_saveexec_b64 s[16:17], s[0:1]
	s_cbranch_execz .LBB168_226
; %bb.223:                              ;   in Loop: Header=BB168_136 Depth=1
	v_and_b32_sdwa v18, v13, s29 dst_sel:DWORD dst_unused:UNUSED_PAD src0_sel:BYTE_1 src1_sel:DWORD
	v_mov_b32_e32 v11, v5
	v_mov_b32_e32 v17, v12
	v_cmp_ne_u32_e64 s[0:1], s29, v18
	v_mov_b32_e32 v16, v11
	s_and_saveexec_b64 s[18:19], s[0:1]
	s_cbranch_execz .LBB168_225
; %bb.224:                              ;   in Loop: Header=BB168_136 Depth=1
	v_and_b32_sdwa v16, v13, v38 dst_sel:DWORD dst_unused:UNUSED_PAD src0_sel:BYTE_1 src1_sel:DWORD
	v_ffbh_u32_e32 v19, v16
	v_min_u32_e32 v21, 32, v19
	v_mov_b32_e32 v17, v5
	v_subrev_u32_e32 v19, 28, v21
	v_lshlrev_b64 v[19:20], v19, v[16:17]
	v_lshrrev_b32_e32 v11, 3, v18
	v_sub_u32_e32 v17, 29, v21
	v_cmp_gt_u32_e64 s[0:1], 8, v18
	v_and_b32_e32 v19, 7, v19
	v_cndmask_b32_e64 v11, v11, v17, s[0:1]
	v_cndmask_b32_e64 v16, v16, v19, s[0:1]
	v_lshlrev_b32_e32 v17, 16, v13
	v_lshl_add_u32 v11, v11, 23, v37
	v_and_or_b32 v11, v17, s30, v11
	v_lshlrev_b32_e32 v16, 20, v16
	v_or_b32_e32 v17, v11, v16
	v_mov_b32_e32 v16, v5
.LBB168_225:                            ;   in Loop: Header=BB168_136 Depth=1
	s_or_b64 exec, exec, s[18:19]
.LBB168_226:                            ;   in Loop: Header=BB168_136 Depth=1
	s_or_b64 exec, exec, s[16:17]
.LBB168_227:                            ;   in Loop: Header=BB168_136 Depth=1
	s_or_b64 exec, exec, s[12:13]
	v_lshrrev_b32_e32 v11, 16, v13
	v_mov_b32_e32 v20, 0
	v_mov_b32_e32 v18, 0
	;; [unrolled: 1-line block ×4, first 2 shown]
	v_cmp_ne_u16_sdwa s[0:1], v11, v5 src0_sel:BYTE_0 src1_sel:DWORD
	s_and_saveexec_b64 s[12:13], s[0:1]
	s_cbranch_execz .LBB168_233
; %bb.228:                              ;   in Loop: Header=BB168_136 Depth=1
	v_bfrev_b32_e32 v18, 1
	v_mov_b32_e32 v19, 0
	v_cmp_ne_u16_sdwa s[0:1], v11, s28 src0_sel:BYTE_0 src1_sel:DWORD
	s_and_saveexec_b64 s[16:17], s[0:1]
	s_cbranch_execz .LBB168_232
; %bb.229:                              ;   in Loop: Header=BB168_136 Depth=1
	v_bfe_u32 v54, v13, 16, 7
	v_mov_b32_e32 v18, 0x7f800001
	v_mov_b32_e32 v19, 0
	v_cmp_ne_u32_e64 s[0:1], s29, v54
	s_and_saveexec_b64 s[18:19], s[0:1]
	s_cbranch_execz .LBB168_231
; %bb.230:                              ;   in Loop: Header=BB168_136 Depth=1
	v_and_b32_e32 v55, 7, v11
	v_ffbh_u32_e32 v18, v55
	v_min_u32_e32 v57, 32, v18
	v_subrev_u32_e32 v18, 28, v57
	v_lshlrev_b64 v[18:19], v18, v[11:12]
	v_lshrrev_b32_e32 v56, 3, v54
	v_sub_u32_e32 v19, 29, v57
	v_and_b32_e32 v18, 7, v18
	v_cmp_gt_u32_e64 s[0:1], 8, v54
	v_cndmask_b32_e64 v19, v56, v19, s[0:1]
	v_cndmask_b32_e64 v18, v55, v18, s[0:1]
	v_lshlrev_b32_e32 v18, 20, v18
	v_and_b32_sdwa v11, sext(v11), s30 dst_sel:DWORD dst_unused:UNUSED_PAD src0_sel:BYTE_0 src1_sel:DWORD
	v_lshl_add_u32 v19, v19, 23, v37
	v_or3_b32 v18, v11, v19, v18
	v_mov_b32_e32 v19, v5
.LBB168_231:                            ;   in Loop: Header=BB168_136 Depth=1
	s_or_b64 exec, exec, s[18:19]
.LBB168_232:                            ;   in Loop: Header=BB168_136 Depth=1
	s_or_b64 exec, exec, s[16:17]
.LBB168_233:                            ;   in Loop: Header=BB168_136 Depth=1
	s_or_b64 exec, exec, s[12:13]
	v_cmp_lt_u32_e64 s[0:1], s31, v13
	s_and_saveexec_b64 s[12:13], s[0:1]
	s_cbranch_execz .LBB168_239
; %bb.234:                              ;   in Loop: Header=BB168_136 Depth=1
	v_mov_b32_e32 v21, v6
	v_cmp_ne_u32_sdwa s[0:1], v13, s28 src0_sel:BYTE_3 src1_sel:DWORD
	v_mov_b32_e32 v20, v5
	s_and_saveexec_b64 s[16:17], s[0:1]
	s_cbranch_execz .LBB168_238
; %bb.235:                              ;   in Loop: Header=BB168_136 Depth=1
	v_bfe_u32 v54, v13, 24, 7
	v_mov_b32_e32 v11, v5
	v_mov_b32_e32 v21, v12
	v_cmp_ne_u32_e64 s[0:1], s29, v54
	v_mov_b32_e32 v20, v11
	s_and_saveexec_b64 s[18:19], s[0:1]
	s_cbranch_execz .LBB168_237
; %bb.236:                              ;   in Loop: Header=BB168_136 Depth=1
	v_and_b32_sdwa v20, v13, v38 dst_sel:DWORD dst_unused:UNUSED_PAD src0_sel:BYTE_3 src1_sel:DWORD
	v_ffbh_u32_e32 v55, v20
	v_min_u32_e32 v57, 32, v55
	v_mov_b32_e32 v21, v5
	v_subrev_u32_e32 v55, 28, v57
	v_lshlrev_b64 v[55:56], v55, v[20:21]
	v_lshrrev_b32_e32 v11, 3, v54
	v_sub_u32_e32 v21, 29, v57
	v_cmp_gt_u32_e64 s[0:1], 8, v54
	v_and_b32_e32 v55, 7, v55
	v_cndmask_b32_e64 v11, v11, v21, s[0:1]
	v_cndmask_b32_e64 v20, v20, v55, s[0:1]
	v_lshlrev_b32_sdwa v13, v39, v13 dst_sel:DWORD dst_unused:UNUSED_PAD src0_sel:DWORD src1_sel:BYTE_3
	v_lshl_add_u32 v11, v11, 23, v37
	v_and_or_b32 v11, v13, s30, v11
	v_lshlrev_b32_e32 v13, 20, v20
	v_or_b32_e32 v21, v11, v13
	v_mov_b32_e32 v20, v5
.LBB168_237:                            ;   in Loop: Header=BB168_136 Depth=1
	s_or_b64 exec, exec, s[18:19]
.LBB168_238:                            ;   in Loop: Header=BB168_136 Depth=1
	s_or_b64 exec, exec, s[16:17]
.LBB168_239:                            ;   in Loop: Header=BB168_136 Depth=1
	s_or_b64 exec, exec, s[12:13]
	v_or_b32_e32 v13, v16, v14
	v_or_b32_e32 v11, v17, v15
	v_mul_f32_e32 v15, s37, v13
	v_or_b32_e32 v13, v21, v19
	v_or_b32_e32 v14, v20, v18
	v_mul_f32_e32 v11, s38, v11
	v_mul_f32_e32 v14, s37, v14
	;; [unrolled: 1-line block ×3, first 2 shown]
	s_and_saveexec_b64 s[0:1], vcc
	s_cbranch_execz .LBB168_134
; %bb.240:                              ;   in Loop: Header=BB168_136 Depth=1
	v_cmp_gt_i32_e32 vcc, s33, v44
	v_cndmask_b32_e32 v15, 0, v15, vcc
	v_cmp_gt_i32_e32 vcc, s33, v47
	v_cndmask_b32_e32 v11, 0, v11, vcc
	;; [unrolled: 2-line block ×4, first 2 shown]
	s_branch .LBB168_134
.LBB168_241:
	s_or_b64 exec, exec, s[4:5]
.LBB168_242:
	s_or_b64 exec, exec, s[2:3]
	ds_bpermute_b32 v1, v29, v35
	ds_bpermute_b32 v2, v29, v36
	;; [unrolled: 1-line block ×4, first 2 shown]
	v_and_b32_e32 v5, 0x3c1, v0
	s_waitcnt lgkmcnt(3)
	v_add_f32_e32 v1, v35, v1
	s_waitcnt lgkmcnt(2)
	v_add_f32_e32 v2, v36, v2
	;; [unrolled: 2-line block ×4, first 2 shown]
	v_cmp_eq_u32_e32 vcc, 64, v5
	s_barrier
	s_and_saveexec_b64 s[0:1], vcc
	s_cbranch_execz .LBB168_244
; %bb.243:
	v_mov_b32_e32 v6, 0x210
	v_lshl_add_u32 v6, v28, 1, v6
	ds_write2_b32 v6, v1, v2 offset1:32
	ds_write2_b32 v6, v3, v4 offset0:64 offset1:96
.LBB168_244:
	s_or_b64 exec, exec, s[0:1]
	v_cmp_gt_u32_e32 vcc, 64, v0
	s_waitcnt lgkmcnt(0)
	s_barrier
	s_and_saveexec_b64 s[0:1], vcc
	s_cbranch_execz .LBB168_251
; %bb.245:
	v_mov_b32_e32 v0, 0x210
	v_cmp_eq_u32_e32 vcc, 0, v31
	v_lshl_add_u32 v0, v24, 2, v0
	s_and_saveexec_b64 s[2:3], vcc
	s_cbranch_execnz .LBB168_254
; %bb.246:
	s_or_b64 exec, exec, s[2:3]
	s_and_saveexec_b64 s[2:3], vcc
	s_cbranch_execnz .LBB168_255
.LBB168_247:
	s_or_b64 exec, exec, s[2:3]
	s_and_saveexec_b64 s[2:3], vcc
	s_cbranch_execnz .LBB168_256
.LBB168_248:
	s_or_b64 exec, exec, s[2:3]
	s_and_saveexec_b64 s[2:3], vcc
	s_cbranch_execz .LBB168_250
.LBB168_249:
	ds_read_b32 v0, v0 offset:384
	s_waitcnt lgkmcnt(0)
	v_add_f32_e32 v4, v4, v0
.LBB168_250:
	s_or_b64 exec, exec, s[2:3]
.LBB168_251:
	s_or_b64 exec, exec, s[0:1]
	v_cmp_eq_u32_e32 vcc, 0, v5
	s_barrier
	s_and_saveexec_b64 s[0:1], vcc
	s_cbranch_execz .LBB168_253
; %bb.252:
	s_mul_i32 s0, s10, s11
	s_mul_i32 s0, s0, s9
	s_lshl_b32 s0, s0, 7
	s_ashr_i32 s1, s0, 31
	s_lshl_b64 s[0:1], s[0:1], 2
	s_add_u32 s2, s26, s0
	s_mul_i32 s0, s11, s24
	s_addc_u32 s3, s27, s1
	s_ashr_i32 s1, s0, 31
	s_lshl_b64 s[0:1], s[0:1], 2
	s_add_u32 s2, s2, s0
	s_addc_u32 s3, s3, s1
	s_lshl_b32 s0, s8, 7
	s_ashr_i32 s1, s0, 31
	s_lshl_b64 s[0:1], s[0:1], 2
	s_add_u32 s0, s2, s0
	s_addc_u32 s1, s3, s1
	v_lshlrev_b32_e32 v0, 2, v24
	global_store_dword v0, v1, s[0:1]
	global_store_dword v0, v2, s[0:1] offset:128
	global_store_dword v0, v3, s[0:1] offset:256
	;; [unrolled: 1-line block ×3, first 2 shown]
.LBB168_253:
	s_endpgm
.LBB168_254:
	ds_read_b32 v6, v0
	s_waitcnt lgkmcnt(0)
	v_add_f32_e32 v1, v1, v6
	s_or_b64 exec, exec, s[2:3]
	s_and_saveexec_b64 s[2:3], vcc
	s_cbranch_execz .LBB168_247
.LBB168_255:
	ds_read_b32 v6, v0 offset:128
	s_waitcnt lgkmcnt(0)
	v_add_f32_e32 v2, v2, v6
	s_or_b64 exec, exec, s[2:3]
	s_and_saveexec_b64 s[2:3], vcc
	s_cbranch_execz .LBB168_248
.LBB168_256:
	ds_read_b32 v6, v0 offset:256
	s_waitcnt lgkmcnt(0)
	v_add_f32_e32 v3, v3, v6
	s_or_b64 exec, exec, s[2:3]
	s_and_saveexec_b64 s[2:3], vcc
	s_cbranch_execnz .LBB168_249
	s_branch .LBB168_250
	.section	.rodata,"a",@progbits
	.p2align	6, 0x0
	.amdhsa_kernel _ZN4vllm25paged_attention_v1_kernelIfhLi128ELi8ELi128ELNS_18Fp8KVCacheDataTypeE1ELb1EEEvPT_PKS2_PKT0_S8_ifPKiSA_iPKfiiiSC_SC_iiiii
		.amdhsa_group_segment_fixed_size 528
		.amdhsa_private_segment_fixed_size 0
		.amdhsa_kernarg_size 384
		.amdhsa_user_sgpr_count 6
		.amdhsa_user_sgpr_private_segment_buffer 1
		.amdhsa_user_sgpr_dispatch_ptr 0
		.amdhsa_user_sgpr_queue_ptr 0
		.amdhsa_user_sgpr_kernarg_segment_ptr 1
		.amdhsa_user_sgpr_dispatch_id 0
		.amdhsa_user_sgpr_flat_scratch_init 0
		.amdhsa_user_sgpr_private_segment_size 0
		.amdhsa_uses_dynamic_stack 0
		.amdhsa_system_sgpr_private_segment_wavefront_offset 0
		.amdhsa_system_sgpr_workgroup_id_x 1
		.amdhsa_system_sgpr_workgroup_id_y 1
		.amdhsa_system_sgpr_workgroup_id_z 1
		.amdhsa_system_sgpr_workgroup_info 0
		.amdhsa_system_vgpr_workitem_id 0
		.amdhsa_next_free_vgpr 63
		.amdhsa_next_free_sgpr 55
		.amdhsa_reserve_vcc 1
		.amdhsa_reserve_flat_scratch 0
		.amdhsa_float_round_mode_32 0
		.amdhsa_float_round_mode_16_64 0
		.amdhsa_float_denorm_mode_32 3
		.amdhsa_float_denorm_mode_16_64 3
		.amdhsa_dx10_clamp 1
		.amdhsa_ieee_mode 1
		.amdhsa_fp16_overflow 0
		.amdhsa_exception_fp_ieee_invalid_op 0
		.amdhsa_exception_fp_denorm_src 0
		.amdhsa_exception_fp_ieee_div_zero 0
		.amdhsa_exception_fp_ieee_overflow 0
		.amdhsa_exception_fp_ieee_underflow 0
		.amdhsa_exception_fp_ieee_inexact 0
		.amdhsa_exception_int_div_zero 0
	.end_amdhsa_kernel
	.section	.text._ZN4vllm25paged_attention_v1_kernelIfhLi128ELi8ELi128ELNS_18Fp8KVCacheDataTypeE1ELb1EEEvPT_PKS2_PKT0_S8_ifPKiSA_iPKfiiiSC_SC_iiiii,"axG",@progbits,_ZN4vllm25paged_attention_v1_kernelIfhLi128ELi8ELi128ELNS_18Fp8KVCacheDataTypeE1ELb1EEEvPT_PKS2_PKT0_S8_ifPKiSA_iPKfiiiSC_SC_iiiii,comdat
.Lfunc_end168:
	.size	_ZN4vllm25paged_attention_v1_kernelIfhLi128ELi8ELi128ELNS_18Fp8KVCacheDataTypeE1ELb1EEEvPT_PKS2_PKT0_S8_ifPKiSA_iPKfiiiSC_SC_iiiii, .Lfunc_end168-_ZN4vllm25paged_attention_v1_kernelIfhLi128ELi8ELi128ELNS_18Fp8KVCacheDataTypeE1ELb1EEEvPT_PKS2_PKT0_S8_ifPKiSA_iPKfiiiSC_SC_iiiii
                                        ; -- End function
	.set _ZN4vllm25paged_attention_v1_kernelIfhLi128ELi8ELi128ELNS_18Fp8KVCacheDataTypeE1ELb1EEEvPT_PKS2_PKT0_S8_ifPKiSA_iPKfiiiSC_SC_iiiii.num_vgpr, 63
	.set _ZN4vllm25paged_attention_v1_kernelIfhLi128ELi8ELi128ELNS_18Fp8KVCacheDataTypeE1ELb1EEEvPT_PKS2_PKT0_S8_ifPKiSA_iPKfiiiSC_SC_iiiii.num_agpr, 0
	.set _ZN4vllm25paged_attention_v1_kernelIfhLi128ELi8ELi128ELNS_18Fp8KVCacheDataTypeE1ELb1EEEvPT_PKS2_PKT0_S8_ifPKiSA_iPKfiiiSC_SC_iiiii.numbered_sgpr, 55
	.set _ZN4vllm25paged_attention_v1_kernelIfhLi128ELi8ELi128ELNS_18Fp8KVCacheDataTypeE1ELb1EEEvPT_PKS2_PKT0_S8_ifPKiSA_iPKfiiiSC_SC_iiiii.num_named_barrier, 0
	.set _ZN4vllm25paged_attention_v1_kernelIfhLi128ELi8ELi128ELNS_18Fp8KVCacheDataTypeE1ELb1EEEvPT_PKS2_PKT0_S8_ifPKiSA_iPKfiiiSC_SC_iiiii.private_seg_size, 0
	.set _ZN4vllm25paged_attention_v1_kernelIfhLi128ELi8ELi128ELNS_18Fp8KVCacheDataTypeE1ELb1EEEvPT_PKS2_PKT0_S8_ifPKiSA_iPKfiiiSC_SC_iiiii.uses_vcc, 1
	.set _ZN4vllm25paged_attention_v1_kernelIfhLi128ELi8ELi128ELNS_18Fp8KVCacheDataTypeE1ELb1EEEvPT_PKS2_PKT0_S8_ifPKiSA_iPKfiiiSC_SC_iiiii.uses_flat_scratch, 0
	.set _ZN4vllm25paged_attention_v1_kernelIfhLi128ELi8ELi128ELNS_18Fp8KVCacheDataTypeE1ELb1EEEvPT_PKS2_PKT0_S8_ifPKiSA_iPKfiiiSC_SC_iiiii.has_dyn_sized_stack, 0
	.set _ZN4vllm25paged_attention_v1_kernelIfhLi128ELi8ELi128ELNS_18Fp8KVCacheDataTypeE1ELb1EEEvPT_PKS2_PKT0_S8_ifPKiSA_iPKfiiiSC_SC_iiiii.has_recursion, 0
	.set _ZN4vllm25paged_attention_v1_kernelIfhLi128ELi8ELi128ELNS_18Fp8KVCacheDataTypeE1ELb1EEEvPT_PKS2_PKT0_S8_ifPKiSA_iPKfiiiSC_SC_iiiii.has_indirect_call, 0
	.section	.AMDGPU.csdata,"",@progbits
; Kernel info:
; codeLenInByte = 10196
; TotalNumSgprs: 59
; NumVgprs: 63
; ScratchSize: 0
; MemoryBound: 0
; FloatMode: 240
; IeeeMode: 1
; LDSByteSize: 528 bytes/workgroup (compile time only)
; SGPRBlocks: 7
; VGPRBlocks: 15
; NumSGPRsForWavesPerEU: 59
; NumVGPRsForWavesPerEU: 63
; Occupancy: 4
; WaveLimiterHint : 1
; COMPUTE_PGM_RSRC2:SCRATCH_EN: 0
; COMPUTE_PGM_RSRC2:USER_SGPR: 6
; COMPUTE_PGM_RSRC2:TRAP_HANDLER: 0
; COMPUTE_PGM_RSRC2:TGID_X_EN: 1
; COMPUTE_PGM_RSRC2:TGID_Y_EN: 1
; COMPUTE_PGM_RSRC2:TGID_Z_EN: 1
; COMPUTE_PGM_RSRC2:TIDIG_COMP_CNT: 0
	.section	.text._ZN4vllm25paged_attention_v1_kernelIfhLi192ELi8ELi128ELNS_18Fp8KVCacheDataTypeE1ELb1EEEvPT_PKS2_PKT0_S8_ifPKiSA_iPKfiiiSC_SC_iiiii,"axG",@progbits,_ZN4vllm25paged_attention_v1_kernelIfhLi192ELi8ELi128ELNS_18Fp8KVCacheDataTypeE1ELb1EEEvPT_PKS2_PKT0_S8_ifPKiSA_iPKfiiiSC_SC_iiiii,comdat
	.protected	_ZN4vllm25paged_attention_v1_kernelIfhLi192ELi8ELi128ELNS_18Fp8KVCacheDataTypeE1ELb1EEEvPT_PKS2_PKT0_S8_ifPKiSA_iPKfiiiSC_SC_iiiii ; -- Begin function _ZN4vllm25paged_attention_v1_kernelIfhLi192ELi8ELi128ELNS_18Fp8KVCacheDataTypeE1ELb1EEEvPT_PKS2_PKT0_S8_ifPKiSA_iPKfiiiSC_SC_iiiii
	.globl	_ZN4vllm25paged_attention_v1_kernelIfhLi192ELi8ELi128ELNS_18Fp8KVCacheDataTypeE1ELb1EEEvPT_PKS2_PKT0_S8_ifPKiSA_iPKfiiiSC_SC_iiiii
	.p2align	8
	.type	_ZN4vllm25paged_attention_v1_kernelIfhLi192ELi8ELi128ELNS_18Fp8KVCacheDataTypeE1ELb1EEEvPT_PKS2_PKT0_S8_ifPKiSA_iPKfiiiSC_SC_iiiii,@function
_ZN4vllm25paged_attention_v1_kernelIfhLi192ELi8ELi128ELNS_18Fp8KVCacheDataTypeE1ELb1EEEvPT_PKS2_PKT0_S8_ifPKiSA_iPKfiiiSC_SC_iiiii: ; @_ZN4vllm25paged_attention_v1_kernelIfhLi192ELi8ELi128ELNS_18Fp8KVCacheDataTypeE1ELb1EEEvPT_PKS2_PKT0_S8_ifPKiSA_iPKfiiiSC_SC_iiiii
; %bb.0:
	s_mov_b64 s[58:59], s[2:3]
	s_mov_b64 s[56:57], s[0:1]
	s_add_u32 s56, s56, s9
	s_load_dword s9, s[4:5], 0x80
	s_load_dwordx2 s[0:1], s[4:5], 0x30
	s_load_dwordx2 s[36:37], s[4:5], 0x20
	s_addc_u32 s57, s57, 0
	s_mov_b32 s10, s7
	s_ashr_i32 s11, s7, 31
	s_lshl_b64 s[2:3], s[10:11], 2
	s_waitcnt lgkmcnt(0)
	s_add_u32 s0, s0, s2
	s_addc_u32 s1, s1, s3
	s_abs_i32 s2, s36
	v_mov_b32_e32 v12, v0
	v_cvt_f32_u32_e32 v0, s2
	s_sub_i32 s11, 0, s2
	s_abs_i32 s7, s9
	s_xor_b32 s3, s9, s36
	v_rcp_iflag_f32_e32 v0, v0
	s_ashr_i32 s3, s3, 31
	s_mov_b32 s48, 0
	v_mul_f32_e32 v0, 0x4f7ffffe, v0
	v_cvt_u32_f32_e32 v0, v0
	v_readfirstlane_b32 s12, v0
	s_mul_i32 s11, s11, s12
	s_mul_hi_u32 s11, s12, s11
	s_add_i32 s12, s12, s11
	s_mul_hi_u32 s11, s7, s12
	s_mul_i32 s12, s11, s2
	s_sub_i32 s7, s7, s12
	s_add_i32 s12, s11, 1
	s_sub_i32 s13, s7, s2
	s_cmp_ge_u32 s7, s2
	s_cselect_b32 s11, s12, s11
	s_cselect_b32 s7, s13, s7
	s_add_i32 s12, s11, 1
	s_cmp_ge_u32 s7, s2
	s_cselect_b32 s2, s12, s11
	s_xor_b32 s2, s2, s3
	s_sub_i32 s11, s2, s3
	s_abs_i32 s12, s11
	v_cvt_f32_u32_e32 v0, s12
	s_load_dwordx2 s[2:3], s[4:5], 0x40
	s_sub_i32 s7, 0, s12
	s_abs_i32 s13, s6
	v_rcp_iflag_f32_e32 v0, v0
	v_mul_f32_e32 v0, 0x4f7ffffe, v0
	v_cvt_u32_f32_e32 v0, v0
	v_readfirstlane_b32 s14, v0
	s_mul_i32 s7, s7, s14
	s_mul_hi_u32 s7, s14, s7
	s_add_i32 s14, s14, s7
	s_waitcnt lgkmcnt(0)
	s_cmp_eq_u64 s[2:3], 0
	s_mul_hi_u32 s14, s13, s14
	s_cbranch_scc1 .LBB169_2
; %bb.1:
	s_ashr_i32 s7, s6, 31
	s_lshl_b64 s[16:17], s[6:7], 2
	s_add_u32 s2, s2, s16
	s_addc_u32 s3, s3, s17
	s_load_dword s48, s[2:3], 0x0
.LBB169_2:
	s_load_dword s33, s[0:1], 0x0
	s_ashr_i32 s15, s11, 31
	s_load_dword s11, s[4:5], 0x88
	s_load_dwordx4 s[16:19], s[4:5], 0x48
	s_movk_i32 s0, 0xc0
	s_ashr_i32 s7, s6, 31
	v_and_b32_e32 v1, 7, v12
	s_mul_i32 s24, s6, 0xc0
	v_cmp_gt_u32_e32 vcc, s0, v12
	v_lshlrev_b32_e32 v13, 2, v12
	s_and_saveexec_b64 s[0:1], vcc
	s_cbranch_execz .LBB169_5
; %bb.3:
	s_load_dwordx2 s[2:3], s[4:5], 0x8
	s_waitcnt lgkmcnt(0)
	s_mul_i32 s20, s16, s10
	s_ashr_i32 s21, s20, 31
	s_lshl_b64 s[20:21], s[20:21], 2
	v_lshrrev_b32_e32 v2, 3, v12
	s_add_u32 s16, s2, s20
	s_addc_u32 s19, s3, s21
	s_ashr_i32 s25, s24, 31
	s_lshl_b64 s[2:3], s[24:25], 2
	s_add_u32 s2, s16, s2
	s_addc_u32 s3, s19, s3
	global_load_dword v3, v13, s[2:3]
	s_movk_i32 s16, 0x60
	v_lshlrev_b32_e32 v0, 2, v2
	v_mad_u32_u24 v0, v1, s16, v0
	v_cmp_gt_u32_e32 vcc, 64, v12
	s_waitcnt vmcnt(0)
	ds_write_b32 v0, v3
	s_and_b64 exec, exec, vcc
	s_cbranch_execz .LBB169_5
; %bb.4:
	v_lshlrev_b32_e32 v2, 5, v2
	v_lshlrev_b32_e32 v3, 2, v1
	s_movk_i32 s16, 0x200
	v_or3_b32 v2, v2, v3, s16
	global_load_dword v2, v2, s[2:3]
	s_waitcnt vmcnt(0)
	ds_write_b32 v0, v2 offset:64
.LBB169_5:
	s_or_b64 exec, exec, s[0:1]
	s_mul_i32 s1, s14, s12
	s_sub_i32 s1, s13, s1
	s_xor_b32 s0, s7, s15
	s_add_i32 s3, s14, 1
	s_sub_i32 s7, s1, s12
	s_load_dwordx4 s[20:23], s[4:5], 0x68
	s_load_dword s2, s[4:5], 0x78
	s_cmp_ge_u32 s1, s12
	s_cselect_b32 s3, s3, s14
	s_cselect_b32 s1, s7, s1
	s_add_i32 s7, s3, 1
	s_cmp_ge_u32 s1, s12
	s_cselect_b32 s1, s7, s3
	s_waitcnt lgkmcnt(0)
	s_abs_i32 s25, s23
	v_cvt_f32_u32_e32 v0, s25
	s_xor_b32 s1, s1, s0
	s_sub_i32 s47, s1, s0
	s_sub_i32 s0, 0, s25
	v_rcp_iflag_f32_e32 v0, v0
	s_add_i32 s12, s33, -1
	s_abs_i32 s3, s12
	v_mul_f32_e32 v0, 0x4f7ffffe, v0
	v_cvt_u32_f32_e32 v0, v0
	s_barrier
	v_readfirstlane_b32 s46, v0
	s_mul_i32 s0, s0, s46
	s_mul_hi_u32 s0, s46, s0
	s_add_i32 s46, s46, s0
	s_cmp_lt_i32 s2, 0
	s_mul_hi_u32 s7, s3, s46
	s_cbranch_scc0 .LBB169_7
; %bb.6:
	s_mul_i32 s0, s20, s36
	s_add_i32 s0, s47, s0
	s_mul_i32 s0, s0, s2
	s_sub_i32 s36, 1, s0
	s_mov_b64 s[0:1], 0
	s_branch .LBB169_8
.LBB169_7:
	s_mov_b64 s[0:1], -1
                                        ; implicit-def: $sgpr36
.LBB169_8:
	s_load_dwordx2 s[28:29], s[4:5], 0x28
	s_ashr_i32 s16, s12, 31
	s_andn2_b64 vcc, exec, s[0:1]
	s_ashr_i32 s23, s23, 31
	s_cbranch_vccnz .LBB169_10
; %bb.9:
	s_mul_i32 s0, s9, s20
	s_add_i32 s0, s0, s6
	s_mul_i32 s0, s0, s2
	s_add_i32 s36, s0, 1
.LBB169_10:
	s_load_dword s0, s[4:5], 0x38
	s_load_dwordx2 s[26:27], s[4:5], 0x0
	s_load_dwordx2 s[34:35], s[4:5], 0x18
	s_load_dwordx4 s[12:15], s[4:5], 0x58
	s_xor_b32 s1, s16, s23
	s_waitcnt lgkmcnt(0)
	s_mul_i32 s30, s0, s10
	s_mul_i32 s0, s7, s25
	s_sub_i32 s0, s3, s0
	s_ashr_i32 s31, s30, 31
	s_add_i32 s2, s7, 1
	s_sub_i32 s3, s0, s25
	s_cmp_ge_u32 s0, s25
	s_cselect_b32 s2, s2, s7
	s_cselect_b32 s0, s3, s0
	s_add_i32 s3, s2, 1
	s_cmp_ge_u32 s0, s25
	s_cselect_b32 s0, s3, s2
	s_xor_b32 s0, s0, s1
	s_sub_i32 s16, s0, s1
	s_add_i32 s0, s33, 7
	s_ashr_i32 s1, s0, 31
	s_lshr_b32 s1, s1, 29
	s_add_i32 s0, s0, s1
	s_ashr_i32 s20, s0, 3
	v_lshrrev_b32_e32 v32, 6, v12
	v_cmp_gt_i32_e64 s[0:1], s20, v32
	v_mov_b32_e32 v3, 0xff7fffff
	s_mul_i32 s47, s47, s18
	v_lshrrev_b32_e32 v14, 4, v12
	v_lshlrev_b32_e32 v33, 3, v32
	v_mbcnt_lo_u32_b32 v5, -1, 0
	s_mov_b64 s[18:19], exec
	s_and_b64 s[2:3], s[18:19], s[0:1]
	buffer_store_dword v12, off, s[56:59], 0 offset:28 ; 4-byte Folded Spill
	s_mov_b64 exec, s[2:3]
	s_cbranch_execz .LBB169_166
; %bb.11:
	s_load_dwordx2 s[2:3], s[4:5], 0x10
	s_sub_i32 s49, s16, s21
	s_ashr_i32 s4, s47, 31
	v_bfe_u32 v6, v12, 3, 3
	v_lshlrev_b32_e32 v2, 4, v6
	s_waitcnt lgkmcnt(0)
	s_add_u32 s5, s2, s47
	s_addc_u32 s4, s3, s4
	s_abs_i32 s50, s22
	v_cvt_f32_u32_e32 v0, s50
	v_mov_b32_e32 v3, s4
	s_sub_i32 s4, 0, s50
	v_cmp_eq_u32_e32 vcc, 0, v1
	v_rcp_iflag_f32_e32 v0, v0
	v_mul_u32_u24_e32 v38, 0x60, v1
	buffer_store_dword v13, off, s[56:59], 0 offset:32 ; 4-byte Folded Spill
	s_mov_b32 s51, s17
	v_mul_f32_e32 v0, 0x4f7ffffe, v0
	v_cvt_u32_f32_e32 v0, v0
	v_cmp_neq_f32_e64 s[2:3], s48, 0
	v_lshlrev_b32_e32 v41, 3, v32
	s_mov_b64 s[38:39], 0
	v_mul_lo_u32 v4, s4, v0
	v_add_co_u32_e64 v2, s[4:5], s5, v2
	v_addc_co_u32_e64 v3, s[4:5], 0, v3, s[4:5]
	v_mul_hi_u32 v4, v0, v4
	v_add_co_u32_e64 v1, s[4:5], v2, v1
	v_addc_co_u32_e64 v2, s[4:5], 0, v3, s[4:5]
	s_lshl_b64 s[4:5], s[30:31], 2
	v_add_u32_e32 v0, v0, v4
	s_add_u32 s4, s28, s4
	buffer_store_dword v1, off, s[56:59], 0 offset:8 ; 4-byte Folded Spill
	s_nop 0
	buffer_store_dword v2, off, s[56:59], 0 offset:12 ; 4-byte Folded Spill
	buffer_store_dword v0, off, s[56:59], 0 ; 4-byte Folded Spill
	buffer_store_dword v14, off, s[56:59], 0 offset:36 ; 4-byte Folded Spill
	v_and_b32_e32 v0, 60, v14
	s_addc_u32 s5, s29, s5
	v_mov_b32_e32 v1, s5
	v_add_co_u32_e64 v27, s[4:5], s4, v0
	v_subrev_u32_e32 v0, s33, v6
	v_add_u32_e32 v0, 1, v0
	buffer_store_dword v0, off, s[56:59], 0 offset:24 ; 4-byte Folded Spill
	buffer_store_dword v6, off, s[56:59], 0 offset:20 ; 4-byte Folded Spill
	v_lshlrev_b32_e32 v0, 2, v6
	v_lshl_or_b32 v0, v32, 5, v0
	v_add_u32_e32 v43, 0x310, v0
	v_mbcnt_hi_u32_b32 v0, -1, v5
	v_addc_co_u32_e64 v28, s[4:5], 0, v1, s[4:5]
	s_movk_i32 s52, 0x80
	s_movk_i32 s53, 0x7f
	buffer_store_dword v0, off, s[56:59], 0 offset:16 ; 4-byte Folded Spill
	v_mov_b32_e32 v0, 0xff7fffff
	v_mov_b32_e32 v46, v32
	buffer_store_dword v0, off, s[56:59], 0 offset:4 ; 4-byte Folded Spill
	s_branch .LBB169_14
.LBB169_12:                             ;   in Loop: Header=BB169_14 Depth=1
	s_or_b64 exec, exec, s[40:41]
.LBB169_13:                             ;   in Loop: Header=BB169_14 Depth=1
	s_or_b64 exec, exec, s[6:7]
	v_add_co_u32_e64 v27, s[4:5], 8, v27
	v_add_u32_e32 v46, 2, v46
	v_addc_co_u32_e64 v28, s[4:5], 0, v28, s[4:5]
	v_cmp_le_i32_e64 s[4:5], s20, v46
	v_add_u32_e32 v41, 16, v41
	s_or_b64 s[38:39], s[4:5], s[38:39]
	v_add_u32_e32 v43, 64, v43
	s_andn2_b64 exec, exec, s[38:39]
	s_cbranch_execz .LBB169_165
.LBB169_14:                             ; =>This Inner Loop Header: Depth=1
	buffer_load_dword v3, off, s[56:59], 0  ; 4-byte Folded Reload
	v_mul_hi_u32 v0, v41, s46
	v_mul_lo_u32 v1, v0, s25
	s_waitcnt lgkmcnt(0)
	v_add_u32_e32 v2, 1, v0
	v_sub_u32_e32 v1, v41, v1
	v_cmp_le_u32_e64 s[4:5], s25, v1
	v_cndmask_b32_e64 v0, v0, v2, s[4:5]
	v_subrev_u32_e32 v2, s25, v1
	v_cndmask_b32_e64 v1, v1, v2, s[4:5]
	v_add_u32_e32 v2, 1, v0
	v_cmp_le_u32_e64 s[4:5], s25, v1
	v_cndmask_b32_e64 v0, v0, v2, s[4:5]
	v_xor_b32_e32 v0, s23, v0
	v_subrev_u32_e32 v0, s23, v0
	v_add_u32_e32 v1, s36, v0
	v_sub_u32_e32 v2, 0, v1
	v_max_i32_e32 v2, v1, v2
	v_ashrrev_i32_e32 v1, 31, v1
	v_cmp_ge_i32_e64 s[6:7], s49, v0
	s_waitcnt vmcnt(0)
	v_mul_hi_u32 v3, v2, v3
	v_mul_lo_u32 v3, v3, s50
	v_sub_u32_e32 v2, v2, v3
	v_subrev_u32_e32 v3, s50, v2
	v_cmp_le_u32_e64 s[4:5], s50, v2
	v_cndmask_b32_e64 v2, v2, v3, s[4:5]
	v_subrev_u32_e32 v3, s50, v2
	v_cmp_le_u32_e64 s[4:5], s50, v2
	v_cndmask_b32_e64 v2, v2, v3, s[4:5]
	v_xor_b32_e32 v2, v2, v1
	v_sub_u32_e32 v1, v2, v1
	v_cmp_ne_u32_e64 s[4:5], 0, v1
	s_and_b64 s[4:5], s[4:5], s[6:7]
	s_and_saveexec_b64 s[6:7], s[4:5]
	s_xor_b64 s[4:5], exec, s[6:7]
	s_cbranch_execz .LBB169_18
; %bb.15:                               ;   in Loop: Header=BB169_14 Depth=1
	s_and_saveexec_b64 s[6:7], vcc
; %bb.16:                               ;   in Loop: Header=BB169_14 Depth=1
	v_mov_b32_e32 v0, 0xff7fffff
	ds_write_b32 v43, v0
; %bb.17:                               ;   in Loop: Header=BB169_14 Depth=1
	s_or_b64 exec, exec, s[6:7]
.LBB169_18:                             ;   in Loop: Header=BB169_14 Depth=1
	s_andn2_saveexec_b64 s[6:7], s[4:5]
	s_cbranch_execz .LBB169_13
; %bb.19:                               ;   in Loop: Header=BB169_14 Depth=1
	global_load_dword v0, v[27:28], off
	buffer_load_dword v1, off, s[56:59], 0 offset:8 ; 4-byte Folded Reload
	buffer_load_dword v2, off, s[56:59], 0 offset:12 ; 4-byte Folded Reload
	v_mov_b32_e32 v48, 0
	v_mov_b32_e32 v45, 0
	s_waitcnt vmcnt(0)
	v_mad_i64_i32 v[29:30], s[4:5], v0, s51, v[1:2]
	global_load_ubyte v25, v[29:30], off
	ds_read_b128 v[21:24], v38
	ds_read_b128 v[13:16], v38 offset:16
	s_load_dword s54, s[12:13], 0x0
	ds_read_b128 v[17:20], v38 offset:32
	ds_read_b128 v[9:12], v38 offset:48
	;; [unrolled: 1-line block ×4, first 2 shown]
	s_waitcnt vmcnt(0)
	v_cmp_ne_u16_e64 s[4:5], 0, v25
	s_and_saveexec_b64 s[40:41], s[4:5]
	s_cbranch_execz .LBB169_25
; %bb.20:                               ;   in Loop: Header=BB169_14 Depth=1
	v_cmp_ne_u16_e64 s[4:5], s52, v25
	v_bfrev_b32_e32 v45, 1
	s_and_saveexec_b64 s[42:43], s[4:5]
	s_cbranch_execz .LBB169_24
; %bb.21:                               ;   in Loop: Header=BB169_14 Depth=1
	v_and_b32_e32 v31, 0xffff, v25
	v_and_b32_e32 v26, 0x7f, v31
	v_cmp_ne_u32_e64 s[4:5], s53, v26
	v_mov_b32_e32 v45, 0x7f800001
	s_and_saveexec_b64 s[44:45], s[4:5]
	s_cbranch_execz .LBB169_23
; %bb.22:                               ;   in Loop: Header=BB169_14 Depth=1
	v_and_b32_e32 v0, 7, v31
	v_ffbh_u32_e32 v34, v0
	v_min_u32_e32 v37, 32, v34
	v_subrev_u32_e32 v34, 28, v37
	v_lshlrev_b64 v[34:35], v34, v[31:32]
	v_lshrrev_b32_e32 v36, 3, v26
	v_sub_u32_e32 v31, 29, v37
	v_and_b32_e32 v34, 7, v34
	v_cmp_gt_u32_e64 s[4:5], 8, v26
	v_cndmask_b32_e64 v26, v36, v31, s[4:5]
	v_cndmask_b32_e64 v0, v0, v34, s[4:5]
	v_lshlrev_b32_e32 v25, 24, v25
	v_bfrev_b32_e32 v31, 60
	v_lshlrev_b32_e32 v0, 20, v0
	v_and_b32_e32 v25, 0x80000000, v25
	v_lshl_add_u32 v26, v26, 23, v31
	v_or3_b32 v45, v25, v26, v0
.LBB169_23:                             ;   in Loop: Header=BB169_14 Depth=1
	s_or_b64 exec, exec, s[44:45]
.LBB169_24:                             ;   in Loop: Header=BB169_14 Depth=1
	s_or_b64 exec, exec, s[42:43]
.LBB169_25:                             ;   in Loop: Header=BB169_14 Depth=1
	s_or_b64 exec, exec, s[40:41]
	global_load_ubyte v25, v[29:30], off offset:8
	s_waitcnt vmcnt(0)
	v_cmp_ne_u16_e64 s[4:5], 0, v25
	s_and_saveexec_b64 s[40:41], s[4:5]
	s_cbranch_execz .LBB169_31
; %bb.26:                               ;   in Loop: Header=BB169_14 Depth=1
	v_cmp_ne_u16_e64 s[4:5], s52, v25
	v_bfrev_b32_e32 v48, 1
	s_and_saveexec_b64 s[42:43], s[4:5]
	s_cbranch_execz .LBB169_30
; %bb.27:                               ;   in Loop: Header=BB169_14 Depth=1
	v_and_b32_e32 v31, 0xffff, v25
	v_and_b32_e32 v26, 0x7f, v31
	v_cmp_ne_u32_e64 s[4:5], s53, v26
	v_mov_b32_e32 v48, 0x7f800001
	s_and_saveexec_b64 s[44:45], s[4:5]
	s_cbranch_execz .LBB169_29
; %bb.28:                               ;   in Loop: Header=BB169_14 Depth=1
	v_and_b32_e32 v0, 7, v31
	v_ffbh_u32_e32 v34, v0
	v_min_u32_e32 v37, 32, v34
	v_subrev_u32_e32 v34, 28, v37
	v_lshlrev_b64 v[34:35], v34, v[31:32]
	v_lshrrev_b32_e32 v36, 3, v26
	v_sub_u32_e32 v31, 29, v37
	v_and_b32_e32 v34, 7, v34
	v_cmp_gt_u32_e64 s[4:5], 8, v26
	v_cndmask_b32_e64 v26, v36, v31, s[4:5]
	v_cndmask_b32_e64 v0, v0, v34, s[4:5]
	v_lshlrev_b32_e32 v25, 24, v25
	v_bfrev_b32_e32 v31, 60
	v_lshlrev_b32_e32 v0, 20, v0
	v_and_b32_e32 v25, 0x80000000, v25
	v_lshl_add_u32 v26, v26, 23, v31
	v_or3_b32 v48, v25, v26, v0
.LBB169_29:                             ;   in Loop: Header=BB169_14 Depth=1
	s_or_b64 exec, exec, s[44:45]
.LBB169_30:                             ;   in Loop: Header=BB169_14 Depth=1
	s_or_b64 exec, exec, s[42:43]
.LBB169_31:                             ;   in Loop: Header=BB169_14 Depth=1
	s_or_b64 exec, exec, s[40:41]
	global_load_ubyte v25, v[29:30], off offset:128
	v_mov_b32_e32 v49, 0
	v_mov_b32_e32 v50, 0
	s_waitcnt vmcnt(0)
	v_cmp_ne_u16_e64 s[4:5], 0, v25
	s_and_saveexec_b64 s[40:41], s[4:5]
	s_cbranch_execz .LBB169_37
; %bb.32:                               ;   in Loop: Header=BB169_14 Depth=1
	v_cmp_ne_u16_e64 s[4:5], s52, v25
	v_bfrev_b32_e32 v50, 1
	s_and_saveexec_b64 s[42:43], s[4:5]
	s_cbranch_execz .LBB169_36
; %bb.33:                               ;   in Loop: Header=BB169_14 Depth=1
	v_and_b32_e32 v31, 0xffff, v25
	v_and_b32_e32 v26, 0x7f, v31
	v_cmp_ne_u32_e64 s[4:5], s53, v26
	v_mov_b32_e32 v50, 0x7f800001
	s_and_saveexec_b64 s[44:45], s[4:5]
	s_cbranch_execz .LBB169_35
; %bb.34:                               ;   in Loop: Header=BB169_14 Depth=1
	v_and_b32_e32 v0, 7, v31
	v_ffbh_u32_e32 v34, v0
	v_min_u32_e32 v37, 32, v34
	v_subrev_u32_e32 v34, 28, v37
	v_lshlrev_b64 v[34:35], v34, v[31:32]
	v_lshrrev_b32_e32 v36, 3, v26
	v_sub_u32_e32 v31, 29, v37
	v_and_b32_e32 v34, 7, v34
	v_cmp_gt_u32_e64 s[4:5], 8, v26
	v_cndmask_b32_e64 v26, v36, v31, s[4:5]
	v_cndmask_b32_e64 v0, v0, v34, s[4:5]
	v_lshlrev_b32_e32 v25, 24, v25
	v_bfrev_b32_e32 v31, 60
	v_lshlrev_b32_e32 v0, 20, v0
	v_and_b32_e32 v25, 0x80000000, v25
	v_lshl_add_u32 v26, v26, 23, v31
	v_or3_b32 v50, v25, v26, v0
.LBB169_35:                             ;   in Loop: Header=BB169_14 Depth=1
	s_or_b64 exec, exec, s[44:45]
.LBB169_36:                             ;   in Loop: Header=BB169_14 Depth=1
	s_or_b64 exec, exec, s[42:43]
.LBB169_37:                             ;   in Loop: Header=BB169_14 Depth=1
	s_or_b64 exec, exec, s[40:41]
	global_load_ubyte v25, v[29:30], off offset:136
	s_waitcnt vmcnt(0)
	v_cmp_ne_u16_e64 s[4:5], 0, v25
	s_and_saveexec_b64 s[40:41], s[4:5]
	s_cbranch_execz .LBB169_43
; %bb.38:                               ;   in Loop: Header=BB169_14 Depth=1
	v_cmp_ne_u16_e64 s[4:5], s52, v25
	v_bfrev_b32_e32 v49, 1
	s_and_saveexec_b64 s[42:43], s[4:5]
	s_cbranch_execz .LBB169_42
; %bb.39:                               ;   in Loop: Header=BB169_14 Depth=1
	v_and_b32_e32 v31, 0xffff, v25
	v_and_b32_e32 v26, 0x7f, v31
	v_cmp_ne_u32_e64 s[4:5], s53, v26
	v_mov_b32_e32 v49, 0x7f800001
	s_and_saveexec_b64 s[44:45], s[4:5]
	s_cbranch_execz .LBB169_41
; %bb.40:                               ;   in Loop: Header=BB169_14 Depth=1
	v_and_b32_e32 v0, 7, v31
	v_ffbh_u32_e32 v34, v0
	v_min_u32_e32 v37, 32, v34
	v_subrev_u32_e32 v34, 28, v37
	v_lshlrev_b64 v[34:35], v34, v[31:32]
	v_lshrrev_b32_e32 v36, 3, v26
	v_sub_u32_e32 v31, 29, v37
	v_and_b32_e32 v34, 7, v34
	v_cmp_gt_u32_e64 s[4:5], 8, v26
	v_cndmask_b32_e64 v26, v36, v31, s[4:5]
	v_cndmask_b32_e64 v0, v0, v34, s[4:5]
	v_lshlrev_b32_e32 v25, 24, v25
	v_bfrev_b32_e32 v31, 60
	v_lshlrev_b32_e32 v0, 20, v0
	v_and_b32_e32 v25, 0x80000000, v25
	v_lshl_add_u32 v26, v26, 23, v31
	v_or3_b32 v49, v25, v26, v0
.LBB169_41:                             ;   in Loop: Header=BB169_14 Depth=1
	s_or_b64 exec, exec, s[44:45]
.LBB169_42:                             ;   in Loop: Header=BB169_14 Depth=1
	s_or_b64 exec, exec, s[42:43]
.LBB169_43:                             ;   in Loop: Header=BB169_14 Depth=1
	s_or_b64 exec, exec, s[40:41]
	global_load_ubyte v25, v[29:30], off offset:256
	v_mov_b32_e32 v51, 0
	v_mov_b32_e32 v52, 0
	s_waitcnt vmcnt(0)
	v_cmp_ne_u16_e64 s[4:5], 0, v25
	s_and_saveexec_b64 s[40:41], s[4:5]
	s_cbranch_execz .LBB169_49
; %bb.44:                               ;   in Loop: Header=BB169_14 Depth=1
	v_cmp_ne_u16_e64 s[4:5], s52, v25
	v_bfrev_b32_e32 v52, 1
	s_and_saveexec_b64 s[42:43], s[4:5]
	s_cbranch_execz .LBB169_48
; %bb.45:                               ;   in Loop: Header=BB169_14 Depth=1
	v_and_b32_e32 v31, 0xffff, v25
	v_and_b32_e32 v26, 0x7f, v31
	v_cmp_ne_u32_e64 s[4:5], s53, v26
	v_mov_b32_e32 v52, 0x7f800001
	s_and_saveexec_b64 s[44:45], s[4:5]
	s_cbranch_execz .LBB169_47
; %bb.46:                               ;   in Loop: Header=BB169_14 Depth=1
	v_and_b32_e32 v0, 7, v31
	v_ffbh_u32_e32 v34, v0
	v_min_u32_e32 v37, 32, v34
	v_subrev_u32_e32 v34, 28, v37
	v_lshlrev_b64 v[34:35], v34, v[31:32]
	v_lshrrev_b32_e32 v36, 3, v26
	v_sub_u32_e32 v31, 29, v37
	v_and_b32_e32 v34, 7, v34
	v_cmp_gt_u32_e64 s[4:5], 8, v26
	v_cndmask_b32_e64 v26, v36, v31, s[4:5]
	v_cndmask_b32_e64 v0, v0, v34, s[4:5]
	v_lshlrev_b32_e32 v25, 24, v25
	v_bfrev_b32_e32 v31, 60
	v_lshlrev_b32_e32 v0, 20, v0
	v_and_b32_e32 v25, 0x80000000, v25
	v_lshl_add_u32 v26, v26, 23, v31
	v_or3_b32 v52, v25, v26, v0
.LBB169_47:                             ;   in Loop: Header=BB169_14 Depth=1
	s_or_b64 exec, exec, s[44:45]
.LBB169_48:                             ;   in Loop: Header=BB169_14 Depth=1
	s_or_b64 exec, exec, s[42:43]
.LBB169_49:                             ;   in Loop: Header=BB169_14 Depth=1
	s_or_b64 exec, exec, s[40:41]
	global_load_ubyte v25, v[29:30], off offset:264
	s_waitcnt vmcnt(0)
	v_cmp_ne_u16_e64 s[4:5], 0, v25
	s_and_saveexec_b64 s[40:41], s[4:5]
	s_cbranch_execz .LBB169_55
; %bb.50:                               ;   in Loop: Header=BB169_14 Depth=1
	v_cmp_ne_u16_e64 s[4:5], s52, v25
	v_bfrev_b32_e32 v51, 1
	s_and_saveexec_b64 s[42:43], s[4:5]
	s_cbranch_execz .LBB169_54
; %bb.51:                               ;   in Loop: Header=BB169_14 Depth=1
	v_and_b32_e32 v31, 0xffff, v25
	v_and_b32_e32 v26, 0x7f, v31
	v_cmp_ne_u32_e64 s[4:5], s53, v26
	v_mov_b32_e32 v51, 0x7f800001
	s_and_saveexec_b64 s[44:45], s[4:5]
	s_cbranch_execz .LBB169_53
; %bb.52:                               ;   in Loop: Header=BB169_14 Depth=1
	v_and_b32_e32 v0, 7, v31
	v_ffbh_u32_e32 v34, v0
	v_min_u32_e32 v37, 32, v34
	v_subrev_u32_e32 v34, 28, v37
	v_lshlrev_b64 v[34:35], v34, v[31:32]
	v_lshrrev_b32_e32 v36, 3, v26
	v_sub_u32_e32 v31, 29, v37
	v_and_b32_e32 v34, 7, v34
	v_cmp_gt_u32_e64 s[4:5], 8, v26
	v_cndmask_b32_e64 v26, v36, v31, s[4:5]
	v_cndmask_b32_e64 v0, v0, v34, s[4:5]
	v_lshlrev_b32_e32 v25, 24, v25
	v_bfrev_b32_e32 v31, 60
	v_lshlrev_b32_e32 v0, 20, v0
	v_and_b32_e32 v25, 0x80000000, v25
	v_lshl_add_u32 v26, v26, 23, v31
	v_or3_b32 v51, v25, v26, v0
.LBB169_53:                             ;   in Loop: Header=BB169_14 Depth=1
	s_or_b64 exec, exec, s[44:45]
.LBB169_54:                             ;   in Loop: Header=BB169_14 Depth=1
	s_or_b64 exec, exec, s[42:43]
.LBB169_55:                             ;   in Loop: Header=BB169_14 Depth=1
	s_or_b64 exec, exec, s[40:41]
	global_load_ubyte v25, v[29:30], off offset:384
	v_mov_b32_e32 v53, 0
	v_mov_b32_e32 v54, 0
	s_waitcnt vmcnt(0)
	v_cmp_ne_u16_e64 s[4:5], 0, v25
	s_and_saveexec_b64 s[40:41], s[4:5]
	s_cbranch_execz .LBB169_61
; %bb.56:                               ;   in Loop: Header=BB169_14 Depth=1
	v_cmp_ne_u16_e64 s[4:5], s52, v25
	v_bfrev_b32_e32 v54, 1
	s_and_saveexec_b64 s[42:43], s[4:5]
	s_cbranch_execz .LBB169_60
; %bb.57:                               ;   in Loop: Header=BB169_14 Depth=1
	v_and_b32_e32 v31, 0xffff, v25
	v_and_b32_e32 v26, 0x7f, v31
	v_cmp_ne_u32_e64 s[4:5], s53, v26
	v_mov_b32_e32 v54, 0x7f800001
	s_and_saveexec_b64 s[44:45], s[4:5]
	s_cbranch_execz .LBB169_59
; %bb.58:                               ;   in Loop: Header=BB169_14 Depth=1
	v_and_b32_e32 v0, 7, v31
	v_ffbh_u32_e32 v34, v0
	v_min_u32_e32 v37, 32, v34
	v_subrev_u32_e32 v34, 28, v37
	v_lshlrev_b64 v[34:35], v34, v[31:32]
	v_lshrrev_b32_e32 v36, 3, v26
	v_sub_u32_e32 v31, 29, v37
	v_and_b32_e32 v34, 7, v34
	v_cmp_gt_u32_e64 s[4:5], 8, v26
	v_cndmask_b32_e64 v26, v36, v31, s[4:5]
	v_cndmask_b32_e64 v0, v0, v34, s[4:5]
	v_lshlrev_b32_e32 v25, 24, v25
	v_bfrev_b32_e32 v31, 60
	v_lshlrev_b32_e32 v0, 20, v0
	v_and_b32_e32 v25, 0x80000000, v25
	v_lshl_add_u32 v26, v26, 23, v31
	v_or3_b32 v54, v25, v26, v0
.LBB169_59:                             ;   in Loop: Header=BB169_14 Depth=1
	s_or_b64 exec, exec, s[44:45]
.LBB169_60:                             ;   in Loop: Header=BB169_14 Depth=1
	s_or_b64 exec, exec, s[42:43]
.LBB169_61:                             ;   in Loop: Header=BB169_14 Depth=1
	s_or_b64 exec, exec, s[40:41]
	global_load_ubyte v25, v[29:30], off offset:392
	s_waitcnt vmcnt(0)
	v_cmp_ne_u16_e64 s[4:5], 0, v25
	s_and_saveexec_b64 s[40:41], s[4:5]
	s_cbranch_execz .LBB169_67
; %bb.62:                               ;   in Loop: Header=BB169_14 Depth=1
	v_cmp_ne_u16_e64 s[4:5], s52, v25
	v_bfrev_b32_e32 v53, 1
	s_and_saveexec_b64 s[42:43], s[4:5]
	s_cbranch_execz .LBB169_66
; %bb.63:                               ;   in Loop: Header=BB169_14 Depth=1
	v_and_b32_e32 v31, 0xffff, v25
	v_and_b32_e32 v26, 0x7f, v31
	v_cmp_ne_u32_e64 s[4:5], s53, v26
	v_mov_b32_e32 v53, 0x7f800001
	s_and_saveexec_b64 s[44:45], s[4:5]
	s_cbranch_execz .LBB169_65
; %bb.64:                               ;   in Loop: Header=BB169_14 Depth=1
	v_and_b32_e32 v0, 7, v31
	v_ffbh_u32_e32 v34, v0
	v_min_u32_e32 v37, 32, v34
	v_subrev_u32_e32 v34, 28, v37
	v_lshlrev_b64 v[34:35], v34, v[31:32]
	v_lshrrev_b32_e32 v36, 3, v26
	v_sub_u32_e32 v31, 29, v37
	v_and_b32_e32 v34, 7, v34
	v_cmp_gt_u32_e64 s[4:5], 8, v26
	v_cndmask_b32_e64 v26, v36, v31, s[4:5]
	v_cndmask_b32_e64 v0, v0, v34, s[4:5]
	v_lshlrev_b32_e32 v25, 24, v25
	v_bfrev_b32_e32 v31, 60
	v_lshlrev_b32_e32 v0, 20, v0
	v_and_b32_e32 v25, 0x80000000, v25
	v_lshl_add_u32 v26, v26, 23, v31
	v_or3_b32 v53, v25, v26, v0
.LBB169_65:                             ;   in Loop: Header=BB169_14 Depth=1
	s_or_b64 exec, exec, s[44:45]
.LBB169_66:                             ;   in Loop: Header=BB169_14 Depth=1
	s_or_b64 exec, exec, s[42:43]
.LBB169_67:                             ;   in Loop: Header=BB169_14 Depth=1
	s_or_b64 exec, exec, s[40:41]
	global_load_ubyte v25, v[29:30], off offset:512
	v_mov_b32_e32 v55, 0
	v_mov_b32_e32 v56, 0
	s_waitcnt vmcnt(0)
	v_cmp_ne_u16_e64 s[4:5], 0, v25
	s_and_saveexec_b64 s[40:41], s[4:5]
	s_cbranch_execz .LBB169_73
; %bb.68:                               ;   in Loop: Header=BB169_14 Depth=1
	v_cmp_ne_u16_e64 s[4:5], s52, v25
	v_bfrev_b32_e32 v56, 1
	s_and_saveexec_b64 s[42:43], s[4:5]
	s_cbranch_execz .LBB169_72
; %bb.69:                               ;   in Loop: Header=BB169_14 Depth=1
	v_and_b32_e32 v31, 0xffff, v25
	v_and_b32_e32 v26, 0x7f, v31
	v_cmp_ne_u32_e64 s[4:5], s53, v26
	v_mov_b32_e32 v56, 0x7f800001
	s_and_saveexec_b64 s[44:45], s[4:5]
	s_cbranch_execz .LBB169_71
; %bb.70:                               ;   in Loop: Header=BB169_14 Depth=1
	v_and_b32_e32 v0, 7, v31
	v_lshrrev_b32_e32 v36, 3, v26
	v_cmp_gt_u32_e64 s[4:5], 8, v26
	v_ffbh_u32_e32 v26, v0
	v_min_u32_e32 v26, 32, v26
	v_subrev_u32_e32 v34, 28, v26
	v_lshlrev_b64 v[34:35], v34, v[31:32]
	v_sub_u32_e32 v26, 29, v26
	v_and_b32_e32 v31, 7, v34
	v_cndmask_b32_e64 v26, v36, v26, s[4:5]
	v_cndmask_b32_e64 v0, v0, v31, s[4:5]
	v_lshlrev_b32_e32 v25, 24, v25
	v_bfrev_b32_e32 v31, 60
	v_lshlrev_b32_e32 v0, 20, v0
	v_and_b32_e32 v25, 0x80000000, v25
	v_lshl_add_u32 v26, v26, 23, v31
	v_or3_b32 v56, v25, v26, v0
.LBB169_71:                             ;   in Loop: Header=BB169_14 Depth=1
	s_or_b64 exec, exec, s[44:45]
.LBB169_72:                             ;   in Loop: Header=BB169_14 Depth=1
	s_or_b64 exec, exec, s[42:43]
.LBB169_73:                             ;   in Loop: Header=BB169_14 Depth=1
	s_or_b64 exec, exec, s[40:41]
	global_load_ubyte v25, v[29:30], off offset:520
	s_waitcnt vmcnt(0)
	v_cmp_ne_u16_e64 s[4:5], 0, v25
	s_and_saveexec_b64 s[40:41], s[4:5]
	s_cbranch_execz .LBB169_79
; %bb.74:                               ;   in Loop: Header=BB169_14 Depth=1
	v_cmp_ne_u16_e64 s[4:5], s52, v25
	v_bfrev_b32_e32 v55, 1
	s_and_saveexec_b64 s[42:43], s[4:5]
	s_cbranch_execz .LBB169_78
; %bb.75:                               ;   in Loop: Header=BB169_14 Depth=1
	v_and_b32_e32 v31, 0xffff, v25
	v_and_b32_e32 v26, 0x7f, v31
	v_cmp_ne_u32_e64 s[4:5], s53, v26
	v_mov_b32_e32 v55, 0x7f800001
	s_and_saveexec_b64 s[44:45], s[4:5]
	s_cbranch_execz .LBB169_77
; %bb.76:                               ;   in Loop: Header=BB169_14 Depth=1
	v_and_b32_e32 v0, 7, v31
	v_lshrrev_b32_e32 v36, 3, v26
	v_cmp_gt_u32_e64 s[4:5], 8, v26
	v_ffbh_u32_e32 v26, v0
	v_min_u32_e32 v26, 32, v26
	v_subrev_u32_e32 v34, 28, v26
	v_lshlrev_b64 v[34:35], v34, v[31:32]
	v_sub_u32_e32 v26, 29, v26
	v_and_b32_e32 v31, 7, v34
	v_cndmask_b32_e64 v26, v36, v26, s[4:5]
	v_cndmask_b32_e64 v0, v0, v31, s[4:5]
	v_lshlrev_b32_e32 v25, 24, v25
	v_bfrev_b32_e32 v31, 60
	v_lshlrev_b32_e32 v0, 20, v0
	v_and_b32_e32 v25, 0x80000000, v25
	v_lshl_add_u32 v26, v26, 23, v31
	v_or3_b32 v55, v25, v26, v0
.LBB169_77:                             ;   in Loop: Header=BB169_14 Depth=1
	s_or_b64 exec, exec, s[44:45]
.LBB169_78:                             ;   in Loop: Header=BB169_14 Depth=1
	s_or_b64 exec, exec, s[42:43]
.LBB169_79:                             ;   in Loop: Header=BB169_14 Depth=1
	s_or_b64 exec, exec, s[40:41]
	global_load_ubyte v25, v[29:30], off offset:640
	v_mov_b32_e32 v57, 0
	v_mov_b32_e32 v58, 0
	s_waitcnt vmcnt(0)
	v_cmp_ne_u16_e64 s[4:5], 0, v25
	s_and_saveexec_b64 s[40:41], s[4:5]
	s_cbranch_execz .LBB169_85
; %bb.80:                               ;   in Loop: Header=BB169_14 Depth=1
	v_cmp_ne_u16_e64 s[4:5], s52, v25
	v_bfrev_b32_e32 v58, 1
	s_and_saveexec_b64 s[42:43], s[4:5]
	s_cbranch_execz .LBB169_84
; %bb.81:                               ;   in Loop: Header=BB169_14 Depth=1
	v_and_b32_e32 v31, 0xffff, v25
	v_and_b32_e32 v26, 0x7f, v31
	v_cmp_ne_u32_e64 s[4:5], s53, v26
	v_mov_b32_e32 v58, 0x7f800001
	s_and_saveexec_b64 s[44:45], s[4:5]
	s_cbranch_execz .LBB169_83
; %bb.82:                               ;   in Loop: Header=BB169_14 Depth=1
	v_and_b32_e32 v0, 7, v31
	v_lshrrev_b32_e32 v36, 3, v26
	v_cmp_gt_u32_e64 s[4:5], 8, v26
	v_ffbh_u32_e32 v26, v0
	v_min_u32_e32 v26, 32, v26
	v_subrev_u32_e32 v34, 28, v26
	v_lshlrev_b64 v[34:35], v34, v[31:32]
	v_sub_u32_e32 v26, 29, v26
	v_and_b32_e32 v31, 7, v34
	v_cndmask_b32_e64 v26, v36, v26, s[4:5]
	v_cndmask_b32_e64 v0, v0, v31, s[4:5]
	v_lshlrev_b32_e32 v25, 24, v25
	v_bfrev_b32_e32 v31, 60
	v_lshlrev_b32_e32 v0, 20, v0
	v_and_b32_e32 v25, 0x80000000, v25
	v_lshl_add_u32 v26, v26, 23, v31
	v_or3_b32 v58, v25, v26, v0
.LBB169_83:                             ;   in Loop: Header=BB169_14 Depth=1
	s_or_b64 exec, exec, s[44:45]
.LBB169_84:                             ;   in Loop: Header=BB169_14 Depth=1
	s_or_b64 exec, exec, s[42:43]
.LBB169_85:                             ;   in Loop: Header=BB169_14 Depth=1
	s_or_b64 exec, exec, s[40:41]
	global_load_ubyte v25, v[29:30], off offset:648
	s_waitcnt vmcnt(0)
	v_cmp_ne_u16_e64 s[4:5], 0, v25
	s_and_saveexec_b64 s[40:41], s[4:5]
	s_cbranch_execz .LBB169_91
; %bb.86:                               ;   in Loop: Header=BB169_14 Depth=1
	v_cmp_ne_u16_e64 s[4:5], s52, v25
	v_bfrev_b32_e32 v57, 1
	s_and_saveexec_b64 s[42:43], s[4:5]
	s_cbranch_execz .LBB169_90
; %bb.87:                               ;   in Loop: Header=BB169_14 Depth=1
	v_and_b32_e32 v31, 0xffff, v25
	v_and_b32_e32 v26, 0x7f, v31
	v_cmp_ne_u32_e64 s[4:5], s53, v26
	v_mov_b32_e32 v57, 0x7f800001
	s_and_saveexec_b64 s[44:45], s[4:5]
	s_cbranch_execz .LBB169_89
; %bb.88:                               ;   in Loop: Header=BB169_14 Depth=1
	v_and_b32_e32 v0, 7, v31
	v_lshrrev_b32_e32 v36, 3, v26
	v_cmp_gt_u32_e64 s[4:5], 8, v26
	v_ffbh_u32_e32 v26, v0
	v_min_u32_e32 v26, 32, v26
	v_subrev_u32_e32 v34, 28, v26
	v_lshlrev_b64 v[34:35], v34, v[31:32]
	v_sub_u32_e32 v26, 29, v26
	v_and_b32_e32 v31, 7, v34
	v_cndmask_b32_e64 v26, v36, v26, s[4:5]
	v_cndmask_b32_e64 v0, v0, v31, s[4:5]
	v_lshlrev_b32_e32 v25, 24, v25
	v_bfrev_b32_e32 v31, 60
	v_lshlrev_b32_e32 v0, 20, v0
	v_and_b32_e32 v25, 0x80000000, v25
	v_lshl_add_u32 v26, v26, 23, v31
	v_or3_b32 v57, v25, v26, v0
.LBB169_89:                             ;   in Loop: Header=BB169_14 Depth=1
	s_or_b64 exec, exec, s[44:45]
.LBB169_90:                             ;   in Loop: Header=BB169_14 Depth=1
	s_or_b64 exec, exec, s[42:43]
.LBB169_91:                             ;   in Loop: Header=BB169_14 Depth=1
	s_or_b64 exec, exec, s[40:41]
	global_load_ubyte v25, v[29:30], off offset:768
	v_mov_b32_e32 v59, 0
	v_mov_b32_e32 v60, 0
	s_waitcnt vmcnt(0)
	v_cmp_ne_u16_e64 s[4:5], 0, v25
	s_and_saveexec_b64 s[40:41], s[4:5]
	s_cbranch_execz .LBB169_97
; %bb.92:                               ;   in Loop: Header=BB169_14 Depth=1
	v_cmp_ne_u16_e64 s[4:5], s52, v25
	v_bfrev_b32_e32 v60, 1
	s_and_saveexec_b64 s[42:43], s[4:5]
	s_cbranch_execz .LBB169_96
; %bb.93:                               ;   in Loop: Header=BB169_14 Depth=1
	v_and_b32_e32 v31, 0xffff, v25
	v_and_b32_e32 v26, 0x7f, v31
	v_cmp_ne_u32_e64 s[4:5], s53, v26
	v_mov_b32_e32 v60, 0x7f800001
	s_and_saveexec_b64 s[44:45], s[4:5]
	s_cbranch_execz .LBB169_95
; %bb.94:                               ;   in Loop: Header=BB169_14 Depth=1
	v_and_b32_e32 v0, 7, v31
	v_lshrrev_b32_e32 v36, 3, v26
	v_cmp_gt_u32_e64 s[4:5], 8, v26
	v_ffbh_u32_e32 v26, v0
	v_min_u32_e32 v26, 32, v26
	v_subrev_u32_e32 v34, 28, v26
	v_lshlrev_b64 v[34:35], v34, v[31:32]
	v_sub_u32_e32 v26, 29, v26
	v_and_b32_e32 v31, 7, v34
	v_cndmask_b32_e64 v26, v36, v26, s[4:5]
	v_cndmask_b32_e64 v0, v0, v31, s[4:5]
	v_lshlrev_b32_e32 v25, 24, v25
	v_bfrev_b32_e32 v31, 60
	v_lshlrev_b32_e32 v0, 20, v0
	v_and_b32_e32 v25, 0x80000000, v25
	v_lshl_add_u32 v26, v26, 23, v31
	v_or3_b32 v60, v25, v26, v0
.LBB169_95:                             ;   in Loop: Header=BB169_14 Depth=1
	s_or_b64 exec, exec, s[44:45]
.LBB169_96:                             ;   in Loop: Header=BB169_14 Depth=1
	s_or_b64 exec, exec, s[42:43]
.LBB169_97:                             ;   in Loop: Header=BB169_14 Depth=1
	s_or_b64 exec, exec, s[40:41]
	global_load_ubyte v25, v[29:30], off offset:776
	s_waitcnt vmcnt(0)
	v_cmp_ne_u16_e64 s[4:5], 0, v25
	s_and_saveexec_b64 s[40:41], s[4:5]
	s_cbranch_execz .LBB169_103
; %bb.98:                               ;   in Loop: Header=BB169_14 Depth=1
	v_cmp_ne_u16_e64 s[4:5], s52, v25
	v_bfrev_b32_e32 v59, 1
	s_and_saveexec_b64 s[42:43], s[4:5]
	s_cbranch_execz .LBB169_102
; %bb.99:                               ;   in Loop: Header=BB169_14 Depth=1
	v_and_b32_e32 v31, 0xffff, v25
	v_and_b32_e32 v26, 0x7f, v31
	v_cmp_ne_u32_e64 s[4:5], s53, v26
	v_mov_b32_e32 v59, 0x7f800001
	s_and_saveexec_b64 s[44:45], s[4:5]
	s_cbranch_execz .LBB169_101
; %bb.100:                              ;   in Loop: Header=BB169_14 Depth=1
	v_and_b32_e32 v0, 7, v31
	v_lshrrev_b32_e32 v36, 3, v26
	v_cmp_gt_u32_e64 s[4:5], 8, v26
	v_ffbh_u32_e32 v26, v0
	v_min_u32_e32 v26, 32, v26
	v_subrev_u32_e32 v34, 28, v26
	v_lshlrev_b64 v[34:35], v34, v[31:32]
	v_sub_u32_e32 v26, 29, v26
	v_and_b32_e32 v31, 7, v34
	v_cndmask_b32_e64 v26, v36, v26, s[4:5]
	v_cndmask_b32_e64 v0, v0, v31, s[4:5]
	v_lshlrev_b32_e32 v25, 24, v25
	v_bfrev_b32_e32 v31, 60
	v_lshlrev_b32_e32 v0, 20, v0
	v_and_b32_e32 v25, 0x80000000, v25
	v_lshl_add_u32 v26, v26, 23, v31
	v_or3_b32 v59, v25, v26, v0
.LBB169_101:                            ;   in Loop: Header=BB169_14 Depth=1
	s_or_b64 exec, exec, s[44:45]
.LBB169_102:                            ;   in Loop: Header=BB169_14 Depth=1
	s_or_b64 exec, exec, s[42:43]
.LBB169_103:                            ;   in Loop: Header=BB169_14 Depth=1
	s_or_b64 exec, exec, s[40:41]
	global_load_ubyte v25, v[29:30], off offset:896
	v_mov_b32_e32 v61, 0
	v_mov_b32_e32 v62, 0
	s_waitcnt vmcnt(0)
	v_cmp_ne_u16_e64 s[4:5], 0, v25
	s_and_saveexec_b64 s[40:41], s[4:5]
	s_cbranch_execz .LBB169_109
; %bb.104:                              ;   in Loop: Header=BB169_14 Depth=1
	v_cmp_ne_u16_e64 s[4:5], s52, v25
	v_bfrev_b32_e32 v62, 1
	s_and_saveexec_b64 s[42:43], s[4:5]
	s_cbranch_execz .LBB169_108
; %bb.105:                              ;   in Loop: Header=BB169_14 Depth=1
	v_and_b32_e32 v31, 0xffff, v25
	v_and_b32_e32 v26, 0x7f, v31
	v_cmp_ne_u32_e64 s[4:5], s53, v26
	v_mov_b32_e32 v62, 0x7f800001
	s_and_saveexec_b64 s[44:45], s[4:5]
	s_cbranch_execz .LBB169_107
; %bb.106:                              ;   in Loop: Header=BB169_14 Depth=1
	v_and_b32_e32 v0, 7, v31
	v_lshrrev_b32_e32 v36, 3, v26
	v_cmp_gt_u32_e64 s[4:5], 8, v26
	v_ffbh_u32_e32 v26, v0
	v_min_u32_e32 v26, 32, v26
	v_subrev_u32_e32 v34, 28, v26
	v_lshlrev_b64 v[34:35], v34, v[31:32]
	v_sub_u32_e32 v26, 29, v26
	v_and_b32_e32 v31, 7, v34
	v_cndmask_b32_e64 v26, v36, v26, s[4:5]
	v_cndmask_b32_e64 v0, v0, v31, s[4:5]
	v_lshlrev_b32_e32 v25, 24, v25
	v_bfrev_b32_e32 v31, 60
	v_lshlrev_b32_e32 v0, 20, v0
	v_and_b32_e32 v25, 0x80000000, v25
	v_lshl_add_u32 v26, v26, 23, v31
	v_or3_b32 v62, v25, v26, v0
.LBB169_107:                            ;   in Loop: Header=BB169_14 Depth=1
	s_or_b64 exec, exec, s[44:45]
.LBB169_108:                            ;   in Loop: Header=BB169_14 Depth=1
	s_or_b64 exec, exec, s[42:43]
.LBB169_109:                            ;   in Loop: Header=BB169_14 Depth=1
	s_or_b64 exec, exec, s[40:41]
	global_load_ubyte v25, v[29:30], off offset:904
	s_waitcnt vmcnt(0)
	v_cmp_ne_u16_e64 s[4:5], 0, v25
	s_and_saveexec_b64 s[40:41], s[4:5]
	s_cbranch_execz .LBB169_115
; %bb.110:                              ;   in Loop: Header=BB169_14 Depth=1
	v_cmp_ne_u16_e64 s[4:5], s52, v25
	v_bfrev_b32_e32 v61, 1
	s_and_saveexec_b64 s[42:43], s[4:5]
	s_cbranch_execz .LBB169_114
; %bb.111:                              ;   in Loop: Header=BB169_14 Depth=1
	v_and_b32_e32 v31, 0xffff, v25
	v_and_b32_e32 v26, 0x7f, v31
	v_cmp_ne_u32_e64 s[4:5], s53, v26
	v_mov_b32_e32 v61, 0x7f800001
	s_and_saveexec_b64 s[44:45], s[4:5]
	s_cbranch_execz .LBB169_113
; %bb.112:                              ;   in Loop: Header=BB169_14 Depth=1
	v_and_b32_e32 v0, 7, v31
	v_lshrrev_b32_e32 v36, 3, v26
	v_cmp_gt_u32_e64 s[4:5], 8, v26
	v_ffbh_u32_e32 v26, v0
	v_min_u32_e32 v26, 32, v26
	v_subrev_u32_e32 v34, 28, v26
	v_lshlrev_b64 v[34:35], v34, v[31:32]
	v_sub_u32_e32 v26, 29, v26
	v_and_b32_e32 v31, 7, v34
	v_cndmask_b32_e64 v26, v36, v26, s[4:5]
	v_cndmask_b32_e64 v0, v0, v31, s[4:5]
	v_lshlrev_b32_e32 v25, 24, v25
	v_bfrev_b32_e32 v31, 60
	v_lshlrev_b32_e32 v0, 20, v0
	v_and_b32_e32 v25, 0x80000000, v25
	v_lshl_add_u32 v26, v26, 23, v31
	v_or3_b32 v61, v25, v26, v0
.LBB169_113:                            ;   in Loop: Header=BB169_14 Depth=1
	s_or_b64 exec, exec, s[44:45]
.LBB169_114:                            ;   in Loop: Header=BB169_14 Depth=1
	s_or_b64 exec, exec, s[42:43]
.LBB169_115:                            ;   in Loop: Header=BB169_14 Depth=1
	s_or_b64 exec, exec, s[40:41]
	global_load_ubyte v25, v[29:30], off offset:1024
	v_mov_b32_e32 v63, 0
	v_mov_b32_e32 v35, 0
	s_waitcnt vmcnt(0)
	v_cmp_ne_u16_e64 s[4:5], 0, v25
	s_and_saveexec_b64 s[40:41], s[4:5]
	s_cbranch_execz .LBB169_121
; %bb.116:                              ;   in Loop: Header=BB169_14 Depth=1
	v_cmp_ne_u16_e64 s[4:5], s52, v25
	v_bfrev_b32_e32 v35, 1
	s_and_saveexec_b64 s[42:43], s[4:5]
	s_cbranch_execz .LBB169_120
; %bb.117:                              ;   in Loop: Header=BB169_14 Depth=1
	v_and_b32_e32 v31, 0xffff, v25
	v_and_b32_e32 v26, 0x7f, v31
	v_cmp_ne_u32_e64 s[4:5], s53, v26
	v_mov_b32_e32 v35, 0x7f800001
	s_and_saveexec_b64 s[44:45], s[4:5]
	s_cbranch_execz .LBB169_119
; %bb.118:                              ;   in Loop: Header=BB169_14 Depth=1
	v_and_b32_e32 v0, 7, v31
	v_lshrrev_b32_e32 v36, 3, v26
	v_cmp_gt_u32_e64 s[4:5], 8, v26
	v_ffbh_u32_e32 v26, v0
	v_min_u32_e32 v26, 32, v26
	v_subrev_u32_e32 v34, 28, v26
	v_lshlrev_b64 v[34:35], v34, v[31:32]
	v_sub_u32_e32 v26, 29, v26
	v_and_b32_e32 v31, 7, v34
	v_cndmask_b32_e64 v26, v36, v26, s[4:5]
	v_cndmask_b32_e64 v0, v0, v31, s[4:5]
	v_lshlrev_b32_e32 v25, 24, v25
	v_bfrev_b32_e32 v31, 60
	v_lshlrev_b32_e32 v0, 20, v0
	v_and_b32_e32 v25, 0x80000000, v25
	v_lshl_add_u32 v26, v26, 23, v31
	v_or3_b32 v35, v25, v26, v0
.LBB169_119:                            ;   in Loop: Header=BB169_14 Depth=1
	s_or_b64 exec, exec, s[44:45]
.LBB169_120:                            ;   in Loop: Header=BB169_14 Depth=1
	s_or_b64 exec, exec, s[42:43]
.LBB169_121:                            ;   in Loop: Header=BB169_14 Depth=1
	s_or_b64 exec, exec, s[40:41]
	global_load_ubyte v25, v[29:30], off offset:1032
	s_waitcnt vmcnt(0)
	v_cmp_ne_u16_e64 s[4:5], 0, v25
	s_and_saveexec_b64 s[40:41], s[4:5]
	s_cbranch_execz .LBB169_127
; %bb.122:                              ;   in Loop: Header=BB169_14 Depth=1
	v_cmp_ne_u16_e64 s[4:5], s52, v25
	v_bfrev_b32_e32 v63, 1
	s_and_saveexec_b64 s[42:43], s[4:5]
	s_cbranch_execz .LBB169_126
; %bb.123:                              ;   in Loop: Header=BB169_14 Depth=1
	v_and_b32_e32 v31, 0xffff, v25
	v_and_b32_e32 v26, 0x7f, v31
	v_cmp_ne_u32_e64 s[4:5], s53, v26
	v_mov_b32_e32 v63, 0x7f800001
	s_and_saveexec_b64 s[44:45], s[4:5]
	s_cbranch_execz .LBB169_125
; %bb.124:                              ;   in Loop: Header=BB169_14 Depth=1
	v_and_b32_e32 v0, 7, v31
	v_lshrrev_b32_e32 v34, 3, v26
	v_cmp_gt_u32_e64 s[4:5], 8, v26
	v_ffbh_u32_e32 v26, v0
	v_min_u32_e32 v26, 32, v26
	v_subrev_u32_e32 v36, 28, v26
	v_lshlrev_b64 v[36:37], v36, v[31:32]
	v_sub_u32_e32 v26, 29, v26
	v_and_b32_e32 v31, 7, v36
	v_cndmask_b32_e64 v26, v34, v26, s[4:5]
	v_cndmask_b32_e64 v0, v0, v31, s[4:5]
	v_lshlrev_b32_e32 v25, 24, v25
	v_bfrev_b32_e32 v31, 60
	v_lshlrev_b32_e32 v0, 20, v0
	v_and_b32_e32 v25, 0x80000000, v25
	v_lshl_add_u32 v26, v26, 23, v31
	v_or3_b32 v63, v25, v26, v0
.LBB169_125:                            ;   in Loop: Header=BB169_14 Depth=1
	s_or_b64 exec, exec, s[44:45]
.LBB169_126:                            ;   in Loop: Header=BB169_14 Depth=1
	s_or_b64 exec, exec, s[42:43]
.LBB169_127:                            ;   in Loop: Header=BB169_14 Depth=1
	s_or_b64 exec, exec, s[40:41]
	global_load_ubyte v25, v[29:30], off offset:1152
	v_mov_b32_e32 v34, 0
	v_mov_b32_e32 v36, 0
	s_waitcnt vmcnt(0)
	v_cmp_ne_u16_e64 s[4:5], 0, v25
	s_and_saveexec_b64 s[40:41], s[4:5]
	s_cbranch_execz .LBB169_133
; %bb.128:                              ;   in Loop: Header=BB169_14 Depth=1
	v_cmp_ne_u16_e64 s[4:5], s52, v25
	v_bfrev_b32_e32 v36, 1
	s_and_saveexec_b64 s[42:43], s[4:5]
	s_cbranch_execz .LBB169_132
; %bb.129:                              ;   in Loop: Header=BB169_14 Depth=1
	v_and_b32_e32 v31, 0xffff, v25
	v_and_b32_e32 v26, 0x7f, v31
	v_cmp_ne_u32_e64 s[4:5], s53, v26
	v_mov_b32_e32 v36, 0x7f800001
	s_and_saveexec_b64 s[44:45], s[4:5]
	s_cbranch_execz .LBB169_131
; %bb.130:                              ;   in Loop: Header=BB169_14 Depth=1
	v_and_b32_e32 v0, 7, v31
	v_lshrrev_b32_e32 v39, 3, v26
	v_cmp_gt_u32_e64 s[4:5], 8, v26
	v_ffbh_u32_e32 v26, v0
	v_min_u32_e32 v26, 32, v26
	v_subrev_u32_e32 v36, 28, v26
	v_lshlrev_b64 v[36:37], v36, v[31:32]
	v_sub_u32_e32 v26, 29, v26
	v_and_b32_e32 v31, 7, v36
	v_cndmask_b32_e64 v26, v39, v26, s[4:5]
	v_cndmask_b32_e64 v0, v0, v31, s[4:5]
	v_lshlrev_b32_e32 v25, 24, v25
	v_bfrev_b32_e32 v31, 60
	v_lshlrev_b32_e32 v0, 20, v0
	v_and_b32_e32 v25, 0x80000000, v25
	v_lshl_add_u32 v26, v26, 23, v31
	v_or3_b32 v36, v25, v26, v0
.LBB169_131:                            ;   in Loop: Header=BB169_14 Depth=1
	s_or_b64 exec, exec, s[44:45]
.LBB169_132:                            ;   in Loop: Header=BB169_14 Depth=1
	s_or_b64 exec, exec, s[42:43]
.LBB169_133:                            ;   in Loop: Header=BB169_14 Depth=1
	s_or_b64 exec, exec, s[40:41]
	global_load_ubyte v25, v[29:30], off offset:1160
	s_waitcnt vmcnt(0)
	v_cmp_ne_u16_e64 s[4:5], 0, v25
	s_and_saveexec_b64 s[40:41], s[4:5]
	s_cbranch_execz .LBB169_139
; %bb.134:                              ;   in Loop: Header=BB169_14 Depth=1
	v_cmp_ne_u16_e64 s[4:5], s52, v25
	v_bfrev_b32_e32 v34, 1
	s_and_saveexec_b64 s[42:43], s[4:5]
	s_cbranch_execz .LBB169_138
; %bb.135:                              ;   in Loop: Header=BB169_14 Depth=1
	v_and_b32_e32 v31, 0xffff, v25
	v_and_b32_e32 v26, 0x7f, v31
	v_cmp_ne_u32_e64 s[4:5], s53, v26
	v_mov_b32_e32 v34, 0x7f800001
	s_and_saveexec_b64 s[44:45], s[4:5]
	s_cbranch_execz .LBB169_137
; %bb.136:                              ;   in Loop: Header=BB169_14 Depth=1
	v_and_b32_e32 v0, 7, v31
	v_lshrrev_b32_e32 v34, 3, v26
	v_cmp_gt_u32_e64 s[4:5], 8, v26
	v_ffbh_u32_e32 v26, v0
	v_min_u32_e32 v26, 32, v26
	v_subrev_u32_e32 v37, 28, v26
	v_lshlrev_b64 v[39:40], v37, v[31:32]
	v_sub_u32_e32 v26, 29, v26
	v_and_b32_e32 v31, 7, v39
	v_cndmask_b32_e64 v26, v34, v26, s[4:5]
	v_cndmask_b32_e64 v0, v0, v31, s[4:5]
	v_lshlrev_b32_e32 v25, 24, v25
	v_bfrev_b32_e32 v31, 60
	v_lshlrev_b32_e32 v0, 20, v0
	v_and_b32_e32 v25, 0x80000000, v25
	v_lshl_add_u32 v26, v26, 23, v31
	v_or3_b32 v34, v25, v26, v0
.LBB169_137:                            ;   in Loop: Header=BB169_14 Depth=1
	s_or_b64 exec, exec, s[44:45]
.LBB169_138:                            ;   in Loop: Header=BB169_14 Depth=1
	s_or_b64 exec, exec, s[42:43]
.LBB169_139:                            ;   in Loop: Header=BB169_14 Depth=1
	s_or_b64 exec, exec, s[40:41]
	global_load_ubyte v25, v[29:30], off offset:1280
	v_mov_b32_e32 v37, 0
	v_mov_b32_e32 v42, 0
	s_waitcnt vmcnt(0)
	v_cmp_ne_u16_e64 s[4:5], 0, v25
	s_and_saveexec_b64 s[40:41], s[4:5]
	s_cbranch_execz .LBB169_145
; %bb.140:                              ;   in Loop: Header=BB169_14 Depth=1
	v_cmp_ne_u16_e64 s[4:5], s52, v25
	v_bfrev_b32_e32 v42, 1
	s_and_saveexec_b64 s[42:43], s[4:5]
	s_cbranch_execz .LBB169_144
; %bb.141:                              ;   in Loop: Header=BB169_14 Depth=1
	v_and_b32_e32 v31, 0xffff, v25
	v_and_b32_e32 v26, 0x7f, v31
	v_cmp_ne_u32_e64 s[4:5], s53, v26
	v_mov_b32_e32 v42, 0x7f800001
	s_and_saveexec_b64 s[44:45], s[4:5]
	s_cbranch_execz .LBB169_143
; %bb.142:                              ;   in Loop: Header=BB169_14 Depth=1
	v_and_b32_e32 v0, 7, v31
	v_lshrrev_b32_e32 v42, 3, v26
	v_cmp_gt_u32_e64 s[4:5], 8, v26
	v_ffbh_u32_e32 v26, v0
	v_min_u32_e32 v26, 32, v26
	v_subrev_u32_e32 v39, 28, v26
	v_lshlrev_b64 v[39:40], v39, v[31:32]
	v_sub_u32_e32 v26, 29, v26
	v_and_b32_e32 v31, 7, v39
	v_cndmask_b32_e64 v26, v42, v26, s[4:5]
	v_cndmask_b32_e64 v0, v0, v31, s[4:5]
	v_lshlrev_b32_e32 v25, 24, v25
	v_bfrev_b32_e32 v31, 60
	v_lshlrev_b32_e32 v0, 20, v0
	v_and_b32_e32 v25, 0x80000000, v25
	v_lshl_add_u32 v26, v26, 23, v31
	v_or3_b32 v42, v25, v26, v0
.LBB169_143:                            ;   in Loop: Header=BB169_14 Depth=1
	s_or_b64 exec, exec, s[44:45]
.LBB169_144:                            ;   in Loop: Header=BB169_14 Depth=1
	s_or_b64 exec, exec, s[42:43]
.LBB169_145:                            ;   in Loop: Header=BB169_14 Depth=1
	s_or_b64 exec, exec, s[40:41]
	global_load_ubyte v25, v[29:30], off offset:1288
	s_waitcnt vmcnt(0)
	v_cmp_ne_u16_e64 s[4:5], 0, v25
	s_and_saveexec_b64 s[40:41], s[4:5]
	s_cbranch_execz .LBB169_151
; %bb.146:                              ;   in Loop: Header=BB169_14 Depth=1
	v_cmp_ne_u16_e64 s[4:5], s52, v25
	v_bfrev_b32_e32 v37, 1
	s_and_saveexec_b64 s[42:43], s[4:5]
	s_cbranch_execz .LBB169_150
; %bb.147:                              ;   in Loop: Header=BB169_14 Depth=1
	v_and_b32_e32 v31, 0xffff, v25
	v_and_b32_e32 v26, 0x7f, v31
	v_cmp_ne_u32_e64 s[4:5], s53, v26
	v_mov_b32_e32 v37, 0x7f800001
	s_and_saveexec_b64 s[44:45], s[4:5]
	s_cbranch_execz .LBB169_149
; %bb.148:                              ;   in Loop: Header=BB169_14 Depth=1
	v_and_b32_e32 v0, 7, v31
	v_lshrrev_b32_e32 v37, 3, v26
	v_cmp_gt_u32_e64 s[4:5], 8, v26
	v_ffbh_u32_e32 v26, v0
	v_min_u32_e32 v26, 32, v26
	v_subrev_u32_e32 v39, 28, v26
	v_lshlrev_b64 v[39:40], v39, v[31:32]
	v_sub_u32_e32 v26, 29, v26
	v_and_b32_e32 v31, 7, v39
	v_cndmask_b32_e64 v26, v37, v26, s[4:5]
	v_cndmask_b32_e64 v0, v0, v31, s[4:5]
	v_lshlrev_b32_e32 v25, 24, v25
	v_bfrev_b32_e32 v31, 60
	v_lshlrev_b32_e32 v0, 20, v0
	v_and_b32_e32 v25, 0x80000000, v25
	v_lshl_add_u32 v26, v26, 23, v31
	v_or3_b32 v37, v25, v26, v0
.LBB169_149:                            ;   in Loop: Header=BB169_14 Depth=1
	s_or_b64 exec, exec, s[44:45]
.LBB169_150:                            ;   in Loop: Header=BB169_14 Depth=1
	s_or_b64 exec, exec, s[42:43]
.LBB169_151:                            ;   in Loop: Header=BB169_14 Depth=1
	s_or_b64 exec, exec, s[40:41]
	global_load_ubyte v44, v[29:30], off offset:1408
	v_mov_b32_e32 v25, 0
	v_mov_b32_e32 v26, 0
	s_waitcnt vmcnt(0)
	v_cmp_ne_u16_e64 s[4:5], 0, v44
	s_and_saveexec_b64 s[40:41], s[4:5]
	s_cbranch_execz .LBB169_157
; %bb.152:                              ;   in Loop: Header=BB169_14 Depth=1
	v_cmp_ne_u16_e64 s[4:5], s52, v44
	v_bfrev_b32_e32 v26, 1
	s_and_saveexec_b64 s[42:43], s[4:5]
	s_cbranch_execz .LBB169_156
; %bb.153:                              ;   in Loop: Header=BB169_14 Depth=1
	v_and_b32_e32 v31, 0xffff, v44
	v_and_b32_e32 v0, 0x7f, v31
	v_cmp_ne_u32_e64 s[4:5], s53, v0
	v_mov_b32_e32 v26, 0x7f800001
	s_and_saveexec_b64 s[44:45], s[4:5]
	s_cbranch_execz .LBB169_155
; %bb.154:                              ;   in Loop: Header=BB169_14 Depth=1
	v_and_b32_e32 v26, 7, v31
	v_lshrrev_b32_e32 v47, 3, v0
	v_cmp_gt_u32_e64 s[4:5], 8, v0
	v_ffbh_u32_e32 v0, v26
	v_min_u32_e32 v0, 32, v0
	v_subrev_u32_e32 v39, 28, v0
	v_lshlrev_b64 v[39:40], v39, v[31:32]
	v_sub_u32_e32 v0, 29, v0
	v_and_b32_e32 v31, 7, v39
	v_cndmask_b32_e64 v0, v47, v0, s[4:5]
	v_cndmask_b32_e64 v26, v26, v31, s[4:5]
	v_lshlrev_b32_e32 v31, 24, v44
	v_bfrev_b32_e32 v39, 60
	v_lshlrev_b32_e32 v26, 20, v26
	v_and_b32_e32 v31, 0x80000000, v31
	v_lshl_add_u32 v0, v0, 23, v39
	v_or3_b32 v26, v31, v0, v26
.LBB169_155:                            ;   in Loop: Header=BB169_14 Depth=1
	s_or_b64 exec, exec, s[44:45]
.LBB169_156:                            ;   in Loop: Header=BB169_14 Depth=1
	s_or_b64 exec, exec, s[42:43]
.LBB169_157:                            ;   in Loop: Header=BB169_14 Depth=1
	s_or_b64 exec, exec, s[40:41]
	global_load_ubyte v30, v[29:30], off offset:1416
	s_waitcnt vmcnt(0)
	v_cmp_ne_u16_e64 s[4:5], 0, v30
	s_and_saveexec_b64 s[40:41], s[4:5]
	s_cbranch_execz .LBB169_163
; %bb.158:                              ;   in Loop: Header=BB169_14 Depth=1
	v_cmp_ne_u16_e64 s[4:5], s52, v30
	v_bfrev_b32_e32 v25, 1
	s_and_saveexec_b64 s[42:43], s[4:5]
	s_cbranch_execz .LBB169_162
; %bb.159:                              ;   in Loop: Header=BB169_14 Depth=1
	v_and_b32_e32 v29, 0xffff, v30
	v_and_b32_e32 v0, 0x7f, v29
	v_cmp_ne_u32_e64 s[4:5], s53, v0
	v_mov_b32_e32 v25, 0x7f800001
	s_and_saveexec_b64 s[44:45], s[4:5]
	s_cbranch_execz .LBB169_161
; %bb.160:                              ;   in Loop: Header=BB169_14 Depth=1
	v_and_b32_e32 v25, 7, v29
	v_lshrrev_b32_e32 v31, 3, v0
	v_cmp_gt_u32_e64 s[4:5], 8, v0
	v_ffbh_u32_e32 v0, v25
	v_min_u32_e32 v0, 32, v0
	v_subrev_u32_e32 v39, 28, v0
	v_lshlrev_b64 v[39:40], v39, v[29:30]
	v_sub_u32_e32 v0, 29, v0
	v_and_b32_e32 v29, 7, v39
	v_cndmask_b32_e64 v0, v31, v0, s[4:5]
	v_cndmask_b32_e64 v25, v25, v29, s[4:5]
	v_lshlrev_b32_e32 v29, 24, v30
	v_bfrev_b32_e32 v30, 60
	v_lshlrev_b32_e32 v25, 20, v25
	v_and_b32_e32 v29, 0x80000000, v29
	v_lshl_add_u32 v0, v0, 23, v30
	v_or3_b32 v25, v29, v0, v25
.LBB169_161:                            ;   in Loop: Header=BB169_14 Depth=1
	s_or_b64 exec, exec, s[44:45]
.LBB169_162:                            ;   in Loop: Header=BB169_14 Depth=1
	s_or_b64 exec, exec, s[42:43]
.LBB169_163:                            ;   in Loop: Header=BB169_14 Depth=1
	s_or_b64 exec, exec, s[40:41]
	s_waitcnt lgkmcnt(0)
	v_mul_f32_e32 v47, s54, v55
	v_mul_f32_e32 v55, s54, v56
	;; [unrolled: 1-line block ×3, first 2 shown]
	buffer_load_dword v45, off, s[56:59], 0 offset:16 ; 4-byte Folded Reload
	v_mul_f32_e32 v48, s54, v48
	v_mul_f32_e32 v22, v22, v48
	;; [unrolled: 1-line block ×3, first 2 shown]
	v_fmac_f32_e32 v22, v21, v56
	v_mul_f32_e32 v49, s54, v49
	v_fmac_f32_e32 v22, v23, v50
	v_mul_f32_e32 v52, s54, v52
	;; [unrolled: 2-line block ×5, first 2 shown]
	v_fmac_f32_e32 v22, v15, v54
	v_fmac_f32_e32 v22, v16, v53
	;; [unrolled: 1-line block ×3, first 2 shown]
	v_mul_f32_e32 v44, s54, v58
	v_fmac_f32_e32 v22, v18, v47
	v_mul_f32_e32 v29, s54, v42
	v_mul_f32_e32 v42, s54, v57
	v_fmac_f32_e32 v22, v19, v44
	v_mul_f32_e32 v40, s54, v60
	v_fmac_f32_e32 v22, v20, v42
	;; [unrolled: 2-line block ×3, first 2 shown]
	v_mul_f32_e32 v0, s54, v26
	v_mul_f32_e32 v26, s54, v37
	;; [unrolled: 1-line block ×3, first 2 shown]
	v_fmac_f32_e32 v22, v10, v39
	v_mul_f32_e32 v31, s54, v36
	v_mul_f32_e32 v36, s54, v61
	v_fmac_f32_e32 v22, v11, v37
	v_mul_f32_e32 v35, s54, v35
	v_fmac_f32_e32 v22, v12, v36
	v_mul_f32_e32 v30, s54, v34
	v_mul_f32_e32 v34, s54, v63
	v_fmac_f32_e32 v22, v5, v35
	v_fmac_f32_e32 v22, v6, v34
	;; [unrolled: 1-line block ×6, first 2 shown]
	v_mul_f32_e32 v25, s54, v25
	v_fmac_f32_e32 v22, v3, v0
	v_fmac_f32_e32 v22, v4, v25
	s_waitcnt vmcnt(0)
	v_and_b32_e32 v57, 64, v45
	v_add_u32_e32 v57, 64, v57
	v_xor_b32_e32 v58, 4, v45
	v_cmp_lt_i32_e64 s[4:5], v58, v57
	v_cndmask_b32_e64 v58, v45, v58, s[4:5]
	v_lshlrev_b32_e32 v58, 2, v58
	ds_bpermute_b32 v0, v58, v22
	v_xor_b32_e32 v1, 2, v45
	v_cmp_lt_i32_e64 s[4:5], v1, v57
	v_cndmask_b32_e64 v1, v45, v1, s[4:5]
	v_lshlrev_b32_e32 v1, 2, v1
	s_waitcnt lgkmcnt(0)
	v_add_f32_e32 v0, v22, v0
	ds_bpermute_b32 v1, v1, v0
	v_xor_b32_e32 v2, 1, v45
	v_cmp_lt_i32_e64 s[4:5], v2, v57
	v_cndmask_b32_e64 v2, v45, v2, s[4:5]
	v_lshlrev_b32_e32 v2, 2, v2
	s_waitcnt lgkmcnt(0)
	v_add_f32_e32 v1, v0, v1
	ds_bpermute_b32 v2, v2, v1
	s_and_saveexec_b64 s[40:41], vcc
	s_cbranch_execz .LBB169_12
; %bb.164:                              ;   in Loop: Header=BB169_14 Depth=1
	buffer_load_dword v0, off, s[56:59], 0 offset:24 ; 4-byte Folded Reload
	buffer_load_dword v3, off, s[56:59], 0 offset:20 ; 4-byte Folded Reload
	s_waitcnt lgkmcnt(0)
	v_add_f32_e32 v1, v1, v2
	buffer_load_dword v2, off, s[56:59], 0 offset:4 ; 4-byte Folded Reload
	s_waitcnt vmcnt(2)
	v_add_u32_e32 v0, v0, v41
	v_cvt_f32_i32_e32 v0, v0
	s_waitcnt vmcnt(1)
	v_add_u32_e32 v3, v3, v41
	v_cmp_gt_i32_e64 s[4:5], s33, v3
	v_mul_f32_e32 v0, s48, v0
	v_cndmask_b32_e64 v0, 0, v0, s[2:3]
	v_fmac_f32_e32 v0, s37, v1
	v_cndmask_b32_e64 v1, 0, v0, s[4:5]
	ds_write_b32 v43, v1
	s_waitcnt vmcnt(0)
	v_max_f32_e32 v1, v2, v2
	v_max_f32_e32 v0, v1, v0
	v_cndmask_b32_e64 v2, v2, v0, s[4:5]
	buffer_store_dword v2, off, s[56:59], 0 offset:4 ; 4-byte Folded Spill
	s_branch .LBB169_12
.LBB169_165:
	s_or_b64 exec, exec, s[38:39]
	buffer_load_dword v12, off, s[56:59], 0 offset:28 ; 4-byte Folded Reload
	buffer_load_dword v13, off, s[56:59], 0 offset:32 ; 4-byte Folded Reload
	;; [unrolled: 1-line block ×4, first 2 shown]
	v_mbcnt_lo_u32_b32 v5, -1, 0
.LBB169_166:
	s_or_b64 exec, exec, s[18:19]
	v_mbcnt_hi_u32_b32 v1, -1, v5
	v_and_b32_e32 v8, 64, v1
	s_waitcnt lgkmcnt(0)
	v_add_u32_e32 v2, 64, v8
	v_xor_b32_e32 v0, 32, v1
	v_cmp_lt_i32_e32 vcc, v0, v2
	v_cndmask_b32_e32 v0, v1, v0, vcc
	v_lshlrev_b32_e32 v4, 2, v0
	s_waitcnt vmcnt(0)
	ds_bpermute_b32 v0, v4, v3
	v_xor_b32_e32 v5, 16, v1
	v_max_f32_e32 v3, v3, v3
	v_cmp_lt_i32_e32 vcc, v5, v2
	v_and_b32_e32 v24, 63, v12
	s_waitcnt lgkmcnt(0)
	v_max_f32_e32 v0, v0, v0
	v_max_f32_e32 v0, v3, v0
	v_cndmask_b32_e32 v3, v1, v5, vcc
	v_lshlrev_b32_e32 v6, 2, v3
	ds_bpermute_b32 v3, v6, v0
	v_xor_b32_e32 v5, 8, v1
	v_cmp_lt_i32_e32 vcc, v5, v2
	s_waitcnt lgkmcnt(0)
	v_max_f32_e32 v3, v3, v3
	v_max_f32_e32 v0, v0, v3
	v_cndmask_b32_e32 v3, v1, v5, vcc
	v_lshlrev_b32_e32 v7, 2, v3
	ds_bpermute_b32 v5, v7, v0
	v_cmp_eq_u32_e32 vcc, 0, v24
	v_lshlrev_b32_e32 v3, 2, v32
	s_and_saveexec_b64 s[2:3], vcc
	s_cbranch_execz .LBB169_168
; %bb.167:
	s_waitcnt lgkmcnt(0)
	v_max_f32_e32 v5, v5, v5
	v_max_f32_e32 v0, v0, v0
	v_max_f32_e32 v0, v0, v5
	ds_write_b32 v3, v0 offset:768
.LBB169_168:
	s_or_b64 exec, exec, s[2:3]
	v_cmp_gt_u32_e64 s[2:3], 2, v24
	v_mov_b32_e32 v0, 0xff7fffff
	s_waitcnt lgkmcnt(0)
	v_lshlrev_b32_e32 v5, 2, v24
	s_barrier
	s_and_saveexec_b64 s[4:5], s[2:3]
; %bb.169:
	ds_read_b32 v0, v5 offset:768
; %bb.170:
	s_or_b64 exec, exec, s[4:5]
	v_xor_b32_e32 v9, 1, v1
	v_cmp_lt_i32_e64 s[4:5], v9, v2
	v_cndmask_b32_e64 v9, v1, v9, s[4:5]
	v_lshlrev_b32_e32 v25, 2, v9
	s_waitcnt lgkmcnt(0)
	ds_bpermute_b32 v9, v25, v0
	v_max_f32_e32 v0, v0, v0
	v_lshlrev_b32_e32 v8, 2, v8
	s_lshl_b32 s4, s20, 3
	s_min_i32 s37, s4, s33
	s_waitcnt lgkmcnt(0)
	v_max_f32_e32 v9, v9, v9
	v_max_f32_e32 v0, v0, v9
	ds_bpermute_b32 v8, v8, v0
	v_cmp_gt_i32_e64 s[4:5], s37, v12
	v_mov_b32_e32 v0, 0
	s_and_saveexec_b64 s[12:13], s[4:5]
	s_cbranch_execz .LBB169_174
; %bb.171:
	v_mov_b32_e32 v0, 0x310
	v_lshl_add_u32 v9, v12, 2, v0
	v_mov_b32_e32 v0, 0
	s_mov_b64 s[18:19], 0
	v_mov_b32_e32 v10, v12
.LBB169_172:                            ; =>This Inner Loop Header: Depth=1
	ds_read_b32 v11, v9
	v_add_u32_e32 v10, 0x80, v10
	v_cmp_le_i32_e64 s[6:7], s37, v10
	s_or_b64 s[18:19], s[6:7], s[18:19]
	s_waitcnt lgkmcnt(0)
	v_sub_f32_e32 v11, v11, v8
	v_mul_f32_e32 v11, 0x3fb8aa3b, v11
	v_exp_f32_e32 v11, v11
	ds_write_b32 v9, v11
	v_add_f32_e32 v0, v0, v11
	v_add_u32_e32 v9, 0x200, v9
	s_andn2_b64 exec, exec, s[18:19]
	s_cbranch_execnz .LBB169_172
; %bb.173:
	s_or_b64 exec, exec, s[18:19]
.LBB169_174:
	s_or_b64 exec, exec, s[12:13]
	ds_bpermute_b32 v4, v4, v0
	s_waitcnt lgkmcnt(0)
	v_add_f32_e32 v0, v0, v4
	ds_bpermute_b32 v4, v6, v0
	v_xor_b32_e32 v6, 4, v1
	v_cmp_lt_i32_e64 s[6:7], v6, v2
	v_cndmask_b32_e64 v6, v1, v6, s[6:7]
	v_lshlrev_b32_e32 v6, 2, v6
	s_waitcnt lgkmcnt(0)
	v_add_f32_e32 v0, v0, v4
	ds_bpermute_b32 v4, v7, v0
	s_waitcnt lgkmcnt(0)
	v_add_f32_e32 v0, v0, v4
	ds_bpermute_b32 v4, v6, v0
	v_xor_b32_e32 v6, 2, v1
	v_cmp_lt_i32_e64 s[6:7], v6, v2
	v_cndmask_b32_e64 v2, v1, v6, s[6:7]
	v_lshlrev_b32_e32 v2, 2, v2
	s_waitcnt lgkmcnt(0)
	v_add_f32_e32 v0, v0, v4
	ds_bpermute_b32 v2, v2, v0
	s_waitcnt lgkmcnt(0)
	v_add_f32_e32 v0, v0, v2
	ds_bpermute_b32 v2, v25, v0
	s_waitcnt lgkmcnt(0)
	v_add_f32_e32 v0, v0, v2
	s_and_saveexec_b64 s[6:7], vcc
; %bb.175:
	ds_write_b32 v3, v0 offset:776
; %bb.176:
	s_or_b64 exec, exec, s[6:7]
	s_waitcnt lgkmcnt(0)
	s_barrier
	s_and_saveexec_b64 s[6:7], s[2:3]
; %bb.177:
	ds_read_b32 v0, v5 offset:776
; %bb.178:
	s_or_b64 exec, exec, s[6:7]
	s_waitcnt lgkmcnt(0)
	ds_bpermute_b32 v2, v25, v0
	v_lshlrev_b32_e32 v1, 2, v1
	v_and_b32_e32 v1, 0x100, v1
	s_waitcnt lgkmcnt(0)
	v_add_f32_e32 v0, v0, v2
	ds_bpermute_b32 v0, v1, v0
	s_and_saveexec_b64 s[2:3], s[4:5]
	s_cbranch_execz .LBB169_181
; %bb.179:
	s_waitcnt lgkmcnt(0)
	v_add_f32_e32 v1, 0x358637bd, v0
	v_div_scale_f32 v0, s[4:5], v1, v1, 1.0
	v_div_scale_f32 v2, vcc, 1.0, v1, 1.0
	s_mov_b64 s[4:5], 0
	v_rcp_f32_e32 v3, v0
	v_fma_f32 v4, -v0, v3, 1.0
	v_fmac_f32_e32 v3, v4, v3
	v_mul_f32_e32 v4, v2, v3
	v_fma_f32 v5, -v0, v4, v2
	v_fmac_f32_e32 v4, v5, v3
	v_fma_f32 v0, -v0, v4, v2
	v_div_fmas_f32 v2, v0, v3, v4
	v_mov_b32_e32 v0, 0x310
	v_lshl_add_u32 v0, v12, 2, v0
	v_div_fixup_f32 v1, v2, v1, 1.0
	v_mov_b32_e32 v2, v12
.LBB169_180:                            ; =>This Inner Loop Header: Depth=1
	ds_read_b32 v3, v0
	v_add_u32_e32 v2, 0x80, v2
	v_cmp_le_i32_e32 vcc, s37, v2
	s_or_b64 s[4:5], vcc, s[4:5]
	s_waitcnt lgkmcnt(0)
	v_mul_f32_e32 v3, v1, v3
	ds_write_b32 v0, v3
	v_add_u32_e32 v0, 0x200, v0
	s_andn2_b64 exec, exec, s[4:5]
	s_cbranch_execnz .LBB169_180
.LBB169_181:
	s_or_b64 exec, exec, s[2:3]
	v_mov_b32_e32 v37, 0
	v_and_b32_e32 v11, 1, v12
	v_mov_b32_e32 v36, 0
	v_mov_b32_e32 v31, 0
	;; [unrolled: 1-line block ×5, first 2 shown]
	s_waitcnt lgkmcnt(0)
	s_barrier
	s_and_saveexec_b64 s[2:3], s[0:1]
	s_cbranch_execz .LBB169_343
; %bb.182:
	s_sub_i32 s21, s16, s21
	s_ashr_i32 s0, s47, 31
	s_add_u32 s4, s34, s47
	s_addc_u32 s5, s35, s0
	s_abs_i32 s22, s22
	v_cvt_f32_u32_e32 v0, s22
	s_sub_i32 s0, 0, s22
	v_and_b32_e32 v1, 0xfc, v13
	s_add_i32 s35, s20, -1
	v_rcp_iflag_f32_e32 v0, v0
	v_mov_b32_e32 v4, s5
	v_add_co_u32_e32 v7, vcc, s4, v1
	v_mul_f32_e32 v0, 0x4f7ffffe, v0
	v_cvt_u32_f32_e32 v0, v0
	v_and_b32_e32 v2, 60, v14
	v_addc_co_u32_e32 v8, vcc, 0, v4, vcc
	v_mul_lo_u32 v3, s0, v0
	s_lshl_b64 s[0:1], s[30:31], 2
	s_add_u32 s0, s28, s0
	s_addc_u32 s1, s29, s1
	v_mul_hi_u32 v3, v0, v3
	v_add_co_u32_e32 v9, vcc, s0, v2
	v_mov_b32_e32 v5, 0
	v_add_u32_e32 v34, v0, v3
	v_mov_b32_e32 v0, s1
	v_addc_co_u32_e32 v10, vcc, 0, v0, vcc
	v_lshlrev_b32_e32 v0, 4, v11
	v_lshl_or_b32 v0, v32, 5, v0
	v_and_b32_e32 v27, 4, v13
	s_mov_b32 s34, s17
	v_add_u32_e32 v35, 0x310, v0
	s_mov_b64 s[4:5], 0
	s_movk_i32 s28, 0x80
	s_movk_i32 s29, 0x7f
	s_brev_b32 s30, 1
	s_mov_b32 s31, 0xffffff
	v_bfrev_b32_e32 v38, 60
	v_bfrev_b32_e32 v6, 1
	v_mov_b32_e32 v12, 0x7f800001
	v_mov_b32_e32 v63, 7
	;; [unrolled: 1-line block ×9, first 2 shown]
	buffer_store_dword v11, off, s[56:59], 0 ; 4-byte Folded Spill
	s_branch .LBB169_185
.LBB169_183:                            ;   in Loop: Header=BB169_185 Depth=1
	s_or_b64 exec, exec, s[0:1]
	v_mul_f32_e32 v0, v1, v62
	v_fmac_f32_e32 v0, v2, v61
	v_fmac_f32_e32 v0, v3, v23
	v_fmac_f32_e32 v0, v4, v22
	v_add_f32_e32 v29, v29, v0
	v_mul_f32_e32 v0, v1, v60
	v_fmac_f32_e32 v0, v2, v57
	v_fmac_f32_e32 v0, v3, v59
	v_fmac_f32_e32 v0, v4, v58
	v_add_f32_e32 v30, v30, v0
	;; [unrolled: 5-line block ×6, first 2 shown]
.LBB169_184:                            ;   in Loop: Header=BB169_185 Depth=1
	s_or_b64 exec, exec, s[6:7]
	v_add_co_u32_e32 v9, vcc, 8, v9
	v_add_u32_e32 v32, 2, v32
	v_addc_co_u32_e32 v10, vcc, 0, v10, vcc
	v_cmp_le_i32_e32 vcc, s20, v32
	v_add_u32_e32 v33, 16, v33
	s_or_b64 s[4:5], vcc, s[4:5]
	v_add_u32_e32 v35, 64, v35
	s_andn2_b64 exec, exec, s[4:5]
	s_cbranch_execz .LBB169_342
.LBB169_185:                            ; =>This Inner Loop Header: Depth=1
	v_mul_hi_u32 v0, v33, s46
	v_mul_lo_u32 v1, v0, s25
	v_add_u32_e32 v2, 1, v0
	v_sub_u32_e32 v1, v33, v1
	v_cmp_le_u32_e32 vcc, s25, v1
	v_cndmask_b32_e32 v0, v0, v2, vcc
	v_subrev_u32_e32 v2, s25, v1
	v_cndmask_b32_e32 v1, v1, v2, vcc
	v_add_u32_e32 v2, 1, v0
	v_cmp_le_u32_e32 vcc, s25, v1
	v_cndmask_b32_e32 v0, v0, v2, vcc
	v_xor_b32_e32 v0, s23, v0
	v_subrev_u32_e32 v0, s23, v0
	v_add_u32_e32 v1, s36, v0
	v_sub_u32_e32 v2, 0, v1
	v_max_i32_e32 v2, v1, v2
	v_mul_hi_u32 v3, v2, v34
	v_ashrrev_i32_e32 v1, 31, v1
	v_cmp_lt_i32_e64 s[0:1], s21, v0
	v_mul_lo_u32 v3, v3, s22
	v_sub_u32_e32 v2, v2, v3
	v_subrev_u32_e32 v3, s22, v2
	v_cmp_le_u32_e32 vcc, s22, v2
	v_cndmask_b32_e32 v2, v2, v3, vcc
	v_subrev_u32_e32 v3, s22, v2
	v_cmp_le_u32_e32 vcc, s22, v2
	v_cndmask_b32_e32 v2, v2, v3, vcc
	v_xor_b32_e32 v2, v2, v1
	v_sub_u32_e32 v1, v2, v1
	v_cmp_eq_u32_e32 vcc, 0, v1
	s_or_b64 s[0:1], vcc, s[0:1]
	s_and_saveexec_b64 s[6:7], s[0:1]
	s_cbranch_execz .LBB169_184
; %bb.186:                              ;   in Loop: Header=BB169_185 Depth=1
	global_load_dword v0, v[9:10], off
	ds_read_b128 v[1:4], v35
	s_load_dword s37, s[14:15], 0x0
	v_mov_b32_e32 v18, 0
	v_mov_b32_e32 v16, 0
	;; [unrolled: 1-line block ×4, first 2 shown]
	s_waitcnt vmcnt(0)
	v_mad_i64_i32 v[13:14], s[0:1], v0, s34, v[7:8]
	global_load_dword v15, v[13:14], off
	s_waitcnt vmcnt(0)
	v_cmp_ne_u16_sdwa s[12:13], v15, v5 src0_sel:BYTE_0 src1_sel:DWORD
	s_and_saveexec_b64 s[0:1], s[12:13]
	s_cbranch_execz .LBB169_192
; %bb.187:                              ;   in Loop: Header=BB169_185 Depth=1
	v_bfrev_b32_e32 v16, 1
	v_mov_b32_e32 v17, 0
	v_cmp_ne_u16_sdwa s[16:17], v15, s28 src0_sel:BYTE_0 src1_sel:DWORD
	s_and_saveexec_b64 s[12:13], s[16:17]
	s_cbranch_execz .LBB169_191
; %bb.188:                              ;   in Loop: Header=BB169_185 Depth=1
	v_and_b32_e32 v0, 0x7f, v15
	v_mov_b32_e32 v16, 0x7f800001
	v_mov_b32_e32 v17, 0
	v_cmp_ne_u32_e32 vcc, s29, v0
	s_and_saveexec_b64 s[16:17], vcc
	s_cbranch_execz .LBB169_190
; %bb.189:                              ;   in Loop: Header=BB169_185 Depth=1
	v_and_b32_e32 v11, 7, v15
	v_ffbh_u32_e32 v16, v11
	v_min_u32_e32 v21, 32, v16
	v_subrev_u32_e32 v16, 28, v21
	v_lshlrev_b64 v[16:17], v16, v[15:16]
	v_lshrrev_b32_e32 v20, 3, v0
	v_sub_u32_e32 v17, 29, v21
	v_and_b32_e32 v16, 7, v16
	v_cmp_gt_u32_e32 vcc, 8, v0
	v_cndmask_b32_e32 v0, v20, v17, vcc
	v_cndmask_b32_e32 v11, v11, v16, vcc
	v_lshlrev_b32_e32 v11, 20, v11
	v_and_b32_sdwa v16, sext(v15), s30 dst_sel:DWORD dst_unused:UNUSED_PAD src0_sel:BYTE_0 src1_sel:DWORD
	v_lshl_add_u32 v0, v0, 23, v38
	v_or3_b32 v16, v16, v0, v11
	v_mov_b32_e32 v17, v5
.LBB169_190:                            ;   in Loop: Header=BB169_185 Depth=1
	s_or_b64 exec, exec, s[16:17]
.LBB169_191:                            ;   in Loop: Header=BB169_185 Depth=1
	s_or_b64 exec, exec, s[12:13]
.LBB169_192:                            ;   in Loop: Header=BB169_185 Depth=1
	s_or_b64 exec, exec, s[0:1]
	v_cmp_ne_u16_sdwa s[12:13], v15, v5 src0_sel:BYTE_1 src1_sel:DWORD
	s_and_saveexec_b64 s[0:1], s[12:13]
	s_cbranch_execz .LBB169_198
; %bb.193:                              ;   in Loop: Header=BB169_185 Depth=1
	v_mov_b32_e32 v19, v6
	v_cmp_ne_u16_sdwa s[16:17], v15, s28 src0_sel:BYTE_1 src1_sel:DWORD
	v_mov_b32_e32 v18, v5
	s_and_saveexec_b64 s[12:13], s[16:17]
	s_cbranch_execz .LBB169_197
; %bb.194:                              ;   in Loop: Header=BB169_185 Depth=1
	v_and_b32_sdwa v0, v15, s29 dst_sel:DWORD dst_unused:UNUSED_PAD src0_sel:BYTE_1 src1_sel:DWORD
	v_mov_b32_e32 v11, v5
	v_mov_b32_e32 v19, v12
	v_cmp_ne_u32_e32 vcc, s29, v0
	v_mov_b32_e32 v18, v11
	s_and_saveexec_b64 s[16:17], vcc
	s_cbranch_execz .LBB169_196
; %bb.195:                              ;   in Loop: Header=BB169_185 Depth=1
	v_and_b32_sdwa v18, v15, v63 dst_sel:DWORD dst_unused:UNUSED_PAD src0_sel:BYTE_1 src1_sel:DWORD
	v_ffbh_u32_e32 v20, v18
	v_min_u32_e32 v21, 32, v20
	v_mov_b32_e32 v19, v5
	v_subrev_u32_e32 v20, 28, v21
	v_lshlrev_b64 v[19:20], v20, v[18:19]
	v_lshrrev_b32_e32 v11, 3, v0
	v_sub_u32_e32 v20, 29, v21
	v_cmp_gt_u32_e32 vcc, 8, v0
	v_and_b32_e32 v19, 7, v19
	v_cndmask_b32_e32 v0, v11, v20, vcc
	v_cndmask_b32_e32 v11, v18, v19, vcc
	v_lshlrev_b32_e32 v18, 16, v15
	v_lshl_add_u32 v0, v0, 23, v38
	v_and_or_b32 v0, v18, s30, v0
	v_lshlrev_b32_e32 v11, 20, v11
	v_or_b32_e32 v19, v0, v11
	v_mov_b32_e32 v18, v5
.LBB169_196:                            ;   in Loop: Header=BB169_185 Depth=1
	s_or_b64 exec, exec, s[16:17]
.LBB169_197:                            ;   in Loop: Header=BB169_185 Depth=1
	s_or_b64 exec, exec, s[12:13]
.LBB169_198:                            ;   in Loop: Header=BB169_185 Depth=1
	s_or_b64 exec, exec, s[0:1]
	v_lshrrev_b32_e32 v11, 16, v15
	v_mov_b32_e32 v22, 0
	v_mov_b32_e32 v20, 0
	v_mov_b32_e32 v23, 0
	v_mov_b32_e32 v21, 0
	v_cmp_ne_u16_sdwa s[12:13], v11, v5 src0_sel:BYTE_0 src1_sel:DWORD
	s_and_saveexec_b64 s[0:1], s[12:13]
	s_cbranch_execz .LBB169_204
; %bb.199:                              ;   in Loop: Header=BB169_185 Depth=1
	v_bfrev_b32_e32 v20, 1
	v_mov_b32_e32 v21, 0
	v_cmp_ne_u16_sdwa s[16:17], v11, s28 src0_sel:BYTE_0 src1_sel:DWORD
	s_and_saveexec_b64 s[12:13], s[16:17]
	s_cbranch_execz .LBB169_203
; %bb.200:                              ;   in Loop: Header=BB169_185 Depth=1
	v_bfe_u32 v0, v15, 16, 7
	v_mov_b32_e32 v20, 0x7f800001
	v_mov_b32_e32 v21, 0
	v_cmp_ne_u32_e32 vcc, s29, v0
	s_and_saveexec_b64 s[16:17], vcc
	s_cbranch_execz .LBB169_202
; %bb.201:                              ;   in Loop: Header=BB169_185 Depth=1
	v_and_b32_e32 v39, 7, v11
	v_ffbh_u32_e32 v20, v39
	v_min_u32_e32 v41, 32, v20
	v_subrev_u32_e32 v20, 28, v41
	v_lshlrev_b64 v[20:21], v20, v[11:12]
	v_lshrrev_b32_e32 v40, 3, v0
	v_sub_u32_e32 v21, 29, v41
	v_and_b32_e32 v20, 7, v20
	v_cmp_gt_u32_e32 vcc, 8, v0
	v_cndmask_b32_e32 v0, v40, v21, vcc
	v_cndmask_b32_e32 v20, v39, v20, vcc
	v_lshlrev_b32_e32 v20, 20, v20
	v_and_b32_sdwa v11, sext(v11), s30 dst_sel:DWORD dst_unused:UNUSED_PAD src0_sel:BYTE_0 src1_sel:DWORD
	v_lshl_add_u32 v0, v0, 23, v38
	v_or3_b32 v20, v11, v0, v20
	v_mov_b32_e32 v21, v5
.LBB169_202:                            ;   in Loop: Header=BB169_185 Depth=1
	s_or_b64 exec, exec, s[16:17]
.LBB169_203:                            ;   in Loop: Header=BB169_185 Depth=1
	s_or_b64 exec, exec, s[12:13]
.LBB169_204:                            ;   in Loop: Header=BB169_185 Depth=1
	s_or_b64 exec, exec, s[0:1]
	v_cmp_lt_u32_e32 vcc, s31, v15
	s_and_saveexec_b64 s[0:1], vcc
	s_cbranch_execz .LBB169_210
; %bb.205:                              ;   in Loop: Header=BB169_185 Depth=1
	v_mov_b32_e32 v23, v6
	v_cmp_ne_u32_sdwa s[16:17], v15, s28 src0_sel:BYTE_3 src1_sel:DWORD
	v_mov_b32_e32 v22, v5
	s_and_saveexec_b64 s[12:13], s[16:17]
	s_cbranch_execz .LBB169_209
; %bb.206:                              ;   in Loop: Header=BB169_185 Depth=1
	v_bfe_u32 v0, v15, 24, 7
	v_mov_b32_e32 v11, v5
	v_mov_b32_e32 v23, v12
	v_cmp_ne_u32_e32 vcc, s29, v0
	v_mov_b32_e32 v22, v11
	s_and_saveexec_b64 s[16:17], vcc
	s_cbranch_execz .LBB169_208
; %bb.207:                              ;   in Loop: Header=BB169_185 Depth=1
	v_and_b32_sdwa v22, v15, v63 dst_sel:DWORD dst_unused:UNUSED_PAD src0_sel:BYTE_3 src1_sel:DWORD
	v_ffbh_u32_e32 v39, v22
	v_min_u32_e32 v39, 32, v39
	v_mov_b32_e32 v23, v5
	v_subrev_u32_e32 v40, 28, v39
	v_lshlrev_b64 v[41:42], v40, v[22:23]
	v_lshrrev_b32_e32 v11, 3, v0
	v_sub_u32_e32 v23, 29, v39
	v_cmp_gt_u32_e32 vcc, 8, v0
	v_and_b32_e32 v39, 7, v41
	v_cndmask_b32_e32 v0, v11, v23, vcc
	v_cndmask_b32_e32 v11, v22, v39, vcc
	v_lshlrev_b32_sdwa v15, v26, v15 dst_sel:DWORD dst_unused:UNUSED_PAD src0_sel:DWORD src1_sel:BYTE_3
	v_lshl_add_u32 v0, v0, 23, v38
	v_and_or_b32 v0, v15, s30, v0
	v_lshlrev_b32_e32 v11, 20, v11
	v_or_b32_e32 v23, v0, v11
	v_mov_b32_e32 v22, v5
.LBB169_208:                            ;   in Loop: Header=BB169_185 Depth=1
	s_or_b64 exec, exec, s[16:17]
.LBB169_209:                            ;   in Loop: Header=BB169_185 Depth=1
	s_or_b64 exec, exec, s[12:13]
.LBB169_210:                            ;   in Loop: Header=BB169_185 Depth=1
	s_or_b64 exec, exec, s[0:1]
	v_or_b32_e32 v0, v19, v17
	v_or_b32_e32 v11, v18, v16
	v_add_u32_e32 v45, v27, v33
	s_waitcnt lgkmcnt(0)
	v_mul_f32_e32 v41, s37, v0
	v_mul_f32_e32 v44, s37, v11
	v_or_b32_e32 v0, v23, v21
	v_or_b32_e32 v11, v22, v20
	v_cmp_eq_u32_e32 vcc, s35, v32
	v_mul_f32_e32 v43, s37, v11
	v_mul_f32_e32 v42, s37, v0
	v_add_u32_e32 v48, 1, v45
	v_add_u32_e32 v47, 2, v45
	;; [unrolled: 1-line block ×3, first 2 shown]
	s_and_saveexec_b64 s[12:13], vcc
; %bb.211:                              ;   in Loop: Header=BB169_185 Depth=1
	v_cmp_gt_i32_e64 s[0:1], s33, v45
	v_cndmask_b32_e64 v44, 0, v44, s[0:1]
	v_cmp_gt_i32_e64 s[0:1], s33, v48
	v_cndmask_b32_e64 v41, 0, v41, s[0:1]
	;; [unrolled: 2-line block ×4, first 2 shown]
; %bb.212:                              ;   in Loop: Header=BB169_185 Depth=1
	s_or_b64 exec, exec, s[12:13]
	global_load_dword v15, v[13:14], off offset:256
	v_mov_b32_e32 v18, 0
	v_mov_b32_e32 v16, 0
	;; [unrolled: 1-line block ×4, first 2 shown]
	s_waitcnt vmcnt(0)
	v_cmp_ne_u16_sdwa s[0:1], v15, v5 src0_sel:BYTE_0 src1_sel:DWORD
	s_and_saveexec_b64 s[12:13], s[0:1]
	s_cbranch_execz .LBB169_218
; %bb.213:                              ;   in Loop: Header=BB169_185 Depth=1
	v_bfrev_b32_e32 v16, 1
	v_mov_b32_e32 v17, 0
	v_cmp_ne_u16_sdwa s[0:1], v15, s28 src0_sel:BYTE_0 src1_sel:DWORD
	s_and_saveexec_b64 s[16:17], s[0:1]
	s_cbranch_execz .LBB169_217
; %bb.214:                              ;   in Loop: Header=BB169_185 Depth=1
	v_and_b32_e32 v0, 0x7f, v15
	v_mov_b32_e32 v16, 0x7f800001
	v_mov_b32_e32 v17, 0
	v_cmp_ne_u32_e64 s[0:1], s29, v0
	s_and_saveexec_b64 s[18:19], s[0:1]
	s_cbranch_execz .LBB169_216
; %bb.215:                              ;   in Loop: Header=BB169_185 Depth=1
	v_and_b32_e32 v11, 7, v15
	v_ffbh_u32_e32 v16, v11
	v_min_u32_e32 v21, 32, v16
	v_subrev_u32_e32 v16, 28, v21
	v_lshlrev_b64 v[16:17], v16, v[15:16]
	v_lshrrev_b32_e32 v20, 3, v0
	v_sub_u32_e32 v17, 29, v21
	v_and_b32_e32 v16, 7, v16
	v_cmp_gt_u32_e64 s[0:1], 8, v0
	v_cndmask_b32_e64 v0, v20, v17, s[0:1]
	v_cndmask_b32_e64 v11, v11, v16, s[0:1]
	v_lshlrev_b32_e32 v11, 20, v11
	v_and_b32_sdwa v16, sext(v15), s30 dst_sel:DWORD dst_unused:UNUSED_PAD src0_sel:BYTE_0 src1_sel:DWORD
	v_lshl_add_u32 v0, v0, 23, v38
	v_or3_b32 v16, v16, v0, v11
	v_mov_b32_e32 v17, v5
.LBB169_216:                            ;   in Loop: Header=BB169_185 Depth=1
	s_or_b64 exec, exec, s[18:19]
.LBB169_217:                            ;   in Loop: Header=BB169_185 Depth=1
	s_or_b64 exec, exec, s[16:17]
.LBB169_218:                            ;   in Loop: Header=BB169_185 Depth=1
	s_or_b64 exec, exec, s[12:13]
	v_cmp_ne_u16_sdwa s[0:1], v15, v5 src0_sel:BYTE_1 src1_sel:DWORD
	s_and_saveexec_b64 s[12:13], s[0:1]
	s_cbranch_execz .LBB169_224
; %bb.219:                              ;   in Loop: Header=BB169_185 Depth=1
	v_mov_b32_e32 v19, v6
	v_cmp_ne_u16_sdwa s[0:1], v15, s28 src0_sel:BYTE_1 src1_sel:DWORD
	v_mov_b32_e32 v18, v5
	s_and_saveexec_b64 s[16:17], s[0:1]
	s_cbranch_execz .LBB169_223
; %bb.220:                              ;   in Loop: Header=BB169_185 Depth=1
	v_and_b32_sdwa v0, v15, s29 dst_sel:DWORD dst_unused:UNUSED_PAD src0_sel:BYTE_1 src1_sel:DWORD
	v_mov_b32_e32 v11, v5
	v_mov_b32_e32 v19, v12
	v_cmp_ne_u32_e64 s[0:1], s29, v0
	v_mov_b32_e32 v18, v11
	s_and_saveexec_b64 s[18:19], s[0:1]
	s_cbranch_execz .LBB169_222
; %bb.221:                              ;   in Loop: Header=BB169_185 Depth=1
	v_and_b32_sdwa v18, v15, v63 dst_sel:DWORD dst_unused:UNUSED_PAD src0_sel:BYTE_1 src1_sel:DWORD
	v_ffbh_u32_e32 v20, v18
	v_min_u32_e32 v21, 32, v20
	v_mov_b32_e32 v19, v5
	v_subrev_u32_e32 v20, 28, v21
	v_lshlrev_b64 v[19:20], v20, v[18:19]
	v_lshrrev_b32_e32 v11, 3, v0
	v_sub_u32_e32 v20, 29, v21
	v_cmp_gt_u32_e64 s[0:1], 8, v0
	v_and_b32_e32 v19, 7, v19
	v_cndmask_b32_e64 v0, v11, v20, s[0:1]
	v_cndmask_b32_e64 v11, v18, v19, s[0:1]
	v_lshlrev_b32_e32 v18, 16, v15
	v_lshl_add_u32 v0, v0, 23, v38
	v_and_or_b32 v0, v18, s30, v0
	v_lshlrev_b32_e32 v11, 20, v11
	v_or_b32_e32 v19, v0, v11
	v_mov_b32_e32 v18, v5
.LBB169_222:                            ;   in Loop: Header=BB169_185 Depth=1
	s_or_b64 exec, exec, s[18:19]
.LBB169_223:                            ;   in Loop: Header=BB169_185 Depth=1
	s_or_b64 exec, exec, s[16:17]
.LBB169_224:                            ;   in Loop: Header=BB169_185 Depth=1
	s_or_b64 exec, exec, s[12:13]
	v_lshrrev_b32_e32 v11, 16, v15
	v_mov_b32_e32 v22, 0
	v_mov_b32_e32 v20, 0
	;; [unrolled: 1-line block ×4, first 2 shown]
	v_cmp_ne_u16_sdwa s[0:1], v11, v5 src0_sel:BYTE_0 src1_sel:DWORD
	s_and_saveexec_b64 s[12:13], s[0:1]
	s_cbranch_execz .LBB169_230
; %bb.225:                              ;   in Loop: Header=BB169_185 Depth=1
	v_bfrev_b32_e32 v20, 1
	v_mov_b32_e32 v21, 0
	v_cmp_ne_u16_sdwa s[0:1], v11, s28 src0_sel:BYTE_0 src1_sel:DWORD
	s_and_saveexec_b64 s[16:17], s[0:1]
	s_cbranch_execz .LBB169_229
; %bb.226:                              ;   in Loop: Header=BB169_185 Depth=1
	v_bfe_u32 v0, v15, 16, 7
	v_mov_b32_e32 v20, 0x7f800001
	v_mov_b32_e32 v21, 0
	v_cmp_ne_u32_e64 s[0:1], s29, v0
	s_and_saveexec_b64 s[18:19], s[0:1]
	s_cbranch_execz .LBB169_228
; %bb.227:                              ;   in Loop: Header=BB169_185 Depth=1
	v_and_b32_e32 v39, 7, v11
	v_ffbh_u32_e32 v20, v39
	v_min_u32_e32 v49, 32, v20
	v_subrev_u32_e32 v20, 28, v49
	v_lshlrev_b64 v[20:21], v20, v[11:12]
	v_lshrrev_b32_e32 v40, 3, v0
	v_sub_u32_e32 v21, 29, v49
	v_and_b32_e32 v20, 7, v20
	v_cmp_gt_u32_e64 s[0:1], 8, v0
	v_cndmask_b32_e64 v0, v40, v21, s[0:1]
	v_cndmask_b32_e64 v20, v39, v20, s[0:1]
	v_lshlrev_b32_e32 v20, 20, v20
	v_and_b32_sdwa v11, sext(v11), s30 dst_sel:DWORD dst_unused:UNUSED_PAD src0_sel:BYTE_0 src1_sel:DWORD
	v_lshl_add_u32 v0, v0, 23, v38
	v_or3_b32 v20, v11, v0, v20
	v_mov_b32_e32 v21, v5
.LBB169_228:                            ;   in Loop: Header=BB169_185 Depth=1
	s_or_b64 exec, exec, s[18:19]
.LBB169_229:                            ;   in Loop: Header=BB169_185 Depth=1
	s_or_b64 exec, exec, s[16:17]
.LBB169_230:                            ;   in Loop: Header=BB169_185 Depth=1
	s_or_b64 exec, exec, s[12:13]
	v_cmp_lt_u32_e64 s[0:1], s31, v15
	s_and_saveexec_b64 s[12:13], s[0:1]
	s_cbranch_execz .LBB169_236
; %bb.231:                              ;   in Loop: Header=BB169_185 Depth=1
	v_mov_b32_e32 v23, v6
	v_cmp_ne_u32_sdwa s[0:1], v15, s28 src0_sel:BYTE_3 src1_sel:DWORD
	v_mov_b32_e32 v22, v5
	s_and_saveexec_b64 s[16:17], s[0:1]
	s_cbranch_execz .LBB169_235
; %bb.232:                              ;   in Loop: Header=BB169_185 Depth=1
	v_bfe_u32 v0, v15, 24, 7
	v_mov_b32_e32 v11, v5
	v_mov_b32_e32 v23, v12
	v_cmp_ne_u32_e64 s[0:1], s29, v0
	v_mov_b32_e32 v22, v11
	s_and_saveexec_b64 s[18:19], s[0:1]
	s_cbranch_execz .LBB169_234
; %bb.233:                              ;   in Loop: Header=BB169_185 Depth=1
	v_and_b32_sdwa v22, v15, v63 dst_sel:DWORD dst_unused:UNUSED_PAD src0_sel:BYTE_3 src1_sel:DWORD
	v_ffbh_u32_e32 v39, v22
	v_min_u32_e32 v39, 32, v39
	v_mov_b32_e32 v23, v5
	v_subrev_u32_e32 v40, 28, v39
	v_lshlrev_b64 v[49:50], v40, v[22:23]
	v_lshrrev_b32_e32 v11, 3, v0
	v_sub_u32_e32 v23, 29, v39
	v_cmp_gt_u32_e64 s[0:1], 8, v0
	v_and_b32_e32 v39, 7, v49
	v_cndmask_b32_e64 v0, v11, v23, s[0:1]
	v_cndmask_b32_e64 v11, v22, v39, s[0:1]
	v_lshlrev_b32_sdwa v15, v26, v15 dst_sel:DWORD dst_unused:UNUSED_PAD src0_sel:DWORD src1_sel:BYTE_3
	v_lshl_add_u32 v0, v0, 23, v38
	v_and_or_b32 v0, v15, s30, v0
	v_lshlrev_b32_e32 v11, 20, v11
	v_or_b32_e32 v23, v0, v11
	v_mov_b32_e32 v22, v5
.LBB169_234:                            ;   in Loop: Header=BB169_185 Depth=1
	s_or_b64 exec, exec, s[18:19]
.LBB169_235:                            ;   in Loop: Header=BB169_185 Depth=1
	s_or_b64 exec, exec, s[16:17]
.LBB169_236:                            ;   in Loop: Header=BB169_185 Depth=1
	s_or_b64 exec, exec, s[12:13]
	s_mov_b32 s38, s37
	v_or_b32_e32 v0, v19, v17
	v_or_b32_e32 v11, v18, v16
	v_mul_f32_e32 v49, s38, v0
	v_mul_f32_e32 v52, s37, v11
	v_or_b32_e32 v0, v23, v21
	v_or_b32_e32 v11, v22, v20
	v_mul_f32_e32 v51, s37, v11
	v_mul_f32_e32 v50, s38, v0
	s_and_saveexec_b64 s[12:13], vcc
; %bb.237:                              ;   in Loop: Header=BB169_185 Depth=1
	v_cmp_gt_i32_e64 s[0:1], s33, v45
	v_cndmask_b32_e64 v52, 0, v52, s[0:1]
	v_cmp_gt_i32_e64 s[0:1], s33, v48
	v_cndmask_b32_e64 v49, 0, v49, s[0:1]
	v_cmp_gt_i32_e64 s[0:1], s33, v47
	v_cndmask_b32_e64 v51, 0, v51, s[0:1]
	v_cmp_gt_i32_e64 s[0:1], s33, v46
	v_cndmask_b32_e64 v50, 0, v50, s[0:1]
; %bb.238:                              ;   in Loop: Header=BB169_185 Depth=1
	s_or_b64 exec, exec, s[12:13]
	global_load_dword v15, v[13:14], off offset:512
	v_mov_b32_e32 v18, 0
	v_mov_b32_e32 v16, 0
	;; [unrolled: 1-line block ×4, first 2 shown]
	s_waitcnt vmcnt(0)
	v_cmp_ne_u16_sdwa s[0:1], v15, v5 src0_sel:BYTE_0 src1_sel:DWORD
	s_and_saveexec_b64 s[12:13], s[0:1]
	s_cbranch_execz .LBB169_244
; %bb.239:                              ;   in Loop: Header=BB169_185 Depth=1
	v_bfrev_b32_e32 v16, 1
	v_mov_b32_e32 v17, 0
	v_cmp_ne_u16_sdwa s[0:1], v15, s28 src0_sel:BYTE_0 src1_sel:DWORD
	s_and_saveexec_b64 s[16:17], s[0:1]
	s_cbranch_execz .LBB169_243
; %bb.240:                              ;   in Loop: Header=BB169_185 Depth=1
	v_and_b32_e32 v0, 0x7f, v15
	v_mov_b32_e32 v16, 0x7f800001
	v_mov_b32_e32 v17, 0
	v_cmp_ne_u32_e64 s[0:1], s29, v0
	s_and_saveexec_b64 s[18:19], s[0:1]
	s_cbranch_execz .LBB169_242
; %bb.241:                              ;   in Loop: Header=BB169_185 Depth=1
	v_and_b32_e32 v11, 7, v15
	v_ffbh_u32_e32 v16, v11
	v_min_u32_e32 v21, 32, v16
	v_subrev_u32_e32 v16, 28, v21
	v_lshlrev_b64 v[16:17], v16, v[15:16]
	v_lshrrev_b32_e32 v20, 3, v0
	v_sub_u32_e32 v17, 29, v21
	v_and_b32_e32 v16, 7, v16
	v_cmp_gt_u32_e64 s[0:1], 8, v0
	v_cndmask_b32_e64 v0, v20, v17, s[0:1]
	v_cndmask_b32_e64 v11, v11, v16, s[0:1]
	v_lshlrev_b32_e32 v11, 20, v11
	v_and_b32_sdwa v16, sext(v15), s30 dst_sel:DWORD dst_unused:UNUSED_PAD src0_sel:BYTE_0 src1_sel:DWORD
	v_lshl_add_u32 v0, v0, 23, v38
	v_or3_b32 v16, v16, v0, v11
	v_mov_b32_e32 v17, v5
.LBB169_242:                            ;   in Loop: Header=BB169_185 Depth=1
	s_or_b64 exec, exec, s[18:19]
.LBB169_243:                            ;   in Loop: Header=BB169_185 Depth=1
	s_or_b64 exec, exec, s[16:17]
.LBB169_244:                            ;   in Loop: Header=BB169_185 Depth=1
	s_or_b64 exec, exec, s[12:13]
	v_cmp_ne_u16_sdwa s[0:1], v15, v5 src0_sel:BYTE_1 src1_sel:DWORD
	s_and_saveexec_b64 s[12:13], s[0:1]
	s_cbranch_execz .LBB169_250
; %bb.245:                              ;   in Loop: Header=BB169_185 Depth=1
	v_mov_b32_e32 v19, v6
	v_cmp_ne_u16_sdwa s[0:1], v15, s28 src0_sel:BYTE_1 src1_sel:DWORD
	v_mov_b32_e32 v18, v5
	s_and_saveexec_b64 s[16:17], s[0:1]
	s_cbranch_execz .LBB169_249
; %bb.246:                              ;   in Loop: Header=BB169_185 Depth=1
	v_and_b32_sdwa v0, v15, s29 dst_sel:DWORD dst_unused:UNUSED_PAD src0_sel:BYTE_1 src1_sel:DWORD
	v_mov_b32_e32 v11, v5
	v_mov_b32_e32 v19, v12
	v_cmp_ne_u32_e64 s[0:1], s29, v0
	v_mov_b32_e32 v18, v11
	s_and_saveexec_b64 s[18:19], s[0:1]
	s_cbranch_execz .LBB169_248
; %bb.247:                              ;   in Loop: Header=BB169_185 Depth=1
	v_and_b32_sdwa v18, v15, v63 dst_sel:DWORD dst_unused:UNUSED_PAD src0_sel:BYTE_1 src1_sel:DWORD
	v_ffbh_u32_e32 v20, v18
	v_min_u32_e32 v21, 32, v20
	v_mov_b32_e32 v19, v5
	v_subrev_u32_e32 v20, 28, v21
	v_lshlrev_b64 v[19:20], v20, v[18:19]
	v_lshrrev_b32_e32 v11, 3, v0
	v_sub_u32_e32 v20, 29, v21
	v_cmp_gt_u32_e64 s[0:1], 8, v0
	v_and_b32_e32 v19, 7, v19
	v_cndmask_b32_e64 v0, v11, v20, s[0:1]
	v_cndmask_b32_e64 v11, v18, v19, s[0:1]
	v_lshlrev_b32_e32 v18, 16, v15
	v_lshl_add_u32 v0, v0, 23, v38
	v_and_or_b32 v0, v18, s30, v0
	v_lshlrev_b32_e32 v11, 20, v11
	v_or_b32_e32 v19, v0, v11
	v_mov_b32_e32 v18, v5
.LBB169_248:                            ;   in Loop: Header=BB169_185 Depth=1
	s_or_b64 exec, exec, s[18:19]
.LBB169_249:                            ;   in Loop: Header=BB169_185 Depth=1
	s_or_b64 exec, exec, s[16:17]
.LBB169_250:                            ;   in Loop: Header=BB169_185 Depth=1
	s_or_b64 exec, exec, s[12:13]
	v_lshrrev_b32_e32 v11, 16, v15
	v_mov_b32_e32 v22, 0
	v_mov_b32_e32 v20, 0
	;; [unrolled: 1-line block ×4, first 2 shown]
	v_cmp_ne_u16_sdwa s[0:1], v11, v5 src0_sel:BYTE_0 src1_sel:DWORD
	s_and_saveexec_b64 s[12:13], s[0:1]
	s_cbranch_execz .LBB169_256
; %bb.251:                              ;   in Loop: Header=BB169_185 Depth=1
	v_bfrev_b32_e32 v20, 1
	v_mov_b32_e32 v21, 0
	v_cmp_ne_u16_sdwa s[0:1], v11, s28 src0_sel:BYTE_0 src1_sel:DWORD
	s_and_saveexec_b64 s[16:17], s[0:1]
	s_cbranch_execz .LBB169_255
; %bb.252:                              ;   in Loop: Header=BB169_185 Depth=1
	v_bfe_u32 v0, v15, 16, 7
	v_mov_b32_e32 v20, 0x7f800001
	v_mov_b32_e32 v21, 0
	v_cmp_ne_u32_e64 s[0:1], s29, v0
	s_and_saveexec_b64 s[18:19], s[0:1]
	s_cbranch_execz .LBB169_254
; %bb.253:                              ;   in Loop: Header=BB169_185 Depth=1
	v_and_b32_e32 v39, 7, v11
	v_ffbh_u32_e32 v20, v39
	v_min_u32_e32 v53, 32, v20
	v_subrev_u32_e32 v20, 28, v53
	v_lshlrev_b64 v[20:21], v20, v[11:12]
	v_lshrrev_b32_e32 v40, 3, v0
	v_sub_u32_e32 v21, 29, v53
	v_and_b32_e32 v20, 7, v20
	v_cmp_gt_u32_e64 s[0:1], 8, v0
	v_cndmask_b32_e64 v0, v40, v21, s[0:1]
	v_cndmask_b32_e64 v20, v39, v20, s[0:1]
	v_lshlrev_b32_e32 v20, 20, v20
	v_and_b32_sdwa v11, sext(v11), s30 dst_sel:DWORD dst_unused:UNUSED_PAD src0_sel:BYTE_0 src1_sel:DWORD
	v_lshl_add_u32 v0, v0, 23, v38
	v_or3_b32 v20, v11, v0, v20
	v_mov_b32_e32 v21, v5
.LBB169_254:                            ;   in Loop: Header=BB169_185 Depth=1
	s_or_b64 exec, exec, s[18:19]
.LBB169_255:                            ;   in Loop: Header=BB169_185 Depth=1
	s_or_b64 exec, exec, s[16:17]
.LBB169_256:                            ;   in Loop: Header=BB169_185 Depth=1
	s_or_b64 exec, exec, s[12:13]
	v_cmp_lt_u32_e64 s[0:1], s31, v15
	s_and_saveexec_b64 s[12:13], s[0:1]
	s_cbranch_execz .LBB169_262
; %bb.257:                              ;   in Loop: Header=BB169_185 Depth=1
	v_mov_b32_e32 v23, v6
	v_cmp_ne_u32_sdwa s[0:1], v15, s28 src0_sel:BYTE_3 src1_sel:DWORD
	v_mov_b32_e32 v22, v5
	s_and_saveexec_b64 s[16:17], s[0:1]
	s_cbranch_execz .LBB169_261
; %bb.258:                              ;   in Loop: Header=BB169_185 Depth=1
	v_bfe_u32 v0, v15, 24, 7
	v_mov_b32_e32 v11, v5
	v_mov_b32_e32 v23, v12
	v_cmp_ne_u32_e64 s[0:1], s29, v0
	v_mov_b32_e32 v22, v11
	s_and_saveexec_b64 s[18:19], s[0:1]
	s_cbranch_execz .LBB169_260
; %bb.259:                              ;   in Loop: Header=BB169_185 Depth=1
	v_and_b32_sdwa v22, v15, v63 dst_sel:DWORD dst_unused:UNUSED_PAD src0_sel:BYTE_3 src1_sel:DWORD
	v_ffbh_u32_e32 v39, v22
	v_min_u32_e32 v39, 32, v39
	v_mov_b32_e32 v23, v5
	v_subrev_u32_e32 v40, 28, v39
	v_lshlrev_b64 v[53:54], v40, v[22:23]
	v_lshrrev_b32_e32 v11, 3, v0
	v_sub_u32_e32 v23, 29, v39
	v_cmp_gt_u32_e64 s[0:1], 8, v0
	v_and_b32_e32 v39, 7, v53
	v_cndmask_b32_e64 v0, v11, v23, s[0:1]
	v_cndmask_b32_e64 v11, v22, v39, s[0:1]
	v_lshlrev_b32_sdwa v15, v26, v15 dst_sel:DWORD dst_unused:UNUSED_PAD src0_sel:DWORD src1_sel:BYTE_3
	v_lshl_add_u32 v0, v0, 23, v38
	v_and_or_b32 v0, v15, s30, v0
	v_lshlrev_b32_e32 v11, 20, v11
	v_or_b32_e32 v23, v0, v11
	v_mov_b32_e32 v22, v5
.LBB169_260:                            ;   in Loop: Header=BB169_185 Depth=1
	s_or_b64 exec, exec, s[18:19]
.LBB169_261:                            ;   in Loop: Header=BB169_185 Depth=1
	s_or_b64 exec, exec, s[16:17]
.LBB169_262:                            ;   in Loop: Header=BB169_185 Depth=1
	s_or_b64 exec, exec, s[12:13]
	v_or_b32_e32 v0, v19, v17
	v_or_b32_e32 v11, v18, v16
	v_mul_f32_e32 v53, s38, v0
	v_mul_f32_e32 v56, s37, v11
	v_or_b32_e32 v0, v23, v21
	v_or_b32_e32 v11, v22, v20
	v_mul_f32_e32 v55, s37, v11
	v_mul_f32_e32 v54, s38, v0
	s_and_saveexec_b64 s[12:13], vcc
; %bb.263:                              ;   in Loop: Header=BB169_185 Depth=1
	v_cmp_gt_i32_e64 s[0:1], s33, v45
	v_cndmask_b32_e64 v56, 0, v56, s[0:1]
	v_cmp_gt_i32_e64 s[0:1], s33, v48
	v_cndmask_b32_e64 v53, 0, v53, s[0:1]
	;; [unrolled: 2-line block ×4, first 2 shown]
; %bb.264:                              ;   in Loop: Header=BB169_185 Depth=1
	s_or_b64 exec, exec, s[12:13]
	global_load_dword v15, v[13:14], off offset:768
	v_mov_b32_e32 v18, 0
	v_mov_b32_e32 v16, 0
	;; [unrolled: 1-line block ×4, first 2 shown]
	s_waitcnt vmcnt(0)
	v_cmp_ne_u16_sdwa s[0:1], v15, v5 src0_sel:BYTE_0 src1_sel:DWORD
	s_and_saveexec_b64 s[12:13], s[0:1]
	s_cbranch_execz .LBB169_270
; %bb.265:                              ;   in Loop: Header=BB169_185 Depth=1
	v_bfrev_b32_e32 v16, 1
	v_mov_b32_e32 v17, 0
	v_cmp_ne_u16_sdwa s[0:1], v15, s28 src0_sel:BYTE_0 src1_sel:DWORD
	s_and_saveexec_b64 s[16:17], s[0:1]
	s_cbranch_execz .LBB169_269
; %bb.266:                              ;   in Loop: Header=BB169_185 Depth=1
	v_and_b32_e32 v0, 0x7f, v15
	v_mov_b32_e32 v16, 0x7f800001
	v_mov_b32_e32 v17, 0
	v_cmp_ne_u32_e64 s[0:1], s29, v0
	s_and_saveexec_b64 s[18:19], s[0:1]
	s_cbranch_execz .LBB169_268
; %bb.267:                              ;   in Loop: Header=BB169_185 Depth=1
	v_and_b32_e32 v11, 7, v15
	v_ffbh_u32_e32 v16, v11
	v_min_u32_e32 v21, 32, v16
	v_subrev_u32_e32 v16, 28, v21
	v_lshlrev_b64 v[16:17], v16, v[15:16]
	v_lshrrev_b32_e32 v20, 3, v0
	v_sub_u32_e32 v17, 29, v21
	v_and_b32_e32 v16, 7, v16
	v_cmp_gt_u32_e64 s[0:1], 8, v0
	v_cndmask_b32_e64 v0, v20, v17, s[0:1]
	v_cndmask_b32_e64 v11, v11, v16, s[0:1]
	v_lshlrev_b32_e32 v11, 20, v11
	v_and_b32_sdwa v16, sext(v15), s30 dst_sel:DWORD dst_unused:UNUSED_PAD src0_sel:BYTE_0 src1_sel:DWORD
	v_lshl_add_u32 v0, v0, 23, v38
	v_or3_b32 v16, v16, v0, v11
	v_mov_b32_e32 v17, v5
.LBB169_268:                            ;   in Loop: Header=BB169_185 Depth=1
	s_or_b64 exec, exec, s[18:19]
.LBB169_269:                            ;   in Loop: Header=BB169_185 Depth=1
	s_or_b64 exec, exec, s[16:17]
.LBB169_270:                            ;   in Loop: Header=BB169_185 Depth=1
	s_or_b64 exec, exec, s[12:13]
	v_cmp_ne_u16_sdwa s[0:1], v15, v5 src0_sel:BYTE_1 src1_sel:DWORD
	s_and_saveexec_b64 s[12:13], s[0:1]
	s_cbranch_execz .LBB169_276
; %bb.271:                              ;   in Loop: Header=BB169_185 Depth=1
	v_mov_b32_e32 v19, v6
	v_cmp_ne_u16_sdwa s[0:1], v15, s28 src0_sel:BYTE_1 src1_sel:DWORD
	v_mov_b32_e32 v18, v5
	s_and_saveexec_b64 s[16:17], s[0:1]
	s_cbranch_execz .LBB169_275
; %bb.272:                              ;   in Loop: Header=BB169_185 Depth=1
	v_and_b32_sdwa v0, v15, s29 dst_sel:DWORD dst_unused:UNUSED_PAD src0_sel:BYTE_1 src1_sel:DWORD
	v_mov_b32_e32 v11, v5
	v_mov_b32_e32 v19, v12
	v_cmp_ne_u32_e64 s[0:1], s29, v0
	v_mov_b32_e32 v18, v11
	s_and_saveexec_b64 s[18:19], s[0:1]
	s_cbranch_execz .LBB169_274
; %bb.273:                              ;   in Loop: Header=BB169_185 Depth=1
	v_and_b32_sdwa v18, v15, v63 dst_sel:DWORD dst_unused:UNUSED_PAD src0_sel:BYTE_1 src1_sel:DWORD
	v_ffbh_u32_e32 v20, v18
	v_min_u32_e32 v21, 32, v20
	v_mov_b32_e32 v19, v5
	v_subrev_u32_e32 v20, 28, v21
	v_lshlrev_b64 v[19:20], v20, v[18:19]
	v_lshrrev_b32_e32 v11, 3, v0
	v_sub_u32_e32 v20, 29, v21
	v_cmp_gt_u32_e64 s[0:1], 8, v0
	v_and_b32_e32 v19, 7, v19
	v_cndmask_b32_e64 v0, v11, v20, s[0:1]
	v_cndmask_b32_e64 v11, v18, v19, s[0:1]
	v_lshlrev_b32_e32 v18, 16, v15
	v_lshl_add_u32 v0, v0, 23, v38
	v_and_or_b32 v0, v18, s30, v0
	v_lshlrev_b32_e32 v11, 20, v11
	v_or_b32_e32 v19, v0, v11
	v_mov_b32_e32 v18, v5
.LBB169_274:                            ;   in Loop: Header=BB169_185 Depth=1
	s_or_b64 exec, exec, s[18:19]
.LBB169_275:                            ;   in Loop: Header=BB169_185 Depth=1
	s_or_b64 exec, exec, s[16:17]
.LBB169_276:                            ;   in Loop: Header=BB169_185 Depth=1
	s_or_b64 exec, exec, s[12:13]
	v_lshrrev_b32_e32 v11, 16, v15
	v_mov_b32_e32 v22, 0
	v_mov_b32_e32 v20, 0
	;; [unrolled: 1-line block ×4, first 2 shown]
	v_cmp_ne_u16_sdwa s[0:1], v11, v5 src0_sel:BYTE_0 src1_sel:DWORD
	s_and_saveexec_b64 s[12:13], s[0:1]
	s_cbranch_execz .LBB169_282
; %bb.277:                              ;   in Loop: Header=BB169_185 Depth=1
	v_bfrev_b32_e32 v20, 1
	v_mov_b32_e32 v21, 0
	v_cmp_ne_u16_sdwa s[0:1], v11, s28 src0_sel:BYTE_0 src1_sel:DWORD
	s_and_saveexec_b64 s[16:17], s[0:1]
	s_cbranch_execz .LBB169_281
; %bb.278:                              ;   in Loop: Header=BB169_185 Depth=1
	v_bfe_u32 v0, v15, 16, 7
	v_mov_b32_e32 v20, 0x7f800001
	v_mov_b32_e32 v21, 0
	v_cmp_ne_u32_e64 s[0:1], s29, v0
	s_and_saveexec_b64 s[18:19], s[0:1]
	s_cbranch_execz .LBB169_280
; %bb.279:                              ;   in Loop: Header=BB169_185 Depth=1
	v_and_b32_e32 v39, 7, v11
	v_ffbh_u32_e32 v20, v39
	v_min_u32_e32 v57, 32, v20
	v_subrev_u32_e32 v20, 28, v57
	v_lshlrev_b64 v[20:21], v20, v[11:12]
	v_lshrrev_b32_e32 v40, 3, v0
	v_sub_u32_e32 v21, 29, v57
	v_and_b32_e32 v20, 7, v20
	v_cmp_gt_u32_e64 s[0:1], 8, v0
	v_cndmask_b32_e64 v0, v40, v21, s[0:1]
	v_cndmask_b32_e64 v20, v39, v20, s[0:1]
	v_lshlrev_b32_e32 v20, 20, v20
	v_and_b32_sdwa v11, sext(v11), s30 dst_sel:DWORD dst_unused:UNUSED_PAD src0_sel:BYTE_0 src1_sel:DWORD
	v_lshl_add_u32 v0, v0, 23, v38
	v_or3_b32 v20, v11, v0, v20
	v_mov_b32_e32 v21, v5
.LBB169_280:                            ;   in Loop: Header=BB169_185 Depth=1
	s_or_b64 exec, exec, s[18:19]
.LBB169_281:                            ;   in Loop: Header=BB169_185 Depth=1
	s_or_b64 exec, exec, s[16:17]
.LBB169_282:                            ;   in Loop: Header=BB169_185 Depth=1
	s_or_b64 exec, exec, s[12:13]
	v_cmp_lt_u32_e64 s[0:1], s31, v15
	s_and_saveexec_b64 s[12:13], s[0:1]
	s_cbranch_execz .LBB169_288
; %bb.283:                              ;   in Loop: Header=BB169_185 Depth=1
	v_mov_b32_e32 v23, v6
	v_cmp_ne_u32_sdwa s[0:1], v15, s28 src0_sel:BYTE_3 src1_sel:DWORD
	v_mov_b32_e32 v22, v5
	s_and_saveexec_b64 s[16:17], s[0:1]
	s_cbranch_execz .LBB169_287
; %bb.284:                              ;   in Loop: Header=BB169_185 Depth=1
	v_bfe_u32 v0, v15, 24, 7
	v_mov_b32_e32 v11, v5
	v_mov_b32_e32 v23, v12
	v_cmp_ne_u32_e64 s[0:1], s29, v0
	v_mov_b32_e32 v22, v11
	s_and_saveexec_b64 s[18:19], s[0:1]
	s_cbranch_execz .LBB169_286
; %bb.285:                              ;   in Loop: Header=BB169_185 Depth=1
	v_and_b32_sdwa v22, v15, v63 dst_sel:DWORD dst_unused:UNUSED_PAD src0_sel:BYTE_3 src1_sel:DWORD
	v_ffbh_u32_e32 v39, v22
	v_min_u32_e32 v39, 32, v39
	v_mov_b32_e32 v23, v5
	v_subrev_u32_e32 v40, 28, v39
	v_lshlrev_b64 v[57:58], v40, v[22:23]
	v_lshrrev_b32_e32 v11, 3, v0
	v_sub_u32_e32 v23, 29, v39
	v_cmp_gt_u32_e64 s[0:1], 8, v0
	v_and_b32_e32 v39, 7, v57
	v_cndmask_b32_e64 v0, v11, v23, s[0:1]
	v_cndmask_b32_e64 v11, v22, v39, s[0:1]
	v_lshlrev_b32_sdwa v15, v26, v15 dst_sel:DWORD dst_unused:UNUSED_PAD src0_sel:DWORD src1_sel:BYTE_3
	v_lshl_add_u32 v0, v0, 23, v38
	v_and_or_b32 v0, v15, s30, v0
	v_lshlrev_b32_e32 v11, 20, v11
	v_or_b32_e32 v23, v0, v11
	v_mov_b32_e32 v22, v5
.LBB169_286:                            ;   in Loop: Header=BB169_185 Depth=1
	s_or_b64 exec, exec, s[18:19]
.LBB169_287:                            ;   in Loop: Header=BB169_185 Depth=1
	s_or_b64 exec, exec, s[16:17]
.LBB169_288:                            ;   in Loop: Header=BB169_185 Depth=1
	s_or_b64 exec, exec, s[12:13]
	v_or_b32_e32 v0, v19, v17
	v_or_b32_e32 v11, v18, v16
	v_mul_f32_e32 v57, s38, v0
	v_mul_f32_e32 v60, s37, v11
	v_or_b32_e32 v0, v23, v21
	v_or_b32_e32 v11, v22, v20
	v_mul_f32_e32 v59, s37, v11
	v_mul_f32_e32 v58, s38, v0
	s_and_saveexec_b64 s[12:13], vcc
; %bb.289:                              ;   in Loop: Header=BB169_185 Depth=1
	v_cmp_gt_i32_e64 s[0:1], s33, v45
	v_cndmask_b32_e64 v60, 0, v60, s[0:1]
	v_cmp_gt_i32_e64 s[0:1], s33, v48
	v_cndmask_b32_e64 v57, 0, v57, s[0:1]
	v_cmp_gt_i32_e64 s[0:1], s33, v47
	v_cndmask_b32_e64 v59, 0, v59, s[0:1]
	v_cmp_gt_i32_e64 s[0:1], s33, v46
	v_cndmask_b32_e64 v58, 0, v58, s[0:1]
; %bb.290:                              ;   in Loop: Header=BB169_185 Depth=1
	s_or_b64 exec, exec, s[12:13]
	global_load_dword v15, v[13:14], off offset:1024
	v_mov_b32_e32 v18, 0
	v_mov_b32_e32 v16, 0
	;; [unrolled: 1-line block ×4, first 2 shown]
	s_waitcnt vmcnt(0)
	v_cmp_ne_u16_sdwa s[0:1], v15, v5 src0_sel:BYTE_0 src1_sel:DWORD
	s_and_saveexec_b64 s[12:13], s[0:1]
	s_cbranch_execz .LBB169_296
; %bb.291:                              ;   in Loop: Header=BB169_185 Depth=1
	v_bfrev_b32_e32 v16, 1
	v_mov_b32_e32 v17, 0
	v_cmp_ne_u16_sdwa s[0:1], v15, s28 src0_sel:BYTE_0 src1_sel:DWORD
	s_and_saveexec_b64 s[16:17], s[0:1]
	s_cbranch_execz .LBB169_295
; %bb.292:                              ;   in Loop: Header=BB169_185 Depth=1
	v_and_b32_e32 v0, 0x7f, v15
	v_mov_b32_e32 v16, 0x7f800001
	v_mov_b32_e32 v17, 0
	v_cmp_ne_u32_e64 s[0:1], s29, v0
	s_and_saveexec_b64 s[18:19], s[0:1]
	s_cbranch_execz .LBB169_294
; %bb.293:                              ;   in Loop: Header=BB169_185 Depth=1
	v_and_b32_e32 v11, 7, v15
	v_ffbh_u32_e32 v16, v11
	v_min_u32_e32 v21, 32, v16
	v_subrev_u32_e32 v16, 28, v21
	v_lshlrev_b64 v[16:17], v16, v[15:16]
	v_lshrrev_b32_e32 v20, 3, v0
	v_sub_u32_e32 v17, 29, v21
	v_and_b32_e32 v16, 7, v16
	v_cmp_gt_u32_e64 s[0:1], 8, v0
	v_cndmask_b32_e64 v0, v20, v17, s[0:1]
	v_cndmask_b32_e64 v11, v11, v16, s[0:1]
	v_lshlrev_b32_e32 v11, 20, v11
	v_and_b32_sdwa v16, sext(v15), s30 dst_sel:DWORD dst_unused:UNUSED_PAD src0_sel:BYTE_0 src1_sel:DWORD
	v_lshl_add_u32 v0, v0, 23, v38
	v_or3_b32 v16, v16, v0, v11
	v_mov_b32_e32 v17, v5
.LBB169_294:                            ;   in Loop: Header=BB169_185 Depth=1
	s_or_b64 exec, exec, s[18:19]
.LBB169_295:                            ;   in Loop: Header=BB169_185 Depth=1
	s_or_b64 exec, exec, s[16:17]
.LBB169_296:                            ;   in Loop: Header=BB169_185 Depth=1
	s_or_b64 exec, exec, s[12:13]
	v_cmp_ne_u16_sdwa s[0:1], v15, v5 src0_sel:BYTE_1 src1_sel:DWORD
	s_and_saveexec_b64 s[12:13], s[0:1]
	s_cbranch_execz .LBB169_302
; %bb.297:                              ;   in Loop: Header=BB169_185 Depth=1
	v_mov_b32_e32 v19, v6
	v_cmp_ne_u16_sdwa s[0:1], v15, s28 src0_sel:BYTE_1 src1_sel:DWORD
	v_mov_b32_e32 v18, v5
	s_and_saveexec_b64 s[16:17], s[0:1]
	s_cbranch_execz .LBB169_301
; %bb.298:                              ;   in Loop: Header=BB169_185 Depth=1
	v_and_b32_sdwa v0, v15, s29 dst_sel:DWORD dst_unused:UNUSED_PAD src0_sel:BYTE_1 src1_sel:DWORD
	v_mov_b32_e32 v11, v5
	v_mov_b32_e32 v19, v12
	v_cmp_ne_u32_e64 s[0:1], s29, v0
	v_mov_b32_e32 v18, v11
	s_and_saveexec_b64 s[18:19], s[0:1]
	s_cbranch_execz .LBB169_300
; %bb.299:                              ;   in Loop: Header=BB169_185 Depth=1
	v_and_b32_sdwa v18, v15, v63 dst_sel:DWORD dst_unused:UNUSED_PAD src0_sel:BYTE_1 src1_sel:DWORD
	v_ffbh_u32_e32 v20, v18
	v_min_u32_e32 v21, 32, v20
	v_mov_b32_e32 v19, v5
	v_subrev_u32_e32 v20, 28, v21
	v_lshlrev_b64 v[19:20], v20, v[18:19]
	v_lshrrev_b32_e32 v11, 3, v0
	v_sub_u32_e32 v20, 29, v21
	v_cmp_gt_u32_e64 s[0:1], 8, v0
	v_and_b32_e32 v19, 7, v19
	v_cndmask_b32_e64 v0, v11, v20, s[0:1]
	v_cndmask_b32_e64 v11, v18, v19, s[0:1]
	v_lshlrev_b32_e32 v18, 16, v15
	v_lshl_add_u32 v0, v0, 23, v38
	v_and_or_b32 v0, v18, s30, v0
	v_lshlrev_b32_e32 v11, 20, v11
	v_or_b32_e32 v19, v0, v11
	v_mov_b32_e32 v18, v5
.LBB169_300:                            ;   in Loop: Header=BB169_185 Depth=1
	s_or_b64 exec, exec, s[18:19]
.LBB169_301:                            ;   in Loop: Header=BB169_185 Depth=1
	s_or_b64 exec, exec, s[16:17]
.LBB169_302:                            ;   in Loop: Header=BB169_185 Depth=1
	s_or_b64 exec, exec, s[12:13]
	v_lshrrev_b32_e32 v11, 16, v15
	v_mov_b32_e32 v22, 0
	v_mov_b32_e32 v20, 0
	;; [unrolled: 1-line block ×4, first 2 shown]
	v_cmp_ne_u16_sdwa s[0:1], v11, v5 src0_sel:BYTE_0 src1_sel:DWORD
	s_and_saveexec_b64 s[12:13], s[0:1]
	s_cbranch_execz .LBB169_308
; %bb.303:                              ;   in Loop: Header=BB169_185 Depth=1
	v_bfrev_b32_e32 v20, 1
	v_mov_b32_e32 v21, 0
	v_cmp_ne_u16_sdwa s[0:1], v11, s28 src0_sel:BYTE_0 src1_sel:DWORD
	s_and_saveexec_b64 s[16:17], s[0:1]
	s_cbranch_execz .LBB169_307
; %bb.304:                              ;   in Loop: Header=BB169_185 Depth=1
	v_bfe_u32 v0, v15, 16, 7
	v_mov_b32_e32 v20, 0x7f800001
	v_mov_b32_e32 v21, 0
	v_cmp_ne_u32_e64 s[0:1], s29, v0
	s_and_saveexec_b64 s[18:19], s[0:1]
	s_cbranch_execz .LBB169_306
; %bb.305:                              ;   in Loop: Header=BB169_185 Depth=1
	v_and_b32_e32 v39, 7, v11
	v_lshrrev_b32_e32 v40, 3, v0
	v_cmp_gt_u32_e64 s[0:1], 8, v0
	v_ffbh_u32_e32 v0, v39
	v_min_u32_e32 v0, 32, v0
	v_subrev_u32_e32 v20, 28, v0
	v_lshlrev_b64 v[20:21], v20, v[11:12]
	v_sub_u32_e32 v0, 29, v0
	v_and_b32_e32 v20, 7, v20
	v_cndmask_b32_e64 v0, v40, v0, s[0:1]
	v_cndmask_b32_e64 v20, v39, v20, s[0:1]
	v_lshlrev_b32_e32 v20, 20, v20
	v_and_b32_sdwa v11, sext(v11), s30 dst_sel:DWORD dst_unused:UNUSED_PAD src0_sel:BYTE_0 src1_sel:DWORD
	v_lshl_add_u32 v0, v0, 23, v38
	v_or3_b32 v20, v11, v0, v20
	v_mov_b32_e32 v21, v5
.LBB169_306:                            ;   in Loop: Header=BB169_185 Depth=1
	s_or_b64 exec, exec, s[18:19]
.LBB169_307:                            ;   in Loop: Header=BB169_185 Depth=1
	s_or_b64 exec, exec, s[16:17]
.LBB169_308:                            ;   in Loop: Header=BB169_185 Depth=1
	s_or_b64 exec, exec, s[12:13]
	v_cmp_lt_u32_e64 s[0:1], s31, v15
	s_and_saveexec_b64 s[12:13], s[0:1]
	s_cbranch_execz .LBB169_314
; %bb.309:                              ;   in Loop: Header=BB169_185 Depth=1
	v_mov_b32_e32 v23, v6
	v_cmp_ne_u32_sdwa s[0:1], v15, s28 src0_sel:BYTE_3 src1_sel:DWORD
	v_mov_b32_e32 v22, v5
	s_and_saveexec_b64 s[16:17], s[0:1]
	s_cbranch_execz .LBB169_313
; %bb.310:                              ;   in Loop: Header=BB169_185 Depth=1
	v_bfe_u32 v0, v15, 24, 7
	v_mov_b32_e32 v11, v5
	v_mov_b32_e32 v23, v12
	v_cmp_ne_u32_e64 s[0:1], s29, v0
	v_mov_b32_e32 v22, v11
	s_and_saveexec_b64 s[18:19], s[0:1]
	s_cbranch_execz .LBB169_312
; %bb.311:                              ;   in Loop: Header=BB169_185 Depth=1
	v_and_b32_sdwa v22, v15, v63 dst_sel:DWORD dst_unused:UNUSED_PAD src0_sel:BYTE_3 src1_sel:DWORD
	v_lshrrev_b32_e32 v11, 3, v0
	v_cmp_gt_u32_e64 s[0:1], 8, v0
	v_ffbh_u32_e32 v0, v22
	v_min_u32_e32 v0, 32, v0
	v_mov_b32_e32 v23, v5
	v_subrev_u32_e32 v39, 28, v0
	v_lshlrev_b64 v[61:62], v39, v[22:23]
	v_sub_u32_e32 v0, 29, v0
	v_and_b32_e32 v23, 7, v61
	v_cndmask_b32_e64 v0, v11, v0, s[0:1]
	v_cndmask_b32_e64 v11, v22, v23, s[0:1]
	v_lshlrev_b32_sdwa v15, v26, v15 dst_sel:DWORD dst_unused:UNUSED_PAD src0_sel:DWORD src1_sel:BYTE_3
	v_lshl_add_u32 v0, v0, 23, v38
	v_and_or_b32 v0, v15, s30, v0
	v_lshlrev_b32_e32 v11, 20, v11
	v_or_b32_e32 v23, v0, v11
	v_mov_b32_e32 v22, v5
.LBB169_312:                            ;   in Loop: Header=BB169_185 Depth=1
	s_or_b64 exec, exec, s[18:19]
.LBB169_313:                            ;   in Loop: Header=BB169_185 Depth=1
	s_or_b64 exec, exec, s[16:17]
.LBB169_314:                            ;   in Loop: Header=BB169_185 Depth=1
	s_or_b64 exec, exec, s[12:13]
	v_or_b32_e32 v0, v19, v17
	v_or_b32_e32 v11, v18, v16
	v_mul_f32_e32 v61, s38, v0
	v_mul_f32_e32 v62, s37, v11
	v_or_b32_e32 v0, v23, v21
	v_or_b32_e32 v11, v22, v20
	v_mul_f32_e32 v23, s37, v11
	v_mul_f32_e32 v22, s38, v0
	s_and_saveexec_b64 s[12:13], vcc
; %bb.315:                              ;   in Loop: Header=BB169_185 Depth=1
	v_cmp_gt_i32_e64 s[0:1], s33, v45
	v_cndmask_b32_e64 v62, 0, v62, s[0:1]
	v_cmp_gt_i32_e64 s[0:1], s33, v48
	v_cndmask_b32_e64 v61, 0, v61, s[0:1]
	;; [unrolled: 2-line block ×4, first 2 shown]
; %bb.316:                              ;   in Loop: Header=BB169_185 Depth=1
	s_or_b64 exec, exec, s[12:13]
	global_load_dword v13, v[13:14], off offset:1280
	v_mov_b32_e32 v16, 0
	v_mov_b32_e32 v14, 0
	;; [unrolled: 1-line block ×4, first 2 shown]
	s_waitcnt vmcnt(0)
	v_cmp_ne_u16_sdwa s[0:1], v13, v5 src0_sel:BYTE_0 src1_sel:DWORD
	s_and_saveexec_b64 s[12:13], s[0:1]
	s_cbranch_execz .LBB169_322
; %bb.317:                              ;   in Loop: Header=BB169_185 Depth=1
	v_bfrev_b32_e32 v14, 1
	v_mov_b32_e32 v15, 0
	v_cmp_ne_u16_sdwa s[0:1], v13, s28 src0_sel:BYTE_0 src1_sel:DWORD
	s_and_saveexec_b64 s[16:17], s[0:1]
	s_cbranch_execz .LBB169_321
; %bb.318:                              ;   in Loop: Header=BB169_185 Depth=1
	v_and_b32_e32 v0, 0x7f, v13
	v_mov_b32_e32 v14, 0x7f800001
	v_mov_b32_e32 v15, 0
	v_cmp_ne_u32_e64 s[0:1], s29, v0
	s_and_saveexec_b64 s[18:19], s[0:1]
	s_cbranch_execz .LBB169_320
; %bb.319:                              ;   in Loop: Header=BB169_185 Depth=1
	v_and_b32_e32 v11, 7, v13
	v_ffbh_u32_e32 v14, v11
	v_min_u32_e32 v19, 32, v14
	v_subrev_u32_e32 v14, 28, v19
	v_lshlrev_b64 v[14:15], v14, v[13:14]
	v_lshrrev_b32_e32 v18, 3, v0
	v_sub_u32_e32 v15, 29, v19
	v_and_b32_e32 v14, 7, v14
	v_cmp_gt_u32_e64 s[0:1], 8, v0
	v_cndmask_b32_e64 v0, v18, v15, s[0:1]
	v_cndmask_b32_e64 v11, v11, v14, s[0:1]
	v_lshlrev_b32_e32 v11, 20, v11
	v_and_b32_sdwa v14, sext(v13), s30 dst_sel:DWORD dst_unused:UNUSED_PAD src0_sel:BYTE_0 src1_sel:DWORD
	v_lshl_add_u32 v0, v0, 23, v38
	v_or3_b32 v14, v14, v0, v11
	v_mov_b32_e32 v15, v5
.LBB169_320:                            ;   in Loop: Header=BB169_185 Depth=1
	s_or_b64 exec, exec, s[18:19]
.LBB169_321:                            ;   in Loop: Header=BB169_185 Depth=1
	s_or_b64 exec, exec, s[16:17]
.LBB169_322:                            ;   in Loop: Header=BB169_185 Depth=1
	s_or_b64 exec, exec, s[12:13]
	v_cmp_ne_u16_sdwa s[0:1], v13, v5 src0_sel:BYTE_1 src1_sel:DWORD
	s_and_saveexec_b64 s[12:13], s[0:1]
	s_cbranch_execz .LBB169_328
; %bb.323:                              ;   in Loop: Header=BB169_185 Depth=1
	v_mov_b32_e32 v17, v6
	v_cmp_ne_u16_sdwa s[0:1], v13, s28 src0_sel:BYTE_1 src1_sel:DWORD
	v_mov_b32_e32 v16, v5
	s_and_saveexec_b64 s[16:17], s[0:1]
	s_cbranch_execz .LBB169_327
; %bb.324:                              ;   in Loop: Header=BB169_185 Depth=1
	v_and_b32_sdwa v0, v13, s29 dst_sel:DWORD dst_unused:UNUSED_PAD src0_sel:BYTE_1 src1_sel:DWORD
	v_mov_b32_e32 v11, v5
	v_mov_b32_e32 v17, v12
	v_cmp_ne_u32_e64 s[0:1], s29, v0
	v_mov_b32_e32 v16, v11
	s_and_saveexec_b64 s[18:19], s[0:1]
	s_cbranch_execz .LBB169_326
; %bb.325:                              ;   in Loop: Header=BB169_185 Depth=1
	v_and_b32_sdwa v16, v13, v63 dst_sel:DWORD dst_unused:UNUSED_PAD src0_sel:BYTE_1 src1_sel:DWORD
	v_ffbh_u32_e32 v18, v16
	v_min_u32_e32 v19, 32, v18
	v_mov_b32_e32 v17, v5
	v_subrev_u32_e32 v18, 28, v19
	v_lshlrev_b64 v[17:18], v18, v[16:17]
	v_lshrrev_b32_e32 v11, 3, v0
	v_sub_u32_e32 v18, 29, v19
	v_cmp_gt_u32_e64 s[0:1], 8, v0
	v_and_b32_e32 v17, 7, v17
	v_cndmask_b32_e64 v0, v11, v18, s[0:1]
	v_cndmask_b32_e64 v11, v16, v17, s[0:1]
	v_lshlrev_b32_e32 v16, 16, v13
	v_lshl_add_u32 v0, v0, 23, v38
	v_and_or_b32 v0, v16, s30, v0
	v_lshlrev_b32_e32 v11, 20, v11
	v_or_b32_e32 v17, v0, v11
	v_mov_b32_e32 v16, v5
.LBB169_326:                            ;   in Loop: Header=BB169_185 Depth=1
	s_or_b64 exec, exec, s[18:19]
.LBB169_327:                            ;   in Loop: Header=BB169_185 Depth=1
	s_or_b64 exec, exec, s[16:17]
.LBB169_328:                            ;   in Loop: Header=BB169_185 Depth=1
	s_or_b64 exec, exec, s[12:13]
	v_lshrrev_b32_e32 v11, 16, v13
	v_mov_b32_e32 v20, 0
	v_mov_b32_e32 v18, 0
	v_mov_b32_e32 v21, 0
	v_mov_b32_e32 v19, 0
	v_cmp_ne_u16_sdwa s[0:1], v11, v5 src0_sel:BYTE_0 src1_sel:DWORD
	s_and_saveexec_b64 s[12:13], s[0:1]
	s_cbranch_execz .LBB169_334
; %bb.329:                              ;   in Loop: Header=BB169_185 Depth=1
	v_bfrev_b32_e32 v18, 1
	v_mov_b32_e32 v19, 0
	v_cmp_ne_u16_sdwa s[0:1], v11, s28 src0_sel:BYTE_0 src1_sel:DWORD
	s_and_saveexec_b64 s[16:17], s[0:1]
	s_cbranch_execz .LBB169_333
; %bb.330:                              ;   in Loop: Header=BB169_185 Depth=1
	v_bfe_u32 v0, v13, 16, 7
	v_mov_b32_e32 v18, 0x7f800001
	v_mov_b32_e32 v19, 0
	v_cmp_ne_u32_e64 s[0:1], s29, v0
	s_and_saveexec_b64 s[18:19], s[0:1]
	s_cbranch_execz .LBB169_332
; %bb.331:                              ;   in Loop: Header=BB169_185 Depth=1
	v_and_b32_e32 v39, 7, v11
	v_lshrrev_b32_e32 v40, 3, v0
	v_cmp_gt_u32_e64 s[0:1], 8, v0
	v_ffbh_u32_e32 v0, v39
	v_min_u32_e32 v0, 32, v0
	v_subrev_u32_e32 v18, 28, v0
	v_lshlrev_b64 v[18:19], v18, v[11:12]
	v_sub_u32_e32 v0, 29, v0
	v_and_b32_e32 v18, 7, v18
	v_cndmask_b32_e64 v0, v40, v0, s[0:1]
	v_cndmask_b32_e64 v18, v39, v18, s[0:1]
	v_lshlrev_b32_e32 v18, 20, v18
	v_and_b32_sdwa v11, sext(v11), s30 dst_sel:DWORD dst_unused:UNUSED_PAD src0_sel:BYTE_0 src1_sel:DWORD
	v_lshl_add_u32 v0, v0, 23, v38
	v_or3_b32 v18, v11, v0, v18
	v_mov_b32_e32 v19, v5
.LBB169_332:                            ;   in Loop: Header=BB169_185 Depth=1
	s_or_b64 exec, exec, s[18:19]
.LBB169_333:                            ;   in Loop: Header=BB169_185 Depth=1
	s_or_b64 exec, exec, s[16:17]
.LBB169_334:                            ;   in Loop: Header=BB169_185 Depth=1
	s_or_b64 exec, exec, s[12:13]
	v_cmp_lt_u32_e64 s[0:1], s31, v13
	s_and_saveexec_b64 s[12:13], s[0:1]
	s_cbranch_execz .LBB169_340
; %bb.335:                              ;   in Loop: Header=BB169_185 Depth=1
	v_mov_b32_e32 v21, v6
	v_cmp_ne_u32_sdwa s[0:1], v13, s28 src0_sel:BYTE_3 src1_sel:DWORD
	v_mov_b32_e32 v20, v5
	s_and_saveexec_b64 s[16:17], s[0:1]
	s_cbranch_execz .LBB169_339
; %bb.336:                              ;   in Loop: Header=BB169_185 Depth=1
	v_bfe_u32 v0, v13, 24, 7
	v_mov_b32_e32 v11, v5
	v_mov_b32_e32 v21, v12
	v_cmp_ne_u32_e64 s[0:1], s29, v0
	v_mov_b32_e32 v20, v11
	s_and_saveexec_b64 s[18:19], s[0:1]
	s_cbranch_execz .LBB169_338
; %bb.337:                              ;   in Loop: Header=BB169_185 Depth=1
	v_and_b32_sdwa v20, v13, v63 dst_sel:DWORD dst_unused:UNUSED_PAD src0_sel:BYTE_3 src1_sel:DWORD
	v_lshrrev_b32_e32 v11, 3, v0
	v_cmp_gt_u32_e64 s[0:1], 8, v0
	v_ffbh_u32_e32 v0, v20
	v_min_u32_e32 v0, 32, v0
	v_mov_b32_e32 v21, v5
	v_subrev_u32_e32 v39, 28, v0
	v_lshlrev_b64 v[39:40], v39, v[20:21]
	v_sub_u32_e32 v0, 29, v0
	v_and_b32_e32 v21, 7, v39
	v_cndmask_b32_e64 v0, v11, v0, s[0:1]
	v_cndmask_b32_e64 v11, v20, v21, s[0:1]
	v_lshlrev_b32_sdwa v13, v26, v13 dst_sel:DWORD dst_unused:UNUSED_PAD src0_sel:DWORD src1_sel:BYTE_3
	v_lshl_add_u32 v0, v0, 23, v38
	v_and_or_b32 v0, v13, s30, v0
	v_lshlrev_b32_e32 v11, 20, v11
	v_or_b32_e32 v21, v0, v11
	v_mov_b32_e32 v20, v5
.LBB169_338:                            ;   in Loop: Header=BB169_185 Depth=1
	s_or_b64 exec, exec, s[18:19]
.LBB169_339:                            ;   in Loop: Header=BB169_185 Depth=1
	s_or_b64 exec, exec, s[16:17]
.LBB169_340:                            ;   in Loop: Header=BB169_185 Depth=1
	s_or_b64 exec, exec, s[12:13]
	v_or_b32_e32 v0, v17, v15
	v_or_b32_e32 v13, v16, v14
	v_mul_f32_e32 v11, s38, v0
	v_mul_f32_e32 v15, s37, v13
	v_or_b32_e32 v0, v21, v19
	v_or_b32_e32 v13, v20, v18
	v_mul_f32_e32 v14, s37, v13
	v_mul_f32_e32 v13, s38, v0
	s_and_saveexec_b64 s[0:1], vcc
	s_cbranch_execz .LBB169_183
; %bb.341:                              ;   in Loop: Header=BB169_185 Depth=1
	v_cmp_gt_i32_e32 vcc, s33, v45
	v_cndmask_b32_e32 v15, 0, v15, vcc
	v_cmp_gt_i32_e32 vcc, s33, v48
	v_cndmask_b32_e32 v11, 0, v11, vcc
	;; [unrolled: 2-line block ×4, first 2 shown]
	s_branch .LBB169_183
.LBB169_342:
	s_or_b64 exec, exec, s[4:5]
	buffer_load_dword v12, off, s[56:59], 0 offset:28 ; 4-byte Folded Reload
	buffer_load_dword v11, off, s[56:59], 0 ; 4-byte Folded Reload
.LBB169_343:
	s_or_b64 exec, exec, s[2:3]
	ds_bpermute_b32 v0, v25, v37
	ds_bpermute_b32 v2, v25, v36
	;; [unrolled: 1-line block ×5, first 2 shown]
	s_waitcnt lgkmcnt(4)
	v_add_f32_e32 v1, v37, v0
	ds_bpermute_b32 v0, v25, v28
	s_waitcnt vmcnt(1)
	v_and_b32_e32 v7, 0x3c1, v12
	s_waitcnt lgkmcnt(4)
	v_add_f32_e32 v2, v36, v2
	s_waitcnt lgkmcnt(3)
	v_add_f32_e32 v3, v31, v3
	;; [unrolled: 2-line block ×5, first 2 shown]
	v_cmp_eq_u32_e32 vcc, 64, v7
	s_waitcnt vmcnt(0)
	s_barrier
	s_and_saveexec_b64 s[0:1], vcc
	s_cbranch_execz .LBB169_345
; %bb.344:
	v_mov_b32_e32 v0, 0x310
	v_lshl_add_u32 v0, v24, 1, v0
	ds_write2_b32 v0, v1, v2 offset1:32
	ds_write2_b32 v0, v3, v4 offset0:64 offset1:96
	ds_write2_b32 v0, v5, v6 offset0:128 offset1:160
.LBB169_345:
	s_or_b64 exec, exec, s[0:1]
	v_cmp_gt_u32_e32 vcc, 64, v12
	v_lshrrev_b32_e32 v0, 1, v12
	s_waitcnt lgkmcnt(0)
	s_barrier
	s_and_saveexec_b64 s[0:1], vcc
	s_cbranch_execz .LBB169_354
; %bb.346:
	v_mov_b32_e32 v8, 0x310
	v_cmp_eq_u32_e32 vcc, 0, v11
	v_lshl_add_u32 v8, v0, 2, v8
	s_and_saveexec_b64 s[2:3], vcc
	s_cbranch_execnz .LBB169_357
; %bb.347:
	s_or_b64 exec, exec, s[2:3]
	s_and_saveexec_b64 s[2:3], vcc
	s_cbranch_execnz .LBB169_358
.LBB169_348:
	s_or_b64 exec, exec, s[2:3]
	s_and_saveexec_b64 s[2:3], vcc
	s_cbranch_execnz .LBB169_359
.LBB169_349:
	s_or_b64 exec, exec, s[2:3]
	s_and_saveexec_b64 s[2:3], vcc
	s_cbranch_execnz .LBB169_360
.LBB169_350:
	s_or_b64 exec, exec, s[2:3]
	s_and_saveexec_b64 s[2:3], vcc
	s_cbranch_execnz .LBB169_361
.LBB169_351:
	s_or_b64 exec, exec, s[2:3]
	s_and_saveexec_b64 s[2:3], vcc
	s_cbranch_execz .LBB169_353
.LBB169_352:
	ds_read_b32 v8, v8 offset:640
	s_waitcnt lgkmcnt(0)
	v_add_f32_e32 v6, v6, v8
.LBB169_353:
	s_or_b64 exec, exec, s[2:3]
.LBB169_354:
	s_or_b64 exec, exec, s[0:1]
	v_cmp_eq_u32_e32 vcc, 0, v7
	s_barrier
	s_and_saveexec_b64 s[0:1], vcc
	s_cbranch_execz .LBB169_356
; %bb.355:
	s_mul_i32 s0, s10, s11
	s_mul_i32 s0, s0, s9
	s_mulk_i32 s0, 0xc0
	s_ashr_i32 s1, s0, 31
	s_lshl_b64 s[0:1], s[0:1], 2
	s_add_u32 s2, s26, s0
	s_mul_i32 s0, s11, s24
	s_addc_u32 s3, s27, s1
	s_ashr_i32 s1, s0, 31
	s_lshl_b64 s[0:1], s[0:1], 2
	s_add_u32 s2, s2, s0
	s_mul_i32 s0, s8, 0xc0
	s_addc_u32 s3, s3, s1
	s_ashr_i32 s1, s0, 31
	s_lshl_b64 s[0:1], s[0:1], 2
	s_add_u32 s0, s2, s0
	s_addc_u32 s1, s3, s1
	v_lshlrev_b32_e32 v0, 2, v0
	global_store_dword v0, v1, s[0:1]
	global_store_dword v0, v2, s[0:1] offset:128
	global_store_dword v0, v3, s[0:1] offset:256
	;; [unrolled: 1-line block ×5, first 2 shown]
.LBB169_356:
	s_endpgm
.LBB169_357:
	ds_read_b32 v9, v8
	s_waitcnt lgkmcnt(0)
	v_add_f32_e32 v1, v1, v9
	s_or_b64 exec, exec, s[2:3]
	s_and_saveexec_b64 s[2:3], vcc
	s_cbranch_execz .LBB169_348
.LBB169_358:
	ds_read_b32 v9, v8 offset:128
	s_waitcnt lgkmcnt(0)
	v_add_f32_e32 v2, v2, v9
	s_or_b64 exec, exec, s[2:3]
	s_and_saveexec_b64 s[2:3], vcc
	s_cbranch_execz .LBB169_349
.LBB169_359:
	ds_read_b32 v9, v8 offset:256
	s_waitcnt lgkmcnt(0)
	v_add_f32_e32 v3, v3, v9
	s_or_b64 exec, exec, s[2:3]
	s_and_saveexec_b64 s[2:3], vcc
	s_cbranch_execz .LBB169_350
.LBB169_360:
	ds_read_b32 v9, v8 offset:384
	s_waitcnt lgkmcnt(0)
	v_add_f32_e32 v4, v4, v9
	s_or_b64 exec, exec, s[2:3]
	s_and_saveexec_b64 s[2:3], vcc
	s_cbranch_execz .LBB169_351
.LBB169_361:
	ds_read_b32 v9, v8 offset:512
	s_waitcnt lgkmcnt(0)
	v_add_f32_e32 v5, v5, v9
	s_or_b64 exec, exec, s[2:3]
	s_and_saveexec_b64 s[2:3], vcc
	s_cbranch_execnz .LBB169_352
	s_branch .LBB169_353
	.section	.rodata,"a",@progbits
	.p2align	6, 0x0
	.amdhsa_kernel _ZN4vllm25paged_attention_v1_kernelIfhLi192ELi8ELi128ELNS_18Fp8KVCacheDataTypeE1ELb1EEEvPT_PKS2_PKT0_S8_ifPKiSA_iPKfiiiSC_SC_iiiii
		.amdhsa_group_segment_fixed_size 784
		.amdhsa_private_segment_fixed_size 44
		.amdhsa_kernarg_size 384
		.amdhsa_user_sgpr_count 6
		.amdhsa_user_sgpr_private_segment_buffer 1
		.amdhsa_user_sgpr_dispatch_ptr 0
		.amdhsa_user_sgpr_queue_ptr 0
		.amdhsa_user_sgpr_kernarg_segment_ptr 1
		.amdhsa_user_sgpr_dispatch_id 0
		.amdhsa_user_sgpr_flat_scratch_init 0
		.amdhsa_user_sgpr_private_segment_size 0
		.amdhsa_uses_dynamic_stack 0
		.amdhsa_system_sgpr_private_segment_wavefront_offset 1
		.amdhsa_system_sgpr_workgroup_id_x 1
		.amdhsa_system_sgpr_workgroup_id_y 1
		.amdhsa_system_sgpr_workgroup_id_z 1
		.amdhsa_system_sgpr_workgroup_info 0
		.amdhsa_system_vgpr_workitem_id 0
		.amdhsa_next_free_vgpr 64
		.amdhsa_next_free_sgpr 60
		.amdhsa_reserve_vcc 1
		.amdhsa_reserve_flat_scratch 0
		.amdhsa_float_round_mode_32 0
		.amdhsa_float_round_mode_16_64 0
		.amdhsa_float_denorm_mode_32 3
		.amdhsa_float_denorm_mode_16_64 3
		.amdhsa_dx10_clamp 1
		.amdhsa_ieee_mode 1
		.amdhsa_fp16_overflow 0
		.amdhsa_exception_fp_ieee_invalid_op 0
		.amdhsa_exception_fp_denorm_src 0
		.amdhsa_exception_fp_ieee_div_zero 0
		.amdhsa_exception_fp_ieee_overflow 0
		.amdhsa_exception_fp_ieee_underflow 0
		.amdhsa_exception_fp_ieee_inexact 0
		.amdhsa_exception_int_div_zero 0
	.end_amdhsa_kernel
	.section	.text._ZN4vllm25paged_attention_v1_kernelIfhLi192ELi8ELi128ELNS_18Fp8KVCacheDataTypeE1ELb1EEEvPT_PKS2_PKT0_S8_ifPKiSA_iPKfiiiSC_SC_iiiii,"axG",@progbits,_ZN4vllm25paged_attention_v1_kernelIfhLi192ELi8ELi128ELNS_18Fp8KVCacheDataTypeE1ELb1EEEvPT_PKS2_PKT0_S8_ifPKiSA_iPKfiiiSC_SC_iiiii,comdat
.Lfunc_end169:
	.size	_ZN4vllm25paged_attention_v1_kernelIfhLi192ELi8ELi128ELNS_18Fp8KVCacheDataTypeE1ELb1EEEvPT_PKS2_PKT0_S8_ifPKiSA_iPKfiiiSC_SC_iiiii, .Lfunc_end169-_ZN4vllm25paged_attention_v1_kernelIfhLi192ELi8ELi128ELNS_18Fp8KVCacheDataTypeE1ELb1EEEvPT_PKS2_PKT0_S8_ifPKiSA_iPKfiiiSC_SC_iiiii
                                        ; -- End function
	.set _ZN4vllm25paged_attention_v1_kernelIfhLi192ELi8ELi128ELNS_18Fp8KVCacheDataTypeE1ELb1EEEvPT_PKS2_PKT0_S8_ifPKiSA_iPKfiiiSC_SC_iiiii.num_vgpr, 64
	.set _ZN4vllm25paged_attention_v1_kernelIfhLi192ELi8ELi128ELNS_18Fp8KVCacheDataTypeE1ELb1EEEvPT_PKS2_PKT0_S8_ifPKiSA_iPKfiiiSC_SC_iiiii.num_agpr, 0
	.set _ZN4vllm25paged_attention_v1_kernelIfhLi192ELi8ELi128ELNS_18Fp8KVCacheDataTypeE1ELb1EEEvPT_PKS2_PKT0_S8_ifPKiSA_iPKfiiiSC_SC_iiiii.numbered_sgpr, 60
	.set _ZN4vllm25paged_attention_v1_kernelIfhLi192ELi8ELi128ELNS_18Fp8KVCacheDataTypeE1ELb1EEEvPT_PKS2_PKT0_S8_ifPKiSA_iPKfiiiSC_SC_iiiii.num_named_barrier, 0
	.set _ZN4vllm25paged_attention_v1_kernelIfhLi192ELi8ELi128ELNS_18Fp8KVCacheDataTypeE1ELb1EEEvPT_PKS2_PKT0_S8_ifPKiSA_iPKfiiiSC_SC_iiiii.private_seg_size, 44
	.set _ZN4vllm25paged_attention_v1_kernelIfhLi192ELi8ELi128ELNS_18Fp8KVCacheDataTypeE1ELb1EEEvPT_PKS2_PKT0_S8_ifPKiSA_iPKfiiiSC_SC_iiiii.uses_vcc, 1
	.set _ZN4vllm25paged_attention_v1_kernelIfhLi192ELi8ELi128ELNS_18Fp8KVCacheDataTypeE1ELb1EEEvPT_PKS2_PKT0_S8_ifPKiSA_iPKfiiiSC_SC_iiiii.uses_flat_scratch, 0
	.set _ZN4vllm25paged_attention_v1_kernelIfhLi192ELi8ELi128ELNS_18Fp8KVCacheDataTypeE1ELb1EEEvPT_PKS2_PKT0_S8_ifPKiSA_iPKfiiiSC_SC_iiiii.has_dyn_sized_stack, 0
	.set _ZN4vllm25paged_attention_v1_kernelIfhLi192ELi8ELi128ELNS_18Fp8KVCacheDataTypeE1ELb1EEEvPT_PKS2_PKT0_S8_ifPKiSA_iPKfiiiSC_SC_iiiii.has_recursion, 0
	.set _ZN4vllm25paged_attention_v1_kernelIfhLi192ELi8ELi128ELNS_18Fp8KVCacheDataTypeE1ELb1EEEvPT_PKS2_PKT0_S8_ifPKiSA_iPKfiiiSC_SC_iiiii.has_indirect_call, 0
	.section	.AMDGPU.csdata,"",@progbits
; Kernel info:
; codeLenInByte = 14252
; TotalNumSgprs: 64
; NumVgprs: 64
; ScratchSize: 44
; MemoryBound: 0
; FloatMode: 240
; IeeeMode: 1
; LDSByteSize: 784 bytes/workgroup (compile time only)
; SGPRBlocks: 7
; VGPRBlocks: 15
; NumSGPRsForWavesPerEU: 64
; NumVGPRsForWavesPerEU: 64
; Occupancy: 4
; WaveLimiterHint : 1
; COMPUTE_PGM_RSRC2:SCRATCH_EN: 1
; COMPUTE_PGM_RSRC2:USER_SGPR: 6
; COMPUTE_PGM_RSRC2:TRAP_HANDLER: 0
; COMPUTE_PGM_RSRC2:TGID_X_EN: 1
; COMPUTE_PGM_RSRC2:TGID_Y_EN: 1
; COMPUTE_PGM_RSRC2:TGID_Z_EN: 1
; COMPUTE_PGM_RSRC2:TIDIG_COMP_CNT: 0
	.section	.text._ZN4vllm25paged_attention_v1_kernelIfhLi256ELi8ELi128ELNS_18Fp8KVCacheDataTypeE1ELb1EEEvPT_PKS2_PKT0_S8_ifPKiSA_iPKfiiiSC_SC_iiiii,"axG",@progbits,_ZN4vllm25paged_attention_v1_kernelIfhLi256ELi8ELi128ELNS_18Fp8KVCacheDataTypeE1ELb1EEEvPT_PKS2_PKT0_S8_ifPKiSA_iPKfiiiSC_SC_iiiii,comdat
	.protected	_ZN4vllm25paged_attention_v1_kernelIfhLi256ELi8ELi128ELNS_18Fp8KVCacheDataTypeE1ELb1EEEvPT_PKS2_PKT0_S8_ifPKiSA_iPKfiiiSC_SC_iiiii ; -- Begin function _ZN4vllm25paged_attention_v1_kernelIfhLi256ELi8ELi128ELNS_18Fp8KVCacheDataTypeE1ELb1EEEvPT_PKS2_PKT0_S8_ifPKiSA_iPKfiiiSC_SC_iiiii
	.globl	_ZN4vllm25paged_attention_v1_kernelIfhLi256ELi8ELi128ELNS_18Fp8KVCacheDataTypeE1ELb1EEEvPT_PKS2_PKT0_S8_ifPKiSA_iPKfiiiSC_SC_iiiii
	.p2align	8
	.type	_ZN4vllm25paged_attention_v1_kernelIfhLi256ELi8ELi128ELNS_18Fp8KVCacheDataTypeE1ELb1EEEvPT_PKS2_PKT0_S8_ifPKiSA_iPKfiiiSC_SC_iiiii,@function
_ZN4vllm25paged_attention_v1_kernelIfhLi256ELi8ELi128ELNS_18Fp8KVCacheDataTypeE1ELb1EEEvPT_PKS2_PKT0_S8_ifPKiSA_iPKfiiiSC_SC_iiiii: ; @_ZN4vllm25paged_attention_v1_kernelIfhLi256ELi8ELi128ELNS_18Fp8KVCacheDataTypeE1ELb1EEEvPT_PKS2_PKT0_S8_ifPKiSA_iPKfiiiSC_SC_iiiii
; %bb.0:
	s_mov_b64 s[58:59], s[2:3]
	s_mov_b64 s[56:57], s[0:1]
	s_add_u32 s56, s56, s9
	s_load_dword s9, s[4:5], 0x80
	s_load_dwordx2 s[0:1], s[4:5], 0x30
	s_load_dwordx2 s[36:37], s[4:5], 0x20
	s_addc_u32 s57, s57, 0
	s_mov_b32 s10, s7
	s_ashr_i32 s11, s7, 31
	s_lshl_b64 s[2:3], s[10:11], 2
	s_waitcnt lgkmcnt(0)
	s_add_u32 s0, s0, s2
	s_addc_u32 s1, s1, s3
	s_abs_i32 s2, s36
	v_mov_b32_e32 v12, v0
	v_cvt_f32_u32_e32 v0, s2
	s_sub_i32 s11, 0, s2
	s_abs_i32 s7, s9
	s_xor_b32 s3, s9, s36
	v_rcp_iflag_f32_e32 v0, v0
	s_ashr_i32 s3, s3, 31
	s_mov_b32 s48, 0
	v_mul_f32_e32 v0, 0x4f7ffffe, v0
	v_cvt_u32_f32_e32 v0, v0
	v_readfirstlane_b32 s12, v0
	s_mul_i32 s11, s11, s12
	s_mul_hi_u32 s11, s12, s11
	s_add_i32 s12, s12, s11
	s_mul_hi_u32 s11, s7, s12
	s_mul_i32 s12, s11, s2
	s_sub_i32 s7, s7, s12
	s_add_i32 s12, s11, 1
	s_sub_i32 s13, s7, s2
	s_cmp_ge_u32 s7, s2
	s_cselect_b32 s11, s12, s11
	s_cselect_b32 s7, s13, s7
	s_add_i32 s12, s11, 1
	s_cmp_ge_u32 s7, s2
	s_cselect_b32 s2, s12, s11
	s_xor_b32 s2, s2, s3
	s_sub_i32 s11, s2, s3
	s_abs_i32 s12, s11
	v_cvt_f32_u32_e32 v0, s12
	s_load_dwordx2 s[2:3], s[4:5], 0x40
	s_sub_i32 s7, 0, s12
	s_abs_i32 s13, s6
	v_rcp_iflag_f32_e32 v0, v0
	v_mul_f32_e32 v0, 0x4f7ffffe, v0
	v_cvt_u32_f32_e32 v0, v0
	v_readfirstlane_b32 s14, v0
	s_mul_i32 s7, s7, s14
	s_mul_hi_u32 s7, s14, s7
	s_add_i32 s14, s14, s7
	s_waitcnt lgkmcnt(0)
	s_cmp_eq_u64 s[2:3], 0
	s_mul_hi_u32 s14, s13, s14
	s_cbranch_scc1 .LBB170_2
; %bb.1:
	s_ashr_i32 s7, s6, 31
	s_lshl_b64 s[16:17], s[6:7], 2
	s_add_u32 s2, s2, s16
	s_addc_u32 s3, s3, s17
	s_load_dword s48, s[2:3], 0x0
.LBB170_2:
	s_load_dword s33, s[0:1], 0x0
	s_ashr_i32 s15, s11, 31
	s_load_dword s11, s[4:5], 0x88
	s_load_dwordx4 s[16:19], s[4:5], 0x48
	s_movk_i32 s0, 0x100
	s_ashr_i32 s7, s6, 31
	v_and_b32_e32 v0, 7, v12
	s_lshl_b32 s24, s6, 8
	v_cmp_gt_u32_e32 vcc, s0, v12
	v_lshlrev_b32_e32 v13, 2, v12
	s_and_saveexec_b64 s[0:1], vcc
	s_cbranch_execz .LBB170_5
; %bb.3:
	s_load_dwordx2 s[2:3], s[4:5], 0x8
	s_waitcnt lgkmcnt(0)
	s_mul_i32 s20, s16, s10
	s_ashr_i32 s21, s20, 31
	s_lshl_b64 s[20:21], s[20:21], 2
	v_lshrrev_b32_e32 v1, 3, v12
	s_add_u32 s16, s2, s20
	s_addc_u32 s19, s3, s21
	s_ashr_i32 s25, s24, 31
	s_lshl_b64 s[2:3], s[24:25], 2
	s_add_u32 s2, s16, s2
	s_addc_u32 s3, s19, s3
	global_load_dword v3, v13, s[2:3]
	s_movk_i32 s16, 0x80
	v_lshlrev_b32_e32 v2, 2, v1
	v_lshl_add_u32 v2, v0, 7, v2
	v_cmp_gt_u32_e32 vcc, s16, v12
	s_waitcnt vmcnt(0)
	ds_write_b32 v2, v3
	s_and_b64 exec, exec, vcc
	s_cbranch_execz .LBB170_5
; %bb.4:
	v_lshlrev_b32_e32 v1, 5, v1
	v_lshlrev_b32_e32 v3, 2, v0
	s_movk_i32 s16, 0x200
	v_or3_b32 v1, v1, v3, s16
	global_load_dword v1, v1, s[2:3]
	s_waitcnt vmcnt(0)
	ds_write_b32 v2, v1 offset:64
.LBB170_5:
	s_or_b64 exec, exec, s[0:1]
	s_mul_i32 s1, s14, s12
	s_sub_i32 s1, s13, s1
	s_xor_b32 s0, s7, s15
	s_add_i32 s3, s14, 1
	s_sub_i32 s7, s1, s12
	s_load_dwordx4 s[20:23], s[4:5], 0x68
	s_load_dword s2, s[4:5], 0x78
	s_cmp_ge_u32 s1, s12
	s_cselect_b32 s3, s3, s14
	s_cselect_b32 s1, s7, s1
	s_add_i32 s7, s3, 1
	s_cmp_ge_u32 s1, s12
	s_cselect_b32 s1, s7, s3
	s_waitcnt lgkmcnt(0)
	s_abs_i32 s25, s23
	v_cvt_f32_u32_e32 v1, s25
	s_xor_b32 s1, s1, s0
	s_sub_i32 s47, s1, s0
	s_sub_i32 s0, 0, s25
	v_rcp_iflag_f32_e32 v1, v1
	s_add_i32 s12, s33, -1
	s_abs_i32 s3, s12
	v_mul_f32_e32 v1, 0x4f7ffffe, v1
	v_cvt_u32_f32_e32 v1, v1
	s_barrier
	v_readfirstlane_b32 s46, v1
	s_mul_i32 s0, s0, s46
	s_mul_hi_u32 s0, s46, s0
	s_add_i32 s46, s46, s0
	s_cmp_lt_i32 s2, 0
	s_mul_hi_u32 s7, s3, s46
	s_cbranch_scc0 .LBB170_7
; %bb.6:
	s_mul_i32 s0, s20, s36
	s_add_i32 s0, s47, s0
	s_mul_i32 s0, s0, s2
	s_sub_i32 s36, 1, s0
	s_mov_b64 s[0:1], 0
	s_branch .LBB170_8
.LBB170_7:
	s_mov_b64 s[0:1], -1
                                        ; implicit-def: $sgpr36
.LBB170_8:
	s_load_dwordx2 s[28:29], s[4:5], 0x28
	s_ashr_i32 s16, s12, 31
	s_andn2_b64 vcc, exec, s[0:1]
	s_ashr_i32 s23, s23, 31
	s_cbranch_vccnz .LBB170_10
; %bb.9:
	s_mul_i32 s0, s9, s20
	s_add_i32 s0, s0, s6
	s_mul_i32 s0, s0, s2
	s_add_i32 s36, s0, 1
.LBB170_10:
	s_load_dword s0, s[4:5], 0x38
	s_load_dwordx2 s[26:27], s[4:5], 0x0
	s_load_dwordx2 s[34:35], s[4:5], 0x18
	s_load_dwordx4 s[12:15], s[4:5], 0x58
	s_xor_b32 s1, s16, s23
	s_waitcnt lgkmcnt(0)
	s_mul_i32 s30, s0, s10
	s_mul_i32 s0, s7, s25
	s_sub_i32 s0, s3, s0
	s_ashr_i32 s31, s30, 31
	s_add_i32 s2, s7, 1
	s_sub_i32 s3, s0, s25
	s_cmp_ge_u32 s0, s25
	s_cselect_b32 s2, s2, s7
	s_cselect_b32 s0, s3, s0
	s_add_i32 s3, s2, 1
	s_cmp_ge_u32 s0, s25
	s_cselect_b32 s0, s3, s2
	s_xor_b32 s0, s0, s1
	s_sub_i32 s16, s0, s1
	s_add_i32 s0, s33, 7
	s_ashr_i32 s1, s0, 31
	s_lshr_b32 s1, s1, 29
	s_add_i32 s0, s0, s1
	s_ashr_i32 s20, s0, 3
	v_lshrrev_b32_e32 v40, 6, v12
	v_cmp_gt_i32_e64 s[0:1], s20, v40
	v_mov_b32_e32 v4, 0xff7fffff
	s_mul_i32 s47, s47, s18
	v_lshrrev_b32_e32 v16, 4, v12
	v_lshlrev_b32_e32 v41, 3, v40
	v_mbcnt_lo_u32_b32 v5, -1, 0
	s_mov_b64 s[18:19], exec
	s_and_b64 s[2:3], s[18:19], s[0:1]
	buffer_store_dword v12, off, s[56:59], 0 offset:100 ; 4-byte Folded Spill
	s_mov_b64 exec, s[2:3]
	s_cbranch_execz .LBB170_214
; %bb.11:
	s_load_dwordx2 s[2:3], s[4:5], 0x10
	s_sub_i32 s49, s16, s21
	s_ashr_i32 s4, s47, 31
	v_bfe_u32 v6, v12, 3, 3
	v_lshlrev_b32_e32 v2, 4, v6
	s_waitcnt lgkmcnt(0)
	s_add_u32 s5, s2, s47
	s_addc_u32 s4, s3, s4
	s_abs_i32 s50, s22
	v_cvt_f32_u32_e32 v1, s50
	v_mov_b32_e32 v3, s4
	s_sub_i32 s4, 0, s50
	v_cmp_eq_u32_e32 vcc, 0, v0
	v_rcp_iflag_f32_e32 v1, v1
	v_lshlrev_b32_e32 v46, 7, v0
	buffer_store_dword v13, off, s[56:59], 0 offset:104 ; 4-byte Folded Spill
	s_mov_b32 s51, s17
	v_mul_f32_e32 v1, 0x4f7ffffe, v1
	v_cvt_u32_f32_e32 v1, v1
	v_cmp_neq_f32_e64 s[2:3], s48, 0
	v_lshlrev_b32_e32 v49, 3, v40
	s_mov_b64 s[38:39], 0
	v_mul_lo_u32 v4, s4, v1
	v_add_co_u32_e64 v2, s[4:5], s5, v2
	v_addc_co_u32_e64 v3, s[4:5], 0, v3, s[4:5]
	v_mul_hi_u32 v4, v1, v4
	v_add_co_u32_e64 v2, s[4:5], v2, v0
	v_addc_co_u32_e64 v3, s[4:5], 0, v3, s[4:5]
	s_lshl_b64 s[4:5], s[30:31], 2
	v_add_u32_e32 v0, v1, v4
	s_add_u32 s4, s28, s4
	buffer_store_dword v2, off, s[56:59], 0 offset:80 ; 4-byte Folded Spill
	s_nop 0
	buffer_store_dword v3, off, s[56:59], 0 offset:84 ; 4-byte Folded Spill
	buffer_store_dword v0, off, s[56:59], 0 offset:56 ; 4-byte Folded Spill
	;; [unrolled: 1-line block ×3, first 2 shown]
	v_and_b32_e32 v0, 60, v16
	s_addc_u32 s5, s29, s5
	v_mov_b32_e32 v1, s5
	v_add_co_u32_e64 v35, s[4:5], s4, v0
	v_subrev_u32_e32 v0, s33, v6
	v_add_u32_e32 v0, 1, v0
	buffer_store_dword v0, off, s[56:59], 0 offset:96 ; 4-byte Folded Spill
	buffer_store_dword v6, off, s[56:59], 0 offset:92 ; 4-byte Folded Spill
	v_lshlrev_b32_e32 v0, 2, v6
	v_lshl_or_b32 v0, v40, 5, v0
	v_add_u32_e32 v51, 0x410, v0
	v_mbcnt_hi_u32_b32 v0, -1, v5
	v_addc_co_u32_e64 v36, s[4:5], 0, v1, s[4:5]
	s_movk_i32 s52, 0x80
	s_movk_i32 s53, 0x7f
	buffer_store_dword v0, off, s[56:59], 0 offset:88 ; 4-byte Folded Spill
	v_mov_b32_e32 v0, 0xff7fffff
	v_mov_b32_e32 v54, v40
	buffer_store_dword v0, off, s[56:59], 0 offset:76 ; 4-byte Folded Spill
	s_branch .LBB170_14
.LBB170_12:                             ;   in Loop: Header=BB170_14 Depth=1
	s_or_b64 exec, exec, s[40:41]
.LBB170_13:                             ;   in Loop: Header=BB170_14 Depth=1
	s_or_b64 exec, exec, s[6:7]
	v_add_co_u32_e64 v35, s[4:5], 8, v35
	v_add_u32_e32 v54, 2, v54
	v_addc_co_u32_e64 v36, s[4:5], 0, v36, s[4:5]
	v_cmp_le_i32_e64 s[4:5], s20, v54
	v_add_u32_e32 v49, 16, v49
	s_or_b64 s[38:39], s[4:5], s[38:39]
	v_add_u32_e32 v51, 64, v51
	s_andn2_b64 exec, exec, s[38:39]
	s_cbranch_execz .LBB170_213
.LBB170_14:                             ; =>This Inner Loop Header: Depth=1
	buffer_load_dword v3, off, s[56:59], 0 offset:56 ; 4-byte Folded Reload
	v_mul_hi_u32 v0, v49, s46
	s_waitcnt lgkmcnt(0)
	v_mul_lo_u32 v1, v0, s25
	v_add_u32_e32 v2, 1, v0
	v_sub_u32_e32 v1, v49, v1
	v_cmp_le_u32_e64 s[4:5], s25, v1
	v_cndmask_b32_e64 v0, v0, v2, s[4:5]
	v_subrev_u32_e32 v2, s25, v1
	v_cndmask_b32_e64 v1, v1, v2, s[4:5]
	v_add_u32_e32 v2, 1, v0
	v_cmp_le_u32_e64 s[4:5], s25, v1
	v_cndmask_b32_e64 v0, v0, v2, s[4:5]
	v_xor_b32_e32 v0, s23, v0
	v_subrev_u32_e32 v0, s23, v0
	v_add_u32_e32 v1, s36, v0
	v_sub_u32_e32 v2, 0, v1
	v_max_i32_e32 v2, v1, v2
	v_ashrrev_i32_e32 v1, 31, v1
	v_cmp_ge_i32_e64 s[6:7], s49, v0
	s_waitcnt vmcnt(0)
	v_mul_hi_u32 v3, v2, v3
	v_mul_lo_u32 v3, v3, s50
	v_sub_u32_e32 v2, v2, v3
	v_subrev_u32_e32 v3, s50, v2
	v_cmp_le_u32_e64 s[4:5], s50, v2
	v_cndmask_b32_e64 v2, v2, v3, s[4:5]
	v_subrev_u32_e32 v3, s50, v2
	v_cmp_le_u32_e64 s[4:5], s50, v2
	v_cndmask_b32_e64 v2, v2, v3, s[4:5]
	v_xor_b32_e32 v2, v2, v1
	v_sub_u32_e32 v1, v2, v1
	v_cmp_ne_u32_e64 s[4:5], 0, v1
	s_and_b64 s[4:5], s[4:5], s[6:7]
	s_and_saveexec_b64 s[6:7], s[4:5]
	s_xor_b64 s[4:5], exec, s[6:7]
	s_cbranch_execz .LBB170_18
; %bb.15:                               ;   in Loop: Header=BB170_14 Depth=1
	s_and_saveexec_b64 s[6:7], vcc
; %bb.16:                               ;   in Loop: Header=BB170_14 Depth=1
	v_mov_b32_e32 v0, 0xff7fffff
	ds_write_b32 v51, v0
; %bb.17:                               ;   in Loop: Header=BB170_14 Depth=1
	s_or_b64 exec, exec, s[6:7]
.LBB170_18:                             ;   in Loop: Header=BB170_14 Depth=1
	s_andn2_saveexec_b64 s[6:7], s[4:5]
	s_cbranch_execz .LBB170_13
; %bb.19:                               ;   in Loop: Header=BB170_14 Depth=1
	global_load_dword v0, v[35:36], off
	buffer_load_dword v1, off, s[56:59], 0 offset:80 ; 4-byte Folded Reload
	buffer_load_dword v2, off, s[56:59], 0 offset:84 ; 4-byte Folded Reload
	v_mov_b32_e32 v50, 0
	s_waitcnt vmcnt(0)
	v_mad_i64_i32 v[37:38], s[4:5], v0, s51, v[1:2]
	v_mov_b32_e32 v1, 0
	global_load_ubyte v0, v[37:38], off
	ds_read_b128 v[29:32], v46
	ds_read_b128 v[25:28], v46 offset:16
	buffer_store_dword v1, off, s[56:59], 0 ; 4-byte Folded Spill
	s_load_dword s54, s[12:13], 0x0
	ds_read_b128 v[21:24], v46 offset:32
	ds_read_b128 v[17:20], v46 offset:48
	;; [unrolled: 1-line block ×6, first 2 shown]
	s_waitcnt lgkmcnt(0)
	buffer_store_dword v1, off, s[56:59], 0 offset:60 ; 4-byte Folded Spill
	s_nop 0
	buffer_store_dword v2, off, s[56:59], 0 offset:64 ; 4-byte Folded Spill
	buffer_store_dword v3, off, s[56:59], 0 offset:68 ; 4-byte Folded Spill
	;; [unrolled: 1-line block ×3, first 2 shown]
	s_waitcnt vmcnt(5)
	v_cmp_ne_u16_e64 s[4:5], 0, v0
	s_and_saveexec_b64 s[40:41], s[4:5]
	s_cbranch_execz .LBB170_25
; %bb.20:                               ;   in Loop: Header=BB170_14 Depth=1
	v_cmp_ne_u16_e64 s[4:5], s52, v0
	v_bfrev_b32_e32 v50, 1
	s_and_saveexec_b64 s[42:43], s[4:5]
	s_cbranch_execz .LBB170_24
; %bb.21:                               ;   in Loop: Header=BB170_14 Depth=1
	v_and_b32_e32 v39, 0xffff, v0
	v_and_b32_e32 v33, 0x7f, v39
	v_cmp_ne_u32_e64 s[4:5], s53, v33
	v_mov_b32_e32 v50, 0x7f800001
	s_and_saveexec_b64 s[44:45], s[4:5]
	s_cbranch_execz .LBB170_23
; %bb.22:                               ;   in Loop: Header=BB170_14 Depth=1
	v_and_b32_e32 v1, 7, v39
	v_ffbh_u32_e32 v3, v1
	v_min_u32_e32 v3, 32, v3
	v_subrev_u32_e32 v4, 28, v3
	v_lshrrev_b32_e32 v2, 3, v33
	v_cmp_gt_u32_e64 s[4:5], 8, v33
	v_lshlrev_b64 v[33:34], v4, v[39:40]
	v_sub_u32_e32 v3, 29, v3
	v_and_b32_e32 v4, 7, v33
	v_cndmask_b32_e64 v2, v2, v3, s[4:5]
	v_cndmask_b32_e64 v1, v1, v4, s[4:5]
	v_lshlrev_b32_e32 v0, 24, v0
	v_bfrev_b32_e32 v3, 60
	v_lshlrev_b32_e32 v1, 20, v1
	v_and_b32_e32 v0, 0x80000000, v0
	v_lshl_add_u32 v2, v2, 23, v3
	v_or3_b32 v50, v0, v2, v1
.LBB170_23:                             ;   in Loop: Header=BB170_14 Depth=1
	s_or_b64 exec, exec, s[44:45]
.LBB170_24:                             ;   in Loop: Header=BB170_14 Depth=1
	s_or_b64 exec, exec, s[42:43]
.LBB170_25:                             ;   in Loop: Header=BB170_14 Depth=1
	s_or_b64 exec, exec, s[40:41]
	global_load_ubyte v0, v[37:38], off offset:8
	s_waitcnt vmcnt(0)
	v_cmp_ne_u16_e64 s[4:5], 0, v0
	s_and_saveexec_b64 s[40:41], s[4:5]
	s_cbranch_execz .LBB170_31
; %bb.26:                               ;   in Loop: Header=BB170_14 Depth=1
	v_cmp_ne_u16_e64 s[4:5], s52, v0
	v_bfrev_b32_e32 v1, 1
	buffer_store_dword v1, off, s[56:59], 0 ; 4-byte Folded Spill
	s_and_saveexec_b64 s[42:43], s[4:5]
	s_cbranch_execz .LBB170_30
; %bb.27:                               ;   in Loop: Header=BB170_14 Depth=1
	v_and_b32_e32 v39, 0xffff, v0
	v_and_b32_e32 v33, 0x7f, v39
	v_cmp_ne_u32_e64 s[4:5], s53, v33
	v_mov_b32_e32 v1, 0x7f800001
	buffer_store_dword v1, off, s[56:59], 0 ; 4-byte Folded Spill
	s_and_saveexec_b64 s[44:45], s[4:5]
	s_cbranch_execz .LBB170_29
; %bb.28:                               ;   in Loop: Header=BB170_14 Depth=1
	v_and_b32_e32 v1, 7, v39
	v_ffbh_u32_e32 v3, v1
	v_min_u32_e32 v3, 32, v3
	v_subrev_u32_e32 v4, 28, v3
	v_lshrrev_b32_e32 v2, 3, v33
	v_cmp_gt_u32_e64 s[4:5], 8, v33
	v_lshlrev_b64 v[33:34], v4, v[39:40]
	v_sub_u32_e32 v3, 29, v3
	v_and_b32_e32 v4, 7, v33
	v_cndmask_b32_e64 v2, v2, v3, s[4:5]
	v_cndmask_b32_e64 v1, v1, v4, s[4:5]
	v_lshlrev_b32_e32 v0, 24, v0
	v_bfrev_b32_e32 v3, 60
	v_lshlrev_b32_e32 v1, 20, v1
	v_and_b32_e32 v0, 0x80000000, v0
	v_lshl_add_u32 v2, v2, 23, v3
	v_or3_b32 v0, v0, v2, v1
	buffer_store_dword v0, off, s[56:59], 0 ; 4-byte Folded Spill
.LBB170_29:                             ;   in Loop: Header=BB170_14 Depth=1
	s_or_b64 exec, exec, s[44:45]
.LBB170_30:                             ;   in Loop: Header=BB170_14 Depth=1
	s_or_b64 exec, exec, s[42:43]
.LBB170_31:                             ;   in Loop: Header=BB170_14 Depth=1
	s_or_b64 exec, exec, s[40:41]
	global_load_ubyte v0, v[37:38], off offset:128
	v_mov_b32_e32 v1, 0
	buffer_store_dword v1, off, s[56:59], 0 offset:4 ; 4-byte Folded Spill
	v_mov_b32_e32 v1, 0
	buffer_store_dword v1, off, s[56:59], 0 offset:8 ; 4-byte Folded Spill
	s_waitcnt vmcnt(2)
	v_cmp_ne_u16_e64 s[4:5], 0, v0
	s_and_saveexec_b64 s[40:41], s[4:5]
	s_cbranch_execz .LBB170_37
; %bb.32:                               ;   in Loop: Header=BB170_14 Depth=1
	v_cmp_ne_u16_e64 s[4:5], s52, v0
	v_bfrev_b32_e32 v1, 1
	buffer_store_dword v1, off, s[56:59], 0 offset:8 ; 4-byte Folded Spill
	s_and_saveexec_b64 s[42:43], s[4:5]
	s_cbranch_execz .LBB170_36
; %bb.33:                               ;   in Loop: Header=BB170_14 Depth=1
	v_and_b32_e32 v39, 0xffff, v0
	v_and_b32_e32 v33, 0x7f, v39
	v_cmp_ne_u32_e64 s[4:5], s53, v33
	v_mov_b32_e32 v1, 0x7f800001
	buffer_store_dword v1, off, s[56:59], 0 offset:8 ; 4-byte Folded Spill
	s_and_saveexec_b64 s[44:45], s[4:5]
	s_cbranch_execz .LBB170_35
; %bb.34:                               ;   in Loop: Header=BB170_14 Depth=1
	v_and_b32_e32 v1, 7, v39
	v_ffbh_u32_e32 v3, v1
	v_min_u32_e32 v3, 32, v3
	v_subrev_u32_e32 v4, 28, v3
	v_lshrrev_b32_e32 v2, 3, v33
	v_cmp_gt_u32_e64 s[4:5], 8, v33
	v_lshlrev_b64 v[33:34], v4, v[39:40]
	v_sub_u32_e32 v3, 29, v3
	v_and_b32_e32 v4, 7, v33
	v_cndmask_b32_e64 v2, v2, v3, s[4:5]
	v_cndmask_b32_e64 v1, v1, v4, s[4:5]
	v_lshlrev_b32_e32 v0, 24, v0
	v_bfrev_b32_e32 v3, 60
	v_lshlrev_b32_e32 v1, 20, v1
	v_and_b32_e32 v0, 0x80000000, v0
	v_lshl_add_u32 v2, v2, 23, v3
	v_or3_b32 v0, v0, v2, v1
	buffer_store_dword v0, off, s[56:59], 0 offset:8 ; 4-byte Folded Spill
.LBB170_35:                             ;   in Loop: Header=BB170_14 Depth=1
	s_or_b64 exec, exec, s[44:45]
.LBB170_36:                             ;   in Loop: Header=BB170_14 Depth=1
	s_or_b64 exec, exec, s[42:43]
.LBB170_37:                             ;   in Loop: Header=BB170_14 Depth=1
	s_or_b64 exec, exec, s[40:41]
	global_load_ubyte v0, v[37:38], off offset:136
	s_waitcnt vmcnt(0)
	v_cmp_ne_u16_e64 s[4:5], 0, v0
	s_and_saveexec_b64 s[40:41], s[4:5]
	s_cbranch_execz .LBB170_43
; %bb.38:                               ;   in Loop: Header=BB170_14 Depth=1
	v_cmp_ne_u16_e64 s[4:5], s52, v0
	v_bfrev_b32_e32 v1, 1
	buffer_store_dword v1, off, s[56:59], 0 offset:4 ; 4-byte Folded Spill
	s_and_saveexec_b64 s[42:43], s[4:5]
	s_cbranch_execz .LBB170_42
; %bb.39:                               ;   in Loop: Header=BB170_14 Depth=1
	v_and_b32_e32 v39, 0xffff, v0
	v_and_b32_e32 v33, 0x7f, v39
	v_cmp_ne_u32_e64 s[4:5], s53, v33
	v_mov_b32_e32 v1, 0x7f800001
	buffer_store_dword v1, off, s[56:59], 0 offset:4 ; 4-byte Folded Spill
	s_and_saveexec_b64 s[44:45], s[4:5]
	s_cbranch_execz .LBB170_41
; %bb.40:                               ;   in Loop: Header=BB170_14 Depth=1
	v_and_b32_e32 v1, 7, v39
	v_ffbh_u32_e32 v3, v1
	v_min_u32_e32 v3, 32, v3
	v_subrev_u32_e32 v4, 28, v3
	v_lshrrev_b32_e32 v2, 3, v33
	v_cmp_gt_u32_e64 s[4:5], 8, v33
	v_lshlrev_b64 v[33:34], v4, v[39:40]
	v_sub_u32_e32 v3, 29, v3
	v_and_b32_e32 v4, 7, v33
	v_cndmask_b32_e64 v2, v2, v3, s[4:5]
	v_cndmask_b32_e64 v1, v1, v4, s[4:5]
	v_lshlrev_b32_e32 v0, 24, v0
	v_bfrev_b32_e32 v3, 60
	v_lshlrev_b32_e32 v1, 20, v1
	v_and_b32_e32 v0, 0x80000000, v0
	v_lshl_add_u32 v2, v2, 23, v3
	v_or3_b32 v0, v0, v2, v1
	buffer_store_dword v0, off, s[56:59], 0 offset:4 ; 4-byte Folded Spill
.LBB170_41:                             ;   in Loop: Header=BB170_14 Depth=1
	s_or_b64 exec, exec, s[44:45]
.LBB170_42:                             ;   in Loop: Header=BB170_14 Depth=1
	s_or_b64 exec, exec, s[42:43]
.LBB170_43:                             ;   in Loop: Header=BB170_14 Depth=1
	s_or_b64 exec, exec, s[40:41]
	global_load_ubyte v0, v[37:38], off offset:256
	v_mov_b32_e32 v1, 0
	buffer_store_dword v1, off, s[56:59], 0 offset:20 ; 4-byte Folded Spill
	v_mov_b32_e32 v1, 0
	buffer_store_dword v1, off, s[56:59], 0 offset:12 ; 4-byte Folded Spill
	s_waitcnt vmcnt(2)
	v_cmp_ne_u16_e64 s[4:5], 0, v0
	s_and_saveexec_b64 s[40:41], s[4:5]
	s_cbranch_execz .LBB170_49
; %bb.44:                               ;   in Loop: Header=BB170_14 Depth=1
	v_cmp_ne_u16_e64 s[4:5], s52, v0
	v_bfrev_b32_e32 v1, 1
	buffer_store_dword v1, off, s[56:59], 0 offset:12 ; 4-byte Folded Spill
	s_and_saveexec_b64 s[42:43], s[4:5]
	s_cbranch_execz .LBB170_48
; %bb.45:                               ;   in Loop: Header=BB170_14 Depth=1
	v_and_b32_e32 v39, 0xffff, v0
	v_and_b32_e32 v33, 0x7f, v39
	v_cmp_ne_u32_e64 s[4:5], s53, v33
	v_mov_b32_e32 v1, 0x7f800001
	buffer_store_dword v1, off, s[56:59], 0 offset:12 ; 4-byte Folded Spill
	s_and_saveexec_b64 s[44:45], s[4:5]
	s_cbranch_execz .LBB170_47
; %bb.46:                               ;   in Loop: Header=BB170_14 Depth=1
	v_and_b32_e32 v1, 7, v39
	v_ffbh_u32_e32 v3, v1
	v_min_u32_e32 v3, 32, v3
	v_subrev_u32_e32 v4, 28, v3
	v_lshrrev_b32_e32 v2, 3, v33
	v_cmp_gt_u32_e64 s[4:5], 8, v33
	v_lshlrev_b64 v[33:34], v4, v[39:40]
	v_sub_u32_e32 v3, 29, v3
	v_and_b32_e32 v4, 7, v33
	v_cndmask_b32_e64 v2, v2, v3, s[4:5]
	v_cndmask_b32_e64 v1, v1, v4, s[4:5]
	v_lshlrev_b32_e32 v0, 24, v0
	v_bfrev_b32_e32 v3, 60
	v_lshlrev_b32_e32 v1, 20, v1
	v_and_b32_e32 v0, 0x80000000, v0
	v_lshl_add_u32 v2, v2, 23, v3
	v_or3_b32 v0, v0, v2, v1
	buffer_store_dword v0, off, s[56:59], 0 offset:12 ; 4-byte Folded Spill
.LBB170_47:                             ;   in Loop: Header=BB170_14 Depth=1
	s_or_b64 exec, exec, s[44:45]
.LBB170_48:                             ;   in Loop: Header=BB170_14 Depth=1
	s_or_b64 exec, exec, s[42:43]
.LBB170_49:                             ;   in Loop: Header=BB170_14 Depth=1
	s_or_b64 exec, exec, s[40:41]
	global_load_ubyte v0, v[37:38], off offset:264
	s_waitcnt vmcnt(0)
	v_cmp_ne_u16_e64 s[4:5], 0, v0
	s_and_saveexec_b64 s[40:41], s[4:5]
	s_cbranch_execz .LBB170_55
; %bb.50:                               ;   in Loop: Header=BB170_14 Depth=1
	v_cmp_ne_u16_e64 s[4:5], s52, v0
	v_bfrev_b32_e32 v1, 1
	buffer_store_dword v1, off, s[56:59], 0 offset:20 ; 4-byte Folded Spill
	s_and_saveexec_b64 s[42:43], s[4:5]
	s_cbranch_execz .LBB170_54
; %bb.51:                               ;   in Loop: Header=BB170_14 Depth=1
	v_and_b32_e32 v39, 0xffff, v0
	v_and_b32_e32 v33, 0x7f, v39
	v_cmp_ne_u32_e64 s[4:5], s53, v33
	v_mov_b32_e32 v1, 0x7f800001
	buffer_store_dword v1, off, s[56:59], 0 offset:20 ; 4-byte Folded Spill
	s_and_saveexec_b64 s[44:45], s[4:5]
	s_cbranch_execz .LBB170_53
; %bb.52:                               ;   in Loop: Header=BB170_14 Depth=1
	v_and_b32_e32 v1, 7, v39
	v_ffbh_u32_e32 v3, v1
	v_min_u32_e32 v3, 32, v3
	v_subrev_u32_e32 v4, 28, v3
	v_lshrrev_b32_e32 v2, 3, v33
	v_cmp_gt_u32_e64 s[4:5], 8, v33
	v_lshlrev_b64 v[33:34], v4, v[39:40]
	v_sub_u32_e32 v3, 29, v3
	v_and_b32_e32 v4, 7, v33
	v_cndmask_b32_e64 v2, v2, v3, s[4:5]
	v_cndmask_b32_e64 v1, v1, v4, s[4:5]
	v_lshlrev_b32_e32 v0, 24, v0
	v_bfrev_b32_e32 v3, 60
	v_lshlrev_b32_e32 v1, 20, v1
	v_and_b32_e32 v0, 0x80000000, v0
	v_lshl_add_u32 v2, v2, 23, v3
	v_or3_b32 v0, v0, v2, v1
	buffer_store_dword v0, off, s[56:59], 0 offset:20 ; 4-byte Folded Spill
.LBB170_53:                             ;   in Loop: Header=BB170_14 Depth=1
	s_or_b64 exec, exec, s[44:45]
.LBB170_54:                             ;   in Loop: Header=BB170_14 Depth=1
	s_or_b64 exec, exec, s[42:43]
.LBB170_55:                             ;   in Loop: Header=BB170_14 Depth=1
	s_or_b64 exec, exec, s[40:41]
	global_load_ubyte v0, v[37:38], off offset:384
	v_mov_b32_e32 v1, 0
	buffer_store_dword v1, off, s[56:59], 0 offset:24 ; 4-byte Folded Spill
	v_mov_b32_e32 v1, 0
	buffer_store_dword v1, off, s[56:59], 0 offset:28 ; 4-byte Folded Spill
	s_waitcnt vmcnt(2)
	v_cmp_ne_u16_e64 s[4:5], 0, v0
	s_and_saveexec_b64 s[40:41], s[4:5]
	s_cbranch_execz .LBB170_61
; %bb.56:                               ;   in Loop: Header=BB170_14 Depth=1
	v_cmp_ne_u16_e64 s[4:5], s52, v0
	v_bfrev_b32_e32 v1, 1
	buffer_store_dword v1, off, s[56:59], 0 offset:28 ; 4-byte Folded Spill
	s_and_saveexec_b64 s[42:43], s[4:5]
	s_cbranch_execz .LBB170_60
; %bb.57:                               ;   in Loop: Header=BB170_14 Depth=1
	v_and_b32_e32 v39, 0xffff, v0
	v_and_b32_e32 v33, 0x7f, v39
	v_cmp_ne_u32_e64 s[4:5], s53, v33
	v_mov_b32_e32 v1, 0x7f800001
	buffer_store_dword v1, off, s[56:59], 0 offset:28 ; 4-byte Folded Spill
	s_and_saveexec_b64 s[44:45], s[4:5]
	s_cbranch_execz .LBB170_59
; %bb.58:                               ;   in Loop: Header=BB170_14 Depth=1
	v_and_b32_e32 v1, 7, v39
	v_ffbh_u32_e32 v3, v1
	v_min_u32_e32 v3, 32, v3
	v_subrev_u32_e32 v4, 28, v3
	v_lshrrev_b32_e32 v2, 3, v33
	v_cmp_gt_u32_e64 s[4:5], 8, v33
	v_lshlrev_b64 v[33:34], v4, v[39:40]
	v_sub_u32_e32 v3, 29, v3
	v_and_b32_e32 v4, 7, v33
	v_cndmask_b32_e64 v2, v2, v3, s[4:5]
	v_cndmask_b32_e64 v1, v1, v4, s[4:5]
	v_lshlrev_b32_e32 v0, 24, v0
	v_bfrev_b32_e32 v3, 60
	v_lshlrev_b32_e32 v1, 20, v1
	v_and_b32_e32 v0, 0x80000000, v0
	v_lshl_add_u32 v2, v2, 23, v3
	v_or3_b32 v0, v0, v2, v1
	buffer_store_dword v0, off, s[56:59], 0 offset:28 ; 4-byte Folded Spill
.LBB170_59:                             ;   in Loop: Header=BB170_14 Depth=1
	s_or_b64 exec, exec, s[44:45]
.LBB170_60:                             ;   in Loop: Header=BB170_14 Depth=1
	s_or_b64 exec, exec, s[42:43]
.LBB170_61:                             ;   in Loop: Header=BB170_14 Depth=1
	s_or_b64 exec, exec, s[40:41]
	global_load_ubyte v0, v[37:38], off offset:392
	s_waitcnt vmcnt(0)
	v_cmp_ne_u16_e64 s[4:5], 0, v0
	s_and_saveexec_b64 s[40:41], s[4:5]
	s_cbranch_execz .LBB170_67
; %bb.62:                               ;   in Loop: Header=BB170_14 Depth=1
	v_cmp_ne_u16_e64 s[4:5], s52, v0
	v_bfrev_b32_e32 v1, 1
	buffer_store_dword v1, off, s[56:59], 0 offset:24 ; 4-byte Folded Spill
	s_and_saveexec_b64 s[42:43], s[4:5]
	s_cbranch_execz .LBB170_66
; %bb.63:                               ;   in Loop: Header=BB170_14 Depth=1
	v_and_b32_e32 v39, 0xffff, v0
	v_and_b32_e32 v33, 0x7f, v39
	v_cmp_ne_u32_e64 s[4:5], s53, v33
	v_mov_b32_e32 v1, 0x7f800001
	buffer_store_dword v1, off, s[56:59], 0 offset:24 ; 4-byte Folded Spill
	s_and_saveexec_b64 s[44:45], s[4:5]
	s_cbranch_execz .LBB170_65
; %bb.64:                               ;   in Loop: Header=BB170_14 Depth=1
	v_and_b32_e32 v1, 7, v39
	v_ffbh_u32_e32 v3, v1
	v_min_u32_e32 v3, 32, v3
	v_subrev_u32_e32 v4, 28, v3
	v_lshrrev_b32_e32 v2, 3, v33
	v_cmp_gt_u32_e64 s[4:5], 8, v33
	v_lshlrev_b64 v[33:34], v4, v[39:40]
	v_sub_u32_e32 v3, 29, v3
	v_and_b32_e32 v4, 7, v33
	v_cndmask_b32_e64 v2, v2, v3, s[4:5]
	v_cndmask_b32_e64 v1, v1, v4, s[4:5]
	v_lshlrev_b32_e32 v0, 24, v0
	v_bfrev_b32_e32 v3, 60
	v_lshlrev_b32_e32 v1, 20, v1
	v_and_b32_e32 v0, 0x80000000, v0
	v_lshl_add_u32 v2, v2, 23, v3
	v_or3_b32 v0, v0, v2, v1
	buffer_store_dword v0, off, s[56:59], 0 offset:24 ; 4-byte Folded Spill
.LBB170_65:                             ;   in Loop: Header=BB170_14 Depth=1
	s_or_b64 exec, exec, s[44:45]
.LBB170_66:                             ;   in Loop: Header=BB170_14 Depth=1
	s_or_b64 exec, exec, s[42:43]
.LBB170_67:                             ;   in Loop: Header=BB170_14 Depth=1
	s_or_b64 exec, exec, s[40:41]
	global_load_ubyte v0, v[37:38], off offset:512
	v_mov_b32_e32 v1, 0
	buffer_store_dword v1, off, s[56:59], 0 offset:32 ; 4-byte Folded Spill
	v_mov_b32_e32 v1, 0
	buffer_store_dword v1, off, s[56:59], 0 offset:36 ; 4-byte Folded Spill
	s_waitcnt vmcnt(2)
	v_cmp_ne_u16_e64 s[4:5], 0, v0
	s_and_saveexec_b64 s[40:41], s[4:5]
	s_cbranch_execz .LBB170_73
; %bb.68:                               ;   in Loop: Header=BB170_14 Depth=1
	v_cmp_ne_u16_e64 s[4:5], s52, v0
	v_bfrev_b32_e32 v1, 1
	buffer_store_dword v1, off, s[56:59], 0 offset:36 ; 4-byte Folded Spill
	s_and_saveexec_b64 s[42:43], s[4:5]
	s_cbranch_execz .LBB170_72
; %bb.69:                               ;   in Loop: Header=BB170_14 Depth=1
	v_and_b32_e32 v39, 0xffff, v0
	v_and_b32_e32 v33, 0x7f, v39
	v_cmp_ne_u32_e64 s[4:5], s53, v33
	v_mov_b32_e32 v1, 0x7f800001
	buffer_store_dword v1, off, s[56:59], 0 offset:36 ; 4-byte Folded Spill
	s_and_saveexec_b64 s[44:45], s[4:5]
	s_cbranch_execz .LBB170_71
; %bb.70:                               ;   in Loop: Header=BB170_14 Depth=1
	v_and_b32_e32 v1, 7, v39
	v_ffbh_u32_e32 v3, v1
	v_min_u32_e32 v3, 32, v3
	v_subrev_u32_e32 v4, 28, v3
	v_lshrrev_b32_e32 v2, 3, v33
	v_cmp_gt_u32_e64 s[4:5], 8, v33
	v_lshlrev_b64 v[33:34], v4, v[39:40]
	v_sub_u32_e32 v3, 29, v3
	v_and_b32_e32 v4, 7, v33
	v_cndmask_b32_e64 v2, v2, v3, s[4:5]
	v_cndmask_b32_e64 v1, v1, v4, s[4:5]
	v_lshlrev_b32_e32 v0, 24, v0
	v_bfrev_b32_e32 v3, 60
	v_lshlrev_b32_e32 v1, 20, v1
	v_and_b32_e32 v0, 0x80000000, v0
	v_lshl_add_u32 v2, v2, 23, v3
	v_or3_b32 v0, v0, v2, v1
	buffer_store_dword v0, off, s[56:59], 0 offset:36 ; 4-byte Folded Spill
.LBB170_71:                             ;   in Loop: Header=BB170_14 Depth=1
	s_or_b64 exec, exec, s[44:45]
.LBB170_72:                             ;   in Loop: Header=BB170_14 Depth=1
	s_or_b64 exec, exec, s[42:43]
.LBB170_73:                             ;   in Loop: Header=BB170_14 Depth=1
	s_or_b64 exec, exec, s[40:41]
	global_load_ubyte v0, v[37:38], off offset:520
	s_waitcnt vmcnt(0)
	v_cmp_ne_u16_e64 s[4:5], 0, v0
	s_and_saveexec_b64 s[40:41], s[4:5]
	s_cbranch_execz .LBB170_79
; %bb.74:                               ;   in Loop: Header=BB170_14 Depth=1
	v_cmp_ne_u16_e64 s[4:5], s52, v0
	v_bfrev_b32_e32 v1, 1
	buffer_store_dword v1, off, s[56:59], 0 offset:32 ; 4-byte Folded Spill
	s_and_saveexec_b64 s[42:43], s[4:5]
	s_cbranch_execz .LBB170_78
; %bb.75:                               ;   in Loop: Header=BB170_14 Depth=1
	v_and_b32_e32 v39, 0xffff, v0
	v_and_b32_e32 v33, 0x7f, v39
	v_cmp_ne_u32_e64 s[4:5], s53, v33
	v_mov_b32_e32 v1, 0x7f800001
	buffer_store_dword v1, off, s[56:59], 0 offset:32 ; 4-byte Folded Spill
	s_and_saveexec_b64 s[44:45], s[4:5]
	s_cbranch_execz .LBB170_77
; %bb.76:                               ;   in Loop: Header=BB170_14 Depth=1
	v_and_b32_e32 v1, 7, v39
	v_ffbh_u32_e32 v3, v1
	v_min_u32_e32 v3, 32, v3
	v_subrev_u32_e32 v4, 28, v3
	v_lshrrev_b32_e32 v2, 3, v33
	v_cmp_gt_u32_e64 s[4:5], 8, v33
	v_lshlrev_b64 v[33:34], v4, v[39:40]
	v_sub_u32_e32 v3, 29, v3
	v_and_b32_e32 v4, 7, v33
	v_cndmask_b32_e64 v2, v2, v3, s[4:5]
	v_cndmask_b32_e64 v1, v1, v4, s[4:5]
	v_lshlrev_b32_e32 v0, 24, v0
	v_bfrev_b32_e32 v3, 60
	v_lshlrev_b32_e32 v1, 20, v1
	v_and_b32_e32 v0, 0x80000000, v0
	v_lshl_add_u32 v2, v2, 23, v3
	v_or3_b32 v0, v0, v2, v1
	buffer_store_dword v0, off, s[56:59], 0 offset:32 ; 4-byte Folded Spill
.LBB170_77:                             ;   in Loop: Header=BB170_14 Depth=1
	s_or_b64 exec, exec, s[44:45]
.LBB170_78:                             ;   in Loop: Header=BB170_14 Depth=1
	s_or_b64 exec, exec, s[42:43]
.LBB170_79:                             ;   in Loop: Header=BB170_14 Depth=1
	s_or_b64 exec, exec, s[40:41]
	global_load_ubyte v0, v[37:38], off offset:640
	v_mov_b32_e32 v1, 0
	buffer_store_dword v1, off, s[56:59], 0 offset:40 ; 4-byte Folded Spill
	v_mov_b32_e32 v1, 0
	buffer_store_dword v1, off, s[56:59], 0 offset:44 ; 4-byte Folded Spill
	s_waitcnt vmcnt(2)
	v_cmp_ne_u16_e64 s[4:5], 0, v0
	s_and_saveexec_b64 s[40:41], s[4:5]
	s_cbranch_execz .LBB170_85
; %bb.80:                               ;   in Loop: Header=BB170_14 Depth=1
	v_cmp_ne_u16_e64 s[4:5], s52, v0
	v_bfrev_b32_e32 v1, 1
	buffer_store_dword v1, off, s[56:59], 0 offset:44 ; 4-byte Folded Spill
	s_and_saveexec_b64 s[42:43], s[4:5]
	s_cbranch_execz .LBB170_84
; %bb.81:                               ;   in Loop: Header=BB170_14 Depth=1
	v_and_b32_e32 v39, 0xffff, v0
	v_and_b32_e32 v33, 0x7f, v39
	v_cmp_ne_u32_e64 s[4:5], s53, v33
	v_mov_b32_e32 v1, 0x7f800001
	buffer_store_dword v1, off, s[56:59], 0 offset:44 ; 4-byte Folded Spill
	s_and_saveexec_b64 s[44:45], s[4:5]
	s_cbranch_execz .LBB170_83
; %bb.82:                               ;   in Loop: Header=BB170_14 Depth=1
	v_and_b32_e32 v1, 7, v39
	v_ffbh_u32_e32 v3, v1
	v_min_u32_e32 v3, 32, v3
	v_subrev_u32_e32 v4, 28, v3
	v_lshrrev_b32_e32 v2, 3, v33
	v_cmp_gt_u32_e64 s[4:5], 8, v33
	v_lshlrev_b64 v[33:34], v4, v[39:40]
	v_sub_u32_e32 v3, 29, v3
	v_and_b32_e32 v4, 7, v33
	v_cndmask_b32_e64 v2, v2, v3, s[4:5]
	v_cndmask_b32_e64 v1, v1, v4, s[4:5]
	v_lshlrev_b32_e32 v0, 24, v0
	v_bfrev_b32_e32 v3, 60
	v_lshlrev_b32_e32 v1, 20, v1
	v_and_b32_e32 v0, 0x80000000, v0
	v_lshl_add_u32 v2, v2, 23, v3
	v_or3_b32 v0, v0, v2, v1
	buffer_store_dword v0, off, s[56:59], 0 offset:44 ; 4-byte Folded Spill
.LBB170_83:                             ;   in Loop: Header=BB170_14 Depth=1
	s_or_b64 exec, exec, s[44:45]
.LBB170_84:                             ;   in Loop: Header=BB170_14 Depth=1
	s_or_b64 exec, exec, s[42:43]
.LBB170_85:                             ;   in Loop: Header=BB170_14 Depth=1
	s_or_b64 exec, exec, s[40:41]
	global_load_ubyte v0, v[37:38], off offset:648
	s_waitcnt vmcnt(0)
	v_cmp_ne_u16_e64 s[4:5], 0, v0
	s_and_saveexec_b64 s[40:41], s[4:5]
	s_cbranch_execz .LBB170_91
; %bb.86:                               ;   in Loop: Header=BB170_14 Depth=1
	v_cmp_ne_u16_e64 s[4:5], s52, v0
	v_bfrev_b32_e32 v1, 1
	buffer_store_dword v1, off, s[56:59], 0 offset:40 ; 4-byte Folded Spill
	s_and_saveexec_b64 s[42:43], s[4:5]
	s_cbranch_execz .LBB170_90
; %bb.87:                               ;   in Loop: Header=BB170_14 Depth=1
	v_and_b32_e32 v39, 0xffff, v0
	v_and_b32_e32 v33, 0x7f, v39
	v_cmp_ne_u32_e64 s[4:5], s53, v33
	v_mov_b32_e32 v1, 0x7f800001
	buffer_store_dword v1, off, s[56:59], 0 offset:40 ; 4-byte Folded Spill
	s_and_saveexec_b64 s[44:45], s[4:5]
	s_cbranch_execz .LBB170_89
; %bb.88:                               ;   in Loop: Header=BB170_14 Depth=1
	v_and_b32_e32 v1, 7, v39
	v_ffbh_u32_e32 v3, v1
	v_min_u32_e32 v3, 32, v3
	v_subrev_u32_e32 v4, 28, v3
	v_lshrrev_b32_e32 v2, 3, v33
	v_cmp_gt_u32_e64 s[4:5], 8, v33
	v_lshlrev_b64 v[33:34], v4, v[39:40]
	v_sub_u32_e32 v3, 29, v3
	v_and_b32_e32 v4, 7, v33
	v_cndmask_b32_e64 v2, v2, v3, s[4:5]
	v_cndmask_b32_e64 v1, v1, v4, s[4:5]
	v_lshlrev_b32_e32 v0, 24, v0
	v_bfrev_b32_e32 v3, 60
	v_lshlrev_b32_e32 v1, 20, v1
	v_and_b32_e32 v0, 0x80000000, v0
	v_lshl_add_u32 v2, v2, 23, v3
	v_or3_b32 v0, v0, v2, v1
	buffer_store_dword v0, off, s[56:59], 0 offset:40 ; 4-byte Folded Spill
.LBB170_89:                             ;   in Loop: Header=BB170_14 Depth=1
	s_or_b64 exec, exec, s[44:45]
.LBB170_90:                             ;   in Loop: Header=BB170_14 Depth=1
	s_or_b64 exec, exec, s[42:43]
.LBB170_91:                             ;   in Loop: Header=BB170_14 Depth=1
	s_or_b64 exec, exec, s[40:41]
	global_load_ubyte v0, v[37:38], off offset:768
	v_mov_b32_e32 v1, 0
	buffer_store_dword v1, off, s[56:59], 0 offset:48 ; 4-byte Folded Spill
	v_mov_b32_e32 v1, 0
	buffer_store_dword v1, off, s[56:59], 0 offset:52 ; 4-byte Folded Spill
	s_waitcnt vmcnt(2)
	v_cmp_ne_u16_e64 s[4:5], 0, v0
	s_and_saveexec_b64 s[40:41], s[4:5]
	s_cbranch_execz .LBB170_97
; %bb.92:                               ;   in Loop: Header=BB170_14 Depth=1
	v_cmp_ne_u16_e64 s[4:5], s52, v0
	v_bfrev_b32_e32 v1, 1
	buffer_store_dword v1, off, s[56:59], 0 offset:52 ; 4-byte Folded Spill
	s_and_saveexec_b64 s[42:43], s[4:5]
	s_cbranch_execz .LBB170_96
; %bb.93:                               ;   in Loop: Header=BB170_14 Depth=1
	v_and_b32_e32 v39, 0xffff, v0
	v_and_b32_e32 v33, 0x7f, v39
	v_cmp_ne_u32_e64 s[4:5], s53, v33
	v_mov_b32_e32 v1, 0x7f800001
	buffer_store_dword v1, off, s[56:59], 0 offset:52 ; 4-byte Folded Spill
	s_and_saveexec_b64 s[44:45], s[4:5]
	s_cbranch_execz .LBB170_95
; %bb.94:                               ;   in Loop: Header=BB170_14 Depth=1
	v_and_b32_e32 v1, 7, v39
	v_ffbh_u32_e32 v3, v1
	v_min_u32_e32 v3, 32, v3
	v_subrev_u32_e32 v4, 28, v3
	v_lshrrev_b32_e32 v2, 3, v33
	v_cmp_gt_u32_e64 s[4:5], 8, v33
	v_lshlrev_b64 v[33:34], v4, v[39:40]
	v_sub_u32_e32 v3, 29, v3
	v_and_b32_e32 v4, 7, v33
	v_cndmask_b32_e64 v2, v2, v3, s[4:5]
	v_cndmask_b32_e64 v1, v1, v4, s[4:5]
	v_lshlrev_b32_e32 v0, 24, v0
	v_bfrev_b32_e32 v3, 60
	v_lshlrev_b32_e32 v1, 20, v1
	v_and_b32_e32 v0, 0x80000000, v0
	v_lshl_add_u32 v2, v2, 23, v3
	v_or3_b32 v0, v0, v2, v1
	buffer_store_dword v0, off, s[56:59], 0 offset:52 ; 4-byte Folded Spill
.LBB170_95:                             ;   in Loop: Header=BB170_14 Depth=1
	s_or_b64 exec, exec, s[44:45]
.LBB170_96:                             ;   in Loop: Header=BB170_14 Depth=1
	s_or_b64 exec, exec, s[42:43]
.LBB170_97:                             ;   in Loop: Header=BB170_14 Depth=1
	s_or_b64 exec, exec, s[40:41]
	global_load_ubyte v0, v[37:38], off offset:776
	s_waitcnt vmcnt(0)
	v_cmp_ne_u16_e64 s[4:5], 0, v0
	s_and_saveexec_b64 s[40:41], s[4:5]
	s_cbranch_execz .LBB170_103
; %bb.98:                               ;   in Loop: Header=BB170_14 Depth=1
	v_cmp_ne_u16_e64 s[4:5], s52, v0
	v_bfrev_b32_e32 v1, 1
	buffer_store_dword v1, off, s[56:59], 0 offset:48 ; 4-byte Folded Spill
	s_and_saveexec_b64 s[42:43], s[4:5]
	s_cbranch_execz .LBB170_102
; %bb.99:                               ;   in Loop: Header=BB170_14 Depth=1
	v_and_b32_e32 v39, 0xffff, v0
	v_and_b32_e32 v33, 0x7f, v39
	v_cmp_ne_u32_e64 s[4:5], s53, v33
	v_mov_b32_e32 v1, 0x7f800001
	buffer_store_dword v1, off, s[56:59], 0 offset:48 ; 4-byte Folded Spill
	s_and_saveexec_b64 s[44:45], s[4:5]
	s_cbranch_execz .LBB170_101
; %bb.100:                              ;   in Loop: Header=BB170_14 Depth=1
	v_and_b32_e32 v1, 7, v39
	v_ffbh_u32_e32 v3, v1
	v_min_u32_e32 v3, 32, v3
	v_subrev_u32_e32 v4, 28, v3
	v_lshrrev_b32_e32 v2, 3, v33
	v_cmp_gt_u32_e64 s[4:5], 8, v33
	v_lshlrev_b64 v[33:34], v4, v[39:40]
	v_sub_u32_e32 v3, 29, v3
	v_and_b32_e32 v4, 7, v33
	v_cndmask_b32_e64 v2, v2, v3, s[4:5]
	v_cndmask_b32_e64 v1, v1, v4, s[4:5]
	v_lshlrev_b32_e32 v0, 24, v0
	v_bfrev_b32_e32 v3, 60
	v_lshlrev_b32_e32 v1, 20, v1
	v_and_b32_e32 v0, 0x80000000, v0
	v_lshl_add_u32 v2, v2, 23, v3
	v_or3_b32 v0, v0, v2, v1
	buffer_store_dword v0, off, s[56:59], 0 offset:48 ; 4-byte Folded Spill
.LBB170_101:                            ;   in Loop: Header=BB170_14 Depth=1
	s_or_b64 exec, exec, s[44:45]
.LBB170_102:                            ;   in Loop: Header=BB170_14 Depth=1
	s_or_b64 exec, exec, s[42:43]
.LBB170_103:                            ;   in Loop: Header=BB170_14 Depth=1
	s_or_b64 exec, exec, s[40:41]
	global_load_ubyte v0, v[37:38], off offset:896
	v_mov_b32_e32 v33, 0
	v_mov_b32_e32 v34, 0
	s_waitcnt vmcnt(0)
	v_cmp_ne_u16_e64 s[4:5], 0, v0
	s_and_saveexec_b64 s[40:41], s[4:5]
	s_cbranch_execz .LBB170_109
; %bb.104:                              ;   in Loop: Header=BB170_14 Depth=1
	v_cmp_ne_u16_e64 s[4:5], s52, v0
	v_bfrev_b32_e32 v34, 1
	s_and_saveexec_b64 s[42:43], s[4:5]
	s_cbranch_execz .LBB170_108
; %bb.105:                              ;   in Loop: Header=BB170_14 Depth=1
	v_and_b32_e32 v39, 0xffff, v0
	v_and_b32_e32 v42, 0x7f, v39
	v_cmp_ne_u32_e64 s[4:5], s53, v42
	v_mov_b32_e32 v34, 0x7f800001
	s_and_saveexec_b64 s[44:45], s[4:5]
	s_cbranch_execz .LBB170_107
; %bb.106:                              ;   in Loop: Header=BB170_14 Depth=1
	v_and_b32_e32 v1, 7, v39
	v_ffbh_u32_e32 v3, v1
	v_min_u32_e32 v3, 32, v3
	v_subrev_u32_e32 v4, 28, v3
	v_lshrrev_b32_e32 v2, 3, v42
	v_cmp_gt_u32_e64 s[4:5], 8, v42
	v_lshlrev_b64 v[42:43], v4, v[39:40]
	v_sub_u32_e32 v3, 29, v3
	v_and_b32_e32 v4, 7, v42
	v_cndmask_b32_e64 v2, v2, v3, s[4:5]
	v_cndmask_b32_e64 v1, v1, v4, s[4:5]
	v_lshlrev_b32_e32 v0, 24, v0
	v_bfrev_b32_e32 v3, 60
	v_lshlrev_b32_e32 v1, 20, v1
	v_and_b32_e32 v0, 0x80000000, v0
	v_lshl_add_u32 v2, v2, 23, v3
	v_or3_b32 v34, v0, v2, v1
.LBB170_107:                            ;   in Loop: Header=BB170_14 Depth=1
	s_or_b64 exec, exec, s[44:45]
.LBB170_108:                            ;   in Loop: Header=BB170_14 Depth=1
	s_or_b64 exec, exec, s[42:43]
.LBB170_109:                            ;   in Loop: Header=BB170_14 Depth=1
	s_or_b64 exec, exec, s[40:41]
	global_load_ubyte v0, v[37:38], off offset:904
	s_waitcnt vmcnt(0)
	v_cmp_ne_u16_e64 s[4:5], 0, v0
	s_and_saveexec_b64 s[40:41], s[4:5]
	s_cbranch_execz .LBB170_115
; %bb.110:                              ;   in Loop: Header=BB170_14 Depth=1
	v_cmp_ne_u16_e64 s[4:5], s52, v0
	v_bfrev_b32_e32 v33, 1
	s_and_saveexec_b64 s[42:43], s[4:5]
	s_cbranch_execz .LBB170_114
; %bb.111:                              ;   in Loop: Header=BB170_14 Depth=1
	v_and_b32_e32 v39, 0xffff, v0
	v_and_b32_e32 v42, 0x7f, v39
	v_cmp_ne_u32_e64 s[4:5], s53, v42
	v_mov_b32_e32 v33, 0x7f800001
	s_and_saveexec_b64 s[44:45], s[4:5]
	s_cbranch_execz .LBB170_113
; %bb.112:                              ;   in Loop: Header=BB170_14 Depth=1
	v_and_b32_e32 v1, 7, v39
	v_ffbh_u32_e32 v3, v1
	v_min_u32_e32 v3, 32, v3
	v_subrev_u32_e32 v4, 28, v3
	v_lshrrev_b32_e32 v2, 3, v42
	v_cmp_gt_u32_e64 s[4:5], 8, v42
	v_lshlrev_b64 v[42:43], v4, v[39:40]
	v_sub_u32_e32 v3, 29, v3
	v_and_b32_e32 v4, 7, v42
	v_cndmask_b32_e64 v2, v2, v3, s[4:5]
	v_cndmask_b32_e64 v1, v1, v4, s[4:5]
	v_lshlrev_b32_e32 v0, 24, v0
	v_bfrev_b32_e32 v3, 60
	v_lshlrev_b32_e32 v1, 20, v1
	v_and_b32_e32 v0, 0x80000000, v0
	v_lshl_add_u32 v2, v2, 23, v3
	v_or3_b32 v33, v0, v2, v1
.LBB170_113:                            ;   in Loop: Header=BB170_14 Depth=1
	s_or_b64 exec, exec, s[44:45]
.LBB170_114:                            ;   in Loop: Header=BB170_14 Depth=1
	s_or_b64 exec, exec, s[42:43]
.LBB170_115:                            ;   in Loop: Header=BB170_14 Depth=1
	s_or_b64 exec, exec, s[40:41]
	global_load_ubyte v42, v[37:38], off offset:1024
	v_mov_b32_e32 v47, 0
	v_mov_b32_e32 v0, 0
	s_waitcnt vmcnt(0)
	v_cmp_ne_u16_e64 s[4:5], 0, v42
	s_and_saveexec_b64 s[40:41], s[4:5]
	s_cbranch_execz .LBB170_121
; %bb.116:                              ;   in Loop: Header=BB170_14 Depth=1
	v_cmp_ne_u16_e64 s[4:5], s52, v42
	v_bfrev_b32_e32 v0, 1
	s_and_saveexec_b64 s[42:43], s[4:5]
	s_cbranch_execz .LBB170_120
; %bb.117:                              ;   in Loop: Header=BB170_14 Depth=1
	v_and_b32_e32 v39, 0xffff, v42
	v_and_b32_e32 v43, 0x7f, v39
	v_cmp_ne_u32_e64 s[4:5], s53, v43
	v_mov_b32_e32 v0, 0x7f800001
	s_and_saveexec_b64 s[44:45], s[4:5]
	s_cbranch_execz .LBB170_119
; %bb.118:                              ;   in Loop: Header=BB170_14 Depth=1
	v_and_b32_e32 v0, 7, v39
	v_ffbh_u32_e32 v2, v0
	v_min_u32_e32 v2, 32, v2
	v_subrev_u32_e32 v3, 28, v2
	v_lshrrev_b32_e32 v1, 3, v43
	v_cmp_gt_u32_e64 s[4:5], 8, v43
	v_lshlrev_b64 v[43:44], v3, v[39:40]
	v_sub_u32_e32 v2, 29, v2
	v_and_b32_e32 v3, 7, v43
	v_cndmask_b32_e64 v1, v1, v2, s[4:5]
	v_cndmask_b32_e64 v0, v0, v3, s[4:5]
	v_lshlrev_b32_e32 v2, 24, v42
	v_bfrev_b32_e32 v3, 60
	v_lshlrev_b32_e32 v0, 20, v0
	v_and_b32_e32 v2, 0x80000000, v2
	v_lshl_add_u32 v1, v1, 23, v3
	v_or3_b32 v0, v2, v1, v0
.LBB170_119:                            ;   in Loop: Header=BB170_14 Depth=1
	s_or_b64 exec, exec, s[44:45]
.LBB170_120:                            ;   in Loop: Header=BB170_14 Depth=1
	s_or_b64 exec, exec, s[42:43]
.LBB170_121:                            ;   in Loop: Header=BB170_14 Depth=1
	s_or_b64 exec, exec, s[40:41]
	global_load_ubyte v42, v[37:38], off offset:1032
	s_waitcnt vmcnt(0)
	v_cmp_ne_u16_e64 s[4:5], 0, v42
	s_and_saveexec_b64 s[40:41], s[4:5]
	s_cbranch_execz .LBB170_127
; %bb.122:                              ;   in Loop: Header=BB170_14 Depth=1
	v_cmp_ne_u16_e64 s[4:5], s52, v42
	v_bfrev_b32_e32 v47, 1
	s_and_saveexec_b64 s[42:43], s[4:5]
	s_cbranch_execz .LBB170_126
; %bb.123:                              ;   in Loop: Header=BB170_14 Depth=1
	v_and_b32_e32 v39, 0xffff, v42
	v_and_b32_e32 v43, 0x7f, v39
	v_cmp_ne_u32_e64 s[4:5], s53, v43
	v_mov_b32_e32 v47, 0x7f800001
	s_and_saveexec_b64 s[44:45], s[4:5]
	s_cbranch_execz .LBB170_125
; %bb.124:                              ;   in Loop: Header=BB170_14 Depth=1
	v_and_b32_e32 v1, 7, v39
	v_ffbh_u32_e32 v3, v1
	v_min_u32_e32 v3, 32, v3
	v_subrev_u32_e32 v4, 28, v3
	v_lshrrev_b32_e32 v2, 3, v43
	v_cmp_gt_u32_e64 s[4:5], 8, v43
	v_lshlrev_b64 v[43:44], v4, v[39:40]
	v_sub_u32_e32 v3, 29, v3
	v_and_b32_e32 v4, 7, v43
	v_cndmask_b32_e64 v2, v2, v3, s[4:5]
	v_cndmask_b32_e64 v1, v1, v4, s[4:5]
	v_lshlrev_b32_e32 v3, 24, v42
	v_bfrev_b32_e32 v4, 60
	v_lshlrev_b32_e32 v1, 20, v1
	v_and_b32_e32 v3, 0x80000000, v3
	v_lshl_add_u32 v2, v2, 23, v4
	v_or3_b32 v47, v3, v2, v1
.LBB170_125:                            ;   in Loop: Header=BB170_14 Depth=1
	s_or_b64 exec, exec, s[44:45]
.LBB170_126:                            ;   in Loop: Header=BB170_14 Depth=1
	s_or_b64 exec, exec, s[42:43]
.LBB170_127:                            ;   in Loop: Header=BB170_14 Depth=1
	s_or_b64 exec, exec, s[40:41]
	global_load_ubyte v42, v[37:38], off offset:1152
	v_mov_b32_e32 v52, 0
	v_mov_b32_e32 v48, 0
	s_waitcnt vmcnt(0)
	v_cmp_ne_u16_e64 s[4:5], 0, v42
	s_and_saveexec_b64 s[40:41], s[4:5]
	s_cbranch_execz .LBB170_133
; %bb.128:                              ;   in Loop: Header=BB170_14 Depth=1
	v_cmp_ne_u16_e64 s[4:5], s52, v42
	v_bfrev_b32_e32 v48, 1
	s_and_saveexec_b64 s[42:43], s[4:5]
	s_cbranch_execz .LBB170_132
; %bb.129:                              ;   in Loop: Header=BB170_14 Depth=1
	v_and_b32_e32 v39, 0xffff, v42
	v_and_b32_e32 v43, 0x7f, v39
	v_cmp_ne_u32_e64 s[4:5], s53, v43
	v_mov_b32_e32 v48, 0x7f800001
	s_and_saveexec_b64 s[44:45], s[4:5]
	s_cbranch_execz .LBB170_131
; %bb.130:                              ;   in Loop: Header=BB170_14 Depth=1
	v_and_b32_e32 v1, 7, v39
	v_ffbh_u32_e32 v3, v1
	v_min_u32_e32 v3, 32, v3
	v_subrev_u32_e32 v4, 28, v3
	v_lshrrev_b32_e32 v2, 3, v43
	v_cmp_gt_u32_e64 s[4:5], 8, v43
	v_lshlrev_b64 v[43:44], v4, v[39:40]
	v_sub_u32_e32 v3, 29, v3
	v_and_b32_e32 v4, 7, v43
	v_cndmask_b32_e64 v2, v2, v3, s[4:5]
	v_cndmask_b32_e64 v1, v1, v4, s[4:5]
	v_lshlrev_b32_e32 v3, 24, v42
	v_bfrev_b32_e32 v4, 60
	v_lshlrev_b32_e32 v1, 20, v1
	v_and_b32_e32 v3, 0x80000000, v3
	v_lshl_add_u32 v2, v2, 23, v4
	v_or3_b32 v48, v3, v2, v1
.LBB170_131:                            ;   in Loop: Header=BB170_14 Depth=1
	s_or_b64 exec, exec, s[44:45]
.LBB170_132:                            ;   in Loop: Header=BB170_14 Depth=1
	s_or_b64 exec, exec, s[42:43]
.LBB170_133:                            ;   in Loop: Header=BB170_14 Depth=1
	s_or_b64 exec, exec, s[40:41]
	global_load_ubyte v42, v[37:38], off offset:1160
	s_waitcnt vmcnt(0)
	v_cmp_ne_u16_e64 s[4:5], 0, v42
	s_and_saveexec_b64 s[40:41], s[4:5]
	s_cbranch_execz .LBB170_139
; %bb.134:                              ;   in Loop: Header=BB170_14 Depth=1
	v_cmp_ne_u16_e64 s[4:5], s52, v42
	v_bfrev_b32_e32 v52, 1
	s_and_saveexec_b64 s[42:43], s[4:5]
	s_cbranch_execz .LBB170_138
; %bb.135:                              ;   in Loop: Header=BB170_14 Depth=1
	v_and_b32_e32 v39, 0xffff, v42
	v_and_b32_e32 v43, 0x7f, v39
	v_cmp_ne_u32_e64 s[4:5], s53, v43
	v_mov_b32_e32 v52, 0x7f800001
	s_and_saveexec_b64 s[44:45], s[4:5]
	s_cbranch_execz .LBB170_137
; %bb.136:                              ;   in Loop: Header=BB170_14 Depth=1
	v_and_b32_e32 v1, 7, v39
	v_ffbh_u32_e32 v3, v1
	v_min_u32_e32 v3, 32, v3
	v_subrev_u32_e32 v4, 28, v3
	v_lshrrev_b32_e32 v2, 3, v43
	v_cmp_gt_u32_e64 s[4:5], 8, v43
	v_lshlrev_b64 v[43:44], v4, v[39:40]
	v_sub_u32_e32 v3, 29, v3
	v_and_b32_e32 v4, 7, v43
	v_cndmask_b32_e64 v2, v2, v3, s[4:5]
	v_cndmask_b32_e64 v1, v1, v4, s[4:5]
	v_lshlrev_b32_e32 v3, 24, v42
	v_bfrev_b32_e32 v4, 60
	v_lshlrev_b32_e32 v1, 20, v1
	v_and_b32_e32 v3, 0x80000000, v3
	v_lshl_add_u32 v2, v2, 23, v4
	v_or3_b32 v52, v3, v2, v1
.LBB170_137:                            ;   in Loop: Header=BB170_14 Depth=1
	s_or_b64 exec, exec, s[44:45]
.LBB170_138:                            ;   in Loop: Header=BB170_14 Depth=1
	s_or_b64 exec, exec, s[42:43]
.LBB170_139:                            ;   in Loop: Header=BB170_14 Depth=1
	s_or_b64 exec, exec, s[40:41]
	global_load_ubyte v42, v[37:38], off offset:1280
	v_mov_b32_e32 v55, 0
	v_mov_b32_e32 v56, 0
	s_waitcnt vmcnt(0)
	v_cmp_ne_u16_e64 s[4:5], 0, v42
	s_and_saveexec_b64 s[40:41], s[4:5]
	s_cbranch_execz .LBB170_145
; %bb.140:                              ;   in Loop: Header=BB170_14 Depth=1
	v_cmp_ne_u16_e64 s[4:5], s52, v42
	v_bfrev_b32_e32 v56, 1
	s_and_saveexec_b64 s[42:43], s[4:5]
	s_cbranch_execz .LBB170_144
; %bb.141:                              ;   in Loop: Header=BB170_14 Depth=1
	v_and_b32_e32 v39, 0xffff, v42
	v_and_b32_e32 v43, 0x7f, v39
	v_cmp_ne_u32_e64 s[4:5], s53, v43
	v_mov_b32_e32 v56, 0x7f800001
	s_and_saveexec_b64 s[44:45], s[4:5]
	s_cbranch_execz .LBB170_143
; %bb.142:                              ;   in Loop: Header=BB170_14 Depth=1
	v_and_b32_e32 v1, 7, v39
	v_ffbh_u32_e32 v3, v1
	v_min_u32_e32 v3, 32, v3
	v_subrev_u32_e32 v4, 28, v3
	v_lshrrev_b32_e32 v2, 3, v43
	v_cmp_gt_u32_e64 s[4:5], 8, v43
	v_lshlrev_b64 v[43:44], v4, v[39:40]
	v_sub_u32_e32 v3, 29, v3
	v_and_b32_e32 v4, 7, v43
	v_cndmask_b32_e64 v2, v2, v3, s[4:5]
	v_cndmask_b32_e64 v1, v1, v4, s[4:5]
	v_lshlrev_b32_e32 v3, 24, v42
	v_bfrev_b32_e32 v4, 60
	v_lshlrev_b32_e32 v1, 20, v1
	v_and_b32_e32 v3, 0x80000000, v3
	v_lshl_add_u32 v2, v2, 23, v4
	v_or3_b32 v56, v3, v2, v1
.LBB170_143:                            ;   in Loop: Header=BB170_14 Depth=1
	s_or_b64 exec, exec, s[44:45]
.LBB170_144:                            ;   in Loop: Header=BB170_14 Depth=1
	s_or_b64 exec, exec, s[42:43]
.LBB170_145:                            ;   in Loop: Header=BB170_14 Depth=1
	s_or_b64 exec, exec, s[40:41]
	global_load_ubyte v42, v[37:38], off offset:1288
	s_waitcnt vmcnt(0)
	v_cmp_ne_u16_e64 s[4:5], 0, v42
	s_and_saveexec_b64 s[40:41], s[4:5]
	s_cbranch_execz .LBB170_151
; %bb.146:                              ;   in Loop: Header=BB170_14 Depth=1
	v_cmp_ne_u16_e64 s[4:5], s52, v42
	v_bfrev_b32_e32 v55, 1
	s_and_saveexec_b64 s[42:43], s[4:5]
	s_cbranch_execz .LBB170_150
; %bb.147:                              ;   in Loop: Header=BB170_14 Depth=1
	v_and_b32_e32 v39, 0xffff, v42
	v_and_b32_e32 v43, 0x7f, v39
	v_cmp_ne_u32_e64 s[4:5], s53, v43
	v_mov_b32_e32 v55, 0x7f800001
	s_and_saveexec_b64 s[44:45], s[4:5]
	s_cbranch_execz .LBB170_149
; %bb.148:                              ;   in Loop: Header=BB170_14 Depth=1
	v_and_b32_e32 v1, 7, v39
	v_ffbh_u32_e32 v3, v1
	v_min_u32_e32 v3, 32, v3
	v_subrev_u32_e32 v4, 28, v3
	v_lshrrev_b32_e32 v2, 3, v43
	v_cmp_gt_u32_e64 s[4:5], 8, v43
	v_lshlrev_b64 v[43:44], v4, v[39:40]
	v_sub_u32_e32 v3, 29, v3
	v_and_b32_e32 v4, 7, v43
	v_cndmask_b32_e64 v2, v2, v3, s[4:5]
	v_cndmask_b32_e64 v1, v1, v4, s[4:5]
	v_lshlrev_b32_e32 v3, 24, v42
	v_bfrev_b32_e32 v4, 60
	v_lshlrev_b32_e32 v1, 20, v1
	v_and_b32_e32 v3, 0x80000000, v3
	v_lshl_add_u32 v2, v2, 23, v4
	v_or3_b32 v55, v3, v2, v1
.LBB170_149:                            ;   in Loop: Header=BB170_14 Depth=1
	s_or_b64 exec, exec, s[44:45]
.LBB170_150:                            ;   in Loop: Header=BB170_14 Depth=1
	s_or_b64 exec, exec, s[42:43]
.LBB170_151:                            ;   in Loop: Header=BB170_14 Depth=1
	s_or_b64 exec, exec, s[40:41]
	global_load_ubyte v42, v[37:38], off offset:1408
	v_mov_b32_e32 v53, 0
	v_mov_b32_e32 v57, 0
	s_waitcnt vmcnt(0)
	v_cmp_ne_u16_e64 s[4:5], 0, v42
	s_and_saveexec_b64 s[40:41], s[4:5]
	s_cbranch_execz .LBB170_157
; %bb.152:                              ;   in Loop: Header=BB170_14 Depth=1
	v_cmp_ne_u16_e64 s[4:5], s52, v42
	v_bfrev_b32_e32 v57, 1
	s_and_saveexec_b64 s[42:43], s[4:5]
	s_cbranch_execz .LBB170_156
; %bb.153:                              ;   in Loop: Header=BB170_14 Depth=1
	v_and_b32_e32 v39, 0xffff, v42
	v_and_b32_e32 v43, 0x7f, v39
	v_cmp_ne_u32_e64 s[4:5], s53, v43
	v_mov_b32_e32 v57, 0x7f800001
	s_and_saveexec_b64 s[44:45], s[4:5]
	s_cbranch_execz .LBB170_155
; %bb.154:                              ;   in Loop: Header=BB170_14 Depth=1
	v_and_b32_e32 v1, 7, v39
	v_ffbh_u32_e32 v3, v1
	v_min_u32_e32 v3, 32, v3
	v_subrev_u32_e32 v4, 28, v3
	v_lshrrev_b32_e32 v2, 3, v43
	v_cmp_gt_u32_e64 s[4:5], 8, v43
	v_lshlrev_b64 v[43:44], v4, v[39:40]
	v_sub_u32_e32 v3, 29, v3
	v_and_b32_e32 v4, 7, v43
	v_cndmask_b32_e64 v2, v2, v3, s[4:5]
	v_cndmask_b32_e64 v1, v1, v4, s[4:5]
	v_lshlrev_b32_e32 v3, 24, v42
	v_bfrev_b32_e32 v4, 60
	v_lshlrev_b32_e32 v1, 20, v1
	v_and_b32_e32 v3, 0x80000000, v3
	v_lshl_add_u32 v2, v2, 23, v4
	v_or3_b32 v57, v3, v2, v1
.LBB170_155:                            ;   in Loop: Header=BB170_14 Depth=1
	s_or_b64 exec, exec, s[44:45]
.LBB170_156:                            ;   in Loop: Header=BB170_14 Depth=1
	s_or_b64 exec, exec, s[42:43]
.LBB170_157:                            ;   in Loop: Header=BB170_14 Depth=1
	s_or_b64 exec, exec, s[40:41]
	global_load_ubyte v42, v[37:38], off offset:1416
	s_waitcnt vmcnt(0)
	v_cmp_ne_u16_e64 s[4:5], 0, v42
	s_and_saveexec_b64 s[40:41], s[4:5]
	s_cbranch_execz .LBB170_163
; %bb.158:                              ;   in Loop: Header=BB170_14 Depth=1
	v_cmp_ne_u16_e64 s[4:5], s52, v42
	v_bfrev_b32_e32 v53, 1
	s_and_saveexec_b64 s[42:43], s[4:5]
	s_cbranch_execz .LBB170_162
; %bb.159:                              ;   in Loop: Header=BB170_14 Depth=1
	v_and_b32_e32 v39, 0xffff, v42
	v_and_b32_e32 v43, 0x7f, v39
	v_cmp_ne_u32_e64 s[4:5], s53, v43
	v_mov_b32_e32 v53, 0x7f800001
	s_and_saveexec_b64 s[44:45], s[4:5]
	s_cbranch_execz .LBB170_161
; %bb.160:                              ;   in Loop: Header=BB170_14 Depth=1
	v_and_b32_e32 v1, 7, v39
	v_ffbh_u32_e32 v3, v1
	v_min_u32_e32 v3, 32, v3
	v_subrev_u32_e32 v4, 28, v3
	v_lshrrev_b32_e32 v2, 3, v43
	v_cmp_gt_u32_e64 s[4:5], 8, v43
	v_lshlrev_b64 v[43:44], v4, v[39:40]
	v_sub_u32_e32 v3, 29, v3
	v_and_b32_e32 v4, 7, v43
	v_cndmask_b32_e64 v2, v2, v3, s[4:5]
	v_cndmask_b32_e64 v1, v1, v4, s[4:5]
	v_lshlrev_b32_e32 v3, 24, v42
	v_bfrev_b32_e32 v4, 60
	v_lshlrev_b32_e32 v1, 20, v1
	v_and_b32_e32 v3, 0x80000000, v3
	v_lshl_add_u32 v2, v2, 23, v4
	v_or3_b32 v53, v3, v2, v1
.LBB170_161:                            ;   in Loop: Header=BB170_14 Depth=1
	s_or_b64 exec, exec, s[44:45]
.LBB170_162:                            ;   in Loop: Header=BB170_14 Depth=1
	s_or_b64 exec, exec, s[42:43]
.LBB170_163:                            ;   in Loop: Header=BB170_14 Depth=1
	s_or_b64 exec, exec, s[40:41]
	global_load_ubyte v42, v[37:38], off offset:1536
	v_mov_b32_e32 v58, 0
	v_mov_b32_e32 v59, 0
	s_waitcnt vmcnt(0)
	v_cmp_ne_u16_e64 s[4:5], 0, v42
	s_and_saveexec_b64 s[40:41], s[4:5]
	s_cbranch_execz .LBB170_169
; %bb.164:                              ;   in Loop: Header=BB170_14 Depth=1
	v_cmp_ne_u16_e64 s[4:5], s52, v42
	v_bfrev_b32_e32 v59, 1
	s_and_saveexec_b64 s[42:43], s[4:5]
	s_cbranch_execz .LBB170_168
; %bb.165:                              ;   in Loop: Header=BB170_14 Depth=1
	v_and_b32_e32 v39, 0xffff, v42
	v_and_b32_e32 v43, 0x7f, v39
	v_cmp_ne_u32_e64 s[4:5], s53, v43
	v_mov_b32_e32 v59, 0x7f800001
	s_and_saveexec_b64 s[44:45], s[4:5]
	s_cbranch_execz .LBB170_167
; %bb.166:                              ;   in Loop: Header=BB170_14 Depth=1
	v_and_b32_e32 v1, 7, v39
	v_ffbh_u32_e32 v3, v1
	v_min_u32_e32 v3, 32, v3
	v_subrev_u32_e32 v4, 28, v3
	v_lshrrev_b32_e32 v2, 3, v43
	v_cmp_gt_u32_e64 s[4:5], 8, v43
	v_lshlrev_b64 v[43:44], v4, v[39:40]
	v_sub_u32_e32 v3, 29, v3
	v_and_b32_e32 v4, 7, v43
	v_cndmask_b32_e64 v2, v2, v3, s[4:5]
	v_cndmask_b32_e64 v1, v1, v4, s[4:5]
	v_lshlrev_b32_e32 v3, 24, v42
	v_bfrev_b32_e32 v4, 60
	v_lshlrev_b32_e32 v1, 20, v1
	v_and_b32_e32 v3, 0x80000000, v3
	v_lshl_add_u32 v2, v2, 23, v4
	v_or3_b32 v59, v3, v2, v1
.LBB170_167:                            ;   in Loop: Header=BB170_14 Depth=1
	s_or_b64 exec, exec, s[44:45]
.LBB170_168:                            ;   in Loop: Header=BB170_14 Depth=1
	s_or_b64 exec, exec, s[42:43]
.LBB170_169:                            ;   in Loop: Header=BB170_14 Depth=1
	s_or_b64 exec, exec, s[40:41]
	global_load_ubyte v42, v[37:38], off offset:1544
	s_waitcnt vmcnt(0)
	v_cmp_ne_u16_e64 s[4:5], 0, v42
	s_and_saveexec_b64 s[40:41], s[4:5]
	s_cbranch_execz .LBB170_175
; %bb.170:                              ;   in Loop: Header=BB170_14 Depth=1
	v_cmp_ne_u16_e64 s[4:5], s52, v42
	v_bfrev_b32_e32 v58, 1
	s_and_saveexec_b64 s[42:43], s[4:5]
	s_cbranch_execz .LBB170_174
; %bb.171:                              ;   in Loop: Header=BB170_14 Depth=1
	v_and_b32_e32 v39, 0xffff, v42
	v_and_b32_e32 v43, 0x7f, v39
	v_cmp_ne_u32_e64 s[4:5], s53, v43
	v_mov_b32_e32 v58, 0x7f800001
	s_and_saveexec_b64 s[44:45], s[4:5]
	s_cbranch_execz .LBB170_173
; %bb.172:                              ;   in Loop: Header=BB170_14 Depth=1
	v_and_b32_e32 v1, 7, v39
	v_ffbh_u32_e32 v3, v1
	v_min_u32_e32 v3, 32, v3
	v_subrev_u32_e32 v4, 28, v3
	v_lshrrev_b32_e32 v2, 3, v43
	v_cmp_gt_u32_e64 s[4:5], 8, v43
	v_lshlrev_b64 v[43:44], v4, v[39:40]
	v_sub_u32_e32 v3, 29, v3
	v_and_b32_e32 v4, 7, v43
	v_cndmask_b32_e64 v2, v2, v3, s[4:5]
	v_cndmask_b32_e64 v1, v1, v4, s[4:5]
	v_lshlrev_b32_e32 v3, 24, v42
	v_bfrev_b32_e32 v4, 60
	v_lshlrev_b32_e32 v1, 20, v1
	v_and_b32_e32 v3, 0x80000000, v3
	v_lshl_add_u32 v2, v2, 23, v4
	v_or3_b32 v58, v3, v2, v1
.LBB170_173:                            ;   in Loop: Header=BB170_14 Depth=1
	s_or_b64 exec, exec, s[44:45]
.LBB170_174:                            ;   in Loop: Header=BB170_14 Depth=1
	s_or_b64 exec, exec, s[42:43]
.LBB170_175:                            ;   in Loop: Header=BB170_14 Depth=1
	s_or_b64 exec, exec, s[40:41]
	global_load_ubyte v42, v[37:38], off offset:1664
	v_mov_b32_e32 v60, 0
	v_mov_b32_e32 v61, 0
	s_waitcnt vmcnt(0)
	v_cmp_ne_u16_e64 s[4:5], 0, v42
	s_and_saveexec_b64 s[40:41], s[4:5]
	s_cbranch_execz .LBB170_181
; %bb.176:                              ;   in Loop: Header=BB170_14 Depth=1
	v_cmp_ne_u16_e64 s[4:5], s52, v42
	v_bfrev_b32_e32 v61, 1
	s_and_saveexec_b64 s[42:43], s[4:5]
	s_cbranch_execz .LBB170_180
; %bb.177:                              ;   in Loop: Header=BB170_14 Depth=1
	v_and_b32_e32 v39, 0xffff, v42
	v_and_b32_e32 v43, 0x7f, v39
	v_cmp_ne_u32_e64 s[4:5], s53, v43
	v_mov_b32_e32 v61, 0x7f800001
	s_and_saveexec_b64 s[44:45], s[4:5]
	s_cbranch_execz .LBB170_179
; %bb.178:                              ;   in Loop: Header=BB170_14 Depth=1
	v_and_b32_e32 v1, 7, v39
	v_ffbh_u32_e32 v3, v1
	v_min_u32_e32 v3, 32, v3
	v_subrev_u32_e32 v4, 28, v3
	v_lshrrev_b32_e32 v2, 3, v43
	v_cmp_gt_u32_e64 s[4:5], 8, v43
	v_lshlrev_b64 v[43:44], v4, v[39:40]
	v_sub_u32_e32 v3, 29, v3
	v_and_b32_e32 v4, 7, v43
	v_cndmask_b32_e64 v2, v2, v3, s[4:5]
	v_cndmask_b32_e64 v1, v1, v4, s[4:5]
	v_lshlrev_b32_e32 v3, 24, v42
	v_bfrev_b32_e32 v4, 60
	v_lshlrev_b32_e32 v1, 20, v1
	v_and_b32_e32 v3, 0x80000000, v3
	v_lshl_add_u32 v2, v2, 23, v4
	v_or3_b32 v61, v3, v2, v1
.LBB170_179:                            ;   in Loop: Header=BB170_14 Depth=1
	s_or_b64 exec, exec, s[44:45]
.LBB170_180:                            ;   in Loop: Header=BB170_14 Depth=1
	s_or_b64 exec, exec, s[42:43]
.LBB170_181:                            ;   in Loop: Header=BB170_14 Depth=1
	s_or_b64 exec, exec, s[40:41]
	global_load_ubyte v42, v[37:38], off offset:1672
	s_waitcnt vmcnt(0)
	v_cmp_ne_u16_e64 s[4:5], 0, v42
	s_and_saveexec_b64 s[40:41], s[4:5]
	s_cbranch_execz .LBB170_187
; %bb.182:                              ;   in Loop: Header=BB170_14 Depth=1
	v_cmp_ne_u16_e64 s[4:5], s52, v42
	v_bfrev_b32_e32 v60, 1
	s_and_saveexec_b64 s[42:43], s[4:5]
	s_cbranch_execz .LBB170_186
; %bb.183:                              ;   in Loop: Header=BB170_14 Depth=1
	v_and_b32_e32 v39, 0xffff, v42
	v_and_b32_e32 v43, 0x7f, v39
	v_cmp_ne_u32_e64 s[4:5], s53, v43
	v_mov_b32_e32 v60, 0x7f800001
	s_and_saveexec_b64 s[44:45], s[4:5]
	s_cbranch_execz .LBB170_185
; %bb.184:                              ;   in Loop: Header=BB170_14 Depth=1
	v_and_b32_e32 v1, 7, v39
	v_ffbh_u32_e32 v3, v1
	v_min_u32_e32 v3, 32, v3
	v_subrev_u32_e32 v4, 28, v3
	v_lshrrev_b32_e32 v2, 3, v43
	v_cmp_gt_u32_e64 s[4:5], 8, v43
	v_lshlrev_b64 v[43:44], v4, v[39:40]
	v_sub_u32_e32 v3, 29, v3
	v_and_b32_e32 v4, 7, v43
	v_cndmask_b32_e64 v2, v2, v3, s[4:5]
	v_cndmask_b32_e64 v1, v1, v4, s[4:5]
	v_lshlrev_b32_e32 v3, 24, v42
	v_bfrev_b32_e32 v4, 60
	v_lshlrev_b32_e32 v1, 20, v1
	v_and_b32_e32 v3, 0x80000000, v3
	v_lshl_add_u32 v2, v2, 23, v4
	v_or3_b32 v60, v3, v2, v1
.LBB170_185:                            ;   in Loop: Header=BB170_14 Depth=1
	s_or_b64 exec, exec, s[44:45]
.LBB170_186:                            ;   in Loop: Header=BB170_14 Depth=1
	s_or_b64 exec, exec, s[42:43]
.LBB170_187:                            ;   in Loop: Header=BB170_14 Depth=1
	s_or_b64 exec, exec, s[40:41]
	global_load_ubyte v42, v[37:38], off offset:1792
	v_mov_b32_e32 v62, 0
	v_mov_b32_e32 v63, 0
	s_waitcnt vmcnt(0)
	v_cmp_ne_u16_e64 s[4:5], 0, v42
	s_and_saveexec_b64 s[40:41], s[4:5]
	s_cbranch_execz .LBB170_193
; %bb.188:                              ;   in Loop: Header=BB170_14 Depth=1
	v_cmp_ne_u16_e64 s[4:5], s52, v42
	v_bfrev_b32_e32 v63, 1
	s_and_saveexec_b64 s[42:43], s[4:5]
	s_cbranch_execz .LBB170_192
; %bb.189:                              ;   in Loop: Header=BB170_14 Depth=1
	v_and_b32_e32 v39, 0xffff, v42
	v_and_b32_e32 v43, 0x7f, v39
	v_cmp_ne_u32_e64 s[4:5], s53, v43
	v_mov_b32_e32 v63, 0x7f800001
	s_and_saveexec_b64 s[44:45], s[4:5]
	s_cbranch_execz .LBB170_191
; %bb.190:                              ;   in Loop: Header=BB170_14 Depth=1
	v_and_b32_e32 v1, 7, v39
	v_ffbh_u32_e32 v3, v1
	v_min_u32_e32 v3, 32, v3
	v_subrev_u32_e32 v4, 28, v3
	v_lshrrev_b32_e32 v2, 3, v43
	v_cmp_gt_u32_e64 s[4:5], 8, v43
	v_lshlrev_b64 v[43:44], v4, v[39:40]
	v_sub_u32_e32 v3, 29, v3
	v_and_b32_e32 v4, 7, v43
	v_cndmask_b32_e64 v2, v2, v3, s[4:5]
	v_cndmask_b32_e64 v1, v1, v4, s[4:5]
	v_lshlrev_b32_e32 v3, 24, v42
	v_bfrev_b32_e32 v4, 60
	v_lshlrev_b32_e32 v1, 20, v1
	v_and_b32_e32 v3, 0x80000000, v3
	v_lshl_add_u32 v2, v2, 23, v4
	v_or3_b32 v63, v3, v2, v1
.LBB170_191:                            ;   in Loop: Header=BB170_14 Depth=1
	s_or_b64 exec, exec, s[44:45]
.LBB170_192:                            ;   in Loop: Header=BB170_14 Depth=1
	s_or_b64 exec, exec, s[42:43]
.LBB170_193:                            ;   in Loop: Header=BB170_14 Depth=1
	s_or_b64 exec, exec, s[40:41]
	global_load_ubyte v42, v[37:38], off offset:1800
	s_waitcnt vmcnt(0)
	v_cmp_ne_u16_e64 s[4:5], 0, v42
	s_and_saveexec_b64 s[40:41], s[4:5]
	s_cbranch_execz .LBB170_199
; %bb.194:                              ;   in Loop: Header=BB170_14 Depth=1
	v_cmp_ne_u16_e64 s[4:5], s52, v42
	v_bfrev_b32_e32 v62, 1
	s_and_saveexec_b64 s[42:43], s[4:5]
	s_cbranch_execz .LBB170_198
; %bb.195:                              ;   in Loop: Header=BB170_14 Depth=1
	v_and_b32_e32 v39, 0xffff, v42
	v_and_b32_e32 v43, 0x7f, v39
	v_cmp_ne_u32_e64 s[4:5], s53, v43
	v_mov_b32_e32 v62, 0x7f800001
	s_and_saveexec_b64 s[44:45], s[4:5]
	s_cbranch_execz .LBB170_197
; %bb.196:                              ;   in Loop: Header=BB170_14 Depth=1
	v_and_b32_e32 v1, 7, v39
	v_ffbh_u32_e32 v3, v1
	v_min_u32_e32 v3, 32, v3
	v_subrev_u32_e32 v4, 28, v3
	v_lshrrev_b32_e32 v2, 3, v43
	v_cmp_gt_u32_e64 s[4:5], 8, v43
	v_lshlrev_b64 v[43:44], v4, v[39:40]
	v_sub_u32_e32 v3, 29, v3
	v_and_b32_e32 v4, 7, v43
	v_cndmask_b32_e64 v2, v2, v3, s[4:5]
	v_cndmask_b32_e64 v1, v1, v4, s[4:5]
	v_lshlrev_b32_e32 v3, 24, v42
	v_bfrev_b32_e32 v4, 60
	v_lshlrev_b32_e32 v1, 20, v1
	v_and_b32_e32 v3, 0x80000000, v3
	v_lshl_add_u32 v2, v2, 23, v4
	v_or3_b32 v62, v3, v2, v1
.LBB170_197:                            ;   in Loop: Header=BB170_14 Depth=1
	s_or_b64 exec, exec, s[44:45]
.LBB170_198:                            ;   in Loop: Header=BB170_14 Depth=1
	s_or_b64 exec, exec, s[42:43]
.LBB170_199:                            ;   in Loop: Header=BB170_14 Depth=1
	s_or_b64 exec, exec, s[40:41]
	global_load_ubyte v44, v[37:38], off offset:1920
	v_mov_b32_e32 v43, 0
	v_mov_b32_e32 v42, 0
	s_waitcnt vmcnt(0)
	v_cmp_ne_u16_e64 s[4:5], 0, v44
	s_and_saveexec_b64 s[40:41], s[4:5]
	s_cbranch_execz .LBB170_205
; %bb.200:                              ;   in Loop: Header=BB170_14 Depth=1
	v_cmp_ne_u16_e64 s[4:5], s52, v44
	v_bfrev_b32_e32 v42, 1
	s_and_saveexec_b64 s[42:43], s[4:5]
	s_cbranch_execz .LBB170_204
; %bb.201:                              ;   in Loop: Header=BB170_14 Depth=1
	v_and_b32_e32 v39, 0xffff, v44
	v_and_b32_e32 v45, 0x7f, v39
	v_cmp_ne_u32_e64 s[4:5], s53, v45
	v_mov_b32_e32 v42, 0x7f800001
	s_and_saveexec_b64 s[44:45], s[4:5]
	s_cbranch_execz .LBB170_203
; %bb.202:                              ;   in Loop: Header=BB170_14 Depth=1
	v_and_b32_e32 v3, 7, v39
	v_ffbh_u32_e32 v1, v3
	v_min_u32_e32 v42, 32, v1
	v_subrev_u32_e32 v1, 28, v42
	v_lshlrev_b64 v[1:2], v1, v[39:40]
	v_lshrrev_b32_e32 v4, 3, v45
	v_cmp_gt_u32_e64 s[4:5], 8, v45
	v_sub_u32_e32 v2, 29, v42
	v_and_b32_e32 v1, 7, v1
	v_cndmask_b32_e64 v2, v4, v2, s[4:5]
	v_cndmask_b32_e64 v1, v3, v1, s[4:5]
	v_lshlrev_b32_e32 v3, 24, v44
	v_bfrev_b32_e32 v4, 60
	v_lshlrev_b32_e32 v1, 20, v1
	v_and_b32_e32 v3, 0x80000000, v3
	v_lshl_add_u32 v2, v2, 23, v4
	v_or3_b32 v42, v3, v2, v1
.LBB170_203:                            ;   in Loop: Header=BB170_14 Depth=1
	s_or_b64 exec, exec, s[44:45]
.LBB170_204:                            ;   in Loop: Header=BB170_14 Depth=1
	s_or_b64 exec, exec, s[42:43]
.LBB170_205:                            ;   in Loop: Header=BB170_14 Depth=1
	s_or_b64 exec, exec, s[40:41]
	global_load_ubyte v38, v[37:38], off offset:1928
	s_waitcnt vmcnt(0)
	v_cmp_ne_u16_e64 s[4:5], 0, v38
	s_and_saveexec_b64 s[40:41], s[4:5]
	s_cbranch_execz .LBB170_211
; %bb.206:                              ;   in Loop: Header=BB170_14 Depth=1
	v_cmp_ne_u16_e64 s[4:5], s52, v38
	v_bfrev_b32_e32 v43, 1
	s_and_saveexec_b64 s[42:43], s[4:5]
	s_cbranch_execz .LBB170_210
; %bb.207:                              ;   in Loop: Header=BB170_14 Depth=1
	v_and_b32_e32 v37, 0xffff, v38
	v_and_b32_e32 v39, 0x7f, v37
	v_cmp_ne_u32_e64 s[4:5], s53, v39
	v_mov_b32_e32 v43, 0x7f800001
	s_and_saveexec_b64 s[44:45], s[4:5]
	s_cbranch_execz .LBB170_209
; %bb.208:                              ;   in Loop: Header=BB170_14 Depth=1
	v_and_b32_e32 v3, 7, v37
	v_ffbh_u32_e32 v1, v3
	v_lshrrev_b32_e32 v4, 3, v39
	v_cmp_gt_u32_e64 s[4:5], 8, v39
	v_min_u32_e32 v39, 32, v1
	v_subrev_u32_e32 v1, 28, v39
	v_lshlrev_b64 v[1:2], v1, v[37:38]
	v_sub_u32_e32 v2, 29, v39
	v_and_b32_e32 v1, 7, v1
	v_cndmask_b32_e64 v2, v4, v2, s[4:5]
	v_cndmask_b32_e64 v1, v3, v1, s[4:5]
	v_lshlrev_b32_e32 v3, 24, v38
	v_bfrev_b32_e32 v4, 60
	v_lshlrev_b32_e32 v1, 20, v1
	v_and_b32_e32 v3, 0x80000000, v3
	v_lshl_add_u32 v2, v2, 23, v4
	v_or3_b32 v43, v3, v2, v1
.LBB170_209:                            ;   in Loop: Header=BB170_14 Depth=1
	s_or_b64 exec, exec, s[44:45]
.LBB170_210:                            ;   in Loop: Header=BB170_14 Depth=1
	s_or_b64 exec, exec, s[42:43]
.LBB170_211:                            ;   in Loop: Header=BB170_14 Depth=1
	s_or_b64 exec, exec, s[40:41]
	buffer_load_dword v1, off, s[56:59], 0  ; 4-byte Folded Reload
	v_mul_f32_e32 v2, s54, v50
	v_mul_f32_e32 v37, s54, v60
	v_mul_f32_e32 v39, s54, v58
	buffer_load_dword v50, off, s[56:59], 0 offset:44 ; 4-byte Folded Reload
	buffer_load_dword v58, off, s[56:59], 0 offset:28 ; 4-byte Folded Reload
	;; [unrolled: 1-line block ×3, first 2 shown]
	v_mul_f32_e32 v4, s54, v48
	buffer_load_dword v48, off, s[56:59], 0 offset:40 ; 4-byte Folded Reload
	v_mul_f32_e32 v3, s54, v52
	buffer_load_dword v45, off, s[56:59], 0 offset:48 ; 4-byte Folded Reload
	buffer_load_dword v52, off, s[56:59], 0 offset:32 ; 4-byte Folded Reload
	v_mul_f32_e32 v44, s54, v47
	buffer_load_dword v47, off, s[56:59], 0 offset:52 ; 4-byte Folded Reload
	v_mul_f32_e32 v34, s54, v34
	v_mul_f32_e32 v33, s54, v33
	;; [unrolled: 1-line block ×7, first 2 shown]
	s_waitcnt vmcnt(7)
	v_mul_f32_e32 v1, s54, v1
	v_mul_f32_e32 v30, v30, v1
	buffer_load_dword v1, off, s[56:59], 0 offset:8 ; 4-byte Folded Reload
	v_fmac_f32_e32 v30, v29, v2
	v_mul_f32_e32 v2, s54, v56
	buffer_load_dword v56, off, s[56:59], 0 offset:24 ; 4-byte Folded Reload
	v_mul_f32_e32 v29, s54, v42
	v_mul_f32_e32 v42, s54, v59
	s_waitcnt vmcnt(6)
	v_mul_f32_e32 v60, s54, v60
	v_mul_f32_e32 v58, s54, v58
	;; [unrolled: 1-line block ×3, first 2 shown]
	s_waitcnt vmcnt(5)
	v_mul_f32_e32 v48, s54, v48
	s_waitcnt vmcnt(4)
	v_mul_f32_e32 v45, s54, v45
	buffer_load_dword v59, off, s[56:59], 0 offset:20 ; 4-byte Folded Reload
	s_waitcnt vmcnt(4)
	v_mul_f32_e32 v52, s54, v52
	s_waitcnt vmcnt(2)
	v_mul_f32_e32 v1, s54, v1
	v_fmac_f32_e32 v30, v31, v1
	buffer_load_dword v1, off, s[56:59], 0 offset:4 ; 4-byte Folded Reload
	s_waitcnt vmcnt(2)
	v_mul_f32_e32 v56, s54, v56
	v_mul_f32_e32 v31, s54, v62
	s_waitcnt vmcnt(1)
	v_mul_f32_e32 v59, s54, v59
	s_waitcnt vmcnt(0)
	v_mul_f32_e32 v1, s54, v1
	v_fmac_f32_e32 v30, v32, v1
	v_mul_f32_e32 v32, s54, v63
	v_mul_f32_e32 v1, s54, v55
	buffer_load_dword v63, off, s[56:59], 0 offset:88 ; 4-byte Folded Reload
	buffer_load_dword v55, off, s[56:59], 0 offset:36 ; 4-byte Folded Reload
	v_fmac_f32_e32 v30, v25, v60
	v_fmac_f32_e32 v30, v26, v59
	;; [unrolled: 1-line block ×4, first 2 shown]
	v_mul_f32_e32 v47, s54, v47
	s_waitcnt vmcnt(1)
	v_and_b32_e32 v61, 64, v63
	s_waitcnt vmcnt(0)
	v_mul_f32_e32 v55, s54, v55
	v_fmac_f32_e32 v30, v21, v55
	v_fmac_f32_e32 v30, v22, v52
	;; [unrolled: 1-line block ×14, first 2 shown]
	buffer_load_dword v0, off, s[56:59], 0 offset:60 ; 4-byte Folded Reload
	buffer_load_dword v1, off, s[56:59], 0 offset:64 ; 4-byte Folded Reload
	;; [unrolled: 1-line block ×4, first 2 shown]
	v_fmac_f32_e32 v30, v11, v57
	v_fmac_f32_e32 v30, v12, v53
	;; [unrolled: 1-line block ×6, first 2 shown]
	v_add_u32_e32 v61, 64, v61
	v_xor_b32_e32 v62, 4, v63
	v_cmp_lt_i32_e64 s[4:5], v62, v61
	v_cndmask_b32_e64 v62, v63, v62, s[4:5]
	v_lshlrev_b32_e32 v62, 2, v62
	s_waitcnt vmcnt(3)
	v_fmac_f32_e32 v30, v0, v32
	s_waitcnt vmcnt(2)
	v_fmac_f32_e32 v30, v1, v31
	;; [unrolled: 2-line block ×4, first 2 shown]
	ds_bpermute_b32 v0, v62, v30
	v_xor_b32_e32 v1, 2, v63
	v_cmp_lt_i32_e64 s[4:5], v1, v61
	v_cndmask_b32_e64 v1, v63, v1, s[4:5]
	v_lshlrev_b32_e32 v1, 2, v1
	s_waitcnt lgkmcnt(0)
	v_add_f32_e32 v0, v30, v0
	ds_bpermute_b32 v1, v1, v0
	v_xor_b32_e32 v2, 1, v63
	v_cmp_lt_i32_e64 s[4:5], v2, v61
	v_cndmask_b32_e64 v2, v63, v2, s[4:5]
	v_lshlrev_b32_e32 v2, 2, v2
	s_waitcnt lgkmcnt(0)
	v_add_f32_e32 v0, v0, v1
	ds_bpermute_b32 v1, v2, v0
	s_and_saveexec_b64 s[40:41], vcc
	s_cbranch_execz .LBB170_12
; %bb.212:                              ;   in Loop: Header=BB170_14 Depth=1
	buffer_load_dword v2, off, s[56:59], 0 offset:96 ; 4-byte Folded Reload
	buffer_load_dword v3, off, s[56:59], 0 offset:92 ; 4-byte Folded Reload
	s_waitcnt lgkmcnt(0)
	v_add_f32_e32 v0, v0, v1
	s_waitcnt vmcnt(1)
	v_add_u32_e32 v2, v2, v49
	v_cvt_f32_i32_e32 v2, v2
	v_mul_f32_e32 v1, s48, v2
	buffer_load_dword v2, off, s[56:59], 0 offset:76 ; 4-byte Folded Reload
	s_waitcnt vmcnt(1)
	v_add_u32_e32 v3, v3, v49
	v_cndmask_b32_e64 v1, 0, v1, s[2:3]
	v_fmac_f32_e32 v1, s37, v0
	v_cmp_gt_i32_e64 s[4:5], s33, v3
	v_cndmask_b32_e64 v0, 0, v1, s[4:5]
	ds_write_b32 v51, v0
	s_waitcnt vmcnt(0)
	v_max_f32_e32 v0, v2, v2
	v_max_f32_e32 v0, v0, v1
	v_cndmask_b32_e64 v2, v2, v0, s[4:5]
	buffer_store_dword v2, off, s[56:59], 0 offset:76 ; 4-byte Folded Spill
	s_branch .LBB170_12
.LBB170_213:
	s_or_b64 exec, exec, s[38:39]
	buffer_load_dword v12, off, s[56:59], 0 offset:100 ; 4-byte Folded Reload
	buffer_load_dword v13, off, s[56:59], 0 offset:104 ; 4-byte Folded Reload
	;; [unrolled: 1-line block ×4, first 2 shown]
	v_mbcnt_lo_u32_b32 v5, -1, 0
.LBB170_214:
	s_or_b64 exec, exec, s[18:19]
	v_mbcnt_hi_u32_b32 v0, -1, v5
	v_and_b32_e32 v7, 64, v0
	s_waitcnt lgkmcnt(0)
	v_add_u32_e32 v1, 64, v7
	v_xor_b32_e32 v2, 32, v0
	v_cmp_lt_i32_e32 vcc, v2, v1
	v_cndmask_b32_e32 v2, v0, v2, vcc
	v_lshlrev_b32_e32 v3, 2, v2
	s_waitcnt vmcnt(0)
	ds_bpermute_b32 v2, v3, v4
	v_xor_b32_e32 v5, 16, v0
	v_max_f32_e32 v4, v4, v4
	v_cmp_lt_i32_e32 vcc, v5, v1
	v_xor_b32_e32 v6, 8, v0
	s_waitcnt lgkmcnt(0)
	v_max_f32_e32 v2, v2, v2
	v_max_f32_e32 v2, v4, v2
	v_cndmask_b32_e32 v4, v0, v5, vcc
	v_lshlrev_b32_e32 v5, 2, v4
	ds_bpermute_b32 v4, v5, v2
	v_cmp_lt_i32_e32 vcc, v6, v1
	v_and_b32_e32 v14, 63, v12
	s_waitcnt lgkmcnt(0)
	v_max_f32_e32 v4, v4, v4
	v_max_f32_e32 v4, v2, v4
	v_cndmask_b32_e32 v2, v0, v6, vcc
	v_lshlrev_b32_e32 v6, 2, v2
	ds_bpermute_b32 v8, v6, v4
	v_cmp_eq_u32_e32 vcc, 0, v14
	v_lshlrev_b32_e32 v2, 2, v40
	s_and_saveexec_b64 s[2:3], vcc
	s_cbranch_execz .LBB170_216
; %bb.215:
	s_waitcnt lgkmcnt(0)
	v_max_f32_e32 v8, v8, v8
	v_max_f32_e32 v4, v4, v4
	v_max_f32_e32 v4, v4, v8
	ds_write_b32 v2, v4 offset:1024
.LBB170_216:
	s_or_b64 exec, exec, s[2:3]
	v_cmp_gt_u32_e64 s[2:3], 2, v14
	s_waitcnt lgkmcnt(0)
	v_mov_b32_e32 v8, 0xff7fffff
	v_lshlrev_b32_e32 v4, 2, v14
	s_barrier
	s_and_saveexec_b64 s[4:5], s[2:3]
; %bb.217:
	ds_read_b32 v8, v4 offset:1024
; %bb.218:
	s_or_b64 exec, exec, s[4:5]
	v_xor_b32_e32 v9, 1, v0
	v_cmp_lt_i32_e64 s[4:5], v9, v1
	v_cndmask_b32_e64 v9, v0, v9, s[4:5]
	v_lshlrev_b32_e32 v15, 2, v9
	s_waitcnt lgkmcnt(0)
	ds_bpermute_b32 v9, v15, v8
	v_max_f32_e32 v8, v8, v8
	v_lshlrev_b32_e32 v7, 2, v7
	s_lshl_b32 s4, s20, 3
	s_min_i32 s37, s4, s33
	s_waitcnt lgkmcnt(0)
	v_max_f32_e32 v9, v9, v9
	v_max_f32_e32 v8, v8, v9
	ds_bpermute_b32 v8, v7, v8
	v_cmp_gt_i32_e64 s[4:5], s37, v12
	v_mov_b32_e32 v7, 0
	s_and_saveexec_b64 s[12:13], s[4:5]
	s_cbranch_execz .LBB170_222
; %bb.219:
	v_mov_b32_e32 v7, 0x410
	v_lshl_add_u32 v9, v12, 2, v7
	v_mov_b32_e32 v7, 0
	s_mov_b64 s[18:19], 0
	v_mov_b32_e32 v10, v12
.LBB170_220:                            ; =>This Inner Loop Header: Depth=1
	ds_read_b32 v11, v9
	v_add_u32_e32 v10, 0x80, v10
	v_cmp_le_i32_e64 s[6:7], s37, v10
	s_or_b64 s[18:19], s[6:7], s[18:19]
	s_waitcnt lgkmcnt(0)
	v_sub_f32_e32 v11, v11, v8
	v_mul_f32_e32 v11, 0x3fb8aa3b, v11
	v_exp_f32_e32 v11, v11
	ds_write_b32 v9, v11
	v_add_f32_e32 v7, v7, v11
	v_add_u32_e32 v9, 0x200, v9
	s_andn2_b64 exec, exec, s[18:19]
	s_cbranch_execnz .LBB170_220
; %bb.221:
	s_or_b64 exec, exec, s[18:19]
.LBB170_222:
	s_or_b64 exec, exec, s[12:13]
	ds_bpermute_b32 v3, v3, v7
	s_waitcnt lgkmcnt(0)
	v_add_f32_e32 v3, v7, v3
	ds_bpermute_b32 v5, v5, v3
	s_waitcnt lgkmcnt(0)
	v_add_f32_e32 v3, v3, v5
	ds_bpermute_b32 v5, v6, v3
	v_xor_b32_e32 v6, 4, v0
	v_cmp_lt_i32_e64 s[6:7], v6, v1
	v_cndmask_b32_e64 v6, v0, v6, s[6:7]
	v_lshlrev_b32_e32 v6, 2, v6
	s_waitcnt lgkmcnt(0)
	v_add_f32_e32 v3, v3, v5
	ds_bpermute_b32 v5, v6, v3
	v_xor_b32_e32 v6, 2, v0
	v_cmp_lt_i32_e64 s[6:7], v6, v1
	v_cndmask_b32_e64 v1, v0, v6, s[6:7]
	v_lshlrev_b32_e32 v1, 2, v1
	s_waitcnt lgkmcnt(0)
	v_add_f32_e32 v3, v3, v5
	ds_bpermute_b32 v1, v1, v3
	s_waitcnt lgkmcnt(0)
	v_add_f32_e32 v1, v3, v1
	ds_bpermute_b32 v3, v15, v1
	s_waitcnt lgkmcnt(0)
	v_add_f32_e32 v1, v1, v3
	s_and_saveexec_b64 s[6:7], vcc
; %bb.223:
	ds_write_b32 v2, v1 offset:1032
; %bb.224:
	s_or_b64 exec, exec, s[6:7]
	s_waitcnt lgkmcnt(0)
	s_barrier
	s_and_saveexec_b64 s[6:7], s[2:3]
; %bb.225:
	ds_read_b32 v1, v4 offset:1032
; %bb.226:
	s_or_b64 exec, exec, s[6:7]
	s_waitcnt lgkmcnt(0)
	ds_bpermute_b32 v2, v15, v1
	v_lshlrev_b32_e32 v0, 2, v0
	v_and_b32_e32 v0, 0x100, v0
	s_waitcnt lgkmcnt(0)
	v_add_f32_e32 v1, v1, v2
	ds_bpermute_b32 v0, v0, v1
	s_and_saveexec_b64 s[2:3], s[4:5]
	s_cbranch_execz .LBB170_229
; %bb.227:
	s_waitcnt lgkmcnt(0)
	v_add_f32_e32 v1, 0x358637bd, v0
	v_div_scale_f32 v0, s[4:5], v1, v1, 1.0
	v_div_scale_f32 v2, vcc, 1.0, v1, 1.0
	s_mov_b64 s[4:5], 0
	v_rcp_f32_e32 v3, v0
	v_fma_f32 v4, -v0, v3, 1.0
	v_fmac_f32_e32 v3, v4, v3
	v_mul_f32_e32 v4, v2, v3
	v_fma_f32 v5, -v0, v4, v2
	v_fmac_f32_e32 v4, v5, v3
	v_fma_f32 v0, -v0, v4, v2
	v_div_fmas_f32 v2, v0, v3, v4
	v_mov_b32_e32 v0, 0x410
	v_lshl_add_u32 v0, v12, 2, v0
	v_div_fixup_f32 v1, v2, v1, 1.0
	v_mov_b32_e32 v2, v12
.LBB170_228:                            ; =>This Inner Loop Header: Depth=1
	ds_read_b32 v3, v0
	v_add_u32_e32 v2, 0x80, v2
	v_cmp_le_i32_e32 vcc, s37, v2
	s_or_b64 s[4:5], vcc, s[4:5]
	s_waitcnt lgkmcnt(0)
	v_mul_f32_e32 v3, v1, v3
	ds_write_b32 v0, v3
	v_add_u32_e32 v0, 0x200, v0
	s_andn2_b64 exec, exec, s[4:5]
	s_cbranch_execnz .LBB170_228
.LBB170_229:
	s_or_b64 exec, exec, s[2:3]
	v_mov_b32_e32 v34, 0
	v_and_b32_e32 v11, 1, v12
	v_mov_b32_e32 v35, 0
	v_mov_b32_e32 v27, 0
	;; [unrolled: 1-line block ×7, first 2 shown]
	s_waitcnt lgkmcnt(0)
	s_barrier
	s_and_saveexec_b64 s[2:3], s[0:1]
	s_cbranch_execz .LBB170_443
; %bb.230:
	s_sub_i32 s21, s16, s21
	s_ashr_i32 s0, s47, 31
	s_add_u32 s4, s34, s47
	s_addc_u32 s5, s35, s0
	s_abs_i32 s22, s22
	v_cvt_f32_u32_e32 v0, s22
	s_sub_i32 s0, 0, s22
	v_and_b32_e32 v1, 4, v13
	buffer_store_dword v15, off, s[56:59], 0 offset:28 ; 4-byte Folded Spill
	buffer_store_dword v14, off, s[56:59], 0 offset:24 ; 4-byte Folded Spill
	v_rcp_iflag_f32_e32 v0, v0
	buffer_store_dword v1, off, s[56:59], 0 offset:8 ; 4-byte Folded Spill
	v_and_b32_e32 v1, 0xfc, v13
	s_add_i32 s35, s20, -1
	v_mul_f32_e32 v0, 0x4f7ffffe, v0
	v_cvt_u32_f32_e32 v0, v0
	v_mov_b32_e32 v4, s5
	v_add_co_u32_e32 v6, vcc, s4, v1
	v_mul_lo_u32 v3, s0, v0
	s_lshl_b64 s[0:1], s[30:31], 2
	s_add_u32 s0, s28, s0
	v_and_b32_e32 v2, 60, v16
	v_mul_hi_u32 v3, v0, v3
	v_addc_co_u32_e32 v7, vcc, 0, v4, vcc
	s_addc_u32 s1, s29, s1
	v_add_u32_e32 v43, v0, v3
	v_mov_b32_e32 v0, s1
	v_add_co_u32_e32 v9, vcc, s0, v2
	v_addc_co_u32_e32 v10, vcc, 0, v0, vcc
	v_lshlrev_b32_e32 v0, 4, v11
	v_mov_b32_e32 v5, 0
	buffer_store_dword v6, off, s[56:59], 0 offset:12 ; 4-byte Folded Spill
	s_nop 0
	buffer_store_dword v7, off, s[56:59], 0 offset:16 ; 4-byte Folded Spill
	v_lshl_or_b32 v0, v40, 5, v0
	s_mov_b32 s34, s17
	v_add_u32_e32 v37, 0x410, v0
	s_mov_b64 s[4:5], 0
	s_movk_i32 s28, 0x80
	s_movk_i32 s29, 0x7f
	s_brev_b32 s30, 1
	s_mov_b32 s31, 0xffffff
	v_bfrev_b32_e32 v38, 60
	v_bfrev_b32_e32 v6, 1
	v_mov_b32_e32 v12, 0x7f800001
	v_mov_b32_e32 v44, 7
	;; [unrolled: 1-line block ×10, first 2 shown]
	buffer_store_dword v11, off, s[56:59], 0 offset:32 ; 4-byte Folded Spill
	buffer_store_dword v43, off, s[56:59], 0 offset:20 ; 4-byte Folded Spill
	s_branch .LBB170_233
.LBB170_231:                            ;   in Loop: Header=BB170_233 Depth=1
	s_or_b64 exec, exec, s[0:1]
	v_mul_f32_e32 v7, v1, v7
	v_fmac_f32_e32 v7, v2, v42
	v_fmac_f32_e32 v7, v3, v32
	;; [unrolled: 1-line block ×3, first 2 shown]
	v_add_f32_e32 v29, v29, v7
	v_mul_f32_e32 v7, v1, v24
	v_fmac_f32_e32 v7, v2, v0
	v_fmac_f32_e32 v7, v3, v26
	;; [unrolled: 1-line block ×3, first 2 shown]
	v_add_f32_e32 v30, v30, v7
	buffer_load_dword v7, off, s[56:59], 0 offset:4 ; 4-byte Folded Reload
	v_mul_f32_e32 v0, v1, v62
	v_fmac_f32_e32 v0, v2, v59
	v_fmac_f32_e32 v0, v3, v61
	v_fmac_f32_e32 v0, v4, v60
	v_add_f32_e32 v31, v31, v0
	v_mul_f32_e32 v0, v1, v58
	v_fmac_f32_e32 v0, v2, v55
	v_fmac_f32_e32 v0, v3, v57
	v_fmac_f32_e32 v0, v4, v56
	v_add_f32_e32 v27, v27, v0
	;; [unrolled: 5-line block ×3, first 2 shown]
	v_mul_f32_e32 v0, v1, v46
	v_fmac_f32_e32 v0, v2, v45
	v_mul_f32_e32 v16, v1, v25
	v_fmac_f32_e32 v16, v2, v8
	v_fmac_f32_e32 v16, v3, v23
	;; [unrolled: 1-line block ×3, first 2 shown]
	v_add_f32_e32 v28, v28, v16
	s_waitcnt vmcnt(0)
	v_fmac_f32_e32 v0, v3, v7
	buffer_load_dword v7, off, s[56:59], 0  ; 4-byte Folded Reload
	s_waitcnt vmcnt(0)
	v_fmac_f32_e32 v0, v4, v7
	v_add_f32_e32 v34, v34, v0
	v_mul_f32_e32 v0, v1, v15
	v_fmac_f32_e32 v0, v2, v11
	v_fmac_f32_e32 v0, v3, v14
	;; [unrolled: 1-line block ×3, first 2 shown]
	v_add_f32_e32 v36, v36, v0
.LBB170_232:                            ;   in Loop: Header=BB170_233 Depth=1
	s_or_b64 exec, exec, s[6:7]
	v_add_co_u32_e32 v9, vcc, 8, v9
	v_add_u32_e32 v40, 2, v40
	v_addc_co_u32_e32 v10, vcc, 0, v10, vcc
	v_cmp_le_i32_e32 vcc, s20, v40
	v_add_u32_e32 v41, 16, v41
	s_or_b64 s[4:5], vcc, s[4:5]
	v_add_u32_e32 v37, 64, v37
	s_andn2_b64 exec, exec, s[4:5]
	s_cbranch_execz .LBB170_442
.LBB170_233:                            ; =>This Inner Loop Header: Depth=1
	v_mul_hi_u32 v0, v41, s46
	v_mul_lo_u32 v1, v0, s25
	v_add_u32_e32 v2, 1, v0
	v_sub_u32_e32 v1, v41, v1
	v_cmp_le_u32_e32 vcc, s25, v1
	v_cndmask_b32_e32 v0, v0, v2, vcc
	v_subrev_u32_e32 v2, s25, v1
	v_cndmask_b32_e32 v1, v1, v2, vcc
	v_add_u32_e32 v2, 1, v0
	v_cmp_le_u32_e32 vcc, s25, v1
	v_cndmask_b32_e32 v0, v0, v2, vcc
	v_xor_b32_e32 v0, s23, v0
	v_subrev_u32_e32 v0, s23, v0
	v_add_u32_e32 v1, s36, v0
	v_sub_u32_e32 v2, 0, v1
	v_max_i32_e32 v2, v1, v2
	v_mul_hi_u32 v3, v2, v43
	v_ashrrev_i32_e32 v1, 31, v1
	v_cmp_lt_i32_e64 s[0:1], s21, v0
	v_mul_lo_u32 v3, v3, s22
	v_sub_u32_e32 v2, v2, v3
	v_subrev_u32_e32 v3, s22, v2
	v_cmp_le_u32_e32 vcc, s22, v2
	v_cndmask_b32_e32 v2, v2, v3, vcc
	v_subrev_u32_e32 v3, s22, v2
	v_cmp_le_u32_e32 vcc, s22, v2
	v_cndmask_b32_e32 v2, v2, v3, vcc
	v_xor_b32_e32 v2, v2, v1
	v_sub_u32_e32 v1, v2, v1
	v_cmp_eq_u32_e32 vcc, 0, v1
	s_or_b64 s[0:1], vcc, s[0:1]
	s_and_saveexec_b64 s[6:7], s[0:1]
	s_cbranch_execz .LBB170_232
; %bb.234:                              ;   in Loop: Header=BB170_233 Depth=1
	global_load_dword v0, v[9:10], off
	buffer_load_dword v1, off, s[56:59], 0 offset:12 ; 4-byte Folded Reload
	buffer_load_dword v2, off, s[56:59], 0 offset:16 ; 4-byte Folded Reload
	s_load_dword s37, s[14:15], 0x0
	v_mov_b32_e32 v18, 0
	v_mov_b32_e32 v16, 0
	;; [unrolled: 1-line block ×4, first 2 shown]
	s_waitcnt vmcnt(0)
	v_mad_i64_i32 v[13:14], s[0:1], v0, s34, v[1:2]
	ds_read_b128 v[1:4], v37
	global_load_dword v15, v[13:14], off
	s_waitcnt vmcnt(0)
	v_cmp_ne_u16_sdwa s[12:13], v15, v5 src0_sel:BYTE_0 src1_sel:DWORD
	s_and_saveexec_b64 s[0:1], s[12:13]
	s_cbranch_execz .LBB170_240
; %bb.235:                              ;   in Loop: Header=BB170_233 Depth=1
	v_bfrev_b32_e32 v16, 1
	v_mov_b32_e32 v17, 0
	v_cmp_ne_u16_sdwa s[16:17], v15, s28 src0_sel:BYTE_0 src1_sel:DWORD
	s_and_saveexec_b64 s[12:13], s[16:17]
	s_cbranch_execz .LBB170_239
; %bb.236:                              ;   in Loop: Header=BB170_233 Depth=1
	v_and_b32_e32 v0, 0x7f, v15
	v_mov_b32_e32 v16, 0x7f800001
	v_mov_b32_e32 v17, 0
	v_cmp_ne_u32_e32 vcc, s29, v0
	s_and_saveexec_b64 s[16:17], vcc
	s_cbranch_execz .LBB170_238
; %bb.237:                              ;   in Loop: Header=BB170_233 Depth=1
	v_and_b32_e32 v11, 7, v15
	v_ffbh_u32_e32 v7, v11
	v_min_u32_e32 v17, 32, v7
	v_lshrrev_b32_e32 v16, 3, v0
	v_subrev_u32_e32 v7, 28, v17
	v_lshlrev_b64 v[7:8], v7, v[15:16]
	v_sub_u32_e32 v8, 29, v17
	v_and_b32_e32 v7, 7, v7
	v_cmp_gt_u32_e32 vcc, 8, v0
	v_cndmask_b32_e32 v0, v16, v8, vcc
	v_cndmask_b32_e32 v7, v11, v7, vcc
	v_lshlrev_b32_e32 v7, 20, v7
	v_and_b32_sdwa v8, sext(v15), s30 dst_sel:DWORD dst_unused:UNUSED_PAD src0_sel:BYTE_0 src1_sel:DWORD
	v_lshl_add_u32 v0, v0, 23, v38
	v_or3_b32 v16, v8, v0, v7
	v_mov_b32_e32 v17, v5
.LBB170_238:                            ;   in Loop: Header=BB170_233 Depth=1
	s_or_b64 exec, exec, s[16:17]
.LBB170_239:                            ;   in Loop: Header=BB170_233 Depth=1
	s_or_b64 exec, exec, s[12:13]
.LBB170_240:                            ;   in Loop: Header=BB170_233 Depth=1
	s_or_b64 exec, exec, s[0:1]
	v_cmp_ne_u16_sdwa s[12:13], v15, v5 src0_sel:BYTE_1 src1_sel:DWORD
	s_and_saveexec_b64 s[0:1], s[12:13]
	s_cbranch_execz .LBB170_246
; %bb.241:                              ;   in Loop: Header=BB170_233 Depth=1
	v_mov_b32_e32 v19, v6
	v_cmp_ne_u16_sdwa s[16:17], v15, s28 src0_sel:BYTE_1 src1_sel:DWORD
	v_mov_b32_e32 v18, v5
	s_and_saveexec_b64 s[12:13], s[16:17]
	s_cbranch_execz .LBB170_245
; %bb.242:                              ;   in Loop: Header=BB170_233 Depth=1
	v_and_b32_sdwa v0, v15, s29 dst_sel:DWORD dst_unused:UNUSED_PAD src0_sel:BYTE_1 src1_sel:DWORD
	v_mov_b32_e32 v11, v5
	v_mov_b32_e32 v19, v12
	v_cmp_ne_u32_e32 vcc, s29, v0
	v_mov_b32_e32 v18, v11
	s_and_saveexec_b64 s[16:17], vcc
	s_cbranch_execz .LBB170_244
; %bb.243:                              ;   in Loop: Header=BB170_233 Depth=1
	v_and_b32_sdwa v7, v15, v44 dst_sel:DWORD dst_unused:UNUSED_PAD src0_sel:BYTE_1 src1_sel:DWORD
	v_ffbh_u32_e32 v18, v7
	v_min_u32_e32 v20, 32, v18
	v_mov_b32_e32 v8, v5
	v_subrev_u32_e32 v18, 28, v20
	v_lshlrev_b64 v[18:19], v18, v[7:8]
	v_lshrrev_b32_e32 v11, 3, v0
	v_sub_u32_e32 v8, 29, v20
	v_cmp_gt_u32_e32 vcc, 8, v0
	v_and_b32_e32 v18, 7, v18
	v_cndmask_b32_e32 v0, v11, v8, vcc
	v_cndmask_b32_e32 v7, v7, v18, vcc
	v_lshlrev_b32_e32 v8, 16, v15
	v_lshl_add_u32 v0, v0, 23, v38
	v_and_or_b32 v0, v8, s30, v0
	v_lshlrev_b32_e32 v7, 20, v7
	v_or_b32_e32 v19, v0, v7
	v_mov_b32_e32 v18, v5
.LBB170_244:                            ;   in Loop: Header=BB170_233 Depth=1
	s_or_b64 exec, exec, s[16:17]
.LBB170_245:                            ;   in Loop: Header=BB170_233 Depth=1
	s_or_b64 exec, exec, s[12:13]
.LBB170_246:                            ;   in Loop: Header=BB170_233 Depth=1
	s_or_b64 exec, exec, s[0:1]
	v_lshrrev_b32_e32 v11, 16, v15
	v_mov_b32_e32 v22, 0
	v_mov_b32_e32 v20, 0
	;; [unrolled: 1-line block ×4, first 2 shown]
	v_cmp_ne_u16_sdwa s[12:13], v11, v5 src0_sel:BYTE_0 src1_sel:DWORD
	s_and_saveexec_b64 s[0:1], s[12:13]
	s_cbranch_execz .LBB170_252
; %bb.247:                              ;   in Loop: Header=BB170_233 Depth=1
	v_bfrev_b32_e32 v20, 1
	v_mov_b32_e32 v21, 0
	v_cmp_ne_u16_sdwa s[16:17], v11, s28 src0_sel:BYTE_0 src1_sel:DWORD
	s_and_saveexec_b64 s[12:13], s[16:17]
	s_cbranch_execz .LBB170_251
; %bb.248:                              ;   in Loop: Header=BB170_233 Depth=1
	v_bfe_u32 v0, v15, 16, 7
	v_mov_b32_e32 v20, 0x7f800001
	v_mov_b32_e32 v21, 0
	v_cmp_ne_u32_e32 vcc, s29, v0
	s_and_saveexec_b64 s[16:17], vcc
	s_cbranch_execz .LBB170_250
; %bb.249:                              ;   in Loop: Header=BB170_233 Depth=1
	v_and_b32_e32 v20, 7, v11
	v_ffbh_u32_e32 v7, v20
	v_min_u32_e32 v24, 32, v7
	v_subrev_u32_e32 v7, 28, v24
	v_lshlrev_b64 v[7:8], v7, v[11:12]
	v_lshrrev_b32_e32 v21, 3, v0
	v_sub_u32_e32 v8, 29, v24
	v_and_b32_e32 v7, 7, v7
	v_cmp_gt_u32_e32 vcc, 8, v0
	v_cndmask_b32_e32 v0, v21, v8, vcc
	v_cndmask_b32_e32 v7, v20, v7, vcc
	v_lshlrev_b32_e32 v7, 20, v7
	v_and_b32_sdwa v8, sext(v11), s30 dst_sel:DWORD dst_unused:UNUSED_PAD src0_sel:BYTE_0 src1_sel:DWORD
	v_lshl_add_u32 v0, v0, 23, v38
	v_or3_b32 v20, v8, v0, v7
	v_mov_b32_e32 v21, v5
.LBB170_250:                            ;   in Loop: Header=BB170_233 Depth=1
	s_or_b64 exec, exec, s[16:17]
.LBB170_251:                            ;   in Loop: Header=BB170_233 Depth=1
	s_or_b64 exec, exec, s[12:13]
.LBB170_252:                            ;   in Loop: Header=BB170_233 Depth=1
	s_or_b64 exec, exec, s[0:1]
	v_cmp_lt_u32_e32 vcc, s31, v15
	s_and_saveexec_b64 s[0:1], vcc
	s_cbranch_execz .LBB170_258
; %bb.253:                              ;   in Loop: Header=BB170_233 Depth=1
	v_mov_b32_e32 v23, v6
	v_cmp_ne_u32_sdwa s[16:17], v15, s28 src0_sel:BYTE_3 src1_sel:DWORD
	v_mov_b32_e32 v22, v5
	s_and_saveexec_b64 s[12:13], s[16:17]
	s_cbranch_execz .LBB170_257
; %bb.254:                              ;   in Loop: Header=BB170_233 Depth=1
	v_bfe_u32 v0, v15, 24, 7
	v_mov_b32_e32 v11, v5
	v_mov_b32_e32 v23, v12
	v_cmp_ne_u32_e32 vcc, s29, v0
	v_mov_b32_e32 v22, v11
	s_and_saveexec_b64 s[16:17], vcc
	s_cbranch_execz .LBB170_256
; %bb.255:                              ;   in Loop: Header=BB170_233 Depth=1
	v_and_b32_sdwa v7, v15, v44 dst_sel:DWORD dst_unused:UNUSED_PAD src0_sel:BYTE_3 src1_sel:DWORD
	v_ffbh_u32_e32 v22, v7
	v_min_u32_e32 v24, 32, v22
	v_mov_b32_e32 v8, v5
	v_subrev_u32_e32 v22, 28, v24
	v_lshlrev_b64 v[22:23], v22, v[7:8]
	v_lshrrev_b32_e32 v11, 3, v0
	v_sub_u32_e32 v8, 29, v24
	v_cmp_gt_u32_e32 vcc, 8, v0
	v_and_b32_e32 v22, 7, v22
	v_cndmask_b32_e32 v0, v11, v8, vcc
	v_mov_b32_e32 v8, 24
	v_cndmask_b32_e32 v7, v7, v22, vcc
	v_lshlrev_b32_sdwa v8, v8, v15 dst_sel:DWORD dst_unused:UNUSED_PAD src0_sel:DWORD src1_sel:BYTE_3
	v_lshl_add_u32 v0, v0, 23, v38
	v_and_or_b32 v0, v8, s30, v0
	v_lshlrev_b32_e32 v7, 20, v7
	v_or_b32_e32 v23, v0, v7
	v_mov_b32_e32 v22, v5
.LBB170_256:                            ;   in Loop: Header=BB170_233 Depth=1
	s_or_b64 exec, exec, s[16:17]
.LBB170_257:                            ;   in Loop: Header=BB170_233 Depth=1
	s_or_b64 exec, exec, s[12:13]
.LBB170_258:                            ;   in Loop: Header=BB170_233 Depth=1
	s_or_b64 exec, exec, s[0:1]
	buffer_load_dword v0, off, s[56:59], 0 offset:8 ; 4-byte Folded Reload
	v_or_b32_e32 v7, v18, v16
	s_waitcnt lgkmcnt(0)
	v_mul_f32_e32 v46, s37, v7
	v_or_b32_e32 v7, v22, v20
	v_cmp_eq_u32_e32 vcc, s35, v40
	v_mul_f32_e32 v7, s37, v7
	buffer_store_dword v7, off, s[56:59], 0 offset:4 ; 4-byte Folded Spill
	s_waitcnt vmcnt(1)
	v_add_u32_e32 v47, v0, v41
	v_or_b32_e32 v0, v19, v17
	v_mul_f32_e32 v45, s37, v0
	v_or_b32_e32 v0, v23, v21
	v_mul_f32_e32 v0, s37, v0
	v_add_u32_e32 v50, 1, v47
	v_add_u32_e32 v49, 2, v47
	v_add_u32_e32 v48, 3, v47
	buffer_store_dword v0, off, s[56:59], 0 ; 4-byte Folded Spill
	s_and_saveexec_b64 s[12:13], vcc
	s_cbranch_execz .LBB170_260
; %bb.259:                              ;   in Loop: Header=BB170_233 Depth=1
	buffer_load_dword v0, off, s[56:59], 0 offset:4 ; 4-byte Folded Reload
	v_cmp_gt_i32_e64 s[0:1], s33, v47
	v_cndmask_b32_e64 v46, 0, v46, s[0:1]
	v_cmp_gt_i32_e64 s[0:1], s33, v50
	v_cndmask_b32_e64 v45, 0, v45, s[0:1]
	v_cmp_gt_i32_e64 s[0:1], s33, v49
	s_waitcnt vmcnt(0)
	v_cndmask_b32_e64 v0, 0, v0, s[0:1]
	buffer_store_dword v0, off, s[56:59], 0 offset:4 ; 4-byte Folded Spill
	buffer_load_dword v0, off, s[56:59], 0  ; 4-byte Folded Reload
	v_cmp_gt_i32_e64 s[0:1], s33, v48
	s_waitcnt vmcnt(0)
	v_cndmask_b32_e64 v0, 0, v0, s[0:1]
	buffer_store_dword v0, off, s[56:59], 0 ; 4-byte Folded Spill
.LBB170_260:                            ;   in Loop: Header=BB170_233 Depth=1
	s_or_b64 exec, exec, s[12:13]
	global_load_dword v15, v[13:14], off offset:256
	v_mov_b32_e32 v18, 0
	v_mov_b32_e32 v16, 0
	;; [unrolled: 1-line block ×4, first 2 shown]
	s_waitcnt vmcnt(0)
	v_cmp_ne_u16_sdwa s[0:1], v15, v5 src0_sel:BYTE_0 src1_sel:DWORD
	s_and_saveexec_b64 s[12:13], s[0:1]
	s_cbranch_execz .LBB170_266
; %bb.261:                              ;   in Loop: Header=BB170_233 Depth=1
	v_bfrev_b32_e32 v16, 1
	v_mov_b32_e32 v17, 0
	v_cmp_ne_u16_sdwa s[0:1], v15, s28 src0_sel:BYTE_0 src1_sel:DWORD
	s_and_saveexec_b64 s[16:17], s[0:1]
	s_cbranch_execz .LBB170_265
; %bb.262:                              ;   in Loop: Header=BB170_233 Depth=1
	v_and_b32_e32 v0, 0x7f, v15
	v_mov_b32_e32 v16, 0x7f800001
	v_mov_b32_e32 v17, 0
	v_cmp_ne_u32_e64 s[0:1], s29, v0
	s_and_saveexec_b64 s[18:19], s[0:1]
	s_cbranch_execz .LBB170_264
; %bb.263:                              ;   in Loop: Header=BB170_233 Depth=1
	v_and_b32_e32 v11, 7, v15
	v_ffbh_u32_e32 v7, v11
	v_min_u32_e32 v17, 32, v7
	v_lshrrev_b32_e32 v16, 3, v0
	v_subrev_u32_e32 v7, 28, v17
	v_lshlrev_b64 v[7:8], v7, v[15:16]
	v_sub_u32_e32 v8, 29, v17
	v_and_b32_e32 v7, 7, v7
	v_cmp_gt_u32_e64 s[0:1], 8, v0
	v_cndmask_b32_e64 v0, v16, v8, s[0:1]
	v_cndmask_b32_e64 v7, v11, v7, s[0:1]
	v_lshlrev_b32_e32 v7, 20, v7
	v_and_b32_sdwa v8, sext(v15), s30 dst_sel:DWORD dst_unused:UNUSED_PAD src0_sel:BYTE_0 src1_sel:DWORD
	v_lshl_add_u32 v0, v0, 23, v38
	v_or3_b32 v16, v8, v0, v7
	v_mov_b32_e32 v17, v5
.LBB170_264:                            ;   in Loop: Header=BB170_233 Depth=1
	s_or_b64 exec, exec, s[18:19]
.LBB170_265:                            ;   in Loop: Header=BB170_233 Depth=1
	s_or_b64 exec, exec, s[16:17]
.LBB170_266:                            ;   in Loop: Header=BB170_233 Depth=1
	s_or_b64 exec, exec, s[12:13]
	v_cmp_ne_u16_sdwa s[0:1], v15, v5 src0_sel:BYTE_1 src1_sel:DWORD
	s_and_saveexec_b64 s[12:13], s[0:1]
	s_cbranch_execz .LBB170_272
; %bb.267:                              ;   in Loop: Header=BB170_233 Depth=1
	v_mov_b32_e32 v19, v6
	v_cmp_ne_u16_sdwa s[0:1], v15, s28 src0_sel:BYTE_1 src1_sel:DWORD
	v_mov_b32_e32 v18, v5
	s_and_saveexec_b64 s[16:17], s[0:1]
	s_cbranch_execz .LBB170_271
; %bb.268:                              ;   in Loop: Header=BB170_233 Depth=1
	v_and_b32_sdwa v0, v15, s29 dst_sel:DWORD dst_unused:UNUSED_PAD src0_sel:BYTE_1 src1_sel:DWORD
	v_mov_b32_e32 v11, v5
	v_mov_b32_e32 v19, v12
	v_cmp_ne_u32_e64 s[0:1], s29, v0
	v_mov_b32_e32 v18, v11
	s_and_saveexec_b64 s[18:19], s[0:1]
	s_cbranch_execz .LBB170_270
; %bb.269:                              ;   in Loop: Header=BB170_233 Depth=1
	v_and_b32_sdwa v7, v15, v44 dst_sel:DWORD dst_unused:UNUSED_PAD src0_sel:BYTE_1 src1_sel:DWORD
	v_ffbh_u32_e32 v18, v7
	v_min_u32_e32 v20, 32, v18
	v_mov_b32_e32 v8, v5
	v_subrev_u32_e32 v18, 28, v20
	v_lshlrev_b64 v[18:19], v18, v[7:8]
	v_lshrrev_b32_e32 v11, 3, v0
	v_sub_u32_e32 v8, 29, v20
	v_cmp_gt_u32_e64 s[0:1], 8, v0
	v_and_b32_e32 v18, 7, v18
	v_cndmask_b32_e64 v0, v11, v8, s[0:1]
	v_cndmask_b32_e64 v7, v7, v18, s[0:1]
	v_lshlrev_b32_e32 v8, 16, v15
	v_lshl_add_u32 v0, v0, 23, v38
	v_and_or_b32 v0, v8, s30, v0
	v_lshlrev_b32_e32 v7, 20, v7
	v_or_b32_e32 v19, v0, v7
	v_mov_b32_e32 v18, v5
.LBB170_270:                            ;   in Loop: Header=BB170_233 Depth=1
	s_or_b64 exec, exec, s[18:19]
.LBB170_271:                            ;   in Loop: Header=BB170_233 Depth=1
	s_or_b64 exec, exec, s[16:17]
.LBB170_272:                            ;   in Loop: Header=BB170_233 Depth=1
	s_or_b64 exec, exec, s[12:13]
	v_lshrrev_b32_e32 v11, 16, v15
	v_mov_b32_e32 v22, 0
	v_mov_b32_e32 v20, 0
	;; [unrolled: 1-line block ×4, first 2 shown]
	v_cmp_ne_u16_sdwa s[0:1], v11, v5 src0_sel:BYTE_0 src1_sel:DWORD
	s_and_saveexec_b64 s[12:13], s[0:1]
	s_cbranch_execz .LBB170_278
; %bb.273:                              ;   in Loop: Header=BB170_233 Depth=1
	v_bfrev_b32_e32 v20, 1
	v_mov_b32_e32 v21, 0
	v_cmp_ne_u16_sdwa s[0:1], v11, s28 src0_sel:BYTE_0 src1_sel:DWORD
	s_and_saveexec_b64 s[16:17], s[0:1]
	s_cbranch_execz .LBB170_277
; %bb.274:                              ;   in Loop: Header=BB170_233 Depth=1
	v_bfe_u32 v0, v15, 16, 7
	v_mov_b32_e32 v20, 0x7f800001
	v_mov_b32_e32 v21, 0
	v_cmp_ne_u32_e64 s[0:1], s29, v0
	s_and_saveexec_b64 s[18:19], s[0:1]
	s_cbranch_execz .LBB170_276
; %bb.275:                              ;   in Loop: Header=BB170_233 Depth=1
	v_and_b32_e32 v20, 7, v11
	v_ffbh_u32_e32 v7, v20
	v_min_u32_e32 v24, 32, v7
	v_subrev_u32_e32 v7, 28, v24
	v_lshlrev_b64 v[7:8], v7, v[11:12]
	v_lshrrev_b32_e32 v21, 3, v0
	v_sub_u32_e32 v8, 29, v24
	v_and_b32_e32 v7, 7, v7
	v_cmp_gt_u32_e64 s[0:1], 8, v0
	v_cndmask_b32_e64 v0, v21, v8, s[0:1]
	v_cndmask_b32_e64 v7, v20, v7, s[0:1]
	v_lshlrev_b32_e32 v7, 20, v7
	v_and_b32_sdwa v8, sext(v11), s30 dst_sel:DWORD dst_unused:UNUSED_PAD src0_sel:BYTE_0 src1_sel:DWORD
	v_lshl_add_u32 v0, v0, 23, v38
	v_or3_b32 v20, v8, v0, v7
	v_mov_b32_e32 v21, v5
.LBB170_276:                            ;   in Loop: Header=BB170_233 Depth=1
	s_or_b64 exec, exec, s[18:19]
.LBB170_277:                            ;   in Loop: Header=BB170_233 Depth=1
	s_or_b64 exec, exec, s[16:17]
.LBB170_278:                            ;   in Loop: Header=BB170_233 Depth=1
	s_or_b64 exec, exec, s[12:13]
	v_cmp_lt_u32_e64 s[0:1], s31, v15
	s_and_saveexec_b64 s[12:13], s[0:1]
	s_cbranch_execz .LBB170_284
; %bb.279:                              ;   in Loop: Header=BB170_233 Depth=1
	v_mov_b32_e32 v23, v6
	v_cmp_ne_u32_sdwa s[0:1], v15, s28 src0_sel:BYTE_3 src1_sel:DWORD
	v_mov_b32_e32 v22, v5
	s_and_saveexec_b64 s[16:17], s[0:1]
	s_cbranch_execz .LBB170_283
; %bb.280:                              ;   in Loop: Header=BB170_233 Depth=1
	v_bfe_u32 v0, v15, 24, 7
	v_mov_b32_e32 v11, v5
	v_mov_b32_e32 v23, v12
	v_cmp_ne_u32_e64 s[0:1], s29, v0
	v_mov_b32_e32 v22, v11
	s_and_saveexec_b64 s[18:19], s[0:1]
	s_cbranch_execz .LBB170_282
; %bb.281:                              ;   in Loop: Header=BB170_233 Depth=1
	v_and_b32_sdwa v7, v15, v44 dst_sel:DWORD dst_unused:UNUSED_PAD src0_sel:BYTE_3 src1_sel:DWORD
	v_ffbh_u32_e32 v22, v7
	v_min_u32_e32 v24, 32, v22
	v_mov_b32_e32 v8, v5
	v_subrev_u32_e32 v22, 28, v24
	v_lshlrev_b64 v[22:23], v22, v[7:8]
	v_lshrrev_b32_e32 v11, 3, v0
	v_sub_u32_e32 v8, 29, v24
	v_cmp_gt_u32_e64 s[0:1], 8, v0
	v_and_b32_e32 v22, 7, v22
	v_cndmask_b32_e64 v0, v11, v8, s[0:1]
	v_mov_b32_e32 v8, 24
	v_cndmask_b32_e64 v7, v7, v22, s[0:1]
	v_lshlrev_b32_sdwa v8, v8, v15 dst_sel:DWORD dst_unused:UNUSED_PAD src0_sel:DWORD src1_sel:BYTE_3
	v_lshl_add_u32 v0, v0, 23, v38
	v_and_or_b32 v0, v8, s30, v0
	v_lshlrev_b32_e32 v7, 20, v7
	v_or_b32_e32 v23, v0, v7
	v_mov_b32_e32 v22, v5
.LBB170_282:                            ;   in Loop: Header=BB170_233 Depth=1
	s_or_b64 exec, exec, s[18:19]
.LBB170_283:                            ;   in Loop: Header=BB170_233 Depth=1
	s_or_b64 exec, exec, s[16:17]
.LBB170_284:                            ;   in Loop: Header=BB170_233 Depth=1
	s_or_b64 exec, exec, s[12:13]
	s_mov_b32 s38, s37
	v_or_b32_e32 v0, v19, v17
	v_or_b32_e32 v7, v18, v16
	v_mul_f32_e32 v51, s38, v0
	v_mul_f32_e32 v54, s37, v7
	v_or_b32_e32 v0, v23, v21
	v_or_b32_e32 v7, v22, v20
	v_mul_f32_e32 v53, s37, v7
	v_mul_f32_e32 v52, s38, v0
	s_and_saveexec_b64 s[12:13], vcc
; %bb.285:                              ;   in Loop: Header=BB170_233 Depth=1
	v_cmp_gt_i32_e64 s[0:1], s33, v47
	v_cndmask_b32_e64 v54, 0, v54, s[0:1]
	v_cmp_gt_i32_e64 s[0:1], s33, v50
	v_cndmask_b32_e64 v51, 0, v51, s[0:1]
	;; [unrolled: 2-line block ×4, first 2 shown]
; %bb.286:                              ;   in Loop: Header=BB170_233 Depth=1
	s_or_b64 exec, exec, s[12:13]
	global_load_dword v15, v[13:14], off offset:512
	v_mov_b32_e32 v18, 0
	v_mov_b32_e32 v16, 0
	;; [unrolled: 1-line block ×4, first 2 shown]
	s_waitcnt vmcnt(0)
	v_cmp_ne_u16_sdwa s[0:1], v15, v5 src0_sel:BYTE_0 src1_sel:DWORD
	s_and_saveexec_b64 s[12:13], s[0:1]
	s_cbranch_execz .LBB170_292
; %bb.287:                              ;   in Loop: Header=BB170_233 Depth=1
	v_bfrev_b32_e32 v16, 1
	v_mov_b32_e32 v17, 0
	v_cmp_ne_u16_sdwa s[0:1], v15, s28 src0_sel:BYTE_0 src1_sel:DWORD
	s_and_saveexec_b64 s[16:17], s[0:1]
	s_cbranch_execz .LBB170_291
; %bb.288:                              ;   in Loop: Header=BB170_233 Depth=1
	v_and_b32_e32 v0, 0x7f, v15
	v_mov_b32_e32 v16, 0x7f800001
	v_mov_b32_e32 v17, 0
	v_cmp_ne_u32_e64 s[0:1], s29, v0
	s_and_saveexec_b64 s[18:19], s[0:1]
	s_cbranch_execz .LBB170_290
; %bb.289:                              ;   in Loop: Header=BB170_233 Depth=1
	v_and_b32_e32 v11, 7, v15
	v_ffbh_u32_e32 v7, v11
	v_min_u32_e32 v17, 32, v7
	v_lshrrev_b32_e32 v16, 3, v0
	v_subrev_u32_e32 v7, 28, v17
	v_lshlrev_b64 v[7:8], v7, v[15:16]
	v_sub_u32_e32 v8, 29, v17
	v_and_b32_e32 v7, 7, v7
	v_cmp_gt_u32_e64 s[0:1], 8, v0
	v_cndmask_b32_e64 v0, v16, v8, s[0:1]
	v_cndmask_b32_e64 v7, v11, v7, s[0:1]
	v_lshlrev_b32_e32 v7, 20, v7
	v_and_b32_sdwa v8, sext(v15), s30 dst_sel:DWORD dst_unused:UNUSED_PAD src0_sel:BYTE_0 src1_sel:DWORD
	v_lshl_add_u32 v0, v0, 23, v38
	v_or3_b32 v16, v8, v0, v7
	v_mov_b32_e32 v17, v5
.LBB170_290:                            ;   in Loop: Header=BB170_233 Depth=1
	s_or_b64 exec, exec, s[18:19]
.LBB170_291:                            ;   in Loop: Header=BB170_233 Depth=1
	s_or_b64 exec, exec, s[16:17]
.LBB170_292:                            ;   in Loop: Header=BB170_233 Depth=1
	s_or_b64 exec, exec, s[12:13]
	v_cmp_ne_u16_sdwa s[0:1], v15, v5 src0_sel:BYTE_1 src1_sel:DWORD
	s_and_saveexec_b64 s[12:13], s[0:1]
	s_cbranch_execz .LBB170_298
; %bb.293:                              ;   in Loop: Header=BB170_233 Depth=1
	v_mov_b32_e32 v19, v6
	v_cmp_ne_u16_sdwa s[0:1], v15, s28 src0_sel:BYTE_1 src1_sel:DWORD
	v_mov_b32_e32 v18, v5
	s_and_saveexec_b64 s[16:17], s[0:1]
	s_cbranch_execz .LBB170_297
; %bb.294:                              ;   in Loop: Header=BB170_233 Depth=1
	v_and_b32_sdwa v0, v15, s29 dst_sel:DWORD dst_unused:UNUSED_PAD src0_sel:BYTE_1 src1_sel:DWORD
	v_mov_b32_e32 v11, v5
	v_mov_b32_e32 v19, v12
	v_cmp_ne_u32_e64 s[0:1], s29, v0
	v_mov_b32_e32 v18, v11
	s_and_saveexec_b64 s[18:19], s[0:1]
	s_cbranch_execz .LBB170_296
; %bb.295:                              ;   in Loop: Header=BB170_233 Depth=1
	v_and_b32_sdwa v7, v15, v44 dst_sel:DWORD dst_unused:UNUSED_PAD src0_sel:BYTE_1 src1_sel:DWORD
	v_ffbh_u32_e32 v18, v7
	v_min_u32_e32 v20, 32, v18
	v_mov_b32_e32 v8, v5
	v_subrev_u32_e32 v18, 28, v20
	v_lshlrev_b64 v[18:19], v18, v[7:8]
	v_lshrrev_b32_e32 v11, 3, v0
	v_sub_u32_e32 v8, 29, v20
	v_cmp_gt_u32_e64 s[0:1], 8, v0
	v_and_b32_e32 v18, 7, v18
	v_cndmask_b32_e64 v0, v11, v8, s[0:1]
	v_cndmask_b32_e64 v7, v7, v18, s[0:1]
	v_lshlrev_b32_e32 v8, 16, v15
	v_lshl_add_u32 v0, v0, 23, v38
	v_and_or_b32 v0, v8, s30, v0
	v_lshlrev_b32_e32 v7, 20, v7
	v_or_b32_e32 v19, v0, v7
	v_mov_b32_e32 v18, v5
.LBB170_296:                            ;   in Loop: Header=BB170_233 Depth=1
	s_or_b64 exec, exec, s[18:19]
.LBB170_297:                            ;   in Loop: Header=BB170_233 Depth=1
	s_or_b64 exec, exec, s[16:17]
.LBB170_298:                            ;   in Loop: Header=BB170_233 Depth=1
	s_or_b64 exec, exec, s[12:13]
	v_lshrrev_b32_e32 v11, 16, v15
	v_mov_b32_e32 v22, 0
	v_mov_b32_e32 v20, 0
	;; [unrolled: 1-line block ×4, first 2 shown]
	v_cmp_ne_u16_sdwa s[0:1], v11, v5 src0_sel:BYTE_0 src1_sel:DWORD
	s_and_saveexec_b64 s[12:13], s[0:1]
	s_cbranch_execz .LBB170_304
; %bb.299:                              ;   in Loop: Header=BB170_233 Depth=1
	v_bfrev_b32_e32 v20, 1
	v_mov_b32_e32 v21, 0
	v_cmp_ne_u16_sdwa s[0:1], v11, s28 src0_sel:BYTE_0 src1_sel:DWORD
	s_and_saveexec_b64 s[16:17], s[0:1]
	s_cbranch_execz .LBB170_303
; %bb.300:                              ;   in Loop: Header=BB170_233 Depth=1
	v_bfe_u32 v0, v15, 16, 7
	v_mov_b32_e32 v20, 0x7f800001
	v_mov_b32_e32 v21, 0
	v_cmp_ne_u32_e64 s[0:1], s29, v0
	s_and_saveexec_b64 s[18:19], s[0:1]
	s_cbranch_execz .LBB170_302
; %bb.301:                              ;   in Loop: Header=BB170_233 Depth=1
	v_and_b32_e32 v20, 7, v11
	v_ffbh_u32_e32 v7, v20
	v_min_u32_e32 v24, 32, v7
	v_subrev_u32_e32 v7, 28, v24
	v_lshlrev_b64 v[7:8], v7, v[11:12]
	v_lshrrev_b32_e32 v21, 3, v0
	v_sub_u32_e32 v8, 29, v24
	v_and_b32_e32 v7, 7, v7
	v_cmp_gt_u32_e64 s[0:1], 8, v0
	v_cndmask_b32_e64 v0, v21, v8, s[0:1]
	v_cndmask_b32_e64 v7, v20, v7, s[0:1]
	v_lshlrev_b32_e32 v7, 20, v7
	v_and_b32_sdwa v8, sext(v11), s30 dst_sel:DWORD dst_unused:UNUSED_PAD src0_sel:BYTE_0 src1_sel:DWORD
	v_lshl_add_u32 v0, v0, 23, v38
	v_or3_b32 v20, v8, v0, v7
	v_mov_b32_e32 v21, v5
.LBB170_302:                            ;   in Loop: Header=BB170_233 Depth=1
	s_or_b64 exec, exec, s[18:19]
.LBB170_303:                            ;   in Loop: Header=BB170_233 Depth=1
	s_or_b64 exec, exec, s[16:17]
.LBB170_304:                            ;   in Loop: Header=BB170_233 Depth=1
	s_or_b64 exec, exec, s[12:13]
	v_cmp_lt_u32_e64 s[0:1], s31, v15
	s_and_saveexec_b64 s[12:13], s[0:1]
	s_cbranch_execz .LBB170_310
; %bb.305:                              ;   in Loop: Header=BB170_233 Depth=1
	v_mov_b32_e32 v23, v6
	v_cmp_ne_u32_sdwa s[0:1], v15, s28 src0_sel:BYTE_3 src1_sel:DWORD
	v_mov_b32_e32 v22, v5
	s_and_saveexec_b64 s[16:17], s[0:1]
	s_cbranch_execz .LBB170_309
; %bb.306:                              ;   in Loop: Header=BB170_233 Depth=1
	v_bfe_u32 v0, v15, 24, 7
	v_mov_b32_e32 v11, v5
	v_mov_b32_e32 v23, v12
	v_cmp_ne_u32_e64 s[0:1], s29, v0
	v_mov_b32_e32 v22, v11
	s_and_saveexec_b64 s[18:19], s[0:1]
	s_cbranch_execz .LBB170_308
; %bb.307:                              ;   in Loop: Header=BB170_233 Depth=1
	v_and_b32_sdwa v7, v15, v44 dst_sel:DWORD dst_unused:UNUSED_PAD src0_sel:BYTE_3 src1_sel:DWORD
	v_ffbh_u32_e32 v22, v7
	v_min_u32_e32 v24, 32, v22
	v_mov_b32_e32 v8, v5
	v_subrev_u32_e32 v22, 28, v24
	v_lshlrev_b64 v[22:23], v22, v[7:8]
	v_lshrrev_b32_e32 v11, 3, v0
	v_sub_u32_e32 v8, 29, v24
	v_cmp_gt_u32_e64 s[0:1], 8, v0
	v_and_b32_e32 v22, 7, v22
	v_cndmask_b32_e64 v0, v11, v8, s[0:1]
	v_mov_b32_e32 v8, 24
	v_cndmask_b32_e64 v7, v7, v22, s[0:1]
	v_lshlrev_b32_sdwa v8, v8, v15 dst_sel:DWORD dst_unused:UNUSED_PAD src0_sel:DWORD src1_sel:BYTE_3
	v_lshl_add_u32 v0, v0, 23, v38
	v_and_or_b32 v0, v8, s30, v0
	v_lshlrev_b32_e32 v7, 20, v7
	v_or_b32_e32 v23, v0, v7
	v_mov_b32_e32 v22, v5
.LBB170_308:                            ;   in Loop: Header=BB170_233 Depth=1
	s_or_b64 exec, exec, s[18:19]
.LBB170_309:                            ;   in Loop: Header=BB170_233 Depth=1
	s_or_b64 exec, exec, s[16:17]
.LBB170_310:                            ;   in Loop: Header=BB170_233 Depth=1
	s_or_b64 exec, exec, s[12:13]
	v_or_b32_e32 v0, v19, v17
	v_or_b32_e32 v7, v18, v16
	v_mul_f32_e32 v55, s38, v0
	v_mul_f32_e32 v58, s37, v7
	v_or_b32_e32 v0, v23, v21
	v_or_b32_e32 v7, v22, v20
	v_mul_f32_e32 v57, s37, v7
	v_mul_f32_e32 v56, s38, v0
	s_and_saveexec_b64 s[12:13], vcc
; %bb.311:                              ;   in Loop: Header=BB170_233 Depth=1
	v_cmp_gt_i32_e64 s[0:1], s33, v47
	v_cndmask_b32_e64 v58, 0, v58, s[0:1]
	v_cmp_gt_i32_e64 s[0:1], s33, v50
	v_cndmask_b32_e64 v55, 0, v55, s[0:1]
	;; [unrolled: 2-line block ×4, first 2 shown]
; %bb.312:                              ;   in Loop: Header=BB170_233 Depth=1
	s_or_b64 exec, exec, s[12:13]
	global_load_dword v15, v[13:14], off offset:768
	v_mov_b32_e32 v18, 0
	v_mov_b32_e32 v16, 0
	;; [unrolled: 1-line block ×4, first 2 shown]
	s_waitcnt vmcnt(0)
	v_cmp_ne_u16_sdwa s[0:1], v15, v5 src0_sel:BYTE_0 src1_sel:DWORD
	s_and_saveexec_b64 s[12:13], s[0:1]
	s_cbranch_execz .LBB170_318
; %bb.313:                              ;   in Loop: Header=BB170_233 Depth=1
	v_bfrev_b32_e32 v16, 1
	v_mov_b32_e32 v17, 0
	v_cmp_ne_u16_sdwa s[0:1], v15, s28 src0_sel:BYTE_0 src1_sel:DWORD
	s_and_saveexec_b64 s[16:17], s[0:1]
	s_cbranch_execz .LBB170_317
; %bb.314:                              ;   in Loop: Header=BB170_233 Depth=1
	v_and_b32_e32 v0, 0x7f, v15
	v_mov_b32_e32 v16, 0x7f800001
	v_mov_b32_e32 v17, 0
	v_cmp_ne_u32_e64 s[0:1], s29, v0
	s_and_saveexec_b64 s[18:19], s[0:1]
	s_cbranch_execz .LBB170_316
; %bb.315:                              ;   in Loop: Header=BB170_233 Depth=1
	v_and_b32_e32 v11, 7, v15
	v_ffbh_u32_e32 v7, v11
	v_min_u32_e32 v17, 32, v7
	v_lshrrev_b32_e32 v16, 3, v0
	v_subrev_u32_e32 v7, 28, v17
	v_lshlrev_b64 v[7:8], v7, v[15:16]
	v_sub_u32_e32 v8, 29, v17
	v_and_b32_e32 v7, 7, v7
	v_cmp_gt_u32_e64 s[0:1], 8, v0
	v_cndmask_b32_e64 v0, v16, v8, s[0:1]
	v_cndmask_b32_e64 v7, v11, v7, s[0:1]
	v_lshlrev_b32_e32 v7, 20, v7
	v_and_b32_sdwa v8, sext(v15), s30 dst_sel:DWORD dst_unused:UNUSED_PAD src0_sel:BYTE_0 src1_sel:DWORD
	v_lshl_add_u32 v0, v0, 23, v38
	v_or3_b32 v16, v8, v0, v7
	v_mov_b32_e32 v17, v5
.LBB170_316:                            ;   in Loop: Header=BB170_233 Depth=1
	s_or_b64 exec, exec, s[18:19]
.LBB170_317:                            ;   in Loop: Header=BB170_233 Depth=1
	s_or_b64 exec, exec, s[16:17]
.LBB170_318:                            ;   in Loop: Header=BB170_233 Depth=1
	s_or_b64 exec, exec, s[12:13]
	v_cmp_ne_u16_sdwa s[0:1], v15, v5 src0_sel:BYTE_1 src1_sel:DWORD
	s_and_saveexec_b64 s[12:13], s[0:1]
	s_cbranch_execz .LBB170_324
; %bb.319:                              ;   in Loop: Header=BB170_233 Depth=1
	v_mov_b32_e32 v19, v6
	v_cmp_ne_u16_sdwa s[0:1], v15, s28 src0_sel:BYTE_1 src1_sel:DWORD
	v_mov_b32_e32 v18, v5
	s_and_saveexec_b64 s[16:17], s[0:1]
	s_cbranch_execz .LBB170_323
; %bb.320:                              ;   in Loop: Header=BB170_233 Depth=1
	v_and_b32_sdwa v0, v15, s29 dst_sel:DWORD dst_unused:UNUSED_PAD src0_sel:BYTE_1 src1_sel:DWORD
	v_mov_b32_e32 v11, v5
	v_mov_b32_e32 v19, v12
	v_cmp_ne_u32_e64 s[0:1], s29, v0
	v_mov_b32_e32 v18, v11
	s_and_saveexec_b64 s[18:19], s[0:1]
	s_cbranch_execz .LBB170_322
; %bb.321:                              ;   in Loop: Header=BB170_233 Depth=1
	v_and_b32_sdwa v7, v15, v44 dst_sel:DWORD dst_unused:UNUSED_PAD src0_sel:BYTE_1 src1_sel:DWORD
	v_ffbh_u32_e32 v18, v7
	v_min_u32_e32 v20, 32, v18
	v_mov_b32_e32 v8, v5
	v_subrev_u32_e32 v18, 28, v20
	v_lshlrev_b64 v[18:19], v18, v[7:8]
	v_lshrrev_b32_e32 v11, 3, v0
	v_sub_u32_e32 v8, 29, v20
	v_cmp_gt_u32_e64 s[0:1], 8, v0
	v_and_b32_e32 v18, 7, v18
	v_cndmask_b32_e64 v0, v11, v8, s[0:1]
	v_cndmask_b32_e64 v7, v7, v18, s[0:1]
	v_lshlrev_b32_e32 v8, 16, v15
	v_lshl_add_u32 v0, v0, 23, v38
	v_and_or_b32 v0, v8, s30, v0
	v_lshlrev_b32_e32 v7, 20, v7
	v_or_b32_e32 v19, v0, v7
	v_mov_b32_e32 v18, v5
.LBB170_322:                            ;   in Loop: Header=BB170_233 Depth=1
	s_or_b64 exec, exec, s[18:19]
.LBB170_323:                            ;   in Loop: Header=BB170_233 Depth=1
	s_or_b64 exec, exec, s[16:17]
.LBB170_324:                            ;   in Loop: Header=BB170_233 Depth=1
	s_or_b64 exec, exec, s[12:13]
	v_lshrrev_b32_e32 v11, 16, v15
	v_mov_b32_e32 v22, 0
	v_mov_b32_e32 v20, 0
	;; [unrolled: 1-line block ×4, first 2 shown]
	v_cmp_ne_u16_sdwa s[0:1], v11, v5 src0_sel:BYTE_0 src1_sel:DWORD
	s_and_saveexec_b64 s[12:13], s[0:1]
	s_cbranch_execz .LBB170_330
; %bb.325:                              ;   in Loop: Header=BB170_233 Depth=1
	v_bfrev_b32_e32 v20, 1
	v_mov_b32_e32 v21, 0
	v_cmp_ne_u16_sdwa s[0:1], v11, s28 src0_sel:BYTE_0 src1_sel:DWORD
	s_and_saveexec_b64 s[16:17], s[0:1]
	s_cbranch_execz .LBB170_329
; %bb.326:                              ;   in Loop: Header=BB170_233 Depth=1
	v_bfe_u32 v0, v15, 16, 7
	v_mov_b32_e32 v20, 0x7f800001
	v_mov_b32_e32 v21, 0
	v_cmp_ne_u32_e64 s[0:1], s29, v0
	s_and_saveexec_b64 s[18:19], s[0:1]
	s_cbranch_execz .LBB170_328
; %bb.327:                              ;   in Loop: Header=BB170_233 Depth=1
	v_and_b32_e32 v20, 7, v11
	v_ffbh_u32_e32 v7, v20
	v_min_u32_e32 v24, 32, v7
	v_subrev_u32_e32 v7, 28, v24
	v_lshlrev_b64 v[7:8], v7, v[11:12]
	v_lshrrev_b32_e32 v21, 3, v0
	v_sub_u32_e32 v8, 29, v24
	v_and_b32_e32 v7, 7, v7
	v_cmp_gt_u32_e64 s[0:1], 8, v0
	v_cndmask_b32_e64 v0, v21, v8, s[0:1]
	v_cndmask_b32_e64 v7, v20, v7, s[0:1]
	v_lshlrev_b32_e32 v7, 20, v7
	v_and_b32_sdwa v8, sext(v11), s30 dst_sel:DWORD dst_unused:UNUSED_PAD src0_sel:BYTE_0 src1_sel:DWORD
	v_lshl_add_u32 v0, v0, 23, v38
	v_or3_b32 v20, v8, v0, v7
	v_mov_b32_e32 v21, v5
.LBB170_328:                            ;   in Loop: Header=BB170_233 Depth=1
	s_or_b64 exec, exec, s[18:19]
.LBB170_329:                            ;   in Loop: Header=BB170_233 Depth=1
	s_or_b64 exec, exec, s[16:17]
.LBB170_330:                            ;   in Loop: Header=BB170_233 Depth=1
	s_or_b64 exec, exec, s[12:13]
	v_cmp_lt_u32_e64 s[0:1], s31, v15
	s_and_saveexec_b64 s[12:13], s[0:1]
	s_cbranch_execz .LBB170_336
; %bb.331:                              ;   in Loop: Header=BB170_233 Depth=1
	v_mov_b32_e32 v23, v6
	v_cmp_ne_u32_sdwa s[0:1], v15, s28 src0_sel:BYTE_3 src1_sel:DWORD
	v_mov_b32_e32 v22, v5
	s_and_saveexec_b64 s[16:17], s[0:1]
	s_cbranch_execz .LBB170_335
; %bb.332:                              ;   in Loop: Header=BB170_233 Depth=1
	v_bfe_u32 v0, v15, 24, 7
	v_mov_b32_e32 v11, v5
	v_mov_b32_e32 v23, v12
	v_cmp_ne_u32_e64 s[0:1], s29, v0
	v_mov_b32_e32 v22, v11
	s_and_saveexec_b64 s[18:19], s[0:1]
	s_cbranch_execz .LBB170_334
; %bb.333:                              ;   in Loop: Header=BB170_233 Depth=1
	v_and_b32_sdwa v7, v15, v44 dst_sel:DWORD dst_unused:UNUSED_PAD src0_sel:BYTE_3 src1_sel:DWORD
	v_ffbh_u32_e32 v22, v7
	v_min_u32_e32 v24, 32, v22
	v_mov_b32_e32 v8, v5
	v_subrev_u32_e32 v22, 28, v24
	v_lshlrev_b64 v[22:23], v22, v[7:8]
	v_lshrrev_b32_e32 v11, 3, v0
	v_sub_u32_e32 v8, 29, v24
	v_cmp_gt_u32_e64 s[0:1], 8, v0
	v_and_b32_e32 v22, 7, v22
	v_cndmask_b32_e64 v0, v11, v8, s[0:1]
	v_mov_b32_e32 v8, 24
	v_cndmask_b32_e64 v7, v7, v22, s[0:1]
	v_lshlrev_b32_sdwa v8, v8, v15 dst_sel:DWORD dst_unused:UNUSED_PAD src0_sel:DWORD src1_sel:BYTE_3
	v_lshl_add_u32 v0, v0, 23, v38
	v_and_or_b32 v0, v8, s30, v0
	v_lshlrev_b32_e32 v7, 20, v7
	v_or_b32_e32 v23, v0, v7
	v_mov_b32_e32 v22, v5
.LBB170_334:                            ;   in Loop: Header=BB170_233 Depth=1
	s_or_b64 exec, exec, s[18:19]
.LBB170_335:                            ;   in Loop: Header=BB170_233 Depth=1
	s_or_b64 exec, exec, s[16:17]
.LBB170_336:                            ;   in Loop: Header=BB170_233 Depth=1
	s_or_b64 exec, exec, s[12:13]
	v_or_b32_e32 v0, v19, v17
	v_or_b32_e32 v7, v18, v16
	v_mul_f32_e32 v59, s38, v0
	v_mul_f32_e32 v62, s37, v7
	v_or_b32_e32 v0, v23, v21
	v_or_b32_e32 v7, v22, v20
	v_mul_f32_e32 v61, s37, v7
	v_mul_f32_e32 v60, s38, v0
	s_and_saveexec_b64 s[12:13], vcc
; %bb.337:                              ;   in Loop: Header=BB170_233 Depth=1
	v_cmp_gt_i32_e64 s[0:1], s33, v47
	v_cndmask_b32_e64 v62, 0, v62, s[0:1]
	v_cmp_gt_i32_e64 s[0:1], s33, v50
	v_cndmask_b32_e64 v59, 0, v59, s[0:1]
	;; [unrolled: 2-line block ×4, first 2 shown]
; %bb.338:                              ;   in Loop: Header=BB170_233 Depth=1
	s_or_b64 exec, exec, s[12:13]
	global_load_dword v15, v[13:14], off offset:1024
	v_mov_b32_e32 v18, 0
	v_mov_b32_e32 v16, 0
	;; [unrolled: 1-line block ×4, first 2 shown]
	s_waitcnt vmcnt(0)
	v_cmp_ne_u16_sdwa s[0:1], v15, v5 src0_sel:BYTE_0 src1_sel:DWORD
	s_and_saveexec_b64 s[12:13], s[0:1]
	s_cbranch_execz .LBB170_344
; %bb.339:                              ;   in Loop: Header=BB170_233 Depth=1
	v_bfrev_b32_e32 v16, 1
	v_mov_b32_e32 v17, 0
	v_cmp_ne_u16_sdwa s[0:1], v15, s28 src0_sel:BYTE_0 src1_sel:DWORD
	s_and_saveexec_b64 s[16:17], s[0:1]
	s_cbranch_execz .LBB170_343
; %bb.340:                              ;   in Loop: Header=BB170_233 Depth=1
	v_and_b32_e32 v0, 0x7f, v15
	v_mov_b32_e32 v16, 0x7f800001
	v_mov_b32_e32 v17, 0
	v_cmp_ne_u32_e64 s[0:1], s29, v0
	s_and_saveexec_b64 s[18:19], s[0:1]
	s_cbranch_execz .LBB170_342
; %bb.341:                              ;   in Loop: Header=BB170_233 Depth=1
	v_and_b32_e32 v11, 7, v15
	v_ffbh_u32_e32 v7, v11
	v_min_u32_e32 v17, 32, v7
	v_lshrrev_b32_e32 v16, 3, v0
	v_subrev_u32_e32 v7, 28, v17
	v_lshlrev_b64 v[7:8], v7, v[15:16]
	v_sub_u32_e32 v8, 29, v17
	v_and_b32_e32 v7, 7, v7
	v_cmp_gt_u32_e64 s[0:1], 8, v0
	v_cndmask_b32_e64 v0, v16, v8, s[0:1]
	v_cndmask_b32_e64 v7, v11, v7, s[0:1]
	v_lshlrev_b32_e32 v7, 20, v7
	v_and_b32_sdwa v8, sext(v15), s30 dst_sel:DWORD dst_unused:UNUSED_PAD src0_sel:BYTE_0 src1_sel:DWORD
	v_lshl_add_u32 v0, v0, 23, v38
	v_or3_b32 v16, v8, v0, v7
	v_mov_b32_e32 v17, v5
.LBB170_342:                            ;   in Loop: Header=BB170_233 Depth=1
	s_or_b64 exec, exec, s[18:19]
.LBB170_343:                            ;   in Loop: Header=BB170_233 Depth=1
	s_or_b64 exec, exec, s[16:17]
.LBB170_344:                            ;   in Loop: Header=BB170_233 Depth=1
	s_or_b64 exec, exec, s[12:13]
	v_cmp_ne_u16_sdwa s[0:1], v15, v5 src0_sel:BYTE_1 src1_sel:DWORD
	s_and_saveexec_b64 s[12:13], s[0:1]
	s_cbranch_execz .LBB170_350
; %bb.345:                              ;   in Loop: Header=BB170_233 Depth=1
	v_mov_b32_e32 v19, v6
	v_cmp_ne_u16_sdwa s[0:1], v15, s28 src0_sel:BYTE_1 src1_sel:DWORD
	v_mov_b32_e32 v18, v5
	s_and_saveexec_b64 s[16:17], s[0:1]
	s_cbranch_execz .LBB170_349
; %bb.346:                              ;   in Loop: Header=BB170_233 Depth=1
	v_and_b32_sdwa v0, v15, s29 dst_sel:DWORD dst_unused:UNUSED_PAD src0_sel:BYTE_1 src1_sel:DWORD
	v_mov_b32_e32 v11, v5
	v_mov_b32_e32 v19, v12
	v_cmp_ne_u32_e64 s[0:1], s29, v0
	v_mov_b32_e32 v18, v11
	s_and_saveexec_b64 s[18:19], s[0:1]
	s_cbranch_execz .LBB170_348
; %bb.347:                              ;   in Loop: Header=BB170_233 Depth=1
	v_and_b32_sdwa v7, v15, v44 dst_sel:DWORD dst_unused:UNUSED_PAD src0_sel:BYTE_1 src1_sel:DWORD
	v_ffbh_u32_e32 v18, v7
	v_min_u32_e32 v20, 32, v18
	v_mov_b32_e32 v8, v5
	v_subrev_u32_e32 v18, 28, v20
	v_lshlrev_b64 v[18:19], v18, v[7:8]
	v_lshrrev_b32_e32 v11, 3, v0
	v_sub_u32_e32 v8, 29, v20
	v_cmp_gt_u32_e64 s[0:1], 8, v0
	v_and_b32_e32 v18, 7, v18
	v_cndmask_b32_e64 v0, v11, v8, s[0:1]
	v_cndmask_b32_e64 v7, v7, v18, s[0:1]
	v_lshlrev_b32_e32 v8, 16, v15
	v_lshl_add_u32 v0, v0, 23, v38
	v_and_or_b32 v0, v8, s30, v0
	v_lshlrev_b32_e32 v7, 20, v7
	v_or_b32_e32 v19, v0, v7
	v_mov_b32_e32 v18, v5
.LBB170_348:                            ;   in Loop: Header=BB170_233 Depth=1
	s_or_b64 exec, exec, s[18:19]
.LBB170_349:                            ;   in Loop: Header=BB170_233 Depth=1
	s_or_b64 exec, exec, s[16:17]
.LBB170_350:                            ;   in Loop: Header=BB170_233 Depth=1
	s_or_b64 exec, exec, s[12:13]
	v_lshrrev_b32_e32 v11, 16, v15
	v_mov_b32_e32 v22, 0
	v_mov_b32_e32 v20, 0
	;; [unrolled: 1-line block ×4, first 2 shown]
	v_cmp_ne_u16_sdwa s[0:1], v11, v5 src0_sel:BYTE_0 src1_sel:DWORD
	s_and_saveexec_b64 s[12:13], s[0:1]
	s_cbranch_execz .LBB170_356
; %bb.351:                              ;   in Loop: Header=BB170_233 Depth=1
	v_bfrev_b32_e32 v20, 1
	v_mov_b32_e32 v21, 0
	v_cmp_ne_u16_sdwa s[0:1], v11, s28 src0_sel:BYTE_0 src1_sel:DWORD
	s_and_saveexec_b64 s[16:17], s[0:1]
	s_cbranch_execz .LBB170_355
; %bb.352:                              ;   in Loop: Header=BB170_233 Depth=1
	v_bfe_u32 v0, v15, 16, 7
	v_mov_b32_e32 v20, 0x7f800001
	v_mov_b32_e32 v21, 0
	v_cmp_ne_u32_e64 s[0:1], s29, v0
	s_and_saveexec_b64 s[18:19], s[0:1]
	s_cbranch_execz .LBB170_354
; %bb.353:                              ;   in Loop: Header=BB170_233 Depth=1
	v_and_b32_e32 v20, 7, v11
	v_lshrrev_b32_e32 v21, 3, v0
	v_cmp_gt_u32_e64 s[0:1], 8, v0
	v_ffbh_u32_e32 v0, v20
	v_min_u32_e32 v0, 32, v0
	v_subrev_u32_e32 v7, 28, v0
	v_lshlrev_b64 v[7:8], v7, v[11:12]
	v_sub_u32_e32 v0, 29, v0
	v_and_b32_e32 v7, 7, v7
	v_cndmask_b32_e64 v0, v21, v0, s[0:1]
	v_cndmask_b32_e64 v7, v20, v7, s[0:1]
	v_lshlrev_b32_e32 v7, 20, v7
	v_and_b32_sdwa v8, sext(v11), s30 dst_sel:DWORD dst_unused:UNUSED_PAD src0_sel:BYTE_0 src1_sel:DWORD
	v_lshl_add_u32 v0, v0, 23, v38
	v_or3_b32 v20, v8, v0, v7
	v_mov_b32_e32 v21, v5
.LBB170_354:                            ;   in Loop: Header=BB170_233 Depth=1
	s_or_b64 exec, exec, s[18:19]
.LBB170_355:                            ;   in Loop: Header=BB170_233 Depth=1
	s_or_b64 exec, exec, s[16:17]
.LBB170_356:                            ;   in Loop: Header=BB170_233 Depth=1
	s_or_b64 exec, exec, s[12:13]
	v_cmp_lt_u32_e64 s[0:1], s31, v15
	s_and_saveexec_b64 s[12:13], s[0:1]
	s_cbranch_execz .LBB170_362
; %bb.357:                              ;   in Loop: Header=BB170_233 Depth=1
	v_mov_b32_e32 v23, v6
	v_cmp_ne_u32_sdwa s[0:1], v15, s28 src0_sel:BYTE_3 src1_sel:DWORD
	v_mov_b32_e32 v22, v5
	s_and_saveexec_b64 s[16:17], s[0:1]
	s_cbranch_execz .LBB170_361
; %bb.358:                              ;   in Loop: Header=BB170_233 Depth=1
	v_bfe_u32 v0, v15, 24, 7
	v_mov_b32_e32 v11, v5
	v_mov_b32_e32 v23, v12
	v_cmp_ne_u32_e64 s[0:1], s29, v0
	v_mov_b32_e32 v22, v11
	s_and_saveexec_b64 s[18:19], s[0:1]
	s_cbranch_execz .LBB170_360
; %bb.359:                              ;   in Loop: Header=BB170_233 Depth=1
	v_and_b32_sdwa v7, v15, v44 dst_sel:DWORD dst_unused:UNUSED_PAD src0_sel:BYTE_3 src1_sel:DWORD
	v_lshrrev_b32_e32 v11, 3, v0
	v_cmp_gt_u32_e64 s[0:1], 8, v0
	v_ffbh_u32_e32 v0, v7
	v_min_u32_e32 v0, 32, v0
	v_mov_b32_e32 v8, v5
	v_subrev_u32_e32 v22, 28, v0
	v_lshlrev_b64 v[22:23], v22, v[7:8]
	v_sub_u32_e32 v0, 29, v0
	v_and_b32_e32 v8, 7, v22
	v_cndmask_b32_e64 v0, v11, v0, s[0:1]
	v_cndmask_b32_e64 v7, v7, v8, s[0:1]
	v_mov_b32_e32 v8, 24
	v_lshlrev_b32_sdwa v8, v8, v15 dst_sel:DWORD dst_unused:UNUSED_PAD src0_sel:DWORD src1_sel:BYTE_3
	v_lshl_add_u32 v0, v0, 23, v38
	v_and_or_b32 v0, v8, s30, v0
	v_lshlrev_b32_e32 v7, 20, v7
	v_or_b32_e32 v23, v0, v7
	v_mov_b32_e32 v22, v5
.LBB170_360:                            ;   in Loop: Header=BB170_233 Depth=1
	s_or_b64 exec, exec, s[18:19]
.LBB170_361:                            ;   in Loop: Header=BB170_233 Depth=1
	s_or_b64 exec, exec, s[16:17]
.LBB170_362:                            ;   in Loop: Header=BB170_233 Depth=1
	s_or_b64 exec, exec, s[12:13]
	v_or_b32_e32 v7, v18, v16
	v_or_b32_e32 v0, v19, v17
	v_mul_f32_e32 v24, s37, v7
	v_or_b32_e32 v7, v23, v21
	v_or_b32_e32 v8, v22, v20
	v_mul_f32_e32 v0, s38, v0
	v_mul_f32_e32 v26, s37, v8
	;; [unrolled: 1-line block ×3, first 2 shown]
	s_and_saveexec_b64 s[12:13], vcc
; %bb.363:                              ;   in Loop: Header=BB170_233 Depth=1
	v_cmp_gt_i32_e64 s[0:1], s33, v47
	v_cndmask_b32_e64 v24, 0, v24, s[0:1]
	v_cmp_gt_i32_e64 s[0:1], s33, v50
	v_cndmask_b32_e64 v0, 0, v0, s[0:1]
	;; [unrolled: 2-line block ×4, first 2 shown]
; %bb.364:                              ;   in Loop: Header=BB170_233 Depth=1
	s_or_b64 exec, exec, s[12:13]
	global_load_dword v15, v[13:14], off offset:1280
	v_mov_b32_e32 v18, 0
	v_mov_b32_e32 v16, 0
	;; [unrolled: 1-line block ×4, first 2 shown]
	s_waitcnt vmcnt(0)
	v_cmp_ne_u16_sdwa s[0:1], v15, v5 src0_sel:BYTE_0 src1_sel:DWORD
	s_and_saveexec_b64 s[12:13], s[0:1]
	s_cbranch_execz .LBB170_370
; %bb.365:                              ;   in Loop: Header=BB170_233 Depth=1
	v_bfrev_b32_e32 v16, 1
	v_mov_b32_e32 v17, 0
	v_cmp_ne_u16_sdwa s[0:1], v15, s28 src0_sel:BYTE_0 src1_sel:DWORD
	s_and_saveexec_b64 s[16:17], s[0:1]
	s_cbranch_execz .LBB170_369
; %bb.366:                              ;   in Loop: Header=BB170_233 Depth=1
	v_and_b32_e32 v7, 0x7f, v15
	v_mov_b32_e32 v16, 0x7f800001
	v_mov_b32_e32 v17, 0
	v_cmp_ne_u32_e64 s[0:1], s29, v7
	s_and_saveexec_b64 s[18:19], s[0:1]
	s_cbranch_execz .LBB170_368
; %bb.367:                              ;   in Loop: Header=BB170_233 Depth=1
	v_and_b32_e32 v11, 7, v15
	v_lshrrev_b32_e32 v16, 3, v7
	v_cmp_gt_u32_e64 s[0:1], 8, v7
	v_ffbh_u32_e32 v7, v11
	v_min_u32_e32 v17, 32, v7
	v_subrev_u32_e32 v7, 28, v17
	v_lshlrev_b64 v[7:8], v7, v[15:16]
	v_sub_u32_e32 v8, 29, v17
	v_and_b32_e32 v7, 7, v7
	v_cndmask_b32_e64 v8, v16, v8, s[0:1]
	v_cndmask_b32_e64 v7, v11, v7, s[0:1]
	v_lshlrev_b32_e32 v7, 20, v7
	v_and_b32_sdwa v11, sext(v15), s30 dst_sel:DWORD dst_unused:UNUSED_PAD src0_sel:BYTE_0 src1_sel:DWORD
	v_lshl_add_u32 v8, v8, 23, v38
	v_or3_b32 v16, v11, v8, v7
	v_mov_b32_e32 v17, v5
.LBB170_368:                            ;   in Loop: Header=BB170_233 Depth=1
	s_or_b64 exec, exec, s[18:19]
.LBB170_369:                            ;   in Loop: Header=BB170_233 Depth=1
	s_or_b64 exec, exec, s[16:17]
.LBB170_370:                            ;   in Loop: Header=BB170_233 Depth=1
	s_or_b64 exec, exec, s[12:13]
	v_cmp_ne_u16_sdwa s[0:1], v15, v5 src0_sel:BYTE_1 src1_sel:DWORD
	s_and_saveexec_b64 s[12:13], s[0:1]
	s_cbranch_execz .LBB170_376
; %bb.371:                              ;   in Loop: Header=BB170_233 Depth=1
	v_mov_b32_e32 v19, v6
	v_cmp_ne_u16_sdwa s[0:1], v15, s28 src0_sel:BYTE_1 src1_sel:DWORD
	v_mov_b32_e32 v18, v5
	s_and_saveexec_b64 s[16:17], s[0:1]
	s_cbranch_execz .LBB170_375
; %bb.372:                              ;   in Loop: Header=BB170_233 Depth=1
	v_and_b32_sdwa v7, v15, s29 dst_sel:DWORD dst_unused:UNUSED_PAD src0_sel:BYTE_1 src1_sel:DWORD
	v_mov_b32_e32 v11, v5
	v_mov_b32_e32 v19, v12
	v_cmp_ne_u32_e64 s[0:1], s29, v7
	v_mov_b32_e32 v18, v11
	s_and_saveexec_b64 s[18:19], s[0:1]
	s_cbranch_execz .LBB170_374
; %bb.373:                              ;   in Loop: Header=BB170_233 Depth=1
	v_and_b32_sdwa v18, v15, v44 dst_sel:DWORD dst_unused:UNUSED_PAD src0_sel:BYTE_1 src1_sel:DWORD
	v_lshrrev_b32_e32 v11, 3, v7
	v_cmp_gt_u32_e64 s[0:1], 8, v7
	v_ffbh_u32_e32 v7, v18
	v_min_u32_e32 v20, 32, v7
	v_mov_b32_e32 v19, v5
	v_subrev_u32_e32 v7, 28, v20
	v_lshlrev_b64 v[7:8], v7, v[18:19]
	v_sub_u32_e32 v8, 29, v20
	v_and_b32_e32 v7, 7, v7
	v_cndmask_b32_e64 v8, v11, v8, s[0:1]
	v_cndmask_b32_e64 v7, v18, v7, s[0:1]
	v_lshlrev_b32_e32 v11, 16, v15
	v_lshl_add_u32 v8, v8, 23, v38
	v_and_or_b32 v8, v11, s30, v8
	v_lshlrev_b32_e32 v7, 20, v7
	v_or_b32_e32 v19, v8, v7
	v_mov_b32_e32 v18, v5
.LBB170_374:                            ;   in Loop: Header=BB170_233 Depth=1
	s_or_b64 exec, exec, s[18:19]
.LBB170_375:                            ;   in Loop: Header=BB170_233 Depth=1
	s_or_b64 exec, exec, s[16:17]
.LBB170_376:                            ;   in Loop: Header=BB170_233 Depth=1
	s_or_b64 exec, exec, s[12:13]
	v_lshrrev_b32_e32 v11, 16, v15
	v_mov_b32_e32 v22, 0
	v_mov_b32_e32 v20, 0
	;; [unrolled: 1-line block ×4, first 2 shown]
	v_cmp_ne_u16_sdwa s[0:1], v11, v5 src0_sel:BYTE_0 src1_sel:DWORD
	s_and_saveexec_b64 s[12:13], s[0:1]
	s_cbranch_execz .LBB170_382
; %bb.377:                              ;   in Loop: Header=BB170_233 Depth=1
	v_bfrev_b32_e32 v20, 1
	v_mov_b32_e32 v21, 0
	v_cmp_ne_u16_sdwa s[0:1], v11, s28 src0_sel:BYTE_0 src1_sel:DWORD
	s_and_saveexec_b64 s[16:17], s[0:1]
	s_cbranch_execz .LBB170_381
; %bb.378:                              ;   in Loop: Header=BB170_233 Depth=1
	v_bfe_u32 v7, v15, 16, 7
	v_mov_b32_e32 v20, 0x7f800001
	v_mov_b32_e32 v21, 0
	v_cmp_ne_u32_e64 s[0:1], s29, v7
	s_and_saveexec_b64 s[18:19], s[0:1]
	s_cbranch_execz .LBB170_380
; %bb.379:                              ;   in Loop: Header=BB170_233 Depth=1
	v_and_b32_e32 v20, 7, v11
	v_lshrrev_b32_e32 v21, 3, v7
	v_cmp_gt_u32_e64 s[0:1], 8, v7
	v_ffbh_u32_e32 v7, v20
	v_min_u32_e32 v25, 32, v7
	v_subrev_u32_e32 v7, 28, v25
	v_lshlrev_b64 v[7:8], v7, v[11:12]
	v_sub_u32_e32 v8, 29, v25
	v_and_b32_e32 v7, 7, v7
	v_cndmask_b32_e64 v8, v21, v8, s[0:1]
	v_cndmask_b32_e64 v7, v20, v7, s[0:1]
	v_lshlrev_b32_e32 v7, 20, v7
	v_and_b32_sdwa v11, sext(v11), s30 dst_sel:DWORD dst_unused:UNUSED_PAD src0_sel:BYTE_0 src1_sel:DWORD
	v_lshl_add_u32 v8, v8, 23, v38
	v_or3_b32 v20, v11, v8, v7
	v_mov_b32_e32 v21, v5
.LBB170_380:                            ;   in Loop: Header=BB170_233 Depth=1
	s_or_b64 exec, exec, s[18:19]
.LBB170_381:                            ;   in Loop: Header=BB170_233 Depth=1
	s_or_b64 exec, exec, s[16:17]
.LBB170_382:                            ;   in Loop: Header=BB170_233 Depth=1
	s_or_b64 exec, exec, s[12:13]
	v_cmp_lt_u32_e64 s[0:1], s31, v15
	s_and_saveexec_b64 s[12:13], s[0:1]
	s_cbranch_execz .LBB170_388
; %bb.383:                              ;   in Loop: Header=BB170_233 Depth=1
	v_mov_b32_e32 v23, v6
	v_cmp_ne_u32_sdwa s[0:1], v15, s28 src0_sel:BYTE_3 src1_sel:DWORD
	v_mov_b32_e32 v22, v5
	s_and_saveexec_b64 s[16:17], s[0:1]
	s_cbranch_execz .LBB170_387
; %bb.384:                              ;   in Loop: Header=BB170_233 Depth=1
	v_bfe_u32 v7, v15, 24, 7
	v_mov_b32_e32 v11, v5
	v_mov_b32_e32 v23, v12
	v_cmp_ne_u32_e64 s[0:1], s29, v7
	v_mov_b32_e32 v22, v11
	s_and_saveexec_b64 s[18:19], s[0:1]
	s_cbranch_execz .LBB170_386
; %bb.385:                              ;   in Loop: Header=BB170_233 Depth=1
	v_and_b32_sdwa v22, v15, v44 dst_sel:DWORD dst_unused:UNUSED_PAD src0_sel:BYTE_3 src1_sel:DWORD
	v_lshrrev_b32_e32 v11, 3, v7
	v_cmp_gt_u32_e64 s[0:1], 8, v7
	v_ffbh_u32_e32 v7, v22
	v_min_u32_e32 v25, 32, v7
	v_mov_b32_e32 v23, v5
	v_subrev_u32_e32 v7, 28, v25
	v_lshlrev_b64 v[7:8], v7, v[22:23]
	v_sub_u32_e32 v8, 29, v25
	v_and_b32_e32 v7, 7, v7
	v_cndmask_b32_e64 v8, v11, v8, s[0:1]
	v_mov_b32_e32 v11, 24
	v_cndmask_b32_e64 v7, v22, v7, s[0:1]
	v_lshlrev_b32_sdwa v11, v11, v15 dst_sel:DWORD dst_unused:UNUSED_PAD src0_sel:DWORD src1_sel:BYTE_3
	v_lshl_add_u32 v8, v8, 23, v38
	v_and_or_b32 v8, v11, s30, v8
	v_lshlrev_b32_e32 v7, 20, v7
	v_or_b32_e32 v23, v8, v7
	v_mov_b32_e32 v22, v5
.LBB170_386:                            ;   in Loop: Header=BB170_233 Depth=1
	s_or_b64 exec, exec, s[18:19]
.LBB170_387:                            ;   in Loop: Header=BB170_233 Depth=1
	s_or_b64 exec, exec, s[16:17]
.LBB170_388:                            ;   in Loop: Header=BB170_233 Depth=1
	s_or_b64 exec, exec, s[12:13]
	v_or_b32_e32 v7, v19, v17
	v_or_b32_e32 v8, v18, v16
	v_mul_f32_e32 v42, s38, v7
	v_mul_f32_e32 v7, s37, v8
	v_or_b32_e32 v8, v23, v21
	v_or_b32_e32 v11, v22, v20
	v_mul_f32_e32 v32, s37, v11
	v_mul_f32_e32 v39, s38, v8
	s_and_saveexec_b64 s[12:13], vcc
; %bb.389:                              ;   in Loop: Header=BB170_233 Depth=1
	v_cmp_gt_i32_e64 s[0:1], s33, v47
	v_cndmask_b32_e64 v7, 0, v7, s[0:1]
	v_cmp_gt_i32_e64 s[0:1], s33, v50
	v_cndmask_b32_e64 v42, 0, v42, s[0:1]
	;; [unrolled: 2-line block ×4, first 2 shown]
; %bb.390:                              ;   in Loop: Header=BB170_233 Depth=1
	s_or_b64 exec, exec, s[12:13]
	global_load_dword v15, v[13:14], off offset:1536
	v_mov_b32_e32 v18, 0
	v_mov_b32_e32 v16, 0
	;; [unrolled: 1-line block ×4, first 2 shown]
	s_waitcnt vmcnt(0)
	v_cmp_ne_u16_sdwa s[0:1], v15, v5 src0_sel:BYTE_0 src1_sel:DWORD
	s_and_saveexec_b64 s[12:13], s[0:1]
	s_cbranch_execz .LBB170_396
; %bb.391:                              ;   in Loop: Header=BB170_233 Depth=1
	v_bfrev_b32_e32 v16, 1
	v_mov_b32_e32 v17, 0
	v_cmp_ne_u16_sdwa s[0:1], v15, s28 src0_sel:BYTE_0 src1_sel:DWORD
	s_and_saveexec_b64 s[16:17], s[0:1]
	s_cbranch_execz .LBB170_395
; %bb.392:                              ;   in Loop: Header=BB170_233 Depth=1
	v_and_b32_e32 v8, 0x7f, v15
	v_mov_b32_e32 v16, 0x7f800001
	v_mov_b32_e32 v17, 0
	v_cmp_ne_u32_e64 s[0:1], s29, v8
	s_and_saveexec_b64 s[18:19], s[0:1]
	s_cbranch_execz .LBB170_394
; %bb.393:                              ;   in Loop: Header=BB170_233 Depth=1
	v_and_b32_e32 v11, 7, v15
	v_lshrrev_b32_e32 v20, 3, v8
	v_cmp_gt_u32_e64 s[0:1], 8, v8
	v_ffbh_u32_e32 v8, v11
	v_min_u32_e32 v8, 32, v8
	v_subrev_u32_e32 v16, 28, v8
	v_lshlrev_b64 v[16:17], v16, v[15:16]
	v_sub_u32_e32 v8, 29, v8
	v_and_b32_e32 v16, 7, v16
	v_cndmask_b32_e64 v8, v20, v8, s[0:1]
	v_cndmask_b32_e64 v11, v11, v16, s[0:1]
	v_lshlrev_b32_e32 v11, 20, v11
	v_and_b32_sdwa v16, sext(v15), s30 dst_sel:DWORD dst_unused:UNUSED_PAD src0_sel:BYTE_0 src1_sel:DWORD
	v_lshl_add_u32 v8, v8, 23, v38
	v_or3_b32 v16, v16, v8, v11
	v_mov_b32_e32 v17, v5
.LBB170_394:                            ;   in Loop: Header=BB170_233 Depth=1
	s_or_b64 exec, exec, s[18:19]
.LBB170_395:                            ;   in Loop: Header=BB170_233 Depth=1
	s_or_b64 exec, exec, s[16:17]
.LBB170_396:                            ;   in Loop: Header=BB170_233 Depth=1
	s_or_b64 exec, exec, s[12:13]
	v_cmp_ne_u16_sdwa s[0:1], v15, v5 src0_sel:BYTE_1 src1_sel:DWORD
	s_and_saveexec_b64 s[12:13], s[0:1]
	s_cbranch_execz .LBB170_402
; %bb.397:                              ;   in Loop: Header=BB170_233 Depth=1
	v_mov_b32_e32 v19, v6
	v_cmp_ne_u16_sdwa s[0:1], v15, s28 src0_sel:BYTE_1 src1_sel:DWORD
	v_mov_b32_e32 v18, v5
	s_and_saveexec_b64 s[16:17], s[0:1]
	s_cbranch_execz .LBB170_401
; %bb.398:                              ;   in Loop: Header=BB170_233 Depth=1
	v_and_b32_sdwa v8, v15, s29 dst_sel:DWORD dst_unused:UNUSED_PAD src0_sel:BYTE_1 src1_sel:DWORD
	v_mov_b32_e32 v11, v5
	v_mov_b32_e32 v19, v12
	v_cmp_ne_u32_e64 s[0:1], s29, v8
	v_mov_b32_e32 v18, v11
	s_and_saveexec_b64 s[18:19], s[0:1]
	s_cbranch_execz .LBB170_400
; %bb.399:                              ;   in Loop: Header=BB170_233 Depth=1
	v_and_b32_sdwa v18, v15, v44 dst_sel:DWORD dst_unused:UNUSED_PAD src0_sel:BYTE_1 src1_sel:DWORD
	v_lshrrev_b32_e32 v11, 3, v8
	v_cmp_gt_u32_e64 s[0:1], 8, v8
	v_ffbh_u32_e32 v8, v18
	v_min_u32_e32 v8, 32, v8
	v_mov_b32_e32 v19, v5
	v_subrev_u32_e32 v20, 28, v8
	v_lshlrev_b64 v[19:20], v20, v[18:19]
	v_sub_u32_e32 v8, 29, v8
	v_and_b32_e32 v19, 7, v19
	v_cndmask_b32_e64 v8, v11, v8, s[0:1]
	v_cndmask_b32_e64 v11, v18, v19, s[0:1]
	v_lshlrev_b32_e32 v18, 16, v15
	v_lshl_add_u32 v8, v8, 23, v38
	v_and_or_b32 v8, v18, s30, v8
	v_lshlrev_b32_e32 v11, 20, v11
	v_or_b32_e32 v19, v8, v11
	v_mov_b32_e32 v18, v5
.LBB170_400:                            ;   in Loop: Header=BB170_233 Depth=1
	s_or_b64 exec, exec, s[18:19]
.LBB170_401:                            ;   in Loop: Header=BB170_233 Depth=1
	s_or_b64 exec, exec, s[16:17]
.LBB170_402:                            ;   in Loop: Header=BB170_233 Depth=1
	s_or_b64 exec, exec, s[12:13]
	v_lshrrev_b32_e32 v11, 16, v15
	v_mov_b32_e32 v22, 0
	v_mov_b32_e32 v20, 0
	;; [unrolled: 1-line block ×4, first 2 shown]
	v_cmp_ne_u16_sdwa s[0:1], v11, v5 src0_sel:BYTE_0 src1_sel:DWORD
	s_and_saveexec_b64 s[12:13], s[0:1]
	s_cbranch_execz .LBB170_408
; %bb.403:                              ;   in Loop: Header=BB170_233 Depth=1
	v_bfrev_b32_e32 v20, 1
	v_mov_b32_e32 v21, 0
	v_cmp_ne_u16_sdwa s[0:1], v11, s28 src0_sel:BYTE_0 src1_sel:DWORD
	s_and_saveexec_b64 s[16:17], s[0:1]
	s_cbranch_execz .LBB170_407
; %bb.404:                              ;   in Loop: Header=BB170_233 Depth=1
	v_bfe_u32 v8, v15, 16, 7
	v_mov_b32_e32 v20, 0x7f800001
	v_mov_b32_e32 v21, 0
	v_cmp_ne_u32_e64 s[0:1], s29, v8
	s_and_saveexec_b64 s[18:19], s[0:1]
	s_cbranch_execz .LBB170_406
; %bb.405:                              ;   in Loop: Header=BB170_233 Depth=1
	v_and_b32_e32 v25, 7, v11
	v_mov_b32_e32 v38, v27
	v_lshrrev_b32_e32 v27, 3, v8
	v_cmp_gt_u32_e64 s[0:1], 8, v8
	v_ffbh_u32_e32 v8, v25
	v_min_u32_e32 v8, 32, v8
	v_subrev_u32_e32 v20, 28, v8
	v_lshlrev_b64 v[20:21], v20, v[11:12]
	v_sub_u32_e32 v8, 29, v8
	v_and_b32_e32 v20, 7, v20
	v_cndmask_b32_e64 v8, v27, v8, s[0:1]
	v_mov_b32_e32 v27, v38
	v_bfrev_b32_e32 v38, 60
	v_cndmask_b32_e64 v20, v25, v20, s[0:1]
	v_lshlrev_b32_e32 v20, 20, v20
	v_and_b32_sdwa v11, sext(v11), s30 dst_sel:DWORD dst_unused:UNUSED_PAD src0_sel:BYTE_0 src1_sel:DWORD
	v_lshl_add_u32 v8, v8, 23, v38
	v_or3_b32 v20, v11, v8, v20
	v_mov_b32_e32 v21, v5
.LBB170_406:                            ;   in Loop: Header=BB170_233 Depth=1
	s_or_b64 exec, exec, s[18:19]
.LBB170_407:                            ;   in Loop: Header=BB170_233 Depth=1
	s_or_b64 exec, exec, s[16:17]
.LBB170_408:                            ;   in Loop: Header=BB170_233 Depth=1
	s_or_b64 exec, exec, s[12:13]
	v_cmp_lt_u32_e64 s[0:1], s31, v15
	s_and_saveexec_b64 s[12:13], s[0:1]
	s_cbranch_execz .LBB170_414
; %bb.409:                              ;   in Loop: Header=BB170_233 Depth=1
	v_mov_b32_e32 v23, v6
	v_cmp_ne_u32_sdwa s[0:1], v15, s28 src0_sel:BYTE_3 src1_sel:DWORD
	v_mov_b32_e32 v22, v5
	s_and_saveexec_b64 s[16:17], s[0:1]
	s_cbranch_execz .LBB170_413
; %bb.410:                              ;   in Loop: Header=BB170_233 Depth=1
	v_bfe_u32 v8, v15, 24, 7
	v_mov_b32_e32 v11, v5
	v_mov_b32_e32 v23, v12
	v_cmp_ne_u32_e64 s[0:1], s29, v8
	v_mov_b32_e32 v22, v11
	s_and_saveexec_b64 s[18:19], s[0:1]
	s_cbranch_execz .LBB170_412
; %bb.411:                              ;   in Loop: Header=BB170_233 Depth=1
	v_and_b32_sdwa v22, v15, v44 dst_sel:DWORD dst_unused:UNUSED_PAD src0_sel:BYTE_3 src1_sel:DWORD
	v_lshrrev_b32_e32 v11, 3, v8
	v_cmp_gt_u32_e64 s[0:1], 8, v8
	v_ffbh_u32_e32 v8, v22
	v_min_u32_e32 v8, 32, v8
	v_mov_b32_e32 v23, v5
	v_subrev_u32_e32 v25, 28, v8
	v_mov_b32_e32 v33, v31
	v_mov_b32_e32 v31, v30
	;; [unrolled: 1-line block ×8, first 2 shown]
	v_lshlrev_b64 v[27:28], v25, v[22:23]
	v_sub_u32_e32 v8, 29, v8
	v_and_b32_e32 v23, 7, v27
	v_mov_b32_e32 v27, v34
	v_mov_b32_e32 v34, v35
	;; [unrolled: 1-line block ×3, first 2 shown]
	v_bfrev_b32_e32 v38, 60
	v_cndmask_b32_e64 v8, v11, v8, s[0:1]
	v_cndmask_b32_e64 v11, v22, v23, s[0:1]
	v_mov_b32_e32 v22, 24
	v_lshlrev_b32_sdwa v15, v22, v15 dst_sel:DWORD dst_unused:UNUSED_PAD src0_sel:DWORD src1_sel:BYTE_3
	v_lshl_add_u32 v8, v8, 23, v38
	v_and_or_b32 v8, v15, s30, v8
	v_lshlrev_b32_e32 v11, 20, v11
	v_mov_b32_e32 v28, v36
	v_mov_b32_e32 v36, v29
	;; [unrolled: 1-line block ×5, first 2 shown]
	v_or_b32_e32 v23, v8, v11
	v_mov_b32_e32 v22, v5
.LBB170_412:                            ;   in Loop: Header=BB170_233 Depth=1
	s_or_b64 exec, exec, s[18:19]
.LBB170_413:                            ;   in Loop: Header=BB170_233 Depth=1
	s_or_b64 exec, exec, s[16:17]
.LBB170_414:                            ;   in Loop: Header=BB170_233 Depth=1
	s_or_b64 exec, exec, s[12:13]
	v_or_b32_e32 v11, v18, v16
	v_or_b32_e32 v8, v19, v17
	v_mul_f32_e32 v25, s37, v11
	v_or_b32_e32 v11, v23, v21
	v_or_b32_e32 v15, v22, v20
	v_mul_f32_e32 v8, s38, v8
	v_mul_f32_e32 v23, s37, v15
	;; [unrolled: 1-line block ×3, first 2 shown]
	s_and_saveexec_b64 s[12:13], vcc
; %bb.415:                              ;   in Loop: Header=BB170_233 Depth=1
	v_cmp_gt_i32_e64 s[0:1], s33, v47
	v_cndmask_b32_e64 v25, 0, v25, s[0:1]
	v_cmp_gt_i32_e64 s[0:1], s33, v50
	v_cndmask_b32_e64 v8, 0, v8, s[0:1]
	;; [unrolled: 2-line block ×4, first 2 shown]
; %bb.416:                              ;   in Loop: Header=BB170_233 Depth=1
	s_or_b64 exec, exec, s[12:13]
	global_load_dword v13, v[13:14], off offset:1792
	v_mov_b32_e32 v16, 0
	v_mov_b32_e32 v14, 0
	v_mov_b32_e32 v17, 0
	v_mov_b32_e32 v15, 0
	s_waitcnt vmcnt(0)
	v_cmp_ne_u16_sdwa s[0:1], v13, v5 src0_sel:BYTE_0 src1_sel:DWORD
	s_and_saveexec_b64 s[12:13], s[0:1]
	s_cbranch_execz .LBB170_422
; %bb.417:                              ;   in Loop: Header=BB170_233 Depth=1
	v_bfrev_b32_e32 v14, 1
	v_mov_b32_e32 v15, 0
	v_cmp_ne_u16_sdwa s[0:1], v13, s28 src0_sel:BYTE_0 src1_sel:DWORD
	s_and_saveexec_b64 s[16:17], s[0:1]
	s_cbranch_execz .LBB170_421
; %bb.418:                              ;   in Loop: Header=BB170_233 Depth=1
	v_and_b32_e32 v11, 0x7f, v13
	v_mov_b32_e32 v14, 0x7f800001
	v_mov_b32_e32 v15, 0
	v_cmp_ne_u32_e64 s[0:1], s29, v11
	s_and_saveexec_b64 s[18:19], s[0:1]
	s_cbranch_execz .LBB170_420
; %bb.419:                              ;   in Loop: Header=BB170_233 Depth=1
	v_and_b32_e32 v18, 7, v13
	v_lshrrev_b32_e32 v19, 3, v11
	v_cmp_gt_u32_e64 s[0:1], 8, v11
	v_ffbh_u32_e32 v11, v18
	v_min_u32_e32 v11, 32, v11
	v_subrev_u32_e32 v14, 28, v11
	v_lshlrev_b64 v[14:15], v14, v[13:14]
	v_sub_u32_e32 v11, 29, v11
	v_and_b32_e32 v14, 7, v14
	v_cndmask_b32_e64 v11, v19, v11, s[0:1]
	v_cndmask_b32_e64 v14, v18, v14, s[0:1]
	v_lshlrev_b32_e32 v14, 20, v14
	v_and_b32_sdwa v15, sext(v13), s30 dst_sel:DWORD dst_unused:UNUSED_PAD src0_sel:BYTE_0 src1_sel:DWORD
	v_lshl_add_u32 v11, v11, 23, v38
	v_or3_b32 v14, v15, v11, v14
	v_mov_b32_e32 v15, v5
.LBB170_420:                            ;   in Loop: Header=BB170_233 Depth=1
	s_or_b64 exec, exec, s[18:19]
.LBB170_421:                            ;   in Loop: Header=BB170_233 Depth=1
	s_or_b64 exec, exec, s[16:17]
.LBB170_422:                            ;   in Loop: Header=BB170_233 Depth=1
	s_or_b64 exec, exec, s[12:13]
	v_cmp_ne_u16_sdwa s[0:1], v13, v5 src0_sel:BYTE_1 src1_sel:DWORD
	s_and_saveexec_b64 s[12:13], s[0:1]
	s_cbranch_execz .LBB170_428
; %bb.423:                              ;   in Loop: Header=BB170_233 Depth=1
	v_mov_b32_e32 v17, v6
	v_cmp_ne_u16_sdwa s[0:1], v13, s28 src0_sel:BYTE_1 src1_sel:DWORD
	v_mov_b32_e32 v16, v5
	s_and_saveexec_b64 s[16:17], s[0:1]
	s_cbranch_execz .LBB170_427
; %bb.424:                              ;   in Loop: Header=BB170_233 Depth=1
	v_and_b32_sdwa v18, v13, s29 dst_sel:DWORD dst_unused:UNUSED_PAD src0_sel:BYTE_1 src1_sel:DWORD
	v_mov_b32_e32 v11, v5
	v_mov_b32_e32 v17, v12
	v_cmp_ne_u32_e64 s[0:1], s29, v18
	v_mov_b32_e32 v16, v11
	s_and_saveexec_b64 s[18:19], s[0:1]
	s_cbranch_execz .LBB170_426
; %bb.425:                              ;   in Loop: Header=BB170_233 Depth=1
	v_and_b32_sdwa v16, v13, v44 dst_sel:DWORD dst_unused:UNUSED_PAD src0_sel:BYTE_1 src1_sel:DWORD
	v_lshrrev_b32_e32 v11, 3, v18
	v_cmp_gt_u32_e64 s[0:1], 8, v18
	v_ffbh_u32_e32 v18, v16
	v_min_u32_e32 v19, 32, v18
	v_mov_b32_e32 v17, v5
	v_subrev_u32_e32 v18, 28, v19
	v_lshlrev_b64 v[17:18], v18, v[16:17]
	v_sub_u32_e32 v18, 29, v19
	v_and_b32_e32 v17, 7, v17
	v_cndmask_b32_e64 v11, v11, v18, s[0:1]
	v_cndmask_b32_e64 v16, v16, v17, s[0:1]
	v_lshlrev_b32_e32 v17, 16, v13
	v_lshl_add_u32 v11, v11, 23, v38
	v_and_or_b32 v11, v17, s30, v11
	v_lshlrev_b32_e32 v16, 20, v16
	v_or_b32_e32 v17, v11, v16
	v_mov_b32_e32 v16, v5
.LBB170_426:                            ;   in Loop: Header=BB170_233 Depth=1
	s_or_b64 exec, exec, s[18:19]
.LBB170_427:                            ;   in Loop: Header=BB170_233 Depth=1
	s_or_b64 exec, exec, s[16:17]
.LBB170_428:                            ;   in Loop: Header=BB170_233 Depth=1
	s_or_b64 exec, exec, s[12:13]
	v_lshrrev_b32_e32 v11, 16, v13
	v_mov_b32_e32 v20, 0
	v_mov_b32_e32 v18, 0
	;; [unrolled: 1-line block ×4, first 2 shown]
	v_cmp_ne_u16_sdwa s[0:1], v11, v5 src0_sel:BYTE_0 src1_sel:DWORD
	s_and_saveexec_b64 s[12:13], s[0:1]
	s_cbranch_execz .LBB170_434
; %bb.429:                              ;   in Loop: Header=BB170_233 Depth=1
	v_bfrev_b32_e32 v18, 1
	v_mov_b32_e32 v19, 0
	v_cmp_ne_u16_sdwa s[0:1], v11, s28 src0_sel:BYTE_0 src1_sel:DWORD
	s_and_saveexec_b64 s[16:17], s[0:1]
	s_cbranch_execz .LBB170_433
; %bb.430:                              ;   in Loop: Header=BB170_233 Depth=1
	v_bfe_u32 v38, v13, 16, 7
	v_mov_b32_e32 v18, 0x7f800001
	v_bfrev_b32_e32 v44, 60
	v_mov_b32_e32 v19, 0
	v_cmp_ne_u32_e64 s[0:1], s29, v38
	s_and_saveexec_b64 s[18:19], s[0:1]
	s_cbranch_execz .LBB170_432
; %bb.431:                              ;   in Loop: Header=BB170_233 Depth=1
	v_and_b32_e32 v43, 7, v11
	v_ffbh_u32_e32 v18, v43
	v_mov_b32_e32 v33, v31
	v_mov_b32_e32 v31, v30
	;; [unrolled: 1-line block ×5, first 2 shown]
	v_lshrrev_b32_e32 v28, 3, v38
	v_cmp_gt_u32_e64 s[0:1], 8, v38
	v_min_u32_e32 v38, 32, v18
	v_subrev_u32_e32 v18, 28, v38
	v_lshlrev_b64 v[18:19], v18, v[11:12]
	v_sub_u32_e32 v19, 29, v38
	v_and_b32_e32 v18, 7, v18
	v_cndmask_b32_e64 v18, v43, v18, s[0:1]
	buffer_load_dword v43, off, s[56:59], 0 offset:20 ; 4-byte Folded Reload
	v_cndmask_b32_e64 v19, v28, v19, s[0:1]
	v_lshlrev_b32_e32 v18, 20, v18
	v_and_b32_sdwa v11, sext(v11), s30 dst_sel:DWORD dst_unused:UNUSED_PAD src0_sel:BYTE_0 src1_sel:DWORD
	v_lshl_add_u32 v19, v19, 23, v44
	v_mov_b32_e32 v28, v36
	v_mov_b32_e32 v36, v29
	;; [unrolled: 1-line block ×5, first 2 shown]
	v_or3_b32 v18, v11, v19, v18
	v_mov_b32_e32 v19, v5
.LBB170_432:                            ;   in Loop: Header=BB170_233 Depth=1
	s_or_b64 exec, exec, s[18:19]
	v_bfrev_b32_e32 v38, 60
	v_mov_b32_e32 v44, 7
.LBB170_433:                            ;   in Loop: Header=BB170_233 Depth=1
	s_or_b64 exec, exec, s[16:17]
.LBB170_434:                            ;   in Loop: Header=BB170_233 Depth=1
	s_or_b64 exec, exec, s[12:13]
	v_cmp_lt_u32_e64 s[0:1], s31, v13
	s_and_saveexec_b64 s[12:13], s[0:1]
	s_cbranch_execz .LBB170_440
; %bb.435:                              ;   in Loop: Header=BB170_233 Depth=1
	v_mov_b32_e32 v21, v6
	v_cmp_ne_u32_sdwa s[0:1], v13, s28 src0_sel:BYTE_3 src1_sel:DWORD
	v_mov_b32_e32 v20, v5
	s_and_saveexec_b64 s[16:17], s[0:1]
	s_cbranch_execz .LBB170_439
; %bb.436:                              ;   in Loop: Header=BB170_233 Depth=1
	v_bfe_u32 v38, v13, 24, 7
	v_mov_b32_e32 v11, v5
	v_mov_b32_e32 v21, v12
	;; [unrolled: 1-line block ×3, first 2 shown]
	v_bfrev_b32_e32 v44, 60
	v_cmp_ne_u32_e64 s[0:1], s29, v38
	v_mov_b32_e32 v20, v11
	s_and_saveexec_b64 s[18:19], s[0:1]
	s_cbranch_execz .LBB170_438
; %bb.437:                              ;   in Loop: Header=BB170_233 Depth=1
	v_and_b32_sdwa v20, v13, v33 dst_sel:DWORD dst_unused:UNUSED_PAD src0_sel:BYTE_3 src1_sel:DWORD
	s_waitcnt vmcnt(0)
	v_mov_b32_e32 v43, v35
	v_mov_b32_e32 v35, v34
	;; [unrolled: 1-line block ×3, first 2 shown]
	v_ffbh_u32_e32 v27, v20
	v_lshrrev_b32_e32 v11, 3, v38
	v_cmp_gt_u32_e64 s[0:1], 8, v38
	v_min_u32_e32 v38, 32, v27
	v_mov_b32_e32 v21, v5
	v_subrev_u32_e32 v27, 28, v38
	v_mov_b32_e32 v33, v31
	v_mov_b32_e32 v31, v30
	;; [unrolled: 1-line block ×5, first 2 shown]
	v_lshlrev_b64 v[27:28], v27, v[20:21]
	v_sub_u32_e32 v21, 29, v38
	v_and_b32_e32 v27, 7, v27
	v_cndmask_b32_e64 v20, v20, v27, s[0:1]
	v_mov_b32_e32 v27, v34
	v_mov_b32_e32 v34, v35
	;; [unrolled: 1-line block ×3, first 2 shown]
	buffer_load_dword v43, off, s[56:59], 0 offset:20 ; 4-byte Folded Reload
	v_cndmask_b32_e64 v11, v11, v21, s[0:1]
	v_mov_b32_e32 v21, 24
	v_lshlrev_b32_sdwa v13, v21, v13 dst_sel:DWORD dst_unused:UNUSED_PAD src0_sel:DWORD src1_sel:BYTE_3
	v_lshl_add_u32 v11, v11, 23, v44
	v_and_or_b32 v11, v13, s30, v11
	v_lshlrev_b32_e32 v13, 20, v20
	v_mov_b32_e32 v28, v36
	v_mov_b32_e32 v36, v29
	v_mov_b32_e32 v29, v30
	v_mov_b32_e32 v30, v31
	v_mov_b32_e32 v31, v33
	v_or_b32_e32 v21, v11, v13
	v_mov_b32_e32 v20, v5
.LBB170_438:                            ;   in Loop: Header=BB170_233 Depth=1
	s_or_b64 exec, exec, s[18:19]
	v_bfrev_b32_e32 v38, 60
	v_mov_b32_e32 v44, 7
.LBB170_439:                            ;   in Loop: Header=BB170_233 Depth=1
	s_or_b64 exec, exec, s[16:17]
.LBB170_440:                            ;   in Loop: Header=BB170_233 Depth=1
	s_or_b64 exec, exec, s[12:13]
	v_or_b32_e32 v13, v16, v14
	v_or_b32_e32 v11, v17, v15
	v_mul_f32_e32 v15, s37, v13
	v_or_b32_e32 v13, v21, v19
	v_or_b32_e32 v14, v20, v18
	v_mul_f32_e32 v11, s38, v11
	v_mul_f32_e32 v14, s37, v14
	;; [unrolled: 1-line block ×3, first 2 shown]
	s_and_saveexec_b64 s[0:1], vcc
	s_cbranch_execz .LBB170_231
; %bb.441:                              ;   in Loop: Header=BB170_233 Depth=1
	v_cmp_gt_i32_e32 vcc, s33, v47
	v_cndmask_b32_e32 v15, 0, v15, vcc
	v_cmp_gt_i32_e32 vcc, s33, v50
	v_cndmask_b32_e32 v11, 0, v11, vcc
	;; [unrolled: 2-line block ×4, first 2 shown]
	s_branch .LBB170_231
.LBB170_442:
	s_or_b64 exec, exec, s[4:5]
	buffer_load_dword v14, off, s[56:59], 0 offset:24 ; 4-byte Folded Reload
	buffer_load_dword v15, off, s[56:59], 0 offset:28 ; 4-byte Folded Reload
	;; [unrolled: 1-line block ×3, first 2 shown]
.LBB170_443:
	s_or_b64 exec, exec, s[2:3]
	s_waitcnt vmcnt(0)
	s_barrier
	buffer_load_dword v10, off, s[56:59], 0 offset:100 ; 4-byte Folded Reload
	ds_bpermute_b32 v0, v15, v34
	ds_bpermute_b32 v1, v15, v35
	;; [unrolled: 1-line block ×8, first 2 shown]
	s_waitcnt lgkmcnt(7)
	v_add_f32_e32 v0, v34, v0
	s_waitcnt lgkmcnt(6)
	v_add_f32_e32 v1, v35, v1
	;; [unrolled: 2-line block ×8, first 2 shown]
	s_waitcnt vmcnt(0)
	v_and_b32_e32 v9, 0x3c1, v10
	v_cmp_eq_u32_e32 vcc, 64, v9
	s_and_saveexec_b64 s[0:1], vcc
	s_cbranch_execz .LBB170_445
; %bb.444:
	v_mov_b32_e32 v8, 0x410
	v_lshl_add_u32 v8, v14, 1, v8
	ds_write2_b32 v8, v0, v1 offset1:32
	ds_write2_b32 v8, v2, v3 offset0:64 offset1:96
	ds_write2_b32 v8, v4, v5 offset0:128 offset1:160
	;; [unrolled: 1-line block ×3, first 2 shown]
.LBB170_445:
	s_or_b64 exec, exec, s[0:1]
	v_cmp_gt_u32_e32 vcc, 64, v10
	v_lshrrev_b32_e32 v8, 1, v10
	s_waitcnt lgkmcnt(0)
	s_barrier
	s_and_saveexec_b64 s[0:1], vcc
	s_cbranch_execz .LBB170_456
; %bb.446:
	v_mov_b32_e32 v10, 0x410
	v_cmp_eq_u32_e32 vcc, 0, v11
	v_lshl_add_u32 v10, v8, 2, v10
	s_and_saveexec_b64 s[2:3], vcc
	s_cbranch_execnz .LBB170_459
; %bb.447:
	s_or_b64 exec, exec, s[2:3]
	s_and_saveexec_b64 s[2:3], vcc
	s_cbranch_execnz .LBB170_460
.LBB170_448:
	s_or_b64 exec, exec, s[2:3]
	s_and_saveexec_b64 s[2:3], vcc
	s_cbranch_execnz .LBB170_461
.LBB170_449:
	s_or_b64 exec, exec, s[2:3]
	s_and_saveexec_b64 s[2:3], vcc
	s_cbranch_execnz .LBB170_462
.LBB170_450:
	s_or_b64 exec, exec, s[2:3]
	s_and_saveexec_b64 s[2:3], vcc
	s_cbranch_execnz .LBB170_463
.LBB170_451:
	s_or_b64 exec, exec, s[2:3]
	s_and_saveexec_b64 s[2:3], vcc
	s_cbranch_execnz .LBB170_464
.LBB170_452:
	s_or_b64 exec, exec, s[2:3]
	s_and_saveexec_b64 s[2:3], vcc
	s_cbranch_execnz .LBB170_465
.LBB170_453:
	s_or_b64 exec, exec, s[2:3]
	s_and_saveexec_b64 s[2:3], vcc
	s_cbranch_execz .LBB170_455
.LBB170_454:
	ds_read_b32 v10, v10 offset:896
	s_waitcnt lgkmcnt(0)
	v_add_f32_e32 v7, v7, v10
.LBB170_455:
	s_or_b64 exec, exec, s[2:3]
.LBB170_456:
	s_or_b64 exec, exec, s[0:1]
	v_cmp_eq_u32_e32 vcc, 0, v9
	s_barrier
	s_and_saveexec_b64 s[0:1], vcc
	s_cbranch_execz .LBB170_458
; %bb.457:
	s_mul_i32 s0, s10, s11
	s_mul_i32 s0, s0, s9
	s_lshl_b32 s0, s0, 8
	s_ashr_i32 s1, s0, 31
	s_lshl_b64 s[0:1], s[0:1], 2
	s_add_u32 s2, s26, s0
	s_mul_i32 s0, s11, s24
	s_addc_u32 s3, s27, s1
	s_ashr_i32 s1, s0, 31
	s_lshl_b64 s[0:1], s[0:1], 2
	s_add_u32 s2, s2, s0
	s_addc_u32 s3, s3, s1
	s_lshl_b32 s0, s8, 8
	s_ashr_i32 s1, s0, 31
	s_lshl_b64 s[0:1], s[0:1], 2
	s_add_u32 s0, s2, s0
	s_addc_u32 s1, s3, s1
	v_lshlrev_b32_e32 v8, 2, v8
	global_store_dword v8, v0, s[0:1]
	global_store_dword v8, v1, s[0:1] offset:128
	global_store_dword v8, v2, s[0:1] offset:256
	;; [unrolled: 1-line block ×7, first 2 shown]
.LBB170_458:
	s_endpgm
.LBB170_459:
	ds_read_b32 v11, v10
	s_waitcnt lgkmcnt(0)
	v_add_f32_e32 v0, v0, v11
	s_or_b64 exec, exec, s[2:3]
	s_and_saveexec_b64 s[2:3], vcc
	s_cbranch_execz .LBB170_448
.LBB170_460:
	ds_read_b32 v11, v10 offset:128
	s_waitcnt lgkmcnt(0)
	v_add_f32_e32 v1, v1, v11
	s_or_b64 exec, exec, s[2:3]
	s_and_saveexec_b64 s[2:3], vcc
	s_cbranch_execz .LBB170_449
.LBB170_461:
	ds_read_b32 v11, v10 offset:256
	s_waitcnt lgkmcnt(0)
	v_add_f32_e32 v2, v2, v11
	s_or_b64 exec, exec, s[2:3]
	s_and_saveexec_b64 s[2:3], vcc
	s_cbranch_execz .LBB170_450
.LBB170_462:
	ds_read_b32 v11, v10 offset:384
	s_waitcnt lgkmcnt(0)
	v_add_f32_e32 v3, v3, v11
	s_or_b64 exec, exec, s[2:3]
	s_and_saveexec_b64 s[2:3], vcc
	s_cbranch_execz .LBB170_451
.LBB170_463:
	ds_read_b32 v11, v10 offset:512
	s_waitcnt lgkmcnt(0)
	v_add_f32_e32 v4, v4, v11
	s_or_b64 exec, exec, s[2:3]
	s_and_saveexec_b64 s[2:3], vcc
	s_cbranch_execz .LBB170_452
.LBB170_464:
	ds_read_b32 v11, v10 offset:640
	s_waitcnt lgkmcnt(0)
	v_add_f32_e32 v5, v5, v11
	s_or_b64 exec, exec, s[2:3]
	s_and_saveexec_b64 s[2:3], vcc
	s_cbranch_execz .LBB170_453
.LBB170_465:
	ds_read_b32 v11, v10 offset:768
	s_waitcnt lgkmcnt(0)
	v_add_f32_e32 v6, v6, v11
	s_or_b64 exec, exec, s[2:3]
	s_and_saveexec_b64 s[2:3], vcc
	s_cbranch_execnz .LBB170_454
	s_branch .LBB170_455
	.section	.rodata,"a",@progbits
	.p2align	6, 0x0
	.amdhsa_kernel _ZN4vllm25paged_attention_v1_kernelIfhLi256ELi8ELi128ELNS_18Fp8KVCacheDataTypeE1ELb1EEEvPT_PKS2_PKT0_S8_ifPKiSA_iPKfiiiSC_SC_iiiii
		.amdhsa_group_segment_fixed_size 1040
		.amdhsa_private_segment_fixed_size 116
		.amdhsa_kernarg_size 384
		.amdhsa_user_sgpr_count 6
		.amdhsa_user_sgpr_private_segment_buffer 1
		.amdhsa_user_sgpr_dispatch_ptr 0
		.amdhsa_user_sgpr_queue_ptr 0
		.amdhsa_user_sgpr_kernarg_segment_ptr 1
		.amdhsa_user_sgpr_dispatch_id 0
		.amdhsa_user_sgpr_flat_scratch_init 0
		.amdhsa_user_sgpr_private_segment_size 0
		.amdhsa_uses_dynamic_stack 0
		.amdhsa_system_sgpr_private_segment_wavefront_offset 1
		.amdhsa_system_sgpr_workgroup_id_x 1
		.amdhsa_system_sgpr_workgroup_id_y 1
		.amdhsa_system_sgpr_workgroup_id_z 1
		.amdhsa_system_sgpr_workgroup_info 0
		.amdhsa_system_vgpr_workitem_id 0
		.amdhsa_next_free_vgpr 64
		.amdhsa_next_free_sgpr 60
		.amdhsa_reserve_vcc 1
		.amdhsa_reserve_flat_scratch 0
		.amdhsa_float_round_mode_32 0
		.amdhsa_float_round_mode_16_64 0
		.amdhsa_float_denorm_mode_32 3
		.amdhsa_float_denorm_mode_16_64 3
		.amdhsa_dx10_clamp 1
		.amdhsa_ieee_mode 1
		.amdhsa_fp16_overflow 0
		.amdhsa_exception_fp_ieee_invalid_op 0
		.amdhsa_exception_fp_denorm_src 0
		.amdhsa_exception_fp_ieee_div_zero 0
		.amdhsa_exception_fp_ieee_overflow 0
		.amdhsa_exception_fp_ieee_underflow 0
		.amdhsa_exception_fp_ieee_inexact 0
		.amdhsa_exception_int_div_zero 0
	.end_amdhsa_kernel
	.section	.text._ZN4vllm25paged_attention_v1_kernelIfhLi256ELi8ELi128ELNS_18Fp8KVCacheDataTypeE1ELb1EEEvPT_PKS2_PKT0_S8_ifPKiSA_iPKfiiiSC_SC_iiiii,"axG",@progbits,_ZN4vllm25paged_attention_v1_kernelIfhLi256ELi8ELi128ELNS_18Fp8KVCacheDataTypeE1ELb1EEEvPT_PKS2_PKT0_S8_ifPKiSA_iPKfiiiSC_SC_iiiii,comdat
.Lfunc_end170:
	.size	_ZN4vllm25paged_attention_v1_kernelIfhLi256ELi8ELi128ELNS_18Fp8KVCacheDataTypeE1ELb1EEEvPT_PKS2_PKT0_S8_ifPKiSA_iPKfiiiSC_SC_iiiii, .Lfunc_end170-_ZN4vllm25paged_attention_v1_kernelIfhLi256ELi8ELi128ELNS_18Fp8KVCacheDataTypeE1ELb1EEEvPT_PKS2_PKT0_S8_ifPKiSA_iPKfiiiSC_SC_iiiii
                                        ; -- End function
	.set _ZN4vllm25paged_attention_v1_kernelIfhLi256ELi8ELi128ELNS_18Fp8KVCacheDataTypeE1ELb1EEEvPT_PKS2_PKT0_S8_ifPKiSA_iPKfiiiSC_SC_iiiii.num_vgpr, 64
	.set _ZN4vllm25paged_attention_v1_kernelIfhLi256ELi8ELi128ELNS_18Fp8KVCacheDataTypeE1ELb1EEEvPT_PKS2_PKT0_S8_ifPKiSA_iPKfiiiSC_SC_iiiii.num_agpr, 0
	.set _ZN4vllm25paged_attention_v1_kernelIfhLi256ELi8ELi128ELNS_18Fp8KVCacheDataTypeE1ELb1EEEvPT_PKS2_PKT0_S8_ifPKiSA_iPKfiiiSC_SC_iiiii.numbered_sgpr, 60
	.set _ZN4vllm25paged_attention_v1_kernelIfhLi256ELi8ELi128ELNS_18Fp8KVCacheDataTypeE1ELb1EEEvPT_PKS2_PKT0_S8_ifPKiSA_iPKfiiiSC_SC_iiiii.num_named_barrier, 0
	.set _ZN4vllm25paged_attention_v1_kernelIfhLi256ELi8ELi128ELNS_18Fp8KVCacheDataTypeE1ELb1EEEvPT_PKS2_PKT0_S8_ifPKiSA_iPKfiiiSC_SC_iiiii.private_seg_size, 116
	.set _ZN4vllm25paged_attention_v1_kernelIfhLi256ELi8ELi128ELNS_18Fp8KVCacheDataTypeE1ELb1EEEvPT_PKS2_PKT0_S8_ifPKiSA_iPKfiiiSC_SC_iiiii.uses_vcc, 1
	.set _ZN4vllm25paged_attention_v1_kernelIfhLi256ELi8ELi128ELNS_18Fp8KVCacheDataTypeE1ELb1EEEvPT_PKS2_PKT0_S8_ifPKiSA_iPKfiiiSC_SC_iiiii.uses_flat_scratch, 0
	.set _ZN4vllm25paged_attention_v1_kernelIfhLi256ELi8ELi128ELNS_18Fp8KVCacheDataTypeE1ELb1EEEvPT_PKS2_PKT0_S8_ifPKiSA_iPKfiiiSC_SC_iiiii.has_dyn_sized_stack, 0
	.set _ZN4vllm25paged_attention_v1_kernelIfhLi256ELi8ELi128ELNS_18Fp8KVCacheDataTypeE1ELb1EEEvPT_PKS2_PKT0_S8_ifPKiSA_iPKfiiiSC_SC_iiiii.has_recursion, 0
	.set _ZN4vllm25paged_attention_v1_kernelIfhLi256ELi8ELi128ELNS_18Fp8KVCacheDataTypeE1ELb1EEEvPT_PKS2_PKT0_S8_ifPKiSA_iPKfiiiSC_SC_iiiii.has_indirect_call, 0
	.section	.AMDGPU.csdata,"",@progbits
; Kernel info:
; codeLenInByte = 18980
; TotalNumSgprs: 64
; NumVgprs: 64
; ScratchSize: 116
; MemoryBound: 0
; FloatMode: 240
; IeeeMode: 1
; LDSByteSize: 1040 bytes/workgroup (compile time only)
; SGPRBlocks: 7
; VGPRBlocks: 15
; NumSGPRsForWavesPerEU: 64
; NumVGPRsForWavesPerEU: 64
; Occupancy: 4
; WaveLimiterHint : 1
; COMPUTE_PGM_RSRC2:SCRATCH_EN: 1
; COMPUTE_PGM_RSRC2:USER_SGPR: 6
; COMPUTE_PGM_RSRC2:TRAP_HANDLER: 0
; COMPUTE_PGM_RSRC2:TGID_X_EN: 1
; COMPUTE_PGM_RSRC2:TGID_Y_EN: 1
; COMPUTE_PGM_RSRC2:TGID_Z_EN: 1
; COMPUTE_PGM_RSRC2:TIDIG_COMP_CNT: 0
	.section	.text._ZN4vllm25paged_attention_v1_kernelIfhLi32ELi8ELi128ELNS_18Fp8KVCacheDataTypeE1ELb0EEEvPT_PKS2_PKT0_S8_ifPKiSA_iPKfiiiSC_SC_iiiii,"axG",@progbits,_ZN4vllm25paged_attention_v1_kernelIfhLi32ELi8ELi128ELNS_18Fp8KVCacheDataTypeE1ELb0EEEvPT_PKS2_PKT0_S8_ifPKiSA_iPKfiiiSC_SC_iiiii,comdat
	.protected	_ZN4vllm25paged_attention_v1_kernelIfhLi32ELi8ELi128ELNS_18Fp8KVCacheDataTypeE1ELb0EEEvPT_PKS2_PKT0_S8_ifPKiSA_iPKfiiiSC_SC_iiiii ; -- Begin function _ZN4vllm25paged_attention_v1_kernelIfhLi32ELi8ELi128ELNS_18Fp8KVCacheDataTypeE1ELb0EEEvPT_PKS2_PKT0_S8_ifPKiSA_iPKfiiiSC_SC_iiiii
	.globl	_ZN4vllm25paged_attention_v1_kernelIfhLi32ELi8ELi128ELNS_18Fp8KVCacheDataTypeE1ELb0EEEvPT_PKS2_PKT0_S8_ifPKiSA_iPKfiiiSC_SC_iiiii
	.p2align	8
	.type	_ZN4vllm25paged_attention_v1_kernelIfhLi32ELi8ELi128ELNS_18Fp8KVCacheDataTypeE1ELb0EEEvPT_PKS2_PKT0_S8_ifPKiSA_iPKfiiiSC_SC_iiiii,@function
_ZN4vllm25paged_attention_v1_kernelIfhLi32ELi8ELi128ELNS_18Fp8KVCacheDataTypeE1ELb0EEEvPT_PKS2_PKT0_S8_ifPKiSA_iPKfiiiSC_SC_iiiii: ; @_ZN4vllm25paged_attention_v1_kernelIfhLi32ELi8ELi128ELNS_18Fp8KVCacheDataTypeE1ELb0EEEvPT_PKS2_PKT0_S8_ifPKiSA_iPKfiiiSC_SC_iiiii
; %bb.0:
	s_load_dword s9, s[4:5], 0x80
	s_load_dwordx2 s[0:1], s[4:5], 0x30
	s_load_dwordx2 s[30:31], s[4:5], 0x20
	s_mov_b32 s10, s7
	s_ashr_i32 s11, s7, 31
	s_lshl_b64 s[2:3], s[10:11], 2
	s_waitcnt lgkmcnt(0)
	s_add_u32 s0, s0, s2
	s_addc_u32 s1, s1, s3
	s_abs_i32 s2, s30
	v_cvt_f32_u32_e32 v1, s2
	s_sub_i32 s11, 0, s2
	s_abs_i32 s7, s9
	s_xor_b32 s3, s9, s30
	v_rcp_iflag_f32_e32 v1, v1
	s_ashr_i32 s3, s3, 31
	s_mov_b32 s33, 0
	v_mul_f32_e32 v1, 0x4f7ffffe, v1
	v_cvt_u32_f32_e32 v1, v1
	v_readfirstlane_b32 s12, v1
	s_mul_i32 s11, s11, s12
	s_mul_hi_u32 s11, s12, s11
	s_add_i32 s12, s12, s11
	s_mul_hi_u32 s11, s7, s12
	s_mul_i32 s12, s11, s2
	s_sub_i32 s7, s7, s12
	s_add_i32 s12, s11, 1
	s_sub_i32 s13, s7, s2
	s_cmp_ge_u32 s7, s2
	s_cselect_b32 s11, s12, s11
	s_cselect_b32 s7, s13, s7
	s_add_i32 s12, s11, 1
	s_cmp_ge_u32 s7, s2
	s_cselect_b32 s2, s12, s11
	s_xor_b32 s2, s2, s3
	s_sub_i32 s12, s2, s3
	s_abs_i32 s16, s12
	v_cvt_f32_u32_e32 v1, s16
	s_load_dwordx2 s[2:3], s[4:5], 0x40
	s_sub_i32 s7, 0, s16
	s_abs_i32 s17, s6
	v_rcp_iflag_f32_e32 v1, v1
	v_mul_f32_e32 v1, 0x4f7ffffe, v1
	v_cvt_u32_f32_e32 v1, v1
	v_readfirstlane_b32 s11, v1
	s_mul_i32 s7, s7, s11
	s_mul_hi_u32 s7, s11, s7
	s_add_i32 s11, s11, s7
	s_waitcnt lgkmcnt(0)
	s_cmp_eq_u64 s[2:3], 0
	s_mul_hi_u32 s18, s17, s11
	s_cbranch_scc1 .LBB171_2
; %bb.1:
	s_ashr_i32 s7, s6, 31
	s_lshl_b64 s[14:15], s[6:7], 2
	s_add_u32 s2, s2, s14
	s_addc_u32 s3, s3, s15
	s_load_dword s33, s[2:3], 0x0
.LBB171_2:
	s_load_dword s11, s[0:1], 0x0
	s_ashr_i32 s3, s12, 31
	s_load_dwordx4 s[12:15], s[4:5], 0x48
	s_ashr_i32 s2, s6, 31
	v_and_b32_e32 v1, 7, v0
	s_lshl_b32 s20, s6, 5
	v_cmp_gt_u32_e32 vcc, 32, v0
	v_lshlrev_b32_e32 v12, 2, v0
	v_lshrrev_b32_e32 v19, 1, v0
	s_and_saveexec_b64 s[0:1], vcc
	s_cbranch_execz .LBB171_4
; %bb.3:
	s_load_dwordx2 s[6:7], s[4:5], 0x8
	s_waitcnt lgkmcnt(0)
	s_mul_i32 s22, s12, s10
	s_ashr_i32 s23, s22, 31
	s_lshl_b64 s[22:23], s[22:23], 2
	v_and_b32_e32 v3, 0x1fc, v19
	s_add_u32 s12, s6, s22
	s_addc_u32 s15, s7, s23
	s_ashr_i32 s21, s20, 31
	s_lshl_b64 s[6:7], s[20:21], 2
	s_add_u32 s6, s12, s6
	s_addc_u32 s7, s15, s7
	global_load_dword v2, v12, s[6:7]
	v_lshl_add_u32 v3, v1, 4, v3
	s_waitcnt vmcnt(0)
	ds_write_b32 v3, v2
.LBB171_4:
	s_or_b64 exec, exec, s[0:1]
	s_waitcnt lgkmcnt(0)
	s_add_i32 s1, s11, 7
	s_ashr_i32 s6, s1, 31
	s_lshr_b32 s6, s6, 29
	s_add_i32 s1, s1, s6
	s_ashr_i32 s30, s1, 3
	s_xor_b32 s1, s2, s3
	s_mul_i32 s2, s18, s16
	s_sub_i32 s2, s17, s2
	s_add_i32 s3, s18, 1
	s_sub_i32 s6, s2, s16
	s_load_dwordx2 s[24:25], s[4:5], 0x28
	s_load_dword s0, s[4:5], 0x38
	s_cmp_ge_u32 s2, s16
	s_cselect_b32 s3, s3, s18
	s_cselect_b32 s2, s6, s2
	s_add_i32 s6, s3, 1
	s_cmp_ge_u32 s2, s16
	s_cselect_b32 s2, s6, s3
	v_lshrrev_b32_e32 v20, 6, v0
	s_xor_b32 s2, s2, s1
	s_waitcnt lgkmcnt(0)
	s_mul_i32 s26, s0, s10
	s_sub_i32 s12, s2, s1
	s_ashr_i32 s27, s26, 31
	v_cmp_gt_i32_e64 s[0:1], s30, v20
	v_cmp_le_i32_e32 vcc, s30, v20
	v_mbcnt_lo_u32_b32 v2, -1, 0
	s_barrier
                                        ; implicit-def: $vgpr14
                                        ; implicit-def: $vgpr16
                                        ; implicit-def: $vgpr15
	s_and_saveexec_b64 s[2:3], vcc
	s_xor_b64 s[2:3], exec, s[2:3]
; %bb.5:
	v_mbcnt_hi_u32_b32 v14, -1, v2
	v_and_b32_e32 v16, 64, v14
	v_add_u32_e32 v15, 64, v16
                                        ; implicit-def: $vgpr1
                                        ; implicit-def: $vgpr2
; %bb.6:
	s_or_saveexec_b64 s[6:7], s[2:3]
	s_load_dwordx2 s[22:23], s[4:5], 0x0
	s_load_dwordx2 s[28:29], s[4:5], 0x18
	s_load_dword s21, s[4:5], 0x88
	s_load_dwordx4 s[16:19], s[4:5], 0x58
	v_mov_b32_e32 v17, 0xff7fffff
	s_mul_i32 s12, s12, s14
	v_lshrrev_b32_e32 v13, 4, v0
	s_xor_b64 exec, exec, s[6:7]
	s_cbranch_execz .LBB171_36
; %bb.7:
	s_load_dwordx2 s[2:3], s[4:5], 0x10
	s_ashr_i32 s4, s12, 31
	v_bfe_u32 v3, v0, 3, 3
	v_lshlrev_b32_e32 v4, 4, v3
	v_mbcnt_hi_u32_b32 v14, -1, v2
	s_waitcnt lgkmcnt(0)
	s_add_u32 s2, s2, s12
	s_addc_u32 s3, s3, s4
	v_mov_b32_e32 v5, s3
	v_add_co_u32_e32 v4, vcc, s2, v4
	v_and_b32_e32 v16, 64, v14
	v_addc_co_u32_e32 v6, vcc, 0, v5, vcc
	v_add_u32_e32 v15, 64, v16
	v_xor_b32_e32 v2, 4, v14
	v_cmp_lt_i32_e32 vcc, v2, v15
	v_cndmask_b32_e32 v2, v14, v2, vcc
	v_lshlrev_b32_e32 v18, 2, v2
	v_xor_b32_e32 v2, 2, v14
	v_cmp_lt_i32_e32 vcc, v2, v15
	v_cndmask_b32_e32 v2, v14, v2, vcc
	v_lshlrev_b32_e32 v21, 2, v2
	v_xor_b32_e32 v2, 1, v14
	v_add_co_u32_e64 v5, s[4:5], v4, v1
	v_cmp_lt_i32_e32 vcc, v2, v15
	v_addc_co_u32_e64 v6, s[4:5], 0, v6, s[4:5]
	v_lshlrev_b32_e32 v9, 4, v1
	v_cndmask_b32_e32 v2, v14, v2, vcc
	v_cmp_eq_u32_e32 vcc, 0, v1
	s_sub_i32 s40, 1, s11
	v_lshlrev_b32_e32 v1, 2, v3
	s_lshl_b64 s[4:5], s[26:27], 2
	v_lshl_or_b32 v1, v20, 5, v1
	s_add_u32 s4, s24, s4
	v_add_u32_e32 v24, 0x90, v1
	v_and_b32_e32 v1, 60, v13
	s_addc_u32 s5, s25, s5
	v_lshlrev_b32_e32 v22, 2, v2
	v_mov_b32_e32 v2, s5
	v_add_co_u32_e64 v7, s[4:5], s4, v1
	s_load_dword s39, s[16:17], 0x0
	v_lshl_or_b32 v23, v20, 3, v3
	v_addc_co_u32_e64 v8, s[4:5], 0, v2, s[4:5]
	ds_read_b128 v[1:4], v9
	s_mov_b32 s38, s13
	v_cmp_neq_f32_e64 s[2:3], s33, 0
	v_mov_b32_e32 v17, 0xff7fffff
	s_mov_b64 s[14:15], 0
	s_movk_i32 s41, 0x80
	s_movk_i32 s42, 0x7f
	v_bfrev_b32_e32 v25, 60
	v_mov_b32_e32 v26, v20
	s_branch .LBB171_9
.LBB171_8:                              ;   in Loop: Header=BB171_9 Depth=1
	s_or_b64 exec, exec, s[16:17]
	v_add_u32_e32 v26, 2, v26
	v_cmp_le_i32_e64 s[4:5], s30, v26
	s_or_b64 s[14:15], s[4:5], s[14:15]
	v_add_co_u32_e64 v7, s[4:5], 8, v7
	v_add_u32_e32 v23, 16, v23
	v_add_u32_e32 v24, 64, v24
	v_addc_co_u32_e64 v8, s[4:5], 0, v8, s[4:5]
	s_andn2_b64 exec, exec, s[14:15]
	s_cbranch_execz .LBB171_35
.LBB171_9:                              ; =>This Inner Loop Header: Depth=1
	global_load_dword v9, v[7:8], off
	v_mov_b32_e32 v27, 0
	s_waitcnt vmcnt(0) lgkmcnt(0)
	v_mad_i64_i32 v[9:10], s[4:5], v9, s38, v[5:6]
	global_load_ubyte v28, v[9:10], off
	s_waitcnt vmcnt(0)
	v_cmp_ne_u16_e64 s[4:5], 0, v28
	s_and_saveexec_b64 s[16:17], s[4:5]
	s_cbranch_execz .LBB171_15
; %bb.10:                               ;   in Loop: Header=BB171_9 Depth=1
	v_cmp_ne_u16_e64 s[4:5], s41, v28
	v_bfrev_b32_e32 v27, 1
	s_and_saveexec_b64 s[34:35], s[4:5]
	s_cbranch_execz .LBB171_14
; %bb.11:                               ;   in Loop: Header=BB171_9 Depth=1
	v_and_b32_e32 v11, 0xffff, v28
	v_and_b32_e32 v29, 0x7f, v11
	v_cmp_ne_u32_e64 s[4:5], s42, v29
	v_mov_b32_e32 v27, 0x7f800001
	s_and_saveexec_b64 s[36:37], s[4:5]
	s_cbranch_execz .LBB171_13
; %bb.12:                               ;   in Loop: Header=BB171_9 Depth=1
	v_and_b32_e32 v27, 7, v11
	v_ffbh_u32_e32 v30, v27
	v_min_u32_e32 v33, 32, v30
	v_subrev_u32_e32 v30, 28, v33
	v_lshlrev_b64 v[30:31], v30, v[11:12]
	v_lshrrev_b32_e32 v32, 3, v29
	v_sub_u32_e32 v11, 29, v33
	v_and_b32_e32 v30, 7, v30
	v_cmp_gt_u32_e64 s[4:5], 8, v29
	v_cndmask_b32_e64 v11, v32, v11, s[4:5]
	v_cndmask_b32_e64 v27, v27, v30, s[4:5]
	v_lshlrev_b32_e32 v28, 24, v28
	v_lshlrev_b32_e32 v27, 20, v27
	v_and_b32_e32 v28, 0x80000000, v28
	v_lshl_add_u32 v11, v11, 23, v25
	v_or3_b32 v27, v28, v11, v27
.LBB171_13:                             ;   in Loop: Header=BB171_9 Depth=1
	s_or_b64 exec, exec, s[36:37]
.LBB171_14:                             ;   in Loop: Header=BB171_9 Depth=1
	s_or_b64 exec, exec, s[34:35]
.LBB171_15:                             ;   in Loop: Header=BB171_9 Depth=1
	s_or_b64 exec, exec, s[16:17]
	global_load_ubyte v30, v[9:10], off offset:8
	v_mov_b32_e32 v28, 0
	v_mov_b32_e32 v29, 0
	s_waitcnt vmcnt(0)
	v_cmp_ne_u16_e64 s[4:5], 0, v30
	s_and_saveexec_b64 s[16:17], s[4:5]
	s_cbranch_execz .LBB171_21
; %bb.16:                               ;   in Loop: Header=BB171_9 Depth=1
	v_cmp_ne_u16_e64 s[4:5], s41, v30
	v_bfrev_b32_e32 v29, 1
	s_and_saveexec_b64 s[34:35], s[4:5]
	s_cbranch_execz .LBB171_20
; %bb.17:                               ;   in Loop: Header=BB171_9 Depth=1
	v_and_b32_e32 v11, 0xffff, v30
	v_and_b32_e32 v31, 0x7f, v11
	v_cmp_ne_u32_e64 s[4:5], s42, v31
	v_mov_b32_e32 v29, 0x7f800001
	s_and_saveexec_b64 s[36:37], s[4:5]
	s_cbranch_execz .LBB171_19
; %bb.18:                               ;   in Loop: Header=BB171_9 Depth=1
	v_and_b32_e32 v29, 7, v11
	v_ffbh_u32_e32 v32, v29
	v_min_u32_e32 v35, 32, v32
	v_subrev_u32_e32 v32, 28, v35
	v_lshlrev_b64 v[32:33], v32, v[11:12]
	v_lshrrev_b32_e32 v34, 3, v31
	v_sub_u32_e32 v11, 29, v35
	v_and_b32_e32 v32, 7, v32
	v_cmp_gt_u32_e64 s[4:5], 8, v31
	v_cndmask_b32_e64 v11, v34, v11, s[4:5]
	v_cndmask_b32_e64 v29, v29, v32, s[4:5]
	v_lshlrev_b32_e32 v30, 24, v30
	v_lshlrev_b32_e32 v29, 20, v29
	v_and_b32_e32 v30, 0x80000000, v30
	v_lshl_add_u32 v11, v11, 23, v25
	v_or3_b32 v29, v30, v11, v29
.LBB171_19:                             ;   in Loop: Header=BB171_9 Depth=1
	s_or_b64 exec, exec, s[36:37]
.LBB171_20:                             ;   in Loop: Header=BB171_9 Depth=1
	s_or_b64 exec, exec, s[34:35]
.LBB171_21:                             ;   in Loop: Header=BB171_9 Depth=1
	s_or_b64 exec, exec, s[16:17]
	global_load_ubyte v30, v[9:10], off offset:128
	s_waitcnt vmcnt(0)
	v_cmp_ne_u16_e64 s[4:5], 0, v30
	s_and_saveexec_b64 s[16:17], s[4:5]
	s_cbranch_execz .LBB171_27
; %bb.22:                               ;   in Loop: Header=BB171_9 Depth=1
	v_cmp_ne_u16_e64 s[4:5], s41, v30
	v_bfrev_b32_e32 v28, 1
	s_and_saveexec_b64 s[34:35], s[4:5]
	s_cbranch_execz .LBB171_26
; %bb.23:                               ;   in Loop: Header=BB171_9 Depth=1
	v_and_b32_e32 v11, 0xffff, v30
	v_and_b32_e32 v31, 0x7f, v11
	v_cmp_ne_u32_e64 s[4:5], s42, v31
	v_mov_b32_e32 v28, 0x7f800001
	s_and_saveexec_b64 s[36:37], s[4:5]
	s_cbranch_execz .LBB171_25
; %bb.24:                               ;   in Loop: Header=BB171_9 Depth=1
	v_and_b32_e32 v28, 7, v11
	v_ffbh_u32_e32 v32, v28
	v_min_u32_e32 v35, 32, v32
	v_subrev_u32_e32 v32, 28, v35
	v_lshlrev_b64 v[32:33], v32, v[11:12]
	v_lshrrev_b32_e32 v34, 3, v31
	v_sub_u32_e32 v11, 29, v35
	v_and_b32_e32 v32, 7, v32
	v_cmp_gt_u32_e64 s[4:5], 8, v31
	v_cndmask_b32_e64 v11, v34, v11, s[4:5]
	v_cndmask_b32_e64 v28, v28, v32, s[4:5]
	v_lshlrev_b32_e32 v30, 24, v30
	v_lshlrev_b32_e32 v28, 20, v28
	v_and_b32_e32 v30, 0x80000000, v30
	v_lshl_add_u32 v11, v11, 23, v25
	v_or3_b32 v28, v30, v11, v28
.LBB171_25:                             ;   in Loop: Header=BB171_9 Depth=1
	s_or_b64 exec, exec, s[36:37]
.LBB171_26:                             ;   in Loop: Header=BB171_9 Depth=1
	s_or_b64 exec, exec, s[34:35]
.LBB171_27:                             ;   in Loop: Header=BB171_9 Depth=1
	s_or_b64 exec, exec, s[16:17]
	global_load_ubyte v10, v[9:10], off offset:136
	v_mov_b32_e32 v11, 0
	s_waitcnt vmcnt(0)
	v_cmp_ne_u16_e64 s[4:5], 0, v10
	s_and_saveexec_b64 s[16:17], s[4:5]
	s_cbranch_execz .LBB171_33
; %bb.28:                               ;   in Loop: Header=BB171_9 Depth=1
	v_cmp_ne_u16_e64 s[4:5], s41, v10
	v_bfrev_b32_e32 v11, 1
	s_and_saveexec_b64 s[34:35], s[4:5]
	s_cbranch_execz .LBB171_32
; %bb.29:                               ;   in Loop: Header=BB171_9 Depth=1
	v_and_b32_e32 v9, 0xffff, v10
	v_and_b32_e32 v30, 0x7f, v9
	v_cmp_ne_u32_e64 s[4:5], s42, v30
	v_mov_b32_e32 v11, 0x7f800001
	s_and_saveexec_b64 s[36:37], s[4:5]
	s_cbranch_execz .LBB171_31
; %bb.30:                               ;   in Loop: Header=BB171_9 Depth=1
	v_and_b32_e32 v11, 7, v9
	v_ffbh_u32_e32 v31, v11
	v_min_u32_e32 v34, 32, v31
	v_subrev_u32_e32 v31, 28, v34
	v_lshlrev_b64 v[31:32], v31, v[9:10]
	v_lshrrev_b32_e32 v33, 3, v30
	v_sub_u32_e32 v9, 29, v34
	v_and_b32_e32 v31, 7, v31
	v_cmp_gt_u32_e64 s[4:5], 8, v30
	v_cndmask_b32_e64 v9, v33, v9, s[4:5]
	v_cndmask_b32_e64 v11, v11, v31, s[4:5]
	v_lshlrev_b32_e32 v10, 24, v10
	v_lshlrev_b32_e32 v11, 20, v11
	v_and_b32_e32 v10, 0x80000000, v10
	v_lshl_add_u32 v9, v9, 23, v25
	v_or3_b32 v11, v10, v9, v11
.LBB171_31:                             ;   in Loop: Header=BB171_9 Depth=1
	s_or_b64 exec, exec, s[36:37]
.LBB171_32:                             ;   in Loop: Header=BB171_9 Depth=1
	s_or_b64 exec, exec, s[34:35]
.LBB171_33:                             ;   in Loop: Header=BB171_9 Depth=1
	s_or_b64 exec, exec, s[16:17]
	s_waitcnt lgkmcnt(0)
	v_mul_f32_e32 v10, s39, v29
	v_mul_f32_e32 v27, s39, v27
	;; [unrolled: 1-line block ×4, first 2 shown]
	v_fmac_f32_e32 v10, v1, v27
	v_mul_f32_e32 v11, s39, v11
	v_fmac_f32_e32 v10, v3, v9
	v_fmac_f32_e32 v10, v4, v11
	ds_bpermute_b32 v9, v18, v10
	s_waitcnt lgkmcnt(0)
	v_add_f32_e32 v9, v10, v9
	ds_bpermute_b32 v10, v21, v9
	s_waitcnt lgkmcnt(0)
	v_add_f32_e32 v9, v9, v10
	ds_bpermute_b32 v10, v22, v9
	s_and_saveexec_b64 s[16:17], vcc
	s_cbranch_execz .LBB171_8
; %bb.34:                               ;   in Loop: Header=BB171_9 Depth=1
	v_add_u32_e32 v11, s40, v23
	v_cvt_f32_i32_e32 v11, v11
	s_waitcnt lgkmcnt(0)
	v_add_f32_e32 v9, v9, v10
	v_cmp_gt_i32_e64 s[4:5], s11, v23
	v_max_f32_e32 v10, v17, v17
	v_mul_f32_e32 v11, s33, v11
	v_cndmask_b32_e64 v11, 0, v11, s[2:3]
	v_fmac_f32_e32 v11, s31, v9
	v_cndmask_b32_e64 v9, 0, v11, s[4:5]
	ds_write_b32 v24, v9
	v_max_f32_e32 v9, v10, v11
	v_cndmask_b32_e64 v17, v17, v9, s[4:5]
	s_branch .LBB171_8
.LBB171_35:
	s_or_b64 exec, exec, s[14:15]
.LBB171_36:
	s_or_b64 exec, exec, s[6:7]
	v_xor_b32_e32 v1, 32, v14
	v_cmp_lt_i32_e32 vcc, v1, v15
	v_cndmask_b32_e32 v1, v14, v1, vcc
	v_lshlrev_b32_e32 v2, 2, v1
	ds_bpermute_b32 v1, v2, v17
	v_xor_b32_e32 v4, 16, v14
	v_max_f32_e32 v3, v17, v17
	v_cmp_lt_i32_e32 vcc, v4, v15
	v_xor_b32_e32 v5, 8, v14
	s_waitcnt lgkmcnt(0)
	v_max_f32_e32 v1, v1, v1
	v_max_f32_e32 v1, v3, v1
	v_cndmask_b32_e32 v3, v14, v4, vcc
	v_lshlrev_b32_e32 v4, 2, v3
	ds_bpermute_b32 v3, v4, v1
	v_cmp_lt_i32_e32 vcc, v5, v15
	v_and_b32_e32 v21, 63, v0
	s_waitcnt lgkmcnt(0)
	v_max_f32_e32 v3, v3, v3
	v_max_f32_e32 v3, v1, v3
	v_cndmask_b32_e32 v1, v14, v5, vcc
	v_lshlrev_b32_e32 v5, 2, v1
	ds_bpermute_b32 v6, v5, v3
	v_cmp_eq_u32_e32 vcc, 0, v21
	v_lshlrev_b32_e32 v1, 2, v20
	s_and_saveexec_b64 s[2:3], vcc
	s_cbranch_execz .LBB171_38
; %bb.37:
	s_waitcnt lgkmcnt(0)
	v_max_f32_e32 v6, v6, v6
	v_max_f32_e32 v3, v3, v3
	;; [unrolled: 1-line block ×3, first 2 shown]
	ds_write_b32 v1, v3 offset:128
.LBB171_38:
	s_or_b64 exec, exec, s[2:3]
	v_cmp_gt_u32_e64 s[2:3], 2, v21
	s_waitcnt lgkmcnt(0)
	v_mov_b32_e32 v6, 0xff7fffff
	v_lshlrev_b32_e32 v3, 2, v21
	s_barrier
	s_and_saveexec_b64 s[4:5], s[2:3]
; %bb.39:
	ds_read_b32 v6, v3 offset:128
; %bb.40:
	s_or_b64 exec, exec, s[4:5]
	v_xor_b32_e32 v7, 1, v14
	v_cmp_lt_i32_e64 s[4:5], v7, v15
	v_cndmask_b32_e64 v7, v14, v7, s[4:5]
	v_lshlrev_b32_e32 v22, 2, v7
	s_waitcnt lgkmcnt(0)
	ds_bpermute_b32 v7, v22, v6
	v_max_f32_e32 v6, v6, v6
	s_lshl_b32 s4, s30, 3
	s_min_i32 s31, s4, s11
	v_cmp_gt_i32_e64 s[4:5], s31, v0
	s_waitcnt lgkmcnt(0)
	v_max_f32_e32 v7, v7, v7
	v_max_f32_e32 v6, v6, v7
	v_lshlrev_b32_e32 v7, 2, v16
	ds_bpermute_b32 v7, v7, v6
	v_mov_b32_e32 v6, 0
	s_and_saveexec_b64 s[14:15], s[4:5]
	s_cbranch_execz .LBB171_44
; %bb.41:
	v_mov_b32_e32 v6, 0x90
	v_lshl_add_u32 v8, v0, 2, v6
	v_mov_b32_e32 v6, 0
	s_mov_b64 s[16:17], 0
	v_mov_b32_e32 v9, v0
.LBB171_42:                             ; =>This Inner Loop Header: Depth=1
	ds_read_b32 v10, v8
	v_add_u32_e32 v9, 0x80, v9
	v_cmp_le_i32_e64 s[6:7], s31, v9
	s_or_b64 s[16:17], s[6:7], s[16:17]
	s_waitcnt lgkmcnt(0)
	v_sub_f32_e32 v10, v10, v7
	v_mul_f32_e32 v10, 0x3fb8aa3b, v10
	v_exp_f32_e32 v10, v10
	ds_write_b32 v8, v10
	v_add_f32_e32 v6, v6, v10
	v_add_u32_e32 v8, 0x200, v8
	s_andn2_b64 exec, exec, s[16:17]
	s_cbranch_execnz .LBB171_42
; %bb.43:
	s_or_b64 exec, exec, s[16:17]
.LBB171_44:
	s_or_b64 exec, exec, s[14:15]
	ds_bpermute_b32 v2, v2, v6
	s_waitcnt lgkmcnt(0)
	v_add_f32_e32 v2, v6, v2
	ds_bpermute_b32 v4, v4, v2
	s_waitcnt lgkmcnt(0)
	v_add_f32_e32 v2, v2, v4
	ds_bpermute_b32 v4, v5, v2
	v_xor_b32_e32 v5, 4, v14
	v_cmp_lt_i32_e64 s[6:7], v5, v15
	v_cndmask_b32_e64 v5, v14, v5, s[6:7]
	v_lshlrev_b32_e32 v5, 2, v5
	s_waitcnt lgkmcnt(0)
	v_add_f32_e32 v2, v2, v4
	ds_bpermute_b32 v4, v5, v2
	v_xor_b32_e32 v5, 2, v14
	v_cmp_lt_i32_e64 s[6:7], v5, v15
	v_cndmask_b32_e64 v5, v14, v5, s[6:7]
	s_waitcnt lgkmcnt(0)
	v_add_f32_e32 v2, v2, v4
	v_lshlrev_b32_e32 v4, 2, v5
	ds_bpermute_b32 v4, v4, v2
	s_waitcnt lgkmcnt(0)
	v_add_f32_e32 v2, v2, v4
	ds_bpermute_b32 v4, v22, v2
	s_waitcnt lgkmcnt(0)
	v_add_f32_e32 v2, v2, v4
	s_and_saveexec_b64 s[6:7], vcc
; %bb.45:
	ds_write_b32 v1, v2 offset:136
; %bb.46:
	s_or_b64 exec, exec, s[6:7]
	s_waitcnt lgkmcnt(0)
	s_barrier
	s_and_saveexec_b64 s[6:7], s[2:3]
; %bb.47:
	ds_read_b32 v2, v3 offset:136
; %bb.48:
	s_or_b64 exec, exec, s[6:7]
	s_waitcnt lgkmcnt(0)
	ds_bpermute_b32 v1, v22, v2
	v_lshlrev_b32_e32 v3, 2, v14
	s_waitcnt lgkmcnt(0)
	v_add_f32_e32 v1, v2, v1
	v_and_b32_e32 v2, 0xffffff00, v3
	ds_bpermute_b32 v1, v2, v1
	s_and_saveexec_b64 s[2:3], s[4:5]
	s_cbranch_execz .LBB171_51
; %bb.49:
	s_waitcnt lgkmcnt(0)
	v_add_f32_e32 v2, 0x358637bd, v1
	v_div_scale_f32 v1, s[4:5], v2, v2, 1.0
	v_div_scale_f32 v3, vcc, 1.0, v2, 1.0
	s_mov_b64 s[4:5], 0
	v_rcp_f32_e32 v4, v1
	v_fma_f32 v5, -v1, v4, 1.0
	v_fmac_f32_e32 v4, v5, v4
	v_mul_f32_e32 v5, v3, v4
	v_fma_f32 v6, -v1, v5, v3
	v_fmac_f32_e32 v5, v6, v4
	v_fma_f32 v1, -v1, v5, v3
	v_div_fmas_f32 v3, v1, v4, v5
	v_mov_b32_e32 v1, 0x90
	v_lshl_add_u32 v1, v0, 2, v1
	v_div_fixup_f32 v2, v3, v2, 1.0
	v_mov_b32_e32 v3, v0
.LBB171_50:                             ; =>This Inner Loop Header: Depth=1
	ds_read_b32 v4, v1
	v_add_u32_e32 v3, 0x80, v3
	v_cmp_le_i32_e32 vcc, s31, v3
	s_or_b64 s[4:5], vcc, s[4:5]
	s_waitcnt lgkmcnt(0)
	v_mul_f32_e32 v4, v2, v4
	ds_write_b32 v1, v4
	v_add_u32_e32 v1, 0x200, v1
	s_andn2_b64 exec, exec, s[4:5]
	s_cbranch_execnz .LBB171_50
.LBB171_51:
	s_or_b64 exec, exec, s[2:3]
	v_mov_b32_e32 v25, 0
	s_waitcnt lgkmcnt(0)
	s_barrier
	s_and_saveexec_b64 s[2:3], s[0:1]
	s_cbranch_execz .LBB171_81
; %bb.52:
	s_ashr_i32 s0, s12, 31
	s_add_u32 s1, s28, s12
	v_and_b32_e32 v2, 0xfc, v12
	v_and_b32_e32 v1, 4, v12
	v_add_co_u32_e32 v7, vcc, s1, v2
	v_lshlrev_b32_e32 v2, 3, v20
	s_addc_u32 s0, s29, s0
	s_load_dword s15, s[18:19], 0x0
	v_or3_b32 v23, v2, v1, 3
	v_and_b32_e32 v1, 1, v0
	v_mov_b32_e32 v3, s0
	s_add_i32 s17, s30, -1
	v_lshlrev_b32_e32 v1, 4, v1
	s_lshl_b64 s[0:1], s[26:27], 2
	v_lshl_or_b32 v1, v20, 5, v1
	s_add_u32 s0, s24, s0
	v_addc_co_u32_e32 v8, vcc, 0, v3, vcc
	v_add_u32_e32 v24, 0x90, v1
	v_and_b32_e32 v1, 60, v13
	s_addc_u32 s1, s25, s1
	v_mov_b32_e32 v5, 0
	v_mov_b32_e32 v2, s1
	v_add_co_u32_e32 v9, vcc, s0, v1
	s_mov_b32 s14, s13
	s_waitcnt lgkmcnt(0)
	s_mov_b32 s16, s15
	v_addc_co_u32_e32 v10, vcc, 0, v2, vcc
	s_mov_b64 s[4:5], 0
	s_movk_i32 s18, 0x7f
	s_movk_i32 s19, 0x80
	s_mov_b32 s24, 0xffff
	s_mov_b32 s25, 0
	s_brev_b32 s26, 1
	s_mov_b32 s27, 0xffffff
	v_bfrev_b32_e32 v26, 60
	v_mov_b32_e32 v27, 0x7f800001
	v_bfrev_b32_e32 v6, 1
	v_mov_b32_e32 v25, v5
	s_branch .LBB171_54
.LBB171_53:                             ;   in Loop: Header=BB171_54 Depth=1
	s_or_b64 exec, exec, s[0:1]
	s_waitcnt lgkmcnt(0)
	v_mul_f32_e32 v1, v1, v14
	v_fmac_f32_e32 v1, v2, v12
	v_add_u32_e32 v20, 2, v20
	v_fmac_f32_e32 v1, v3, v13
	v_cmp_le_i32_e32 vcc, s30, v20
	v_fmac_f32_e32 v1, v4, v11
	s_or_b64 s[4:5], vcc, s[4:5]
	v_add_co_u32_e32 v9, vcc, 8, v9
	v_add_f32_e32 v25, v25, v1
	v_add_u32_e32 v23, 16, v23
	v_add_u32_e32 v24, 64, v24
	v_addc_co_u32_e32 v10, vcc, 0, v10, vcc
	s_andn2_b64 exec, exec, s[4:5]
	s_cbranch_execz .LBB171_80
.LBB171_54:                             ; =>This Inner Loop Header: Depth=1
	global_load_dword v1, v[9:10], off
	s_waitcnt vmcnt(0)
	v_mad_i64_i32 v[1:2], s[0:1], v1, s14, v[7:8]
	s_mov_b64 s[0:1], 0
	global_load_dword v11, v[1:2], off
	ds_read_b128 v[1:4], v24
	s_waitcnt vmcnt(0)
	v_cmp_gt_i16_sdwa s[6:7], v11, s18 src0_sel:BYTE_0 src1_sel:DWORD
	s_and_saveexec_b64 s[12:13], s[6:7]
	s_xor_b64 s[6:7], exec, s[12:13]
	s_cbranch_execz .LBB171_58
; %bb.55:                               ;   in Loop: Header=BB171_54 Depth=1
	v_cmp_eq_u16_sdwa s[28:29], v11, s19 src0_sel:BYTE_0 src1_sel:DWORD
	s_mov_b64 s[0:1], -1
	s_and_saveexec_b64 s[12:13], s[28:29]
; %bb.56:                               ;   in Loop: Header=BB171_54 Depth=1
	s_xor_b64 s[0:1], exec, -1
; %bb.57:                               ;   in Loop: Header=BB171_54 Depth=1
	s_or_b64 exec, exec, s[12:13]
	s_and_b64 s[0:1], s[0:1], exec
.LBB171_58:                             ;   in Loop: Header=BB171_54 Depth=1
	s_or_saveexec_b64 s[6:7], s[6:7]
	v_bfrev_b32_e32 v12, 1
	v_mov_b32_e32 v13, 0
	s_xor_b64 exec, exec, s[6:7]
; %bb.59:                               ;   in Loop: Header=BB171_54 Depth=1
	v_cmp_ne_u16_sdwa s[12:13], v11, v5 src0_sel:BYTE_0 src1_sel:DWORD
	s_andn2_b64 s[0:1], s[0:1], exec
	s_and_b64 s[12:13], s[12:13], exec
	v_and_b32_sdwa v12, s24, v11 dst_sel:DWORD dst_unused:UNUSED_PAD src0_sel:DWORD src1_sel:BYTE_0
	v_mov_b32_e32 v13, s25
	s_or_b64 s[0:1], s[0:1], s[12:13]
; %bb.60:                               ;   in Loop: Header=BB171_54 Depth=1
	s_or_b64 exec, exec, s[6:7]
	s_and_saveexec_b64 s[6:7], s[0:1]
	s_cbranch_execz .LBB171_62
; %bb.61:                               ;   in Loop: Header=BB171_54 Depth=1
	v_and_b32_e32 v16, 7, v11
	v_ffbh_u32_e32 v12, v16
	v_and_b32_e32 v15, 0x7f, v11
	v_min_u32_e32 v12, 32, v12
	v_sub_u32_e32 v13, 29, v12
	v_bfe_u32 v17, v11, 3, 4
	v_cmp_gt_u32_e32 vcc, 8, v15
	v_subrev_u32_e32 v12, 28, v12
	v_cndmask_b32_e32 v17, v17, v13, vcc
	v_lshlrev_b64 v[12:13], v12, v[11:12]
	v_and_b32_sdwa v14, sext(v11), s26 dst_sel:DWORD dst_unused:UNUSED_PAD src0_sel:BYTE_0 src1_sel:DWORD
	v_and_b32_e32 v12, 7, v12
	v_cndmask_b32_e32 v12, v16, v12, vcc
	v_lshl_add_u32 v13, v17, 23, v26
	v_lshlrev_b32_e32 v12, 20, v12
	v_or3_b32 v12, v14, v13, v12
	v_cmp_ne_u32_e32 vcc, s18, v15
	v_cndmask_b32_e32 v12, v27, v12, vcc
	v_mov_b32_e32 v13, v5
.LBB171_62:                             ;   in Loop: Header=BB171_54 Depth=1
	s_or_b64 exec, exec, s[6:7]
	v_lshrrev_b16_e32 v16, 8, v11
	v_cmp_lt_i16_e32 vcc, s18, v16
	s_mov_b64 s[0:1], 0
	s_and_saveexec_b64 s[6:7], vcc
	s_xor_b64 s[6:7], exec, s[6:7]
	s_cbranch_execz .LBB171_66
; %bb.63:                               ;   in Loop: Header=BB171_54 Depth=1
	v_cmp_eq_u16_e32 vcc, s19, v16
	s_mov_b64 s[0:1], -1
	s_and_saveexec_b64 s[12:13], vcc
; %bb.64:                               ;   in Loop: Header=BB171_54 Depth=1
	s_xor_b64 s[0:1], exec, -1
; %bb.65:                               ;   in Loop: Header=BB171_54 Depth=1
	s_or_b64 exec, exec, s[12:13]
	s_and_b64 s[0:1], s[0:1], exec
.LBB171_66:                             ;   in Loop: Header=BB171_54 Depth=1
	s_or_saveexec_b64 s[6:7], s[6:7]
	v_mov_b32_e32 v15, v6
	v_mov_b32_e32 v14, v5
	s_xor_b64 exec, exec, s[6:7]
; %bb.67:                               ;   in Loop: Header=BB171_54 Depth=1
	v_cmp_ne_u16_e32 vcc, 0, v16
	v_mov_b32_e32 v17, s25
	s_andn2_b64 s[0:1], s[0:1], exec
	s_and_b64 s[12:13], vcc, exec
	v_mov_b32_e32 v14, v16
	s_or_b64 s[0:1], s[0:1], s[12:13]
	v_mov_b32_e32 v15, v17
; %bb.68:                               ;   in Loop: Header=BB171_54 Depth=1
	s_or_b64 exec, exec, s[6:7]
	s_and_saveexec_b64 s[6:7], s[0:1]
	s_cbranch_execz .LBB171_70
; %bb.69:                               ;   in Loop: Header=BB171_54 Depth=1
	v_and_b32_e32 v18, 7, v16
	v_ffbh_u32_e32 v14, v18
	v_min_u32_e32 v30, 32, v14
	v_mov_b32_e32 v17, v5
	v_subrev_u32_e32 v14, 28, v30
	v_and_b32_e32 v28, 0x7f, v16
	v_lshlrev_b64 v[14:15], v14, v[16:17]
	v_bfe_u32 v29, v16, 3, 4
	v_sub_u32_e32 v15, 29, v30
	v_cmp_gt_u32_e32 vcc, 8, v28
	v_and_b32_e32 v14, 7, v14
	v_cndmask_b32_e32 v15, v29, v15, vcc
	v_cndmask_b32_e32 v14, v18, v14, vcc
	v_lshlrev_b32_e32 v16, 24, v16
	v_lshl_add_u32 v15, v15, 23, v26
	v_and_or_b32 v15, v16, s26, v15
	v_lshlrev_b32_e32 v14, 20, v14
	v_or_b32_e32 v14, v15, v14
	v_cmp_ne_u32_e32 vcc, s18, v28
	v_cndmask_b32_e32 v15, v27, v14, vcc
	v_mov_b32_e32 v14, v5
.LBB171_70:                             ;   in Loop: Header=BB171_54 Depth=1
	s_or_b64 exec, exec, s[6:7]
	v_lshrrev_b32_e32 v16, 16, v11
	v_cmp_gt_i16_sdwa s[6:7], v16, s18 src0_sel:BYTE_0 src1_sel:DWORD
	s_mov_b64 s[0:1], 0
	s_and_saveexec_b64 s[12:13], s[6:7]
	s_xor_b64 s[6:7], exec, s[12:13]
	s_cbranch_execz .LBB171_74
; %bb.71:                               ;   in Loop: Header=BB171_54 Depth=1
	v_cmp_eq_u16_sdwa s[28:29], v16, s19 src0_sel:BYTE_0 src1_sel:DWORD
	s_mov_b64 s[0:1], -1
	s_and_saveexec_b64 s[12:13], s[28:29]
; %bb.72:                               ;   in Loop: Header=BB171_54 Depth=1
	s_xor_b64 s[0:1], exec, -1
; %bb.73:                               ;   in Loop: Header=BB171_54 Depth=1
	s_or_b64 exec, exec, s[12:13]
	s_and_b64 s[0:1], s[0:1], exec
.LBB171_74:                             ;   in Loop: Header=BB171_54 Depth=1
	s_or_saveexec_b64 s[6:7], s[6:7]
	v_bfrev_b32_e32 v17, 1
	v_mov_b32_e32 v18, 0
	s_xor_b64 exec, exec, s[6:7]
; %bb.75:                               ;   in Loop: Header=BB171_54 Depth=1
	v_cmp_ne_u16_sdwa s[12:13], v16, v5 src0_sel:BYTE_0 src1_sel:DWORD
	s_andn2_b64 s[0:1], s[0:1], exec
	s_and_b64 s[12:13], s[12:13], exec
	v_and_b32_sdwa v17, s24, v16 dst_sel:DWORD dst_unused:UNUSED_PAD src0_sel:DWORD src1_sel:BYTE_0
	v_mov_b32_e32 v18, s25
	s_or_b64 s[0:1], s[0:1], s[12:13]
; %bb.76:                               ;   in Loop: Header=BB171_54 Depth=1
	s_or_b64 exec, exec, s[6:7]
	s_and_saveexec_b64 s[6:7], s[0:1]
	s_cbranch_execz .LBB171_78
; %bb.77:                               ;   in Loop: Header=BB171_54 Depth=1
	v_and_b32_e32 v28, 7, v16
	v_ffbh_u32_e32 v17, v28
	v_min_u32_e32 v31, 32, v17
	v_subrev_u32_e32 v17, 28, v31
	v_lshlrev_b64 v[17:18], v17, v[16:17]
	v_and_b32_e32 v29, 0x7f, v16
	v_bfe_u32 v30, v16, 3, 4
	v_sub_u32_e32 v18, 29, v31
	v_and_b32_e32 v17, 7, v17
	v_cmp_gt_u32_e32 vcc, 8, v29
	v_cndmask_b32_e32 v18, v30, v18, vcc
	v_cndmask_b32_e32 v17, v28, v17, vcc
	v_lshlrev_b32_e32 v17, 20, v17
	v_and_b32_sdwa v16, sext(v16), s26 dst_sel:DWORD dst_unused:UNUSED_PAD src0_sel:BYTE_0 src1_sel:DWORD
	v_lshl_add_u32 v18, v18, 23, v26
	v_or3_b32 v16, v16, v18, v17
	v_cmp_ne_u32_e32 vcc, s18, v29
	v_cndmask_b32_e32 v17, v27, v16, vcc
	v_mov_b32_e32 v18, v5
.LBB171_78:                             ;   in Loop: Header=BB171_54 Depth=1
	s_or_b64 exec, exec, s[6:7]
	v_bfe_u32 v30, v11, 24, 3
	v_ffbh_u32_e32 v28, v30
	v_min_u32_e32 v33, 32, v28
	v_lshrrev_b32_e32 v16, 24, v11
	v_subrev_u32_e32 v28, 28, v33
	v_bfe_u32 v31, v11, 24, 7
	v_lshlrev_b64 v[28:29], v28, v[16:17]
	v_bfe_u32 v32, v16, 3, 4
	v_sub_u32_e32 v29, 29, v33
	v_cmp_gt_u32_e32 vcc, 8, v31
	v_and_b32_e32 v28, 7, v28
	v_cndmask_b32_e32 v29, v32, v29, vcc
	v_cndmask_b32_e32 v28, v30, v28, vcc
	v_lshl_add_u32 v29, v29, 23, v26
	v_and_or_b32 v29, v11, s26, v29
	v_lshlrev_b32_e32 v28, 20, v28
	v_or_b32_e32 v28, v29, v28
	v_cmp_ne_u32_e64 s[0:1], s18, v31
	v_cndmask_b32_e64 v28, v27, v28, s[0:1]
	v_cmp_ne_u32_e64 s[0:1], s19, v16
	v_cndmask_b32_e64 v16, v6, v28, s[0:1]
	v_cmp_lt_u32_e64 s[0:1], s27, v11
	v_cndmask_b32_e64 v11, 0, v16, s[0:1]
	v_or_b32_e32 v13, v15, v13
	v_or_b32_e32 v14, v14, v12
	;; [unrolled: 1-line block ×3, first 2 shown]
	v_cmp_eq_u32_e32 vcc, s17, v20
	v_mul_f32_e32 v12, s16, v13
	v_mul_f32_e32 v14, s15, v14
	;; [unrolled: 1-line block ×4, first 2 shown]
	s_and_saveexec_b64 s[0:1], vcc
	s_cbranch_execz .LBB171_53
; %bb.79:                               ;   in Loop: Header=BB171_54 Depth=1
	v_add_u32_e32 v15, -3, v23
	v_cmp_gt_i32_e32 vcc, s11, v15
	v_add_u32_e32 v15, -2, v23
	v_cndmask_b32_e32 v14, 0, v14, vcc
	v_cmp_gt_i32_e32 vcc, s11, v15
	v_add_u32_e32 v15, -1, v23
	v_cndmask_b32_e32 v12, 0, v12, vcc
	v_cmp_gt_i32_e32 vcc, s11, v15
	v_cndmask_b32_e32 v13, 0, v13, vcc
	v_cmp_gt_i32_e32 vcc, s11, v23
	v_cndmask_b32_e32 v11, 0, v11, vcc
	s_branch .LBB171_53
.LBB171_80:
	s_or_b64 exec, exec, s[4:5]
.LBB171_81:
	s_or_b64 exec, exec, s[2:3]
	ds_bpermute_b32 v2, v22, v25
	v_and_b32_e32 v1, 0x3c1, v0
	v_cmp_eq_u32_e32 vcc, 64, v1
	s_waitcnt lgkmcnt(0)
	s_barrier
	v_add_f32_e32 v0, v25, v2
	s_and_saveexec_b64 s[0:1], vcc
; %bb.82:
	v_mov_b32_e32 v2, 0x90
	v_lshl_add_u32 v2, v21, 1, v2
	ds_write_b32 v2, v0
; %bb.83:
	s_or_b64 exec, exec, s[0:1]
	v_cmp_eq_u32_e32 vcc, 0, v1
	s_waitcnt lgkmcnt(0)
	s_barrier
	s_and_saveexec_b64 s[0:1], vcc
	s_cbranch_execz .LBB171_85
; %bb.84:
	v_mov_b32_e32 v1, 0x90
	v_lshl_add_u32 v1, v19, 2, v1
	ds_read_b32 v1, v1
	s_waitcnt lgkmcnt(0)
	v_add_f32_e32 v0, v0, v1
.LBB171_85:
	s_or_b64 exec, exec, s[0:1]
	s_barrier
	s_and_saveexec_b64 s[0:1], vcc
	s_cbranch_execz .LBB171_87
; %bb.86:
	s_mul_i32 s0, s10, s21
	s_mul_i32 s0, s0, s9
	s_lshl_b32 s0, s0, 5
	s_ashr_i32 s1, s0, 31
	s_lshl_b64 s[0:1], s[0:1], 2
	s_add_u32 s2, s22, s0
	s_mul_i32 s0, s21, s20
	s_addc_u32 s3, s23, s1
	s_ashr_i32 s1, s0, 31
	s_lshl_b64 s[0:1], s[0:1], 2
	s_add_u32 s2, s2, s0
	s_addc_u32 s3, s3, s1
	s_lshl_b32 s0, s8, 5
	s_ashr_i32 s1, s0, 31
	s_lshl_b64 s[0:1], s[0:1], 2
	s_add_u32 s0, s2, s0
	s_addc_u32 s1, s3, s1
	v_lshlrev_b32_e32 v1, 2, v19
	global_store_dword v1, v0, s[0:1]
.LBB171_87:
	s_endpgm
	.section	.rodata,"a",@progbits
	.p2align	6, 0x0
	.amdhsa_kernel _ZN4vllm25paged_attention_v1_kernelIfhLi32ELi8ELi128ELNS_18Fp8KVCacheDataTypeE1ELb0EEEvPT_PKS2_PKT0_S8_ifPKiSA_iPKfiiiSC_SC_iiiii
		.amdhsa_group_segment_fixed_size 144
		.amdhsa_private_segment_fixed_size 0
		.amdhsa_kernarg_size 384
		.amdhsa_user_sgpr_count 6
		.amdhsa_user_sgpr_private_segment_buffer 1
		.amdhsa_user_sgpr_dispatch_ptr 0
		.amdhsa_user_sgpr_queue_ptr 0
		.amdhsa_user_sgpr_kernarg_segment_ptr 1
		.amdhsa_user_sgpr_dispatch_id 0
		.amdhsa_user_sgpr_flat_scratch_init 0
		.amdhsa_user_sgpr_private_segment_size 0
		.amdhsa_uses_dynamic_stack 0
		.amdhsa_system_sgpr_private_segment_wavefront_offset 0
		.amdhsa_system_sgpr_workgroup_id_x 1
		.amdhsa_system_sgpr_workgroup_id_y 1
		.amdhsa_system_sgpr_workgroup_id_z 1
		.amdhsa_system_sgpr_workgroup_info 0
		.amdhsa_system_vgpr_workitem_id 0
		.amdhsa_next_free_vgpr 36
		.amdhsa_next_free_sgpr 43
		.amdhsa_reserve_vcc 1
		.amdhsa_reserve_flat_scratch 0
		.amdhsa_float_round_mode_32 0
		.amdhsa_float_round_mode_16_64 0
		.amdhsa_float_denorm_mode_32 3
		.amdhsa_float_denorm_mode_16_64 3
		.amdhsa_dx10_clamp 1
		.amdhsa_ieee_mode 1
		.amdhsa_fp16_overflow 0
		.amdhsa_exception_fp_ieee_invalid_op 0
		.amdhsa_exception_fp_denorm_src 0
		.amdhsa_exception_fp_ieee_div_zero 0
		.amdhsa_exception_fp_ieee_overflow 0
		.amdhsa_exception_fp_ieee_underflow 0
		.amdhsa_exception_fp_ieee_inexact 0
		.amdhsa_exception_int_div_zero 0
	.end_amdhsa_kernel
	.section	.text._ZN4vllm25paged_attention_v1_kernelIfhLi32ELi8ELi128ELNS_18Fp8KVCacheDataTypeE1ELb0EEEvPT_PKS2_PKT0_S8_ifPKiSA_iPKfiiiSC_SC_iiiii,"axG",@progbits,_ZN4vllm25paged_attention_v1_kernelIfhLi32ELi8ELi128ELNS_18Fp8KVCacheDataTypeE1ELb0EEEvPT_PKS2_PKT0_S8_ifPKiSA_iPKfiiiSC_SC_iiiii,comdat
.Lfunc_end171:
	.size	_ZN4vllm25paged_attention_v1_kernelIfhLi32ELi8ELi128ELNS_18Fp8KVCacheDataTypeE1ELb0EEEvPT_PKS2_PKT0_S8_ifPKiSA_iPKfiiiSC_SC_iiiii, .Lfunc_end171-_ZN4vllm25paged_attention_v1_kernelIfhLi32ELi8ELi128ELNS_18Fp8KVCacheDataTypeE1ELb0EEEvPT_PKS2_PKT0_S8_ifPKiSA_iPKfiiiSC_SC_iiiii
                                        ; -- End function
	.set _ZN4vllm25paged_attention_v1_kernelIfhLi32ELi8ELi128ELNS_18Fp8KVCacheDataTypeE1ELb0EEEvPT_PKS2_PKT0_S8_ifPKiSA_iPKfiiiSC_SC_iiiii.num_vgpr, 36
	.set _ZN4vllm25paged_attention_v1_kernelIfhLi32ELi8ELi128ELNS_18Fp8KVCacheDataTypeE1ELb0EEEvPT_PKS2_PKT0_S8_ifPKiSA_iPKfiiiSC_SC_iiiii.num_agpr, 0
	.set _ZN4vllm25paged_attention_v1_kernelIfhLi32ELi8ELi128ELNS_18Fp8KVCacheDataTypeE1ELb0EEEvPT_PKS2_PKT0_S8_ifPKiSA_iPKfiiiSC_SC_iiiii.numbered_sgpr, 43
	.set _ZN4vllm25paged_attention_v1_kernelIfhLi32ELi8ELi128ELNS_18Fp8KVCacheDataTypeE1ELb0EEEvPT_PKS2_PKT0_S8_ifPKiSA_iPKfiiiSC_SC_iiiii.num_named_barrier, 0
	.set _ZN4vllm25paged_attention_v1_kernelIfhLi32ELi8ELi128ELNS_18Fp8KVCacheDataTypeE1ELb0EEEvPT_PKS2_PKT0_S8_ifPKiSA_iPKfiiiSC_SC_iiiii.private_seg_size, 0
	.set _ZN4vllm25paged_attention_v1_kernelIfhLi32ELi8ELi128ELNS_18Fp8KVCacheDataTypeE1ELb0EEEvPT_PKS2_PKT0_S8_ifPKiSA_iPKfiiiSC_SC_iiiii.uses_vcc, 1
	.set _ZN4vllm25paged_attention_v1_kernelIfhLi32ELi8ELi128ELNS_18Fp8KVCacheDataTypeE1ELb0EEEvPT_PKS2_PKT0_S8_ifPKiSA_iPKfiiiSC_SC_iiiii.uses_flat_scratch, 0
	.set _ZN4vllm25paged_attention_v1_kernelIfhLi32ELi8ELi128ELNS_18Fp8KVCacheDataTypeE1ELb0EEEvPT_PKS2_PKT0_S8_ifPKiSA_iPKfiiiSC_SC_iiiii.has_dyn_sized_stack, 0
	.set _ZN4vllm25paged_attention_v1_kernelIfhLi32ELi8ELi128ELNS_18Fp8KVCacheDataTypeE1ELb0EEEvPT_PKS2_PKT0_S8_ifPKiSA_iPKfiiiSC_SC_iiiii.has_recursion, 0
	.set _ZN4vllm25paged_attention_v1_kernelIfhLi32ELi8ELi128ELNS_18Fp8KVCacheDataTypeE1ELb0EEEvPT_PKS2_PKT0_S8_ifPKiSA_iPKfiiiSC_SC_iiiii.has_indirect_call, 0
	.section	.AMDGPU.csdata,"",@progbits
; Kernel info:
; codeLenInByte = 4108
; TotalNumSgprs: 47
; NumVgprs: 36
; ScratchSize: 0
; MemoryBound: 0
; FloatMode: 240
; IeeeMode: 1
; LDSByteSize: 144 bytes/workgroup (compile time only)
; SGPRBlocks: 5
; VGPRBlocks: 8
; NumSGPRsForWavesPerEU: 47
; NumVGPRsForWavesPerEU: 36
; Occupancy: 7
; WaveLimiterHint : 1
; COMPUTE_PGM_RSRC2:SCRATCH_EN: 0
; COMPUTE_PGM_RSRC2:USER_SGPR: 6
; COMPUTE_PGM_RSRC2:TRAP_HANDLER: 0
; COMPUTE_PGM_RSRC2:TGID_X_EN: 1
; COMPUTE_PGM_RSRC2:TGID_Y_EN: 1
; COMPUTE_PGM_RSRC2:TGID_Z_EN: 1
; COMPUTE_PGM_RSRC2:TIDIG_COMP_CNT: 0
	.section	.text._ZN4vllm25paged_attention_v1_kernelIfhLi64ELi8ELi128ELNS_18Fp8KVCacheDataTypeE1ELb0EEEvPT_PKS2_PKT0_S8_ifPKiSA_iPKfiiiSC_SC_iiiii,"axG",@progbits,_ZN4vllm25paged_attention_v1_kernelIfhLi64ELi8ELi128ELNS_18Fp8KVCacheDataTypeE1ELb0EEEvPT_PKS2_PKT0_S8_ifPKiSA_iPKfiiiSC_SC_iiiii,comdat
	.protected	_ZN4vllm25paged_attention_v1_kernelIfhLi64ELi8ELi128ELNS_18Fp8KVCacheDataTypeE1ELb0EEEvPT_PKS2_PKT0_S8_ifPKiSA_iPKfiiiSC_SC_iiiii ; -- Begin function _ZN4vllm25paged_attention_v1_kernelIfhLi64ELi8ELi128ELNS_18Fp8KVCacheDataTypeE1ELb0EEEvPT_PKS2_PKT0_S8_ifPKiSA_iPKfiiiSC_SC_iiiii
	.globl	_ZN4vllm25paged_attention_v1_kernelIfhLi64ELi8ELi128ELNS_18Fp8KVCacheDataTypeE1ELb0EEEvPT_PKS2_PKT0_S8_ifPKiSA_iPKfiiiSC_SC_iiiii
	.p2align	8
	.type	_ZN4vllm25paged_attention_v1_kernelIfhLi64ELi8ELi128ELNS_18Fp8KVCacheDataTypeE1ELb0EEEvPT_PKS2_PKT0_S8_ifPKiSA_iPKfiiiSC_SC_iiiii,@function
_ZN4vllm25paged_attention_v1_kernelIfhLi64ELi8ELi128ELNS_18Fp8KVCacheDataTypeE1ELb0EEEvPT_PKS2_PKT0_S8_ifPKiSA_iPKfiiiSC_SC_iiiii: ; @_ZN4vllm25paged_attention_v1_kernelIfhLi64ELi8ELi128ELNS_18Fp8KVCacheDataTypeE1ELb0EEEvPT_PKS2_PKT0_S8_ifPKiSA_iPKfiiiSC_SC_iiiii
; %bb.0:
	s_load_dword s9, s[4:5], 0x80
	s_load_dwordx2 s[0:1], s[4:5], 0x30
	s_load_dwordx2 s[10:11], s[4:5], 0x20
	s_mov_b32 s20, s7
	s_ashr_i32 s21, s7, 31
	s_lshl_b64 s[2:3], s[20:21], 2
	s_waitcnt lgkmcnt(0)
	s_add_u32 s0, s0, s2
	s_addc_u32 s1, s1, s3
	s_abs_i32 s2, s10
	v_cvt_f32_u32_e32 v1, s2
	s_xor_b32 s3, s9, s10
	s_sub_i32 s10, 0, s2
	s_abs_i32 s7, s9
	v_rcp_iflag_f32_e32 v1, v1
	s_ashr_i32 s3, s3, 31
	v_mul_f32_e32 v1, 0x4f7ffffe, v1
	v_cvt_u32_f32_e32 v1, v1
	v_readfirstlane_b32 s12, v1
	s_mul_i32 s10, s10, s12
	s_mul_hi_u32 s10, s12, s10
	s_add_i32 s12, s12, s10
	s_mul_hi_u32 s10, s7, s12
	s_mul_i32 s12, s10, s2
	s_sub_i32 s7, s7, s12
	s_add_i32 s12, s10, 1
	s_sub_i32 s13, s7, s2
	s_cmp_ge_u32 s7, s2
	s_cselect_b32 s10, s12, s10
	s_cselect_b32 s7, s13, s7
	s_add_i32 s12, s10, 1
	s_cmp_ge_u32 s7, s2
	s_cselect_b32 s2, s12, s10
	s_xor_b32 s2, s2, s3
	s_sub_i32 s12, s2, s3
	s_abs_i32 s16, s12
	v_cvt_f32_u32_e32 v1, s16
	s_load_dwordx2 s[2:3], s[4:5], 0x40
	s_sub_i32 s7, 0, s16
	s_abs_i32 s17, s6
	v_rcp_iflag_f32_e32 v1, v1
	s_mov_b32 s10, 0
	v_mul_f32_e32 v1, 0x4f7ffffe, v1
	v_cvt_u32_f32_e32 v1, v1
	v_readfirstlane_b32 s13, v1
	s_mul_i32 s7, s7, s13
	s_mul_hi_u32 s7, s13, s7
	s_add_i32 s13, s13, s7
	s_waitcnt lgkmcnt(0)
	s_cmp_eq_u64 s[2:3], 0
	s_mul_hi_u32 s18, s17, s13
	s_cbranch_scc1 .LBB172_2
; %bb.1:
	s_ashr_i32 s7, s6, 31
	s_lshl_b64 s[14:15], s[6:7], 2
	s_add_u32 s2, s2, s14
	s_addc_u32 s3, s3, s15
	s_load_dword s10, s[2:3], 0x0
.LBB172_2:
	s_load_dword s33, s[0:1], 0x0
	s_ashr_i32 s19, s12, 31
	s_load_dwordx4 s[12:15], s[4:5], 0x48
	s_ashr_i32 s7, s6, 31
	v_and_b32_e32 v1, 7, v0
	s_lshl_b32 s22, s6, 6
	v_cmp_gt_u32_e64 s[0:1], 64, v0
	v_lshlrev_b32_e32 v16, 2, v0
	v_lshrrev_b32_e32 v24, 1, v0
	s_and_saveexec_b64 s[2:3], s[0:1]
	s_cbranch_execz .LBB172_4
; %bb.3:
	s_load_dwordx2 s[24:25], s[4:5], 0x8
	s_waitcnt lgkmcnt(0)
	s_mul_i32 s26, s12, s20
	s_ashr_i32 s27, s26, 31
	s_lshl_b64 s[26:27], s[26:27], 2
	v_and_b32_e32 v3, 0x1fc, v24
	s_add_u32 s6, s24, s26
	s_addc_u32 s12, s25, s27
	s_ashr_i32 s23, s22, 31
	s_lshl_b64 s[24:25], s[22:23], 2
	s_add_u32 s24, s6, s24
	s_addc_u32 s25, s12, s25
	global_load_dword v2, v16, s[24:25]
	v_lshl_add_u32 v3, v1, 5, v3
	s_waitcnt vmcnt(0)
	ds_write_b32 v3, v2
.LBB172_4:
	s_or_b64 exec, exec, s[2:3]
	s_waitcnt lgkmcnt(0)
	s_add_i32 s3, s33, 7
	s_ashr_i32 s6, s3, 31
	s_lshr_b32 s6, s6, 29
	s_add_i32 s3, s3, s6
	s_mul_i32 s6, s18, s16
	s_sub_i32 s6, s17, s6
	s_ashr_i32 s23, s3, 3
	s_xor_b32 s3, s7, s19
	s_add_i32 s7, s18, 1
	s_sub_i32 s12, s6, s16
	s_load_dwordx2 s[26:27], s[4:5], 0x28
	s_load_dword s2, s[4:5], 0x38
	s_cmp_ge_u32 s6, s16
	s_cselect_b32 s7, s7, s18
	s_cselect_b32 s6, s12, s6
	s_add_i32 s12, s7, 1
	s_cmp_ge_u32 s6, s16
	s_cselect_b32 s6, s12, s7
	v_lshrrev_b32_e32 v25, 6, v0
	s_xor_b32 s6, s6, s3
	s_waitcnt lgkmcnt(0)
	s_mul_i32 s28, s2, s20
	s_sub_i32 s12, s6, s3
	s_ashr_i32 s29, s28, 31
	v_cmp_gt_i32_e64 s[2:3], s23, v25
	v_cmp_le_i32_e32 vcc, s23, v25
	v_mbcnt_lo_u32_b32 v2, -1, 0
	s_barrier
                                        ; implicit-def: $vgpr18
                                        ; implicit-def: $vgpr20
                                        ; implicit-def: $vgpr19
	s_and_saveexec_b64 s[6:7], vcc
	s_xor_b64 s[6:7], exec, s[6:7]
; %bb.5:
	v_mbcnt_hi_u32_b32 v18, -1, v2
	v_and_b32_e32 v20, 64, v18
	v_add_u32_e32 v19, 64, v20
                                        ; implicit-def: $vgpr1
                                        ; implicit-def: $vgpr2
; %bb.6:
	s_or_saveexec_b64 s[34:35], s[6:7]
	s_load_dwordx2 s[24:25], s[4:5], 0x0
	s_load_dwordx2 s[30:31], s[4:5], 0x18
	s_load_dword s21, s[4:5], 0x88
	s_load_dwordx4 s[16:19], s[4:5], 0x58
	v_mov_b32_e32 v21, 0xff7fffff
	s_mul_i32 s12, s12, s14
	v_lshrrev_b32_e32 v17, 4, v0
	s_xor_b64 exec, exec, s[34:35]
	s_cbranch_execz .LBB172_60
; %bb.7:
	s_load_dwordx2 s[4:5], s[4:5], 0x10
	s_ashr_i32 s6, s12, 31
	v_bfe_u32 v3, v0, 3, 3
	v_lshlrev_b32_e32 v4, 4, v3
	v_mbcnt_hi_u32_b32 v18, -1, v2
	s_waitcnt lgkmcnt(0)
	s_add_u32 s4, s4, s12
	s_addc_u32 s5, s5, s6
	v_mov_b32_e32 v5, s5
	v_add_co_u32_e32 v4, vcc, s4, v4
	v_and_b32_e32 v20, 64, v18
	v_addc_co_u32_e32 v5, vcc, 0, v5, vcc
	v_add_u32_e32 v19, 64, v20
	v_xor_b32_e32 v2, 4, v18
	v_cmp_lt_i32_e32 vcc, v2, v19
	v_cndmask_b32_e32 v2, v18, v2, vcc
	v_lshlrev_b32_e32 v22, 2, v2
	v_xor_b32_e32 v2, 2, v18
	v_cmp_lt_i32_e32 vcc, v2, v19
	v_cndmask_b32_e32 v2, v18, v2, vcc
	v_lshlrev_b32_e32 v23, 2, v2
	v_xor_b32_e32 v2, 1, v18
	v_add_co_u32_e64 v9, s[6:7], v4, v1
	v_cmp_lt_i32_e32 vcc, v2, v19
	v_addc_co_u32_e64 v10, s[6:7], 0, v5, s[6:7]
	v_lshlrev_b32_e32 v6, 5, v1
	v_cndmask_b32_e32 v2, v18, v2, vcc
	v_cmp_eq_u32_e32 vcc, 0, v1
	s_sub_i32 s42, 1, s33
	v_lshlrev_b32_e32 v1, 2, v3
	s_lshl_b64 s[6:7], s[28:29], 2
	v_lshl_or_b32 v1, v25, 5, v1
	s_add_u32 s6, s26, s6
	v_add_u32_e32 v28, 0x110, v1
	v_and_b32_e32 v1, 60, v17
	s_addc_u32 s7, s27, s7
	v_lshlrev_b32_e32 v26, 2, v2
	v_mov_b32_e32 v2, s7
	v_add_co_u32_e64 v11, s[6:7], s6, v1
	s_load_dword s41, s[16:17], 0x0
	v_lshl_or_b32 v27, v25, 3, v3
	v_addc_co_u32_e64 v12, s[6:7], 0, v2, s[6:7]
	ds_read_b128 v[1:4], v6
	ds_read_b128 v[5:8], v6 offset:16
	s_mov_b32 s40, s13
	v_cmp_neq_f32_e64 s[4:5], s10, 0
	v_mov_b32_e32 v21, 0xff7fffff
	s_mov_b64 s[14:15], 0
	s_movk_i32 s43, 0x80
	s_movk_i32 s44, 0x7f
	v_bfrev_b32_e32 v29, 60
	v_mov_b32_e32 v30, v25
	s_branch .LBB172_9
.LBB172_8:                              ;   in Loop: Header=BB172_9 Depth=1
	s_or_b64 exec, exec, s[16:17]
	v_add_u32_e32 v30, 2, v30
	v_cmp_le_i32_e64 s[6:7], s23, v30
	s_or_b64 s[14:15], s[6:7], s[14:15]
	v_add_co_u32_e64 v11, s[6:7], 8, v11
	v_add_u32_e32 v27, 16, v27
	v_add_u32_e32 v28, 64, v28
	v_addc_co_u32_e64 v12, s[6:7], 0, v12, s[6:7]
	s_andn2_b64 exec, exec, s[14:15]
	s_cbranch_execz .LBB172_59
.LBB172_9:                              ; =>This Inner Loop Header: Depth=1
	global_load_dword v13, v[11:12], off
	v_mov_b32_e32 v31, 0
	s_waitcnt vmcnt(0) lgkmcnt(0)
	v_mad_i64_i32 v[13:14], s[6:7], v13, s40, v[9:10]
	global_load_ubyte v32, v[13:14], off
	s_waitcnt vmcnt(0)
	v_cmp_ne_u16_e64 s[6:7], 0, v32
	s_and_saveexec_b64 s[16:17], s[6:7]
	s_cbranch_execz .LBB172_15
; %bb.10:                               ;   in Loop: Header=BB172_9 Depth=1
	v_cmp_ne_u16_e64 s[6:7], s43, v32
	v_bfrev_b32_e32 v31, 1
	s_and_saveexec_b64 s[36:37], s[6:7]
	s_cbranch_execz .LBB172_14
; %bb.11:                               ;   in Loop: Header=BB172_9 Depth=1
	v_and_b32_e32 v15, 0xffff, v32
	v_and_b32_e32 v33, 0x7f, v15
	v_cmp_ne_u32_e64 s[6:7], s44, v33
	v_mov_b32_e32 v31, 0x7f800001
	s_and_saveexec_b64 s[38:39], s[6:7]
	s_cbranch_execz .LBB172_13
; %bb.12:                               ;   in Loop: Header=BB172_9 Depth=1
	v_and_b32_e32 v31, 7, v15
	v_ffbh_u32_e32 v34, v31
	v_min_u32_e32 v37, 32, v34
	v_subrev_u32_e32 v34, 28, v37
	v_lshlrev_b64 v[34:35], v34, v[15:16]
	v_lshrrev_b32_e32 v36, 3, v33
	v_sub_u32_e32 v15, 29, v37
	v_and_b32_e32 v34, 7, v34
	v_cmp_gt_u32_e64 s[6:7], 8, v33
	v_cndmask_b32_e64 v15, v36, v15, s[6:7]
	v_cndmask_b32_e64 v31, v31, v34, s[6:7]
	v_lshlrev_b32_e32 v32, 24, v32
	v_lshlrev_b32_e32 v31, 20, v31
	v_and_b32_e32 v32, 0x80000000, v32
	v_lshl_add_u32 v15, v15, 23, v29
	v_or3_b32 v31, v32, v15, v31
.LBB172_13:                             ;   in Loop: Header=BB172_9 Depth=1
	s_or_b64 exec, exec, s[38:39]
.LBB172_14:                             ;   in Loop: Header=BB172_9 Depth=1
	s_or_b64 exec, exec, s[36:37]
.LBB172_15:                             ;   in Loop: Header=BB172_9 Depth=1
	s_or_b64 exec, exec, s[16:17]
	global_load_ubyte v34, v[13:14], off offset:8
	v_mov_b32_e32 v32, 0
	v_mov_b32_e32 v33, 0
	s_waitcnt vmcnt(0)
	v_cmp_ne_u16_e64 s[6:7], 0, v34
	s_and_saveexec_b64 s[16:17], s[6:7]
	s_cbranch_execz .LBB172_21
; %bb.16:                               ;   in Loop: Header=BB172_9 Depth=1
	v_cmp_ne_u16_e64 s[6:7], s43, v34
	v_bfrev_b32_e32 v33, 1
	s_and_saveexec_b64 s[36:37], s[6:7]
	s_cbranch_execz .LBB172_20
; %bb.17:                               ;   in Loop: Header=BB172_9 Depth=1
	v_and_b32_e32 v15, 0xffff, v34
	v_and_b32_e32 v35, 0x7f, v15
	v_cmp_ne_u32_e64 s[6:7], s44, v35
	v_mov_b32_e32 v33, 0x7f800001
	s_and_saveexec_b64 s[38:39], s[6:7]
	s_cbranch_execz .LBB172_19
; %bb.18:                               ;   in Loop: Header=BB172_9 Depth=1
	v_and_b32_e32 v33, 7, v15
	v_ffbh_u32_e32 v36, v33
	v_min_u32_e32 v39, 32, v36
	v_subrev_u32_e32 v36, 28, v39
	v_lshlrev_b64 v[36:37], v36, v[15:16]
	v_lshrrev_b32_e32 v38, 3, v35
	v_sub_u32_e32 v15, 29, v39
	v_and_b32_e32 v36, 7, v36
	v_cmp_gt_u32_e64 s[6:7], 8, v35
	v_cndmask_b32_e64 v15, v38, v15, s[6:7]
	v_cndmask_b32_e64 v33, v33, v36, s[6:7]
	v_lshlrev_b32_e32 v34, 24, v34
	v_lshlrev_b32_e32 v33, 20, v33
	v_and_b32_e32 v34, 0x80000000, v34
	v_lshl_add_u32 v15, v15, 23, v29
	v_or3_b32 v33, v34, v15, v33
.LBB172_19:                             ;   in Loop: Header=BB172_9 Depth=1
	s_or_b64 exec, exec, s[38:39]
.LBB172_20:                             ;   in Loop: Header=BB172_9 Depth=1
	s_or_b64 exec, exec, s[36:37]
.LBB172_21:                             ;   in Loop: Header=BB172_9 Depth=1
	s_or_b64 exec, exec, s[16:17]
	global_load_ubyte v34, v[13:14], off offset:128
	s_waitcnt vmcnt(0)
	v_cmp_ne_u16_e64 s[6:7], 0, v34
	s_and_saveexec_b64 s[16:17], s[6:7]
	s_cbranch_execz .LBB172_27
; %bb.22:                               ;   in Loop: Header=BB172_9 Depth=1
	v_cmp_ne_u16_e64 s[6:7], s43, v34
	v_bfrev_b32_e32 v32, 1
	s_and_saveexec_b64 s[36:37], s[6:7]
	s_cbranch_execz .LBB172_26
; %bb.23:                               ;   in Loop: Header=BB172_9 Depth=1
	v_and_b32_e32 v15, 0xffff, v34
	v_and_b32_e32 v35, 0x7f, v15
	v_cmp_ne_u32_e64 s[6:7], s44, v35
	v_mov_b32_e32 v32, 0x7f800001
	s_and_saveexec_b64 s[38:39], s[6:7]
	s_cbranch_execz .LBB172_25
; %bb.24:                               ;   in Loop: Header=BB172_9 Depth=1
	v_and_b32_e32 v32, 7, v15
	v_ffbh_u32_e32 v36, v32
	v_min_u32_e32 v39, 32, v36
	v_subrev_u32_e32 v36, 28, v39
	v_lshlrev_b64 v[36:37], v36, v[15:16]
	v_lshrrev_b32_e32 v38, 3, v35
	v_sub_u32_e32 v15, 29, v39
	v_and_b32_e32 v36, 7, v36
	v_cmp_gt_u32_e64 s[6:7], 8, v35
	v_cndmask_b32_e64 v15, v38, v15, s[6:7]
	v_cndmask_b32_e64 v32, v32, v36, s[6:7]
	v_lshlrev_b32_e32 v34, 24, v34
	v_lshlrev_b32_e32 v32, 20, v32
	v_and_b32_e32 v34, 0x80000000, v34
	v_lshl_add_u32 v15, v15, 23, v29
	v_or3_b32 v32, v34, v15, v32
.LBB172_25:                             ;   in Loop: Header=BB172_9 Depth=1
	s_or_b64 exec, exec, s[38:39]
.LBB172_26:                             ;   in Loop: Header=BB172_9 Depth=1
	s_or_b64 exec, exec, s[36:37]
.LBB172_27:                             ;   in Loop: Header=BB172_9 Depth=1
	s_or_b64 exec, exec, s[16:17]
	global_load_ubyte v36, v[13:14], off offset:136
	v_mov_b32_e32 v34, 0
	v_mov_b32_e32 v35, 0
	s_waitcnt vmcnt(0)
	v_cmp_ne_u16_e64 s[6:7], 0, v36
	s_and_saveexec_b64 s[16:17], s[6:7]
	s_cbranch_execz .LBB172_33
; %bb.28:                               ;   in Loop: Header=BB172_9 Depth=1
	v_cmp_ne_u16_e64 s[6:7], s43, v36
	v_bfrev_b32_e32 v35, 1
	s_and_saveexec_b64 s[36:37], s[6:7]
	s_cbranch_execz .LBB172_32
; %bb.29:                               ;   in Loop: Header=BB172_9 Depth=1
	v_and_b32_e32 v15, 0xffff, v36
	v_and_b32_e32 v37, 0x7f, v15
	v_cmp_ne_u32_e64 s[6:7], s44, v37
	v_mov_b32_e32 v35, 0x7f800001
	s_and_saveexec_b64 s[38:39], s[6:7]
	s_cbranch_execz .LBB172_31
; %bb.30:                               ;   in Loop: Header=BB172_9 Depth=1
	v_and_b32_e32 v35, 7, v15
	v_ffbh_u32_e32 v38, v35
	v_min_u32_e32 v41, 32, v38
	v_subrev_u32_e32 v38, 28, v41
	v_lshlrev_b64 v[38:39], v38, v[15:16]
	v_lshrrev_b32_e32 v40, 3, v37
	v_sub_u32_e32 v15, 29, v41
	v_and_b32_e32 v38, 7, v38
	v_cmp_gt_u32_e64 s[6:7], 8, v37
	v_cndmask_b32_e64 v15, v40, v15, s[6:7]
	v_cndmask_b32_e64 v35, v35, v38, s[6:7]
	v_lshlrev_b32_e32 v36, 24, v36
	v_lshlrev_b32_e32 v35, 20, v35
	v_and_b32_e32 v36, 0x80000000, v36
	v_lshl_add_u32 v15, v15, 23, v29
	v_or3_b32 v35, v36, v15, v35
.LBB172_31:                             ;   in Loop: Header=BB172_9 Depth=1
	s_or_b64 exec, exec, s[38:39]
.LBB172_32:                             ;   in Loop: Header=BB172_9 Depth=1
	s_or_b64 exec, exec, s[36:37]
.LBB172_33:                             ;   in Loop: Header=BB172_9 Depth=1
	s_or_b64 exec, exec, s[16:17]
	global_load_ubyte v36, v[13:14], off offset:256
	s_waitcnt vmcnt(0)
	v_cmp_ne_u16_e64 s[6:7], 0, v36
	s_and_saveexec_b64 s[16:17], s[6:7]
	s_cbranch_execz .LBB172_39
; %bb.34:                               ;   in Loop: Header=BB172_9 Depth=1
	v_cmp_ne_u16_e64 s[6:7], s43, v36
	v_bfrev_b32_e32 v34, 1
	s_and_saveexec_b64 s[36:37], s[6:7]
	s_cbranch_execz .LBB172_38
; %bb.35:                               ;   in Loop: Header=BB172_9 Depth=1
	v_and_b32_e32 v15, 0xffff, v36
	v_and_b32_e32 v37, 0x7f, v15
	v_cmp_ne_u32_e64 s[6:7], s44, v37
	v_mov_b32_e32 v34, 0x7f800001
	s_and_saveexec_b64 s[38:39], s[6:7]
	s_cbranch_execz .LBB172_37
; %bb.36:                               ;   in Loop: Header=BB172_9 Depth=1
	v_and_b32_e32 v34, 7, v15
	v_ffbh_u32_e32 v38, v34
	v_min_u32_e32 v41, 32, v38
	v_subrev_u32_e32 v38, 28, v41
	v_lshlrev_b64 v[38:39], v38, v[15:16]
	v_lshrrev_b32_e32 v40, 3, v37
	v_sub_u32_e32 v15, 29, v41
	v_and_b32_e32 v38, 7, v38
	v_cmp_gt_u32_e64 s[6:7], 8, v37
	v_cndmask_b32_e64 v15, v40, v15, s[6:7]
	v_cndmask_b32_e64 v34, v34, v38, s[6:7]
	v_lshlrev_b32_e32 v36, 24, v36
	v_lshlrev_b32_e32 v34, 20, v34
	v_and_b32_e32 v36, 0x80000000, v36
	v_lshl_add_u32 v15, v15, 23, v29
	v_or3_b32 v34, v36, v15, v34
.LBB172_37:                             ;   in Loop: Header=BB172_9 Depth=1
	s_or_b64 exec, exec, s[38:39]
.LBB172_38:                             ;   in Loop: Header=BB172_9 Depth=1
	s_or_b64 exec, exec, s[36:37]
.LBB172_39:                             ;   in Loop: Header=BB172_9 Depth=1
	s_or_b64 exec, exec, s[16:17]
	global_load_ubyte v38, v[13:14], off offset:264
	v_mov_b32_e32 v36, 0
	v_mov_b32_e32 v37, 0
	s_waitcnt vmcnt(0)
	v_cmp_ne_u16_e64 s[6:7], 0, v38
	s_and_saveexec_b64 s[16:17], s[6:7]
	s_cbranch_execz .LBB172_45
; %bb.40:                               ;   in Loop: Header=BB172_9 Depth=1
	v_cmp_ne_u16_e64 s[6:7], s43, v38
	v_bfrev_b32_e32 v37, 1
	s_and_saveexec_b64 s[36:37], s[6:7]
	s_cbranch_execz .LBB172_44
; %bb.41:                               ;   in Loop: Header=BB172_9 Depth=1
	v_and_b32_e32 v15, 0xffff, v38
	v_and_b32_e32 v39, 0x7f, v15
	v_cmp_ne_u32_e64 s[6:7], s44, v39
	v_mov_b32_e32 v37, 0x7f800001
	s_and_saveexec_b64 s[38:39], s[6:7]
	s_cbranch_execz .LBB172_43
; %bb.42:                               ;   in Loop: Header=BB172_9 Depth=1
	v_and_b32_e32 v37, 7, v15
	v_ffbh_u32_e32 v40, v37
	v_min_u32_e32 v43, 32, v40
	v_subrev_u32_e32 v40, 28, v43
	v_lshlrev_b64 v[40:41], v40, v[15:16]
	v_lshrrev_b32_e32 v42, 3, v39
	v_sub_u32_e32 v15, 29, v43
	v_and_b32_e32 v40, 7, v40
	v_cmp_gt_u32_e64 s[6:7], 8, v39
	v_cndmask_b32_e64 v15, v42, v15, s[6:7]
	v_cndmask_b32_e64 v37, v37, v40, s[6:7]
	v_lshlrev_b32_e32 v38, 24, v38
	v_lshlrev_b32_e32 v37, 20, v37
	v_and_b32_e32 v38, 0x80000000, v38
	v_lshl_add_u32 v15, v15, 23, v29
	v_or3_b32 v37, v38, v15, v37
.LBB172_43:                             ;   in Loop: Header=BB172_9 Depth=1
	s_or_b64 exec, exec, s[38:39]
.LBB172_44:                             ;   in Loop: Header=BB172_9 Depth=1
	s_or_b64 exec, exec, s[36:37]
.LBB172_45:                             ;   in Loop: Header=BB172_9 Depth=1
	s_or_b64 exec, exec, s[16:17]
	global_load_ubyte v38, v[13:14], off offset:384
	s_waitcnt vmcnt(0)
	v_cmp_ne_u16_e64 s[6:7], 0, v38
	s_and_saveexec_b64 s[16:17], s[6:7]
	s_cbranch_execz .LBB172_51
; %bb.46:                               ;   in Loop: Header=BB172_9 Depth=1
	v_cmp_ne_u16_e64 s[6:7], s43, v38
	v_bfrev_b32_e32 v36, 1
	s_and_saveexec_b64 s[36:37], s[6:7]
	s_cbranch_execz .LBB172_50
; %bb.47:                               ;   in Loop: Header=BB172_9 Depth=1
	v_and_b32_e32 v15, 0xffff, v38
	v_and_b32_e32 v39, 0x7f, v15
	v_cmp_ne_u32_e64 s[6:7], s44, v39
	v_mov_b32_e32 v36, 0x7f800001
	s_and_saveexec_b64 s[38:39], s[6:7]
	s_cbranch_execz .LBB172_49
; %bb.48:                               ;   in Loop: Header=BB172_9 Depth=1
	v_and_b32_e32 v36, 7, v15
	v_ffbh_u32_e32 v40, v36
	v_min_u32_e32 v43, 32, v40
	v_subrev_u32_e32 v40, 28, v43
	v_lshlrev_b64 v[40:41], v40, v[15:16]
	v_lshrrev_b32_e32 v42, 3, v39
	v_sub_u32_e32 v15, 29, v43
	v_and_b32_e32 v40, 7, v40
	v_cmp_gt_u32_e64 s[6:7], 8, v39
	v_cndmask_b32_e64 v15, v42, v15, s[6:7]
	v_cndmask_b32_e64 v36, v36, v40, s[6:7]
	v_lshlrev_b32_e32 v38, 24, v38
	v_lshlrev_b32_e32 v36, 20, v36
	v_and_b32_e32 v38, 0x80000000, v38
	v_lshl_add_u32 v15, v15, 23, v29
	v_or3_b32 v36, v38, v15, v36
.LBB172_49:                             ;   in Loop: Header=BB172_9 Depth=1
	s_or_b64 exec, exec, s[38:39]
.LBB172_50:                             ;   in Loop: Header=BB172_9 Depth=1
	s_or_b64 exec, exec, s[36:37]
.LBB172_51:                             ;   in Loop: Header=BB172_9 Depth=1
	s_or_b64 exec, exec, s[16:17]
	global_load_ubyte v14, v[13:14], off offset:392
	v_mov_b32_e32 v15, 0
	s_waitcnt vmcnt(0)
	v_cmp_ne_u16_e64 s[6:7], 0, v14
	s_and_saveexec_b64 s[16:17], s[6:7]
	s_cbranch_execz .LBB172_57
; %bb.52:                               ;   in Loop: Header=BB172_9 Depth=1
	v_cmp_ne_u16_e64 s[6:7], s43, v14
	v_bfrev_b32_e32 v15, 1
	s_and_saveexec_b64 s[36:37], s[6:7]
	s_cbranch_execz .LBB172_56
; %bb.53:                               ;   in Loop: Header=BB172_9 Depth=1
	v_and_b32_e32 v13, 0xffff, v14
	v_and_b32_e32 v38, 0x7f, v13
	v_cmp_ne_u32_e64 s[6:7], s44, v38
	v_mov_b32_e32 v15, 0x7f800001
	s_and_saveexec_b64 s[38:39], s[6:7]
	s_cbranch_execz .LBB172_55
; %bb.54:                               ;   in Loop: Header=BB172_9 Depth=1
	v_and_b32_e32 v15, 7, v13
	v_ffbh_u32_e32 v39, v15
	v_min_u32_e32 v42, 32, v39
	v_subrev_u32_e32 v39, 28, v42
	v_lshlrev_b64 v[39:40], v39, v[13:14]
	v_lshrrev_b32_e32 v41, 3, v38
	v_sub_u32_e32 v13, 29, v42
	v_and_b32_e32 v39, 7, v39
	v_cmp_gt_u32_e64 s[6:7], 8, v38
	v_cndmask_b32_e64 v13, v41, v13, s[6:7]
	v_cndmask_b32_e64 v15, v15, v39, s[6:7]
	v_lshlrev_b32_e32 v14, 24, v14
	v_lshlrev_b32_e32 v15, 20, v15
	v_and_b32_e32 v14, 0x80000000, v14
	v_lshl_add_u32 v13, v13, 23, v29
	v_or3_b32 v15, v14, v13, v15
.LBB172_55:                             ;   in Loop: Header=BB172_9 Depth=1
	s_or_b64 exec, exec, s[38:39]
.LBB172_56:                             ;   in Loop: Header=BB172_9 Depth=1
	s_or_b64 exec, exec, s[36:37]
.LBB172_57:                             ;   in Loop: Header=BB172_9 Depth=1
	s_or_b64 exec, exec, s[16:17]
	s_waitcnt lgkmcnt(0)
	v_mul_f32_e32 v33, s41, v33
	v_mul_f32_e32 v31, s41, v31
	;; [unrolled: 1-line block ×4, first 2 shown]
	v_fmac_f32_e32 v33, v1, v31
	v_mul_f32_e32 v35, s41, v35
	v_fmac_f32_e32 v33, v3, v32
	v_mul_f32_e32 v34, s41, v34
	v_fmac_f32_e32 v33, v4, v35
	v_mul_f32_e32 v14, s41, v37
	v_fmac_f32_e32 v33, v5, v34
	v_mul_f32_e32 v13, s41, v36
	v_fmac_f32_e32 v33, v6, v14
	v_mul_f32_e32 v15, s41, v15
	v_fmac_f32_e32 v33, v7, v13
	v_fmac_f32_e32 v33, v8, v15
	ds_bpermute_b32 v13, v22, v33
	s_waitcnt lgkmcnt(0)
	v_add_f32_e32 v13, v33, v13
	ds_bpermute_b32 v14, v23, v13
	s_waitcnt lgkmcnt(0)
	v_add_f32_e32 v13, v13, v14
	ds_bpermute_b32 v14, v26, v13
	s_and_saveexec_b64 s[16:17], vcc
	s_cbranch_execz .LBB172_8
; %bb.58:                               ;   in Loop: Header=BB172_9 Depth=1
	v_add_u32_e32 v15, s42, v27
	v_cvt_f32_i32_e32 v15, v15
	s_waitcnt lgkmcnt(0)
	v_add_f32_e32 v13, v13, v14
	v_cmp_gt_i32_e64 s[6:7], s33, v27
	v_max_f32_e32 v14, v21, v21
	v_mul_f32_e32 v15, s10, v15
	v_cndmask_b32_e64 v15, 0, v15, s[4:5]
	v_fmac_f32_e32 v15, s11, v13
	v_cndmask_b32_e64 v13, 0, v15, s[6:7]
	ds_write_b32 v28, v13
	v_max_f32_e32 v13, v14, v15
	v_cndmask_b32_e64 v21, v21, v13, s[6:7]
	s_branch .LBB172_8
.LBB172_59:
	s_or_b64 exec, exec, s[14:15]
.LBB172_60:
	s_or_b64 exec, exec, s[34:35]
	v_xor_b32_e32 v1, 32, v18
	v_cmp_lt_i32_e32 vcc, v1, v19
	v_cndmask_b32_e32 v1, v18, v1, vcc
	v_lshlrev_b32_e32 v2, 2, v1
	ds_bpermute_b32 v1, v2, v21
	v_xor_b32_e32 v4, 16, v18
	v_max_f32_e32 v3, v21, v21
	v_cmp_lt_i32_e32 vcc, v4, v19
	v_xor_b32_e32 v5, 8, v18
	s_waitcnt lgkmcnt(0)
	v_max_f32_e32 v1, v1, v1
	v_max_f32_e32 v1, v3, v1
	v_cndmask_b32_e32 v3, v18, v4, vcc
	v_lshlrev_b32_e32 v4, 2, v3
	ds_bpermute_b32 v3, v4, v1
	v_cmp_lt_i32_e32 vcc, v5, v19
	v_and_b32_e32 v26, 63, v0
	s_waitcnt lgkmcnt(0)
	v_max_f32_e32 v3, v3, v3
	v_max_f32_e32 v3, v1, v3
	v_cndmask_b32_e32 v1, v18, v5, vcc
	v_lshlrev_b32_e32 v5, 2, v1
	ds_bpermute_b32 v6, v5, v3
	v_cmp_eq_u32_e32 vcc, 0, v26
	v_lshlrev_b32_e32 v1, 2, v25
	s_and_saveexec_b64 s[4:5], vcc
	s_cbranch_execz .LBB172_62
; %bb.61:
	s_waitcnt lgkmcnt(0)
	v_max_f32_e32 v6, v6, v6
	v_max_f32_e32 v3, v3, v3
	v_max_f32_e32 v3, v3, v6
	ds_write_b32 v1, v3 offset:256
.LBB172_62:
	s_or_b64 exec, exec, s[4:5]
	v_cmp_gt_u32_e64 s[4:5], 2, v26
	s_waitcnt lgkmcnt(0)
	v_mov_b32_e32 v6, 0xff7fffff
	v_lshlrev_b32_e32 v3, 2, v26
	s_barrier
	s_and_saveexec_b64 s[6:7], s[4:5]
; %bb.63:
	ds_read_b32 v6, v3 offset:256
; %bb.64:
	s_or_b64 exec, exec, s[6:7]
	v_xor_b32_e32 v7, 1, v18
	v_cmp_lt_i32_e64 s[6:7], v7, v19
	v_cndmask_b32_e64 v7, v18, v7, s[6:7]
	v_lshlrev_b32_e32 v27, 2, v7
	s_waitcnt lgkmcnt(0)
	ds_bpermute_b32 v7, v27, v6
	v_max_f32_e32 v6, v6, v6
	s_lshl_b32 s6, s23, 3
	s_min_i32 s34, s6, s33
	v_cmp_gt_i32_e64 s[6:7], s34, v0
	s_waitcnt lgkmcnt(0)
	v_max_f32_e32 v7, v7, v7
	v_max_f32_e32 v6, v6, v7
	v_lshlrev_b32_e32 v7, 2, v20
	ds_bpermute_b32 v7, v7, v6
	v_mov_b32_e32 v6, 0
	s_and_saveexec_b64 s[14:15], s[6:7]
	s_cbranch_execz .LBB172_68
; %bb.65:
	v_mov_b32_e32 v6, 0x110
	v_lshl_add_u32 v8, v0, 2, v6
	v_mov_b32_e32 v6, 0
	s_mov_b64 s[16:17], 0
	v_mov_b32_e32 v9, v0
.LBB172_66:                             ; =>This Inner Loop Header: Depth=1
	ds_read_b32 v10, v8
	v_add_u32_e32 v9, 0x80, v9
	v_cmp_le_i32_e64 s[10:11], s34, v9
	s_or_b64 s[16:17], s[10:11], s[16:17]
	s_waitcnt lgkmcnt(0)
	v_sub_f32_e32 v10, v10, v7
	v_mul_f32_e32 v10, 0x3fb8aa3b, v10
	v_exp_f32_e32 v10, v10
	ds_write_b32 v8, v10
	v_add_f32_e32 v6, v6, v10
	v_add_u32_e32 v8, 0x200, v8
	s_andn2_b64 exec, exec, s[16:17]
	s_cbranch_execnz .LBB172_66
; %bb.67:
	s_or_b64 exec, exec, s[16:17]
.LBB172_68:
	s_or_b64 exec, exec, s[14:15]
	ds_bpermute_b32 v2, v2, v6
	s_waitcnt lgkmcnt(0)
	v_add_f32_e32 v2, v6, v2
	ds_bpermute_b32 v4, v4, v2
	s_waitcnt lgkmcnt(0)
	v_add_f32_e32 v2, v2, v4
	ds_bpermute_b32 v4, v5, v2
	v_xor_b32_e32 v5, 4, v18
	v_cmp_lt_i32_e64 s[10:11], v5, v19
	v_cndmask_b32_e64 v5, v18, v5, s[10:11]
	v_lshlrev_b32_e32 v5, 2, v5
	s_waitcnt lgkmcnt(0)
	v_add_f32_e32 v2, v2, v4
	ds_bpermute_b32 v4, v5, v2
	v_xor_b32_e32 v5, 2, v18
	v_cmp_lt_i32_e64 s[10:11], v5, v19
	v_cndmask_b32_e64 v5, v18, v5, s[10:11]
	s_waitcnt lgkmcnt(0)
	v_add_f32_e32 v2, v2, v4
	v_lshlrev_b32_e32 v4, 2, v5
	ds_bpermute_b32 v4, v4, v2
	s_waitcnt lgkmcnt(0)
	v_add_f32_e32 v2, v2, v4
	ds_bpermute_b32 v4, v27, v2
	s_waitcnt lgkmcnt(0)
	v_add_f32_e32 v2, v2, v4
	s_and_saveexec_b64 s[10:11], vcc
; %bb.69:
	ds_write_b32 v1, v2 offset:264
; %bb.70:
	s_or_b64 exec, exec, s[10:11]
	s_waitcnt lgkmcnt(0)
	s_barrier
	s_and_saveexec_b64 s[10:11], s[4:5]
; %bb.71:
	ds_read_b32 v2, v3 offset:264
; %bb.72:
	s_or_b64 exec, exec, s[10:11]
	s_waitcnt lgkmcnt(0)
	ds_bpermute_b32 v1, v27, v2
	v_lshlrev_b32_e32 v3, 2, v18
	s_waitcnt lgkmcnt(0)
	v_add_f32_e32 v1, v2, v1
	v_and_b32_e32 v2, 0xffffff00, v3
	ds_bpermute_b32 v1, v2, v1
	s_and_saveexec_b64 s[4:5], s[6:7]
	s_cbranch_execz .LBB172_75
; %bb.73:
	s_waitcnt lgkmcnt(0)
	v_add_f32_e32 v2, 0x358637bd, v1
	v_div_scale_f32 v1, s[6:7], v2, v2, 1.0
	v_div_scale_f32 v3, vcc, 1.0, v2, 1.0
	s_mov_b64 s[6:7], 0
	v_rcp_f32_e32 v4, v1
	v_fma_f32 v5, -v1, v4, 1.0
	v_fmac_f32_e32 v4, v5, v4
	v_mul_f32_e32 v5, v3, v4
	v_fma_f32 v6, -v1, v5, v3
	v_fmac_f32_e32 v5, v6, v4
	v_fma_f32 v1, -v1, v5, v3
	v_div_fmas_f32 v3, v1, v4, v5
	v_mov_b32_e32 v1, 0x110
	v_lshl_add_u32 v1, v0, 2, v1
	v_div_fixup_f32 v2, v3, v2, 1.0
	v_mov_b32_e32 v3, v0
.LBB172_74:                             ; =>This Inner Loop Header: Depth=1
	ds_read_b32 v4, v1
	v_add_u32_e32 v3, 0x80, v3
	v_cmp_le_i32_e32 vcc, s34, v3
	s_or_b64 s[6:7], vcc, s[6:7]
	s_waitcnt lgkmcnt(0)
	v_mul_f32_e32 v4, v2, v4
	ds_write_b32 v1, v4
	v_add_u32_e32 v1, 0x200, v1
	s_andn2_b64 exec, exec, s[6:7]
	s_cbranch_execnz .LBB172_74
.LBB172_75:
	s_or_b64 exec, exec, s[4:5]
	v_mov_b32_e32 v30, 0
	v_and_b32_e32 v28, 1, v0
	v_mov_b32_e32 v32, 0
	s_waitcnt lgkmcnt(0)
	s_barrier
	s_and_saveexec_b64 s[4:5], s[2:3]
	s_cbranch_execz .LBB172_131
; %bb.76:
	s_ashr_i32 s2, s12, 31
	s_add_u32 s3, s30, s12
	v_and_b32_e32 v2, 0xfc, v16
	v_and_b32_e32 v1, 4, v16
	s_load_dword s17, s[18:19], 0x0
	s_addc_u32 s2, s31, s2
	v_add_co_u32_e32 v7, vcc, s3, v2
	v_lshlrev_b32_e32 v2, 3, v25
	s_add_i32 s19, s23, -1
	v_mov_b32_e32 v3, s2
	v_or3_b32 v29, v2, v1, 3
	v_lshlrev_b32_e32 v1, 4, v28
	s_lshl_b64 s[2:3], s[28:29], 2
	v_lshl_or_b32 v1, v25, 5, v1
	s_add_u32 s2, s26, s2
	v_addc_co_u32_e32 v8, vcc, 0, v3, vcc
	v_add_u32_e32 v31, 0x110, v1
	v_and_b32_e32 v1, 60, v17
	s_addc_u32 s3, s27, s3
	v_mov_b32_e32 v5, 0
	v_mov_b32_e32 v2, s3
	v_add_co_u32_e32 v9, vcc, s2, v1
	s_mov_b32 s16, s13
	s_waitcnt lgkmcnt(0)
	s_mov_b32 s18, s17
	v_addc_co_u32_e32 v10, vcc, 0, v2, vcc
	s_mov_b64 s[6:7], 0
	s_movk_i32 s26, 0x80
	s_movk_i32 s27, 0x7f
	s_brev_b32 s28, 1
	s_mov_b32 s29, 0xffffff
	v_bfrev_b32_e32 v33, 60
	v_bfrev_b32_e32 v6, 1
	v_mov_b32_e32 v12, 0x7f800001
	v_mov_b32_e32 v34, 7
	;; [unrolled: 1-line block ×5, first 2 shown]
	s_branch .LBB172_78
.LBB172_77:                             ;   in Loop: Header=BB172_78 Depth=1
	s_or_b64 exec, exec, s[2:3]
	s_waitcnt lgkmcnt(0)
	v_mul_f32_e32 v16, v1, v37
	v_mul_f32_e32 v1, v1, v15
	v_fmac_f32_e32 v16, v2, v36
	v_fmac_f32_e32 v1, v2, v11
	v_add_u32_e32 v25, 2, v25
	v_fmac_f32_e32 v16, v3, v23
	v_fmac_f32_e32 v1, v3, v14
	v_cmp_le_i32_e32 vcc, s23, v25
	v_fmac_f32_e32 v16, v4, v22
	v_fmac_f32_e32 v1, v4, v13
	s_or_b64 s[6:7], vcc, s[6:7]
	v_add_co_u32_e32 v9, vcc, 8, v9
	v_add_f32_e32 v30, v30, v16
	v_add_f32_e32 v32, v32, v1
	v_add_u32_e32 v29, 16, v29
	v_add_u32_e32 v31, 64, v31
	v_addc_co_u32_e32 v10, vcc, 0, v10, vcc
	s_andn2_b64 exec, exec, s[6:7]
	s_cbranch_execz .LBB172_130
.LBB172_78:                             ; =>This Inner Loop Header: Depth=1
	global_load_dword v1, v[9:10], off
	v_mov_b32_e32 v18, 0
	v_mov_b32_e32 v16, 0
	;; [unrolled: 1-line block ×4, first 2 shown]
	s_waitcnt vmcnt(0)
	v_mad_i64_i32 v[13:14], s[2:3], v1, s16, v[7:8]
	ds_read_b128 v[1:4], v31
	global_load_dword v15, v[13:14], off
	s_waitcnt vmcnt(0)
	v_cmp_ne_u16_sdwa s[10:11], v15, v5 src0_sel:BYTE_0 src1_sel:DWORD
	s_and_saveexec_b64 s[2:3], s[10:11]
	s_cbranch_execz .LBB172_84
; %bb.79:                               ;   in Loop: Header=BB172_78 Depth=1
	v_bfrev_b32_e32 v16, 1
	v_mov_b32_e32 v17, 0
	v_cmp_ne_u16_sdwa s[12:13], v15, s26 src0_sel:BYTE_0 src1_sel:DWORD
	s_and_saveexec_b64 s[10:11], s[12:13]
	s_cbranch_execz .LBB172_83
; %bb.80:                               ;   in Loop: Header=BB172_78 Depth=1
	v_and_b32_e32 v11, 0x7f, v15
	v_mov_b32_e32 v16, 0x7f800001
	v_mov_b32_e32 v17, 0
	v_cmp_ne_u32_e32 vcc, s27, v11
	s_and_saveexec_b64 s[12:13], vcc
	s_cbranch_execz .LBB172_82
; %bb.81:                               ;   in Loop: Header=BB172_78 Depth=1
	v_and_b32_e32 v20, 7, v15
	v_ffbh_u32_e32 v16, v20
	v_min_u32_e32 v22, 32, v16
	v_subrev_u32_e32 v16, 28, v22
	v_lshlrev_b64 v[16:17], v16, v[15:16]
	v_lshrrev_b32_e32 v21, 3, v11
	v_sub_u32_e32 v17, 29, v22
	v_and_b32_e32 v16, 7, v16
	v_cmp_gt_u32_e32 vcc, 8, v11
	v_cndmask_b32_e32 v11, v21, v17, vcc
	v_cndmask_b32_e32 v16, v20, v16, vcc
	v_lshlrev_b32_e32 v16, 20, v16
	v_and_b32_sdwa v17, sext(v15), s28 dst_sel:DWORD dst_unused:UNUSED_PAD src0_sel:BYTE_0 src1_sel:DWORD
	v_lshl_add_u32 v11, v11, 23, v33
	v_or3_b32 v16, v17, v11, v16
	v_mov_b32_e32 v17, v5
.LBB172_82:                             ;   in Loop: Header=BB172_78 Depth=1
	s_or_b64 exec, exec, s[12:13]
.LBB172_83:                             ;   in Loop: Header=BB172_78 Depth=1
	s_or_b64 exec, exec, s[10:11]
.LBB172_84:                             ;   in Loop: Header=BB172_78 Depth=1
	s_or_b64 exec, exec, s[2:3]
	v_cmp_ne_u16_sdwa s[10:11], v15, v5 src0_sel:BYTE_1 src1_sel:DWORD
	s_and_saveexec_b64 s[2:3], s[10:11]
	s_cbranch_execz .LBB172_90
; %bb.85:                               ;   in Loop: Header=BB172_78 Depth=1
	v_mov_b32_e32 v19, v6
	v_cmp_ne_u16_sdwa s[12:13], v15, s26 src0_sel:BYTE_1 src1_sel:DWORD
	v_mov_b32_e32 v18, v5
	s_and_saveexec_b64 s[10:11], s[12:13]
	s_cbranch_execz .LBB172_89
; %bb.86:                               ;   in Loop: Header=BB172_78 Depth=1
	v_and_b32_sdwa v20, v15, s27 dst_sel:DWORD dst_unused:UNUSED_PAD src0_sel:BYTE_1 src1_sel:DWORD
	v_mov_b32_e32 v11, v5
	v_mov_b32_e32 v19, v12
	v_cmp_ne_u32_e32 vcc, s27, v20
	v_mov_b32_e32 v18, v11
	s_and_saveexec_b64 s[12:13], vcc
	s_cbranch_execz .LBB172_88
; %bb.87:                               ;   in Loop: Header=BB172_78 Depth=1
	v_and_b32_sdwa v18, v15, v34 dst_sel:DWORD dst_unused:UNUSED_PAD src0_sel:BYTE_1 src1_sel:DWORD
	v_ffbh_u32_e32 v21, v18
	v_min_u32_e32 v23, 32, v21
	v_mov_b32_e32 v19, v5
	v_subrev_u32_e32 v21, 28, v23
	v_lshlrev_b64 v[21:22], v21, v[18:19]
	v_lshrrev_b32_e32 v11, 3, v20
	v_sub_u32_e32 v19, 29, v23
	v_cmp_gt_u32_e32 vcc, 8, v20
	v_and_b32_e32 v21, 7, v21
	v_cndmask_b32_e32 v11, v11, v19, vcc
	v_cndmask_b32_e32 v18, v18, v21, vcc
	v_lshlrev_b32_e32 v19, 16, v15
	v_lshl_add_u32 v11, v11, 23, v33
	v_and_or_b32 v11, v19, s28, v11
	v_lshlrev_b32_e32 v18, 20, v18
	v_or_b32_e32 v19, v11, v18
	v_mov_b32_e32 v18, v5
.LBB172_88:                             ;   in Loop: Header=BB172_78 Depth=1
	s_or_b64 exec, exec, s[12:13]
.LBB172_89:                             ;   in Loop: Header=BB172_78 Depth=1
	s_or_b64 exec, exec, s[10:11]
.LBB172_90:                             ;   in Loop: Header=BB172_78 Depth=1
	s_or_b64 exec, exec, s[2:3]
	v_lshrrev_b32_e32 v11, 16, v15
	v_mov_b32_e32 v22, 0
	v_mov_b32_e32 v20, 0
	;; [unrolled: 1-line block ×4, first 2 shown]
	v_cmp_ne_u16_sdwa s[10:11], v11, v5 src0_sel:BYTE_0 src1_sel:DWORD
	s_and_saveexec_b64 s[2:3], s[10:11]
	s_cbranch_execz .LBB172_96
; %bb.91:                               ;   in Loop: Header=BB172_78 Depth=1
	v_bfrev_b32_e32 v20, 1
	v_mov_b32_e32 v21, 0
	v_cmp_ne_u16_sdwa s[12:13], v11, s26 src0_sel:BYTE_0 src1_sel:DWORD
	s_and_saveexec_b64 s[10:11], s[12:13]
	s_cbranch_execz .LBB172_95
; %bb.92:                               ;   in Loop: Header=BB172_78 Depth=1
	v_bfe_u32 v36, v15, 16, 7
	v_mov_b32_e32 v20, 0x7f800001
	v_mov_b32_e32 v21, 0
	v_cmp_ne_u32_e32 vcc, s27, v36
	s_and_saveexec_b64 s[12:13], vcc
	s_cbranch_execz .LBB172_94
; %bb.93:                               ;   in Loop: Header=BB172_78 Depth=1
	v_and_b32_e32 v37, 7, v11
	v_ffbh_u32_e32 v20, v37
	v_min_u32_e32 v39, 32, v20
	v_subrev_u32_e32 v20, 28, v39
	v_lshlrev_b64 v[20:21], v20, v[11:12]
	v_lshrrev_b32_e32 v38, 3, v36
	v_sub_u32_e32 v21, 29, v39
	v_and_b32_e32 v20, 7, v20
	v_cmp_gt_u32_e32 vcc, 8, v36
	v_cndmask_b32_e32 v21, v38, v21, vcc
	v_cndmask_b32_e32 v20, v37, v20, vcc
	v_lshlrev_b32_e32 v20, 20, v20
	v_and_b32_sdwa v11, sext(v11), s28 dst_sel:DWORD dst_unused:UNUSED_PAD src0_sel:BYTE_0 src1_sel:DWORD
	v_lshl_add_u32 v21, v21, 23, v33
	v_or3_b32 v20, v11, v21, v20
	v_mov_b32_e32 v21, v5
.LBB172_94:                             ;   in Loop: Header=BB172_78 Depth=1
	s_or_b64 exec, exec, s[12:13]
.LBB172_95:                             ;   in Loop: Header=BB172_78 Depth=1
	s_or_b64 exec, exec, s[10:11]
.LBB172_96:                             ;   in Loop: Header=BB172_78 Depth=1
	s_or_b64 exec, exec, s[2:3]
	v_cmp_lt_u32_e32 vcc, s29, v15
	s_and_saveexec_b64 s[2:3], vcc
	s_cbranch_execz .LBB172_102
; %bb.97:                               ;   in Loop: Header=BB172_78 Depth=1
	v_mov_b32_e32 v23, v6
	v_cmp_ne_u32_sdwa s[12:13], v15, s26 src0_sel:BYTE_3 src1_sel:DWORD
	v_mov_b32_e32 v22, v5
	s_and_saveexec_b64 s[10:11], s[12:13]
	s_cbranch_execz .LBB172_101
; %bb.98:                               ;   in Loop: Header=BB172_78 Depth=1
	v_bfe_u32 v36, v15, 24, 7
	v_mov_b32_e32 v11, v5
	v_mov_b32_e32 v23, v12
	v_cmp_ne_u32_e32 vcc, s27, v36
	v_mov_b32_e32 v22, v11
	s_and_saveexec_b64 s[12:13], vcc
	s_cbranch_execz .LBB172_100
; %bb.99:                               ;   in Loop: Header=BB172_78 Depth=1
	v_and_b32_sdwa v22, v15, v34 dst_sel:DWORD dst_unused:UNUSED_PAD src0_sel:BYTE_3 src1_sel:DWORD
	v_ffbh_u32_e32 v37, v22
	v_min_u32_e32 v39, 32, v37
	v_mov_b32_e32 v23, v5
	v_subrev_u32_e32 v37, 28, v39
	v_lshlrev_b64 v[37:38], v37, v[22:23]
	v_lshrrev_b32_e32 v11, 3, v36
	v_sub_u32_e32 v23, 29, v39
	v_cmp_gt_u32_e32 vcc, 8, v36
	v_and_b32_e32 v37, 7, v37
	v_cndmask_b32_e32 v11, v11, v23, vcc
	v_cndmask_b32_e32 v22, v22, v37, vcc
	v_lshlrev_b32_sdwa v15, v35, v15 dst_sel:DWORD dst_unused:UNUSED_PAD src0_sel:DWORD src1_sel:BYTE_3
	v_lshl_add_u32 v11, v11, 23, v33
	v_and_or_b32 v11, v15, s28, v11
	v_lshlrev_b32_e32 v15, 20, v22
	v_or_b32_e32 v23, v11, v15
	v_mov_b32_e32 v22, v5
.LBB172_100:                            ;   in Loop: Header=BB172_78 Depth=1
	s_or_b64 exec, exec, s[12:13]
.LBB172_101:                            ;   in Loop: Header=BB172_78 Depth=1
	s_or_b64 exec, exec, s[10:11]
.LBB172_102:                            ;   in Loop: Header=BB172_78 Depth=1
	s_or_b64 exec, exec, s[2:3]
	v_or_b32_e32 v11, v19, v17
	v_or_b32_e32 v15, v18, v16
	v_mul_f32_e32 v36, s18, v11
	v_mul_f32_e32 v37, s17, v15
	v_or_b32_e32 v11, v23, v21
	v_or_b32_e32 v15, v22, v20
	v_add_u32_e32 v38, -3, v29
	v_cmp_eq_u32_e32 vcc, s19, v25
	v_mul_f32_e32 v23, s17, v15
	v_mul_f32_e32 v22, s18, v11
	v_add_u32_e32 v40, -2, v29
	v_add_u32_e32 v39, -1, v29
	s_and_saveexec_b64 s[10:11], vcc
; %bb.103:                              ;   in Loop: Header=BB172_78 Depth=1
	v_cmp_gt_i32_e64 s[2:3], s33, v38
	v_cndmask_b32_e64 v37, 0, v37, s[2:3]
	v_cmp_gt_i32_e64 s[2:3], s33, v40
	v_cndmask_b32_e64 v36, 0, v36, s[2:3]
	;; [unrolled: 2-line block ×4, first 2 shown]
; %bb.104:                              ;   in Loop: Header=BB172_78 Depth=1
	s_or_b64 exec, exec, s[10:11]
	global_load_dword v13, v[13:14], off offset:256
	v_mov_b32_e32 v16, 0
	v_mov_b32_e32 v14, 0
	;; [unrolled: 1-line block ×4, first 2 shown]
	s_waitcnt vmcnt(0)
	v_cmp_ne_u16_sdwa s[2:3], v13, v5 src0_sel:BYTE_0 src1_sel:DWORD
	s_and_saveexec_b64 s[10:11], s[2:3]
	s_cbranch_execz .LBB172_110
; %bb.105:                              ;   in Loop: Header=BB172_78 Depth=1
	v_bfrev_b32_e32 v14, 1
	v_mov_b32_e32 v15, 0
	v_cmp_ne_u16_sdwa s[2:3], v13, s26 src0_sel:BYTE_0 src1_sel:DWORD
	s_and_saveexec_b64 s[12:13], s[2:3]
	s_cbranch_execz .LBB172_109
; %bb.106:                              ;   in Loop: Header=BB172_78 Depth=1
	v_and_b32_e32 v11, 0x7f, v13
	v_mov_b32_e32 v14, 0x7f800001
	v_mov_b32_e32 v15, 0
	v_cmp_ne_u32_e64 s[2:3], s27, v11
	s_and_saveexec_b64 s[14:15], s[2:3]
	s_cbranch_execz .LBB172_108
; %bb.107:                              ;   in Loop: Header=BB172_78 Depth=1
	v_and_b32_e32 v18, 7, v13
	v_ffbh_u32_e32 v14, v18
	v_min_u32_e32 v20, 32, v14
	v_subrev_u32_e32 v14, 28, v20
	v_lshlrev_b64 v[14:15], v14, v[13:14]
	v_lshrrev_b32_e32 v19, 3, v11
	v_sub_u32_e32 v15, 29, v20
	v_and_b32_e32 v14, 7, v14
	v_cmp_gt_u32_e64 s[2:3], 8, v11
	v_cndmask_b32_e64 v11, v19, v15, s[2:3]
	v_cndmask_b32_e64 v14, v18, v14, s[2:3]
	v_lshlrev_b32_e32 v14, 20, v14
	v_and_b32_sdwa v15, sext(v13), s28 dst_sel:DWORD dst_unused:UNUSED_PAD src0_sel:BYTE_0 src1_sel:DWORD
	v_lshl_add_u32 v11, v11, 23, v33
	v_or3_b32 v14, v15, v11, v14
	v_mov_b32_e32 v15, v5
.LBB172_108:                            ;   in Loop: Header=BB172_78 Depth=1
	s_or_b64 exec, exec, s[14:15]
.LBB172_109:                            ;   in Loop: Header=BB172_78 Depth=1
	s_or_b64 exec, exec, s[12:13]
.LBB172_110:                            ;   in Loop: Header=BB172_78 Depth=1
	s_or_b64 exec, exec, s[10:11]
	v_cmp_ne_u16_sdwa s[2:3], v13, v5 src0_sel:BYTE_1 src1_sel:DWORD
	s_and_saveexec_b64 s[10:11], s[2:3]
	s_cbranch_execz .LBB172_116
; %bb.111:                              ;   in Loop: Header=BB172_78 Depth=1
	v_mov_b32_e32 v17, v6
	v_cmp_ne_u16_sdwa s[2:3], v13, s26 src0_sel:BYTE_1 src1_sel:DWORD
	v_mov_b32_e32 v16, v5
	s_and_saveexec_b64 s[12:13], s[2:3]
	s_cbranch_execz .LBB172_115
; %bb.112:                              ;   in Loop: Header=BB172_78 Depth=1
	v_and_b32_sdwa v18, v13, s27 dst_sel:DWORD dst_unused:UNUSED_PAD src0_sel:BYTE_1 src1_sel:DWORD
	v_mov_b32_e32 v11, v5
	v_mov_b32_e32 v17, v12
	v_cmp_ne_u32_e64 s[2:3], s27, v18
	v_mov_b32_e32 v16, v11
	s_and_saveexec_b64 s[14:15], s[2:3]
	s_cbranch_execz .LBB172_114
; %bb.113:                              ;   in Loop: Header=BB172_78 Depth=1
	v_and_b32_sdwa v16, v13, v34 dst_sel:DWORD dst_unused:UNUSED_PAD src0_sel:BYTE_1 src1_sel:DWORD
	v_ffbh_u32_e32 v19, v16
	v_min_u32_e32 v21, 32, v19
	v_mov_b32_e32 v17, v5
	v_subrev_u32_e32 v19, 28, v21
	v_lshlrev_b64 v[19:20], v19, v[16:17]
	v_lshrrev_b32_e32 v11, 3, v18
	v_sub_u32_e32 v17, 29, v21
	v_cmp_gt_u32_e64 s[2:3], 8, v18
	v_and_b32_e32 v19, 7, v19
	v_cndmask_b32_e64 v11, v11, v17, s[2:3]
	v_cndmask_b32_e64 v16, v16, v19, s[2:3]
	v_lshlrev_b32_e32 v17, 16, v13
	v_lshl_add_u32 v11, v11, 23, v33
	v_and_or_b32 v11, v17, s28, v11
	v_lshlrev_b32_e32 v16, 20, v16
	v_or_b32_e32 v17, v11, v16
	v_mov_b32_e32 v16, v5
.LBB172_114:                            ;   in Loop: Header=BB172_78 Depth=1
	s_or_b64 exec, exec, s[14:15]
.LBB172_115:                            ;   in Loop: Header=BB172_78 Depth=1
	s_or_b64 exec, exec, s[12:13]
.LBB172_116:                            ;   in Loop: Header=BB172_78 Depth=1
	s_or_b64 exec, exec, s[10:11]
	v_lshrrev_b32_e32 v11, 16, v13
	v_mov_b32_e32 v20, 0
	v_mov_b32_e32 v18, 0
	;; [unrolled: 1-line block ×4, first 2 shown]
	v_cmp_ne_u16_sdwa s[2:3], v11, v5 src0_sel:BYTE_0 src1_sel:DWORD
	s_and_saveexec_b64 s[10:11], s[2:3]
	s_cbranch_execz .LBB172_122
; %bb.117:                              ;   in Loop: Header=BB172_78 Depth=1
	v_bfrev_b32_e32 v18, 1
	v_mov_b32_e32 v19, 0
	v_cmp_ne_u16_sdwa s[2:3], v11, s26 src0_sel:BYTE_0 src1_sel:DWORD
	s_and_saveexec_b64 s[12:13], s[2:3]
	s_cbranch_execz .LBB172_121
; %bb.118:                              ;   in Loop: Header=BB172_78 Depth=1
	v_bfe_u32 v41, v13, 16, 7
	v_mov_b32_e32 v18, 0x7f800001
	v_mov_b32_e32 v19, 0
	v_cmp_ne_u32_e64 s[2:3], s27, v41
	s_and_saveexec_b64 s[14:15], s[2:3]
	s_cbranch_execz .LBB172_120
; %bb.119:                              ;   in Loop: Header=BB172_78 Depth=1
	v_and_b32_e32 v42, 7, v11
	v_ffbh_u32_e32 v18, v42
	v_min_u32_e32 v44, 32, v18
	v_subrev_u32_e32 v18, 28, v44
	v_lshlrev_b64 v[18:19], v18, v[11:12]
	v_lshrrev_b32_e32 v43, 3, v41
	v_sub_u32_e32 v19, 29, v44
	v_and_b32_e32 v18, 7, v18
	v_cmp_gt_u32_e64 s[2:3], 8, v41
	v_cndmask_b32_e64 v19, v43, v19, s[2:3]
	v_cndmask_b32_e64 v18, v42, v18, s[2:3]
	v_lshlrev_b32_e32 v18, 20, v18
	v_and_b32_sdwa v11, sext(v11), s28 dst_sel:DWORD dst_unused:UNUSED_PAD src0_sel:BYTE_0 src1_sel:DWORD
	v_lshl_add_u32 v19, v19, 23, v33
	v_or3_b32 v18, v11, v19, v18
	v_mov_b32_e32 v19, v5
.LBB172_120:                            ;   in Loop: Header=BB172_78 Depth=1
	s_or_b64 exec, exec, s[14:15]
.LBB172_121:                            ;   in Loop: Header=BB172_78 Depth=1
	s_or_b64 exec, exec, s[12:13]
.LBB172_122:                            ;   in Loop: Header=BB172_78 Depth=1
	s_or_b64 exec, exec, s[10:11]
	v_cmp_lt_u32_e64 s[2:3], s29, v13
	s_and_saveexec_b64 s[10:11], s[2:3]
	s_cbranch_execz .LBB172_128
; %bb.123:                              ;   in Loop: Header=BB172_78 Depth=1
	v_mov_b32_e32 v21, v6
	v_cmp_ne_u32_sdwa s[2:3], v13, s26 src0_sel:BYTE_3 src1_sel:DWORD
	v_mov_b32_e32 v20, v5
	s_and_saveexec_b64 s[12:13], s[2:3]
	s_cbranch_execz .LBB172_127
; %bb.124:                              ;   in Loop: Header=BB172_78 Depth=1
	v_bfe_u32 v41, v13, 24, 7
	v_mov_b32_e32 v11, v5
	v_mov_b32_e32 v21, v12
	v_cmp_ne_u32_e64 s[2:3], s27, v41
	v_mov_b32_e32 v20, v11
	s_and_saveexec_b64 s[14:15], s[2:3]
	s_cbranch_execz .LBB172_126
; %bb.125:                              ;   in Loop: Header=BB172_78 Depth=1
	v_and_b32_sdwa v20, v13, v34 dst_sel:DWORD dst_unused:UNUSED_PAD src0_sel:BYTE_3 src1_sel:DWORD
	v_ffbh_u32_e32 v42, v20
	v_min_u32_e32 v44, 32, v42
	v_mov_b32_e32 v21, v5
	v_subrev_u32_e32 v42, 28, v44
	v_lshlrev_b64 v[42:43], v42, v[20:21]
	v_lshrrev_b32_e32 v11, 3, v41
	v_sub_u32_e32 v21, 29, v44
	v_cmp_gt_u32_e64 s[2:3], 8, v41
	v_and_b32_e32 v42, 7, v42
	v_cndmask_b32_e64 v11, v11, v21, s[2:3]
	v_cndmask_b32_e64 v20, v20, v42, s[2:3]
	v_lshlrev_b32_sdwa v13, v35, v13 dst_sel:DWORD dst_unused:UNUSED_PAD src0_sel:DWORD src1_sel:BYTE_3
	v_lshl_add_u32 v11, v11, 23, v33
	v_and_or_b32 v11, v13, s28, v11
	v_lshlrev_b32_e32 v13, 20, v20
	v_or_b32_e32 v21, v11, v13
	v_mov_b32_e32 v20, v5
.LBB172_126:                            ;   in Loop: Header=BB172_78 Depth=1
	s_or_b64 exec, exec, s[14:15]
.LBB172_127:                            ;   in Loop: Header=BB172_78 Depth=1
	s_or_b64 exec, exec, s[12:13]
.LBB172_128:                            ;   in Loop: Header=BB172_78 Depth=1
	s_or_b64 exec, exec, s[10:11]
	v_or_b32_e32 v13, v16, v14
	v_or_b32_e32 v11, v17, v15
	v_mul_f32_e32 v15, s17, v13
	v_or_b32_e32 v13, v21, v19
	v_or_b32_e32 v14, v20, v18
	v_mul_f32_e32 v11, s18, v11
	v_mul_f32_e32 v14, s17, v14
	;; [unrolled: 1-line block ×3, first 2 shown]
	s_and_saveexec_b64 s[2:3], vcc
	s_cbranch_execz .LBB172_77
; %bb.129:                              ;   in Loop: Header=BB172_78 Depth=1
	v_cmp_gt_i32_e32 vcc, s33, v38
	v_cndmask_b32_e32 v15, 0, v15, vcc
	v_cmp_gt_i32_e32 vcc, s33, v40
	v_cndmask_b32_e32 v11, 0, v11, vcc
	;; [unrolled: 2-line block ×4, first 2 shown]
	s_branch .LBB172_77
.LBB172_130:
	s_or_b64 exec, exec, s[6:7]
.LBB172_131:
	s_or_b64 exec, exec, s[4:5]
	ds_bpermute_b32 v1, v27, v30
	ds_bpermute_b32 v2, v27, v32
	v_and_b32_e32 v0, 0x3c1, v0
	v_cmp_eq_u32_e32 vcc, 64, v0
	s_waitcnt lgkmcnt(0)
	v_add_f32_e32 v1, v30, v1
	v_add_f32_e32 v2, v32, v2
	s_barrier
	s_and_saveexec_b64 s[2:3], vcc
; %bb.132:
	v_mov_b32_e32 v3, 0x110
	v_lshl_add_u32 v3, v26, 1, v3
	ds_write2_b32 v3, v1, v2 offset1:32
; %bb.133:
	s_or_b64 exec, exec, s[2:3]
	s_waitcnt lgkmcnt(0)
	s_barrier
	s_and_saveexec_b64 s[2:3], s[0:1]
	s_cbranch_execz .LBB172_139
; %bb.134:
	v_mov_b32_e32 v3, 0x110
	v_cmp_eq_u32_e32 vcc, 0, v28
	v_lshl_add_u32 v3, v24, 2, v3
	s_and_saveexec_b64 s[0:1], vcc
	s_cbranch_execz .LBB172_136
; %bb.135:
	ds_read_b32 v4, v3
	s_waitcnt lgkmcnt(0)
	v_add_f32_e32 v1, v1, v4
.LBB172_136:
	s_or_b64 exec, exec, s[0:1]
	s_and_saveexec_b64 s[0:1], vcc
	s_cbranch_execz .LBB172_138
; %bb.137:
	ds_read_b32 v3, v3 offset:128
	s_waitcnt lgkmcnt(0)
	v_add_f32_e32 v2, v2, v3
.LBB172_138:
	s_or_b64 exec, exec, s[0:1]
.LBB172_139:
	s_or_b64 exec, exec, s[2:3]
	v_cmp_eq_u32_e32 vcc, 0, v0
	s_barrier
	s_and_saveexec_b64 s[0:1], vcc
	s_cbranch_execz .LBB172_141
; %bb.140:
	s_mul_i32 s0, s20, s21
	s_mul_i32 s0, s0, s9
	s_lshl_b32 s0, s0, 6
	s_ashr_i32 s1, s0, 31
	s_lshl_b64 s[0:1], s[0:1], 2
	s_add_u32 s2, s24, s0
	s_mul_i32 s0, s21, s22
	s_addc_u32 s3, s25, s1
	s_ashr_i32 s1, s0, 31
	s_lshl_b64 s[0:1], s[0:1], 2
	s_add_u32 s2, s2, s0
	s_addc_u32 s3, s3, s1
	s_lshl_b32 s0, s8, 6
	s_ashr_i32 s1, s0, 31
	s_lshl_b64 s[0:1], s[0:1], 2
	s_add_u32 s0, s2, s0
	s_addc_u32 s1, s3, s1
	v_lshlrev_b32_e32 v0, 2, v24
	global_store_dword v0, v1, s[0:1]
	global_store_dword v0, v2, s[0:1] offset:128
.LBB172_141:
	s_endpgm
	.section	.rodata,"a",@progbits
	.p2align	6, 0x0
	.amdhsa_kernel _ZN4vllm25paged_attention_v1_kernelIfhLi64ELi8ELi128ELNS_18Fp8KVCacheDataTypeE1ELb0EEEvPT_PKS2_PKT0_S8_ifPKiSA_iPKfiiiSC_SC_iiiii
		.amdhsa_group_segment_fixed_size 272
		.amdhsa_private_segment_fixed_size 0
		.amdhsa_kernarg_size 384
		.amdhsa_user_sgpr_count 6
		.amdhsa_user_sgpr_private_segment_buffer 1
		.amdhsa_user_sgpr_dispatch_ptr 0
		.amdhsa_user_sgpr_queue_ptr 0
		.amdhsa_user_sgpr_kernarg_segment_ptr 1
		.amdhsa_user_sgpr_dispatch_id 0
		.amdhsa_user_sgpr_flat_scratch_init 0
		.amdhsa_user_sgpr_private_segment_size 0
		.amdhsa_uses_dynamic_stack 0
		.amdhsa_system_sgpr_private_segment_wavefront_offset 0
		.amdhsa_system_sgpr_workgroup_id_x 1
		.amdhsa_system_sgpr_workgroup_id_y 1
		.amdhsa_system_sgpr_workgroup_id_z 1
		.amdhsa_system_sgpr_workgroup_info 0
		.amdhsa_system_vgpr_workitem_id 0
		.amdhsa_next_free_vgpr 45
		.amdhsa_next_free_sgpr 45
		.amdhsa_reserve_vcc 1
		.amdhsa_reserve_flat_scratch 0
		.amdhsa_float_round_mode_32 0
		.amdhsa_float_round_mode_16_64 0
		.amdhsa_float_denorm_mode_32 3
		.amdhsa_float_denorm_mode_16_64 3
		.amdhsa_dx10_clamp 1
		.amdhsa_ieee_mode 1
		.amdhsa_fp16_overflow 0
		.amdhsa_exception_fp_ieee_invalid_op 0
		.amdhsa_exception_fp_denorm_src 0
		.amdhsa_exception_fp_ieee_div_zero 0
		.amdhsa_exception_fp_ieee_overflow 0
		.amdhsa_exception_fp_ieee_underflow 0
		.amdhsa_exception_fp_ieee_inexact 0
		.amdhsa_exception_int_div_zero 0
	.end_amdhsa_kernel
	.section	.text._ZN4vllm25paged_attention_v1_kernelIfhLi64ELi8ELi128ELNS_18Fp8KVCacheDataTypeE1ELb0EEEvPT_PKS2_PKT0_S8_ifPKiSA_iPKfiiiSC_SC_iiiii,"axG",@progbits,_ZN4vllm25paged_attention_v1_kernelIfhLi64ELi8ELi128ELNS_18Fp8KVCacheDataTypeE1ELb0EEEvPT_PKS2_PKT0_S8_ifPKiSA_iPKfiiiSC_SC_iiiii,comdat
.Lfunc_end172:
	.size	_ZN4vllm25paged_attention_v1_kernelIfhLi64ELi8ELi128ELNS_18Fp8KVCacheDataTypeE1ELb0EEEvPT_PKS2_PKT0_S8_ifPKiSA_iPKfiiiSC_SC_iiiii, .Lfunc_end172-_ZN4vllm25paged_attention_v1_kernelIfhLi64ELi8ELi128ELNS_18Fp8KVCacheDataTypeE1ELb0EEEvPT_PKS2_PKT0_S8_ifPKiSA_iPKfiiiSC_SC_iiiii
                                        ; -- End function
	.set _ZN4vllm25paged_attention_v1_kernelIfhLi64ELi8ELi128ELNS_18Fp8KVCacheDataTypeE1ELb0EEEvPT_PKS2_PKT0_S8_ifPKiSA_iPKfiiiSC_SC_iiiii.num_vgpr, 45
	.set _ZN4vllm25paged_attention_v1_kernelIfhLi64ELi8ELi128ELNS_18Fp8KVCacheDataTypeE1ELb0EEEvPT_PKS2_PKT0_S8_ifPKiSA_iPKfiiiSC_SC_iiiii.num_agpr, 0
	.set _ZN4vllm25paged_attention_v1_kernelIfhLi64ELi8ELi128ELNS_18Fp8KVCacheDataTypeE1ELb0EEEvPT_PKS2_PKT0_S8_ifPKiSA_iPKfiiiSC_SC_iiiii.numbered_sgpr, 45
	.set _ZN4vllm25paged_attention_v1_kernelIfhLi64ELi8ELi128ELNS_18Fp8KVCacheDataTypeE1ELb0EEEvPT_PKS2_PKT0_S8_ifPKiSA_iPKfiiiSC_SC_iiiii.num_named_barrier, 0
	.set _ZN4vllm25paged_attention_v1_kernelIfhLi64ELi8ELi128ELNS_18Fp8KVCacheDataTypeE1ELb0EEEvPT_PKS2_PKT0_S8_ifPKiSA_iPKfiiiSC_SC_iiiii.private_seg_size, 0
	.set _ZN4vllm25paged_attention_v1_kernelIfhLi64ELi8ELi128ELNS_18Fp8KVCacheDataTypeE1ELb0EEEvPT_PKS2_PKT0_S8_ifPKiSA_iPKfiiiSC_SC_iiiii.uses_vcc, 1
	.set _ZN4vllm25paged_attention_v1_kernelIfhLi64ELi8ELi128ELNS_18Fp8KVCacheDataTypeE1ELb0EEEvPT_PKS2_PKT0_S8_ifPKiSA_iPKfiiiSC_SC_iiiii.uses_flat_scratch, 0
	.set _ZN4vllm25paged_attention_v1_kernelIfhLi64ELi8ELi128ELNS_18Fp8KVCacheDataTypeE1ELb0EEEvPT_PKS2_PKT0_S8_ifPKiSA_iPKfiiiSC_SC_iiiii.has_dyn_sized_stack, 0
	.set _ZN4vllm25paged_attention_v1_kernelIfhLi64ELi8ELi128ELNS_18Fp8KVCacheDataTypeE1ELb0EEEvPT_PKS2_PKT0_S8_ifPKiSA_iPKfiiiSC_SC_iiiii.has_recursion, 0
	.set _ZN4vllm25paged_attention_v1_kernelIfhLi64ELi8ELi128ELNS_18Fp8KVCacheDataTypeE1ELb0EEEvPT_PKS2_PKT0_S8_ifPKiSA_iPKfiiiSC_SC_iiiii.has_indirect_call, 0
	.section	.AMDGPU.csdata,"",@progbits
; Kernel info:
; codeLenInByte = 5840
; TotalNumSgprs: 49
; NumVgprs: 45
; ScratchSize: 0
; MemoryBound: 0
; FloatMode: 240
; IeeeMode: 1
; LDSByteSize: 272 bytes/workgroup (compile time only)
; SGPRBlocks: 6
; VGPRBlocks: 11
; NumSGPRsForWavesPerEU: 49
; NumVGPRsForWavesPerEU: 45
; Occupancy: 5
; WaveLimiterHint : 1
; COMPUTE_PGM_RSRC2:SCRATCH_EN: 0
; COMPUTE_PGM_RSRC2:USER_SGPR: 6
; COMPUTE_PGM_RSRC2:TRAP_HANDLER: 0
; COMPUTE_PGM_RSRC2:TGID_X_EN: 1
; COMPUTE_PGM_RSRC2:TGID_Y_EN: 1
; COMPUTE_PGM_RSRC2:TGID_Z_EN: 1
; COMPUTE_PGM_RSRC2:TIDIG_COMP_CNT: 0
	.section	.text._ZN4vllm25paged_attention_v1_kernelIfhLi80ELi8ELi128ELNS_18Fp8KVCacheDataTypeE1ELb0EEEvPT_PKS2_PKT0_S8_ifPKiSA_iPKfiiiSC_SC_iiiii,"axG",@progbits,_ZN4vllm25paged_attention_v1_kernelIfhLi80ELi8ELi128ELNS_18Fp8KVCacheDataTypeE1ELb0EEEvPT_PKS2_PKT0_S8_ifPKiSA_iPKfiiiSC_SC_iiiii,comdat
	.protected	_ZN4vllm25paged_attention_v1_kernelIfhLi80ELi8ELi128ELNS_18Fp8KVCacheDataTypeE1ELb0EEEvPT_PKS2_PKT0_S8_ifPKiSA_iPKfiiiSC_SC_iiiii ; -- Begin function _ZN4vllm25paged_attention_v1_kernelIfhLi80ELi8ELi128ELNS_18Fp8KVCacheDataTypeE1ELb0EEEvPT_PKS2_PKT0_S8_ifPKiSA_iPKfiiiSC_SC_iiiii
	.globl	_ZN4vllm25paged_attention_v1_kernelIfhLi80ELi8ELi128ELNS_18Fp8KVCacheDataTypeE1ELb0EEEvPT_PKS2_PKT0_S8_ifPKiSA_iPKfiiiSC_SC_iiiii
	.p2align	8
	.type	_ZN4vllm25paged_attention_v1_kernelIfhLi80ELi8ELi128ELNS_18Fp8KVCacheDataTypeE1ELb0EEEvPT_PKS2_PKT0_S8_ifPKiSA_iPKfiiiSC_SC_iiiii,@function
_ZN4vllm25paged_attention_v1_kernelIfhLi80ELi8ELi128ELNS_18Fp8KVCacheDataTypeE1ELb0EEEvPT_PKS2_PKT0_S8_ifPKiSA_iPKfiiiSC_SC_iiiii: ; @_ZN4vllm25paged_attention_v1_kernelIfhLi80ELi8ELi128ELNS_18Fp8KVCacheDataTypeE1ELb0EEEvPT_PKS2_PKT0_S8_ifPKiSA_iPKfiiiSC_SC_iiiii
; %bb.0:
	s_load_dword s9, s[4:5], 0x80
	s_load_dwordx2 s[0:1], s[4:5], 0x30
	s_load_dwordx2 s[30:31], s[4:5], 0x20
	s_mov_b32 s10, s7
	s_ashr_i32 s11, s7, 31
	s_lshl_b64 s[2:3], s[10:11], 2
	s_waitcnt lgkmcnt(0)
	s_add_u32 s0, s0, s2
	s_addc_u32 s1, s1, s3
	s_abs_i32 s2, s30
	v_cvt_f32_u32_e32 v1, s2
	s_sub_i32 s11, 0, s2
	s_abs_i32 s7, s9
	s_xor_b32 s3, s9, s30
	v_rcp_iflag_f32_e32 v1, v1
	s_ashr_i32 s3, s3, 31
	s_mov_b32 s33, 0
	v_mul_f32_e32 v1, 0x4f7ffffe, v1
	v_cvt_u32_f32_e32 v1, v1
	v_readfirstlane_b32 s12, v1
	s_mul_i32 s11, s11, s12
	s_mul_hi_u32 s11, s12, s11
	s_add_i32 s12, s12, s11
	s_mul_hi_u32 s11, s7, s12
	s_mul_i32 s12, s11, s2
	s_sub_i32 s7, s7, s12
	s_add_i32 s12, s11, 1
	s_sub_i32 s13, s7, s2
	s_cmp_ge_u32 s7, s2
	s_cselect_b32 s11, s12, s11
	s_cselect_b32 s7, s13, s7
	s_add_i32 s12, s11, 1
	s_cmp_ge_u32 s7, s2
	s_cselect_b32 s2, s12, s11
	s_xor_b32 s2, s2, s3
	s_sub_i32 s12, s2, s3
	s_abs_i32 s11, s12
	v_cvt_f32_u32_e32 v1, s11
	s_load_dwordx2 s[2:3], s[4:5], 0x40
	s_sub_i32 s7, 0, s11
	s_abs_i32 s16, s6
	v_rcp_iflag_f32_e32 v1, v1
	v_mul_f32_e32 v1, 0x4f7ffffe, v1
	v_cvt_u32_f32_e32 v1, v1
	v_readfirstlane_b32 s13, v1
	s_mul_i32 s7, s7, s13
	s_mul_hi_u32 s7, s13, s7
	s_add_i32 s13, s13, s7
	s_waitcnt lgkmcnt(0)
	s_cmp_eq_u64 s[2:3], 0
	s_mul_hi_u32 s17, s16, s13
	s_cbranch_scc1 .LBB173_2
; %bb.1:
	s_ashr_i32 s7, s6, 31
	s_lshl_b64 s[14:15], s[6:7], 2
	s_add_u32 s2, s2, s14
	s_addc_u32 s3, s3, s15
	s_load_dword s33, s[2:3], 0x0
.LBB173_2:
	s_load_dword s30, s[0:1], 0x0
	s_ashr_i32 s3, s12, 31
	s_load_dwordx4 s[12:15], s[4:5], 0x48
	s_movk_i32 s0, 0x50
	s_ashr_i32 s2, s6, 31
	v_and_b32_e32 v1, 7, v0
	s_mul_i32 s20, s6, 0x50
	v_cmp_gt_u32_e32 vcc, s0, v0
	v_lshlrev_b32_e32 v18, 2, v0
	v_lshrrev_b32_e32 v26, 1, v0
	s_and_saveexec_b64 s[0:1], vcc
	s_cbranch_execz .LBB173_4
; %bb.3:
	s_load_dwordx2 s[6:7], s[4:5], 0x8
	s_waitcnt lgkmcnt(0)
	s_mul_i32 s18, s12, s10
	s_ashr_i32 s19, s18, 31
	s_lshl_b64 s[18:19], s[18:19], 2
	v_and_b32_e32 v3, 0x1fc, v26
	s_add_u32 s12, s6, s18
	s_addc_u32 s15, s7, s19
	s_ashr_i32 s21, s20, 31
	s_lshl_b64 s[6:7], s[20:21], 2
	s_add_u32 s6, s12, s6
	s_addc_u32 s7, s15, s7
	global_load_dword v2, v18, s[6:7]
	v_mad_u32_u24 v3, v1, 40, v3
	s_waitcnt vmcnt(0)
	ds_write_b32 v3, v2
.LBB173_4:
	s_or_b64 exec, exec, s[0:1]
	s_waitcnt lgkmcnt(0)
	s_add_i32 s1, s30, 7
	s_ashr_i32 s6, s1, 31
	s_lshr_b32 s6, s6, 29
	s_add_i32 s1, s1, s6
	s_ashr_i32 s21, s1, 3
	s_xor_b32 s1, s2, s3
	s_mul_i32 s2, s17, s11
	s_sub_i32 s2, s16, s2
	s_add_i32 s3, s17, 1
	s_sub_i32 s6, s2, s11
	s_load_dwordx2 s[24:25], s[4:5], 0x28
	s_load_dword s0, s[4:5], 0x38
	s_cmp_ge_u32 s2, s11
	s_cselect_b32 s3, s3, s17
	s_cselect_b32 s2, s6, s2
	s_add_i32 s6, s3, 1
	s_cmp_ge_u32 s2, s11
	s_cselect_b32 s2, s6, s3
	v_lshrrev_b32_e32 v27, 6, v0
	s_xor_b32 s2, s2, s1
	s_waitcnt lgkmcnt(0)
	s_mul_i32 s26, s0, s10
	s_sub_i32 s12, s2, s1
	s_ashr_i32 s27, s26, 31
	v_cmp_le_i32_e64 s[0:1], s21, v27
	v_mbcnt_lo_u32_b32 v2, -1, 0
	s_barrier
                                        ; implicit-def: $vgpr20
                                        ; implicit-def: $vgpr22
                                        ; implicit-def: $vgpr21
	s_and_saveexec_b64 s[2:3], s[0:1]
	s_xor_b64 s[2:3], exec, s[2:3]
; %bb.5:
	v_mbcnt_hi_u32_b32 v20, -1, v2
	v_and_b32_e32 v22, 64, v20
	v_add_u32_e32 v21, 64, v22
                                        ; implicit-def: $vgpr1
                                        ; implicit-def: $vgpr2
; %bb.6:
	s_or_saveexec_b64 s[6:7], s[2:3]
	s_load_dwordx2 s[22:23], s[4:5], 0x0
	s_load_dwordx2 s[28:29], s[4:5], 0x18
	s_load_dword s11, s[4:5], 0x88
	s_load_dwordx4 s[16:19], s[4:5], 0x58
	v_mov_b32_e32 v23, 0xff7fffff
	s_mul_i32 s12, s12, s14
	v_lshrrev_b32_e32 v19, 4, v0
	s_xor_b64 exec, exec, s[6:7]
	s_cbranch_execz .LBB173_72
; %bb.7:
	s_load_dwordx2 s[2:3], s[4:5], 0x10
	s_ashr_i32 s4, s12, 31
	v_bfe_u32 v3, v0, 3, 3
	v_lshlrev_b32_e32 v4, 4, v3
	v_mbcnt_hi_u32_b32 v20, -1, v2
	s_waitcnt lgkmcnt(0)
	s_add_u32 s2, s2, s12
	s_addc_u32 s3, s3, s4
	v_mov_b32_e32 v5, s3
	v_add_co_u32_e32 v4, vcc, s2, v4
	v_and_b32_e32 v22, 64, v20
	v_addc_co_u32_e32 v5, vcc, 0, v5, vcc
	v_add_u32_e32 v21, 64, v22
	v_xor_b32_e32 v2, 4, v20
	v_cmp_lt_i32_e32 vcc, v2, v21
	v_cndmask_b32_e32 v2, v20, v2, vcc
	v_lshlrev_b32_e32 v24, 2, v2
	v_xor_b32_e32 v2, 2, v20
	v_cmp_lt_i32_e32 vcc, v2, v21
	v_cndmask_b32_e32 v2, v20, v2, vcc
	v_lshlrev_b32_e32 v25, 2, v2
	v_xor_b32_e32 v2, 1, v20
	v_add_co_u32_e64 v11, s[4:5], v4, v1
	v_cmp_lt_i32_e32 vcc, v2, v21
	v_addc_co_u32_e64 v12, s[4:5], 0, v5, s[4:5]
	v_mul_u32_u24_e32 v6, 40, v1
	v_cndmask_b32_e32 v2, v20, v2, vcc
	v_cmp_eq_u32_e32 vcc, 0, v1
	s_sub_i32 s40, 1, s30
	v_lshlrev_b32_e32 v1, 2, v3
	s_lshl_b64 s[4:5], s[26:27], 2
	v_lshl_or_b32 v1, v27, 5, v1
	s_add_u32 s4, s24, s4
	v_add_u32_e32 v30, 0x150, v1
	v_and_b32_e32 v1, 60, v19
	s_addc_u32 s5, s25, s5
	v_lshlrev_b32_e32 v28, 2, v2
	v_mov_b32_e32 v2, s5
	v_add_co_u32_e64 v13, s[4:5], s4, v1
	ds_read_b64 v[9:10], v6 offset:32
	s_load_dword s39, s[16:17], 0x0
	v_lshl_or_b32 v29, v27, 3, v3
	v_addc_co_u32_e64 v14, s[4:5], 0, v2, s[4:5]
	ds_read2_b64 v[1:4], v6 offset1:1
	ds_read2_b64 v[5:8], v6 offset0:2 offset1:3
	s_mov_b32 s38, s13
	v_cmp_neq_f32_e64 s[2:3], s33, 0
	v_mov_b32_e32 v23, 0xff7fffff
	s_mov_b64 s[14:15], 0
	s_movk_i32 s41, 0x80
	s_movk_i32 s42, 0x7f
	v_bfrev_b32_e32 v31, 60
	v_mov_b32_e32 v32, v27
	s_branch .LBB173_9
.LBB173_8:                              ;   in Loop: Header=BB173_9 Depth=1
	s_or_b64 exec, exec, s[16:17]
	v_add_u32_e32 v32, 2, v32
	v_cmp_le_i32_e64 s[4:5], s21, v32
	s_or_b64 s[14:15], s[4:5], s[14:15]
	v_add_co_u32_e64 v13, s[4:5], 8, v13
	v_add_u32_e32 v29, 16, v29
	v_add_u32_e32 v30, 64, v30
	v_addc_co_u32_e64 v14, s[4:5], 0, v14, s[4:5]
	s_andn2_b64 exec, exec, s[14:15]
	s_cbranch_execz .LBB173_71
.LBB173_9:                              ; =>This Inner Loop Header: Depth=1
	global_load_dword v15, v[13:14], off
	v_mov_b32_e32 v33, 0
	s_waitcnt vmcnt(0) lgkmcnt(0)
	v_mad_i64_i32 v[15:16], s[4:5], v15, s38, v[11:12]
	global_load_ubyte v34, v[15:16], off
	s_waitcnt vmcnt(0)
	v_cmp_ne_u16_e64 s[4:5], 0, v34
	s_and_saveexec_b64 s[16:17], s[4:5]
	s_cbranch_execz .LBB173_15
; %bb.10:                               ;   in Loop: Header=BB173_9 Depth=1
	v_cmp_ne_u16_e64 s[4:5], s41, v34
	v_bfrev_b32_e32 v33, 1
	s_and_saveexec_b64 s[34:35], s[4:5]
	s_cbranch_execz .LBB173_14
; %bb.11:                               ;   in Loop: Header=BB173_9 Depth=1
	v_and_b32_e32 v17, 0xffff, v34
	v_and_b32_e32 v35, 0x7f, v17
	v_cmp_ne_u32_e64 s[4:5], s42, v35
	v_mov_b32_e32 v33, 0x7f800001
	s_and_saveexec_b64 s[36:37], s[4:5]
	s_cbranch_execz .LBB173_13
; %bb.12:                               ;   in Loop: Header=BB173_9 Depth=1
	v_and_b32_e32 v33, 7, v17
	v_ffbh_u32_e32 v36, v33
	v_min_u32_e32 v39, 32, v36
	v_subrev_u32_e32 v36, 28, v39
	v_lshlrev_b64 v[36:37], v36, v[17:18]
	v_lshrrev_b32_e32 v38, 3, v35
	v_sub_u32_e32 v17, 29, v39
	v_and_b32_e32 v36, 7, v36
	v_cmp_gt_u32_e64 s[4:5], 8, v35
	v_cndmask_b32_e64 v17, v38, v17, s[4:5]
	v_cndmask_b32_e64 v33, v33, v36, s[4:5]
	v_lshlrev_b32_e32 v34, 24, v34
	v_lshlrev_b32_e32 v33, 20, v33
	v_and_b32_e32 v34, 0x80000000, v34
	v_lshl_add_u32 v17, v17, 23, v31
	v_or3_b32 v33, v34, v17, v33
.LBB173_13:                             ;   in Loop: Header=BB173_9 Depth=1
	s_or_b64 exec, exec, s[36:37]
.LBB173_14:                             ;   in Loop: Header=BB173_9 Depth=1
	s_or_b64 exec, exec, s[34:35]
.LBB173_15:                             ;   in Loop: Header=BB173_9 Depth=1
	s_or_b64 exec, exec, s[16:17]
	global_load_ubyte v36, v[15:16], off offset:8
	v_mov_b32_e32 v34, 0
	v_mov_b32_e32 v35, 0
	s_waitcnt vmcnt(0)
	v_cmp_ne_u16_e64 s[4:5], 0, v36
	s_and_saveexec_b64 s[16:17], s[4:5]
	s_cbranch_execz .LBB173_21
; %bb.16:                               ;   in Loop: Header=BB173_9 Depth=1
	v_cmp_ne_u16_e64 s[4:5], s41, v36
	v_bfrev_b32_e32 v35, 1
	s_and_saveexec_b64 s[34:35], s[4:5]
	s_cbranch_execz .LBB173_20
; %bb.17:                               ;   in Loop: Header=BB173_9 Depth=1
	v_and_b32_e32 v17, 0xffff, v36
	v_and_b32_e32 v37, 0x7f, v17
	v_cmp_ne_u32_e64 s[4:5], s42, v37
	v_mov_b32_e32 v35, 0x7f800001
	s_and_saveexec_b64 s[36:37], s[4:5]
	s_cbranch_execz .LBB173_19
; %bb.18:                               ;   in Loop: Header=BB173_9 Depth=1
	v_and_b32_e32 v35, 7, v17
	v_ffbh_u32_e32 v38, v35
	v_min_u32_e32 v41, 32, v38
	v_subrev_u32_e32 v38, 28, v41
	v_lshlrev_b64 v[38:39], v38, v[17:18]
	v_lshrrev_b32_e32 v40, 3, v37
	v_sub_u32_e32 v17, 29, v41
	v_and_b32_e32 v38, 7, v38
	v_cmp_gt_u32_e64 s[4:5], 8, v37
	v_cndmask_b32_e64 v17, v40, v17, s[4:5]
	v_cndmask_b32_e64 v35, v35, v38, s[4:5]
	v_lshlrev_b32_e32 v36, 24, v36
	v_lshlrev_b32_e32 v35, 20, v35
	v_and_b32_e32 v36, 0x80000000, v36
	v_lshl_add_u32 v17, v17, 23, v31
	v_or3_b32 v35, v36, v17, v35
.LBB173_19:                             ;   in Loop: Header=BB173_9 Depth=1
	s_or_b64 exec, exec, s[36:37]
.LBB173_20:                             ;   in Loop: Header=BB173_9 Depth=1
	s_or_b64 exec, exec, s[34:35]
.LBB173_21:                             ;   in Loop: Header=BB173_9 Depth=1
	s_or_b64 exec, exec, s[16:17]
	global_load_ubyte v36, v[15:16], off offset:128
	s_waitcnt vmcnt(0)
	v_cmp_ne_u16_e64 s[4:5], 0, v36
	s_and_saveexec_b64 s[16:17], s[4:5]
	s_cbranch_execz .LBB173_27
; %bb.22:                               ;   in Loop: Header=BB173_9 Depth=1
	v_cmp_ne_u16_e64 s[4:5], s41, v36
	v_bfrev_b32_e32 v34, 1
	s_and_saveexec_b64 s[34:35], s[4:5]
	s_cbranch_execz .LBB173_26
; %bb.23:                               ;   in Loop: Header=BB173_9 Depth=1
	v_and_b32_e32 v17, 0xffff, v36
	v_and_b32_e32 v37, 0x7f, v17
	v_cmp_ne_u32_e64 s[4:5], s42, v37
	v_mov_b32_e32 v34, 0x7f800001
	s_and_saveexec_b64 s[36:37], s[4:5]
	s_cbranch_execz .LBB173_25
; %bb.24:                               ;   in Loop: Header=BB173_9 Depth=1
	v_and_b32_e32 v34, 7, v17
	v_ffbh_u32_e32 v38, v34
	v_min_u32_e32 v41, 32, v38
	v_subrev_u32_e32 v38, 28, v41
	v_lshlrev_b64 v[38:39], v38, v[17:18]
	v_lshrrev_b32_e32 v40, 3, v37
	v_sub_u32_e32 v17, 29, v41
	v_and_b32_e32 v38, 7, v38
	v_cmp_gt_u32_e64 s[4:5], 8, v37
	v_cndmask_b32_e64 v17, v40, v17, s[4:5]
	v_cndmask_b32_e64 v34, v34, v38, s[4:5]
	v_lshlrev_b32_e32 v36, 24, v36
	v_lshlrev_b32_e32 v34, 20, v34
	v_and_b32_e32 v36, 0x80000000, v36
	v_lshl_add_u32 v17, v17, 23, v31
	v_or3_b32 v34, v36, v17, v34
.LBB173_25:                             ;   in Loop: Header=BB173_9 Depth=1
	s_or_b64 exec, exec, s[36:37]
.LBB173_26:                             ;   in Loop: Header=BB173_9 Depth=1
	s_or_b64 exec, exec, s[34:35]
.LBB173_27:                             ;   in Loop: Header=BB173_9 Depth=1
	s_or_b64 exec, exec, s[16:17]
	global_load_ubyte v38, v[15:16], off offset:136
	v_mov_b32_e32 v36, 0
	v_mov_b32_e32 v37, 0
	s_waitcnt vmcnt(0)
	v_cmp_ne_u16_e64 s[4:5], 0, v38
	s_and_saveexec_b64 s[16:17], s[4:5]
	s_cbranch_execz .LBB173_33
; %bb.28:                               ;   in Loop: Header=BB173_9 Depth=1
	v_cmp_ne_u16_e64 s[4:5], s41, v38
	v_bfrev_b32_e32 v37, 1
	s_and_saveexec_b64 s[34:35], s[4:5]
	s_cbranch_execz .LBB173_32
; %bb.29:                               ;   in Loop: Header=BB173_9 Depth=1
	v_and_b32_e32 v17, 0xffff, v38
	v_and_b32_e32 v39, 0x7f, v17
	v_cmp_ne_u32_e64 s[4:5], s42, v39
	v_mov_b32_e32 v37, 0x7f800001
	s_and_saveexec_b64 s[36:37], s[4:5]
	s_cbranch_execz .LBB173_31
; %bb.30:                               ;   in Loop: Header=BB173_9 Depth=1
	v_and_b32_e32 v37, 7, v17
	v_ffbh_u32_e32 v40, v37
	v_min_u32_e32 v43, 32, v40
	v_subrev_u32_e32 v40, 28, v43
	v_lshlrev_b64 v[40:41], v40, v[17:18]
	v_lshrrev_b32_e32 v42, 3, v39
	v_sub_u32_e32 v17, 29, v43
	v_and_b32_e32 v40, 7, v40
	v_cmp_gt_u32_e64 s[4:5], 8, v39
	v_cndmask_b32_e64 v17, v42, v17, s[4:5]
	v_cndmask_b32_e64 v37, v37, v40, s[4:5]
	v_lshlrev_b32_e32 v38, 24, v38
	v_lshlrev_b32_e32 v37, 20, v37
	v_and_b32_e32 v38, 0x80000000, v38
	v_lshl_add_u32 v17, v17, 23, v31
	v_or3_b32 v37, v38, v17, v37
.LBB173_31:                             ;   in Loop: Header=BB173_9 Depth=1
	s_or_b64 exec, exec, s[36:37]
.LBB173_32:                             ;   in Loop: Header=BB173_9 Depth=1
	s_or_b64 exec, exec, s[34:35]
.LBB173_33:                             ;   in Loop: Header=BB173_9 Depth=1
	s_or_b64 exec, exec, s[16:17]
	global_load_ubyte v38, v[15:16], off offset:256
	s_waitcnt vmcnt(0)
	v_cmp_ne_u16_e64 s[4:5], 0, v38
	s_and_saveexec_b64 s[16:17], s[4:5]
	s_cbranch_execz .LBB173_39
; %bb.34:                               ;   in Loop: Header=BB173_9 Depth=1
	v_cmp_ne_u16_e64 s[4:5], s41, v38
	v_bfrev_b32_e32 v36, 1
	s_and_saveexec_b64 s[34:35], s[4:5]
	s_cbranch_execz .LBB173_38
; %bb.35:                               ;   in Loop: Header=BB173_9 Depth=1
	v_and_b32_e32 v17, 0xffff, v38
	v_and_b32_e32 v39, 0x7f, v17
	v_cmp_ne_u32_e64 s[4:5], s42, v39
	v_mov_b32_e32 v36, 0x7f800001
	s_and_saveexec_b64 s[36:37], s[4:5]
	s_cbranch_execz .LBB173_37
; %bb.36:                               ;   in Loop: Header=BB173_9 Depth=1
	v_and_b32_e32 v36, 7, v17
	v_ffbh_u32_e32 v40, v36
	v_min_u32_e32 v43, 32, v40
	v_subrev_u32_e32 v40, 28, v43
	v_lshlrev_b64 v[40:41], v40, v[17:18]
	v_lshrrev_b32_e32 v42, 3, v39
	v_sub_u32_e32 v17, 29, v43
	v_and_b32_e32 v40, 7, v40
	v_cmp_gt_u32_e64 s[4:5], 8, v39
	v_cndmask_b32_e64 v17, v42, v17, s[4:5]
	v_cndmask_b32_e64 v36, v36, v40, s[4:5]
	v_lshlrev_b32_e32 v38, 24, v38
	v_lshlrev_b32_e32 v36, 20, v36
	v_and_b32_e32 v38, 0x80000000, v38
	v_lshl_add_u32 v17, v17, 23, v31
	v_or3_b32 v36, v38, v17, v36
.LBB173_37:                             ;   in Loop: Header=BB173_9 Depth=1
	s_or_b64 exec, exec, s[36:37]
.LBB173_38:                             ;   in Loop: Header=BB173_9 Depth=1
	s_or_b64 exec, exec, s[34:35]
.LBB173_39:                             ;   in Loop: Header=BB173_9 Depth=1
	s_or_b64 exec, exec, s[16:17]
	global_load_ubyte v40, v[15:16], off offset:264
	v_mov_b32_e32 v38, 0
	v_mov_b32_e32 v39, 0
	s_waitcnt vmcnt(0)
	v_cmp_ne_u16_e64 s[4:5], 0, v40
	s_and_saveexec_b64 s[16:17], s[4:5]
	s_cbranch_execz .LBB173_45
; %bb.40:                               ;   in Loop: Header=BB173_9 Depth=1
	v_cmp_ne_u16_e64 s[4:5], s41, v40
	v_bfrev_b32_e32 v39, 1
	s_and_saveexec_b64 s[34:35], s[4:5]
	s_cbranch_execz .LBB173_44
; %bb.41:                               ;   in Loop: Header=BB173_9 Depth=1
	v_and_b32_e32 v17, 0xffff, v40
	v_and_b32_e32 v41, 0x7f, v17
	v_cmp_ne_u32_e64 s[4:5], s42, v41
	v_mov_b32_e32 v39, 0x7f800001
	s_and_saveexec_b64 s[36:37], s[4:5]
	s_cbranch_execz .LBB173_43
; %bb.42:                               ;   in Loop: Header=BB173_9 Depth=1
	v_and_b32_e32 v39, 7, v17
	v_ffbh_u32_e32 v42, v39
	v_min_u32_e32 v45, 32, v42
	v_subrev_u32_e32 v42, 28, v45
	v_lshlrev_b64 v[42:43], v42, v[17:18]
	v_lshrrev_b32_e32 v44, 3, v41
	v_sub_u32_e32 v17, 29, v45
	v_and_b32_e32 v42, 7, v42
	v_cmp_gt_u32_e64 s[4:5], 8, v41
	v_cndmask_b32_e64 v17, v44, v17, s[4:5]
	v_cndmask_b32_e64 v39, v39, v42, s[4:5]
	v_lshlrev_b32_e32 v40, 24, v40
	v_lshlrev_b32_e32 v39, 20, v39
	v_and_b32_e32 v40, 0x80000000, v40
	v_lshl_add_u32 v17, v17, 23, v31
	v_or3_b32 v39, v40, v17, v39
.LBB173_43:                             ;   in Loop: Header=BB173_9 Depth=1
	s_or_b64 exec, exec, s[36:37]
.LBB173_44:                             ;   in Loop: Header=BB173_9 Depth=1
	s_or_b64 exec, exec, s[34:35]
.LBB173_45:                             ;   in Loop: Header=BB173_9 Depth=1
	s_or_b64 exec, exec, s[16:17]
	global_load_ubyte v40, v[15:16], off offset:384
	s_waitcnt vmcnt(0)
	v_cmp_ne_u16_e64 s[4:5], 0, v40
	s_and_saveexec_b64 s[16:17], s[4:5]
	s_cbranch_execz .LBB173_51
; %bb.46:                               ;   in Loop: Header=BB173_9 Depth=1
	v_cmp_ne_u16_e64 s[4:5], s41, v40
	v_bfrev_b32_e32 v38, 1
	s_and_saveexec_b64 s[34:35], s[4:5]
	s_cbranch_execz .LBB173_50
; %bb.47:                               ;   in Loop: Header=BB173_9 Depth=1
	v_and_b32_e32 v17, 0xffff, v40
	v_and_b32_e32 v41, 0x7f, v17
	v_cmp_ne_u32_e64 s[4:5], s42, v41
	v_mov_b32_e32 v38, 0x7f800001
	s_and_saveexec_b64 s[36:37], s[4:5]
	s_cbranch_execz .LBB173_49
; %bb.48:                               ;   in Loop: Header=BB173_9 Depth=1
	v_and_b32_e32 v38, 7, v17
	v_ffbh_u32_e32 v42, v38
	v_min_u32_e32 v45, 32, v42
	v_subrev_u32_e32 v42, 28, v45
	v_lshlrev_b64 v[42:43], v42, v[17:18]
	v_lshrrev_b32_e32 v44, 3, v41
	v_sub_u32_e32 v17, 29, v45
	v_and_b32_e32 v42, 7, v42
	v_cmp_gt_u32_e64 s[4:5], 8, v41
	v_cndmask_b32_e64 v17, v44, v17, s[4:5]
	v_cndmask_b32_e64 v38, v38, v42, s[4:5]
	v_lshlrev_b32_e32 v40, 24, v40
	v_lshlrev_b32_e32 v38, 20, v38
	v_and_b32_e32 v40, 0x80000000, v40
	v_lshl_add_u32 v17, v17, 23, v31
	v_or3_b32 v38, v40, v17, v38
.LBB173_49:                             ;   in Loop: Header=BB173_9 Depth=1
	s_or_b64 exec, exec, s[36:37]
.LBB173_50:                             ;   in Loop: Header=BB173_9 Depth=1
	s_or_b64 exec, exec, s[34:35]
.LBB173_51:                             ;   in Loop: Header=BB173_9 Depth=1
	s_or_b64 exec, exec, s[16:17]
	global_load_ubyte v42, v[15:16], off offset:392
	v_mov_b32_e32 v40, 0
	v_mov_b32_e32 v41, 0
	s_waitcnt vmcnt(0)
	v_cmp_ne_u16_e64 s[4:5], 0, v42
	s_and_saveexec_b64 s[16:17], s[4:5]
	s_cbranch_execz .LBB173_57
; %bb.52:                               ;   in Loop: Header=BB173_9 Depth=1
	v_cmp_ne_u16_e64 s[4:5], s41, v42
	v_bfrev_b32_e32 v41, 1
	s_and_saveexec_b64 s[34:35], s[4:5]
	s_cbranch_execz .LBB173_56
; %bb.53:                               ;   in Loop: Header=BB173_9 Depth=1
	v_and_b32_e32 v17, 0xffff, v42
	v_and_b32_e32 v43, 0x7f, v17
	v_cmp_ne_u32_e64 s[4:5], s42, v43
	v_mov_b32_e32 v41, 0x7f800001
	s_and_saveexec_b64 s[36:37], s[4:5]
	s_cbranch_execz .LBB173_55
; %bb.54:                               ;   in Loop: Header=BB173_9 Depth=1
	v_and_b32_e32 v41, 7, v17
	v_ffbh_u32_e32 v44, v41
	v_min_u32_e32 v47, 32, v44
	v_subrev_u32_e32 v44, 28, v47
	v_lshlrev_b64 v[44:45], v44, v[17:18]
	v_lshrrev_b32_e32 v46, 3, v43
	v_sub_u32_e32 v17, 29, v47
	v_and_b32_e32 v44, 7, v44
	v_cmp_gt_u32_e64 s[4:5], 8, v43
	v_cndmask_b32_e64 v17, v46, v17, s[4:5]
	v_cndmask_b32_e64 v41, v41, v44, s[4:5]
	v_lshlrev_b32_e32 v42, 24, v42
	v_lshlrev_b32_e32 v41, 20, v41
	v_and_b32_e32 v42, 0x80000000, v42
	v_lshl_add_u32 v17, v17, 23, v31
	v_or3_b32 v41, v42, v17, v41
.LBB173_55:                             ;   in Loop: Header=BB173_9 Depth=1
	s_or_b64 exec, exec, s[36:37]
.LBB173_56:                             ;   in Loop: Header=BB173_9 Depth=1
	s_or_b64 exec, exec, s[34:35]
.LBB173_57:                             ;   in Loop: Header=BB173_9 Depth=1
	s_or_b64 exec, exec, s[16:17]
	global_load_ubyte v42, v[15:16], off offset:512
	s_waitcnt vmcnt(0)
	v_cmp_ne_u16_e64 s[4:5], 0, v42
	s_and_saveexec_b64 s[16:17], s[4:5]
	s_cbranch_execz .LBB173_63
; %bb.58:                               ;   in Loop: Header=BB173_9 Depth=1
	v_cmp_ne_u16_e64 s[4:5], s41, v42
	v_bfrev_b32_e32 v40, 1
	s_and_saveexec_b64 s[34:35], s[4:5]
	s_cbranch_execz .LBB173_62
; %bb.59:                               ;   in Loop: Header=BB173_9 Depth=1
	v_and_b32_e32 v17, 0xffff, v42
	v_and_b32_e32 v43, 0x7f, v17
	v_cmp_ne_u32_e64 s[4:5], s42, v43
	v_mov_b32_e32 v40, 0x7f800001
	s_and_saveexec_b64 s[36:37], s[4:5]
	s_cbranch_execz .LBB173_61
; %bb.60:                               ;   in Loop: Header=BB173_9 Depth=1
	v_and_b32_e32 v40, 7, v17
	v_ffbh_u32_e32 v44, v40
	v_min_u32_e32 v47, 32, v44
	v_subrev_u32_e32 v44, 28, v47
	v_lshlrev_b64 v[44:45], v44, v[17:18]
	v_lshrrev_b32_e32 v46, 3, v43
	v_sub_u32_e32 v17, 29, v47
	v_and_b32_e32 v44, 7, v44
	v_cmp_gt_u32_e64 s[4:5], 8, v43
	v_cndmask_b32_e64 v17, v46, v17, s[4:5]
	v_cndmask_b32_e64 v40, v40, v44, s[4:5]
	v_lshlrev_b32_e32 v42, 24, v42
	v_lshlrev_b32_e32 v40, 20, v40
	v_and_b32_e32 v42, 0x80000000, v42
	v_lshl_add_u32 v17, v17, 23, v31
	v_or3_b32 v40, v42, v17, v40
.LBB173_61:                             ;   in Loop: Header=BB173_9 Depth=1
	s_or_b64 exec, exec, s[36:37]
.LBB173_62:                             ;   in Loop: Header=BB173_9 Depth=1
	s_or_b64 exec, exec, s[34:35]
.LBB173_63:                             ;   in Loop: Header=BB173_9 Depth=1
	s_or_b64 exec, exec, s[16:17]
	global_load_ubyte v16, v[15:16], off offset:520
	v_mov_b32_e32 v17, 0
	s_waitcnt vmcnt(0)
	v_cmp_ne_u16_e64 s[4:5], 0, v16
	s_and_saveexec_b64 s[16:17], s[4:5]
	s_cbranch_execz .LBB173_69
; %bb.64:                               ;   in Loop: Header=BB173_9 Depth=1
	v_cmp_ne_u16_e64 s[4:5], s41, v16
	v_bfrev_b32_e32 v17, 1
	s_and_saveexec_b64 s[34:35], s[4:5]
	s_cbranch_execz .LBB173_68
; %bb.65:                               ;   in Loop: Header=BB173_9 Depth=1
	v_and_b32_e32 v15, 0xffff, v16
	v_and_b32_e32 v42, 0x7f, v15
	v_cmp_ne_u32_e64 s[4:5], s42, v42
	v_mov_b32_e32 v17, 0x7f800001
	s_and_saveexec_b64 s[36:37], s[4:5]
	s_cbranch_execz .LBB173_67
; %bb.66:                               ;   in Loop: Header=BB173_9 Depth=1
	v_and_b32_e32 v17, 7, v15
	v_ffbh_u32_e32 v43, v17
	v_min_u32_e32 v46, 32, v43
	v_subrev_u32_e32 v43, 28, v46
	v_lshlrev_b64 v[43:44], v43, v[15:16]
	v_lshrrev_b32_e32 v45, 3, v42
	v_sub_u32_e32 v15, 29, v46
	v_and_b32_e32 v43, 7, v43
	v_cmp_gt_u32_e64 s[4:5], 8, v42
	v_cndmask_b32_e64 v15, v45, v15, s[4:5]
	v_cndmask_b32_e64 v17, v17, v43, s[4:5]
	v_lshlrev_b32_e32 v16, 24, v16
	v_lshlrev_b32_e32 v17, 20, v17
	v_and_b32_e32 v16, 0x80000000, v16
	v_lshl_add_u32 v15, v15, 23, v31
	v_or3_b32 v17, v16, v15, v17
.LBB173_67:                             ;   in Loop: Header=BB173_9 Depth=1
	s_or_b64 exec, exec, s[36:37]
.LBB173_68:                             ;   in Loop: Header=BB173_9 Depth=1
	s_or_b64 exec, exec, s[34:35]
.LBB173_69:                             ;   in Loop: Header=BB173_9 Depth=1
	s_or_b64 exec, exec, s[16:17]
	s_waitcnt lgkmcnt(0)
	v_mul_f32_e32 v35, s39, v35
	v_mul_f32_e32 v33, s39, v33
	;; [unrolled: 1-line block ×4, first 2 shown]
	v_fmac_f32_e32 v35, v1, v33
	v_mul_f32_e32 v37, s39, v37
	v_fmac_f32_e32 v35, v3, v34
	v_mul_f32_e32 v36, s39, v36
	;; [unrolled: 2-line block ×7, first 2 shown]
	v_fmac_f32_e32 v35, v9, v15
	v_fmac_f32_e32 v35, v10, v17
	ds_bpermute_b32 v15, v24, v35
	s_waitcnt lgkmcnt(0)
	v_add_f32_e32 v15, v35, v15
	ds_bpermute_b32 v16, v25, v15
	s_waitcnt lgkmcnt(0)
	v_add_f32_e32 v15, v15, v16
	ds_bpermute_b32 v16, v28, v15
	s_and_saveexec_b64 s[16:17], vcc
	s_cbranch_execz .LBB173_8
; %bb.70:                               ;   in Loop: Header=BB173_9 Depth=1
	v_add_u32_e32 v17, s40, v29
	v_cvt_f32_i32_e32 v17, v17
	s_waitcnt lgkmcnt(0)
	v_add_f32_e32 v15, v15, v16
	v_cmp_gt_i32_e64 s[4:5], s30, v29
	v_max_f32_e32 v16, v23, v23
	v_mul_f32_e32 v17, s33, v17
	v_cndmask_b32_e64 v17, 0, v17, s[2:3]
	v_fmac_f32_e32 v17, s31, v15
	v_cndmask_b32_e64 v15, 0, v17, s[4:5]
	ds_write_b32 v30, v15
	v_max_f32_e32 v15, v16, v17
	v_cndmask_b32_e64 v23, v23, v15, s[4:5]
	s_branch .LBB173_8
.LBB173_71:
	s_or_b64 exec, exec, s[14:15]
.LBB173_72:
	s_or_b64 exec, exec, s[6:7]
	v_xor_b32_e32 v1, 32, v20
	v_cmp_lt_i32_e32 vcc, v1, v21
	v_cndmask_b32_e32 v1, v20, v1, vcc
	v_lshlrev_b32_e32 v3, 2, v1
	ds_bpermute_b32 v1, v3, v23
	v_xor_b32_e32 v4, 16, v20
	v_max_f32_e32 v2, v23, v23
	v_cmp_lt_i32_e32 vcc, v4, v21
	v_xor_b32_e32 v6, 8, v20
	s_waitcnt lgkmcnt(0)
	v_max_f32_e32 v1, v1, v1
	v_max_f32_e32 v1, v2, v1
	v_cndmask_b32_e32 v2, v20, v4, vcc
	v_lshlrev_b32_e32 v5, 2, v2
	ds_bpermute_b32 v2, v5, v1
	v_cmp_lt_i32_e32 vcc, v6, v21
	s_waitcnt lgkmcnt(0)
	v_max_f32_e32 v2, v2, v2
	v_max_f32_e32 v4, v1, v2
	v_cndmask_b32_e32 v1, v20, v6, vcc
	v_lshlrev_b32_e32 v6, 2, v1
	ds_bpermute_b32 v7, v6, v4
	v_and_b32_e32 v1, 63, v0
	v_cmp_eq_u32_e32 vcc, 0, v1
	v_lshlrev_b32_e32 v2, 2, v27
	s_and_saveexec_b64 s[2:3], vcc
	s_cbranch_execz .LBB173_74
; %bb.73:
	s_waitcnt lgkmcnt(0)
	v_max_f32_e32 v7, v7, v7
	v_max_f32_e32 v4, v4, v4
	;; [unrolled: 1-line block ×3, first 2 shown]
	ds_write_b32 v2, v4 offset:320
.LBB173_74:
	s_or_b64 exec, exec, s[2:3]
	v_cmp_gt_u32_e64 s[2:3], 2, v1
	s_waitcnt lgkmcnt(0)
	v_mov_b32_e32 v7, 0xff7fffff
	v_lshlrev_b32_e32 v4, 2, v1
	s_barrier
	s_and_saveexec_b64 s[4:5], s[2:3]
; %bb.75:
	ds_read_b32 v7, v4 offset:320
; %bb.76:
	s_or_b64 exec, exec, s[4:5]
	v_xor_b32_e32 v8, 1, v20
	v_cmp_lt_i32_e64 s[4:5], v8, v21
	v_cndmask_b32_e64 v8, v20, v8, s[4:5]
	v_lshlrev_b32_e32 v28, 2, v8
	s_waitcnt lgkmcnt(0)
	ds_bpermute_b32 v8, v28, v7
	v_max_f32_e32 v7, v7, v7
	s_lshl_b32 s4, s21, 3
	s_min_i32 s31, s4, s30
	v_cmp_gt_i32_e64 s[4:5], s31, v0
	s_waitcnt lgkmcnt(0)
	v_max_f32_e32 v8, v8, v8
	v_max_f32_e32 v7, v7, v8
	v_lshlrev_b32_e32 v8, 2, v22
	ds_bpermute_b32 v8, v8, v7
	v_mov_b32_e32 v7, 0
	s_and_saveexec_b64 s[14:15], s[4:5]
	s_cbranch_execz .LBB173_80
; %bb.77:
	v_mov_b32_e32 v7, 0x150
	v_lshl_add_u32 v9, v0, 2, v7
	v_mov_b32_e32 v7, 0
	s_mov_b64 s[16:17], 0
	v_mov_b32_e32 v10, v0
.LBB173_78:                             ; =>This Inner Loop Header: Depth=1
	ds_read_b32 v11, v9
	v_add_u32_e32 v10, 0x80, v10
	v_cmp_le_i32_e64 s[6:7], s31, v10
	s_or_b64 s[16:17], s[6:7], s[16:17]
	s_waitcnt lgkmcnt(0)
	v_sub_f32_e32 v11, v11, v8
	v_mul_f32_e32 v11, 0x3fb8aa3b, v11
	v_exp_f32_e32 v11, v11
	ds_write_b32 v9, v11
	v_add_f32_e32 v7, v7, v11
	v_add_u32_e32 v9, 0x200, v9
	s_andn2_b64 exec, exec, s[16:17]
	s_cbranch_execnz .LBB173_78
; %bb.79:
	s_or_b64 exec, exec, s[16:17]
.LBB173_80:
	s_or_b64 exec, exec, s[14:15]
	ds_bpermute_b32 v3, v3, v7
	s_waitcnt lgkmcnt(0)
	v_add_f32_e32 v3, v7, v3
	ds_bpermute_b32 v5, v5, v3
	s_waitcnt lgkmcnt(0)
	v_add_f32_e32 v3, v3, v5
	ds_bpermute_b32 v5, v6, v3
	v_xor_b32_e32 v6, 4, v20
	v_cmp_lt_i32_e64 s[6:7], v6, v21
	v_cndmask_b32_e64 v6, v20, v6, s[6:7]
	v_lshlrev_b32_e32 v6, 2, v6
	s_waitcnt lgkmcnt(0)
	v_add_f32_e32 v3, v3, v5
	ds_bpermute_b32 v5, v6, v3
	v_xor_b32_e32 v6, 2, v20
	v_cmp_lt_i32_e64 s[6:7], v6, v21
	v_cndmask_b32_e64 v6, v20, v6, s[6:7]
	s_waitcnt lgkmcnt(0)
	v_add_f32_e32 v3, v3, v5
	v_lshlrev_b32_e32 v5, 2, v6
	ds_bpermute_b32 v5, v5, v3
	s_waitcnt lgkmcnt(0)
	v_add_f32_e32 v3, v3, v5
	ds_bpermute_b32 v5, v28, v3
	s_waitcnt lgkmcnt(0)
	v_add_f32_e32 v3, v3, v5
	s_and_saveexec_b64 s[6:7], vcc
; %bb.81:
	ds_write_b32 v2, v3 offset:328
; %bb.82:
	s_or_b64 exec, exec, s[6:7]
	s_waitcnt lgkmcnt(0)
	s_barrier
	s_and_saveexec_b64 s[6:7], s[2:3]
; %bb.83:
	ds_read_b32 v3, v4 offset:328
; %bb.84:
	s_or_b64 exec, exec, s[6:7]
	s_waitcnt lgkmcnt(0)
	ds_bpermute_b32 v2, v28, v3
	v_lshlrev_b32_e32 v4, 2, v20
	s_waitcnt lgkmcnt(0)
	v_add_f32_e32 v2, v3, v2
	v_and_b32_e32 v3, 0xffffff00, v4
	ds_bpermute_b32 v2, v3, v2
	s_and_saveexec_b64 s[2:3], s[4:5]
	s_cbranch_execz .LBB173_87
; %bb.85:
	s_waitcnt lgkmcnt(0)
	v_add_f32_e32 v3, 0x358637bd, v2
	v_div_scale_f32 v2, s[4:5], v3, v3, 1.0
	v_div_scale_f32 v4, vcc, 1.0, v3, 1.0
	s_mov_b64 s[4:5], 0
	v_rcp_f32_e32 v5, v2
	v_fma_f32 v6, -v2, v5, 1.0
	v_fmac_f32_e32 v5, v6, v5
	v_mul_f32_e32 v6, v4, v5
	v_fma_f32 v7, -v2, v6, v4
	v_fmac_f32_e32 v6, v7, v5
	v_fma_f32 v2, -v2, v6, v4
	v_div_fmas_f32 v4, v2, v5, v6
	v_mov_b32_e32 v2, 0x150
	v_lshl_add_u32 v2, v0, 2, v2
	v_div_fixup_f32 v3, v4, v3, 1.0
	v_mov_b32_e32 v4, v0
.LBB173_86:                             ; =>This Inner Loop Header: Depth=1
	ds_read_b32 v5, v2
	v_add_u32_e32 v4, 0x80, v4
	v_cmp_le_i32_e32 vcc, s31, v4
	s_or_b64 s[4:5], vcc, s[4:5]
	s_waitcnt lgkmcnt(0)
	v_mul_f32_e32 v5, v3, v5
	ds_write_b32 v2, v5
	v_add_u32_e32 v2, 0x200, v2
	s_andn2_b64 exec, exec, s[4:5]
	s_cbranch_execnz .LBB173_86
.LBB173_87:
	s_or_b64 exec, exec, s[2:3]
	v_lshrrev_b32_e32 v29, 1, v1
	s_waitcnt lgkmcnt(0)
	s_barrier
	s_and_saveexec_b64 s[2:3], s[0:1]
	s_xor_b64 s[0:1], exec, s[2:3]
; %bb.88:
	v_lshrrev_b32_e32 v29, 1, v1
                                        ; implicit-def: $vgpr27
                                        ; implicit-def: $vgpr18
                                        ; implicit-def: $vgpr19
; %bb.89:
	s_or_saveexec_b64 s[4:5], s[0:1]
	v_mov_b32_e32 v33, 0
	v_and_b32_e32 v30, 1, v0
	v_mov_b32_e32 v35, 0
	v_mov_b32_e32 v37, 0
	s_xor_b64 exec, exec, s[4:5]
	s_cbranch_execz .LBB173_173
; %bb.90:
	s_ashr_i32 s0, s12, 31
	s_add_u32 s2, s28, s12
	v_and_b32_e32 v1, 4, v18
	s_addc_u32 s3, s29, s0
	v_or_b32_e32 v2, 64, v29
	s_movk_i32 s0, 0x50
	s_load_dword s28, s[18:19], 0x0
	v_cmp_gt_u32_e32 vcc, s0, v2
	v_lshl_or_b32 v32, v2, 3, v1
	v_lshlrev_b32_e32 v2, 3, v27
	s_add_i32 s29, s21, -1
	v_lshl_or_b32 v31, v29, 3, v1
	v_or3_b32 v34, v2, v1, 3
	v_lshlrev_b32_e32 v1, 4, v30
	s_lshl_b64 s[0:1], s[26:27], 2
	v_lshl_or_b32 v1, v27, 5, v1
	s_add_u32 s0, s24, s0
	v_add_u32_e32 v36, 0x150, v1
	v_and_b32_e32 v1, 60, v19
	s_addc_u32 s1, s25, s1
	v_mov_b32_e32 v5, 0
	v_mov_b32_e32 v2, s1
	v_add_co_u32_e64 v7, s[0:1], s0, v1
	v_mov_b32_e32 v10, s3
	s_mov_b32 s31, s13
	s_waitcnt lgkmcnt(0)
	s_mov_b32 s33, s28
	v_addc_co_u32_e64 v8, s[0:1], 0, v2, s[0:1]
	s_mov_b64 s[6:7], 0
	v_mov_b32_e32 v9, s2
	s_movk_i32 s24, 0x80
	s_movk_i32 s25, 0x7f
	s_brev_b32 s26, 1
	s_mov_b32 s27, 0xffffff
	v_bfrev_b32_e32 v38, 60
	v_bfrev_b32_e32 v6, 1
	v_mov_b32_e32 v12, 0x7f800001
	v_mov_b32_e32 v39, 7
	;; [unrolled: 1-line block ×6, first 2 shown]
	s_branch .LBB173_93
.LBB173_91:                             ;   in Loop: Header=BB173_93 Depth=1
	s_or_b64 exec, exec, s[2:3]
	s_waitcnt lgkmcnt(0)
	v_mul_f32_e32 v15, v1, v15
	v_fmac_f32_e32 v15, v2, v11
	v_fmac_f32_e32 v15, v3, v14
	;; [unrolled: 1-line block ×3, first 2 shown]
	v_add_f32_e32 v37, v37, v15
.LBB173_92:                             ;   in Loop: Header=BB173_93 Depth=1
	s_or_b64 exec, exec, s[12:13]
	s_waitcnt lgkmcnt(0)
	v_mul_f32_e32 v11, v1, v45
	v_mul_f32_e32 v1, v1, v42
	v_fmac_f32_e32 v11, v2, v44
	v_fmac_f32_e32 v1, v2, v41
	v_add_u32_e32 v27, 2, v27
	v_fmac_f32_e32 v11, v3, v23
	v_fmac_f32_e32 v1, v3, v25
	v_cmp_le_i32_e64 s[0:1], s21, v27
	v_fmac_f32_e32 v11, v4, v22
	v_fmac_f32_e32 v1, v4, v24
	s_or_b64 s[6:7], s[0:1], s[6:7]
	v_add_co_u32_e64 v7, s[0:1], 8, v7
	v_add_f32_e32 v35, v35, v11
	v_add_f32_e32 v33, v33, v1
	v_add_u32_e32 v34, 16, v34
	v_add_u32_e32 v36, 64, v36
	v_addc_co_u32_e64 v8, s[0:1], 0, v8, s[0:1]
	s_andn2_b64 exec, exec, s[6:7]
	s_cbranch_execz .LBB173_172
.LBB173_93:                             ; =>This Inner Loop Header: Depth=1
	global_load_dword v1, v[7:8], off
	v_mov_b32_e32 v20, 0
	v_mov_b32_e32 v18, 0
	;; [unrolled: 1-line block ×4, first 2 shown]
	s_waitcnt vmcnt(0)
	v_mad_i64_i32 v[13:14], s[0:1], v1, s31, v[9:10]
	ds_read_b128 v[1:4], v36
	v_add_co_u32_e64 v15, s[0:1], v13, v31
	v_addc_co_u32_e64 v16, s[0:1], 0, v14, s[0:1]
	global_load_dword v17, v[15:16], off
	s_waitcnt vmcnt(0)
	v_cmp_ne_u16_sdwa s[0:1], v17, v5 src0_sel:BYTE_0 src1_sel:DWORD
	s_and_saveexec_b64 s[2:3], s[0:1]
	s_cbranch_execz .LBB173_99
; %bb.94:                               ;   in Loop: Header=BB173_93 Depth=1
	v_bfrev_b32_e32 v18, 1
	v_mov_b32_e32 v19, 0
	v_cmp_ne_u16_sdwa s[0:1], v17, s24 src0_sel:BYTE_0 src1_sel:DWORD
	s_and_saveexec_b64 s[12:13], s[0:1]
	s_cbranch_execz .LBB173_98
; %bb.95:                               ;   in Loop: Header=BB173_93 Depth=1
	v_and_b32_e32 v11, 0x7f, v17
	v_mov_b32_e32 v18, 0x7f800001
	v_mov_b32_e32 v19, 0
	v_cmp_ne_u32_e64 s[0:1], s25, v11
	s_and_saveexec_b64 s[14:15], s[0:1]
	s_cbranch_execz .LBB173_97
; %bb.96:                               ;   in Loop: Header=BB173_93 Depth=1
	v_and_b32_e32 v22, 7, v17
	v_ffbh_u32_e32 v18, v22
	v_min_u32_e32 v24, 32, v18
	v_subrev_u32_e32 v18, 28, v24
	v_lshlrev_b64 v[18:19], v18, v[17:18]
	v_lshrrev_b32_e32 v23, 3, v11
	v_sub_u32_e32 v19, 29, v24
	v_and_b32_e32 v18, 7, v18
	v_cmp_gt_u32_e64 s[0:1], 8, v11
	v_cndmask_b32_e64 v11, v23, v19, s[0:1]
	v_cndmask_b32_e64 v18, v22, v18, s[0:1]
	v_lshlrev_b32_e32 v18, 20, v18
	v_and_b32_sdwa v19, sext(v17), s26 dst_sel:DWORD dst_unused:UNUSED_PAD src0_sel:BYTE_0 src1_sel:DWORD
	v_lshl_add_u32 v11, v11, 23, v38
	v_or3_b32 v18, v19, v11, v18
	v_mov_b32_e32 v19, v5
.LBB173_97:                             ;   in Loop: Header=BB173_93 Depth=1
	s_or_b64 exec, exec, s[14:15]
.LBB173_98:                             ;   in Loop: Header=BB173_93 Depth=1
	s_or_b64 exec, exec, s[12:13]
.LBB173_99:                             ;   in Loop: Header=BB173_93 Depth=1
	s_or_b64 exec, exec, s[2:3]
	v_cmp_ne_u16_sdwa s[0:1], v17, v5 src0_sel:BYTE_1 src1_sel:DWORD
	s_and_saveexec_b64 s[2:3], s[0:1]
	s_cbranch_execz .LBB173_105
; %bb.100:                              ;   in Loop: Header=BB173_93 Depth=1
	v_mov_b32_e32 v21, v6
	v_cmp_ne_u16_sdwa s[0:1], v17, s24 src0_sel:BYTE_1 src1_sel:DWORD
	v_mov_b32_e32 v20, v5
	s_and_saveexec_b64 s[12:13], s[0:1]
	s_cbranch_execz .LBB173_104
; %bb.101:                              ;   in Loop: Header=BB173_93 Depth=1
	v_and_b32_sdwa v22, v17, s25 dst_sel:DWORD dst_unused:UNUSED_PAD src0_sel:BYTE_1 src1_sel:DWORD
	v_mov_b32_e32 v11, v5
	v_mov_b32_e32 v21, v12
	v_cmp_ne_u32_e64 s[0:1], s25, v22
	v_mov_b32_e32 v20, v11
	s_and_saveexec_b64 s[14:15], s[0:1]
	s_cbranch_execz .LBB173_103
; %bb.102:                              ;   in Loop: Header=BB173_93 Depth=1
	v_and_b32_sdwa v20, v17, v39 dst_sel:DWORD dst_unused:UNUSED_PAD src0_sel:BYTE_1 src1_sel:DWORD
	v_ffbh_u32_e32 v23, v20
	v_min_u32_e32 v25, 32, v23
	v_mov_b32_e32 v21, v5
	v_subrev_u32_e32 v23, 28, v25
	v_lshlrev_b64 v[23:24], v23, v[20:21]
	v_lshrrev_b32_e32 v11, 3, v22
	v_sub_u32_e32 v21, 29, v25
	v_cmp_gt_u32_e64 s[0:1], 8, v22
	v_and_b32_e32 v23, 7, v23
	v_cndmask_b32_e64 v11, v11, v21, s[0:1]
	v_cndmask_b32_e64 v20, v20, v23, s[0:1]
	v_lshlrev_b32_e32 v21, 16, v17
	v_lshl_add_u32 v11, v11, 23, v38
	v_and_or_b32 v11, v21, s26, v11
	v_lshlrev_b32_e32 v20, 20, v20
	v_or_b32_e32 v21, v11, v20
	v_mov_b32_e32 v20, v5
.LBB173_103:                            ;   in Loop: Header=BB173_93 Depth=1
	s_or_b64 exec, exec, s[14:15]
.LBB173_104:                            ;   in Loop: Header=BB173_93 Depth=1
	s_or_b64 exec, exec, s[12:13]
.LBB173_105:                            ;   in Loop: Header=BB173_93 Depth=1
	s_or_b64 exec, exec, s[2:3]
	v_lshrrev_b32_e32 v11, 16, v17
	v_mov_b32_e32 v24, 0
	v_mov_b32_e32 v22, 0
	;; [unrolled: 1-line block ×4, first 2 shown]
	v_cmp_ne_u16_sdwa s[0:1], v11, v5 src0_sel:BYTE_0 src1_sel:DWORD
	s_and_saveexec_b64 s[2:3], s[0:1]
	s_cbranch_execz .LBB173_111
; %bb.106:                              ;   in Loop: Header=BB173_93 Depth=1
	v_bfrev_b32_e32 v22, 1
	v_mov_b32_e32 v23, 0
	v_cmp_ne_u16_sdwa s[0:1], v11, s24 src0_sel:BYTE_0 src1_sel:DWORD
	s_and_saveexec_b64 s[12:13], s[0:1]
	s_cbranch_execz .LBB173_110
; %bb.107:                              ;   in Loop: Header=BB173_93 Depth=1
	v_bfe_u32 v41, v17, 16, 7
	v_mov_b32_e32 v22, 0x7f800001
	v_mov_b32_e32 v23, 0
	v_cmp_ne_u32_e64 s[0:1], s25, v41
	s_and_saveexec_b64 s[14:15], s[0:1]
	s_cbranch_execz .LBB173_109
; %bb.108:                              ;   in Loop: Header=BB173_93 Depth=1
	v_and_b32_e32 v42, 7, v11
	v_ffbh_u32_e32 v22, v42
	v_min_u32_e32 v44, 32, v22
	v_subrev_u32_e32 v22, 28, v44
	v_lshlrev_b64 v[22:23], v22, v[11:12]
	v_lshrrev_b32_e32 v43, 3, v41
	v_sub_u32_e32 v23, 29, v44
	v_and_b32_e32 v22, 7, v22
	v_cmp_gt_u32_e64 s[0:1], 8, v41
	v_cndmask_b32_e64 v23, v43, v23, s[0:1]
	v_cndmask_b32_e64 v22, v42, v22, s[0:1]
	v_lshlrev_b32_e32 v22, 20, v22
	v_and_b32_sdwa v11, sext(v11), s26 dst_sel:DWORD dst_unused:UNUSED_PAD src0_sel:BYTE_0 src1_sel:DWORD
	v_lshl_add_u32 v23, v23, 23, v38
	v_or3_b32 v22, v11, v23, v22
	v_mov_b32_e32 v23, v5
.LBB173_109:                            ;   in Loop: Header=BB173_93 Depth=1
	s_or_b64 exec, exec, s[14:15]
.LBB173_110:                            ;   in Loop: Header=BB173_93 Depth=1
	s_or_b64 exec, exec, s[12:13]
.LBB173_111:                            ;   in Loop: Header=BB173_93 Depth=1
	s_or_b64 exec, exec, s[2:3]
	v_cmp_lt_u32_e64 s[0:1], s27, v17
	s_and_saveexec_b64 s[2:3], s[0:1]
	s_cbranch_execz .LBB173_117
; %bb.112:                              ;   in Loop: Header=BB173_93 Depth=1
	v_mov_b32_e32 v25, v6
	v_cmp_ne_u32_sdwa s[0:1], v17, s24 src0_sel:BYTE_3 src1_sel:DWORD
	v_mov_b32_e32 v24, v5
	s_and_saveexec_b64 s[12:13], s[0:1]
	s_cbranch_execz .LBB173_116
; %bb.113:                              ;   in Loop: Header=BB173_93 Depth=1
	v_bfe_u32 v41, v17, 24, 7
	v_mov_b32_e32 v11, v5
	v_mov_b32_e32 v25, v12
	v_cmp_ne_u32_e64 s[0:1], s25, v41
	v_mov_b32_e32 v24, v11
	s_and_saveexec_b64 s[14:15], s[0:1]
	s_cbranch_execz .LBB173_115
; %bb.114:                              ;   in Loop: Header=BB173_93 Depth=1
	v_and_b32_sdwa v24, v17, v39 dst_sel:DWORD dst_unused:UNUSED_PAD src0_sel:BYTE_3 src1_sel:DWORD
	v_ffbh_u32_e32 v42, v24
	v_min_u32_e32 v44, 32, v42
	v_mov_b32_e32 v25, v5
	v_subrev_u32_e32 v42, 28, v44
	v_lshlrev_b64 v[42:43], v42, v[24:25]
	v_lshrrev_b32_e32 v11, 3, v41
	v_sub_u32_e32 v25, 29, v44
	v_cmp_gt_u32_e64 s[0:1], 8, v41
	v_and_b32_e32 v42, 7, v42
	v_cndmask_b32_e64 v11, v11, v25, s[0:1]
	v_cndmask_b32_e64 v24, v24, v42, s[0:1]
	v_lshlrev_b32_sdwa v17, v40, v17 dst_sel:DWORD dst_unused:UNUSED_PAD src0_sel:DWORD src1_sel:BYTE_3
	v_lshl_add_u32 v11, v11, 23, v38
	v_and_or_b32 v11, v17, s26, v11
	v_lshlrev_b32_e32 v17, 20, v24
	v_or_b32_e32 v25, v11, v17
	v_mov_b32_e32 v24, v5
.LBB173_115:                            ;   in Loop: Header=BB173_93 Depth=1
	s_or_b64 exec, exec, s[14:15]
.LBB173_116:                            ;   in Loop: Header=BB173_93 Depth=1
	s_or_b64 exec, exec, s[12:13]
.LBB173_117:                            ;   in Loop: Header=BB173_93 Depth=1
	s_or_b64 exec, exec, s[2:3]
	v_or_b32_e32 v11, v21, v19
	v_or_b32_e32 v17, v20, v18
	v_mul_f32_e32 v41, s33, v11
	v_mul_f32_e32 v42, s28, v17
	v_or_b32_e32 v11, v25, v23
	v_or_b32_e32 v17, v24, v22
	v_add_u32_e32 v43, -3, v34
	v_cmp_eq_u32_e64 s[0:1], s29, v27
	v_mul_f32_e32 v25, s28, v17
	v_mul_f32_e32 v24, s33, v11
	s_and_saveexec_b64 s[12:13], s[0:1]
	s_cbranch_execz .LBB173_119
; %bb.118:                              ;   in Loop: Header=BB173_93 Depth=1
	v_cmp_gt_i32_e64 s[2:3], s30, v43
	v_add_u32_e32 v11, -2, v34
	v_cndmask_b32_e64 v42, 0, v42, s[2:3]
	v_cmp_gt_i32_e64 s[2:3], s30, v11
	v_add_u32_e32 v11, -1, v34
	v_cndmask_b32_e64 v41, 0, v41, s[2:3]
	v_cmp_gt_i32_e64 s[2:3], s30, v11
	v_cndmask_b32_e64 v25, 0, v25, s[2:3]
	v_cmp_gt_i32_e64 s[2:3], s30, v34
	v_cndmask_b32_e64 v24, 0, v24, s[2:3]
.LBB173_119:                            ;   in Loop: Header=BB173_93 Depth=1
	s_or_b64 exec, exec, s[12:13]
	global_load_dword v15, v[15:16], off offset:256
	v_mov_b32_e32 v18, 0
	v_mov_b32_e32 v16, 0
	;; [unrolled: 1-line block ×4, first 2 shown]
	s_waitcnt vmcnt(0)
	v_cmp_ne_u16_sdwa s[2:3], v15, v5 src0_sel:BYTE_0 src1_sel:DWORD
	s_and_saveexec_b64 s[12:13], s[2:3]
	s_cbranch_execz .LBB173_125
; %bb.120:                              ;   in Loop: Header=BB173_93 Depth=1
	v_bfrev_b32_e32 v16, 1
	v_mov_b32_e32 v17, 0
	v_cmp_ne_u16_sdwa s[2:3], v15, s24 src0_sel:BYTE_0 src1_sel:DWORD
	s_and_saveexec_b64 s[14:15], s[2:3]
	s_cbranch_execz .LBB173_124
; %bb.121:                              ;   in Loop: Header=BB173_93 Depth=1
	v_and_b32_e32 v11, 0x7f, v15
	v_mov_b32_e32 v16, 0x7f800001
	v_mov_b32_e32 v17, 0
	v_cmp_ne_u32_e64 s[2:3], s25, v11
	s_and_saveexec_b64 s[16:17], s[2:3]
	s_cbranch_execz .LBB173_123
; %bb.122:                              ;   in Loop: Header=BB173_93 Depth=1
	v_and_b32_e32 v20, 7, v15
	v_ffbh_u32_e32 v16, v20
	v_min_u32_e32 v22, 32, v16
	v_subrev_u32_e32 v16, 28, v22
	v_lshlrev_b64 v[16:17], v16, v[15:16]
	v_lshrrev_b32_e32 v21, 3, v11
	v_sub_u32_e32 v17, 29, v22
	v_and_b32_e32 v16, 7, v16
	v_cmp_gt_u32_e64 s[2:3], 8, v11
	v_cndmask_b32_e64 v11, v21, v17, s[2:3]
	v_cndmask_b32_e64 v16, v20, v16, s[2:3]
	v_lshlrev_b32_e32 v16, 20, v16
	v_and_b32_sdwa v17, sext(v15), s26 dst_sel:DWORD dst_unused:UNUSED_PAD src0_sel:BYTE_0 src1_sel:DWORD
	v_lshl_add_u32 v11, v11, 23, v38
	v_or3_b32 v16, v17, v11, v16
	v_mov_b32_e32 v17, v5
.LBB173_123:                            ;   in Loop: Header=BB173_93 Depth=1
	s_or_b64 exec, exec, s[16:17]
.LBB173_124:                            ;   in Loop: Header=BB173_93 Depth=1
	s_or_b64 exec, exec, s[14:15]
.LBB173_125:                            ;   in Loop: Header=BB173_93 Depth=1
	s_or_b64 exec, exec, s[12:13]
	v_cmp_ne_u16_sdwa s[2:3], v15, v5 src0_sel:BYTE_1 src1_sel:DWORD
	s_and_saveexec_b64 s[12:13], s[2:3]
	s_cbranch_execz .LBB173_131
; %bb.126:                              ;   in Loop: Header=BB173_93 Depth=1
	v_mov_b32_e32 v19, v6
	v_cmp_ne_u16_sdwa s[2:3], v15, s24 src0_sel:BYTE_1 src1_sel:DWORD
	v_mov_b32_e32 v18, v5
	s_and_saveexec_b64 s[14:15], s[2:3]
	s_cbranch_execz .LBB173_130
; %bb.127:                              ;   in Loop: Header=BB173_93 Depth=1
	v_and_b32_sdwa v20, v15, s25 dst_sel:DWORD dst_unused:UNUSED_PAD src0_sel:BYTE_1 src1_sel:DWORD
	v_mov_b32_e32 v11, v5
	v_mov_b32_e32 v19, v12
	v_cmp_ne_u32_e64 s[2:3], s25, v20
	v_mov_b32_e32 v18, v11
	s_and_saveexec_b64 s[16:17], s[2:3]
	s_cbranch_execz .LBB173_129
; %bb.128:                              ;   in Loop: Header=BB173_93 Depth=1
	v_and_b32_sdwa v18, v15, v39 dst_sel:DWORD dst_unused:UNUSED_PAD src0_sel:BYTE_1 src1_sel:DWORD
	v_ffbh_u32_e32 v21, v18
	v_min_u32_e32 v23, 32, v21
	v_mov_b32_e32 v19, v5
	v_subrev_u32_e32 v21, 28, v23
	v_lshlrev_b64 v[21:22], v21, v[18:19]
	v_lshrrev_b32_e32 v11, 3, v20
	v_sub_u32_e32 v19, 29, v23
	v_cmp_gt_u32_e64 s[2:3], 8, v20
	v_and_b32_e32 v21, 7, v21
	v_cndmask_b32_e64 v11, v11, v19, s[2:3]
	v_cndmask_b32_e64 v18, v18, v21, s[2:3]
	v_lshlrev_b32_e32 v19, 16, v15
	v_lshl_add_u32 v11, v11, 23, v38
	v_and_or_b32 v11, v19, s26, v11
	v_lshlrev_b32_e32 v18, 20, v18
	v_or_b32_e32 v19, v11, v18
	v_mov_b32_e32 v18, v5
.LBB173_129:                            ;   in Loop: Header=BB173_93 Depth=1
	s_or_b64 exec, exec, s[16:17]
.LBB173_130:                            ;   in Loop: Header=BB173_93 Depth=1
	s_or_b64 exec, exec, s[14:15]
.LBB173_131:                            ;   in Loop: Header=BB173_93 Depth=1
	s_or_b64 exec, exec, s[12:13]
	v_lshrrev_b32_e32 v11, 16, v15
	v_mov_b32_e32 v22, 0
	v_mov_b32_e32 v20, 0
	;; [unrolled: 1-line block ×4, first 2 shown]
	v_cmp_ne_u16_sdwa s[2:3], v11, v5 src0_sel:BYTE_0 src1_sel:DWORD
	s_and_saveexec_b64 s[12:13], s[2:3]
	s_cbranch_execz .LBB173_137
; %bb.132:                              ;   in Loop: Header=BB173_93 Depth=1
	v_bfrev_b32_e32 v20, 1
	v_mov_b32_e32 v21, 0
	v_cmp_ne_u16_sdwa s[2:3], v11, s24 src0_sel:BYTE_0 src1_sel:DWORD
	s_and_saveexec_b64 s[14:15], s[2:3]
	s_cbranch_execz .LBB173_136
; %bb.133:                              ;   in Loop: Header=BB173_93 Depth=1
	v_bfe_u32 v44, v15, 16, 7
	v_mov_b32_e32 v20, 0x7f800001
	v_mov_b32_e32 v21, 0
	v_cmp_ne_u32_e64 s[2:3], s25, v44
	s_and_saveexec_b64 s[16:17], s[2:3]
	s_cbranch_execz .LBB173_135
; %bb.134:                              ;   in Loop: Header=BB173_93 Depth=1
	v_and_b32_e32 v45, 7, v11
	v_ffbh_u32_e32 v20, v45
	v_min_u32_e32 v47, 32, v20
	v_subrev_u32_e32 v20, 28, v47
	v_lshlrev_b64 v[20:21], v20, v[11:12]
	v_lshrrev_b32_e32 v46, 3, v44
	v_sub_u32_e32 v21, 29, v47
	v_and_b32_e32 v20, 7, v20
	v_cmp_gt_u32_e64 s[2:3], 8, v44
	v_cndmask_b32_e64 v21, v46, v21, s[2:3]
	v_cndmask_b32_e64 v20, v45, v20, s[2:3]
	v_lshlrev_b32_e32 v20, 20, v20
	v_and_b32_sdwa v11, sext(v11), s26 dst_sel:DWORD dst_unused:UNUSED_PAD src0_sel:BYTE_0 src1_sel:DWORD
	v_lshl_add_u32 v21, v21, 23, v38
	v_or3_b32 v20, v11, v21, v20
	v_mov_b32_e32 v21, v5
.LBB173_135:                            ;   in Loop: Header=BB173_93 Depth=1
	s_or_b64 exec, exec, s[16:17]
.LBB173_136:                            ;   in Loop: Header=BB173_93 Depth=1
	s_or_b64 exec, exec, s[14:15]
.LBB173_137:                            ;   in Loop: Header=BB173_93 Depth=1
	s_or_b64 exec, exec, s[12:13]
	v_cmp_lt_u32_e64 s[2:3], s27, v15
	s_and_saveexec_b64 s[12:13], s[2:3]
	s_cbranch_execz .LBB173_143
; %bb.138:                              ;   in Loop: Header=BB173_93 Depth=1
	v_mov_b32_e32 v23, v6
	v_cmp_ne_u32_sdwa s[2:3], v15, s24 src0_sel:BYTE_3 src1_sel:DWORD
	v_mov_b32_e32 v22, v5
	s_and_saveexec_b64 s[14:15], s[2:3]
	s_cbranch_execz .LBB173_142
; %bb.139:                              ;   in Loop: Header=BB173_93 Depth=1
	v_bfe_u32 v44, v15, 24, 7
	v_mov_b32_e32 v11, v5
	v_mov_b32_e32 v23, v12
	v_cmp_ne_u32_e64 s[2:3], s25, v44
	v_mov_b32_e32 v22, v11
	s_and_saveexec_b64 s[16:17], s[2:3]
	s_cbranch_execz .LBB173_141
; %bb.140:                              ;   in Loop: Header=BB173_93 Depth=1
	v_and_b32_sdwa v22, v15, v39 dst_sel:DWORD dst_unused:UNUSED_PAD src0_sel:BYTE_3 src1_sel:DWORD
	v_ffbh_u32_e32 v45, v22
	v_min_u32_e32 v47, 32, v45
	v_mov_b32_e32 v23, v5
	v_subrev_u32_e32 v45, 28, v47
	v_lshlrev_b64 v[45:46], v45, v[22:23]
	v_lshrrev_b32_e32 v11, 3, v44
	v_sub_u32_e32 v23, 29, v47
	v_cmp_gt_u32_e64 s[2:3], 8, v44
	v_and_b32_e32 v45, 7, v45
	v_cndmask_b32_e64 v11, v11, v23, s[2:3]
	v_cndmask_b32_e64 v22, v22, v45, s[2:3]
	v_lshlrev_b32_sdwa v15, v40, v15 dst_sel:DWORD dst_unused:UNUSED_PAD src0_sel:DWORD src1_sel:BYTE_3
	v_lshl_add_u32 v11, v11, 23, v38
	v_and_or_b32 v11, v15, s26, v11
	v_lshlrev_b32_e32 v15, 20, v22
	v_or_b32_e32 v23, v11, v15
	v_mov_b32_e32 v22, v5
.LBB173_141:                            ;   in Loop: Header=BB173_93 Depth=1
	s_or_b64 exec, exec, s[16:17]
.LBB173_142:                            ;   in Loop: Header=BB173_93 Depth=1
	s_or_b64 exec, exec, s[14:15]
.LBB173_143:                            ;   in Loop: Header=BB173_93 Depth=1
	s_or_b64 exec, exec, s[12:13]
	v_or_b32_e32 v11, v19, v17
	v_or_b32_e32 v15, v18, v16
	v_mul_f32_e32 v44, s33, v11
	v_mul_f32_e32 v45, s28, v15
	v_or_b32_e32 v11, v23, v21
	v_or_b32_e32 v15, v22, v20
	v_mul_f32_e32 v23, s28, v15
	v_mul_f32_e32 v22, s33, v11
	s_and_saveexec_b64 s[12:13], s[0:1]
	s_cbranch_execz .LBB173_145
; %bb.144:                              ;   in Loop: Header=BB173_93 Depth=1
	v_cmp_gt_i32_e64 s[2:3], s30, v43
	v_add_u32_e32 v11, -2, v34
	v_cndmask_b32_e64 v45, 0, v45, s[2:3]
	v_cmp_gt_i32_e64 s[2:3], s30, v11
	v_add_u32_e32 v11, -1, v34
	v_cndmask_b32_e64 v44, 0, v44, s[2:3]
	v_cmp_gt_i32_e64 s[2:3], s30, v11
	v_cndmask_b32_e64 v23, 0, v23, s[2:3]
	v_cmp_gt_i32_e64 s[2:3], s30, v34
	v_cndmask_b32_e64 v22, 0, v22, s[2:3]
.LBB173_145:                            ;   in Loop: Header=BB173_93 Depth=1
	s_or_b64 exec, exec, s[12:13]
	s_and_saveexec_b64 s[12:13], vcc
	s_cbranch_execz .LBB173_92
; %bb.146:                              ;   in Loop: Header=BB173_93 Depth=1
	v_add_co_u32_e64 v13, s[2:3], v13, v32
	v_addc_co_u32_e64 v14, s[2:3], 0, v14, s[2:3]
	global_load_dword v13, v[13:14], off
	v_mov_b32_e32 v16, 0
	v_mov_b32_e32 v14, 0
	;; [unrolled: 1-line block ×4, first 2 shown]
	s_waitcnt vmcnt(0)
	v_cmp_ne_u16_sdwa s[2:3], v13, v5 src0_sel:BYTE_0 src1_sel:DWORD
	s_and_saveexec_b64 s[14:15], s[2:3]
	s_cbranch_execz .LBB173_152
; %bb.147:                              ;   in Loop: Header=BB173_93 Depth=1
	v_bfrev_b32_e32 v14, 1
	v_mov_b32_e32 v15, 0
	v_cmp_ne_u16_sdwa s[2:3], v13, s24 src0_sel:BYTE_0 src1_sel:DWORD
	s_and_saveexec_b64 s[16:17], s[2:3]
	s_cbranch_execz .LBB173_151
; %bb.148:                              ;   in Loop: Header=BB173_93 Depth=1
	v_and_b32_e32 v11, 0x7f, v13
	v_mov_b32_e32 v14, 0x7f800001
	v_mov_b32_e32 v15, 0
	v_cmp_ne_u32_e64 s[2:3], s25, v11
	s_and_saveexec_b64 s[18:19], s[2:3]
	s_cbranch_execz .LBB173_150
; %bb.149:                              ;   in Loop: Header=BB173_93 Depth=1
	v_and_b32_e32 v18, 7, v13
	v_ffbh_u32_e32 v14, v18
	v_min_u32_e32 v20, 32, v14
	v_subrev_u32_e32 v14, 28, v20
	v_lshlrev_b64 v[14:15], v14, v[13:14]
	v_lshrrev_b32_e32 v19, 3, v11
	v_sub_u32_e32 v15, 29, v20
	v_and_b32_e32 v14, 7, v14
	v_cmp_gt_u32_e64 s[2:3], 8, v11
	v_cndmask_b32_e64 v11, v19, v15, s[2:3]
	v_cndmask_b32_e64 v14, v18, v14, s[2:3]
	v_lshlrev_b32_e32 v14, 20, v14
	v_and_b32_sdwa v15, sext(v13), s26 dst_sel:DWORD dst_unused:UNUSED_PAD src0_sel:BYTE_0 src1_sel:DWORD
	v_lshl_add_u32 v11, v11, 23, v38
	v_or3_b32 v14, v15, v11, v14
	v_mov_b32_e32 v15, v5
.LBB173_150:                            ;   in Loop: Header=BB173_93 Depth=1
	s_or_b64 exec, exec, s[18:19]
.LBB173_151:                            ;   in Loop: Header=BB173_93 Depth=1
	s_or_b64 exec, exec, s[16:17]
.LBB173_152:                            ;   in Loop: Header=BB173_93 Depth=1
	s_or_b64 exec, exec, s[14:15]
	v_cmp_ne_u16_sdwa s[2:3], v13, v5 src0_sel:BYTE_1 src1_sel:DWORD
	s_and_saveexec_b64 s[14:15], s[2:3]
	s_cbranch_execz .LBB173_158
; %bb.153:                              ;   in Loop: Header=BB173_93 Depth=1
	v_mov_b32_e32 v17, v6
	v_cmp_ne_u16_sdwa s[2:3], v13, s24 src0_sel:BYTE_1 src1_sel:DWORD
	v_mov_b32_e32 v16, v5
	s_and_saveexec_b64 s[16:17], s[2:3]
	s_cbranch_execz .LBB173_157
; %bb.154:                              ;   in Loop: Header=BB173_93 Depth=1
	v_and_b32_sdwa v18, v13, s25 dst_sel:DWORD dst_unused:UNUSED_PAD src0_sel:BYTE_1 src1_sel:DWORD
	v_mov_b32_e32 v11, v5
	v_mov_b32_e32 v17, v12
	v_cmp_ne_u32_e64 s[2:3], s25, v18
	v_mov_b32_e32 v16, v11
	s_and_saveexec_b64 s[18:19], s[2:3]
	s_cbranch_execz .LBB173_156
; %bb.155:                              ;   in Loop: Header=BB173_93 Depth=1
	v_and_b32_sdwa v16, v13, v39 dst_sel:DWORD dst_unused:UNUSED_PAD src0_sel:BYTE_1 src1_sel:DWORD
	v_ffbh_u32_e32 v19, v16
	v_min_u32_e32 v21, 32, v19
	v_mov_b32_e32 v17, v5
	v_subrev_u32_e32 v19, 28, v21
	v_lshlrev_b64 v[19:20], v19, v[16:17]
	v_lshrrev_b32_e32 v11, 3, v18
	v_sub_u32_e32 v17, 29, v21
	v_cmp_gt_u32_e64 s[2:3], 8, v18
	v_and_b32_e32 v19, 7, v19
	v_cndmask_b32_e64 v11, v11, v17, s[2:3]
	v_cndmask_b32_e64 v16, v16, v19, s[2:3]
	v_lshlrev_b32_e32 v17, 16, v13
	v_lshl_add_u32 v11, v11, 23, v38
	v_and_or_b32 v11, v17, s26, v11
	v_lshlrev_b32_e32 v16, 20, v16
	v_or_b32_e32 v17, v11, v16
	v_mov_b32_e32 v16, v5
.LBB173_156:                            ;   in Loop: Header=BB173_93 Depth=1
	s_or_b64 exec, exec, s[18:19]
.LBB173_157:                            ;   in Loop: Header=BB173_93 Depth=1
	s_or_b64 exec, exec, s[16:17]
.LBB173_158:                            ;   in Loop: Header=BB173_93 Depth=1
	s_or_b64 exec, exec, s[14:15]
	v_lshrrev_b32_e32 v11, 16, v13
	v_mov_b32_e32 v20, 0
	v_mov_b32_e32 v18, 0
	;; [unrolled: 1-line block ×4, first 2 shown]
	v_cmp_ne_u16_sdwa s[2:3], v11, v5 src0_sel:BYTE_0 src1_sel:DWORD
	s_and_saveexec_b64 s[14:15], s[2:3]
	s_cbranch_execz .LBB173_164
; %bb.159:                              ;   in Loop: Header=BB173_93 Depth=1
	v_bfrev_b32_e32 v18, 1
	v_mov_b32_e32 v19, 0
	v_cmp_ne_u16_sdwa s[2:3], v11, s24 src0_sel:BYTE_0 src1_sel:DWORD
	s_and_saveexec_b64 s[16:17], s[2:3]
	s_cbranch_execz .LBB173_163
; %bb.160:                              ;   in Loop: Header=BB173_93 Depth=1
	v_bfe_u32 v46, v13, 16, 7
	v_mov_b32_e32 v18, 0x7f800001
	v_mov_b32_e32 v19, 0
	v_cmp_ne_u32_e64 s[2:3], s25, v46
	s_and_saveexec_b64 s[18:19], s[2:3]
	s_cbranch_execz .LBB173_162
; %bb.161:                              ;   in Loop: Header=BB173_93 Depth=1
	v_and_b32_e32 v47, 7, v11
	v_ffbh_u32_e32 v18, v47
	v_min_u32_e32 v49, 32, v18
	v_subrev_u32_e32 v18, 28, v49
	v_lshlrev_b64 v[18:19], v18, v[11:12]
	v_lshrrev_b32_e32 v48, 3, v46
	v_sub_u32_e32 v19, 29, v49
	v_and_b32_e32 v18, 7, v18
	v_cmp_gt_u32_e64 s[2:3], 8, v46
	v_cndmask_b32_e64 v19, v48, v19, s[2:3]
	v_cndmask_b32_e64 v18, v47, v18, s[2:3]
	v_lshlrev_b32_e32 v18, 20, v18
	v_and_b32_sdwa v11, sext(v11), s26 dst_sel:DWORD dst_unused:UNUSED_PAD src0_sel:BYTE_0 src1_sel:DWORD
	v_lshl_add_u32 v19, v19, 23, v38
	v_or3_b32 v18, v11, v19, v18
	v_mov_b32_e32 v19, v5
.LBB173_162:                            ;   in Loop: Header=BB173_93 Depth=1
	s_or_b64 exec, exec, s[18:19]
.LBB173_163:                            ;   in Loop: Header=BB173_93 Depth=1
	s_or_b64 exec, exec, s[16:17]
.LBB173_164:                            ;   in Loop: Header=BB173_93 Depth=1
	s_or_b64 exec, exec, s[14:15]
	v_cmp_lt_u32_e64 s[2:3], s27, v13
	s_and_saveexec_b64 s[14:15], s[2:3]
	s_cbranch_execz .LBB173_170
; %bb.165:                              ;   in Loop: Header=BB173_93 Depth=1
	v_mov_b32_e32 v21, v6
	v_cmp_ne_u32_sdwa s[2:3], v13, s24 src0_sel:BYTE_3 src1_sel:DWORD
	v_mov_b32_e32 v20, v5
	s_and_saveexec_b64 s[16:17], s[2:3]
	s_cbranch_execz .LBB173_169
; %bb.166:                              ;   in Loop: Header=BB173_93 Depth=1
	v_bfe_u32 v46, v13, 24, 7
	v_mov_b32_e32 v11, v5
	v_mov_b32_e32 v21, v12
	v_cmp_ne_u32_e64 s[2:3], s25, v46
	v_mov_b32_e32 v20, v11
	s_and_saveexec_b64 s[18:19], s[2:3]
	s_cbranch_execz .LBB173_168
; %bb.167:                              ;   in Loop: Header=BB173_93 Depth=1
	v_and_b32_sdwa v20, v13, v39 dst_sel:DWORD dst_unused:UNUSED_PAD src0_sel:BYTE_3 src1_sel:DWORD
	v_ffbh_u32_e32 v47, v20
	v_min_u32_e32 v49, 32, v47
	v_mov_b32_e32 v21, v5
	v_subrev_u32_e32 v47, 28, v49
	v_lshlrev_b64 v[47:48], v47, v[20:21]
	v_lshrrev_b32_e32 v11, 3, v46
	v_sub_u32_e32 v21, 29, v49
	v_cmp_gt_u32_e64 s[2:3], 8, v46
	v_and_b32_e32 v47, 7, v47
	v_cndmask_b32_e64 v11, v11, v21, s[2:3]
	v_cndmask_b32_e64 v20, v20, v47, s[2:3]
	v_lshlrev_b32_sdwa v13, v40, v13 dst_sel:DWORD dst_unused:UNUSED_PAD src0_sel:DWORD src1_sel:BYTE_3
	v_lshl_add_u32 v11, v11, 23, v38
	v_and_or_b32 v11, v13, s26, v11
	v_lshlrev_b32_e32 v13, 20, v20
	v_or_b32_e32 v21, v11, v13
	v_mov_b32_e32 v20, v5
.LBB173_168:                            ;   in Loop: Header=BB173_93 Depth=1
	s_or_b64 exec, exec, s[18:19]
.LBB173_169:                            ;   in Loop: Header=BB173_93 Depth=1
	s_or_b64 exec, exec, s[16:17]
.LBB173_170:                            ;   in Loop: Header=BB173_93 Depth=1
	s_or_b64 exec, exec, s[14:15]
	v_or_b32_e32 v13, v16, v14
	v_or_b32_e32 v11, v17, v15
	v_mul_f32_e32 v15, s28, v13
	v_or_b32_e32 v13, v21, v19
	v_or_b32_e32 v14, v20, v18
	v_mul_f32_e32 v11, s33, v11
	v_mul_f32_e32 v14, s28, v14
	;; [unrolled: 1-line block ×3, first 2 shown]
	s_and_saveexec_b64 s[2:3], s[0:1]
	s_cbranch_execz .LBB173_91
; %bb.171:                              ;   in Loop: Header=BB173_93 Depth=1
	v_cmp_gt_i32_e64 s[0:1], s30, v43
	v_add_u32_e32 v16, -2, v34
	v_cndmask_b32_e64 v15, 0, v15, s[0:1]
	v_cmp_gt_i32_e64 s[0:1], s30, v16
	v_add_u32_e32 v16, -1, v34
	v_cndmask_b32_e64 v11, 0, v11, s[0:1]
	v_cmp_gt_i32_e64 s[0:1], s30, v16
	v_cndmask_b32_e64 v14, 0, v14, s[0:1]
	v_cmp_gt_i32_e64 s[0:1], s30, v34
	v_cndmask_b32_e64 v13, 0, v13, s[0:1]
	s_branch .LBB173_91
.LBB173_172:
	s_or_b64 exec, exec, s[6:7]
.LBB173_173:
	s_or_b64 exec, exec, s[4:5]
	ds_bpermute_b32 v1, v28, v33
	ds_bpermute_b32 v4, v28, v37
	;; [unrolled: 1-line block ×3, first 2 shown]
	v_cmp_eq_u32_e32 vcc, 0, v30
	s_waitcnt lgkmcnt(0)
	v_add_f32_e32 v3, v33, v1
	v_add_f32_e32 v1, v37, v4
	v_and_b32_e32 v4, 0x3c0, v0
	v_add_f32_e32 v2, v35, v2
	v_cmp_eq_u32_e64 s[0:1], 64, v4
	s_barrier
	s_and_saveexec_b64 s[2:3], s[0:1]
	s_cbranch_execz .LBB173_178
; %bb.174:
	s_and_saveexec_b64 s[0:1], vcc
; %bb.175:
	v_mov_b32_e32 v4, 0x150
	v_lshl_add_u32 v4, v29, 2, v4
	ds_write2_b32 v4, v3, v2 offset1:32
; %bb.176:
	s_or_b64 exec, exec, s[0:1]
	v_or_b32_e32 v4, 64, v29
	s_movk_i32 s0, 0x50
	v_cmp_gt_u32_e64 s[0:1], s0, v4
	s_and_b64 s[0:1], vcc, s[0:1]
	s_and_b64 exec, exec, s[0:1]
; %bb.177:
	v_mov_b32_e32 v4, 0x150
	v_lshl_add_u32 v4, v29, 2, v4
	ds_write_b32 v4, v1 offset:256
.LBB173_178:
	s_or_b64 exec, exec, s[2:3]
	v_cmp_gt_u32_e64 s[0:1], 64, v0
	s_waitcnt lgkmcnt(0)
	s_barrier
	s_and_saveexec_b64 s[4:5], s[0:1]
	s_cbranch_execz .LBB173_186
; %bb.179:
	s_and_saveexec_b64 s[2:3], vcc
	s_cbranch_execz .LBB173_181
; %bb.180:
	v_mov_b32_e32 v0, 0x150
	v_lshl_add_u32 v0, v26, 2, v0
	ds_read_b32 v0, v0
	s_waitcnt lgkmcnt(0)
	v_add_f32_e32 v3, v3, v0
.LBB173_181:
	s_or_b64 exec, exec, s[2:3]
	v_or_b32_e32 v0, 32, v26
	s_movk_i32 s6, 0x50
	v_cmp_gt_u32_e64 s[2:3], s6, v0
	s_and_b64 s[12:13], vcc, s[2:3]
	s_and_saveexec_b64 s[2:3], s[12:13]
	s_cbranch_execz .LBB173_183
; %bb.182:
	v_mov_b32_e32 v0, 0x150
	v_lshl_add_u32 v0, v26, 2, v0
	ds_read_b32 v0, v0 offset:128
	s_waitcnt lgkmcnt(0)
	v_add_f32_e32 v2, v2, v0
.LBB173_183:
	s_or_b64 exec, exec, s[2:3]
	v_or_b32_e32 v0, 64, v26
	v_cmp_gt_u32_e64 s[2:3], s6, v0
	s_and_b64 s[6:7], vcc, s[2:3]
	s_and_saveexec_b64 s[2:3], s[6:7]
	s_cbranch_execz .LBB173_185
; %bb.184:
	v_mov_b32_e32 v0, 0x150
	v_lshl_add_u32 v0, v26, 2, v0
	ds_read_b32 v0, v0 offset:256
	s_waitcnt lgkmcnt(0)
	v_add_f32_e32 v1, v1, v0
.LBB173_185:
	s_or_b64 exec, exec, s[2:3]
.LBB173_186:
	s_or_b64 exec, exec, s[4:5]
	s_barrier
	s_and_saveexec_b64 s[2:3], s[0:1]
	s_cbranch_execz .LBB173_193
; %bb.187:
	s_mul_i32 s0, s10, s11
	s_mul_i32 s0, s0, s9
	s_mulk_i32 s0, 0x50
	s_ashr_i32 s1, s0, 31
	s_lshl_b64 s[0:1], s[0:1], 2
	s_add_u32 s2, s22, s0
	s_mul_i32 s0, s11, s20
	s_addc_u32 s3, s23, s1
	s_ashr_i32 s1, s0, 31
	s_lshl_b64 s[0:1], s[0:1], 2
	s_add_u32 s2, s2, s0
	s_mul_i32 s0, s8, 0x50
	s_addc_u32 s3, s3, s1
	s_ashr_i32 s1, s0, 31
	s_lshl_b64 s[0:1], s[0:1], 2
	s_add_u32 s2, s2, s0
	s_movk_i32 s4, 0x50
	s_addc_u32 s3, s3, s1
	v_lshlrev_b32_e32 v0, 2, v26
	s_and_saveexec_b64 s[0:1], vcc
	s_cbranch_execz .LBB173_189
; %bb.188:
	global_store_dword v0, v3, s[2:3]
.LBB173_189:
	s_or_b64 exec, exec, s[0:1]
	v_or_b32_e32 v3, 32, v26
	v_cmp_gt_u32_e64 s[0:1], s4, v3
	s_and_b64 s[4:5], vcc, s[0:1]
	s_and_saveexec_b64 s[0:1], s[4:5]
	s_cbranch_execz .LBB173_191
; %bb.190:
	global_store_dword v0, v2, s[2:3] offset:128
.LBB173_191:
	s_or_b64 exec, exec, s[0:1]
	v_or_b32_e32 v2, 64, v26
	s_movk_i32 s0, 0x50
	v_cmp_gt_u32_e64 s[0:1], s0, v2
	s_and_b64 s[0:1], vcc, s[0:1]
	s_and_b64 exec, exec, s[0:1]
	s_cbranch_execz .LBB173_193
; %bb.192:
	global_store_dword v0, v1, s[2:3] offset:256
.LBB173_193:
	s_endpgm
	.section	.rodata,"a",@progbits
	.p2align	6, 0x0
	.amdhsa_kernel _ZN4vllm25paged_attention_v1_kernelIfhLi80ELi8ELi128ELNS_18Fp8KVCacheDataTypeE1ELb0EEEvPT_PKS2_PKT0_S8_ifPKiSA_iPKfiiiSC_SC_iiiii
		.amdhsa_group_segment_fixed_size 336
		.amdhsa_private_segment_fixed_size 0
		.amdhsa_kernarg_size 384
		.amdhsa_user_sgpr_count 6
		.amdhsa_user_sgpr_private_segment_buffer 1
		.amdhsa_user_sgpr_dispatch_ptr 0
		.amdhsa_user_sgpr_queue_ptr 0
		.amdhsa_user_sgpr_kernarg_segment_ptr 1
		.amdhsa_user_sgpr_dispatch_id 0
		.amdhsa_user_sgpr_flat_scratch_init 0
		.amdhsa_user_sgpr_private_segment_size 0
		.amdhsa_uses_dynamic_stack 0
		.amdhsa_system_sgpr_private_segment_wavefront_offset 0
		.amdhsa_system_sgpr_workgroup_id_x 1
		.amdhsa_system_sgpr_workgroup_id_y 1
		.amdhsa_system_sgpr_workgroup_id_z 1
		.amdhsa_system_sgpr_workgroup_info 0
		.amdhsa_system_vgpr_workitem_id 0
		.amdhsa_next_free_vgpr 50
		.amdhsa_next_free_sgpr 43
		.amdhsa_reserve_vcc 1
		.amdhsa_reserve_flat_scratch 0
		.amdhsa_float_round_mode_32 0
		.amdhsa_float_round_mode_16_64 0
		.amdhsa_float_denorm_mode_32 3
		.amdhsa_float_denorm_mode_16_64 3
		.amdhsa_dx10_clamp 1
		.amdhsa_ieee_mode 1
		.amdhsa_fp16_overflow 0
		.amdhsa_exception_fp_ieee_invalid_op 0
		.amdhsa_exception_fp_denorm_src 0
		.amdhsa_exception_fp_ieee_div_zero 0
		.amdhsa_exception_fp_ieee_overflow 0
		.amdhsa_exception_fp_ieee_underflow 0
		.amdhsa_exception_fp_ieee_inexact 0
		.amdhsa_exception_int_div_zero 0
	.end_amdhsa_kernel
	.section	.text._ZN4vllm25paged_attention_v1_kernelIfhLi80ELi8ELi128ELNS_18Fp8KVCacheDataTypeE1ELb0EEEvPT_PKS2_PKT0_S8_ifPKiSA_iPKfiiiSC_SC_iiiii,"axG",@progbits,_ZN4vllm25paged_attention_v1_kernelIfhLi80ELi8ELi128ELNS_18Fp8KVCacheDataTypeE1ELb0EEEvPT_PKS2_PKT0_S8_ifPKiSA_iPKfiiiSC_SC_iiiii,comdat
.Lfunc_end173:
	.size	_ZN4vllm25paged_attention_v1_kernelIfhLi80ELi8ELi128ELNS_18Fp8KVCacheDataTypeE1ELb0EEEvPT_PKS2_PKT0_S8_ifPKiSA_iPKfiiiSC_SC_iiiii, .Lfunc_end173-_ZN4vllm25paged_attention_v1_kernelIfhLi80ELi8ELi128ELNS_18Fp8KVCacheDataTypeE1ELb0EEEvPT_PKS2_PKT0_S8_ifPKiSA_iPKfiiiSC_SC_iiiii
                                        ; -- End function
	.set _ZN4vllm25paged_attention_v1_kernelIfhLi80ELi8ELi128ELNS_18Fp8KVCacheDataTypeE1ELb0EEEvPT_PKS2_PKT0_S8_ifPKiSA_iPKfiiiSC_SC_iiiii.num_vgpr, 50
	.set _ZN4vllm25paged_attention_v1_kernelIfhLi80ELi8ELi128ELNS_18Fp8KVCacheDataTypeE1ELb0EEEvPT_PKS2_PKT0_S8_ifPKiSA_iPKfiiiSC_SC_iiiii.num_agpr, 0
	.set _ZN4vllm25paged_attention_v1_kernelIfhLi80ELi8ELi128ELNS_18Fp8KVCacheDataTypeE1ELb0EEEvPT_PKS2_PKT0_S8_ifPKiSA_iPKfiiiSC_SC_iiiii.numbered_sgpr, 43
	.set _ZN4vllm25paged_attention_v1_kernelIfhLi80ELi8ELi128ELNS_18Fp8KVCacheDataTypeE1ELb0EEEvPT_PKS2_PKT0_S8_ifPKiSA_iPKfiiiSC_SC_iiiii.num_named_barrier, 0
	.set _ZN4vllm25paged_attention_v1_kernelIfhLi80ELi8ELi128ELNS_18Fp8KVCacheDataTypeE1ELb0EEEvPT_PKS2_PKT0_S8_ifPKiSA_iPKfiiiSC_SC_iiiii.private_seg_size, 0
	.set _ZN4vllm25paged_attention_v1_kernelIfhLi80ELi8ELi128ELNS_18Fp8KVCacheDataTypeE1ELb0EEEvPT_PKS2_PKT0_S8_ifPKiSA_iPKfiiiSC_SC_iiiii.uses_vcc, 1
	.set _ZN4vllm25paged_attention_v1_kernelIfhLi80ELi8ELi128ELNS_18Fp8KVCacheDataTypeE1ELb0EEEvPT_PKS2_PKT0_S8_ifPKiSA_iPKfiiiSC_SC_iiiii.uses_flat_scratch, 0
	.set _ZN4vllm25paged_attention_v1_kernelIfhLi80ELi8ELi128ELNS_18Fp8KVCacheDataTypeE1ELb0EEEvPT_PKS2_PKT0_S8_ifPKiSA_iPKfiiiSC_SC_iiiii.has_dyn_sized_stack, 0
	.set _ZN4vllm25paged_attention_v1_kernelIfhLi80ELi8ELi128ELNS_18Fp8KVCacheDataTypeE1ELb0EEEvPT_PKS2_PKT0_S8_ifPKiSA_iPKfiiiSC_SC_iiiii.has_recursion, 0
	.set _ZN4vllm25paged_attention_v1_kernelIfhLi80ELi8ELi128ELNS_18Fp8KVCacheDataTypeE1ELb0EEEvPT_PKS2_PKT0_S8_ifPKiSA_iPKfiiiSC_SC_iiiii.has_indirect_call, 0
	.section	.AMDGPU.csdata,"",@progbits
; Kernel info:
; codeLenInByte = 7668
; TotalNumSgprs: 47
; NumVgprs: 50
; ScratchSize: 0
; MemoryBound: 0
; FloatMode: 240
; IeeeMode: 1
; LDSByteSize: 336 bytes/workgroup (compile time only)
; SGPRBlocks: 5
; VGPRBlocks: 12
; NumSGPRsForWavesPerEU: 47
; NumVGPRsForWavesPerEU: 50
; Occupancy: 4
; WaveLimiterHint : 1
; COMPUTE_PGM_RSRC2:SCRATCH_EN: 0
; COMPUTE_PGM_RSRC2:USER_SGPR: 6
; COMPUTE_PGM_RSRC2:TRAP_HANDLER: 0
; COMPUTE_PGM_RSRC2:TGID_X_EN: 1
; COMPUTE_PGM_RSRC2:TGID_Y_EN: 1
; COMPUTE_PGM_RSRC2:TGID_Z_EN: 1
; COMPUTE_PGM_RSRC2:TIDIG_COMP_CNT: 0
	.section	.text._ZN4vllm25paged_attention_v1_kernelIfhLi96ELi8ELi128ELNS_18Fp8KVCacheDataTypeE1ELb0EEEvPT_PKS2_PKT0_S8_ifPKiSA_iPKfiiiSC_SC_iiiii,"axG",@progbits,_ZN4vllm25paged_attention_v1_kernelIfhLi96ELi8ELi128ELNS_18Fp8KVCacheDataTypeE1ELb0EEEvPT_PKS2_PKT0_S8_ifPKiSA_iPKfiiiSC_SC_iiiii,comdat
	.protected	_ZN4vllm25paged_attention_v1_kernelIfhLi96ELi8ELi128ELNS_18Fp8KVCacheDataTypeE1ELb0EEEvPT_PKS2_PKT0_S8_ifPKiSA_iPKfiiiSC_SC_iiiii ; -- Begin function _ZN4vllm25paged_attention_v1_kernelIfhLi96ELi8ELi128ELNS_18Fp8KVCacheDataTypeE1ELb0EEEvPT_PKS2_PKT0_S8_ifPKiSA_iPKfiiiSC_SC_iiiii
	.globl	_ZN4vllm25paged_attention_v1_kernelIfhLi96ELi8ELi128ELNS_18Fp8KVCacheDataTypeE1ELb0EEEvPT_PKS2_PKT0_S8_ifPKiSA_iPKfiiiSC_SC_iiiii
	.p2align	8
	.type	_ZN4vllm25paged_attention_v1_kernelIfhLi96ELi8ELi128ELNS_18Fp8KVCacheDataTypeE1ELb0EEEvPT_PKS2_PKT0_S8_ifPKiSA_iPKfiiiSC_SC_iiiii,@function
_ZN4vllm25paged_attention_v1_kernelIfhLi96ELi8ELi128ELNS_18Fp8KVCacheDataTypeE1ELb0EEEvPT_PKS2_PKT0_S8_ifPKiSA_iPKfiiiSC_SC_iiiii: ; @_ZN4vllm25paged_attention_v1_kernelIfhLi96ELi8ELi128ELNS_18Fp8KVCacheDataTypeE1ELb0EEEvPT_PKS2_PKT0_S8_ifPKiSA_iPKfiiiSC_SC_iiiii
; %bb.0:
	s_load_dword s9, s[4:5], 0x80
	s_load_dwordx2 s[0:1], s[4:5], 0x30
	s_load_dwordx2 s[30:31], s[4:5], 0x20
	s_mov_b32 s10, s7
	s_ashr_i32 s11, s7, 31
	s_lshl_b64 s[2:3], s[10:11], 2
	s_waitcnt lgkmcnt(0)
	s_add_u32 s0, s0, s2
	s_addc_u32 s1, s1, s3
	s_abs_i32 s2, s30
	v_cvt_f32_u32_e32 v1, s2
	s_sub_i32 s11, 0, s2
	s_abs_i32 s7, s9
	s_xor_b32 s3, s9, s30
	v_rcp_iflag_f32_e32 v1, v1
	s_ashr_i32 s3, s3, 31
	s_mov_b32 s33, 0
	v_mul_f32_e32 v1, 0x4f7ffffe, v1
	v_cvt_u32_f32_e32 v1, v1
	v_readfirstlane_b32 s12, v1
	s_mul_i32 s11, s11, s12
	s_mul_hi_u32 s11, s12, s11
	s_add_i32 s12, s12, s11
	s_mul_hi_u32 s11, s7, s12
	s_mul_i32 s12, s11, s2
	s_sub_i32 s7, s7, s12
	s_add_i32 s12, s11, 1
	s_sub_i32 s13, s7, s2
	s_cmp_ge_u32 s7, s2
	s_cselect_b32 s11, s12, s11
	s_cselect_b32 s7, s13, s7
	s_add_i32 s12, s11, 1
	s_cmp_ge_u32 s7, s2
	s_cselect_b32 s2, s12, s11
	s_xor_b32 s2, s2, s3
	s_sub_i32 s12, s2, s3
	s_abs_i32 s11, s12
	v_cvt_f32_u32_e32 v1, s11
	s_load_dwordx2 s[2:3], s[4:5], 0x40
	s_sub_i32 s7, 0, s11
	s_abs_i32 s16, s6
	v_rcp_iflag_f32_e32 v1, v1
	v_mul_f32_e32 v1, 0x4f7ffffe, v1
	v_cvt_u32_f32_e32 v1, v1
	v_readfirstlane_b32 s13, v1
	s_mul_i32 s7, s7, s13
	s_mul_hi_u32 s7, s13, s7
	s_add_i32 s13, s13, s7
	s_waitcnt lgkmcnt(0)
	s_cmp_eq_u64 s[2:3], 0
	s_mul_hi_u32 s17, s16, s13
	s_cbranch_scc1 .LBB174_2
; %bb.1:
	s_ashr_i32 s7, s6, 31
	s_lshl_b64 s[14:15], s[6:7], 2
	s_add_u32 s2, s2, s14
	s_addc_u32 s3, s3, s15
	s_load_dword s33, s[2:3], 0x0
.LBB174_2:
	s_load_dword s30, s[0:1], 0x0
	s_ashr_i32 s3, s12, 31
	s_load_dwordx4 s[12:15], s[4:5], 0x48
	s_movk_i32 s0, 0x60
	s_ashr_i32 s2, s6, 31
	v_and_b32_e32 v1, 7, v0
	s_mul_i32 s20, s6, 0x60
	v_cmp_gt_u32_e32 vcc, s0, v0
	v_lshlrev_b32_e32 v20, 2, v0
	v_lshrrev_b32_e32 v24, 1, v0
	s_and_saveexec_b64 s[0:1], vcc
	s_cbranch_execz .LBB174_4
; %bb.3:
	s_load_dwordx2 s[6:7], s[4:5], 0x8
	s_waitcnt lgkmcnt(0)
	s_mul_i32 s18, s12, s10
	s_ashr_i32 s19, s18, 31
	s_lshl_b64 s[18:19], s[18:19], 2
	v_and_b32_e32 v3, 0x1fc, v24
	s_add_u32 s12, s6, s18
	s_addc_u32 s15, s7, s19
	s_ashr_i32 s21, s20, 31
	s_lshl_b64 s[6:7], s[20:21], 2
	s_add_u32 s6, s12, s6
	s_addc_u32 s7, s15, s7
	global_load_dword v2, v20, s[6:7]
	v_mad_u32_u24 v3, v1, 48, v3
	s_waitcnt vmcnt(0)
	ds_write_b32 v3, v2
.LBB174_4:
	s_or_b64 exec, exec, s[0:1]
	s_waitcnt lgkmcnt(0)
	s_add_i32 s1, s30, 7
	s_ashr_i32 s6, s1, 31
	s_lshr_b32 s6, s6, 29
	s_add_i32 s1, s1, s6
	s_ashr_i32 s21, s1, 3
	s_xor_b32 s1, s2, s3
	s_mul_i32 s2, s17, s11
	s_sub_i32 s2, s16, s2
	s_add_i32 s3, s17, 1
	s_sub_i32 s6, s2, s11
	s_load_dwordx2 s[24:25], s[4:5], 0x28
	s_load_dword s0, s[4:5], 0x38
	s_cmp_ge_u32 s2, s11
	s_cselect_b32 s3, s3, s17
	s_cselect_b32 s2, s6, s2
	s_add_i32 s6, s3, 1
	s_cmp_ge_u32 s2, s11
	s_cselect_b32 s2, s6, s3
	v_lshrrev_b32_e32 v25, 6, v0
	s_xor_b32 s2, s2, s1
	s_waitcnt lgkmcnt(0)
	s_mul_i32 s26, s0, s10
	s_sub_i32 s12, s2, s1
	s_ashr_i32 s27, s26, 31
	v_cmp_gt_i32_e64 s[0:1], s21, v25
	v_cmp_le_i32_e32 vcc, s21, v25
	v_mbcnt_lo_u32_b32 v2, -1, 0
	s_barrier
                                        ; implicit-def: $vgpr22
                                        ; implicit-def: $vgpr28
                                        ; implicit-def: $vgpr23
	s_and_saveexec_b64 s[2:3], vcc
	s_xor_b64 s[2:3], exec, s[2:3]
; %bb.5:
	v_mbcnt_hi_u32_b32 v22, -1, v2
	v_and_b32_e32 v28, 64, v22
	v_add_u32_e32 v23, 64, v28
                                        ; implicit-def: $vgpr1
                                        ; implicit-def: $vgpr2
; %bb.6:
	s_or_saveexec_b64 s[6:7], s[2:3]
	s_load_dwordx2 s[22:23], s[4:5], 0x0
	s_load_dwordx2 s[28:29], s[4:5], 0x18
	s_load_dword s11, s[4:5], 0x88
	s_load_dwordx4 s[16:19], s[4:5], 0x58
	v_mov_b32_e32 v26, 0xff7fffff
	s_mul_i32 s12, s12, s14
	v_lshrrev_b32_e32 v21, 4, v0
	s_xor_b64 exec, exec, s[6:7]
	s_cbranch_execz .LBB174_84
; %bb.7:
	s_load_dwordx2 s[2:3], s[4:5], 0x10
	s_ashr_i32 s4, s12, 31
	v_bfe_u32 v3, v0, 3, 3
	v_lshlrev_b32_e32 v4, 4, v3
	v_mbcnt_hi_u32_b32 v22, -1, v2
	s_waitcnt lgkmcnt(0)
	s_add_u32 s2, s2, s12
	s_addc_u32 s3, s3, s4
	v_mov_b32_e32 v5, s3
	v_add_co_u32_e32 v4, vcc, s2, v4
	v_and_b32_e32 v28, 64, v22
	v_addc_co_u32_e32 v5, vcc, 0, v5, vcc
	v_add_u32_e32 v23, 64, v28
	v_xor_b32_e32 v2, 4, v22
	v_cmp_lt_i32_e32 vcc, v2, v23
	v_cndmask_b32_e32 v2, v22, v2, vcc
	v_lshlrev_b32_e32 v27, 2, v2
	v_xor_b32_e32 v2, 2, v22
	v_cmp_lt_i32_e32 vcc, v2, v23
	v_cndmask_b32_e32 v2, v22, v2, vcc
	v_lshlrev_b32_e32 v29, 2, v2
	v_xor_b32_e32 v2, 1, v22
	v_add_co_u32_e64 v13, s[4:5], v4, v1
	v_cmp_lt_i32_e32 vcc, v2, v23
	v_addc_co_u32_e64 v14, s[4:5], 0, v5, s[4:5]
	v_mul_u32_u24_e32 v9, 48, v1
	v_cndmask_b32_e32 v2, v22, v2, vcc
	v_cmp_eq_u32_e32 vcc, 0, v1
	s_sub_i32 s40, 1, s30
	v_lshlrev_b32_e32 v1, 2, v3
	s_lshl_b64 s[4:5], s[26:27], 2
	v_lshl_or_b32 v1, v25, 5, v1
	s_add_u32 s4, s24, s4
	v_add_u32_e32 v32, 0x190, v1
	v_and_b32_e32 v1, 60, v21
	s_addc_u32 s5, s25, s5
	v_lshlrev_b32_e32 v30, 2, v2
	v_mov_b32_e32 v2, s5
	v_add_co_u32_e64 v15, s[4:5], s4, v1
	s_load_dword s39, s[16:17], 0x0
	v_lshl_or_b32 v31, v25, 3, v3
	v_addc_co_u32_e64 v16, s[4:5], 0, v2, s[4:5]
	ds_read_b128 v[1:4], v9
	ds_read_b128 v[5:8], v9 offset:16
	ds_read_b128 v[9:12], v9 offset:32
	s_mov_b32 s38, s13
	v_cmp_neq_f32_e64 s[2:3], s33, 0
	v_mov_b32_e32 v26, 0xff7fffff
	s_mov_b64 s[14:15], 0
	s_movk_i32 s41, 0x80
	s_movk_i32 s42, 0x7f
	v_bfrev_b32_e32 v33, 60
	v_mov_b32_e32 v34, v25
	s_branch .LBB174_9
.LBB174_8:                              ;   in Loop: Header=BB174_9 Depth=1
	s_or_b64 exec, exec, s[16:17]
	v_add_u32_e32 v34, 2, v34
	v_cmp_le_i32_e64 s[4:5], s21, v34
	s_or_b64 s[14:15], s[4:5], s[14:15]
	v_add_co_u32_e64 v15, s[4:5], 8, v15
	v_add_u32_e32 v31, 16, v31
	v_add_u32_e32 v32, 64, v32
	v_addc_co_u32_e64 v16, s[4:5], 0, v16, s[4:5]
	s_andn2_b64 exec, exec, s[14:15]
	s_cbranch_execz .LBB174_83
.LBB174_9:                              ; =>This Inner Loop Header: Depth=1
	global_load_dword v17, v[15:16], off
	v_mov_b32_e32 v35, 0
	s_waitcnt vmcnt(0) lgkmcnt(0)
	v_mad_i64_i32 v[17:18], s[4:5], v17, s38, v[13:14]
	global_load_ubyte v36, v[17:18], off
	s_waitcnt vmcnt(0)
	v_cmp_ne_u16_e64 s[4:5], 0, v36
	s_and_saveexec_b64 s[16:17], s[4:5]
	s_cbranch_execz .LBB174_15
; %bb.10:                               ;   in Loop: Header=BB174_9 Depth=1
	v_cmp_ne_u16_e64 s[4:5], s41, v36
	v_bfrev_b32_e32 v35, 1
	s_and_saveexec_b64 s[34:35], s[4:5]
	s_cbranch_execz .LBB174_14
; %bb.11:                               ;   in Loop: Header=BB174_9 Depth=1
	v_and_b32_e32 v19, 0xffff, v36
	v_and_b32_e32 v37, 0x7f, v19
	v_cmp_ne_u32_e64 s[4:5], s42, v37
	v_mov_b32_e32 v35, 0x7f800001
	s_and_saveexec_b64 s[36:37], s[4:5]
	s_cbranch_execz .LBB174_13
; %bb.12:                               ;   in Loop: Header=BB174_9 Depth=1
	v_and_b32_e32 v35, 7, v19
	v_ffbh_u32_e32 v38, v35
	v_min_u32_e32 v41, 32, v38
	v_subrev_u32_e32 v38, 28, v41
	v_lshlrev_b64 v[38:39], v38, v[19:20]
	v_lshrrev_b32_e32 v40, 3, v37
	v_sub_u32_e32 v19, 29, v41
	v_and_b32_e32 v38, 7, v38
	v_cmp_gt_u32_e64 s[4:5], 8, v37
	v_cndmask_b32_e64 v19, v40, v19, s[4:5]
	v_cndmask_b32_e64 v35, v35, v38, s[4:5]
	v_lshlrev_b32_e32 v36, 24, v36
	v_lshlrev_b32_e32 v35, 20, v35
	v_and_b32_e32 v36, 0x80000000, v36
	v_lshl_add_u32 v19, v19, 23, v33
	v_or3_b32 v35, v36, v19, v35
.LBB174_13:                             ;   in Loop: Header=BB174_9 Depth=1
	s_or_b64 exec, exec, s[36:37]
.LBB174_14:                             ;   in Loop: Header=BB174_9 Depth=1
	s_or_b64 exec, exec, s[34:35]
.LBB174_15:                             ;   in Loop: Header=BB174_9 Depth=1
	s_or_b64 exec, exec, s[16:17]
	global_load_ubyte v38, v[17:18], off offset:8
	v_mov_b32_e32 v36, 0
	v_mov_b32_e32 v37, 0
	s_waitcnt vmcnt(0)
	v_cmp_ne_u16_e64 s[4:5], 0, v38
	s_and_saveexec_b64 s[16:17], s[4:5]
	s_cbranch_execz .LBB174_21
; %bb.16:                               ;   in Loop: Header=BB174_9 Depth=1
	v_cmp_ne_u16_e64 s[4:5], s41, v38
	v_bfrev_b32_e32 v37, 1
	s_and_saveexec_b64 s[34:35], s[4:5]
	s_cbranch_execz .LBB174_20
; %bb.17:                               ;   in Loop: Header=BB174_9 Depth=1
	v_and_b32_e32 v19, 0xffff, v38
	v_and_b32_e32 v39, 0x7f, v19
	v_cmp_ne_u32_e64 s[4:5], s42, v39
	v_mov_b32_e32 v37, 0x7f800001
	s_and_saveexec_b64 s[36:37], s[4:5]
	s_cbranch_execz .LBB174_19
; %bb.18:                               ;   in Loop: Header=BB174_9 Depth=1
	v_and_b32_e32 v37, 7, v19
	v_ffbh_u32_e32 v40, v37
	v_min_u32_e32 v43, 32, v40
	v_subrev_u32_e32 v40, 28, v43
	v_lshlrev_b64 v[40:41], v40, v[19:20]
	v_lshrrev_b32_e32 v42, 3, v39
	v_sub_u32_e32 v19, 29, v43
	v_and_b32_e32 v40, 7, v40
	v_cmp_gt_u32_e64 s[4:5], 8, v39
	v_cndmask_b32_e64 v19, v42, v19, s[4:5]
	v_cndmask_b32_e64 v37, v37, v40, s[4:5]
	v_lshlrev_b32_e32 v38, 24, v38
	v_lshlrev_b32_e32 v37, 20, v37
	v_and_b32_e32 v38, 0x80000000, v38
	v_lshl_add_u32 v19, v19, 23, v33
	v_or3_b32 v37, v38, v19, v37
.LBB174_19:                             ;   in Loop: Header=BB174_9 Depth=1
	s_or_b64 exec, exec, s[36:37]
.LBB174_20:                             ;   in Loop: Header=BB174_9 Depth=1
	s_or_b64 exec, exec, s[34:35]
.LBB174_21:                             ;   in Loop: Header=BB174_9 Depth=1
	s_or_b64 exec, exec, s[16:17]
	global_load_ubyte v38, v[17:18], off offset:128
	s_waitcnt vmcnt(0)
	v_cmp_ne_u16_e64 s[4:5], 0, v38
	s_and_saveexec_b64 s[16:17], s[4:5]
	s_cbranch_execz .LBB174_27
; %bb.22:                               ;   in Loop: Header=BB174_9 Depth=1
	v_cmp_ne_u16_e64 s[4:5], s41, v38
	v_bfrev_b32_e32 v36, 1
	s_and_saveexec_b64 s[34:35], s[4:5]
	s_cbranch_execz .LBB174_26
; %bb.23:                               ;   in Loop: Header=BB174_9 Depth=1
	v_and_b32_e32 v19, 0xffff, v38
	v_and_b32_e32 v39, 0x7f, v19
	v_cmp_ne_u32_e64 s[4:5], s42, v39
	v_mov_b32_e32 v36, 0x7f800001
	s_and_saveexec_b64 s[36:37], s[4:5]
	s_cbranch_execz .LBB174_25
; %bb.24:                               ;   in Loop: Header=BB174_9 Depth=1
	v_and_b32_e32 v36, 7, v19
	v_ffbh_u32_e32 v40, v36
	v_min_u32_e32 v43, 32, v40
	v_subrev_u32_e32 v40, 28, v43
	v_lshlrev_b64 v[40:41], v40, v[19:20]
	v_lshrrev_b32_e32 v42, 3, v39
	v_sub_u32_e32 v19, 29, v43
	v_and_b32_e32 v40, 7, v40
	v_cmp_gt_u32_e64 s[4:5], 8, v39
	v_cndmask_b32_e64 v19, v42, v19, s[4:5]
	v_cndmask_b32_e64 v36, v36, v40, s[4:5]
	v_lshlrev_b32_e32 v38, 24, v38
	v_lshlrev_b32_e32 v36, 20, v36
	v_and_b32_e32 v38, 0x80000000, v38
	v_lshl_add_u32 v19, v19, 23, v33
	v_or3_b32 v36, v38, v19, v36
.LBB174_25:                             ;   in Loop: Header=BB174_9 Depth=1
	s_or_b64 exec, exec, s[36:37]
.LBB174_26:                             ;   in Loop: Header=BB174_9 Depth=1
	s_or_b64 exec, exec, s[34:35]
.LBB174_27:                             ;   in Loop: Header=BB174_9 Depth=1
	s_or_b64 exec, exec, s[16:17]
	global_load_ubyte v40, v[17:18], off offset:136
	v_mov_b32_e32 v38, 0
	v_mov_b32_e32 v39, 0
	s_waitcnt vmcnt(0)
	v_cmp_ne_u16_e64 s[4:5], 0, v40
	s_and_saveexec_b64 s[16:17], s[4:5]
	s_cbranch_execz .LBB174_33
; %bb.28:                               ;   in Loop: Header=BB174_9 Depth=1
	v_cmp_ne_u16_e64 s[4:5], s41, v40
	v_bfrev_b32_e32 v39, 1
	s_and_saveexec_b64 s[34:35], s[4:5]
	s_cbranch_execz .LBB174_32
; %bb.29:                               ;   in Loop: Header=BB174_9 Depth=1
	v_and_b32_e32 v19, 0xffff, v40
	v_and_b32_e32 v41, 0x7f, v19
	v_cmp_ne_u32_e64 s[4:5], s42, v41
	v_mov_b32_e32 v39, 0x7f800001
	s_and_saveexec_b64 s[36:37], s[4:5]
	s_cbranch_execz .LBB174_31
; %bb.30:                               ;   in Loop: Header=BB174_9 Depth=1
	v_and_b32_e32 v39, 7, v19
	v_ffbh_u32_e32 v42, v39
	v_min_u32_e32 v45, 32, v42
	v_subrev_u32_e32 v42, 28, v45
	v_lshlrev_b64 v[42:43], v42, v[19:20]
	v_lshrrev_b32_e32 v44, 3, v41
	v_sub_u32_e32 v19, 29, v45
	v_and_b32_e32 v42, 7, v42
	v_cmp_gt_u32_e64 s[4:5], 8, v41
	v_cndmask_b32_e64 v19, v44, v19, s[4:5]
	v_cndmask_b32_e64 v39, v39, v42, s[4:5]
	v_lshlrev_b32_e32 v40, 24, v40
	v_lshlrev_b32_e32 v39, 20, v39
	v_and_b32_e32 v40, 0x80000000, v40
	v_lshl_add_u32 v19, v19, 23, v33
	v_or3_b32 v39, v40, v19, v39
.LBB174_31:                             ;   in Loop: Header=BB174_9 Depth=1
	s_or_b64 exec, exec, s[36:37]
.LBB174_32:                             ;   in Loop: Header=BB174_9 Depth=1
	s_or_b64 exec, exec, s[34:35]
.LBB174_33:                             ;   in Loop: Header=BB174_9 Depth=1
	s_or_b64 exec, exec, s[16:17]
	global_load_ubyte v40, v[17:18], off offset:256
	s_waitcnt vmcnt(0)
	v_cmp_ne_u16_e64 s[4:5], 0, v40
	s_and_saveexec_b64 s[16:17], s[4:5]
	s_cbranch_execz .LBB174_39
; %bb.34:                               ;   in Loop: Header=BB174_9 Depth=1
	v_cmp_ne_u16_e64 s[4:5], s41, v40
	v_bfrev_b32_e32 v38, 1
	s_and_saveexec_b64 s[34:35], s[4:5]
	s_cbranch_execz .LBB174_38
; %bb.35:                               ;   in Loop: Header=BB174_9 Depth=1
	v_and_b32_e32 v19, 0xffff, v40
	v_and_b32_e32 v41, 0x7f, v19
	v_cmp_ne_u32_e64 s[4:5], s42, v41
	v_mov_b32_e32 v38, 0x7f800001
	s_and_saveexec_b64 s[36:37], s[4:5]
	s_cbranch_execz .LBB174_37
; %bb.36:                               ;   in Loop: Header=BB174_9 Depth=1
	v_and_b32_e32 v38, 7, v19
	v_ffbh_u32_e32 v42, v38
	v_min_u32_e32 v45, 32, v42
	v_subrev_u32_e32 v42, 28, v45
	v_lshlrev_b64 v[42:43], v42, v[19:20]
	v_lshrrev_b32_e32 v44, 3, v41
	v_sub_u32_e32 v19, 29, v45
	v_and_b32_e32 v42, 7, v42
	v_cmp_gt_u32_e64 s[4:5], 8, v41
	v_cndmask_b32_e64 v19, v44, v19, s[4:5]
	v_cndmask_b32_e64 v38, v38, v42, s[4:5]
	v_lshlrev_b32_e32 v40, 24, v40
	v_lshlrev_b32_e32 v38, 20, v38
	v_and_b32_e32 v40, 0x80000000, v40
	v_lshl_add_u32 v19, v19, 23, v33
	v_or3_b32 v38, v40, v19, v38
.LBB174_37:                             ;   in Loop: Header=BB174_9 Depth=1
	s_or_b64 exec, exec, s[36:37]
.LBB174_38:                             ;   in Loop: Header=BB174_9 Depth=1
	s_or_b64 exec, exec, s[34:35]
.LBB174_39:                             ;   in Loop: Header=BB174_9 Depth=1
	s_or_b64 exec, exec, s[16:17]
	global_load_ubyte v42, v[17:18], off offset:264
	v_mov_b32_e32 v40, 0
	v_mov_b32_e32 v41, 0
	s_waitcnt vmcnt(0)
	v_cmp_ne_u16_e64 s[4:5], 0, v42
	s_and_saveexec_b64 s[16:17], s[4:5]
	s_cbranch_execz .LBB174_45
; %bb.40:                               ;   in Loop: Header=BB174_9 Depth=1
	v_cmp_ne_u16_e64 s[4:5], s41, v42
	v_bfrev_b32_e32 v41, 1
	s_and_saveexec_b64 s[34:35], s[4:5]
	s_cbranch_execz .LBB174_44
; %bb.41:                               ;   in Loop: Header=BB174_9 Depth=1
	v_and_b32_e32 v19, 0xffff, v42
	v_and_b32_e32 v43, 0x7f, v19
	v_cmp_ne_u32_e64 s[4:5], s42, v43
	v_mov_b32_e32 v41, 0x7f800001
	s_and_saveexec_b64 s[36:37], s[4:5]
	s_cbranch_execz .LBB174_43
; %bb.42:                               ;   in Loop: Header=BB174_9 Depth=1
	v_and_b32_e32 v41, 7, v19
	v_ffbh_u32_e32 v44, v41
	v_min_u32_e32 v47, 32, v44
	v_subrev_u32_e32 v44, 28, v47
	v_lshlrev_b64 v[44:45], v44, v[19:20]
	v_lshrrev_b32_e32 v46, 3, v43
	v_sub_u32_e32 v19, 29, v47
	v_and_b32_e32 v44, 7, v44
	v_cmp_gt_u32_e64 s[4:5], 8, v43
	v_cndmask_b32_e64 v19, v46, v19, s[4:5]
	v_cndmask_b32_e64 v41, v41, v44, s[4:5]
	v_lshlrev_b32_e32 v42, 24, v42
	v_lshlrev_b32_e32 v41, 20, v41
	v_and_b32_e32 v42, 0x80000000, v42
	v_lshl_add_u32 v19, v19, 23, v33
	v_or3_b32 v41, v42, v19, v41
.LBB174_43:                             ;   in Loop: Header=BB174_9 Depth=1
	s_or_b64 exec, exec, s[36:37]
.LBB174_44:                             ;   in Loop: Header=BB174_9 Depth=1
	s_or_b64 exec, exec, s[34:35]
.LBB174_45:                             ;   in Loop: Header=BB174_9 Depth=1
	s_or_b64 exec, exec, s[16:17]
	global_load_ubyte v42, v[17:18], off offset:384
	s_waitcnt vmcnt(0)
	v_cmp_ne_u16_e64 s[4:5], 0, v42
	s_and_saveexec_b64 s[16:17], s[4:5]
	s_cbranch_execz .LBB174_51
; %bb.46:                               ;   in Loop: Header=BB174_9 Depth=1
	v_cmp_ne_u16_e64 s[4:5], s41, v42
	v_bfrev_b32_e32 v40, 1
	s_and_saveexec_b64 s[34:35], s[4:5]
	s_cbranch_execz .LBB174_50
; %bb.47:                               ;   in Loop: Header=BB174_9 Depth=1
	v_and_b32_e32 v19, 0xffff, v42
	v_and_b32_e32 v43, 0x7f, v19
	v_cmp_ne_u32_e64 s[4:5], s42, v43
	v_mov_b32_e32 v40, 0x7f800001
	s_and_saveexec_b64 s[36:37], s[4:5]
	s_cbranch_execz .LBB174_49
; %bb.48:                               ;   in Loop: Header=BB174_9 Depth=1
	v_and_b32_e32 v40, 7, v19
	v_ffbh_u32_e32 v44, v40
	v_min_u32_e32 v47, 32, v44
	v_subrev_u32_e32 v44, 28, v47
	v_lshlrev_b64 v[44:45], v44, v[19:20]
	v_lshrrev_b32_e32 v46, 3, v43
	v_sub_u32_e32 v19, 29, v47
	v_and_b32_e32 v44, 7, v44
	v_cmp_gt_u32_e64 s[4:5], 8, v43
	v_cndmask_b32_e64 v19, v46, v19, s[4:5]
	v_cndmask_b32_e64 v40, v40, v44, s[4:5]
	v_lshlrev_b32_e32 v42, 24, v42
	v_lshlrev_b32_e32 v40, 20, v40
	v_and_b32_e32 v42, 0x80000000, v42
	v_lshl_add_u32 v19, v19, 23, v33
	v_or3_b32 v40, v42, v19, v40
.LBB174_49:                             ;   in Loop: Header=BB174_9 Depth=1
	s_or_b64 exec, exec, s[36:37]
.LBB174_50:                             ;   in Loop: Header=BB174_9 Depth=1
	s_or_b64 exec, exec, s[34:35]
.LBB174_51:                             ;   in Loop: Header=BB174_9 Depth=1
	s_or_b64 exec, exec, s[16:17]
	global_load_ubyte v44, v[17:18], off offset:392
	v_mov_b32_e32 v42, 0
	v_mov_b32_e32 v43, 0
	s_waitcnt vmcnt(0)
	v_cmp_ne_u16_e64 s[4:5], 0, v44
	s_and_saveexec_b64 s[16:17], s[4:5]
	s_cbranch_execz .LBB174_57
; %bb.52:                               ;   in Loop: Header=BB174_9 Depth=1
	v_cmp_ne_u16_e64 s[4:5], s41, v44
	v_bfrev_b32_e32 v43, 1
	s_and_saveexec_b64 s[34:35], s[4:5]
	s_cbranch_execz .LBB174_56
; %bb.53:                               ;   in Loop: Header=BB174_9 Depth=1
	v_and_b32_e32 v19, 0xffff, v44
	v_and_b32_e32 v45, 0x7f, v19
	v_cmp_ne_u32_e64 s[4:5], s42, v45
	v_mov_b32_e32 v43, 0x7f800001
	s_and_saveexec_b64 s[36:37], s[4:5]
	s_cbranch_execz .LBB174_55
; %bb.54:                               ;   in Loop: Header=BB174_9 Depth=1
	v_and_b32_e32 v43, 7, v19
	v_ffbh_u32_e32 v46, v43
	v_min_u32_e32 v49, 32, v46
	v_subrev_u32_e32 v46, 28, v49
	v_lshlrev_b64 v[46:47], v46, v[19:20]
	v_lshrrev_b32_e32 v48, 3, v45
	v_sub_u32_e32 v19, 29, v49
	v_and_b32_e32 v46, 7, v46
	v_cmp_gt_u32_e64 s[4:5], 8, v45
	v_cndmask_b32_e64 v19, v48, v19, s[4:5]
	v_cndmask_b32_e64 v43, v43, v46, s[4:5]
	v_lshlrev_b32_e32 v44, 24, v44
	v_lshlrev_b32_e32 v43, 20, v43
	v_and_b32_e32 v44, 0x80000000, v44
	v_lshl_add_u32 v19, v19, 23, v33
	v_or3_b32 v43, v44, v19, v43
.LBB174_55:                             ;   in Loop: Header=BB174_9 Depth=1
	s_or_b64 exec, exec, s[36:37]
.LBB174_56:                             ;   in Loop: Header=BB174_9 Depth=1
	s_or_b64 exec, exec, s[34:35]
.LBB174_57:                             ;   in Loop: Header=BB174_9 Depth=1
	s_or_b64 exec, exec, s[16:17]
	global_load_ubyte v44, v[17:18], off offset:512
	s_waitcnt vmcnt(0)
	v_cmp_ne_u16_e64 s[4:5], 0, v44
	s_and_saveexec_b64 s[16:17], s[4:5]
	s_cbranch_execz .LBB174_63
; %bb.58:                               ;   in Loop: Header=BB174_9 Depth=1
	v_cmp_ne_u16_e64 s[4:5], s41, v44
	v_bfrev_b32_e32 v42, 1
	s_and_saveexec_b64 s[34:35], s[4:5]
	s_cbranch_execz .LBB174_62
; %bb.59:                               ;   in Loop: Header=BB174_9 Depth=1
	v_and_b32_e32 v19, 0xffff, v44
	v_and_b32_e32 v45, 0x7f, v19
	v_cmp_ne_u32_e64 s[4:5], s42, v45
	v_mov_b32_e32 v42, 0x7f800001
	s_and_saveexec_b64 s[36:37], s[4:5]
	s_cbranch_execz .LBB174_61
; %bb.60:                               ;   in Loop: Header=BB174_9 Depth=1
	v_and_b32_e32 v42, 7, v19
	v_ffbh_u32_e32 v46, v42
	v_min_u32_e32 v49, 32, v46
	v_subrev_u32_e32 v46, 28, v49
	v_lshlrev_b64 v[46:47], v46, v[19:20]
	v_lshrrev_b32_e32 v48, 3, v45
	v_sub_u32_e32 v19, 29, v49
	v_and_b32_e32 v46, 7, v46
	v_cmp_gt_u32_e64 s[4:5], 8, v45
	v_cndmask_b32_e64 v19, v48, v19, s[4:5]
	v_cndmask_b32_e64 v42, v42, v46, s[4:5]
	v_lshlrev_b32_e32 v44, 24, v44
	v_lshlrev_b32_e32 v42, 20, v42
	v_and_b32_e32 v44, 0x80000000, v44
	v_lshl_add_u32 v19, v19, 23, v33
	v_or3_b32 v42, v44, v19, v42
.LBB174_61:                             ;   in Loop: Header=BB174_9 Depth=1
	s_or_b64 exec, exec, s[36:37]
.LBB174_62:                             ;   in Loop: Header=BB174_9 Depth=1
	s_or_b64 exec, exec, s[34:35]
.LBB174_63:                             ;   in Loop: Header=BB174_9 Depth=1
	s_or_b64 exec, exec, s[16:17]
	global_load_ubyte v46, v[17:18], off offset:520
	v_mov_b32_e32 v44, 0
	v_mov_b32_e32 v45, 0
	s_waitcnt vmcnt(0)
	v_cmp_ne_u16_e64 s[4:5], 0, v46
	s_and_saveexec_b64 s[16:17], s[4:5]
	s_cbranch_execz .LBB174_69
; %bb.64:                               ;   in Loop: Header=BB174_9 Depth=1
	v_cmp_ne_u16_e64 s[4:5], s41, v46
	v_bfrev_b32_e32 v45, 1
	s_and_saveexec_b64 s[34:35], s[4:5]
	s_cbranch_execz .LBB174_68
; %bb.65:                               ;   in Loop: Header=BB174_9 Depth=1
	v_and_b32_e32 v19, 0xffff, v46
	v_and_b32_e32 v47, 0x7f, v19
	v_cmp_ne_u32_e64 s[4:5], s42, v47
	v_mov_b32_e32 v45, 0x7f800001
	s_and_saveexec_b64 s[36:37], s[4:5]
	s_cbranch_execz .LBB174_67
; %bb.66:                               ;   in Loop: Header=BB174_9 Depth=1
	v_and_b32_e32 v45, 7, v19
	v_ffbh_u32_e32 v48, v45
	v_min_u32_e32 v51, 32, v48
	v_subrev_u32_e32 v48, 28, v51
	v_lshlrev_b64 v[48:49], v48, v[19:20]
	v_lshrrev_b32_e32 v50, 3, v47
	v_sub_u32_e32 v19, 29, v51
	v_and_b32_e32 v48, 7, v48
	v_cmp_gt_u32_e64 s[4:5], 8, v47
	v_cndmask_b32_e64 v19, v50, v19, s[4:5]
	v_cndmask_b32_e64 v45, v45, v48, s[4:5]
	v_lshlrev_b32_e32 v46, 24, v46
	v_lshlrev_b32_e32 v45, 20, v45
	v_and_b32_e32 v46, 0x80000000, v46
	v_lshl_add_u32 v19, v19, 23, v33
	v_or3_b32 v45, v46, v19, v45
.LBB174_67:                             ;   in Loop: Header=BB174_9 Depth=1
	s_or_b64 exec, exec, s[36:37]
.LBB174_68:                             ;   in Loop: Header=BB174_9 Depth=1
	s_or_b64 exec, exec, s[34:35]
.LBB174_69:                             ;   in Loop: Header=BB174_9 Depth=1
	s_or_b64 exec, exec, s[16:17]
	global_load_ubyte v46, v[17:18], off offset:640
	s_waitcnt vmcnt(0)
	v_cmp_ne_u16_e64 s[4:5], 0, v46
	s_and_saveexec_b64 s[16:17], s[4:5]
	s_cbranch_execz .LBB174_75
; %bb.70:                               ;   in Loop: Header=BB174_9 Depth=1
	v_cmp_ne_u16_e64 s[4:5], s41, v46
	v_bfrev_b32_e32 v44, 1
	s_and_saveexec_b64 s[34:35], s[4:5]
	s_cbranch_execz .LBB174_74
; %bb.71:                               ;   in Loop: Header=BB174_9 Depth=1
	v_and_b32_e32 v19, 0xffff, v46
	v_and_b32_e32 v47, 0x7f, v19
	v_cmp_ne_u32_e64 s[4:5], s42, v47
	v_mov_b32_e32 v44, 0x7f800001
	s_and_saveexec_b64 s[36:37], s[4:5]
	s_cbranch_execz .LBB174_73
; %bb.72:                               ;   in Loop: Header=BB174_9 Depth=1
	v_and_b32_e32 v44, 7, v19
	v_ffbh_u32_e32 v48, v44
	v_min_u32_e32 v51, 32, v48
	v_subrev_u32_e32 v48, 28, v51
	v_lshlrev_b64 v[48:49], v48, v[19:20]
	v_lshrrev_b32_e32 v50, 3, v47
	v_sub_u32_e32 v19, 29, v51
	v_and_b32_e32 v48, 7, v48
	v_cmp_gt_u32_e64 s[4:5], 8, v47
	v_cndmask_b32_e64 v19, v50, v19, s[4:5]
	v_cndmask_b32_e64 v44, v44, v48, s[4:5]
	v_lshlrev_b32_e32 v46, 24, v46
	v_lshlrev_b32_e32 v44, 20, v44
	v_and_b32_e32 v46, 0x80000000, v46
	v_lshl_add_u32 v19, v19, 23, v33
	v_or3_b32 v44, v46, v19, v44
.LBB174_73:                             ;   in Loop: Header=BB174_9 Depth=1
	s_or_b64 exec, exec, s[36:37]
.LBB174_74:                             ;   in Loop: Header=BB174_9 Depth=1
	s_or_b64 exec, exec, s[34:35]
.LBB174_75:                             ;   in Loop: Header=BB174_9 Depth=1
	s_or_b64 exec, exec, s[16:17]
	global_load_ubyte v19, v[17:18], off offset:648
	v_mov_b32_e32 v18, 0
	s_waitcnt vmcnt(0)
	v_cmp_ne_u16_e64 s[4:5], 0, v19
	s_and_saveexec_b64 s[16:17], s[4:5]
	s_cbranch_execz .LBB174_81
; %bb.76:                               ;   in Loop: Header=BB174_9 Depth=1
	v_cmp_ne_u16_e64 s[4:5], s41, v19
	v_bfrev_b32_e32 v18, 1
	s_and_saveexec_b64 s[34:35], s[4:5]
	s_cbranch_execz .LBB174_80
; %bb.77:                               ;   in Loop: Header=BB174_9 Depth=1
	v_and_b32_e32 v17, 0xffff, v19
	v_and_b32_e32 v46, 0x7f, v17
	v_cmp_ne_u32_e64 s[4:5], s42, v46
	v_mov_b32_e32 v18, 0x7f800001
	s_and_saveexec_b64 s[36:37], s[4:5]
	s_cbranch_execz .LBB174_79
; %bb.78:                               ;   in Loop: Header=BB174_9 Depth=1
	v_and_b32_e32 v47, 7, v17
	v_ffbh_u32_e32 v18, v47
	v_min_u32_e32 v49, 32, v18
	v_subrev_u32_e32 v18, 28, v49
	v_lshlrev_b64 v[17:18], v18, v[17:18]
	v_lshrrev_b32_e32 v48, 3, v46
	v_sub_u32_e32 v18, 29, v49
	v_and_b32_e32 v17, 7, v17
	v_cmp_gt_u32_e64 s[4:5], 8, v46
	v_cndmask_b32_e64 v18, v48, v18, s[4:5]
	v_cndmask_b32_e64 v17, v47, v17, s[4:5]
	v_lshlrev_b32_e32 v19, 24, v19
	v_lshlrev_b32_e32 v17, 20, v17
	v_and_b32_e32 v19, 0x80000000, v19
	v_lshl_add_u32 v18, v18, 23, v33
	v_or3_b32 v18, v19, v18, v17
.LBB174_79:                             ;   in Loop: Header=BB174_9 Depth=1
	s_or_b64 exec, exec, s[36:37]
.LBB174_80:                             ;   in Loop: Header=BB174_9 Depth=1
	s_or_b64 exec, exec, s[34:35]
.LBB174_81:                             ;   in Loop: Header=BB174_9 Depth=1
	s_or_b64 exec, exec, s[16:17]
	s_waitcnt lgkmcnt(0)
	v_mul_f32_e32 v37, s39, v37
	v_mul_f32_e32 v35, s39, v35
	;; [unrolled: 1-line block ×4, first 2 shown]
	v_fmac_f32_e32 v37, v1, v35
	v_mul_f32_e32 v39, s39, v39
	v_fmac_f32_e32 v37, v3, v36
	v_mul_f32_e32 v38, s39, v38
	;; [unrolled: 2-line block ×9, first 2 shown]
	v_fmac_f32_e32 v37, v11, v17
	v_fmac_f32_e32 v37, v12, v18
	ds_bpermute_b32 v17, v27, v37
	s_waitcnt lgkmcnt(0)
	v_add_f32_e32 v17, v37, v17
	ds_bpermute_b32 v18, v29, v17
	s_waitcnt lgkmcnt(0)
	v_add_f32_e32 v17, v17, v18
	ds_bpermute_b32 v18, v30, v17
	s_and_saveexec_b64 s[16:17], vcc
	s_cbranch_execz .LBB174_8
; %bb.82:                               ;   in Loop: Header=BB174_9 Depth=1
	v_add_u32_e32 v19, s40, v31
	v_cvt_f32_i32_e32 v19, v19
	s_waitcnt lgkmcnt(0)
	v_add_f32_e32 v17, v17, v18
	v_cmp_gt_i32_e64 s[4:5], s30, v31
	v_max_f32_e32 v18, v26, v26
	v_mul_f32_e32 v19, s33, v19
	v_cndmask_b32_e64 v19, 0, v19, s[2:3]
	v_fmac_f32_e32 v19, s31, v17
	v_cndmask_b32_e64 v17, 0, v19, s[4:5]
	ds_write_b32 v32, v17
	v_max_f32_e32 v17, v18, v19
	v_cndmask_b32_e64 v26, v26, v17, s[4:5]
	s_branch .LBB174_8
.LBB174_83:
	s_or_b64 exec, exec, s[14:15]
.LBB174_84:
	s_or_b64 exec, exec, s[6:7]
	v_xor_b32_e32 v1, 32, v22
	v_cmp_lt_i32_e32 vcc, v1, v23
	v_cndmask_b32_e32 v1, v22, v1, vcc
	v_lshlrev_b32_e32 v2, 2, v1
	ds_bpermute_b32 v1, v2, v26
	v_xor_b32_e32 v4, 16, v22
	v_max_f32_e32 v3, v26, v26
	v_cmp_lt_i32_e32 vcc, v4, v23
	v_xor_b32_e32 v5, 8, v22
	s_waitcnt lgkmcnt(0)
	v_max_f32_e32 v1, v1, v1
	v_max_f32_e32 v1, v3, v1
	v_cndmask_b32_e32 v3, v22, v4, vcc
	v_lshlrev_b32_e32 v4, 2, v3
	ds_bpermute_b32 v3, v4, v1
	v_cmp_lt_i32_e32 vcc, v5, v23
	v_and_b32_e32 v26, 63, v0
	s_waitcnt lgkmcnt(0)
	v_max_f32_e32 v3, v3, v3
	v_max_f32_e32 v3, v1, v3
	v_cndmask_b32_e32 v1, v22, v5, vcc
	v_lshlrev_b32_e32 v5, 2, v1
	ds_bpermute_b32 v6, v5, v3
	v_cmp_eq_u32_e32 vcc, 0, v26
	v_lshlrev_b32_e32 v1, 2, v25
	s_and_saveexec_b64 s[2:3], vcc
	s_cbranch_execz .LBB174_86
; %bb.85:
	s_waitcnt lgkmcnt(0)
	v_max_f32_e32 v6, v6, v6
	v_max_f32_e32 v3, v3, v3
	;; [unrolled: 1-line block ×3, first 2 shown]
	ds_write_b32 v1, v3 offset:384
.LBB174_86:
	s_or_b64 exec, exec, s[2:3]
	v_cmp_gt_u32_e64 s[2:3], 2, v26
	s_waitcnt lgkmcnt(0)
	v_mov_b32_e32 v6, 0xff7fffff
	v_lshlrev_b32_e32 v3, 2, v26
	s_barrier
	s_and_saveexec_b64 s[4:5], s[2:3]
; %bb.87:
	ds_read_b32 v6, v3 offset:384
; %bb.88:
	s_or_b64 exec, exec, s[4:5]
	v_xor_b32_e32 v7, 1, v22
	v_cmp_lt_i32_e64 s[4:5], v7, v23
	v_cndmask_b32_e64 v7, v22, v7, s[4:5]
	v_lshlrev_b32_e32 v27, 2, v7
	s_waitcnt lgkmcnt(0)
	ds_bpermute_b32 v7, v27, v6
	v_max_f32_e32 v6, v6, v6
	s_lshl_b32 s4, s21, 3
	s_min_i32 s31, s4, s30
	v_cmp_gt_i32_e64 s[4:5], s31, v0
	s_waitcnt lgkmcnt(0)
	v_max_f32_e32 v7, v7, v7
	v_max_f32_e32 v6, v6, v7
	v_lshlrev_b32_e32 v7, 2, v28
	ds_bpermute_b32 v7, v7, v6
	v_mov_b32_e32 v6, 0
	s_and_saveexec_b64 s[14:15], s[4:5]
	s_cbranch_execz .LBB174_92
; %bb.89:
	v_mov_b32_e32 v6, 0x190
	v_lshl_add_u32 v8, v0, 2, v6
	v_mov_b32_e32 v6, 0
	s_mov_b64 s[16:17], 0
	v_mov_b32_e32 v9, v0
.LBB174_90:                             ; =>This Inner Loop Header: Depth=1
	ds_read_b32 v10, v8
	v_add_u32_e32 v9, 0x80, v9
	v_cmp_le_i32_e64 s[6:7], s31, v9
	s_or_b64 s[16:17], s[6:7], s[16:17]
	s_waitcnt lgkmcnt(0)
	v_sub_f32_e32 v10, v10, v7
	v_mul_f32_e32 v10, 0x3fb8aa3b, v10
	v_exp_f32_e32 v10, v10
	ds_write_b32 v8, v10
	v_add_f32_e32 v6, v6, v10
	v_add_u32_e32 v8, 0x200, v8
	s_andn2_b64 exec, exec, s[16:17]
	s_cbranch_execnz .LBB174_90
; %bb.91:
	s_or_b64 exec, exec, s[16:17]
.LBB174_92:
	s_or_b64 exec, exec, s[14:15]
	ds_bpermute_b32 v2, v2, v6
	s_waitcnt lgkmcnt(0)
	v_add_f32_e32 v2, v6, v2
	ds_bpermute_b32 v4, v4, v2
	s_waitcnt lgkmcnt(0)
	v_add_f32_e32 v2, v2, v4
	ds_bpermute_b32 v4, v5, v2
	v_xor_b32_e32 v5, 4, v22
	v_cmp_lt_i32_e64 s[6:7], v5, v23
	v_cndmask_b32_e64 v5, v22, v5, s[6:7]
	v_lshlrev_b32_e32 v5, 2, v5
	s_waitcnt lgkmcnt(0)
	v_add_f32_e32 v2, v2, v4
	ds_bpermute_b32 v4, v5, v2
	v_xor_b32_e32 v5, 2, v22
	v_cmp_lt_i32_e64 s[6:7], v5, v23
	v_cndmask_b32_e64 v5, v22, v5, s[6:7]
	s_waitcnt lgkmcnt(0)
	v_add_f32_e32 v2, v2, v4
	v_lshlrev_b32_e32 v4, 2, v5
	ds_bpermute_b32 v4, v4, v2
	s_waitcnt lgkmcnt(0)
	v_add_f32_e32 v2, v2, v4
	ds_bpermute_b32 v4, v27, v2
	s_waitcnt lgkmcnt(0)
	v_add_f32_e32 v2, v2, v4
	s_and_saveexec_b64 s[6:7], vcc
; %bb.93:
	ds_write_b32 v1, v2 offset:392
; %bb.94:
	s_or_b64 exec, exec, s[6:7]
	s_waitcnt lgkmcnt(0)
	s_barrier
	s_and_saveexec_b64 s[6:7], s[2:3]
; %bb.95:
	ds_read_b32 v2, v3 offset:392
; %bb.96:
	s_or_b64 exec, exec, s[6:7]
	s_waitcnt lgkmcnt(0)
	ds_bpermute_b32 v1, v27, v2
	v_lshlrev_b32_e32 v3, 2, v22
	s_waitcnt lgkmcnt(0)
	v_add_f32_e32 v1, v2, v1
	v_and_b32_e32 v2, 0xffffff00, v3
	ds_bpermute_b32 v1, v2, v1
	s_and_saveexec_b64 s[2:3], s[4:5]
	s_cbranch_execz .LBB174_99
; %bb.97:
	s_waitcnt lgkmcnt(0)
	v_add_f32_e32 v2, 0x358637bd, v1
	v_div_scale_f32 v1, s[4:5], v2, v2, 1.0
	v_div_scale_f32 v3, vcc, 1.0, v2, 1.0
	s_mov_b64 s[4:5], 0
	v_rcp_f32_e32 v4, v1
	v_fma_f32 v5, -v1, v4, 1.0
	v_fmac_f32_e32 v4, v5, v4
	v_mul_f32_e32 v5, v3, v4
	v_fma_f32 v6, -v1, v5, v3
	v_fmac_f32_e32 v5, v6, v4
	v_fma_f32 v1, -v1, v5, v3
	v_div_fmas_f32 v3, v1, v4, v5
	v_mov_b32_e32 v1, 0x190
	v_lshl_add_u32 v1, v0, 2, v1
	v_div_fixup_f32 v2, v3, v2, 1.0
	v_mov_b32_e32 v3, v0
.LBB174_98:                             ; =>This Inner Loop Header: Depth=1
	ds_read_b32 v4, v1
	v_add_u32_e32 v3, 0x80, v3
	v_cmp_le_i32_e32 vcc, s31, v3
	s_or_b64 s[4:5], vcc, s[4:5]
	s_waitcnt lgkmcnt(0)
	v_mul_f32_e32 v4, v2, v4
	ds_write_b32 v1, v4
	v_add_u32_e32 v1, 0x200, v1
	s_andn2_b64 exec, exec, s[4:5]
	s_cbranch_execnz .LBB174_98
.LBB174_99:
	s_or_b64 exec, exec, s[2:3]
	v_mov_b32_e32 v30, 0
	v_and_b32_e32 v28, 1, v0
	v_mov_b32_e32 v32, 0
	v_mov_b32_e32 v31, 0
	s_waitcnt lgkmcnt(0)
	s_barrier
	s_and_saveexec_b64 s[2:3], s[0:1]
	s_cbranch_execz .LBB174_181
; %bb.100:
	s_ashr_i32 s0, s12, 31
	s_add_u32 s1, s28, s12
	v_and_b32_e32 v2, 0xfc, v20
	v_and_b32_e32 v1, 4, v20
	s_load_dword s17, s[18:19], 0x0
	s_addc_u32 s0, s29, s0
	v_add_co_u32_e32 v7, vcc, s1, v2
	v_lshlrev_b32_e32 v2, 3, v25
	s_add_i32 s19, s21, -1
	v_mov_b32_e32 v3, s0
	v_or3_b32 v29, v2, v1, 3
	v_lshlrev_b32_e32 v1, 4, v28
	s_lshl_b64 s[0:1], s[26:27], 2
	v_lshl_or_b32 v1, v25, 5, v1
	s_add_u32 s0, s24, s0
	v_addc_co_u32_e32 v8, vcc, 0, v3, vcc
	v_add_u32_e32 v33, 0x190, v1
	v_and_b32_e32 v1, 60, v21
	s_addc_u32 s1, s25, s1
	v_mov_b32_e32 v5, 0
	v_mov_b32_e32 v2, s1
	v_add_co_u32_e32 v9, vcc, s0, v1
	s_mov_b32 s16, s13
	s_waitcnt lgkmcnt(0)
	s_mov_b32 s18, s17
	v_addc_co_u32_e32 v10, vcc, 0, v2, vcc
	s_mov_b64 s[4:5], 0
	s_movk_i32 s24, 0x80
	s_movk_i32 s25, 0x7f
	s_brev_b32 s26, 1
	s_mov_b32 s27, 0xffffff
	v_bfrev_b32_e32 v34, 60
	v_bfrev_b32_e32 v6, 1
	v_mov_b32_e32 v12, 0x7f800001
	v_mov_b32_e32 v35, 7
	;; [unrolled: 1-line block ×6, first 2 shown]
	s_branch .LBB174_102
.LBB174_101:                            ;   in Loop: Header=BB174_102 Depth=1
	s_or_b64 exec, exec, s[0:1]
	s_waitcnt lgkmcnt(0)
	v_mul_f32_e32 v16, v1, v45
	v_fmac_f32_e32 v16, v2, v44
	v_fmac_f32_e32 v16, v3, v23
	;; [unrolled: 1-line block ×3, first 2 shown]
	v_add_f32_e32 v32, v32, v16
	v_mul_f32_e32 v16, v1, v40
	v_mul_f32_e32 v1, v1, v15
	v_fmac_f32_e32 v16, v2, v37
	v_fmac_f32_e32 v1, v2, v11
	v_add_u32_e32 v25, 2, v25
	v_fmac_f32_e32 v16, v3, v39
	v_fmac_f32_e32 v1, v3, v14
	v_cmp_le_i32_e32 vcc, s21, v25
	v_fmac_f32_e32 v16, v4, v38
	v_fmac_f32_e32 v1, v4, v13
	s_or_b64 s[4:5], vcc, s[4:5]
	v_add_co_u32_e32 v9, vcc, 8, v9
	v_add_f32_e32 v30, v30, v16
	v_add_f32_e32 v31, v31, v1
	v_add_u32_e32 v29, 16, v29
	v_add_u32_e32 v33, 64, v33
	v_addc_co_u32_e32 v10, vcc, 0, v10, vcc
	s_andn2_b64 exec, exec, s[4:5]
	s_cbranch_execz .LBB174_180
.LBB174_102:                            ; =>This Inner Loop Header: Depth=1
	global_load_dword v1, v[9:10], off
	v_mov_b32_e32 v18, 0
	v_mov_b32_e32 v16, 0
	;; [unrolled: 1-line block ×4, first 2 shown]
	s_waitcnt vmcnt(0)
	v_mad_i64_i32 v[13:14], s[0:1], v1, s16, v[7:8]
	ds_read_b128 v[1:4], v33
	global_load_dword v15, v[13:14], off
	s_waitcnt vmcnt(0)
	v_cmp_ne_u16_sdwa s[6:7], v15, v5 src0_sel:BYTE_0 src1_sel:DWORD
	s_and_saveexec_b64 s[0:1], s[6:7]
	s_cbranch_execz .LBB174_108
; %bb.103:                              ;   in Loop: Header=BB174_102 Depth=1
	v_bfrev_b32_e32 v16, 1
	v_mov_b32_e32 v17, 0
	v_cmp_ne_u16_sdwa s[12:13], v15, s24 src0_sel:BYTE_0 src1_sel:DWORD
	s_and_saveexec_b64 s[6:7], s[12:13]
	s_cbranch_execz .LBB174_107
; %bb.104:                              ;   in Loop: Header=BB174_102 Depth=1
	v_and_b32_e32 v11, 0x7f, v15
	v_mov_b32_e32 v16, 0x7f800001
	v_mov_b32_e32 v17, 0
	v_cmp_ne_u32_e32 vcc, s25, v11
	s_and_saveexec_b64 s[12:13], vcc
	s_cbranch_execz .LBB174_106
; %bb.105:                              ;   in Loop: Header=BB174_102 Depth=1
	v_and_b32_e32 v20, 7, v15
	v_ffbh_u32_e32 v16, v20
	v_min_u32_e32 v22, 32, v16
	v_subrev_u32_e32 v16, 28, v22
	v_lshlrev_b64 v[16:17], v16, v[15:16]
	v_lshrrev_b32_e32 v21, 3, v11
	v_sub_u32_e32 v17, 29, v22
	v_and_b32_e32 v16, 7, v16
	v_cmp_gt_u32_e32 vcc, 8, v11
	v_cndmask_b32_e32 v11, v21, v17, vcc
	v_cndmask_b32_e32 v16, v20, v16, vcc
	v_lshlrev_b32_e32 v16, 20, v16
	v_and_b32_sdwa v17, sext(v15), s26 dst_sel:DWORD dst_unused:UNUSED_PAD src0_sel:BYTE_0 src1_sel:DWORD
	v_lshl_add_u32 v11, v11, 23, v34
	v_or3_b32 v16, v17, v11, v16
	v_mov_b32_e32 v17, v5
.LBB174_106:                            ;   in Loop: Header=BB174_102 Depth=1
	s_or_b64 exec, exec, s[12:13]
.LBB174_107:                            ;   in Loop: Header=BB174_102 Depth=1
	s_or_b64 exec, exec, s[6:7]
.LBB174_108:                            ;   in Loop: Header=BB174_102 Depth=1
	s_or_b64 exec, exec, s[0:1]
	v_cmp_ne_u16_sdwa s[6:7], v15, v5 src0_sel:BYTE_1 src1_sel:DWORD
	s_and_saveexec_b64 s[0:1], s[6:7]
	s_cbranch_execz .LBB174_114
; %bb.109:                              ;   in Loop: Header=BB174_102 Depth=1
	v_mov_b32_e32 v19, v6
	v_cmp_ne_u16_sdwa s[12:13], v15, s24 src0_sel:BYTE_1 src1_sel:DWORD
	v_mov_b32_e32 v18, v5
	s_and_saveexec_b64 s[6:7], s[12:13]
	s_cbranch_execz .LBB174_113
; %bb.110:                              ;   in Loop: Header=BB174_102 Depth=1
	v_and_b32_sdwa v20, v15, s25 dst_sel:DWORD dst_unused:UNUSED_PAD src0_sel:BYTE_1 src1_sel:DWORD
	v_mov_b32_e32 v11, v5
	v_mov_b32_e32 v19, v12
	v_cmp_ne_u32_e32 vcc, s25, v20
	v_mov_b32_e32 v18, v11
	s_and_saveexec_b64 s[12:13], vcc
	s_cbranch_execz .LBB174_112
; %bb.111:                              ;   in Loop: Header=BB174_102 Depth=1
	v_and_b32_sdwa v18, v15, v35 dst_sel:DWORD dst_unused:UNUSED_PAD src0_sel:BYTE_1 src1_sel:DWORD
	v_ffbh_u32_e32 v21, v18
	v_min_u32_e32 v23, 32, v21
	v_mov_b32_e32 v19, v5
	v_subrev_u32_e32 v21, 28, v23
	v_lshlrev_b64 v[21:22], v21, v[18:19]
	v_lshrrev_b32_e32 v11, 3, v20
	v_sub_u32_e32 v19, 29, v23
	v_cmp_gt_u32_e32 vcc, 8, v20
	v_and_b32_e32 v21, 7, v21
	v_cndmask_b32_e32 v11, v11, v19, vcc
	v_cndmask_b32_e32 v18, v18, v21, vcc
	v_lshlrev_b32_e32 v19, 16, v15
	v_lshl_add_u32 v11, v11, 23, v34
	v_and_or_b32 v11, v19, s26, v11
	v_lshlrev_b32_e32 v18, 20, v18
	v_or_b32_e32 v19, v11, v18
	v_mov_b32_e32 v18, v5
.LBB174_112:                            ;   in Loop: Header=BB174_102 Depth=1
	s_or_b64 exec, exec, s[12:13]
.LBB174_113:                            ;   in Loop: Header=BB174_102 Depth=1
	s_or_b64 exec, exec, s[6:7]
.LBB174_114:                            ;   in Loop: Header=BB174_102 Depth=1
	s_or_b64 exec, exec, s[0:1]
	v_lshrrev_b32_e32 v11, 16, v15
	v_mov_b32_e32 v22, 0
	v_mov_b32_e32 v20, 0
	;; [unrolled: 1-line block ×4, first 2 shown]
	v_cmp_ne_u16_sdwa s[6:7], v11, v5 src0_sel:BYTE_0 src1_sel:DWORD
	s_and_saveexec_b64 s[0:1], s[6:7]
	s_cbranch_execz .LBB174_120
; %bb.115:                              ;   in Loop: Header=BB174_102 Depth=1
	v_bfrev_b32_e32 v20, 1
	v_mov_b32_e32 v21, 0
	v_cmp_ne_u16_sdwa s[12:13], v11, s24 src0_sel:BYTE_0 src1_sel:DWORD
	s_and_saveexec_b64 s[6:7], s[12:13]
	s_cbranch_execz .LBB174_119
; %bb.116:                              ;   in Loop: Header=BB174_102 Depth=1
	v_bfe_u32 v37, v15, 16, 7
	v_mov_b32_e32 v20, 0x7f800001
	v_mov_b32_e32 v21, 0
	v_cmp_ne_u32_e32 vcc, s25, v37
	s_and_saveexec_b64 s[12:13], vcc
	s_cbranch_execz .LBB174_118
; %bb.117:                              ;   in Loop: Header=BB174_102 Depth=1
	v_and_b32_e32 v38, 7, v11
	v_ffbh_u32_e32 v20, v38
	v_min_u32_e32 v40, 32, v20
	v_subrev_u32_e32 v20, 28, v40
	v_lshlrev_b64 v[20:21], v20, v[11:12]
	v_lshrrev_b32_e32 v39, 3, v37
	v_sub_u32_e32 v21, 29, v40
	v_and_b32_e32 v20, 7, v20
	v_cmp_gt_u32_e32 vcc, 8, v37
	v_cndmask_b32_e32 v21, v39, v21, vcc
	v_cndmask_b32_e32 v20, v38, v20, vcc
	v_lshlrev_b32_e32 v20, 20, v20
	v_and_b32_sdwa v11, sext(v11), s26 dst_sel:DWORD dst_unused:UNUSED_PAD src0_sel:BYTE_0 src1_sel:DWORD
	v_lshl_add_u32 v21, v21, 23, v34
	v_or3_b32 v20, v11, v21, v20
	v_mov_b32_e32 v21, v5
.LBB174_118:                            ;   in Loop: Header=BB174_102 Depth=1
	s_or_b64 exec, exec, s[12:13]
.LBB174_119:                            ;   in Loop: Header=BB174_102 Depth=1
	s_or_b64 exec, exec, s[6:7]
.LBB174_120:                            ;   in Loop: Header=BB174_102 Depth=1
	s_or_b64 exec, exec, s[0:1]
	v_cmp_lt_u32_e32 vcc, s27, v15
	s_and_saveexec_b64 s[0:1], vcc
	s_cbranch_execz .LBB174_126
; %bb.121:                              ;   in Loop: Header=BB174_102 Depth=1
	v_mov_b32_e32 v23, v6
	v_cmp_ne_u32_sdwa s[12:13], v15, s24 src0_sel:BYTE_3 src1_sel:DWORD
	v_mov_b32_e32 v22, v5
	s_and_saveexec_b64 s[6:7], s[12:13]
	s_cbranch_execz .LBB174_125
; %bb.122:                              ;   in Loop: Header=BB174_102 Depth=1
	v_bfe_u32 v37, v15, 24, 7
	v_mov_b32_e32 v11, v5
	v_mov_b32_e32 v23, v12
	v_cmp_ne_u32_e32 vcc, s25, v37
	v_mov_b32_e32 v22, v11
	s_and_saveexec_b64 s[12:13], vcc
	s_cbranch_execz .LBB174_124
; %bb.123:                              ;   in Loop: Header=BB174_102 Depth=1
	v_and_b32_sdwa v22, v15, v35 dst_sel:DWORD dst_unused:UNUSED_PAD src0_sel:BYTE_3 src1_sel:DWORD
	v_ffbh_u32_e32 v38, v22
	v_min_u32_e32 v40, 32, v38
	v_mov_b32_e32 v23, v5
	v_subrev_u32_e32 v38, 28, v40
	v_lshlrev_b64 v[38:39], v38, v[22:23]
	v_lshrrev_b32_e32 v11, 3, v37
	v_sub_u32_e32 v23, 29, v40
	v_cmp_gt_u32_e32 vcc, 8, v37
	v_and_b32_e32 v38, 7, v38
	v_cndmask_b32_e32 v11, v11, v23, vcc
	v_cndmask_b32_e32 v22, v22, v38, vcc
	v_lshlrev_b32_sdwa v15, v36, v15 dst_sel:DWORD dst_unused:UNUSED_PAD src0_sel:DWORD src1_sel:BYTE_3
	v_lshl_add_u32 v11, v11, 23, v34
	v_and_or_b32 v11, v15, s26, v11
	v_lshlrev_b32_e32 v15, 20, v22
	v_or_b32_e32 v23, v11, v15
	v_mov_b32_e32 v22, v5
.LBB174_124:                            ;   in Loop: Header=BB174_102 Depth=1
	s_or_b64 exec, exec, s[12:13]
.LBB174_125:                            ;   in Loop: Header=BB174_102 Depth=1
	s_or_b64 exec, exec, s[6:7]
.LBB174_126:                            ;   in Loop: Header=BB174_102 Depth=1
	s_or_b64 exec, exec, s[0:1]
	v_or_b32_e32 v11, v19, v17
	v_or_b32_e32 v15, v18, v16
	v_mul_f32_e32 v37, s18, v11
	v_mul_f32_e32 v40, s17, v15
	v_or_b32_e32 v11, v23, v21
	v_or_b32_e32 v15, v22, v20
	v_add_u32_e32 v41, -3, v29
	v_cmp_eq_u32_e32 vcc, s19, v25
	v_mul_f32_e32 v39, s17, v15
	v_mul_f32_e32 v38, s18, v11
	v_add_u32_e32 v43, -2, v29
	v_add_u32_e32 v42, -1, v29
	s_and_saveexec_b64 s[6:7], vcc
; %bb.127:                              ;   in Loop: Header=BB174_102 Depth=1
	v_cmp_gt_i32_e64 s[0:1], s30, v41
	v_cndmask_b32_e64 v40, 0, v40, s[0:1]
	v_cmp_gt_i32_e64 s[0:1], s30, v43
	v_cndmask_b32_e64 v37, 0, v37, s[0:1]
	v_cmp_gt_i32_e64 s[0:1], s30, v42
	v_cndmask_b32_e64 v39, 0, v39, s[0:1]
	v_cmp_gt_i32_e64 s[0:1], s30, v29
	v_cndmask_b32_e64 v38, 0, v38, s[0:1]
; %bb.128:                              ;   in Loop: Header=BB174_102 Depth=1
	s_or_b64 exec, exec, s[6:7]
	global_load_dword v15, v[13:14], off offset:256
	v_mov_b32_e32 v18, 0
	v_mov_b32_e32 v16, 0
	;; [unrolled: 1-line block ×4, first 2 shown]
	s_waitcnt vmcnt(0)
	v_cmp_ne_u16_sdwa s[0:1], v15, v5 src0_sel:BYTE_0 src1_sel:DWORD
	s_and_saveexec_b64 s[6:7], s[0:1]
	s_cbranch_execz .LBB174_134
; %bb.129:                              ;   in Loop: Header=BB174_102 Depth=1
	v_bfrev_b32_e32 v16, 1
	v_mov_b32_e32 v17, 0
	v_cmp_ne_u16_sdwa s[0:1], v15, s24 src0_sel:BYTE_0 src1_sel:DWORD
	s_and_saveexec_b64 s[12:13], s[0:1]
	s_cbranch_execz .LBB174_133
; %bb.130:                              ;   in Loop: Header=BB174_102 Depth=1
	v_and_b32_e32 v11, 0x7f, v15
	v_mov_b32_e32 v16, 0x7f800001
	v_mov_b32_e32 v17, 0
	v_cmp_ne_u32_e64 s[0:1], s25, v11
	s_and_saveexec_b64 s[14:15], s[0:1]
	s_cbranch_execz .LBB174_132
; %bb.131:                              ;   in Loop: Header=BB174_102 Depth=1
	v_and_b32_e32 v20, 7, v15
	v_ffbh_u32_e32 v16, v20
	v_min_u32_e32 v22, 32, v16
	v_subrev_u32_e32 v16, 28, v22
	v_lshlrev_b64 v[16:17], v16, v[15:16]
	v_lshrrev_b32_e32 v21, 3, v11
	v_sub_u32_e32 v17, 29, v22
	v_and_b32_e32 v16, 7, v16
	v_cmp_gt_u32_e64 s[0:1], 8, v11
	v_cndmask_b32_e64 v11, v21, v17, s[0:1]
	v_cndmask_b32_e64 v16, v20, v16, s[0:1]
	v_lshlrev_b32_e32 v16, 20, v16
	v_and_b32_sdwa v17, sext(v15), s26 dst_sel:DWORD dst_unused:UNUSED_PAD src0_sel:BYTE_0 src1_sel:DWORD
	v_lshl_add_u32 v11, v11, 23, v34
	v_or3_b32 v16, v17, v11, v16
	v_mov_b32_e32 v17, v5
.LBB174_132:                            ;   in Loop: Header=BB174_102 Depth=1
	s_or_b64 exec, exec, s[14:15]
.LBB174_133:                            ;   in Loop: Header=BB174_102 Depth=1
	s_or_b64 exec, exec, s[12:13]
.LBB174_134:                            ;   in Loop: Header=BB174_102 Depth=1
	s_or_b64 exec, exec, s[6:7]
	v_cmp_ne_u16_sdwa s[0:1], v15, v5 src0_sel:BYTE_1 src1_sel:DWORD
	s_and_saveexec_b64 s[6:7], s[0:1]
	s_cbranch_execz .LBB174_140
; %bb.135:                              ;   in Loop: Header=BB174_102 Depth=1
	v_mov_b32_e32 v19, v6
	v_cmp_ne_u16_sdwa s[0:1], v15, s24 src0_sel:BYTE_1 src1_sel:DWORD
	v_mov_b32_e32 v18, v5
	s_and_saveexec_b64 s[12:13], s[0:1]
	s_cbranch_execz .LBB174_139
; %bb.136:                              ;   in Loop: Header=BB174_102 Depth=1
	v_and_b32_sdwa v20, v15, s25 dst_sel:DWORD dst_unused:UNUSED_PAD src0_sel:BYTE_1 src1_sel:DWORD
	v_mov_b32_e32 v11, v5
	v_mov_b32_e32 v19, v12
	v_cmp_ne_u32_e64 s[0:1], s25, v20
	v_mov_b32_e32 v18, v11
	s_and_saveexec_b64 s[14:15], s[0:1]
	s_cbranch_execz .LBB174_138
; %bb.137:                              ;   in Loop: Header=BB174_102 Depth=1
	v_and_b32_sdwa v18, v15, v35 dst_sel:DWORD dst_unused:UNUSED_PAD src0_sel:BYTE_1 src1_sel:DWORD
	v_ffbh_u32_e32 v21, v18
	v_min_u32_e32 v23, 32, v21
	v_mov_b32_e32 v19, v5
	v_subrev_u32_e32 v21, 28, v23
	v_lshlrev_b64 v[21:22], v21, v[18:19]
	v_lshrrev_b32_e32 v11, 3, v20
	v_sub_u32_e32 v19, 29, v23
	v_cmp_gt_u32_e64 s[0:1], 8, v20
	v_and_b32_e32 v21, 7, v21
	v_cndmask_b32_e64 v11, v11, v19, s[0:1]
	v_cndmask_b32_e64 v18, v18, v21, s[0:1]
	v_lshlrev_b32_e32 v19, 16, v15
	v_lshl_add_u32 v11, v11, 23, v34
	v_and_or_b32 v11, v19, s26, v11
	v_lshlrev_b32_e32 v18, 20, v18
	v_or_b32_e32 v19, v11, v18
	v_mov_b32_e32 v18, v5
.LBB174_138:                            ;   in Loop: Header=BB174_102 Depth=1
	s_or_b64 exec, exec, s[14:15]
.LBB174_139:                            ;   in Loop: Header=BB174_102 Depth=1
	s_or_b64 exec, exec, s[12:13]
.LBB174_140:                            ;   in Loop: Header=BB174_102 Depth=1
	s_or_b64 exec, exec, s[6:7]
	v_lshrrev_b32_e32 v11, 16, v15
	v_mov_b32_e32 v22, 0
	v_mov_b32_e32 v20, 0
	;; [unrolled: 1-line block ×4, first 2 shown]
	v_cmp_ne_u16_sdwa s[0:1], v11, v5 src0_sel:BYTE_0 src1_sel:DWORD
	s_and_saveexec_b64 s[6:7], s[0:1]
	s_cbranch_execz .LBB174_146
; %bb.141:                              ;   in Loop: Header=BB174_102 Depth=1
	v_bfrev_b32_e32 v20, 1
	v_mov_b32_e32 v21, 0
	v_cmp_ne_u16_sdwa s[0:1], v11, s24 src0_sel:BYTE_0 src1_sel:DWORD
	s_and_saveexec_b64 s[12:13], s[0:1]
	s_cbranch_execz .LBB174_145
; %bb.142:                              ;   in Loop: Header=BB174_102 Depth=1
	v_bfe_u32 v44, v15, 16, 7
	v_mov_b32_e32 v20, 0x7f800001
	v_mov_b32_e32 v21, 0
	v_cmp_ne_u32_e64 s[0:1], s25, v44
	s_and_saveexec_b64 s[14:15], s[0:1]
	s_cbranch_execz .LBB174_144
; %bb.143:                              ;   in Loop: Header=BB174_102 Depth=1
	v_and_b32_e32 v45, 7, v11
	v_ffbh_u32_e32 v20, v45
	v_min_u32_e32 v47, 32, v20
	v_subrev_u32_e32 v20, 28, v47
	v_lshlrev_b64 v[20:21], v20, v[11:12]
	v_lshrrev_b32_e32 v46, 3, v44
	v_sub_u32_e32 v21, 29, v47
	v_and_b32_e32 v20, 7, v20
	v_cmp_gt_u32_e64 s[0:1], 8, v44
	v_cndmask_b32_e64 v21, v46, v21, s[0:1]
	v_cndmask_b32_e64 v20, v45, v20, s[0:1]
	v_lshlrev_b32_e32 v20, 20, v20
	v_and_b32_sdwa v11, sext(v11), s26 dst_sel:DWORD dst_unused:UNUSED_PAD src0_sel:BYTE_0 src1_sel:DWORD
	v_lshl_add_u32 v21, v21, 23, v34
	v_or3_b32 v20, v11, v21, v20
	v_mov_b32_e32 v21, v5
.LBB174_144:                            ;   in Loop: Header=BB174_102 Depth=1
	s_or_b64 exec, exec, s[14:15]
.LBB174_145:                            ;   in Loop: Header=BB174_102 Depth=1
	s_or_b64 exec, exec, s[12:13]
.LBB174_146:                            ;   in Loop: Header=BB174_102 Depth=1
	s_or_b64 exec, exec, s[6:7]
	v_cmp_lt_u32_e64 s[0:1], s27, v15
	s_and_saveexec_b64 s[6:7], s[0:1]
	s_cbranch_execz .LBB174_152
; %bb.147:                              ;   in Loop: Header=BB174_102 Depth=1
	v_mov_b32_e32 v23, v6
	v_cmp_ne_u32_sdwa s[0:1], v15, s24 src0_sel:BYTE_3 src1_sel:DWORD
	v_mov_b32_e32 v22, v5
	s_and_saveexec_b64 s[12:13], s[0:1]
	s_cbranch_execz .LBB174_151
; %bb.148:                              ;   in Loop: Header=BB174_102 Depth=1
	v_bfe_u32 v44, v15, 24, 7
	v_mov_b32_e32 v11, v5
	v_mov_b32_e32 v23, v12
	v_cmp_ne_u32_e64 s[0:1], s25, v44
	v_mov_b32_e32 v22, v11
	s_and_saveexec_b64 s[14:15], s[0:1]
	s_cbranch_execz .LBB174_150
; %bb.149:                              ;   in Loop: Header=BB174_102 Depth=1
	v_and_b32_sdwa v22, v15, v35 dst_sel:DWORD dst_unused:UNUSED_PAD src0_sel:BYTE_3 src1_sel:DWORD
	v_ffbh_u32_e32 v45, v22
	v_min_u32_e32 v47, 32, v45
	v_mov_b32_e32 v23, v5
	v_subrev_u32_e32 v45, 28, v47
	v_lshlrev_b64 v[45:46], v45, v[22:23]
	v_lshrrev_b32_e32 v11, 3, v44
	v_sub_u32_e32 v23, 29, v47
	v_cmp_gt_u32_e64 s[0:1], 8, v44
	v_and_b32_e32 v45, 7, v45
	v_cndmask_b32_e64 v11, v11, v23, s[0:1]
	v_cndmask_b32_e64 v22, v22, v45, s[0:1]
	v_lshlrev_b32_sdwa v15, v36, v15 dst_sel:DWORD dst_unused:UNUSED_PAD src0_sel:DWORD src1_sel:BYTE_3
	v_lshl_add_u32 v11, v11, 23, v34
	v_and_or_b32 v11, v15, s26, v11
	v_lshlrev_b32_e32 v15, 20, v22
	v_or_b32_e32 v23, v11, v15
	v_mov_b32_e32 v22, v5
.LBB174_150:                            ;   in Loop: Header=BB174_102 Depth=1
	s_or_b64 exec, exec, s[14:15]
.LBB174_151:                            ;   in Loop: Header=BB174_102 Depth=1
	s_or_b64 exec, exec, s[12:13]
.LBB174_152:                            ;   in Loop: Header=BB174_102 Depth=1
	s_or_b64 exec, exec, s[6:7]
	v_or_b32_e32 v11, v19, v17
	v_or_b32_e32 v15, v18, v16
	v_mul_f32_e32 v44, s18, v11
	v_mul_f32_e32 v45, s17, v15
	v_or_b32_e32 v11, v23, v21
	v_or_b32_e32 v15, v22, v20
	v_mul_f32_e32 v23, s17, v15
	v_mul_f32_e32 v22, s18, v11
	s_and_saveexec_b64 s[6:7], vcc
; %bb.153:                              ;   in Loop: Header=BB174_102 Depth=1
	v_cmp_gt_i32_e64 s[0:1], s30, v41
	v_cndmask_b32_e64 v45, 0, v45, s[0:1]
	v_cmp_gt_i32_e64 s[0:1], s30, v43
	v_cndmask_b32_e64 v44, 0, v44, s[0:1]
	;; [unrolled: 2-line block ×4, first 2 shown]
; %bb.154:                              ;   in Loop: Header=BB174_102 Depth=1
	s_or_b64 exec, exec, s[6:7]
	global_load_dword v13, v[13:14], off offset:512
	v_mov_b32_e32 v16, 0
	v_mov_b32_e32 v14, 0
	;; [unrolled: 1-line block ×4, first 2 shown]
	s_waitcnt vmcnt(0)
	v_cmp_ne_u16_sdwa s[0:1], v13, v5 src0_sel:BYTE_0 src1_sel:DWORD
	s_and_saveexec_b64 s[6:7], s[0:1]
	s_cbranch_execz .LBB174_160
; %bb.155:                              ;   in Loop: Header=BB174_102 Depth=1
	v_bfrev_b32_e32 v14, 1
	v_mov_b32_e32 v15, 0
	v_cmp_ne_u16_sdwa s[0:1], v13, s24 src0_sel:BYTE_0 src1_sel:DWORD
	s_and_saveexec_b64 s[12:13], s[0:1]
	s_cbranch_execz .LBB174_159
; %bb.156:                              ;   in Loop: Header=BB174_102 Depth=1
	v_and_b32_e32 v11, 0x7f, v13
	v_mov_b32_e32 v14, 0x7f800001
	v_mov_b32_e32 v15, 0
	v_cmp_ne_u32_e64 s[0:1], s25, v11
	s_and_saveexec_b64 s[14:15], s[0:1]
	s_cbranch_execz .LBB174_158
; %bb.157:                              ;   in Loop: Header=BB174_102 Depth=1
	v_and_b32_e32 v18, 7, v13
	v_ffbh_u32_e32 v14, v18
	v_min_u32_e32 v20, 32, v14
	v_subrev_u32_e32 v14, 28, v20
	v_lshlrev_b64 v[14:15], v14, v[13:14]
	v_lshrrev_b32_e32 v19, 3, v11
	v_sub_u32_e32 v15, 29, v20
	v_and_b32_e32 v14, 7, v14
	v_cmp_gt_u32_e64 s[0:1], 8, v11
	v_cndmask_b32_e64 v11, v19, v15, s[0:1]
	v_cndmask_b32_e64 v14, v18, v14, s[0:1]
	v_lshlrev_b32_e32 v14, 20, v14
	v_and_b32_sdwa v15, sext(v13), s26 dst_sel:DWORD dst_unused:UNUSED_PAD src0_sel:BYTE_0 src1_sel:DWORD
	v_lshl_add_u32 v11, v11, 23, v34
	v_or3_b32 v14, v15, v11, v14
	v_mov_b32_e32 v15, v5
.LBB174_158:                            ;   in Loop: Header=BB174_102 Depth=1
	s_or_b64 exec, exec, s[14:15]
.LBB174_159:                            ;   in Loop: Header=BB174_102 Depth=1
	s_or_b64 exec, exec, s[12:13]
.LBB174_160:                            ;   in Loop: Header=BB174_102 Depth=1
	s_or_b64 exec, exec, s[6:7]
	v_cmp_ne_u16_sdwa s[0:1], v13, v5 src0_sel:BYTE_1 src1_sel:DWORD
	s_and_saveexec_b64 s[6:7], s[0:1]
	s_cbranch_execz .LBB174_166
; %bb.161:                              ;   in Loop: Header=BB174_102 Depth=1
	v_mov_b32_e32 v17, v6
	v_cmp_ne_u16_sdwa s[0:1], v13, s24 src0_sel:BYTE_1 src1_sel:DWORD
	v_mov_b32_e32 v16, v5
	s_and_saveexec_b64 s[12:13], s[0:1]
	s_cbranch_execz .LBB174_165
; %bb.162:                              ;   in Loop: Header=BB174_102 Depth=1
	v_and_b32_sdwa v18, v13, s25 dst_sel:DWORD dst_unused:UNUSED_PAD src0_sel:BYTE_1 src1_sel:DWORD
	v_mov_b32_e32 v11, v5
	v_mov_b32_e32 v17, v12
	v_cmp_ne_u32_e64 s[0:1], s25, v18
	v_mov_b32_e32 v16, v11
	s_and_saveexec_b64 s[14:15], s[0:1]
	s_cbranch_execz .LBB174_164
; %bb.163:                              ;   in Loop: Header=BB174_102 Depth=1
	v_and_b32_sdwa v16, v13, v35 dst_sel:DWORD dst_unused:UNUSED_PAD src0_sel:BYTE_1 src1_sel:DWORD
	v_ffbh_u32_e32 v19, v16
	v_min_u32_e32 v21, 32, v19
	v_mov_b32_e32 v17, v5
	v_subrev_u32_e32 v19, 28, v21
	v_lshlrev_b64 v[19:20], v19, v[16:17]
	v_lshrrev_b32_e32 v11, 3, v18
	v_sub_u32_e32 v17, 29, v21
	v_cmp_gt_u32_e64 s[0:1], 8, v18
	v_and_b32_e32 v19, 7, v19
	v_cndmask_b32_e64 v11, v11, v17, s[0:1]
	v_cndmask_b32_e64 v16, v16, v19, s[0:1]
	v_lshlrev_b32_e32 v17, 16, v13
	v_lshl_add_u32 v11, v11, 23, v34
	v_and_or_b32 v11, v17, s26, v11
	v_lshlrev_b32_e32 v16, 20, v16
	v_or_b32_e32 v17, v11, v16
	v_mov_b32_e32 v16, v5
.LBB174_164:                            ;   in Loop: Header=BB174_102 Depth=1
	s_or_b64 exec, exec, s[14:15]
.LBB174_165:                            ;   in Loop: Header=BB174_102 Depth=1
	s_or_b64 exec, exec, s[12:13]
.LBB174_166:                            ;   in Loop: Header=BB174_102 Depth=1
	s_or_b64 exec, exec, s[6:7]
	v_lshrrev_b32_e32 v11, 16, v13
	v_mov_b32_e32 v20, 0
	v_mov_b32_e32 v18, 0
	;; [unrolled: 1-line block ×4, first 2 shown]
	v_cmp_ne_u16_sdwa s[0:1], v11, v5 src0_sel:BYTE_0 src1_sel:DWORD
	s_and_saveexec_b64 s[6:7], s[0:1]
	s_cbranch_execz .LBB174_172
; %bb.167:                              ;   in Loop: Header=BB174_102 Depth=1
	v_bfrev_b32_e32 v18, 1
	v_mov_b32_e32 v19, 0
	v_cmp_ne_u16_sdwa s[0:1], v11, s24 src0_sel:BYTE_0 src1_sel:DWORD
	s_and_saveexec_b64 s[12:13], s[0:1]
	s_cbranch_execz .LBB174_171
; %bb.168:                              ;   in Loop: Header=BB174_102 Depth=1
	v_bfe_u32 v46, v13, 16, 7
	v_mov_b32_e32 v18, 0x7f800001
	v_mov_b32_e32 v19, 0
	v_cmp_ne_u32_e64 s[0:1], s25, v46
	s_and_saveexec_b64 s[14:15], s[0:1]
	s_cbranch_execz .LBB174_170
; %bb.169:                              ;   in Loop: Header=BB174_102 Depth=1
	v_and_b32_e32 v47, 7, v11
	v_ffbh_u32_e32 v18, v47
	v_min_u32_e32 v49, 32, v18
	v_subrev_u32_e32 v18, 28, v49
	v_lshlrev_b64 v[18:19], v18, v[11:12]
	v_lshrrev_b32_e32 v48, 3, v46
	v_sub_u32_e32 v19, 29, v49
	v_and_b32_e32 v18, 7, v18
	v_cmp_gt_u32_e64 s[0:1], 8, v46
	v_cndmask_b32_e64 v19, v48, v19, s[0:1]
	v_cndmask_b32_e64 v18, v47, v18, s[0:1]
	v_lshlrev_b32_e32 v18, 20, v18
	v_and_b32_sdwa v11, sext(v11), s26 dst_sel:DWORD dst_unused:UNUSED_PAD src0_sel:BYTE_0 src1_sel:DWORD
	v_lshl_add_u32 v19, v19, 23, v34
	v_or3_b32 v18, v11, v19, v18
	v_mov_b32_e32 v19, v5
.LBB174_170:                            ;   in Loop: Header=BB174_102 Depth=1
	s_or_b64 exec, exec, s[14:15]
.LBB174_171:                            ;   in Loop: Header=BB174_102 Depth=1
	s_or_b64 exec, exec, s[12:13]
.LBB174_172:                            ;   in Loop: Header=BB174_102 Depth=1
	s_or_b64 exec, exec, s[6:7]
	v_cmp_lt_u32_e64 s[0:1], s27, v13
	s_and_saveexec_b64 s[6:7], s[0:1]
	s_cbranch_execz .LBB174_178
; %bb.173:                              ;   in Loop: Header=BB174_102 Depth=1
	v_mov_b32_e32 v21, v6
	v_cmp_ne_u32_sdwa s[0:1], v13, s24 src0_sel:BYTE_3 src1_sel:DWORD
	v_mov_b32_e32 v20, v5
	s_and_saveexec_b64 s[12:13], s[0:1]
	s_cbranch_execz .LBB174_177
; %bb.174:                              ;   in Loop: Header=BB174_102 Depth=1
	v_bfe_u32 v46, v13, 24, 7
	v_mov_b32_e32 v11, v5
	v_mov_b32_e32 v21, v12
	v_cmp_ne_u32_e64 s[0:1], s25, v46
	v_mov_b32_e32 v20, v11
	s_and_saveexec_b64 s[14:15], s[0:1]
	s_cbranch_execz .LBB174_176
; %bb.175:                              ;   in Loop: Header=BB174_102 Depth=1
	v_and_b32_sdwa v20, v13, v35 dst_sel:DWORD dst_unused:UNUSED_PAD src0_sel:BYTE_3 src1_sel:DWORD
	v_ffbh_u32_e32 v47, v20
	v_min_u32_e32 v49, 32, v47
	v_mov_b32_e32 v21, v5
	v_subrev_u32_e32 v47, 28, v49
	v_lshlrev_b64 v[47:48], v47, v[20:21]
	v_lshrrev_b32_e32 v11, 3, v46
	v_sub_u32_e32 v21, 29, v49
	v_cmp_gt_u32_e64 s[0:1], 8, v46
	v_and_b32_e32 v47, 7, v47
	v_cndmask_b32_e64 v11, v11, v21, s[0:1]
	v_cndmask_b32_e64 v20, v20, v47, s[0:1]
	v_lshlrev_b32_sdwa v13, v36, v13 dst_sel:DWORD dst_unused:UNUSED_PAD src0_sel:DWORD src1_sel:BYTE_3
	v_lshl_add_u32 v11, v11, 23, v34
	v_and_or_b32 v11, v13, s26, v11
	v_lshlrev_b32_e32 v13, 20, v20
	v_or_b32_e32 v21, v11, v13
	v_mov_b32_e32 v20, v5
.LBB174_176:                            ;   in Loop: Header=BB174_102 Depth=1
	s_or_b64 exec, exec, s[14:15]
.LBB174_177:                            ;   in Loop: Header=BB174_102 Depth=1
	s_or_b64 exec, exec, s[12:13]
.LBB174_178:                            ;   in Loop: Header=BB174_102 Depth=1
	s_or_b64 exec, exec, s[6:7]
	v_or_b32_e32 v13, v16, v14
	v_or_b32_e32 v11, v17, v15
	v_mul_f32_e32 v15, s17, v13
	v_or_b32_e32 v13, v21, v19
	v_or_b32_e32 v14, v20, v18
	v_mul_f32_e32 v11, s18, v11
	v_mul_f32_e32 v14, s17, v14
	v_mul_f32_e32 v13, s18, v13
	s_and_saveexec_b64 s[0:1], vcc
	s_cbranch_execz .LBB174_101
; %bb.179:                              ;   in Loop: Header=BB174_102 Depth=1
	v_cmp_gt_i32_e32 vcc, s30, v41
	v_cndmask_b32_e32 v15, 0, v15, vcc
	v_cmp_gt_i32_e32 vcc, s30, v43
	v_cndmask_b32_e32 v11, 0, v11, vcc
	;; [unrolled: 2-line block ×4, first 2 shown]
	s_branch .LBB174_101
.LBB174_180:
	s_or_b64 exec, exec, s[4:5]
.LBB174_181:
	s_or_b64 exec, exec, s[2:3]
	ds_bpermute_b32 v1, v27, v30
	ds_bpermute_b32 v2, v27, v32
	;; [unrolled: 1-line block ×3, first 2 shown]
	v_and_b32_e32 v4, 0x3c1, v0
	v_cmp_eq_u32_e32 vcc, 64, v4
	s_waitcnt lgkmcnt(2)
	v_add_f32_e32 v1, v30, v1
	s_waitcnt lgkmcnt(1)
	v_add_f32_e32 v2, v32, v2
	;; [unrolled: 2-line block ×3, first 2 shown]
	s_barrier
	s_and_saveexec_b64 s[0:1], vcc
	s_cbranch_execz .LBB174_183
; %bb.182:
	v_mov_b32_e32 v5, 0x190
	v_lshl_add_u32 v5, v26, 1, v5
	ds_write2_b32 v5, v1, v2 offset1:32
	ds_write_b32 v5, v3 offset:256
.LBB174_183:
	s_or_b64 exec, exec, s[0:1]
	v_cmp_gt_u32_e32 vcc, 64, v0
	s_waitcnt lgkmcnt(0)
	s_barrier
	s_and_saveexec_b64 s[0:1], vcc
	s_cbranch_execz .LBB174_189
; %bb.184:
	v_mov_b32_e32 v0, 0x190
	v_cmp_eq_u32_e32 vcc, 0, v28
	v_lshl_add_u32 v0, v24, 2, v0
	s_and_saveexec_b64 s[2:3], vcc
	s_cbranch_execnz .LBB174_192
; %bb.185:
	s_or_b64 exec, exec, s[2:3]
	s_and_saveexec_b64 s[2:3], vcc
	s_cbranch_execnz .LBB174_193
.LBB174_186:
	s_or_b64 exec, exec, s[2:3]
	s_and_saveexec_b64 s[2:3], vcc
	s_cbranch_execz .LBB174_188
.LBB174_187:
	ds_read_b32 v0, v0 offset:256
	s_waitcnt lgkmcnt(0)
	v_add_f32_e32 v3, v3, v0
.LBB174_188:
	s_or_b64 exec, exec, s[2:3]
.LBB174_189:
	s_or_b64 exec, exec, s[0:1]
	v_cmp_eq_u32_e32 vcc, 0, v4
	s_barrier
	s_and_saveexec_b64 s[0:1], vcc
	s_cbranch_execz .LBB174_191
; %bb.190:
	s_mul_i32 s0, s10, s11
	s_mul_i32 s0, s0, s9
	s_mulk_i32 s0, 0x60
	s_ashr_i32 s1, s0, 31
	s_lshl_b64 s[0:1], s[0:1], 2
	s_add_u32 s2, s22, s0
	s_mul_i32 s0, s11, s20
	s_addc_u32 s3, s23, s1
	s_ashr_i32 s1, s0, 31
	s_lshl_b64 s[0:1], s[0:1], 2
	s_add_u32 s2, s2, s0
	s_mul_i32 s0, s8, 0x60
	s_addc_u32 s3, s3, s1
	s_ashr_i32 s1, s0, 31
	s_lshl_b64 s[0:1], s[0:1], 2
	s_add_u32 s0, s2, s0
	s_addc_u32 s1, s3, s1
	v_lshlrev_b32_e32 v0, 2, v24
	global_store_dword v0, v1, s[0:1]
	global_store_dword v0, v2, s[0:1] offset:128
	global_store_dword v0, v3, s[0:1] offset:256
.LBB174_191:
	s_endpgm
.LBB174_192:
	ds_read_b32 v5, v0
	s_waitcnt lgkmcnt(0)
	v_add_f32_e32 v1, v1, v5
	s_or_b64 exec, exec, s[2:3]
	s_and_saveexec_b64 s[2:3], vcc
	s_cbranch_execz .LBB174_186
.LBB174_193:
	ds_read_b32 v5, v0 offset:128
	s_waitcnt lgkmcnt(0)
	v_add_f32_e32 v2, v2, v5
	s_or_b64 exec, exec, s[2:3]
	s_and_saveexec_b64 s[2:3], vcc
	s_cbranch_execnz .LBB174_187
	s_branch .LBB174_188
	.section	.rodata,"a",@progbits
	.p2align	6, 0x0
	.amdhsa_kernel _ZN4vllm25paged_attention_v1_kernelIfhLi96ELi8ELi128ELNS_18Fp8KVCacheDataTypeE1ELb0EEEvPT_PKS2_PKT0_S8_ifPKiSA_iPKfiiiSC_SC_iiiii
		.amdhsa_group_segment_fixed_size 400
		.amdhsa_private_segment_fixed_size 0
		.amdhsa_kernarg_size 384
		.amdhsa_user_sgpr_count 6
		.amdhsa_user_sgpr_private_segment_buffer 1
		.amdhsa_user_sgpr_dispatch_ptr 0
		.amdhsa_user_sgpr_queue_ptr 0
		.amdhsa_user_sgpr_kernarg_segment_ptr 1
		.amdhsa_user_sgpr_dispatch_id 0
		.amdhsa_user_sgpr_flat_scratch_init 0
		.amdhsa_user_sgpr_private_segment_size 0
		.amdhsa_uses_dynamic_stack 0
		.amdhsa_system_sgpr_private_segment_wavefront_offset 0
		.amdhsa_system_sgpr_workgroup_id_x 1
		.amdhsa_system_sgpr_workgroup_id_y 1
		.amdhsa_system_sgpr_workgroup_id_z 1
		.amdhsa_system_sgpr_workgroup_info 0
		.amdhsa_system_vgpr_workitem_id 0
		.amdhsa_next_free_vgpr 52
		.amdhsa_next_free_sgpr 43
		.amdhsa_reserve_vcc 1
		.amdhsa_reserve_flat_scratch 0
		.amdhsa_float_round_mode_32 0
		.amdhsa_float_round_mode_16_64 0
		.amdhsa_float_denorm_mode_32 3
		.amdhsa_float_denorm_mode_16_64 3
		.amdhsa_dx10_clamp 1
		.amdhsa_ieee_mode 1
		.amdhsa_fp16_overflow 0
		.amdhsa_exception_fp_ieee_invalid_op 0
		.amdhsa_exception_fp_denorm_src 0
		.amdhsa_exception_fp_ieee_div_zero 0
		.amdhsa_exception_fp_ieee_overflow 0
		.amdhsa_exception_fp_ieee_underflow 0
		.amdhsa_exception_fp_ieee_inexact 0
		.amdhsa_exception_int_div_zero 0
	.end_amdhsa_kernel
	.section	.text._ZN4vllm25paged_attention_v1_kernelIfhLi96ELi8ELi128ELNS_18Fp8KVCacheDataTypeE1ELb0EEEvPT_PKS2_PKT0_S8_ifPKiSA_iPKfiiiSC_SC_iiiii,"axG",@progbits,_ZN4vllm25paged_attention_v1_kernelIfhLi96ELi8ELi128ELNS_18Fp8KVCacheDataTypeE1ELb0EEEvPT_PKS2_PKT0_S8_ifPKiSA_iPKfiiiSC_SC_iiiii,comdat
.Lfunc_end174:
	.size	_ZN4vllm25paged_attention_v1_kernelIfhLi96ELi8ELi128ELNS_18Fp8KVCacheDataTypeE1ELb0EEEvPT_PKS2_PKT0_S8_ifPKiSA_iPKfiiiSC_SC_iiiii, .Lfunc_end174-_ZN4vllm25paged_attention_v1_kernelIfhLi96ELi8ELi128ELNS_18Fp8KVCacheDataTypeE1ELb0EEEvPT_PKS2_PKT0_S8_ifPKiSA_iPKfiiiSC_SC_iiiii
                                        ; -- End function
	.set _ZN4vllm25paged_attention_v1_kernelIfhLi96ELi8ELi128ELNS_18Fp8KVCacheDataTypeE1ELb0EEEvPT_PKS2_PKT0_S8_ifPKiSA_iPKfiiiSC_SC_iiiii.num_vgpr, 52
	.set _ZN4vllm25paged_attention_v1_kernelIfhLi96ELi8ELi128ELNS_18Fp8KVCacheDataTypeE1ELb0EEEvPT_PKS2_PKT0_S8_ifPKiSA_iPKfiiiSC_SC_iiiii.num_agpr, 0
	.set _ZN4vllm25paged_attention_v1_kernelIfhLi96ELi8ELi128ELNS_18Fp8KVCacheDataTypeE1ELb0EEEvPT_PKS2_PKT0_S8_ifPKiSA_iPKfiiiSC_SC_iiiii.numbered_sgpr, 43
	.set _ZN4vllm25paged_attention_v1_kernelIfhLi96ELi8ELi128ELNS_18Fp8KVCacheDataTypeE1ELb0EEEvPT_PKS2_PKT0_S8_ifPKiSA_iPKfiiiSC_SC_iiiii.num_named_barrier, 0
	.set _ZN4vllm25paged_attention_v1_kernelIfhLi96ELi8ELi128ELNS_18Fp8KVCacheDataTypeE1ELb0EEEvPT_PKS2_PKT0_S8_ifPKiSA_iPKfiiiSC_SC_iiiii.private_seg_size, 0
	.set _ZN4vllm25paged_attention_v1_kernelIfhLi96ELi8ELi128ELNS_18Fp8KVCacheDataTypeE1ELb0EEEvPT_PKS2_PKT0_S8_ifPKiSA_iPKfiiiSC_SC_iiiii.uses_vcc, 1
	.set _ZN4vllm25paged_attention_v1_kernelIfhLi96ELi8ELi128ELNS_18Fp8KVCacheDataTypeE1ELb0EEEvPT_PKS2_PKT0_S8_ifPKiSA_iPKfiiiSC_SC_iiiii.uses_flat_scratch, 0
	.set _ZN4vllm25paged_attention_v1_kernelIfhLi96ELi8ELi128ELNS_18Fp8KVCacheDataTypeE1ELb0EEEvPT_PKS2_PKT0_S8_ifPKiSA_iPKfiiiSC_SC_iiiii.has_dyn_sized_stack, 0
	.set _ZN4vllm25paged_attention_v1_kernelIfhLi96ELi8ELi128ELNS_18Fp8KVCacheDataTypeE1ELb0EEEvPT_PKS2_PKT0_S8_ifPKiSA_iPKfiiiSC_SC_iiiii.has_recursion, 0
	.set _ZN4vllm25paged_attention_v1_kernelIfhLi96ELi8ELi128ELNS_18Fp8KVCacheDataTypeE1ELb0EEEvPT_PKS2_PKT0_S8_ifPKiSA_iPKfiiiSC_SC_iiiii.has_indirect_call, 0
	.section	.AMDGPU.csdata,"",@progbits
; Kernel info:
; codeLenInByte = 7692
; TotalNumSgprs: 47
; NumVgprs: 52
; ScratchSize: 0
; MemoryBound: 0
; FloatMode: 240
; IeeeMode: 1
; LDSByteSize: 400 bytes/workgroup (compile time only)
; SGPRBlocks: 5
; VGPRBlocks: 12
; NumSGPRsForWavesPerEU: 47
; NumVGPRsForWavesPerEU: 52
; Occupancy: 4
; WaveLimiterHint : 1
; COMPUTE_PGM_RSRC2:SCRATCH_EN: 0
; COMPUTE_PGM_RSRC2:USER_SGPR: 6
; COMPUTE_PGM_RSRC2:TRAP_HANDLER: 0
; COMPUTE_PGM_RSRC2:TGID_X_EN: 1
; COMPUTE_PGM_RSRC2:TGID_Y_EN: 1
; COMPUTE_PGM_RSRC2:TGID_Z_EN: 1
; COMPUTE_PGM_RSRC2:TIDIG_COMP_CNT: 0
	.section	.text._ZN4vllm25paged_attention_v1_kernelIfhLi112ELi8ELi128ELNS_18Fp8KVCacheDataTypeE1ELb0EEEvPT_PKS2_PKT0_S8_ifPKiSA_iPKfiiiSC_SC_iiiii,"axG",@progbits,_ZN4vllm25paged_attention_v1_kernelIfhLi112ELi8ELi128ELNS_18Fp8KVCacheDataTypeE1ELb0EEEvPT_PKS2_PKT0_S8_ifPKiSA_iPKfiiiSC_SC_iiiii,comdat
	.protected	_ZN4vllm25paged_attention_v1_kernelIfhLi112ELi8ELi128ELNS_18Fp8KVCacheDataTypeE1ELb0EEEvPT_PKS2_PKT0_S8_ifPKiSA_iPKfiiiSC_SC_iiiii ; -- Begin function _ZN4vllm25paged_attention_v1_kernelIfhLi112ELi8ELi128ELNS_18Fp8KVCacheDataTypeE1ELb0EEEvPT_PKS2_PKT0_S8_ifPKiSA_iPKfiiiSC_SC_iiiii
	.globl	_ZN4vllm25paged_attention_v1_kernelIfhLi112ELi8ELi128ELNS_18Fp8KVCacheDataTypeE1ELb0EEEvPT_PKS2_PKT0_S8_ifPKiSA_iPKfiiiSC_SC_iiiii
	.p2align	8
	.type	_ZN4vllm25paged_attention_v1_kernelIfhLi112ELi8ELi128ELNS_18Fp8KVCacheDataTypeE1ELb0EEEvPT_PKS2_PKT0_S8_ifPKiSA_iPKfiiiSC_SC_iiiii,@function
_ZN4vllm25paged_attention_v1_kernelIfhLi112ELi8ELi128ELNS_18Fp8KVCacheDataTypeE1ELb0EEEvPT_PKS2_PKT0_S8_ifPKiSA_iPKfiiiSC_SC_iiiii: ; @_ZN4vllm25paged_attention_v1_kernelIfhLi112ELi8ELi128ELNS_18Fp8KVCacheDataTypeE1ELb0EEEvPT_PKS2_PKT0_S8_ifPKiSA_iPKfiiiSC_SC_iiiii
; %bb.0:
	s_load_dword s9, s[4:5], 0x80
	s_load_dwordx2 s[0:1], s[4:5], 0x30
	s_load_dwordx2 s[30:31], s[4:5], 0x20
	s_mov_b32 s10, s7
	s_ashr_i32 s11, s7, 31
	s_lshl_b64 s[2:3], s[10:11], 2
	s_waitcnt lgkmcnt(0)
	s_add_u32 s0, s0, s2
	s_addc_u32 s1, s1, s3
	s_abs_i32 s2, s30
	v_cvt_f32_u32_e32 v1, s2
	s_sub_i32 s11, 0, s2
	s_abs_i32 s7, s9
	s_xor_b32 s3, s9, s30
	v_rcp_iflag_f32_e32 v1, v1
	s_ashr_i32 s3, s3, 31
	s_mov_b32 s33, 0
	v_mul_f32_e32 v1, 0x4f7ffffe, v1
	v_cvt_u32_f32_e32 v1, v1
	v_readfirstlane_b32 s12, v1
	s_mul_i32 s11, s11, s12
	s_mul_hi_u32 s11, s12, s11
	s_add_i32 s12, s12, s11
	s_mul_hi_u32 s11, s7, s12
	s_mul_i32 s12, s11, s2
	s_sub_i32 s7, s7, s12
	s_add_i32 s12, s11, 1
	s_sub_i32 s13, s7, s2
	s_cmp_ge_u32 s7, s2
	s_cselect_b32 s11, s12, s11
	s_cselect_b32 s7, s13, s7
	s_add_i32 s12, s11, 1
	s_cmp_ge_u32 s7, s2
	s_cselect_b32 s2, s12, s11
	s_xor_b32 s2, s2, s3
	s_sub_i32 s12, s2, s3
	s_abs_i32 s11, s12
	v_cvt_f32_u32_e32 v1, s11
	s_load_dwordx2 s[2:3], s[4:5], 0x40
	s_sub_i32 s7, 0, s11
	s_abs_i32 s16, s6
	v_rcp_iflag_f32_e32 v1, v1
	v_mul_f32_e32 v1, 0x4f7ffffe, v1
	v_cvt_u32_f32_e32 v1, v1
	v_readfirstlane_b32 s13, v1
	s_mul_i32 s7, s7, s13
	s_mul_hi_u32 s7, s13, s7
	s_add_i32 s13, s13, s7
	s_waitcnt lgkmcnt(0)
	s_cmp_eq_u64 s[2:3], 0
	s_mul_hi_u32 s17, s16, s13
	s_cbranch_scc1 .LBB175_2
; %bb.1:
	s_ashr_i32 s7, s6, 31
	s_lshl_b64 s[14:15], s[6:7], 2
	s_add_u32 s2, s2, s14
	s_addc_u32 s3, s3, s15
	s_load_dword s33, s[2:3], 0x0
.LBB175_2:
	s_load_dword s30, s[0:1], 0x0
	s_ashr_i32 s3, s12, 31
	s_load_dwordx4 s[12:15], s[4:5], 0x48
	s_movk_i32 s0, 0x70
	s_ashr_i32 s2, s6, 31
	v_and_b32_e32 v1, 7, v0
	s_mul_i32 s20, s6, 0x70
	v_cmp_gt_u32_e32 vcc, s0, v0
	v_lshlrev_b32_e32 v22, 2, v0
	v_lshrrev_b32_e32 v26, 1, v0
	s_and_saveexec_b64 s[0:1], vcc
	s_cbranch_execz .LBB175_4
; %bb.3:
	s_load_dwordx2 s[6:7], s[4:5], 0x8
	s_waitcnt lgkmcnt(0)
	s_mul_i32 s18, s12, s10
	s_ashr_i32 s19, s18, 31
	s_lshl_b64 s[18:19], s[18:19], 2
	v_and_b32_e32 v3, 0x1fc, v26
	s_add_u32 s12, s6, s18
	s_addc_u32 s15, s7, s19
	s_ashr_i32 s21, s20, 31
	s_lshl_b64 s[6:7], s[20:21], 2
	s_add_u32 s6, s12, s6
	s_addc_u32 s7, s15, s7
	global_load_dword v2, v22, s[6:7]
	v_mad_u32_u24 v3, v1, 56, v3
	s_waitcnt vmcnt(0)
	ds_write_b32 v3, v2
.LBB175_4:
	s_or_b64 exec, exec, s[0:1]
	s_waitcnt lgkmcnt(0)
	s_add_i32 s1, s30, 7
	s_ashr_i32 s6, s1, 31
	s_lshr_b32 s6, s6, 29
	s_add_i32 s1, s1, s6
	s_ashr_i32 s21, s1, 3
	s_xor_b32 s1, s2, s3
	s_mul_i32 s2, s17, s11
	s_sub_i32 s2, s16, s2
	s_add_i32 s3, s17, 1
	s_sub_i32 s6, s2, s11
	s_load_dwordx2 s[24:25], s[4:5], 0x28
	s_load_dword s0, s[4:5], 0x38
	s_cmp_ge_u32 s2, s11
	s_cselect_b32 s3, s3, s17
	s_cselect_b32 s2, s6, s2
	s_add_i32 s6, s3, 1
	s_cmp_ge_u32 s2, s11
	s_cselect_b32 s2, s6, s3
	v_lshrrev_b32_e32 v27, 6, v0
	s_xor_b32 s2, s2, s1
	s_waitcnt lgkmcnt(0)
	s_mul_i32 s26, s0, s10
	s_sub_i32 s12, s2, s1
	s_ashr_i32 s27, s26, 31
	v_cmp_le_i32_e64 s[0:1], s21, v27
	v_mbcnt_lo_u32_b32 v2, -1, 0
	s_barrier
                                        ; implicit-def: $vgpr24
                                        ; implicit-def: $vgpr29
                                        ; implicit-def: $vgpr25
	s_and_saveexec_b64 s[2:3], s[0:1]
	s_xor_b64 s[2:3], exec, s[2:3]
; %bb.5:
	v_mbcnt_hi_u32_b32 v24, -1, v2
	v_and_b32_e32 v29, 64, v24
	v_add_u32_e32 v25, 64, v29
                                        ; implicit-def: $vgpr1
                                        ; implicit-def: $vgpr2
; %bb.6:
	s_or_saveexec_b64 s[6:7], s[2:3]
	s_load_dwordx2 s[22:23], s[4:5], 0x0
	s_load_dwordx2 s[28:29], s[4:5], 0x18
	s_load_dword s11, s[4:5], 0x88
	s_load_dwordx4 s[16:19], s[4:5], 0x58
	v_mov_b32_e32 v28, 0xff7fffff
	s_mul_i32 s12, s12, s14
	v_lshrrev_b32_e32 v23, 4, v0
	s_xor_b64 exec, exec, s[6:7]
	s_cbranch_execz .LBB175_96
; %bb.7:
	s_load_dwordx2 s[2:3], s[4:5], 0x10
	s_ashr_i32 s4, s12, 31
	v_bfe_u32 v3, v0, 3, 3
	v_lshlrev_b32_e32 v4, 4, v3
	v_mbcnt_hi_u32_b32 v24, -1, v2
	s_waitcnt lgkmcnt(0)
	s_add_u32 s2, s2, s12
	s_addc_u32 s3, s3, s4
	v_mov_b32_e32 v5, s3
	v_add_co_u32_e32 v4, vcc, s2, v4
	v_and_b32_e32 v29, 64, v24
	v_addc_co_u32_e32 v5, vcc, 0, v5, vcc
	v_add_u32_e32 v25, 64, v29
	v_xor_b32_e32 v2, 4, v24
	v_cmp_lt_i32_e32 vcc, v2, v25
	v_cndmask_b32_e32 v2, v24, v2, vcc
	v_lshlrev_b32_e32 v30, 2, v2
	v_xor_b32_e32 v2, 2, v24
	v_cmp_lt_i32_e32 vcc, v2, v25
	v_cndmask_b32_e32 v2, v24, v2, vcc
	v_lshlrev_b32_e32 v31, 2, v2
	v_xor_b32_e32 v2, 1, v24
	v_add_co_u32_e64 v13, s[4:5], v4, v1
	v_cmp_lt_i32_e32 vcc, v2, v25
	v_addc_co_u32_e64 v14, s[4:5], 0, v5, s[4:5]
	v_mul_u32_u24_e32 v9, 56, v1
	v_cndmask_b32_e32 v2, v24, v2, vcc
	v_cmp_eq_u32_e32 vcc, 0, v1
	s_sub_i32 s40, 1, s30
	v_lshlrev_b32_e32 v1, 2, v3
	s_lshl_b64 s[4:5], s[26:27], 2
	v_lshl_or_b32 v1, v27, 5, v1
	s_add_u32 s4, s24, s4
	v_add_u32_e32 v34, 0x1d0, v1
	v_and_b32_e32 v1, 60, v23
	s_addc_u32 s5, s25, s5
	v_lshlrev_b32_e32 v32, 2, v2
	v_mov_b32_e32 v2, s5
	v_add_co_u32_e64 v15, s[4:5], s4, v1
	s_load_dword s39, s[16:17], 0x0
	v_lshl_or_b32 v33, v27, 3, v3
	v_addc_co_u32_e64 v16, s[4:5], 0, v2, s[4:5]
	ds_read_b64 v[17:18], v9 offset:48
	ds_read2_b64 v[1:4], v9 offset0:4 offset1:5
	ds_read2_b64 v[5:8], v9 offset1:1
	ds_read2_b64 v[9:12], v9 offset0:2 offset1:3
	s_mov_b32 s38, s13
	v_cmp_neq_f32_e64 s[2:3], s33, 0
	v_mov_b32_e32 v28, 0xff7fffff
	s_mov_b64 s[14:15], 0
	s_movk_i32 s41, 0x80
	s_movk_i32 s42, 0x7f
	v_bfrev_b32_e32 v35, 60
	v_mov_b32_e32 v36, v27
	s_branch .LBB175_9
.LBB175_8:                              ;   in Loop: Header=BB175_9 Depth=1
	s_or_b64 exec, exec, s[16:17]
	v_add_u32_e32 v36, 2, v36
	v_cmp_le_i32_e64 s[4:5], s21, v36
	s_or_b64 s[14:15], s[4:5], s[14:15]
	v_add_co_u32_e64 v15, s[4:5], 8, v15
	v_add_u32_e32 v33, 16, v33
	v_add_u32_e32 v34, 64, v34
	v_addc_co_u32_e64 v16, s[4:5], 0, v16, s[4:5]
	s_andn2_b64 exec, exec, s[14:15]
	s_cbranch_execz .LBB175_95
.LBB175_9:                              ; =>This Inner Loop Header: Depth=1
	global_load_dword v19, v[15:16], off
	v_mov_b32_e32 v37, 0
	s_waitcnt vmcnt(0) lgkmcnt(0)
	v_mad_i64_i32 v[19:20], s[4:5], v19, s38, v[13:14]
	global_load_ubyte v38, v[19:20], off
	s_waitcnt vmcnt(0)
	v_cmp_ne_u16_e64 s[4:5], 0, v38
	s_and_saveexec_b64 s[16:17], s[4:5]
	s_cbranch_execz .LBB175_15
; %bb.10:                               ;   in Loop: Header=BB175_9 Depth=1
	v_cmp_ne_u16_e64 s[4:5], s41, v38
	v_bfrev_b32_e32 v37, 1
	s_and_saveexec_b64 s[34:35], s[4:5]
	s_cbranch_execz .LBB175_14
; %bb.11:                               ;   in Loop: Header=BB175_9 Depth=1
	v_and_b32_e32 v21, 0xffff, v38
	v_and_b32_e32 v39, 0x7f, v21
	v_cmp_ne_u32_e64 s[4:5], s42, v39
	v_mov_b32_e32 v37, 0x7f800001
	s_and_saveexec_b64 s[36:37], s[4:5]
	s_cbranch_execz .LBB175_13
; %bb.12:                               ;   in Loop: Header=BB175_9 Depth=1
	v_and_b32_e32 v37, 7, v21
	v_ffbh_u32_e32 v40, v37
	v_min_u32_e32 v43, 32, v40
	v_subrev_u32_e32 v40, 28, v43
	v_lshlrev_b64 v[40:41], v40, v[21:22]
	v_lshrrev_b32_e32 v42, 3, v39
	v_sub_u32_e32 v21, 29, v43
	v_and_b32_e32 v40, 7, v40
	v_cmp_gt_u32_e64 s[4:5], 8, v39
	v_cndmask_b32_e64 v21, v42, v21, s[4:5]
	v_cndmask_b32_e64 v37, v37, v40, s[4:5]
	v_lshlrev_b32_e32 v38, 24, v38
	v_lshlrev_b32_e32 v37, 20, v37
	v_and_b32_e32 v38, 0x80000000, v38
	v_lshl_add_u32 v21, v21, 23, v35
	v_or3_b32 v37, v38, v21, v37
.LBB175_13:                             ;   in Loop: Header=BB175_9 Depth=1
	s_or_b64 exec, exec, s[36:37]
.LBB175_14:                             ;   in Loop: Header=BB175_9 Depth=1
	s_or_b64 exec, exec, s[34:35]
.LBB175_15:                             ;   in Loop: Header=BB175_9 Depth=1
	s_or_b64 exec, exec, s[16:17]
	global_load_ubyte v40, v[19:20], off offset:8
	v_mov_b32_e32 v38, 0
	v_mov_b32_e32 v39, 0
	s_waitcnt vmcnt(0)
	v_cmp_ne_u16_e64 s[4:5], 0, v40
	s_and_saveexec_b64 s[16:17], s[4:5]
	s_cbranch_execz .LBB175_21
; %bb.16:                               ;   in Loop: Header=BB175_9 Depth=1
	v_cmp_ne_u16_e64 s[4:5], s41, v40
	v_bfrev_b32_e32 v39, 1
	s_and_saveexec_b64 s[34:35], s[4:5]
	s_cbranch_execz .LBB175_20
; %bb.17:                               ;   in Loop: Header=BB175_9 Depth=1
	v_and_b32_e32 v21, 0xffff, v40
	v_and_b32_e32 v41, 0x7f, v21
	v_cmp_ne_u32_e64 s[4:5], s42, v41
	v_mov_b32_e32 v39, 0x7f800001
	s_and_saveexec_b64 s[36:37], s[4:5]
	s_cbranch_execz .LBB175_19
; %bb.18:                               ;   in Loop: Header=BB175_9 Depth=1
	v_and_b32_e32 v39, 7, v21
	v_ffbh_u32_e32 v42, v39
	v_min_u32_e32 v45, 32, v42
	v_subrev_u32_e32 v42, 28, v45
	v_lshlrev_b64 v[42:43], v42, v[21:22]
	v_lshrrev_b32_e32 v44, 3, v41
	v_sub_u32_e32 v21, 29, v45
	v_and_b32_e32 v42, 7, v42
	v_cmp_gt_u32_e64 s[4:5], 8, v41
	v_cndmask_b32_e64 v21, v44, v21, s[4:5]
	v_cndmask_b32_e64 v39, v39, v42, s[4:5]
	v_lshlrev_b32_e32 v40, 24, v40
	v_lshlrev_b32_e32 v39, 20, v39
	v_and_b32_e32 v40, 0x80000000, v40
	v_lshl_add_u32 v21, v21, 23, v35
	v_or3_b32 v39, v40, v21, v39
.LBB175_19:                             ;   in Loop: Header=BB175_9 Depth=1
	s_or_b64 exec, exec, s[36:37]
.LBB175_20:                             ;   in Loop: Header=BB175_9 Depth=1
	s_or_b64 exec, exec, s[34:35]
.LBB175_21:                             ;   in Loop: Header=BB175_9 Depth=1
	s_or_b64 exec, exec, s[16:17]
	global_load_ubyte v40, v[19:20], off offset:128
	s_waitcnt vmcnt(0)
	v_cmp_ne_u16_e64 s[4:5], 0, v40
	s_and_saveexec_b64 s[16:17], s[4:5]
	s_cbranch_execz .LBB175_27
; %bb.22:                               ;   in Loop: Header=BB175_9 Depth=1
	v_cmp_ne_u16_e64 s[4:5], s41, v40
	v_bfrev_b32_e32 v38, 1
	s_and_saveexec_b64 s[34:35], s[4:5]
	s_cbranch_execz .LBB175_26
; %bb.23:                               ;   in Loop: Header=BB175_9 Depth=1
	v_and_b32_e32 v21, 0xffff, v40
	v_and_b32_e32 v41, 0x7f, v21
	v_cmp_ne_u32_e64 s[4:5], s42, v41
	v_mov_b32_e32 v38, 0x7f800001
	s_and_saveexec_b64 s[36:37], s[4:5]
	s_cbranch_execz .LBB175_25
; %bb.24:                               ;   in Loop: Header=BB175_9 Depth=1
	v_and_b32_e32 v38, 7, v21
	v_ffbh_u32_e32 v42, v38
	v_min_u32_e32 v45, 32, v42
	v_subrev_u32_e32 v42, 28, v45
	v_lshlrev_b64 v[42:43], v42, v[21:22]
	v_lshrrev_b32_e32 v44, 3, v41
	v_sub_u32_e32 v21, 29, v45
	v_and_b32_e32 v42, 7, v42
	v_cmp_gt_u32_e64 s[4:5], 8, v41
	v_cndmask_b32_e64 v21, v44, v21, s[4:5]
	v_cndmask_b32_e64 v38, v38, v42, s[4:5]
	v_lshlrev_b32_e32 v40, 24, v40
	v_lshlrev_b32_e32 v38, 20, v38
	v_and_b32_e32 v40, 0x80000000, v40
	v_lshl_add_u32 v21, v21, 23, v35
	v_or3_b32 v38, v40, v21, v38
.LBB175_25:                             ;   in Loop: Header=BB175_9 Depth=1
	s_or_b64 exec, exec, s[36:37]
.LBB175_26:                             ;   in Loop: Header=BB175_9 Depth=1
	s_or_b64 exec, exec, s[34:35]
.LBB175_27:                             ;   in Loop: Header=BB175_9 Depth=1
	s_or_b64 exec, exec, s[16:17]
	global_load_ubyte v42, v[19:20], off offset:136
	v_mov_b32_e32 v40, 0
	v_mov_b32_e32 v41, 0
	s_waitcnt vmcnt(0)
	v_cmp_ne_u16_e64 s[4:5], 0, v42
	s_and_saveexec_b64 s[16:17], s[4:5]
	s_cbranch_execz .LBB175_33
; %bb.28:                               ;   in Loop: Header=BB175_9 Depth=1
	v_cmp_ne_u16_e64 s[4:5], s41, v42
	v_bfrev_b32_e32 v41, 1
	s_and_saveexec_b64 s[34:35], s[4:5]
	s_cbranch_execz .LBB175_32
; %bb.29:                               ;   in Loop: Header=BB175_9 Depth=1
	v_and_b32_e32 v21, 0xffff, v42
	v_and_b32_e32 v43, 0x7f, v21
	v_cmp_ne_u32_e64 s[4:5], s42, v43
	v_mov_b32_e32 v41, 0x7f800001
	s_and_saveexec_b64 s[36:37], s[4:5]
	s_cbranch_execz .LBB175_31
; %bb.30:                               ;   in Loop: Header=BB175_9 Depth=1
	v_and_b32_e32 v41, 7, v21
	v_ffbh_u32_e32 v44, v41
	v_min_u32_e32 v47, 32, v44
	v_subrev_u32_e32 v44, 28, v47
	v_lshlrev_b64 v[44:45], v44, v[21:22]
	v_lshrrev_b32_e32 v46, 3, v43
	v_sub_u32_e32 v21, 29, v47
	v_and_b32_e32 v44, 7, v44
	v_cmp_gt_u32_e64 s[4:5], 8, v43
	v_cndmask_b32_e64 v21, v46, v21, s[4:5]
	v_cndmask_b32_e64 v41, v41, v44, s[4:5]
	v_lshlrev_b32_e32 v42, 24, v42
	v_lshlrev_b32_e32 v41, 20, v41
	v_and_b32_e32 v42, 0x80000000, v42
	v_lshl_add_u32 v21, v21, 23, v35
	v_or3_b32 v41, v42, v21, v41
.LBB175_31:                             ;   in Loop: Header=BB175_9 Depth=1
	s_or_b64 exec, exec, s[36:37]
.LBB175_32:                             ;   in Loop: Header=BB175_9 Depth=1
	s_or_b64 exec, exec, s[34:35]
.LBB175_33:                             ;   in Loop: Header=BB175_9 Depth=1
	s_or_b64 exec, exec, s[16:17]
	global_load_ubyte v42, v[19:20], off offset:256
	s_waitcnt vmcnt(0)
	v_cmp_ne_u16_e64 s[4:5], 0, v42
	s_and_saveexec_b64 s[16:17], s[4:5]
	s_cbranch_execz .LBB175_39
; %bb.34:                               ;   in Loop: Header=BB175_9 Depth=1
	v_cmp_ne_u16_e64 s[4:5], s41, v42
	v_bfrev_b32_e32 v40, 1
	s_and_saveexec_b64 s[34:35], s[4:5]
	s_cbranch_execz .LBB175_38
; %bb.35:                               ;   in Loop: Header=BB175_9 Depth=1
	v_and_b32_e32 v21, 0xffff, v42
	v_and_b32_e32 v43, 0x7f, v21
	v_cmp_ne_u32_e64 s[4:5], s42, v43
	v_mov_b32_e32 v40, 0x7f800001
	s_and_saveexec_b64 s[36:37], s[4:5]
	s_cbranch_execz .LBB175_37
; %bb.36:                               ;   in Loop: Header=BB175_9 Depth=1
	v_and_b32_e32 v40, 7, v21
	v_ffbh_u32_e32 v44, v40
	v_min_u32_e32 v47, 32, v44
	v_subrev_u32_e32 v44, 28, v47
	v_lshlrev_b64 v[44:45], v44, v[21:22]
	v_lshrrev_b32_e32 v46, 3, v43
	v_sub_u32_e32 v21, 29, v47
	v_and_b32_e32 v44, 7, v44
	v_cmp_gt_u32_e64 s[4:5], 8, v43
	v_cndmask_b32_e64 v21, v46, v21, s[4:5]
	v_cndmask_b32_e64 v40, v40, v44, s[4:5]
	v_lshlrev_b32_e32 v42, 24, v42
	v_lshlrev_b32_e32 v40, 20, v40
	v_and_b32_e32 v42, 0x80000000, v42
	v_lshl_add_u32 v21, v21, 23, v35
	v_or3_b32 v40, v42, v21, v40
.LBB175_37:                             ;   in Loop: Header=BB175_9 Depth=1
	s_or_b64 exec, exec, s[36:37]
.LBB175_38:                             ;   in Loop: Header=BB175_9 Depth=1
	s_or_b64 exec, exec, s[34:35]
.LBB175_39:                             ;   in Loop: Header=BB175_9 Depth=1
	s_or_b64 exec, exec, s[16:17]
	global_load_ubyte v44, v[19:20], off offset:264
	v_mov_b32_e32 v42, 0
	v_mov_b32_e32 v43, 0
	s_waitcnt vmcnt(0)
	v_cmp_ne_u16_e64 s[4:5], 0, v44
	s_and_saveexec_b64 s[16:17], s[4:5]
	s_cbranch_execz .LBB175_45
; %bb.40:                               ;   in Loop: Header=BB175_9 Depth=1
	v_cmp_ne_u16_e64 s[4:5], s41, v44
	v_bfrev_b32_e32 v43, 1
	s_and_saveexec_b64 s[34:35], s[4:5]
	s_cbranch_execz .LBB175_44
; %bb.41:                               ;   in Loop: Header=BB175_9 Depth=1
	v_and_b32_e32 v21, 0xffff, v44
	v_and_b32_e32 v45, 0x7f, v21
	v_cmp_ne_u32_e64 s[4:5], s42, v45
	v_mov_b32_e32 v43, 0x7f800001
	s_and_saveexec_b64 s[36:37], s[4:5]
	s_cbranch_execz .LBB175_43
; %bb.42:                               ;   in Loop: Header=BB175_9 Depth=1
	v_and_b32_e32 v43, 7, v21
	v_ffbh_u32_e32 v46, v43
	v_min_u32_e32 v49, 32, v46
	v_subrev_u32_e32 v46, 28, v49
	v_lshlrev_b64 v[46:47], v46, v[21:22]
	v_lshrrev_b32_e32 v48, 3, v45
	v_sub_u32_e32 v21, 29, v49
	v_and_b32_e32 v46, 7, v46
	v_cmp_gt_u32_e64 s[4:5], 8, v45
	v_cndmask_b32_e64 v21, v48, v21, s[4:5]
	v_cndmask_b32_e64 v43, v43, v46, s[4:5]
	v_lshlrev_b32_e32 v44, 24, v44
	v_lshlrev_b32_e32 v43, 20, v43
	v_and_b32_e32 v44, 0x80000000, v44
	v_lshl_add_u32 v21, v21, 23, v35
	v_or3_b32 v43, v44, v21, v43
.LBB175_43:                             ;   in Loop: Header=BB175_9 Depth=1
	s_or_b64 exec, exec, s[36:37]
.LBB175_44:                             ;   in Loop: Header=BB175_9 Depth=1
	s_or_b64 exec, exec, s[34:35]
.LBB175_45:                             ;   in Loop: Header=BB175_9 Depth=1
	s_or_b64 exec, exec, s[16:17]
	global_load_ubyte v44, v[19:20], off offset:384
	s_waitcnt vmcnt(0)
	v_cmp_ne_u16_e64 s[4:5], 0, v44
	s_and_saveexec_b64 s[16:17], s[4:5]
	s_cbranch_execz .LBB175_51
; %bb.46:                               ;   in Loop: Header=BB175_9 Depth=1
	v_cmp_ne_u16_e64 s[4:5], s41, v44
	v_bfrev_b32_e32 v42, 1
	s_and_saveexec_b64 s[34:35], s[4:5]
	s_cbranch_execz .LBB175_50
; %bb.47:                               ;   in Loop: Header=BB175_9 Depth=1
	v_and_b32_e32 v21, 0xffff, v44
	v_and_b32_e32 v45, 0x7f, v21
	v_cmp_ne_u32_e64 s[4:5], s42, v45
	v_mov_b32_e32 v42, 0x7f800001
	s_and_saveexec_b64 s[36:37], s[4:5]
	s_cbranch_execz .LBB175_49
; %bb.48:                               ;   in Loop: Header=BB175_9 Depth=1
	v_and_b32_e32 v42, 7, v21
	v_ffbh_u32_e32 v46, v42
	v_min_u32_e32 v49, 32, v46
	v_subrev_u32_e32 v46, 28, v49
	v_lshlrev_b64 v[46:47], v46, v[21:22]
	v_lshrrev_b32_e32 v48, 3, v45
	v_sub_u32_e32 v21, 29, v49
	v_and_b32_e32 v46, 7, v46
	v_cmp_gt_u32_e64 s[4:5], 8, v45
	v_cndmask_b32_e64 v21, v48, v21, s[4:5]
	v_cndmask_b32_e64 v42, v42, v46, s[4:5]
	v_lshlrev_b32_e32 v44, 24, v44
	v_lshlrev_b32_e32 v42, 20, v42
	v_and_b32_e32 v44, 0x80000000, v44
	v_lshl_add_u32 v21, v21, 23, v35
	v_or3_b32 v42, v44, v21, v42
.LBB175_49:                             ;   in Loop: Header=BB175_9 Depth=1
	s_or_b64 exec, exec, s[36:37]
.LBB175_50:                             ;   in Loop: Header=BB175_9 Depth=1
	s_or_b64 exec, exec, s[34:35]
.LBB175_51:                             ;   in Loop: Header=BB175_9 Depth=1
	s_or_b64 exec, exec, s[16:17]
	global_load_ubyte v46, v[19:20], off offset:392
	v_mov_b32_e32 v44, 0
	v_mov_b32_e32 v45, 0
	s_waitcnt vmcnt(0)
	v_cmp_ne_u16_e64 s[4:5], 0, v46
	s_and_saveexec_b64 s[16:17], s[4:5]
	s_cbranch_execz .LBB175_57
; %bb.52:                               ;   in Loop: Header=BB175_9 Depth=1
	v_cmp_ne_u16_e64 s[4:5], s41, v46
	v_bfrev_b32_e32 v45, 1
	s_and_saveexec_b64 s[34:35], s[4:5]
	s_cbranch_execz .LBB175_56
; %bb.53:                               ;   in Loop: Header=BB175_9 Depth=1
	v_and_b32_e32 v21, 0xffff, v46
	v_and_b32_e32 v47, 0x7f, v21
	v_cmp_ne_u32_e64 s[4:5], s42, v47
	v_mov_b32_e32 v45, 0x7f800001
	s_and_saveexec_b64 s[36:37], s[4:5]
	s_cbranch_execz .LBB175_55
; %bb.54:                               ;   in Loop: Header=BB175_9 Depth=1
	v_and_b32_e32 v45, 7, v21
	v_ffbh_u32_e32 v48, v45
	v_min_u32_e32 v51, 32, v48
	v_subrev_u32_e32 v48, 28, v51
	v_lshlrev_b64 v[48:49], v48, v[21:22]
	v_lshrrev_b32_e32 v50, 3, v47
	v_sub_u32_e32 v21, 29, v51
	v_and_b32_e32 v48, 7, v48
	v_cmp_gt_u32_e64 s[4:5], 8, v47
	v_cndmask_b32_e64 v21, v50, v21, s[4:5]
	v_cndmask_b32_e64 v45, v45, v48, s[4:5]
	v_lshlrev_b32_e32 v46, 24, v46
	v_lshlrev_b32_e32 v45, 20, v45
	v_and_b32_e32 v46, 0x80000000, v46
	v_lshl_add_u32 v21, v21, 23, v35
	v_or3_b32 v45, v46, v21, v45
.LBB175_55:                             ;   in Loop: Header=BB175_9 Depth=1
	s_or_b64 exec, exec, s[36:37]
.LBB175_56:                             ;   in Loop: Header=BB175_9 Depth=1
	s_or_b64 exec, exec, s[34:35]
.LBB175_57:                             ;   in Loop: Header=BB175_9 Depth=1
	s_or_b64 exec, exec, s[16:17]
	global_load_ubyte v46, v[19:20], off offset:512
	s_waitcnt vmcnt(0)
	v_cmp_ne_u16_e64 s[4:5], 0, v46
	s_and_saveexec_b64 s[16:17], s[4:5]
	s_cbranch_execz .LBB175_63
; %bb.58:                               ;   in Loop: Header=BB175_9 Depth=1
	v_cmp_ne_u16_e64 s[4:5], s41, v46
	v_bfrev_b32_e32 v44, 1
	s_and_saveexec_b64 s[34:35], s[4:5]
	s_cbranch_execz .LBB175_62
; %bb.59:                               ;   in Loop: Header=BB175_9 Depth=1
	v_and_b32_e32 v21, 0xffff, v46
	v_and_b32_e32 v47, 0x7f, v21
	v_cmp_ne_u32_e64 s[4:5], s42, v47
	v_mov_b32_e32 v44, 0x7f800001
	s_and_saveexec_b64 s[36:37], s[4:5]
	s_cbranch_execz .LBB175_61
; %bb.60:                               ;   in Loop: Header=BB175_9 Depth=1
	v_and_b32_e32 v44, 7, v21
	v_ffbh_u32_e32 v48, v44
	v_min_u32_e32 v51, 32, v48
	v_subrev_u32_e32 v48, 28, v51
	v_lshlrev_b64 v[48:49], v48, v[21:22]
	v_lshrrev_b32_e32 v50, 3, v47
	v_sub_u32_e32 v21, 29, v51
	v_and_b32_e32 v48, 7, v48
	v_cmp_gt_u32_e64 s[4:5], 8, v47
	v_cndmask_b32_e64 v21, v50, v21, s[4:5]
	v_cndmask_b32_e64 v44, v44, v48, s[4:5]
	v_lshlrev_b32_e32 v46, 24, v46
	v_lshlrev_b32_e32 v44, 20, v44
	v_and_b32_e32 v46, 0x80000000, v46
	v_lshl_add_u32 v21, v21, 23, v35
	v_or3_b32 v44, v46, v21, v44
.LBB175_61:                             ;   in Loop: Header=BB175_9 Depth=1
	s_or_b64 exec, exec, s[36:37]
.LBB175_62:                             ;   in Loop: Header=BB175_9 Depth=1
	s_or_b64 exec, exec, s[34:35]
.LBB175_63:                             ;   in Loop: Header=BB175_9 Depth=1
	s_or_b64 exec, exec, s[16:17]
	global_load_ubyte v48, v[19:20], off offset:520
	v_mov_b32_e32 v46, 0
	v_mov_b32_e32 v47, 0
	s_waitcnt vmcnt(0)
	v_cmp_ne_u16_e64 s[4:5], 0, v48
	s_and_saveexec_b64 s[16:17], s[4:5]
	s_cbranch_execz .LBB175_69
; %bb.64:                               ;   in Loop: Header=BB175_9 Depth=1
	v_cmp_ne_u16_e64 s[4:5], s41, v48
	v_bfrev_b32_e32 v47, 1
	s_and_saveexec_b64 s[34:35], s[4:5]
	s_cbranch_execz .LBB175_68
; %bb.65:                               ;   in Loop: Header=BB175_9 Depth=1
	v_and_b32_e32 v21, 0xffff, v48
	v_and_b32_e32 v49, 0x7f, v21
	v_cmp_ne_u32_e64 s[4:5], s42, v49
	v_mov_b32_e32 v47, 0x7f800001
	s_and_saveexec_b64 s[36:37], s[4:5]
	s_cbranch_execz .LBB175_67
; %bb.66:                               ;   in Loop: Header=BB175_9 Depth=1
	v_and_b32_e32 v47, 7, v21
	v_ffbh_u32_e32 v50, v47
	v_min_u32_e32 v53, 32, v50
	v_subrev_u32_e32 v50, 28, v53
	v_lshlrev_b64 v[50:51], v50, v[21:22]
	v_lshrrev_b32_e32 v52, 3, v49
	v_sub_u32_e32 v21, 29, v53
	v_and_b32_e32 v50, 7, v50
	v_cmp_gt_u32_e64 s[4:5], 8, v49
	v_cndmask_b32_e64 v21, v52, v21, s[4:5]
	v_cndmask_b32_e64 v47, v47, v50, s[4:5]
	v_lshlrev_b32_e32 v48, 24, v48
	v_lshlrev_b32_e32 v47, 20, v47
	v_and_b32_e32 v48, 0x80000000, v48
	v_lshl_add_u32 v21, v21, 23, v35
	v_or3_b32 v47, v48, v21, v47
.LBB175_67:                             ;   in Loop: Header=BB175_9 Depth=1
	s_or_b64 exec, exec, s[36:37]
.LBB175_68:                             ;   in Loop: Header=BB175_9 Depth=1
	s_or_b64 exec, exec, s[34:35]
.LBB175_69:                             ;   in Loop: Header=BB175_9 Depth=1
	s_or_b64 exec, exec, s[16:17]
	global_load_ubyte v48, v[19:20], off offset:640
	s_waitcnt vmcnt(0)
	v_cmp_ne_u16_e64 s[4:5], 0, v48
	s_and_saveexec_b64 s[16:17], s[4:5]
	s_cbranch_execz .LBB175_75
; %bb.70:                               ;   in Loop: Header=BB175_9 Depth=1
	v_cmp_ne_u16_e64 s[4:5], s41, v48
	v_bfrev_b32_e32 v46, 1
	s_and_saveexec_b64 s[34:35], s[4:5]
	s_cbranch_execz .LBB175_74
; %bb.71:                               ;   in Loop: Header=BB175_9 Depth=1
	v_and_b32_e32 v21, 0xffff, v48
	v_and_b32_e32 v49, 0x7f, v21
	v_cmp_ne_u32_e64 s[4:5], s42, v49
	v_mov_b32_e32 v46, 0x7f800001
	s_and_saveexec_b64 s[36:37], s[4:5]
	s_cbranch_execz .LBB175_73
; %bb.72:                               ;   in Loop: Header=BB175_9 Depth=1
	v_and_b32_e32 v46, 7, v21
	v_ffbh_u32_e32 v50, v46
	v_min_u32_e32 v53, 32, v50
	v_subrev_u32_e32 v50, 28, v53
	v_lshlrev_b64 v[50:51], v50, v[21:22]
	v_lshrrev_b32_e32 v52, 3, v49
	v_sub_u32_e32 v21, 29, v53
	v_and_b32_e32 v50, 7, v50
	v_cmp_gt_u32_e64 s[4:5], 8, v49
	v_cndmask_b32_e64 v21, v52, v21, s[4:5]
	v_cndmask_b32_e64 v46, v46, v50, s[4:5]
	v_lshlrev_b32_e32 v48, 24, v48
	v_lshlrev_b32_e32 v46, 20, v46
	v_and_b32_e32 v48, 0x80000000, v48
	v_lshl_add_u32 v21, v21, 23, v35
	v_or3_b32 v46, v48, v21, v46
.LBB175_73:                             ;   in Loop: Header=BB175_9 Depth=1
	s_or_b64 exec, exec, s[36:37]
.LBB175_74:                             ;   in Loop: Header=BB175_9 Depth=1
	s_or_b64 exec, exec, s[34:35]
.LBB175_75:                             ;   in Loop: Header=BB175_9 Depth=1
	s_or_b64 exec, exec, s[16:17]
	global_load_ubyte v50, v[19:20], off offset:648
	v_mov_b32_e32 v48, 0
	v_mov_b32_e32 v49, 0
	s_waitcnt vmcnt(0)
	v_cmp_ne_u16_e64 s[4:5], 0, v50
	s_and_saveexec_b64 s[16:17], s[4:5]
	s_cbranch_execz .LBB175_81
; %bb.76:                               ;   in Loop: Header=BB175_9 Depth=1
	v_cmp_ne_u16_e64 s[4:5], s41, v50
	v_bfrev_b32_e32 v49, 1
	s_and_saveexec_b64 s[34:35], s[4:5]
	s_cbranch_execz .LBB175_80
; %bb.77:                               ;   in Loop: Header=BB175_9 Depth=1
	v_and_b32_e32 v21, 0xffff, v50
	v_and_b32_e32 v51, 0x7f, v21
	v_cmp_ne_u32_e64 s[4:5], s42, v51
	v_mov_b32_e32 v49, 0x7f800001
	s_and_saveexec_b64 s[36:37], s[4:5]
	s_cbranch_execz .LBB175_79
; %bb.78:                               ;   in Loop: Header=BB175_9 Depth=1
	v_and_b32_e32 v49, 7, v21
	v_ffbh_u32_e32 v52, v49
	v_min_u32_e32 v55, 32, v52
	v_subrev_u32_e32 v52, 28, v55
	v_lshlrev_b64 v[52:53], v52, v[21:22]
	v_lshrrev_b32_e32 v54, 3, v51
	v_sub_u32_e32 v21, 29, v55
	v_and_b32_e32 v52, 7, v52
	v_cmp_gt_u32_e64 s[4:5], 8, v51
	v_cndmask_b32_e64 v21, v54, v21, s[4:5]
	v_cndmask_b32_e64 v49, v49, v52, s[4:5]
	v_lshlrev_b32_e32 v50, 24, v50
	v_lshlrev_b32_e32 v49, 20, v49
	v_and_b32_e32 v50, 0x80000000, v50
	v_lshl_add_u32 v21, v21, 23, v35
	v_or3_b32 v49, v50, v21, v49
.LBB175_79:                             ;   in Loop: Header=BB175_9 Depth=1
	s_or_b64 exec, exec, s[36:37]
.LBB175_80:                             ;   in Loop: Header=BB175_9 Depth=1
	s_or_b64 exec, exec, s[34:35]
.LBB175_81:                             ;   in Loop: Header=BB175_9 Depth=1
	s_or_b64 exec, exec, s[16:17]
	global_load_ubyte v50, v[19:20], off offset:768
	s_waitcnt vmcnt(0)
	v_cmp_ne_u16_e64 s[4:5], 0, v50
	s_and_saveexec_b64 s[16:17], s[4:5]
	s_cbranch_execz .LBB175_87
; %bb.82:                               ;   in Loop: Header=BB175_9 Depth=1
	v_cmp_ne_u16_e64 s[4:5], s41, v50
	v_bfrev_b32_e32 v48, 1
	s_and_saveexec_b64 s[34:35], s[4:5]
	s_cbranch_execz .LBB175_86
; %bb.83:                               ;   in Loop: Header=BB175_9 Depth=1
	v_and_b32_e32 v21, 0xffff, v50
	v_and_b32_e32 v51, 0x7f, v21
	v_cmp_ne_u32_e64 s[4:5], s42, v51
	v_mov_b32_e32 v48, 0x7f800001
	s_and_saveexec_b64 s[36:37], s[4:5]
	s_cbranch_execz .LBB175_85
; %bb.84:                               ;   in Loop: Header=BB175_9 Depth=1
	v_and_b32_e32 v48, 7, v21
	v_ffbh_u32_e32 v52, v48
	v_min_u32_e32 v55, 32, v52
	v_subrev_u32_e32 v52, 28, v55
	v_lshlrev_b64 v[52:53], v52, v[21:22]
	v_lshrrev_b32_e32 v54, 3, v51
	v_sub_u32_e32 v21, 29, v55
	v_and_b32_e32 v52, 7, v52
	v_cmp_gt_u32_e64 s[4:5], 8, v51
	v_cndmask_b32_e64 v21, v54, v21, s[4:5]
	v_cndmask_b32_e64 v48, v48, v52, s[4:5]
	v_lshlrev_b32_e32 v50, 24, v50
	v_lshlrev_b32_e32 v48, 20, v48
	v_and_b32_e32 v50, 0x80000000, v50
	v_lshl_add_u32 v21, v21, 23, v35
	v_or3_b32 v48, v50, v21, v48
.LBB175_85:                             ;   in Loop: Header=BB175_9 Depth=1
	s_or_b64 exec, exec, s[36:37]
.LBB175_86:                             ;   in Loop: Header=BB175_9 Depth=1
	s_or_b64 exec, exec, s[34:35]
.LBB175_87:                             ;   in Loop: Header=BB175_9 Depth=1
	s_or_b64 exec, exec, s[16:17]
	global_load_ubyte v21, v[19:20], off offset:776
	v_mov_b32_e32 v20, 0
	s_waitcnt vmcnt(0)
	v_cmp_ne_u16_e64 s[4:5], 0, v21
	s_and_saveexec_b64 s[16:17], s[4:5]
	s_cbranch_execz .LBB175_93
; %bb.88:                               ;   in Loop: Header=BB175_9 Depth=1
	v_cmp_ne_u16_e64 s[4:5], s41, v21
	v_bfrev_b32_e32 v20, 1
	s_and_saveexec_b64 s[34:35], s[4:5]
	s_cbranch_execz .LBB175_92
; %bb.89:                               ;   in Loop: Header=BB175_9 Depth=1
	v_and_b32_e32 v19, 0xffff, v21
	v_and_b32_e32 v50, 0x7f, v19
	v_cmp_ne_u32_e64 s[4:5], s42, v50
	v_mov_b32_e32 v20, 0x7f800001
	s_and_saveexec_b64 s[36:37], s[4:5]
	s_cbranch_execz .LBB175_91
; %bb.90:                               ;   in Loop: Header=BB175_9 Depth=1
	v_and_b32_e32 v51, 7, v19
	v_ffbh_u32_e32 v20, v51
	v_min_u32_e32 v53, 32, v20
	v_subrev_u32_e32 v20, 28, v53
	v_lshlrev_b64 v[19:20], v20, v[19:20]
	v_lshrrev_b32_e32 v52, 3, v50
	v_sub_u32_e32 v20, 29, v53
	v_and_b32_e32 v19, 7, v19
	v_cmp_gt_u32_e64 s[4:5], 8, v50
	v_cndmask_b32_e64 v20, v52, v20, s[4:5]
	v_cndmask_b32_e64 v19, v51, v19, s[4:5]
	v_lshlrev_b32_e32 v21, 24, v21
	v_lshlrev_b32_e32 v19, 20, v19
	v_and_b32_e32 v21, 0x80000000, v21
	v_lshl_add_u32 v20, v20, 23, v35
	v_or3_b32 v20, v21, v20, v19
.LBB175_91:                             ;   in Loop: Header=BB175_9 Depth=1
	s_or_b64 exec, exec, s[36:37]
.LBB175_92:                             ;   in Loop: Header=BB175_9 Depth=1
	s_or_b64 exec, exec, s[34:35]
.LBB175_93:                             ;   in Loop: Header=BB175_9 Depth=1
	s_or_b64 exec, exec, s[16:17]
	s_waitcnt lgkmcnt(0)
	v_mul_f32_e32 v39, s39, v39
	v_mul_f32_e32 v37, s39, v37
	;; [unrolled: 1-line block ×4, first 2 shown]
	v_fmac_f32_e32 v39, v5, v37
	v_mul_f32_e32 v41, s39, v41
	v_fmac_f32_e32 v39, v7, v38
	v_mul_f32_e32 v40, s39, v40
	;; [unrolled: 2-line block ×11, first 2 shown]
	v_fmac_f32_e32 v39, v17, v19
	v_fmac_f32_e32 v39, v18, v20
	ds_bpermute_b32 v19, v30, v39
	s_waitcnt lgkmcnt(0)
	v_add_f32_e32 v19, v39, v19
	ds_bpermute_b32 v20, v31, v19
	s_waitcnt lgkmcnt(0)
	v_add_f32_e32 v19, v19, v20
	ds_bpermute_b32 v20, v32, v19
	s_and_saveexec_b64 s[16:17], vcc
	s_cbranch_execz .LBB175_8
; %bb.94:                               ;   in Loop: Header=BB175_9 Depth=1
	v_add_u32_e32 v21, s40, v33
	v_cvt_f32_i32_e32 v21, v21
	s_waitcnt lgkmcnt(0)
	v_add_f32_e32 v19, v19, v20
	v_cmp_gt_i32_e64 s[4:5], s30, v33
	v_max_f32_e32 v20, v28, v28
	v_mul_f32_e32 v21, s33, v21
	v_cndmask_b32_e64 v21, 0, v21, s[2:3]
	v_fmac_f32_e32 v21, s31, v19
	v_cndmask_b32_e64 v19, 0, v21, s[4:5]
	ds_write_b32 v34, v19
	v_max_f32_e32 v19, v20, v21
	v_cndmask_b32_e64 v28, v28, v19, s[4:5]
	s_branch .LBB175_8
.LBB175_95:
	s_or_b64 exec, exec, s[14:15]
.LBB175_96:
	s_or_b64 exec, exec, s[6:7]
	v_xor_b32_e32 v1, 32, v24
	v_cmp_lt_i32_e32 vcc, v1, v25
	v_cndmask_b32_e32 v1, v24, v1, vcc
	v_lshlrev_b32_e32 v3, 2, v1
	ds_bpermute_b32 v1, v3, v28
	v_xor_b32_e32 v4, 16, v24
	v_max_f32_e32 v2, v28, v28
	v_cmp_lt_i32_e32 vcc, v4, v25
	v_xor_b32_e32 v6, 8, v24
	s_waitcnt lgkmcnt(0)
	v_max_f32_e32 v1, v1, v1
	v_max_f32_e32 v1, v2, v1
	v_cndmask_b32_e32 v2, v24, v4, vcc
	v_lshlrev_b32_e32 v5, 2, v2
	ds_bpermute_b32 v2, v5, v1
	v_cmp_lt_i32_e32 vcc, v6, v25
	s_waitcnt lgkmcnt(0)
	v_max_f32_e32 v2, v2, v2
	v_max_f32_e32 v4, v1, v2
	v_cndmask_b32_e32 v1, v24, v6, vcc
	v_lshlrev_b32_e32 v6, 2, v1
	ds_bpermute_b32 v7, v6, v4
	v_and_b32_e32 v1, 63, v0
	v_cmp_eq_u32_e32 vcc, 0, v1
	v_lshlrev_b32_e32 v2, 2, v27
	s_and_saveexec_b64 s[2:3], vcc
	s_cbranch_execz .LBB175_98
; %bb.97:
	s_waitcnt lgkmcnt(0)
	v_max_f32_e32 v7, v7, v7
	v_max_f32_e32 v4, v4, v4
	;; [unrolled: 1-line block ×3, first 2 shown]
	ds_write_b32 v2, v4 offset:448
.LBB175_98:
	s_or_b64 exec, exec, s[2:3]
	v_cmp_gt_u32_e64 s[2:3], 2, v1
	s_waitcnt lgkmcnt(0)
	v_mov_b32_e32 v7, 0xff7fffff
	v_lshlrev_b32_e32 v4, 2, v1
	s_barrier
	s_and_saveexec_b64 s[4:5], s[2:3]
; %bb.99:
	ds_read_b32 v7, v4 offset:448
; %bb.100:
	s_or_b64 exec, exec, s[4:5]
	v_xor_b32_e32 v8, 1, v24
	v_cmp_lt_i32_e64 s[4:5], v8, v25
	v_cndmask_b32_e64 v8, v24, v8, s[4:5]
	v_lshlrev_b32_e32 v28, 2, v8
	s_waitcnt lgkmcnt(0)
	ds_bpermute_b32 v8, v28, v7
	v_max_f32_e32 v7, v7, v7
	s_lshl_b32 s4, s21, 3
	s_min_i32 s31, s4, s30
	v_cmp_gt_i32_e64 s[4:5], s31, v0
	s_waitcnt lgkmcnt(0)
	v_max_f32_e32 v8, v8, v8
	v_max_f32_e32 v7, v7, v8
	v_lshlrev_b32_e32 v8, 2, v29
	ds_bpermute_b32 v8, v8, v7
	v_mov_b32_e32 v7, 0
	s_and_saveexec_b64 s[14:15], s[4:5]
	s_cbranch_execz .LBB175_104
; %bb.101:
	v_mov_b32_e32 v7, 0x1d0
	v_lshl_add_u32 v9, v0, 2, v7
	v_mov_b32_e32 v7, 0
	s_mov_b64 s[16:17], 0
	v_mov_b32_e32 v10, v0
.LBB175_102:                            ; =>This Inner Loop Header: Depth=1
	ds_read_b32 v11, v9
	v_add_u32_e32 v10, 0x80, v10
	v_cmp_le_i32_e64 s[6:7], s31, v10
	s_or_b64 s[16:17], s[6:7], s[16:17]
	s_waitcnt lgkmcnt(0)
	v_sub_f32_e32 v11, v11, v8
	v_mul_f32_e32 v11, 0x3fb8aa3b, v11
	v_exp_f32_e32 v11, v11
	ds_write_b32 v9, v11
	v_add_f32_e32 v7, v7, v11
	v_add_u32_e32 v9, 0x200, v9
	s_andn2_b64 exec, exec, s[16:17]
	s_cbranch_execnz .LBB175_102
; %bb.103:
	s_or_b64 exec, exec, s[16:17]
.LBB175_104:
	s_or_b64 exec, exec, s[14:15]
	ds_bpermute_b32 v3, v3, v7
	s_waitcnt lgkmcnt(0)
	v_add_f32_e32 v3, v7, v3
	ds_bpermute_b32 v5, v5, v3
	s_waitcnt lgkmcnt(0)
	v_add_f32_e32 v3, v3, v5
	ds_bpermute_b32 v5, v6, v3
	v_xor_b32_e32 v6, 4, v24
	v_cmp_lt_i32_e64 s[6:7], v6, v25
	v_cndmask_b32_e64 v6, v24, v6, s[6:7]
	v_lshlrev_b32_e32 v6, 2, v6
	s_waitcnt lgkmcnt(0)
	v_add_f32_e32 v3, v3, v5
	ds_bpermute_b32 v5, v6, v3
	v_xor_b32_e32 v6, 2, v24
	v_cmp_lt_i32_e64 s[6:7], v6, v25
	v_cndmask_b32_e64 v6, v24, v6, s[6:7]
	s_waitcnt lgkmcnt(0)
	v_add_f32_e32 v3, v3, v5
	v_lshlrev_b32_e32 v5, 2, v6
	ds_bpermute_b32 v5, v5, v3
	s_waitcnt lgkmcnt(0)
	v_add_f32_e32 v3, v3, v5
	ds_bpermute_b32 v5, v28, v3
	s_waitcnt lgkmcnt(0)
	v_add_f32_e32 v3, v3, v5
	s_and_saveexec_b64 s[6:7], vcc
; %bb.105:
	ds_write_b32 v2, v3 offset:456
; %bb.106:
	s_or_b64 exec, exec, s[6:7]
	s_waitcnt lgkmcnt(0)
	s_barrier
	s_and_saveexec_b64 s[6:7], s[2:3]
; %bb.107:
	ds_read_b32 v3, v4 offset:456
; %bb.108:
	s_or_b64 exec, exec, s[6:7]
	s_waitcnt lgkmcnt(0)
	ds_bpermute_b32 v2, v28, v3
	v_lshlrev_b32_e32 v4, 2, v24
	s_waitcnt lgkmcnt(0)
	v_add_f32_e32 v2, v3, v2
	v_and_b32_e32 v3, 0xffffff00, v4
	ds_bpermute_b32 v2, v3, v2
	s_and_saveexec_b64 s[2:3], s[4:5]
	s_cbranch_execz .LBB175_111
; %bb.109:
	s_waitcnt lgkmcnt(0)
	v_add_f32_e32 v3, 0x358637bd, v2
	v_div_scale_f32 v2, s[4:5], v3, v3, 1.0
	v_div_scale_f32 v4, vcc, 1.0, v3, 1.0
	s_mov_b64 s[4:5], 0
	v_rcp_f32_e32 v5, v2
	v_fma_f32 v6, -v2, v5, 1.0
	v_fmac_f32_e32 v5, v6, v5
	v_mul_f32_e32 v6, v4, v5
	v_fma_f32 v7, -v2, v6, v4
	v_fmac_f32_e32 v6, v7, v5
	v_fma_f32 v2, -v2, v6, v4
	v_div_fmas_f32 v4, v2, v5, v6
	v_mov_b32_e32 v2, 0x1d0
	v_lshl_add_u32 v2, v0, 2, v2
	v_div_fixup_f32 v3, v4, v3, 1.0
	v_mov_b32_e32 v4, v0
.LBB175_110:                            ; =>This Inner Loop Header: Depth=1
	ds_read_b32 v5, v2
	v_add_u32_e32 v4, 0x80, v4
	v_cmp_le_i32_e32 vcc, s31, v4
	s_or_b64 s[4:5], vcc, s[4:5]
	s_waitcnt lgkmcnt(0)
	v_mul_f32_e32 v5, v3, v5
	ds_write_b32 v2, v5
	v_add_u32_e32 v2, 0x200, v2
	s_andn2_b64 exec, exec, s[4:5]
	s_cbranch_execnz .LBB175_110
.LBB175_111:
	s_or_b64 exec, exec, s[2:3]
	v_lshrrev_b32_e32 v29, 1, v1
	s_waitcnt lgkmcnt(0)
	s_barrier
	s_and_saveexec_b64 s[2:3], s[0:1]
	s_xor_b64 s[0:1], exec, s[2:3]
; %bb.112:
	v_lshrrev_b32_e32 v29, 1, v1
                                        ; implicit-def: $vgpr27
                                        ; implicit-def: $vgpr22
                                        ; implicit-def: $vgpr23
; %bb.113:
	s_or_saveexec_b64 s[4:5], s[0:1]
	v_mov_b32_e32 v32, 0
	v_and_b32_e32 v30, 1, v0
	v_mov_b32_e32 v34, 0
	v_mov_b32_e32 v33, 0
	;; [unrolled: 1-line block ×3, first 2 shown]
	s_xor_b64 exec, exec, s[4:5]
	s_cbranch_execz .LBB175_223
; %bb.114:
	s_ashr_i32 s0, s12, 31
	s_add_u32 s2, s28, s12
	v_and_b32_e32 v1, 4, v22
	s_addc_u32 s3, s29, s0
	v_or_b32_e32 v2, 0x60, v29
	s_movk_i32 s0, 0x70
	s_load_dword s28, s[18:19], 0x0
	v_cmp_gt_u32_e32 vcc, s0, v2
	v_lshl_or_b32 v35, v2, 3, v1
	v_lshlrev_b32_e32 v2, 3, v27
	s_add_i32 s29, s21, -1
	v_lshl_or_b32 v31, v29, 3, v1
	v_or3_b32 v37, v2, v1, 3
	v_lshlrev_b32_e32 v1, 4, v30
	s_lshl_b64 s[0:1], s[26:27], 2
	v_lshl_or_b32 v1, v27, 5, v1
	s_add_u32 s0, s24, s0
	v_add_u32_e32 v38, 0x1d0, v1
	v_and_b32_e32 v1, 60, v23
	s_addc_u32 s1, s25, s1
	v_mov_b32_e32 v5, 0
	v_mov_b32_e32 v2, s1
	v_add_co_u32_e64 v7, s[0:1], s0, v1
	v_mov_b32_e32 v10, s3
	s_mov_b32 s31, s13
	s_waitcnt lgkmcnt(0)
	s_mov_b32 s33, s28
	v_addc_co_u32_e64 v8, s[0:1], 0, v2, s[0:1]
	s_mov_b64 s[6:7], 0
	v_mov_b32_e32 v9, s2
	s_movk_i32 s24, 0x80
	s_movk_i32 s25, 0x7f
	s_brev_b32 s26, 1
	s_mov_b32 s27, 0xffffff
	v_bfrev_b32_e32 v39, 60
	v_bfrev_b32_e32 v6, 1
	v_mov_b32_e32 v12, 0x7f800001
	v_mov_b32_e32 v40, 7
	;; [unrolled: 1-line block ×7, first 2 shown]
	s_branch .LBB175_117
.LBB175_115:                            ;   in Loop: Header=BB175_117 Depth=1
	s_or_b64 exec, exec, s[2:3]
	s_waitcnt lgkmcnt(0)
	v_mul_f32_e32 v15, v1, v15
	v_fmac_f32_e32 v15, v2, v11
	v_fmac_f32_e32 v15, v3, v14
	;; [unrolled: 1-line block ×3, first 2 shown]
	v_add_f32_e32 v36, v36, v15
.LBB175_116:                            ;   in Loop: Header=BB175_117 Depth=1
	s_or_b64 exec, exec, s[12:13]
	s_waitcnt lgkmcnt(0)
	v_mul_f32_e32 v11, v1, v50
	v_fmac_f32_e32 v11, v2, v49
	v_fmac_f32_e32 v11, v3, v23
	;; [unrolled: 1-line block ×3, first 2 shown]
	v_add_f32_e32 v33, v33, v11
	v_mul_f32_e32 v11, v1, v48
	v_mul_f32_e32 v1, v1, v45
	v_fmac_f32_e32 v11, v2, v47
	v_fmac_f32_e32 v1, v2, v42
	v_add_u32_e32 v27, 2, v27
	v_fmac_f32_e32 v11, v3, v25
	v_fmac_f32_e32 v1, v3, v44
	v_cmp_le_i32_e64 s[0:1], s21, v27
	v_fmac_f32_e32 v11, v4, v24
	v_fmac_f32_e32 v1, v4, v43
	s_or_b64 s[6:7], s[0:1], s[6:7]
	v_add_co_u32_e64 v7, s[0:1], 8, v7
	v_add_f32_e32 v34, v34, v11
	v_add_f32_e32 v32, v32, v1
	v_add_u32_e32 v37, 16, v37
	v_add_u32_e32 v38, 64, v38
	v_addc_co_u32_e64 v8, s[0:1], 0, v8, s[0:1]
	s_andn2_b64 exec, exec, s[6:7]
	s_cbranch_execz .LBB175_222
.LBB175_117:                            ; =>This Inner Loop Header: Depth=1
	global_load_dword v1, v[7:8], off
	v_mov_b32_e32 v20, 0
	v_mov_b32_e32 v18, 0
	;; [unrolled: 1-line block ×4, first 2 shown]
	s_waitcnt vmcnt(0)
	v_mad_i64_i32 v[13:14], s[0:1], v1, s31, v[9:10]
	ds_read_b128 v[1:4], v38
	v_add_co_u32_e64 v15, s[0:1], v13, v31
	v_addc_co_u32_e64 v16, s[0:1], 0, v14, s[0:1]
	global_load_dword v17, v[15:16], off
	s_waitcnt vmcnt(0)
	v_cmp_ne_u16_sdwa s[0:1], v17, v5 src0_sel:BYTE_0 src1_sel:DWORD
	s_and_saveexec_b64 s[2:3], s[0:1]
	s_cbranch_execz .LBB175_123
; %bb.118:                              ;   in Loop: Header=BB175_117 Depth=1
	v_bfrev_b32_e32 v18, 1
	v_mov_b32_e32 v19, 0
	v_cmp_ne_u16_sdwa s[0:1], v17, s24 src0_sel:BYTE_0 src1_sel:DWORD
	s_and_saveexec_b64 s[12:13], s[0:1]
	s_cbranch_execz .LBB175_122
; %bb.119:                              ;   in Loop: Header=BB175_117 Depth=1
	v_and_b32_e32 v11, 0x7f, v17
	v_mov_b32_e32 v18, 0x7f800001
	v_mov_b32_e32 v19, 0
	v_cmp_ne_u32_e64 s[0:1], s25, v11
	s_and_saveexec_b64 s[14:15], s[0:1]
	s_cbranch_execz .LBB175_121
; %bb.120:                              ;   in Loop: Header=BB175_117 Depth=1
	v_and_b32_e32 v22, 7, v17
	v_ffbh_u32_e32 v18, v22
	v_min_u32_e32 v24, 32, v18
	v_subrev_u32_e32 v18, 28, v24
	v_lshlrev_b64 v[18:19], v18, v[17:18]
	v_lshrrev_b32_e32 v23, 3, v11
	v_sub_u32_e32 v19, 29, v24
	v_and_b32_e32 v18, 7, v18
	v_cmp_gt_u32_e64 s[0:1], 8, v11
	v_cndmask_b32_e64 v11, v23, v19, s[0:1]
	v_cndmask_b32_e64 v18, v22, v18, s[0:1]
	v_lshlrev_b32_e32 v18, 20, v18
	v_and_b32_sdwa v19, sext(v17), s26 dst_sel:DWORD dst_unused:UNUSED_PAD src0_sel:BYTE_0 src1_sel:DWORD
	v_lshl_add_u32 v11, v11, 23, v39
	v_or3_b32 v18, v19, v11, v18
	v_mov_b32_e32 v19, v5
.LBB175_121:                            ;   in Loop: Header=BB175_117 Depth=1
	s_or_b64 exec, exec, s[14:15]
.LBB175_122:                            ;   in Loop: Header=BB175_117 Depth=1
	s_or_b64 exec, exec, s[12:13]
.LBB175_123:                            ;   in Loop: Header=BB175_117 Depth=1
	s_or_b64 exec, exec, s[2:3]
	v_cmp_ne_u16_sdwa s[0:1], v17, v5 src0_sel:BYTE_1 src1_sel:DWORD
	s_and_saveexec_b64 s[2:3], s[0:1]
	s_cbranch_execz .LBB175_129
; %bb.124:                              ;   in Loop: Header=BB175_117 Depth=1
	v_mov_b32_e32 v21, v6
	v_cmp_ne_u16_sdwa s[0:1], v17, s24 src0_sel:BYTE_1 src1_sel:DWORD
	v_mov_b32_e32 v20, v5
	s_and_saveexec_b64 s[12:13], s[0:1]
	s_cbranch_execz .LBB175_128
; %bb.125:                              ;   in Loop: Header=BB175_117 Depth=1
	v_and_b32_sdwa v22, v17, s25 dst_sel:DWORD dst_unused:UNUSED_PAD src0_sel:BYTE_1 src1_sel:DWORD
	v_mov_b32_e32 v11, v5
	v_mov_b32_e32 v21, v12
	v_cmp_ne_u32_e64 s[0:1], s25, v22
	v_mov_b32_e32 v20, v11
	s_and_saveexec_b64 s[14:15], s[0:1]
	s_cbranch_execz .LBB175_127
; %bb.126:                              ;   in Loop: Header=BB175_117 Depth=1
	v_and_b32_sdwa v20, v17, v40 dst_sel:DWORD dst_unused:UNUSED_PAD src0_sel:BYTE_1 src1_sel:DWORD
	v_ffbh_u32_e32 v23, v20
	v_min_u32_e32 v25, 32, v23
	v_mov_b32_e32 v21, v5
	v_subrev_u32_e32 v23, 28, v25
	v_lshlrev_b64 v[23:24], v23, v[20:21]
	v_lshrrev_b32_e32 v11, 3, v22
	v_sub_u32_e32 v21, 29, v25
	v_cmp_gt_u32_e64 s[0:1], 8, v22
	v_and_b32_e32 v23, 7, v23
	v_cndmask_b32_e64 v11, v11, v21, s[0:1]
	v_cndmask_b32_e64 v20, v20, v23, s[0:1]
	v_lshlrev_b32_e32 v21, 16, v17
	v_lshl_add_u32 v11, v11, 23, v39
	v_and_or_b32 v11, v21, s26, v11
	v_lshlrev_b32_e32 v20, 20, v20
	v_or_b32_e32 v21, v11, v20
	v_mov_b32_e32 v20, v5
.LBB175_127:                            ;   in Loop: Header=BB175_117 Depth=1
	s_or_b64 exec, exec, s[14:15]
.LBB175_128:                            ;   in Loop: Header=BB175_117 Depth=1
	s_or_b64 exec, exec, s[12:13]
.LBB175_129:                            ;   in Loop: Header=BB175_117 Depth=1
	s_or_b64 exec, exec, s[2:3]
	v_lshrrev_b32_e32 v11, 16, v17
	v_mov_b32_e32 v24, 0
	v_mov_b32_e32 v22, 0
	;; [unrolled: 1-line block ×4, first 2 shown]
	v_cmp_ne_u16_sdwa s[0:1], v11, v5 src0_sel:BYTE_0 src1_sel:DWORD
	s_and_saveexec_b64 s[2:3], s[0:1]
	s_cbranch_execz .LBB175_135
; %bb.130:                              ;   in Loop: Header=BB175_117 Depth=1
	v_bfrev_b32_e32 v22, 1
	v_mov_b32_e32 v23, 0
	v_cmp_ne_u16_sdwa s[0:1], v11, s24 src0_sel:BYTE_0 src1_sel:DWORD
	s_and_saveexec_b64 s[12:13], s[0:1]
	s_cbranch_execz .LBB175_134
; %bb.131:                              ;   in Loop: Header=BB175_117 Depth=1
	v_bfe_u32 v42, v17, 16, 7
	v_mov_b32_e32 v22, 0x7f800001
	v_mov_b32_e32 v23, 0
	v_cmp_ne_u32_e64 s[0:1], s25, v42
	s_and_saveexec_b64 s[14:15], s[0:1]
	s_cbranch_execz .LBB175_133
; %bb.132:                              ;   in Loop: Header=BB175_117 Depth=1
	v_and_b32_e32 v43, 7, v11
	v_ffbh_u32_e32 v22, v43
	v_min_u32_e32 v45, 32, v22
	v_subrev_u32_e32 v22, 28, v45
	v_lshlrev_b64 v[22:23], v22, v[11:12]
	v_lshrrev_b32_e32 v44, 3, v42
	v_sub_u32_e32 v23, 29, v45
	v_and_b32_e32 v22, 7, v22
	v_cmp_gt_u32_e64 s[0:1], 8, v42
	v_cndmask_b32_e64 v23, v44, v23, s[0:1]
	v_cndmask_b32_e64 v22, v43, v22, s[0:1]
	v_lshlrev_b32_e32 v22, 20, v22
	v_and_b32_sdwa v11, sext(v11), s26 dst_sel:DWORD dst_unused:UNUSED_PAD src0_sel:BYTE_0 src1_sel:DWORD
	v_lshl_add_u32 v23, v23, 23, v39
	v_or3_b32 v22, v11, v23, v22
	v_mov_b32_e32 v23, v5
.LBB175_133:                            ;   in Loop: Header=BB175_117 Depth=1
	s_or_b64 exec, exec, s[14:15]
.LBB175_134:                            ;   in Loop: Header=BB175_117 Depth=1
	s_or_b64 exec, exec, s[12:13]
.LBB175_135:                            ;   in Loop: Header=BB175_117 Depth=1
	s_or_b64 exec, exec, s[2:3]
	v_cmp_lt_u32_e64 s[0:1], s27, v17
	s_and_saveexec_b64 s[2:3], s[0:1]
	s_cbranch_execz .LBB175_141
; %bb.136:                              ;   in Loop: Header=BB175_117 Depth=1
	v_mov_b32_e32 v25, v6
	v_cmp_ne_u32_sdwa s[0:1], v17, s24 src0_sel:BYTE_3 src1_sel:DWORD
	v_mov_b32_e32 v24, v5
	s_and_saveexec_b64 s[12:13], s[0:1]
	s_cbranch_execz .LBB175_140
; %bb.137:                              ;   in Loop: Header=BB175_117 Depth=1
	v_bfe_u32 v42, v17, 24, 7
	v_mov_b32_e32 v11, v5
	v_mov_b32_e32 v25, v12
	v_cmp_ne_u32_e64 s[0:1], s25, v42
	v_mov_b32_e32 v24, v11
	s_and_saveexec_b64 s[14:15], s[0:1]
	s_cbranch_execz .LBB175_139
; %bb.138:                              ;   in Loop: Header=BB175_117 Depth=1
	v_and_b32_sdwa v24, v17, v40 dst_sel:DWORD dst_unused:UNUSED_PAD src0_sel:BYTE_3 src1_sel:DWORD
	v_ffbh_u32_e32 v43, v24
	v_min_u32_e32 v45, 32, v43
	v_mov_b32_e32 v25, v5
	v_subrev_u32_e32 v43, 28, v45
	v_lshlrev_b64 v[43:44], v43, v[24:25]
	v_lshrrev_b32_e32 v11, 3, v42
	v_sub_u32_e32 v25, 29, v45
	v_cmp_gt_u32_e64 s[0:1], 8, v42
	v_and_b32_e32 v43, 7, v43
	v_cndmask_b32_e64 v11, v11, v25, s[0:1]
	v_cndmask_b32_e64 v24, v24, v43, s[0:1]
	v_lshlrev_b32_sdwa v17, v41, v17 dst_sel:DWORD dst_unused:UNUSED_PAD src0_sel:DWORD src1_sel:BYTE_3
	v_lshl_add_u32 v11, v11, 23, v39
	v_and_or_b32 v11, v17, s26, v11
	v_lshlrev_b32_e32 v17, 20, v24
	v_or_b32_e32 v25, v11, v17
	v_mov_b32_e32 v24, v5
.LBB175_139:                            ;   in Loop: Header=BB175_117 Depth=1
	s_or_b64 exec, exec, s[14:15]
.LBB175_140:                            ;   in Loop: Header=BB175_117 Depth=1
	s_or_b64 exec, exec, s[12:13]
.LBB175_141:                            ;   in Loop: Header=BB175_117 Depth=1
	s_or_b64 exec, exec, s[2:3]
	v_or_b32_e32 v11, v21, v19
	v_or_b32_e32 v17, v20, v18
	v_mul_f32_e32 v42, s33, v11
	v_mul_f32_e32 v45, s28, v17
	v_or_b32_e32 v11, v25, v23
	v_or_b32_e32 v17, v24, v22
	v_add_u32_e32 v46, -3, v37
	v_cmp_eq_u32_e64 s[0:1], s29, v27
	v_mul_f32_e32 v44, s28, v17
	v_mul_f32_e32 v43, s33, v11
	s_and_saveexec_b64 s[12:13], s[0:1]
	s_cbranch_execz .LBB175_143
; %bb.142:                              ;   in Loop: Header=BB175_117 Depth=1
	v_cmp_gt_i32_e64 s[2:3], s30, v46
	v_add_u32_e32 v11, -2, v37
	v_cndmask_b32_e64 v45, 0, v45, s[2:3]
	v_cmp_gt_i32_e64 s[2:3], s30, v11
	v_add_u32_e32 v11, -1, v37
	v_cndmask_b32_e64 v42, 0, v42, s[2:3]
	v_cmp_gt_i32_e64 s[2:3], s30, v11
	v_cndmask_b32_e64 v44, 0, v44, s[2:3]
	v_cmp_gt_i32_e64 s[2:3], s30, v37
	v_cndmask_b32_e64 v43, 0, v43, s[2:3]
.LBB175_143:                            ;   in Loop: Header=BB175_117 Depth=1
	s_or_b64 exec, exec, s[12:13]
	global_load_dword v17, v[15:16], off offset:256
	v_mov_b32_e32 v20, 0
	v_mov_b32_e32 v18, 0
	;; [unrolled: 1-line block ×4, first 2 shown]
	s_waitcnt vmcnt(0)
	v_cmp_ne_u16_sdwa s[2:3], v17, v5 src0_sel:BYTE_0 src1_sel:DWORD
	s_and_saveexec_b64 s[12:13], s[2:3]
	s_cbranch_execz .LBB175_149
; %bb.144:                              ;   in Loop: Header=BB175_117 Depth=1
	v_bfrev_b32_e32 v18, 1
	v_mov_b32_e32 v19, 0
	v_cmp_ne_u16_sdwa s[2:3], v17, s24 src0_sel:BYTE_0 src1_sel:DWORD
	s_and_saveexec_b64 s[14:15], s[2:3]
	s_cbranch_execz .LBB175_148
; %bb.145:                              ;   in Loop: Header=BB175_117 Depth=1
	v_and_b32_e32 v11, 0x7f, v17
	v_mov_b32_e32 v18, 0x7f800001
	v_mov_b32_e32 v19, 0
	v_cmp_ne_u32_e64 s[2:3], s25, v11
	s_and_saveexec_b64 s[16:17], s[2:3]
	s_cbranch_execz .LBB175_147
; %bb.146:                              ;   in Loop: Header=BB175_117 Depth=1
	v_and_b32_e32 v22, 7, v17
	v_ffbh_u32_e32 v18, v22
	v_min_u32_e32 v24, 32, v18
	v_subrev_u32_e32 v18, 28, v24
	v_lshlrev_b64 v[18:19], v18, v[17:18]
	v_lshrrev_b32_e32 v23, 3, v11
	v_sub_u32_e32 v19, 29, v24
	v_and_b32_e32 v18, 7, v18
	v_cmp_gt_u32_e64 s[2:3], 8, v11
	v_cndmask_b32_e64 v11, v23, v19, s[2:3]
	v_cndmask_b32_e64 v18, v22, v18, s[2:3]
	v_lshlrev_b32_e32 v18, 20, v18
	v_and_b32_sdwa v19, sext(v17), s26 dst_sel:DWORD dst_unused:UNUSED_PAD src0_sel:BYTE_0 src1_sel:DWORD
	v_lshl_add_u32 v11, v11, 23, v39
	v_or3_b32 v18, v19, v11, v18
	v_mov_b32_e32 v19, v5
.LBB175_147:                            ;   in Loop: Header=BB175_117 Depth=1
	s_or_b64 exec, exec, s[16:17]
.LBB175_148:                            ;   in Loop: Header=BB175_117 Depth=1
	s_or_b64 exec, exec, s[14:15]
.LBB175_149:                            ;   in Loop: Header=BB175_117 Depth=1
	s_or_b64 exec, exec, s[12:13]
	v_cmp_ne_u16_sdwa s[2:3], v17, v5 src0_sel:BYTE_1 src1_sel:DWORD
	s_and_saveexec_b64 s[12:13], s[2:3]
	s_cbranch_execz .LBB175_155
; %bb.150:                              ;   in Loop: Header=BB175_117 Depth=1
	v_mov_b32_e32 v21, v6
	v_cmp_ne_u16_sdwa s[2:3], v17, s24 src0_sel:BYTE_1 src1_sel:DWORD
	v_mov_b32_e32 v20, v5
	s_and_saveexec_b64 s[14:15], s[2:3]
	s_cbranch_execz .LBB175_154
; %bb.151:                              ;   in Loop: Header=BB175_117 Depth=1
	v_and_b32_sdwa v22, v17, s25 dst_sel:DWORD dst_unused:UNUSED_PAD src0_sel:BYTE_1 src1_sel:DWORD
	v_mov_b32_e32 v11, v5
	v_mov_b32_e32 v21, v12
	v_cmp_ne_u32_e64 s[2:3], s25, v22
	v_mov_b32_e32 v20, v11
	s_and_saveexec_b64 s[16:17], s[2:3]
	s_cbranch_execz .LBB175_153
; %bb.152:                              ;   in Loop: Header=BB175_117 Depth=1
	v_and_b32_sdwa v20, v17, v40 dst_sel:DWORD dst_unused:UNUSED_PAD src0_sel:BYTE_1 src1_sel:DWORD
	v_ffbh_u32_e32 v23, v20
	v_min_u32_e32 v25, 32, v23
	v_mov_b32_e32 v21, v5
	v_subrev_u32_e32 v23, 28, v25
	v_lshlrev_b64 v[23:24], v23, v[20:21]
	v_lshrrev_b32_e32 v11, 3, v22
	v_sub_u32_e32 v21, 29, v25
	v_cmp_gt_u32_e64 s[2:3], 8, v22
	v_and_b32_e32 v23, 7, v23
	v_cndmask_b32_e64 v11, v11, v21, s[2:3]
	v_cndmask_b32_e64 v20, v20, v23, s[2:3]
	v_lshlrev_b32_e32 v21, 16, v17
	v_lshl_add_u32 v11, v11, 23, v39
	v_and_or_b32 v11, v21, s26, v11
	v_lshlrev_b32_e32 v20, 20, v20
	v_or_b32_e32 v21, v11, v20
	v_mov_b32_e32 v20, v5
.LBB175_153:                            ;   in Loop: Header=BB175_117 Depth=1
	s_or_b64 exec, exec, s[16:17]
.LBB175_154:                            ;   in Loop: Header=BB175_117 Depth=1
	s_or_b64 exec, exec, s[14:15]
.LBB175_155:                            ;   in Loop: Header=BB175_117 Depth=1
	s_or_b64 exec, exec, s[12:13]
	v_lshrrev_b32_e32 v11, 16, v17
	v_mov_b32_e32 v24, 0
	v_mov_b32_e32 v22, 0
	;; [unrolled: 1-line block ×4, first 2 shown]
	v_cmp_ne_u16_sdwa s[2:3], v11, v5 src0_sel:BYTE_0 src1_sel:DWORD
	s_and_saveexec_b64 s[12:13], s[2:3]
	s_cbranch_execz .LBB175_161
; %bb.156:                              ;   in Loop: Header=BB175_117 Depth=1
	v_bfrev_b32_e32 v22, 1
	v_mov_b32_e32 v23, 0
	v_cmp_ne_u16_sdwa s[2:3], v11, s24 src0_sel:BYTE_0 src1_sel:DWORD
	s_and_saveexec_b64 s[14:15], s[2:3]
	s_cbranch_execz .LBB175_160
; %bb.157:                              ;   in Loop: Header=BB175_117 Depth=1
	v_bfe_u32 v47, v17, 16, 7
	v_mov_b32_e32 v22, 0x7f800001
	v_mov_b32_e32 v23, 0
	v_cmp_ne_u32_e64 s[2:3], s25, v47
	s_and_saveexec_b64 s[16:17], s[2:3]
	s_cbranch_execz .LBB175_159
; %bb.158:                              ;   in Loop: Header=BB175_117 Depth=1
	v_and_b32_e32 v48, 7, v11
	v_ffbh_u32_e32 v22, v48
	v_min_u32_e32 v50, 32, v22
	v_subrev_u32_e32 v22, 28, v50
	v_lshlrev_b64 v[22:23], v22, v[11:12]
	v_lshrrev_b32_e32 v49, 3, v47
	v_sub_u32_e32 v23, 29, v50
	v_and_b32_e32 v22, 7, v22
	v_cmp_gt_u32_e64 s[2:3], 8, v47
	v_cndmask_b32_e64 v23, v49, v23, s[2:3]
	v_cndmask_b32_e64 v22, v48, v22, s[2:3]
	v_lshlrev_b32_e32 v22, 20, v22
	v_and_b32_sdwa v11, sext(v11), s26 dst_sel:DWORD dst_unused:UNUSED_PAD src0_sel:BYTE_0 src1_sel:DWORD
	v_lshl_add_u32 v23, v23, 23, v39
	v_or3_b32 v22, v11, v23, v22
	v_mov_b32_e32 v23, v5
.LBB175_159:                            ;   in Loop: Header=BB175_117 Depth=1
	s_or_b64 exec, exec, s[16:17]
.LBB175_160:                            ;   in Loop: Header=BB175_117 Depth=1
	s_or_b64 exec, exec, s[14:15]
.LBB175_161:                            ;   in Loop: Header=BB175_117 Depth=1
	s_or_b64 exec, exec, s[12:13]
	v_cmp_lt_u32_e64 s[2:3], s27, v17
	s_and_saveexec_b64 s[12:13], s[2:3]
	s_cbranch_execz .LBB175_167
; %bb.162:                              ;   in Loop: Header=BB175_117 Depth=1
	v_mov_b32_e32 v25, v6
	v_cmp_ne_u32_sdwa s[2:3], v17, s24 src0_sel:BYTE_3 src1_sel:DWORD
	v_mov_b32_e32 v24, v5
	s_and_saveexec_b64 s[14:15], s[2:3]
	s_cbranch_execz .LBB175_166
; %bb.163:                              ;   in Loop: Header=BB175_117 Depth=1
	v_bfe_u32 v47, v17, 24, 7
	v_mov_b32_e32 v11, v5
	v_mov_b32_e32 v25, v12
	v_cmp_ne_u32_e64 s[2:3], s25, v47
	v_mov_b32_e32 v24, v11
	s_and_saveexec_b64 s[16:17], s[2:3]
	s_cbranch_execz .LBB175_165
; %bb.164:                              ;   in Loop: Header=BB175_117 Depth=1
	v_and_b32_sdwa v24, v17, v40 dst_sel:DWORD dst_unused:UNUSED_PAD src0_sel:BYTE_3 src1_sel:DWORD
	v_ffbh_u32_e32 v48, v24
	v_min_u32_e32 v50, 32, v48
	v_mov_b32_e32 v25, v5
	v_subrev_u32_e32 v48, 28, v50
	v_lshlrev_b64 v[48:49], v48, v[24:25]
	v_lshrrev_b32_e32 v11, 3, v47
	v_sub_u32_e32 v25, 29, v50
	v_cmp_gt_u32_e64 s[2:3], 8, v47
	v_and_b32_e32 v48, 7, v48
	v_cndmask_b32_e64 v11, v11, v25, s[2:3]
	v_cndmask_b32_e64 v24, v24, v48, s[2:3]
	v_lshlrev_b32_sdwa v17, v41, v17 dst_sel:DWORD dst_unused:UNUSED_PAD src0_sel:DWORD src1_sel:BYTE_3
	v_lshl_add_u32 v11, v11, 23, v39
	v_and_or_b32 v11, v17, s26, v11
	v_lshlrev_b32_e32 v17, 20, v24
	v_or_b32_e32 v25, v11, v17
	v_mov_b32_e32 v24, v5
.LBB175_165:                            ;   in Loop: Header=BB175_117 Depth=1
	s_or_b64 exec, exec, s[16:17]
.LBB175_166:                            ;   in Loop: Header=BB175_117 Depth=1
	s_or_b64 exec, exec, s[14:15]
.LBB175_167:                            ;   in Loop: Header=BB175_117 Depth=1
	s_or_b64 exec, exec, s[12:13]
	v_or_b32_e32 v11, v21, v19
	v_or_b32_e32 v17, v20, v18
	v_mul_f32_e32 v47, s33, v11
	v_mul_f32_e32 v48, s28, v17
	v_or_b32_e32 v11, v25, v23
	v_or_b32_e32 v17, v24, v22
	v_mul_f32_e32 v25, s28, v17
	v_mul_f32_e32 v24, s33, v11
	s_and_saveexec_b64 s[12:13], s[0:1]
	s_cbranch_execz .LBB175_169
; %bb.168:                              ;   in Loop: Header=BB175_117 Depth=1
	v_cmp_gt_i32_e64 s[2:3], s30, v46
	v_add_u32_e32 v11, -2, v37
	v_cndmask_b32_e64 v48, 0, v48, s[2:3]
	v_cmp_gt_i32_e64 s[2:3], s30, v11
	v_add_u32_e32 v11, -1, v37
	v_cndmask_b32_e64 v47, 0, v47, s[2:3]
	v_cmp_gt_i32_e64 s[2:3], s30, v11
	v_cndmask_b32_e64 v25, 0, v25, s[2:3]
	v_cmp_gt_i32_e64 s[2:3], s30, v37
	v_cndmask_b32_e64 v24, 0, v24, s[2:3]
.LBB175_169:                            ;   in Loop: Header=BB175_117 Depth=1
	s_or_b64 exec, exec, s[12:13]
	global_load_dword v15, v[15:16], off offset:512
	v_mov_b32_e32 v18, 0
	v_mov_b32_e32 v16, 0
	;; [unrolled: 1-line block ×4, first 2 shown]
	s_waitcnt vmcnt(0)
	v_cmp_ne_u16_sdwa s[2:3], v15, v5 src0_sel:BYTE_0 src1_sel:DWORD
	s_and_saveexec_b64 s[12:13], s[2:3]
	s_cbranch_execz .LBB175_175
; %bb.170:                              ;   in Loop: Header=BB175_117 Depth=1
	v_bfrev_b32_e32 v16, 1
	v_mov_b32_e32 v17, 0
	v_cmp_ne_u16_sdwa s[2:3], v15, s24 src0_sel:BYTE_0 src1_sel:DWORD
	s_and_saveexec_b64 s[14:15], s[2:3]
	s_cbranch_execz .LBB175_174
; %bb.171:                              ;   in Loop: Header=BB175_117 Depth=1
	v_and_b32_e32 v11, 0x7f, v15
	v_mov_b32_e32 v16, 0x7f800001
	v_mov_b32_e32 v17, 0
	v_cmp_ne_u32_e64 s[2:3], s25, v11
	s_and_saveexec_b64 s[16:17], s[2:3]
	s_cbranch_execz .LBB175_173
; %bb.172:                              ;   in Loop: Header=BB175_117 Depth=1
	v_and_b32_e32 v20, 7, v15
	v_ffbh_u32_e32 v16, v20
	v_min_u32_e32 v22, 32, v16
	v_subrev_u32_e32 v16, 28, v22
	v_lshlrev_b64 v[16:17], v16, v[15:16]
	v_lshrrev_b32_e32 v21, 3, v11
	v_sub_u32_e32 v17, 29, v22
	v_and_b32_e32 v16, 7, v16
	v_cmp_gt_u32_e64 s[2:3], 8, v11
	v_cndmask_b32_e64 v11, v21, v17, s[2:3]
	v_cndmask_b32_e64 v16, v20, v16, s[2:3]
	v_lshlrev_b32_e32 v16, 20, v16
	v_and_b32_sdwa v17, sext(v15), s26 dst_sel:DWORD dst_unused:UNUSED_PAD src0_sel:BYTE_0 src1_sel:DWORD
	v_lshl_add_u32 v11, v11, 23, v39
	v_or3_b32 v16, v17, v11, v16
	v_mov_b32_e32 v17, v5
.LBB175_173:                            ;   in Loop: Header=BB175_117 Depth=1
	s_or_b64 exec, exec, s[16:17]
.LBB175_174:                            ;   in Loop: Header=BB175_117 Depth=1
	s_or_b64 exec, exec, s[14:15]
.LBB175_175:                            ;   in Loop: Header=BB175_117 Depth=1
	s_or_b64 exec, exec, s[12:13]
	v_cmp_ne_u16_sdwa s[2:3], v15, v5 src0_sel:BYTE_1 src1_sel:DWORD
	s_and_saveexec_b64 s[12:13], s[2:3]
	s_cbranch_execz .LBB175_181
; %bb.176:                              ;   in Loop: Header=BB175_117 Depth=1
	v_mov_b32_e32 v19, v6
	v_cmp_ne_u16_sdwa s[2:3], v15, s24 src0_sel:BYTE_1 src1_sel:DWORD
	v_mov_b32_e32 v18, v5
	s_and_saveexec_b64 s[14:15], s[2:3]
	s_cbranch_execz .LBB175_180
; %bb.177:                              ;   in Loop: Header=BB175_117 Depth=1
	v_and_b32_sdwa v20, v15, s25 dst_sel:DWORD dst_unused:UNUSED_PAD src0_sel:BYTE_1 src1_sel:DWORD
	v_mov_b32_e32 v11, v5
	v_mov_b32_e32 v19, v12
	v_cmp_ne_u32_e64 s[2:3], s25, v20
	v_mov_b32_e32 v18, v11
	s_and_saveexec_b64 s[16:17], s[2:3]
	s_cbranch_execz .LBB175_179
; %bb.178:                              ;   in Loop: Header=BB175_117 Depth=1
	v_and_b32_sdwa v18, v15, v40 dst_sel:DWORD dst_unused:UNUSED_PAD src0_sel:BYTE_1 src1_sel:DWORD
	v_ffbh_u32_e32 v21, v18
	v_min_u32_e32 v23, 32, v21
	v_mov_b32_e32 v19, v5
	v_subrev_u32_e32 v21, 28, v23
	v_lshlrev_b64 v[21:22], v21, v[18:19]
	v_lshrrev_b32_e32 v11, 3, v20
	v_sub_u32_e32 v19, 29, v23
	v_cmp_gt_u32_e64 s[2:3], 8, v20
	v_and_b32_e32 v21, 7, v21
	v_cndmask_b32_e64 v11, v11, v19, s[2:3]
	v_cndmask_b32_e64 v18, v18, v21, s[2:3]
	v_lshlrev_b32_e32 v19, 16, v15
	v_lshl_add_u32 v11, v11, 23, v39
	v_and_or_b32 v11, v19, s26, v11
	v_lshlrev_b32_e32 v18, 20, v18
	v_or_b32_e32 v19, v11, v18
	v_mov_b32_e32 v18, v5
.LBB175_179:                            ;   in Loop: Header=BB175_117 Depth=1
	s_or_b64 exec, exec, s[16:17]
.LBB175_180:                            ;   in Loop: Header=BB175_117 Depth=1
	s_or_b64 exec, exec, s[14:15]
.LBB175_181:                            ;   in Loop: Header=BB175_117 Depth=1
	s_or_b64 exec, exec, s[12:13]
	v_lshrrev_b32_e32 v11, 16, v15
	v_mov_b32_e32 v22, 0
	v_mov_b32_e32 v20, 0
	;; [unrolled: 1-line block ×4, first 2 shown]
	v_cmp_ne_u16_sdwa s[2:3], v11, v5 src0_sel:BYTE_0 src1_sel:DWORD
	s_and_saveexec_b64 s[12:13], s[2:3]
	s_cbranch_execz .LBB175_187
; %bb.182:                              ;   in Loop: Header=BB175_117 Depth=1
	v_bfrev_b32_e32 v20, 1
	v_mov_b32_e32 v21, 0
	v_cmp_ne_u16_sdwa s[2:3], v11, s24 src0_sel:BYTE_0 src1_sel:DWORD
	s_and_saveexec_b64 s[14:15], s[2:3]
	s_cbranch_execz .LBB175_186
; %bb.183:                              ;   in Loop: Header=BB175_117 Depth=1
	v_bfe_u32 v49, v15, 16, 7
	v_mov_b32_e32 v20, 0x7f800001
	v_mov_b32_e32 v21, 0
	v_cmp_ne_u32_e64 s[2:3], s25, v49
	s_and_saveexec_b64 s[16:17], s[2:3]
	s_cbranch_execz .LBB175_185
; %bb.184:                              ;   in Loop: Header=BB175_117 Depth=1
	v_and_b32_e32 v50, 7, v11
	v_ffbh_u32_e32 v20, v50
	v_min_u32_e32 v52, 32, v20
	v_subrev_u32_e32 v20, 28, v52
	v_lshlrev_b64 v[20:21], v20, v[11:12]
	v_lshrrev_b32_e32 v51, 3, v49
	v_sub_u32_e32 v21, 29, v52
	v_and_b32_e32 v20, 7, v20
	v_cmp_gt_u32_e64 s[2:3], 8, v49
	v_cndmask_b32_e64 v21, v51, v21, s[2:3]
	v_cndmask_b32_e64 v20, v50, v20, s[2:3]
	v_lshlrev_b32_e32 v20, 20, v20
	v_and_b32_sdwa v11, sext(v11), s26 dst_sel:DWORD dst_unused:UNUSED_PAD src0_sel:BYTE_0 src1_sel:DWORD
	v_lshl_add_u32 v21, v21, 23, v39
	v_or3_b32 v20, v11, v21, v20
	v_mov_b32_e32 v21, v5
.LBB175_185:                            ;   in Loop: Header=BB175_117 Depth=1
	s_or_b64 exec, exec, s[16:17]
.LBB175_186:                            ;   in Loop: Header=BB175_117 Depth=1
	s_or_b64 exec, exec, s[14:15]
.LBB175_187:                            ;   in Loop: Header=BB175_117 Depth=1
	s_or_b64 exec, exec, s[12:13]
	v_cmp_lt_u32_e64 s[2:3], s27, v15
	s_and_saveexec_b64 s[12:13], s[2:3]
	s_cbranch_execz .LBB175_193
; %bb.188:                              ;   in Loop: Header=BB175_117 Depth=1
	v_mov_b32_e32 v23, v6
	v_cmp_ne_u32_sdwa s[2:3], v15, s24 src0_sel:BYTE_3 src1_sel:DWORD
	v_mov_b32_e32 v22, v5
	s_and_saveexec_b64 s[14:15], s[2:3]
	s_cbranch_execz .LBB175_192
; %bb.189:                              ;   in Loop: Header=BB175_117 Depth=1
	v_bfe_u32 v49, v15, 24, 7
	v_mov_b32_e32 v11, v5
	v_mov_b32_e32 v23, v12
	v_cmp_ne_u32_e64 s[2:3], s25, v49
	v_mov_b32_e32 v22, v11
	s_and_saveexec_b64 s[16:17], s[2:3]
	s_cbranch_execz .LBB175_191
; %bb.190:                              ;   in Loop: Header=BB175_117 Depth=1
	v_and_b32_sdwa v22, v15, v40 dst_sel:DWORD dst_unused:UNUSED_PAD src0_sel:BYTE_3 src1_sel:DWORD
	v_ffbh_u32_e32 v50, v22
	v_min_u32_e32 v52, 32, v50
	v_mov_b32_e32 v23, v5
	v_subrev_u32_e32 v50, 28, v52
	v_lshlrev_b64 v[50:51], v50, v[22:23]
	v_lshrrev_b32_e32 v11, 3, v49
	v_sub_u32_e32 v23, 29, v52
	v_cmp_gt_u32_e64 s[2:3], 8, v49
	v_and_b32_e32 v50, 7, v50
	v_cndmask_b32_e64 v11, v11, v23, s[2:3]
	v_cndmask_b32_e64 v22, v22, v50, s[2:3]
	v_lshlrev_b32_sdwa v15, v41, v15 dst_sel:DWORD dst_unused:UNUSED_PAD src0_sel:DWORD src1_sel:BYTE_3
	v_lshl_add_u32 v11, v11, 23, v39
	v_and_or_b32 v11, v15, s26, v11
	v_lshlrev_b32_e32 v15, 20, v22
	v_or_b32_e32 v23, v11, v15
	v_mov_b32_e32 v22, v5
.LBB175_191:                            ;   in Loop: Header=BB175_117 Depth=1
	s_or_b64 exec, exec, s[16:17]
.LBB175_192:                            ;   in Loop: Header=BB175_117 Depth=1
	s_or_b64 exec, exec, s[14:15]
.LBB175_193:                            ;   in Loop: Header=BB175_117 Depth=1
	s_or_b64 exec, exec, s[12:13]
	v_or_b32_e32 v11, v19, v17
	v_or_b32_e32 v15, v18, v16
	v_mul_f32_e32 v49, s33, v11
	v_mul_f32_e32 v50, s28, v15
	v_or_b32_e32 v11, v23, v21
	v_or_b32_e32 v15, v22, v20
	v_mul_f32_e32 v23, s28, v15
	v_mul_f32_e32 v22, s33, v11
	s_and_saveexec_b64 s[12:13], s[0:1]
	s_cbranch_execz .LBB175_195
; %bb.194:                              ;   in Loop: Header=BB175_117 Depth=1
	v_cmp_gt_i32_e64 s[2:3], s30, v46
	v_add_u32_e32 v11, -2, v37
	v_cndmask_b32_e64 v50, 0, v50, s[2:3]
	v_cmp_gt_i32_e64 s[2:3], s30, v11
	v_add_u32_e32 v11, -1, v37
	v_cndmask_b32_e64 v49, 0, v49, s[2:3]
	v_cmp_gt_i32_e64 s[2:3], s30, v11
	v_cndmask_b32_e64 v23, 0, v23, s[2:3]
	v_cmp_gt_i32_e64 s[2:3], s30, v37
	v_cndmask_b32_e64 v22, 0, v22, s[2:3]
.LBB175_195:                            ;   in Loop: Header=BB175_117 Depth=1
	s_or_b64 exec, exec, s[12:13]
	s_and_saveexec_b64 s[12:13], vcc
	s_cbranch_execz .LBB175_116
; %bb.196:                              ;   in Loop: Header=BB175_117 Depth=1
	v_add_co_u32_e64 v13, s[2:3], v13, v35
	v_addc_co_u32_e64 v14, s[2:3], 0, v14, s[2:3]
	global_load_dword v13, v[13:14], off
	v_mov_b32_e32 v16, 0
	v_mov_b32_e32 v14, 0
	;; [unrolled: 1-line block ×4, first 2 shown]
	s_waitcnt vmcnt(0)
	v_cmp_ne_u16_sdwa s[2:3], v13, v5 src0_sel:BYTE_0 src1_sel:DWORD
	s_and_saveexec_b64 s[14:15], s[2:3]
	s_cbranch_execz .LBB175_202
; %bb.197:                              ;   in Loop: Header=BB175_117 Depth=1
	v_bfrev_b32_e32 v14, 1
	v_mov_b32_e32 v15, 0
	v_cmp_ne_u16_sdwa s[2:3], v13, s24 src0_sel:BYTE_0 src1_sel:DWORD
	s_and_saveexec_b64 s[16:17], s[2:3]
	s_cbranch_execz .LBB175_201
; %bb.198:                              ;   in Loop: Header=BB175_117 Depth=1
	v_and_b32_e32 v11, 0x7f, v13
	v_mov_b32_e32 v14, 0x7f800001
	v_mov_b32_e32 v15, 0
	v_cmp_ne_u32_e64 s[2:3], s25, v11
	s_and_saveexec_b64 s[18:19], s[2:3]
	s_cbranch_execz .LBB175_200
; %bb.199:                              ;   in Loop: Header=BB175_117 Depth=1
	v_and_b32_e32 v18, 7, v13
	v_ffbh_u32_e32 v14, v18
	v_min_u32_e32 v20, 32, v14
	v_subrev_u32_e32 v14, 28, v20
	v_lshlrev_b64 v[14:15], v14, v[13:14]
	v_lshrrev_b32_e32 v19, 3, v11
	v_sub_u32_e32 v15, 29, v20
	v_and_b32_e32 v14, 7, v14
	v_cmp_gt_u32_e64 s[2:3], 8, v11
	v_cndmask_b32_e64 v11, v19, v15, s[2:3]
	v_cndmask_b32_e64 v14, v18, v14, s[2:3]
	v_lshlrev_b32_e32 v14, 20, v14
	v_and_b32_sdwa v15, sext(v13), s26 dst_sel:DWORD dst_unused:UNUSED_PAD src0_sel:BYTE_0 src1_sel:DWORD
	v_lshl_add_u32 v11, v11, 23, v39
	v_or3_b32 v14, v15, v11, v14
	v_mov_b32_e32 v15, v5
.LBB175_200:                            ;   in Loop: Header=BB175_117 Depth=1
	s_or_b64 exec, exec, s[18:19]
.LBB175_201:                            ;   in Loop: Header=BB175_117 Depth=1
	s_or_b64 exec, exec, s[16:17]
.LBB175_202:                            ;   in Loop: Header=BB175_117 Depth=1
	s_or_b64 exec, exec, s[14:15]
	v_cmp_ne_u16_sdwa s[2:3], v13, v5 src0_sel:BYTE_1 src1_sel:DWORD
	s_and_saveexec_b64 s[14:15], s[2:3]
	s_cbranch_execz .LBB175_208
; %bb.203:                              ;   in Loop: Header=BB175_117 Depth=1
	v_mov_b32_e32 v17, v6
	v_cmp_ne_u16_sdwa s[2:3], v13, s24 src0_sel:BYTE_1 src1_sel:DWORD
	v_mov_b32_e32 v16, v5
	s_and_saveexec_b64 s[16:17], s[2:3]
	s_cbranch_execz .LBB175_207
; %bb.204:                              ;   in Loop: Header=BB175_117 Depth=1
	v_and_b32_sdwa v18, v13, s25 dst_sel:DWORD dst_unused:UNUSED_PAD src0_sel:BYTE_1 src1_sel:DWORD
	v_mov_b32_e32 v11, v5
	v_mov_b32_e32 v17, v12
	v_cmp_ne_u32_e64 s[2:3], s25, v18
	v_mov_b32_e32 v16, v11
	s_and_saveexec_b64 s[18:19], s[2:3]
	s_cbranch_execz .LBB175_206
; %bb.205:                              ;   in Loop: Header=BB175_117 Depth=1
	v_and_b32_sdwa v16, v13, v40 dst_sel:DWORD dst_unused:UNUSED_PAD src0_sel:BYTE_1 src1_sel:DWORD
	v_ffbh_u32_e32 v19, v16
	v_min_u32_e32 v21, 32, v19
	v_mov_b32_e32 v17, v5
	v_subrev_u32_e32 v19, 28, v21
	v_lshlrev_b64 v[19:20], v19, v[16:17]
	v_lshrrev_b32_e32 v11, 3, v18
	v_sub_u32_e32 v17, 29, v21
	v_cmp_gt_u32_e64 s[2:3], 8, v18
	v_and_b32_e32 v19, 7, v19
	v_cndmask_b32_e64 v11, v11, v17, s[2:3]
	v_cndmask_b32_e64 v16, v16, v19, s[2:3]
	v_lshlrev_b32_e32 v17, 16, v13
	v_lshl_add_u32 v11, v11, 23, v39
	v_and_or_b32 v11, v17, s26, v11
	v_lshlrev_b32_e32 v16, 20, v16
	v_or_b32_e32 v17, v11, v16
	v_mov_b32_e32 v16, v5
.LBB175_206:                            ;   in Loop: Header=BB175_117 Depth=1
	s_or_b64 exec, exec, s[18:19]
.LBB175_207:                            ;   in Loop: Header=BB175_117 Depth=1
	s_or_b64 exec, exec, s[16:17]
.LBB175_208:                            ;   in Loop: Header=BB175_117 Depth=1
	s_or_b64 exec, exec, s[14:15]
	v_lshrrev_b32_e32 v11, 16, v13
	v_mov_b32_e32 v20, 0
	v_mov_b32_e32 v18, 0
	;; [unrolled: 1-line block ×4, first 2 shown]
	v_cmp_ne_u16_sdwa s[2:3], v11, v5 src0_sel:BYTE_0 src1_sel:DWORD
	s_and_saveexec_b64 s[14:15], s[2:3]
	s_cbranch_execz .LBB175_214
; %bb.209:                              ;   in Loop: Header=BB175_117 Depth=1
	v_bfrev_b32_e32 v18, 1
	v_mov_b32_e32 v19, 0
	v_cmp_ne_u16_sdwa s[2:3], v11, s24 src0_sel:BYTE_0 src1_sel:DWORD
	s_and_saveexec_b64 s[16:17], s[2:3]
	s_cbranch_execz .LBB175_213
; %bb.210:                              ;   in Loop: Header=BB175_117 Depth=1
	v_bfe_u32 v51, v13, 16, 7
	v_mov_b32_e32 v18, 0x7f800001
	v_mov_b32_e32 v19, 0
	v_cmp_ne_u32_e64 s[2:3], s25, v51
	s_and_saveexec_b64 s[18:19], s[2:3]
	s_cbranch_execz .LBB175_212
; %bb.211:                              ;   in Loop: Header=BB175_117 Depth=1
	v_and_b32_e32 v52, 7, v11
	v_ffbh_u32_e32 v18, v52
	v_min_u32_e32 v54, 32, v18
	v_subrev_u32_e32 v18, 28, v54
	v_lshlrev_b64 v[18:19], v18, v[11:12]
	v_lshrrev_b32_e32 v53, 3, v51
	v_sub_u32_e32 v19, 29, v54
	v_and_b32_e32 v18, 7, v18
	v_cmp_gt_u32_e64 s[2:3], 8, v51
	v_cndmask_b32_e64 v19, v53, v19, s[2:3]
	v_cndmask_b32_e64 v18, v52, v18, s[2:3]
	v_lshlrev_b32_e32 v18, 20, v18
	v_and_b32_sdwa v11, sext(v11), s26 dst_sel:DWORD dst_unused:UNUSED_PAD src0_sel:BYTE_0 src1_sel:DWORD
	v_lshl_add_u32 v19, v19, 23, v39
	v_or3_b32 v18, v11, v19, v18
	v_mov_b32_e32 v19, v5
.LBB175_212:                            ;   in Loop: Header=BB175_117 Depth=1
	s_or_b64 exec, exec, s[18:19]
.LBB175_213:                            ;   in Loop: Header=BB175_117 Depth=1
	s_or_b64 exec, exec, s[16:17]
.LBB175_214:                            ;   in Loop: Header=BB175_117 Depth=1
	s_or_b64 exec, exec, s[14:15]
	v_cmp_lt_u32_e64 s[2:3], s27, v13
	s_and_saveexec_b64 s[14:15], s[2:3]
	s_cbranch_execz .LBB175_220
; %bb.215:                              ;   in Loop: Header=BB175_117 Depth=1
	v_mov_b32_e32 v21, v6
	v_cmp_ne_u32_sdwa s[2:3], v13, s24 src0_sel:BYTE_3 src1_sel:DWORD
	v_mov_b32_e32 v20, v5
	s_and_saveexec_b64 s[16:17], s[2:3]
	s_cbranch_execz .LBB175_219
; %bb.216:                              ;   in Loop: Header=BB175_117 Depth=1
	v_bfe_u32 v51, v13, 24, 7
	v_mov_b32_e32 v11, v5
	v_mov_b32_e32 v21, v12
	v_cmp_ne_u32_e64 s[2:3], s25, v51
	v_mov_b32_e32 v20, v11
	s_and_saveexec_b64 s[18:19], s[2:3]
	s_cbranch_execz .LBB175_218
; %bb.217:                              ;   in Loop: Header=BB175_117 Depth=1
	v_and_b32_sdwa v20, v13, v40 dst_sel:DWORD dst_unused:UNUSED_PAD src0_sel:BYTE_3 src1_sel:DWORD
	v_ffbh_u32_e32 v52, v20
	v_min_u32_e32 v54, 32, v52
	v_mov_b32_e32 v21, v5
	v_subrev_u32_e32 v52, 28, v54
	v_lshlrev_b64 v[52:53], v52, v[20:21]
	v_lshrrev_b32_e32 v11, 3, v51
	v_sub_u32_e32 v21, 29, v54
	v_cmp_gt_u32_e64 s[2:3], 8, v51
	v_and_b32_e32 v52, 7, v52
	v_cndmask_b32_e64 v11, v11, v21, s[2:3]
	v_cndmask_b32_e64 v20, v20, v52, s[2:3]
	v_lshlrev_b32_sdwa v13, v41, v13 dst_sel:DWORD dst_unused:UNUSED_PAD src0_sel:DWORD src1_sel:BYTE_3
	v_lshl_add_u32 v11, v11, 23, v39
	v_and_or_b32 v11, v13, s26, v11
	v_lshlrev_b32_e32 v13, 20, v20
	v_or_b32_e32 v21, v11, v13
	v_mov_b32_e32 v20, v5
.LBB175_218:                            ;   in Loop: Header=BB175_117 Depth=1
	s_or_b64 exec, exec, s[18:19]
.LBB175_219:                            ;   in Loop: Header=BB175_117 Depth=1
	s_or_b64 exec, exec, s[16:17]
.LBB175_220:                            ;   in Loop: Header=BB175_117 Depth=1
	s_or_b64 exec, exec, s[14:15]
	v_or_b32_e32 v13, v16, v14
	v_or_b32_e32 v11, v17, v15
	v_mul_f32_e32 v15, s28, v13
	v_or_b32_e32 v13, v21, v19
	v_or_b32_e32 v14, v20, v18
	v_mul_f32_e32 v11, s33, v11
	v_mul_f32_e32 v14, s28, v14
	;; [unrolled: 1-line block ×3, first 2 shown]
	s_and_saveexec_b64 s[2:3], s[0:1]
	s_cbranch_execz .LBB175_115
; %bb.221:                              ;   in Loop: Header=BB175_117 Depth=1
	v_cmp_gt_i32_e64 s[0:1], s30, v46
	v_add_u32_e32 v16, -2, v37
	v_cndmask_b32_e64 v15, 0, v15, s[0:1]
	v_cmp_gt_i32_e64 s[0:1], s30, v16
	v_add_u32_e32 v16, -1, v37
	v_cndmask_b32_e64 v11, 0, v11, s[0:1]
	v_cmp_gt_i32_e64 s[0:1], s30, v16
	v_cndmask_b32_e64 v14, 0, v14, s[0:1]
	v_cmp_gt_i32_e64 s[0:1], s30, v37
	v_cndmask_b32_e64 v13, 0, v13, s[0:1]
	s_branch .LBB175_115
.LBB175_222:
	s_or_b64 exec, exec, s[6:7]
.LBB175_223:
	s_or_b64 exec, exec, s[4:5]
	ds_bpermute_b32 v2, v28, v34
	ds_bpermute_b32 v5, v28, v33
	;; [unrolled: 1-line block ×4, first 2 shown]
	v_cmp_eq_u32_e32 vcc, 0, v30
	s_waitcnt lgkmcnt(3)
	v_add_f32_e32 v3, v34, v2
	s_waitcnt lgkmcnt(2)
	v_add_f32_e32 v2, v33, v5
	v_and_b32_e32 v5, 0x3c0, v0
	s_waitcnt lgkmcnt(1)
	v_add_f32_e32 v4, v32, v1
	s_waitcnt lgkmcnt(0)
	v_add_f32_e32 v1, v36, v6
	v_cmp_eq_u32_e64 s[0:1], 64, v5
	s_barrier
	s_and_saveexec_b64 s[2:3], s[0:1]
	s_cbranch_execz .LBB175_228
; %bb.224:
	s_and_saveexec_b64 s[0:1], vcc
	s_cbranch_execz .LBB175_226
; %bb.225:
	v_mov_b32_e32 v5, 0x1d0
	v_lshl_add_u32 v5, v29, 2, v5
	ds_write2_b32 v5, v4, v3 offset1:32
	ds_write_b32 v5, v2 offset:256
.LBB175_226:
	s_or_b64 exec, exec, s[0:1]
	v_or_b32_e32 v5, 0x60, v29
	s_movk_i32 s0, 0x70
	v_cmp_gt_u32_e64 s[0:1], s0, v5
	s_and_b64 s[0:1], vcc, s[0:1]
	s_and_b64 exec, exec, s[0:1]
; %bb.227:
	v_mov_b32_e32 v5, 0x1d0
	v_lshl_add_u32 v5, v29, 2, v5
	ds_write_b32 v5, v1 offset:384
.LBB175_228:
	s_or_b64 exec, exec, s[2:3]
	v_cmp_gt_u32_e64 s[0:1], 64, v0
	s_waitcnt lgkmcnt(0)
	s_barrier
	s_and_saveexec_b64 s[4:5], s[0:1]
	s_cbranch_execz .LBB175_238
; %bb.229:
	s_and_saveexec_b64 s[2:3], vcc
	s_cbranch_execz .LBB175_231
; %bb.230:
	v_mov_b32_e32 v0, 0x1d0
	v_lshl_add_u32 v0, v26, 2, v0
	ds_read_b32 v0, v0
	s_waitcnt lgkmcnt(0)
	v_add_f32_e32 v4, v4, v0
.LBB175_231:
	s_or_b64 exec, exec, s[2:3]
	v_or_b32_e32 v0, 32, v26
	s_movk_i32 s6, 0x70
	v_cmp_gt_u32_e64 s[2:3], s6, v0
	s_and_b64 s[12:13], vcc, s[2:3]
	s_and_saveexec_b64 s[2:3], s[12:13]
	s_cbranch_execz .LBB175_233
; %bb.232:
	v_mov_b32_e32 v0, 0x1d0
	v_lshl_add_u32 v0, v26, 2, v0
	ds_read_b32 v0, v0 offset:128
	s_waitcnt lgkmcnt(0)
	v_add_f32_e32 v3, v3, v0
.LBB175_233:
	s_or_b64 exec, exec, s[2:3]
	v_or_b32_e32 v0, 64, v26
	v_cmp_gt_u32_e64 s[2:3], s6, v0
	s_and_b64 s[6:7], vcc, s[2:3]
	s_and_saveexec_b64 s[2:3], s[6:7]
	s_cbranch_execz .LBB175_235
; %bb.234:
	v_mov_b32_e32 v0, 0x1d0
	v_lshl_add_u32 v0, v26, 2, v0
	ds_read_b32 v0, v0 offset:256
	s_waitcnt lgkmcnt(0)
	v_add_f32_e32 v2, v2, v0
.LBB175_235:
	s_or_b64 exec, exec, s[2:3]
	v_or_b32_e32 v0, 0x60, v26
	s_movk_i32 s2, 0x70
	v_cmp_gt_u32_e64 s[2:3], s2, v0
	s_and_b64 s[6:7], vcc, s[2:3]
	s_and_saveexec_b64 s[2:3], s[6:7]
	s_cbranch_execz .LBB175_237
; %bb.236:
	v_mov_b32_e32 v0, 0x1d0
	v_lshl_add_u32 v0, v26, 2, v0
	ds_read_b32 v0, v0 offset:384
	s_waitcnt lgkmcnt(0)
	v_add_f32_e32 v1, v1, v0
.LBB175_237:
	s_or_b64 exec, exec, s[2:3]
.LBB175_238:
	s_or_b64 exec, exec, s[4:5]
	s_barrier
	s_and_saveexec_b64 s[2:3], s[0:1]
	s_cbranch_execz .LBB175_247
; %bb.239:
	s_mul_i32 s0, s10, s11
	s_mul_i32 s0, s0, s9
	s_mulk_i32 s0, 0x70
	s_ashr_i32 s1, s0, 31
	s_lshl_b64 s[0:1], s[0:1], 2
	s_add_u32 s2, s22, s0
	s_mul_i32 s0, s11, s20
	s_addc_u32 s3, s23, s1
	s_ashr_i32 s1, s0, 31
	s_lshl_b64 s[0:1], s[0:1], 2
	s_add_u32 s2, s2, s0
	s_mul_i32 s0, s8, 0x70
	s_addc_u32 s3, s3, s1
	s_ashr_i32 s1, s0, 31
	s_lshl_b64 s[0:1], s[0:1], 2
	s_add_u32 s2, s2, s0
	s_movk_i32 s4, 0x70
	s_addc_u32 s3, s3, s1
	v_lshlrev_b32_e32 v0, 2, v26
	s_and_saveexec_b64 s[0:1], vcc
	s_cbranch_execz .LBB175_241
; %bb.240:
	global_store_dword v0, v4, s[2:3]
.LBB175_241:
	s_or_b64 exec, exec, s[0:1]
	v_or_b32_e32 v4, 32, v26
	v_cmp_gt_u32_e64 s[0:1], s4, v4
	s_and_b64 s[4:5], vcc, s[0:1]
	s_and_saveexec_b64 s[0:1], s[4:5]
	s_cbranch_execz .LBB175_243
; %bb.242:
	global_store_dword v0, v3, s[2:3] offset:128
.LBB175_243:
	s_or_b64 exec, exec, s[0:1]
	v_or_b32_e32 v3, 64, v26
	s_movk_i32 s4, 0x70
	v_cmp_gt_u32_e64 s[0:1], s4, v3
	s_and_b64 s[6:7], vcc, s[0:1]
	s_and_saveexec_b64 s[0:1], s[6:7]
	s_cbranch_execz .LBB175_245
; %bb.244:
	global_store_dword v0, v2, s[2:3] offset:256
.LBB175_245:
	s_or_b64 exec, exec, s[0:1]
	v_or_b32_e32 v2, 0x60, v26
	v_cmp_gt_u32_e64 s[0:1], s4, v2
	s_and_b64 s[0:1], vcc, s[0:1]
	s_and_b64 exec, exec, s[0:1]
	s_cbranch_execz .LBB175_247
; %bb.246:
	global_store_dword v0, v1, s[2:3] offset:384
.LBB175_247:
	s_endpgm
	.section	.rodata,"a",@progbits
	.p2align	6, 0x0
	.amdhsa_kernel _ZN4vllm25paged_attention_v1_kernelIfhLi112ELi8ELi128ELNS_18Fp8KVCacheDataTypeE1ELb0EEEvPT_PKS2_PKT0_S8_ifPKiSA_iPKfiiiSC_SC_iiiii
		.amdhsa_group_segment_fixed_size 464
		.amdhsa_private_segment_fixed_size 0
		.amdhsa_kernarg_size 384
		.amdhsa_user_sgpr_count 6
		.amdhsa_user_sgpr_private_segment_buffer 1
		.amdhsa_user_sgpr_dispatch_ptr 0
		.amdhsa_user_sgpr_queue_ptr 0
		.amdhsa_user_sgpr_kernarg_segment_ptr 1
		.amdhsa_user_sgpr_dispatch_id 0
		.amdhsa_user_sgpr_flat_scratch_init 0
		.amdhsa_user_sgpr_private_segment_size 0
		.amdhsa_uses_dynamic_stack 0
		.amdhsa_system_sgpr_private_segment_wavefront_offset 0
		.amdhsa_system_sgpr_workgroup_id_x 1
		.amdhsa_system_sgpr_workgroup_id_y 1
		.amdhsa_system_sgpr_workgroup_id_z 1
		.amdhsa_system_sgpr_workgroup_info 0
		.amdhsa_system_vgpr_workitem_id 0
		.amdhsa_next_free_vgpr 56
		.amdhsa_next_free_sgpr 43
		.amdhsa_reserve_vcc 1
		.amdhsa_reserve_flat_scratch 0
		.amdhsa_float_round_mode_32 0
		.amdhsa_float_round_mode_16_64 0
		.amdhsa_float_denorm_mode_32 3
		.amdhsa_float_denorm_mode_16_64 3
		.amdhsa_dx10_clamp 1
		.amdhsa_ieee_mode 1
		.amdhsa_fp16_overflow 0
		.amdhsa_exception_fp_ieee_invalid_op 0
		.amdhsa_exception_fp_denorm_src 0
		.amdhsa_exception_fp_ieee_div_zero 0
		.amdhsa_exception_fp_ieee_overflow 0
		.amdhsa_exception_fp_ieee_underflow 0
		.amdhsa_exception_fp_ieee_inexact 0
		.amdhsa_exception_int_div_zero 0
	.end_amdhsa_kernel
	.section	.text._ZN4vllm25paged_attention_v1_kernelIfhLi112ELi8ELi128ELNS_18Fp8KVCacheDataTypeE1ELb0EEEvPT_PKS2_PKT0_S8_ifPKiSA_iPKfiiiSC_SC_iiiii,"axG",@progbits,_ZN4vllm25paged_attention_v1_kernelIfhLi112ELi8ELi128ELNS_18Fp8KVCacheDataTypeE1ELb0EEEvPT_PKS2_PKT0_S8_ifPKiSA_iPKfiiiSC_SC_iiiii,comdat
.Lfunc_end175:
	.size	_ZN4vllm25paged_attention_v1_kernelIfhLi112ELi8ELi128ELNS_18Fp8KVCacheDataTypeE1ELb0EEEvPT_PKS2_PKT0_S8_ifPKiSA_iPKfiiiSC_SC_iiiii, .Lfunc_end175-_ZN4vllm25paged_attention_v1_kernelIfhLi112ELi8ELi128ELNS_18Fp8KVCacheDataTypeE1ELb0EEEvPT_PKS2_PKT0_S8_ifPKiSA_iPKfiiiSC_SC_iiiii
                                        ; -- End function
	.set _ZN4vllm25paged_attention_v1_kernelIfhLi112ELi8ELi128ELNS_18Fp8KVCacheDataTypeE1ELb0EEEvPT_PKS2_PKT0_S8_ifPKiSA_iPKfiiiSC_SC_iiiii.num_vgpr, 56
	.set _ZN4vllm25paged_attention_v1_kernelIfhLi112ELi8ELi128ELNS_18Fp8KVCacheDataTypeE1ELb0EEEvPT_PKS2_PKT0_S8_ifPKiSA_iPKfiiiSC_SC_iiiii.num_agpr, 0
	.set _ZN4vllm25paged_attention_v1_kernelIfhLi112ELi8ELi128ELNS_18Fp8KVCacheDataTypeE1ELb0EEEvPT_PKS2_PKT0_S8_ifPKiSA_iPKfiiiSC_SC_iiiii.numbered_sgpr, 43
	.set _ZN4vllm25paged_attention_v1_kernelIfhLi112ELi8ELi128ELNS_18Fp8KVCacheDataTypeE1ELb0EEEvPT_PKS2_PKT0_S8_ifPKiSA_iPKfiiiSC_SC_iiiii.num_named_barrier, 0
	.set _ZN4vllm25paged_attention_v1_kernelIfhLi112ELi8ELi128ELNS_18Fp8KVCacheDataTypeE1ELb0EEEvPT_PKS2_PKT0_S8_ifPKiSA_iPKfiiiSC_SC_iiiii.private_seg_size, 0
	.set _ZN4vllm25paged_attention_v1_kernelIfhLi112ELi8ELi128ELNS_18Fp8KVCacheDataTypeE1ELb0EEEvPT_PKS2_PKT0_S8_ifPKiSA_iPKfiiiSC_SC_iiiii.uses_vcc, 1
	.set _ZN4vllm25paged_attention_v1_kernelIfhLi112ELi8ELi128ELNS_18Fp8KVCacheDataTypeE1ELb0EEEvPT_PKS2_PKT0_S8_ifPKiSA_iPKfiiiSC_SC_iiiii.uses_flat_scratch, 0
	.set _ZN4vllm25paged_attention_v1_kernelIfhLi112ELi8ELi128ELNS_18Fp8KVCacheDataTypeE1ELb0EEEvPT_PKS2_PKT0_S8_ifPKiSA_iPKfiiiSC_SC_iiiii.has_dyn_sized_stack, 0
	.set _ZN4vllm25paged_attention_v1_kernelIfhLi112ELi8ELi128ELNS_18Fp8KVCacheDataTypeE1ELb0EEEvPT_PKS2_PKT0_S8_ifPKiSA_iPKfiiiSC_SC_iiiii.has_recursion, 0
	.set _ZN4vllm25paged_attention_v1_kernelIfhLi112ELi8ELi128ELNS_18Fp8KVCacheDataTypeE1ELb0EEEvPT_PKS2_PKT0_S8_ifPKiSA_iPKfiiiSC_SC_iiiii.has_indirect_call, 0
	.section	.AMDGPU.csdata,"",@progbits
; Kernel info:
; codeLenInByte = 9576
; TotalNumSgprs: 47
; NumVgprs: 56
; ScratchSize: 0
; MemoryBound: 0
; FloatMode: 240
; IeeeMode: 1
; LDSByteSize: 464 bytes/workgroup (compile time only)
; SGPRBlocks: 5
; VGPRBlocks: 13
; NumSGPRsForWavesPerEU: 47
; NumVGPRsForWavesPerEU: 56
; Occupancy: 4
; WaveLimiterHint : 1
; COMPUTE_PGM_RSRC2:SCRATCH_EN: 0
; COMPUTE_PGM_RSRC2:USER_SGPR: 6
; COMPUTE_PGM_RSRC2:TRAP_HANDLER: 0
; COMPUTE_PGM_RSRC2:TGID_X_EN: 1
; COMPUTE_PGM_RSRC2:TGID_Y_EN: 1
; COMPUTE_PGM_RSRC2:TGID_Z_EN: 1
; COMPUTE_PGM_RSRC2:TIDIG_COMP_CNT: 0
	.section	.text._ZN4vllm25paged_attention_v1_kernelIfhLi120ELi8ELi128ELNS_18Fp8KVCacheDataTypeE1ELb0EEEvPT_PKS2_PKT0_S8_ifPKiSA_iPKfiiiSC_SC_iiiii,"axG",@progbits,_ZN4vllm25paged_attention_v1_kernelIfhLi120ELi8ELi128ELNS_18Fp8KVCacheDataTypeE1ELb0EEEvPT_PKS2_PKT0_S8_ifPKiSA_iPKfiiiSC_SC_iiiii,comdat
	.protected	_ZN4vllm25paged_attention_v1_kernelIfhLi120ELi8ELi128ELNS_18Fp8KVCacheDataTypeE1ELb0EEEvPT_PKS2_PKT0_S8_ifPKiSA_iPKfiiiSC_SC_iiiii ; -- Begin function _ZN4vllm25paged_attention_v1_kernelIfhLi120ELi8ELi128ELNS_18Fp8KVCacheDataTypeE1ELb0EEEvPT_PKS2_PKT0_S8_ifPKiSA_iPKfiiiSC_SC_iiiii
	.globl	_ZN4vllm25paged_attention_v1_kernelIfhLi120ELi8ELi128ELNS_18Fp8KVCacheDataTypeE1ELb0EEEvPT_PKS2_PKT0_S8_ifPKiSA_iPKfiiiSC_SC_iiiii
	.p2align	8
	.type	_ZN4vllm25paged_attention_v1_kernelIfhLi120ELi8ELi128ELNS_18Fp8KVCacheDataTypeE1ELb0EEEvPT_PKS2_PKT0_S8_ifPKiSA_iPKfiiiSC_SC_iiiii,@function
_ZN4vllm25paged_attention_v1_kernelIfhLi120ELi8ELi128ELNS_18Fp8KVCacheDataTypeE1ELb0EEEvPT_PKS2_PKT0_S8_ifPKiSA_iPKfiiiSC_SC_iiiii: ; @_ZN4vllm25paged_attention_v1_kernelIfhLi120ELi8ELi128ELNS_18Fp8KVCacheDataTypeE1ELb0EEEvPT_PKS2_PKT0_S8_ifPKiSA_iPKfiiiSC_SC_iiiii
; %bb.0:
	s_load_dword s9, s[4:5], 0x80
	s_load_dwordx2 s[0:1], s[4:5], 0x30
	s_load_dwordx2 s[30:31], s[4:5], 0x20
	s_mov_b32 s10, s7
	s_ashr_i32 s11, s7, 31
	s_lshl_b64 s[2:3], s[10:11], 2
	s_waitcnt lgkmcnt(0)
	s_add_u32 s0, s0, s2
	s_addc_u32 s1, s1, s3
	s_abs_i32 s2, s30
	v_cvt_f32_u32_e32 v1, s2
	s_sub_i32 s11, 0, s2
	s_abs_i32 s7, s9
	s_xor_b32 s3, s9, s30
	v_rcp_iflag_f32_e32 v1, v1
	s_ashr_i32 s3, s3, 31
	s_mov_b32 s33, 0
	v_mul_f32_e32 v1, 0x4f7ffffe, v1
	v_cvt_u32_f32_e32 v1, v1
	v_readfirstlane_b32 s12, v1
	s_mul_i32 s11, s11, s12
	s_mul_hi_u32 s11, s12, s11
	s_add_i32 s12, s12, s11
	s_mul_hi_u32 s11, s7, s12
	s_mul_i32 s12, s11, s2
	s_sub_i32 s7, s7, s12
	s_add_i32 s12, s11, 1
	s_sub_i32 s13, s7, s2
	s_cmp_ge_u32 s7, s2
	s_cselect_b32 s11, s12, s11
	s_cselect_b32 s7, s13, s7
	s_add_i32 s12, s11, 1
	s_cmp_ge_u32 s7, s2
	s_cselect_b32 s2, s12, s11
	s_xor_b32 s2, s2, s3
	s_sub_i32 s12, s2, s3
	s_abs_i32 s11, s12
	v_cvt_f32_u32_e32 v1, s11
	s_load_dwordx2 s[2:3], s[4:5], 0x40
	s_sub_i32 s7, 0, s11
	s_abs_i32 s16, s6
	v_rcp_iflag_f32_e32 v1, v1
	v_mul_f32_e32 v1, 0x4f7ffffe, v1
	v_cvt_u32_f32_e32 v1, v1
	v_readfirstlane_b32 s13, v1
	s_mul_i32 s7, s7, s13
	s_mul_hi_u32 s7, s13, s7
	s_add_i32 s13, s13, s7
	s_waitcnt lgkmcnt(0)
	s_cmp_eq_u64 s[2:3], 0
	s_mul_hi_u32 s17, s16, s13
	s_cbranch_scc1 .LBB176_2
; %bb.1:
	s_ashr_i32 s7, s6, 31
	s_lshl_b64 s[14:15], s[6:7], 2
	s_add_u32 s2, s2, s14
	s_addc_u32 s3, s3, s15
	s_load_dword s33, s[2:3], 0x0
.LBB176_2:
	s_load_dword s30, s[0:1], 0x0
	s_ashr_i32 s3, s12, 31
	s_load_dwordx4 s[12:15], s[4:5], 0x48
	s_movk_i32 s0, 0x78
	s_ashr_i32 s2, s6, 31
	v_and_b32_e32 v1, 7, v0
	s_mul_i32 s20, s6, 0x78
	v_cmp_gt_u32_e32 vcc, s0, v0
	v_lshlrev_b32_e32 v22, 2, v0
	v_lshrrev_b32_e32 v26, 1, v0
	s_and_saveexec_b64 s[0:1], vcc
	s_cbranch_execz .LBB176_4
; %bb.3:
	s_load_dwordx2 s[6:7], s[4:5], 0x8
	s_waitcnt lgkmcnt(0)
	s_mul_i32 s18, s12, s10
	s_ashr_i32 s19, s18, 31
	s_lshl_b64 s[18:19], s[18:19], 2
	v_and_b32_e32 v3, 0x1fc, v26
	s_add_u32 s12, s6, s18
	s_addc_u32 s15, s7, s19
	s_ashr_i32 s21, s20, 31
	s_lshl_b64 s[6:7], s[20:21], 2
	s_add_u32 s6, s12, s6
	s_addc_u32 s7, s15, s7
	global_load_dword v2, v22, s[6:7]
	v_mad_u32_u24 v3, v1, 60, v3
	s_waitcnt vmcnt(0)
	ds_write_b32 v3, v2
.LBB176_4:
	s_or_b64 exec, exec, s[0:1]
	s_waitcnt lgkmcnt(0)
	s_add_i32 s1, s30, 7
	s_ashr_i32 s6, s1, 31
	s_lshr_b32 s6, s6, 29
	s_add_i32 s1, s1, s6
	s_ashr_i32 s21, s1, 3
	s_xor_b32 s1, s2, s3
	s_mul_i32 s2, s17, s11
	s_sub_i32 s2, s16, s2
	s_add_i32 s3, s17, 1
	s_sub_i32 s6, s2, s11
	s_load_dwordx2 s[24:25], s[4:5], 0x28
	s_load_dword s0, s[4:5], 0x38
	s_cmp_ge_u32 s2, s11
	s_cselect_b32 s3, s3, s17
	s_cselect_b32 s2, s6, s2
	s_add_i32 s6, s3, 1
	s_cmp_ge_u32 s2, s11
	s_cselect_b32 s2, s6, s3
	v_lshrrev_b32_e32 v27, 6, v0
	s_xor_b32 s2, s2, s1
	s_waitcnt lgkmcnt(0)
	s_mul_i32 s26, s0, s10
	s_sub_i32 s12, s2, s1
	s_ashr_i32 s27, s26, 31
	v_cmp_le_i32_e64 s[0:1], s21, v27
	v_mbcnt_lo_u32_b32 v2, -1, 0
	s_barrier
                                        ; implicit-def: $vgpr24
                                        ; implicit-def: $vgpr29
                                        ; implicit-def: $vgpr25
	s_and_saveexec_b64 s[2:3], s[0:1]
	s_xor_b64 s[2:3], exec, s[2:3]
; %bb.5:
	v_mbcnt_hi_u32_b32 v24, -1, v2
	v_and_b32_e32 v29, 64, v24
	v_add_u32_e32 v25, 64, v29
                                        ; implicit-def: $vgpr1
                                        ; implicit-def: $vgpr2
; %bb.6:
	s_or_saveexec_b64 s[6:7], s[2:3]
	s_load_dwordx2 s[22:23], s[4:5], 0x0
	s_load_dwordx2 s[28:29], s[4:5], 0x18
	s_load_dword s11, s[4:5], 0x88
	s_load_dwordx4 s[16:19], s[4:5], 0x58
	v_mov_b32_e32 v32, 0xff7fffff
	s_mul_i32 s12, s12, s14
	v_lshrrev_b32_e32 v23, 4, v0
	s_xor_b64 exec, exec, s[6:7]
	s_cbranch_execz .LBB176_102
; %bb.7:
	s_load_dwordx2 s[2:3], s[4:5], 0x10
	s_ashr_i32 s4, s12, 31
	v_bfe_u32 v3, v0, 3, 3
	v_lshlrev_b32_e32 v4, 4, v3
	v_mbcnt_hi_u32_b32 v24, -1, v2
	s_waitcnt lgkmcnt(0)
	s_add_u32 s2, s2, s12
	s_addc_u32 s3, s3, s4
	v_mov_b32_e32 v5, s3
	v_add_co_u32_e32 v4, vcc, s2, v4
	v_and_b32_e32 v29, 64, v24
	v_addc_co_u32_e32 v5, vcc, 0, v5, vcc
	v_add_u32_e32 v25, 64, v29
	v_xor_b32_e32 v2, 4, v24
	v_cmp_lt_i32_e32 vcc, v2, v25
	v_cndmask_b32_e32 v2, v24, v2, vcc
	v_lshlrev_b32_e32 v28, 2, v2
	v_xor_b32_e32 v2, 2, v24
	v_cmp_lt_i32_e32 vcc, v2, v25
	v_cndmask_b32_e32 v2, v24, v2, vcc
	v_lshlrev_b32_e32 v30, 2, v2
	v_xor_b32_e32 v2, 1, v24
	v_cmp_lt_i32_e32 vcc, v2, v25
	v_mul_u32_u24_e32 v17, 60, v1
	v_cndmask_b32_e32 v2, v24, v2, vcc
	v_cmp_eq_u32_e32 vcc, 0, v1
	v_add_co_u32_e64 v1, s[4:5], v4, v1
	v_lshlrev_b32_e32 v31, 2, v2
	s_load_dword s39, s[16:17], 0x0
	v_addc_co_u32_e64 v2, s[4:5], 0, v5, s[4:5]
	ds_read2_b32 v[5:6], v17 offset0:8 offset1:9
	ds_read2_b32 v[7:8], v17 offset0:10 offset1:11
	ds_read_b32 v35, v17 offset:56
	ds_read2_b32 v[9:10], v17 offset0:12 offset1:13
	ds_read2_b32 v[11:12], v17 offset1:1
	ds_read2_b32 v[13:14], v17 offset0:2 offset1:3
	ds_read2_b32 v[15:16], v17 offset0:4 offset1:5
	;; [unrolled: 1-line block ×3, first 2 shown]
	s_sub_i32 s40, 1, s30
	v_lshl_or_b32 v33, v27, 3, v3
	v_lshlrev_b32_e32 v3, 2, v3
	s_lshl_b64 s[4:5], s[26:27], 2
	v_lshl_or_b32 v3, v27, 5, v3
	s_add_u32 s4, s24, s4
	v_add_u32_e32 v34, 0x1f0, v3
	v_and_b32_e32 v3, 60, v23
	s_addc_u32 s5, s25, s5
	v_mov_b32_e32 v4, s5
	v_add_co_u32_e64 v3, s[4:5], s4, v3
	s_mov_b32 s38, s13
	v_cmp_neq_f32_e64 s[2:3], s33, 0
	v_addc_co_u32_e64 v4, s[4:5], 0, v4, s[4:5]
	s_mov_b64 s[14:15], 0
	s_movk_i32 s41, 0x80
	s_movk_i32 s42, 0x7f
	v_mov_b32_e32 v32, 0xff7fffff
	v_bfrev_b32_e32 v36, 60
	v_mov_b32_e32 v37, v27
	s_branch .LBB176_9
.LBB176_8:                              ;   in Loop: Header=BB176_9 Depth=1
	s_or_b64 exec, exec, s[16:17]
	v_add_u32_e32 v37, 2, v37
	v_cmp_le_i32_e64 s[4:5], s21, v37
	s_or_b64 s[14:15], s[4:5], s[14:15]
	v_add_co_u32_e64 v3, s[4:5], 8, v3
	v_add_u32_e32 v33, 16, v33
	v_add_u32_e32 v34, 64, v34
	v_addc_co_u32_e64 v4, s[4:5], 0, v4, s[4:5]
	s_andn2_b64 exec, exec, s[14:15]
	s_cbranch_execz .LBB176_101
.LBB176_9:                              ; =>This Inner Loop Header: Depth=1
	global_load_dword v19, v[3:4], off
	v_mov_b32_e32 v38, 0
	s_waitcnt vmcnt(0) lgkmcnt(0)
	v_mad_i64_i32 v[19:20], s[4:5], v19, s38, v[1:2]
	global_load_ubyte v39, v[19:20], off
	s_waitcnt vmcnt(0)
	v_cmp_ne_u16_e64 s[4:5], 0, v39
	s_and_saveexec_b64 s[16:17], s[4:5]
	s_cbranch_execz .LBB176_15
; %bb.10:                               ;   in Loop: Header=BB176_9 Depth=1
	v_cmp_ne_u16_e64 s[4:5], s41, v39
	v_bfrev_b32_e32 v38, 1
	s_and_saveexec_b64 s[34:35], s[4:5]
	s_cbranch_execz .LBB176_14
; %bb.11:                               ;   in Loop: Header=BB176_9 Depth=1
	v_and_b32_e32 v21, 0xffff, v39
	v_and_b32_e32 v40, 0x7f, v21
	v_cmp_ne_u32_e64 s[4:5], s42, v40
	v_mov_b32_e32 v38, 0x7f800001
	s_and_saveexec_b64 s[36:37], s[4:5]
	s_cbranch_execz .LBB176_13
; %bb.12:                               ;   in Loop: Header=BB176_9 Depth=1
	v_and_b32_e32 v38, 7, v21
	v_ffbh_u32_e32 v41, v38
	v_min_u32_e32 v44, 32, v41
	v_subrev_u32_e32 v41, 28, v44
	v_lshlrev_b64 v[41:42], v41, v[21:22]
	v_lshrrev_b32_e32 v43, 3, v40
	v_sub_u32_e32 v21, 29, v44
	v_and_b32_e32 v41, 7, v41
	v_cmp_gt_u32_e64 s[4:5], 8, v40
	v_cndmask_b32_e64 v21, v43, v21, s[4:5]
	v_cndmask_b32_e64 v38, v38, v41, s[4:5]
	v_lshlrev_b32_e32 v39, 24, v39
	v_lshlrev_b32_e32 v38, 20, v38
	v_and_b32_e32 v39, 0x80000000, v39
	v_lshl_add_u32 v21, v21, 23, v36
	v_or3_b32 v38, v39, v21, v38
.LBB176_13:                             ;   in Loop: Header=BB176_9 Depth=1
	s_or_b64 exec, exec, s[36:37]
.LBB176_14:                             ;   in Loop: Header=BB176_9 Depth=1
	s_or_b64 exec, exec, s[34:35]
.LBB176_15:                             ;   in Loop: Header=BB176_9 Depth=1
	s_or_b64 exec, exec, s[16:17]
	global_load_ubyte v41, v[19:20], off offset:8
	v_mov_b32_e32 v39, 0
	v_mov_b32_e32 v40, 0
	s_waitcnt vmcnt(0)
	v_cmp_ne_u16_e64 s[4:5], 0, v41
	s_and_saveexec_b64 s[16:17], s[4:5]
	s_cbranch_execz .LBB176_21
; %bb.16:                               ;   in Loop: Header=BB176_9 Depth=1
	v_cmp_ne_u16_e64 s[4:5], s41, v41
	v_bfrev_b32_e32 v40, 1
	s_and_saveexec_b64 s[34:35], s[4:5]
	s_cbranch_execz .LBB176_20
; %bb.17:                               ;   in Loop: Header=BB176_9 Depth=1
	v_and_b32_e32 v21, 0xffff, v41
	v_and_b32_e32 v42, 0x7f, v21
	v_cmp_ne_u32_e64 s[4:5], s42, v42
	v_mov_b32_e32 v40, 0x7f800001
	s_and_saveexec_b64 s[36:37], s[4:5]
	s_cbranch_execz .LBB176_19
; %bb.18:                               ;   in Loop: Header=BB176_9 Depth=1
	v_and_b32_e32 v40, 7, v21
	v_ffbh_u32_e32 v43, v40
	v_min_u32_e32 v46, 32, v43
	v_subrev_u32_e32 v43, 28, v46
	v_lshlrev_b64 v[43:44], v43, v[21:22]
	v_lshrrev_b32_e32 v45, 3, v42
	v_sub_u32_e32 v21, 29, v46
	v_and_b32_e32 v43, 7, v43
	v_cmp_gt_u32_e64 s[4:5], 8, v42
	v_cndmask_b32_e64 v21, v45, v21, s[4:5]
	v_cndmask_b32_e64 v40, v40, v43, s[4:5]
	v_lshlrev_b32_e32 v41, 24, v41
	v_lshlrev_b32_e32 v40, 20, v40
	v_and_b32_e32 v41, 0x80000000, v41
	v_lshl_add_u32 v21, v21, 23, v36
	v_or3_b32 v40, v41, v21, v40
.LBB176_19:                             ;   in Loop: Header=BB176_9 Depth=1
	s_or_b64 exec, exec, s[36:37]
.LBB176_20:                             ;   in Loop: Header=BB176_9 Depth=1
	s_or_b64 exec, exec, s[34:35]
.LBB176_21:                             ;   in Loop: Header=BB176_9 Depth=1
	s_or_b64 exec, exec, s[16:17]
	global_load_ubyte v41, v[19:20], off offset:128
	s_waitcnt vmcnt(0)
	v_cmp_ne_u16_e64 s[4:5], 0, v41
	s_and_saveexec_b64 s[16:17], s[4:5]
	s_cbranch_execz .LBB176_27
; %bb.22:                               ;   in Loop: Header=BB176_9 Depth=1
	v_cmp_ne_u16_e64 s[4:5], s41, v41
	v_bfrev_b32_e32 v39, 1
	s_and_saveexec_b64 s[34:35], s[4:5]
	s_cbranch_execz .LBB176_26
; %bb.23:                               ;   in Loop: Header=BB176_9 Depth=1
	v_and_b32_e32 v21, 0xffff, v41
	v_and_b32_e32 v42, 0x7f, v21
	v_cmp_ne_u32_e64 s[4:5], s42, v42
	v_mov_b32_e32 v39, 0x7f800001
	s_and_saveexec_b64 s[36:37], s[4:5]
	s_cbranch_execz .LBB176_25
; %bb.24:                               ;   in Loop: Header=BB176_9 Depth=1
	v_and_b32_e32 v39, 7, v21
	v_ffbh_u32_e32 v43, v39
	v_min_u32_e32 v46, 32, v43
	v_subrev_u32_e32 v43, 28, v46
	v_lshlrev_b64 v[43:44], v43, v[21:22]
	v_lshrrev_b32_e32 v45, 3, v42
	v_sub_u32_e32 v21, 29, v46
	v_and_b32_e32 v43, 7, v43
	v_cmp_gt_u32_e64 s[4:5], 8, v42
	v_cndmask_b32_e64 v21, v45, v21, s[4:5]
	v_cndmask_b32_e64 v39, v39, v43, s[4:5]
	v_lshlrev_b32_e32 v41, 24, v41
	v_lshlrev_b32_e32 v39, 20, v39
	v_and_b32_e32 v41, 0x80000000, v41
	v_lshl_add_u32 v21, v21, 23, v36
	v_or3_b32 v39, v41, v21, v39
.LBB176_25:                             ;   in Loop: Header=BB176_9 Depth=1
	s_or_b64 exec, exec, s[36:37]
.LBB176_26:                             ;   in Loop: Header=BB176_9 Depth=1
	s_or_b64 exec, exec, s[34:35]
.LBB176_27:                             ;   in Loop: Header=BB176_9 Depth=1
	s_or_b64 exec, exec, s[16:17]
	global_load_ubyte v43, v[19:20], off offset:136
	v_mov_b32_e32 v41, 0
	v_mov_b32_e32 v42, 0
	s_waitcnt vmcnt(0)
	v_cmp_ne_u16_e64 s[4:5], 0, v43
	s_and_saveexec_b64 s[16:17], s[4:5]
	s_cbranch_execz .LBB176_33
; %bb.28:                               ;   in Loop: Header=BB176_9 Depth=1
	v_cmp_ne_u16_e64 s[4:5], s41, v43
	v_bfrev_b32_e32 v42, 1
	s_and_saveexec_b64 s[34:35], s[4:5]
	s_cbranch_execz .LBB176_32
; %bb.29:                               ;   in Loop: Header=BB176_9 Depth=1
	v_and_b32_e32 v21, 0xffff, v43
	v_and_b32_e32 v44, 0x7f, v21
	v_cmp_ne_u32_e64 s[4:5], s42, v44
	v_mov_b32_e32 v42, 0x7f800001
	s_and_saveexec_b64 s[36:37], s[4:5]
	s_cbranch_execz .LBB176_31
; %bb.30:                               ;   in Loop: Header=BB176_9 Depth=1
	v_and_b32_e32 v42, 7, v21
	v_ffbh_u32_e32 v45, v42
	v_min_u32_e32 v48, 32, v45
	v_subrev_u32_e32 v45, 28, v48
	v_lshlrev_b64 v[45:46], v45, v[21:22]
	v_lshrrev_b32_e32 v47, 3, v44
	v_sub_u32_e32 v21, 29, v48
	v_and_b32_e32 v45, 7, v45
	v_cmp_gt_u32_e64 s[4:5], 8, v44
	v_cndmask_b32_e64 v21, v47, v21, s[4:5]
	v_cndmask_b32_e64 v42, v42, v45, s[4:5]
	v_lshlrev_b32_e32 v43, 24, v43
	v_lshlrev_b32_e32 v42, 20, v42
	v_and_b32_e32 v43, 0x80000000, v43
	v_lshl_add_u32 v21, v21, 23, v36
	v_or3_b32 v42, v43, v21, v42
.LBB176_31:                             ;   in Loop: Header=BB176_9 Depth=1
	s_or_b64 exec, exec, s[36:37]
.LBB176_32:                             ;   in Loop: Header=BB176_9 Depth=1
	s_or_b64 exec, exec, s[34:35]
.LBB176_33:                             ;   in Loop: Header=BB176_9 Depth=1
	s_or_b64 exec, exec, s[16:17]
	global_load_ubyte v43, v[19:20], off offset:256
	s_waitcnt vmcnt(0)
	v_cmp_ne_u16_e64 s[4:5], 0, v43
	s_and_saveexec_b64 s[16:17], s[4:5]
	s_cbranch_execz .LBB176_39
; %bb.34:                               ;   in Loop: Header=BB176_9 Depth=1
	v_cmp_ne_u16_e64 s[4:5], s41, v43
	v_bfrev_b32_e32 v41, 1
	s_and_saveexec_b64 s[34:35], s[4:5]
	s_cbranch_execz .LBB176_38
; %bb.35:                               ;   in Loop: Header=BB176_9 Depth=1
	v_and_b32_e32 v21, 0xffff, v43
	v_and_b32_e32 v44, 0x7f, v21
	v_cmp_ne_u32_e64 s[4:5], s42, v44
	v_mov_b32_e32 v41, 0x7f800001
	s_and_saveexec_b64 s[36:37], s[4:5]
	s_cbranch_execz .LBB176_37
; %bb.36:                               ;   in Loop: Header=BB176_9 Depth=1
	v_and_b32_e32 v41, 7, v21
	v_ffbh_u32_e32 v45, v41
	v_min_u32_e32 v48, 32, v45
	v_subrev_u32_e32 v45, 28, v48
	v_lshlrev_b64 v[45:46], v45, v[21:22]
	v_lshrrev_b32_e32 v47, 3, v44
	v_sub_u32_e32 v21, 29, v48
	v_and_b32_e32 v45, 7, v45
	v_cmp_gt_u32_e64 s[4:5], 8, v44
	v_cndmask_b32_e64 v21, v47, v21, s[4:5]
	v_cndmask_b32_e64 v41, v41, v45, s[4:5]
	v_lshlrev_b32_e32 v43, 24, v43
	v_lshlrev_b32_e32 v41, 20, v41
	v_and_b32_e32 v43, 0x80000000, v43
	v_lshl_add_u32 v21, v21, 23, v36
	v_or3_b32 v41, v43, v21, v41
.LBB176_37:                             ;   in Loop: Header=BB176_9 Depth=1
	s_or_b64 exec, exec, s[36:37]
.LBB176_38:                             ;   in Loop: Header=BB176_9 Depth=1
	s_or_b64 exec, exec, s[34:35]
.LBB176_39:                             ;   in Loop: Header=BB176_9 Depth=1
	s_or_b64 exec, exec, s[16:17]
	global_load_ubyte v45, v[19:20], off offset:264
	v_mov_b32_e32 v43, 0
	v_mov_b32_e32 v44, 0
	s_waitcnt vmcnt(0)
	v_cmp_ne_u16_e64 s[4:5], 0, v45
	s_and_saveexec_b64 s[16:17], s[4:5]
	s_cbranch_execz .LBB176_45
; %bb.40:                               ;   in Loop: Header=BB176_9 Depth=1
	v_cmp_ne_u16_e64 s[4:5], s41, v45
	v_bfrev_b32_e32 v44, 1
	s_and_saveexec_b64 s[34:35], s[4:5]
	s_cbranch_execz .LBB176_44
; %bb.41:                               ;   in Loop: Header=BB176_9 Depth=1
	v_and_b32_e32 v21, 0xffff, v45
	v_and_b32_e32 v46, 0x7f, v21
	v_cmp_ne_u32_e64 s[4:5], s42, v46
	v_mov_b32_e32 v44, 0x7f800001
	s_and_saveexec_b64 s[36:37], s[4:5]
	s_cbranch_execz .LBB176_43
; %bb.42:                               ;   in Loop: Header=BB176_9 Depth=1
	v_and_b32_e32 v44, 7, v21
	v_ffbh_u32_e32 v47, v44
	v_min_u32_e32 v50, 32, v47
	v_subrev_u32_e32 v47, 28, v50
	v_lshlrev_b64 v[47:48], v47, v[21:22]
	v_lshrrev_b32_e32 v49, 3, v46
	v_sub_u32_e32 v21, 29, v50
	v_and_b32_e32 v47, 7, v47
	v_cmp_gt_u32_e64 s[4:5], 8, v46
	v_cndmask_b32_e64 v21, v49, v21, s[4:5]
	v_cndmask_b32_e64 v44, v44, v47, s[4:5]
	v_lshlrev_b32_e32 v45, 24, v45
	v_lshlrev_b32_e32 v44, 20, v44
	v_and_b32_e32 v45, 0x80000000, v45
	v_lshl_add_u32 v21, v21, 23, v36
	v_or3_b32 v44, v45, v21, v44
.LBB176_43:                             ;   in Loop: Header=BB176_9 Depth=1
	s_or_b64 exec, exec, s[36:37]
.LBB176_44:                             ;   in Loop: Header=BB176_9 Depth=1
	s_or_b64 exec, exec, s[34:35]
.LBB176_45:                             ;   in Loop: Header=BB176_9 Depth=1
	s_or_b64 exec, exec, s[16:17]
	global_load_ubyte v45, v[19:20], off offset:384
	s_waitcnt vmcnt(0)
	v_cmp_ne_u16_e64 s[4:5], 0, v45
	s_and_saveexec_b64 s[16:17], s[4:5]
	s_cbranch_execz .LBB176_51
; %bb.46:                               ;   in Loop: Header=BB176_9 Depth=1
	v_cmp_ne_u16_e64 s[4:5], s41, v45
	v_bfrev_b32_e32 v43, 1
	s_and_saveexec_b64 s[34:35], s[4:5]
	s_cbranch_execz .LBB176_50
; %bb.47:                               ;   in Loop: Header=BB176_9 Depth=1
	v_and_b32_e32 v21, 0xffff, v45
	v_and_b32_e32 v46, 0x7f, v21
	v_cmp_ne_u32_e64 s[4:5], s42, v46
	v_mov_b32_e32 v43, 0x7f800001
	s_and_saveexec_b64 s[36:37], s[4:5]
	s_cbranch_execz .LBB176_49
; %bb.48:                               ;   in Loop: Header=BB176_9 Depth=1
	v_and_b32_e32 v43, 7, v21
	v_ffbh_u32_e32 v47, v43
	v_min_u32_e32 v50, 32, v47
	v_subrev_u32_e32 v47, 28, v50
	v_lshlrev_b64 v[47:48], v47, v[21:22]
	v_lshrrev_b32_e32 v49, 3, v46
	v_sub_u32_e32 v21, 29, v50
	v_and_b32_e32 v47, 7, v47
	v_cmp_gt_u32_e64 s[4:5], 8, v46
	v_cndmask_b32_e64 v21, v49, v21, s[4:5]
	v_cndmask_b32_e64 v43, v43, v47, s[4:5]
	v_lshlrev_b32_e32 v45, 24, v45
	v_lshlrev_b32_e32 v43, 20, v43
	v_and_b32_e32 v45, 0x80000000, v45
	v_lshl_add_u32 v21, v21, 23, v36
	v_or3_b32 v43, v45, v21, v43
.LBB176_49:                             ;   in Loop: Header=BB176_9 Depth=1
	s_or_b64 exec, exec, s[36:37]
.LBB176_50:                             ;   in Loop: Header=BB176_9 Depth=1
	s_or_b64 exec, exec, s[34:35]
.LBB176_51:                             ;   in Loop: Header=BB176_9 Depth=1
	s_or_b64 exec, exec, s[16:17]
	global_load_ubyte v47, v[19:20], off offset:392
	v_mov_b32_e32 v45, 0
	v_mov_b32_e32 v46, 0
	s_waitcnt vmcnt(0)
	v_cmp_ne_u16_e64 s[4:5], 0, v47
	s_and_saveexec_b64 s[16:17], s[4:5]
	s_cbranch_execz .LBB176_57
; %bb.52:                               ;   in Loop: Header=BB176_9 Depth=1
	v_cmp_ne_u16_e64 s[4:5], s41, v47
	v_bfrev_b32_e32 v46, 1
	s_and_saveexec_b64 s[34:35], s[4:5]
	s_cbranch_execz .LBB176_56
; %bb.53:                               ;   in Loop: Header=BB176_9 Depth=1
	v_and_b32_e32 v21, 0xffff, v47
	v_and_b32_e32 v48, 0x7f, v21
	v_cmp_ne_u32_e64 s[4:5], s42, v48
	v_mov_b32_e32 v46, 0x7f800001
	s_and_saveexec_b64 s[36:37], s[4:5]
	s_cbranch_execz .LBB176_55
; %bb.54:                               ;   in Loop: Header=BB176_9 Depth=1
	v_and_b32_e32 v46, 7, v21
	v_ffbh_u32_e32 v49, v46
	v_min_u32_e32 v52, 32, v49
	v_subrev_u32_e32 v49, 28, v52
	v_lshlrev_b64 v[49:50], v49, v[21:22]
	v_lshrrev_b32_e32 v51, 3, v48
	v_sub_u32_e32 v21, 29, v52
	v_and_b32_e32 v49, 7, v49
	v_cmp_gt_u32_e64 s[4:5], 8, v48
	v_cndmask_b32_e64 v21, v51, v21, s[4:5]
	v_cndmask_b32_e64 v46, v46, v49, s[4:5]
	v_lshlrev_b32_e32 v47, 24, v47
	v_lshlrev_b32_e32 v46, 20, v46
	v_and_b32_e32 v47, 0x80000000, v47
	v_lshl_add_u32 v21, v21, 23, v36
	v_or3_b32 v46, v47, v21, v46
.LBB176_55:                             ;   in Loop: Header=BB176_9 Depth=1
	s_or_b64 exec, exec, s[36:37]
.LBB176_56:                             ;   in Loop: Header=BB176_9 Depth=1
	s_or_b64 exec, exec, s[34:35]
.LBB176_57:                             ;   in Loop: Header=BB176_9 Depth=1
	s_or_b64 exec, exec, s[16:17]
	global_load_ubyte v47, v[19:20], off offset:512
	s_waitcnt vmcnt(0)
	v_cmp_ne_u16_e64 s[4:5], 0, v47
	s_and_saveexec_b64 s[16:17], s[4:5]
	s_cbranch_execz .LBB176_63
; %bb.58:                               ;   in Loop: Header=BB176_9 Depth=1
	v_cmp_ne_u16_e64 s[4:5], s41, v47
	v_bfrev_b32_e32 v45, 1
	s_and_saveexec_b64 s[34:35], s[4:5]
	s_cbranch_execz .LBB176_62
; %bb.59:                               ;   in Loop: Header=BB176_9 Depth=1
	v_and_b32_e32 v21, 0xffff, v47
	v_and_b32_e32 v48, 0x7f, v21
	v_cmp_ne_u32_e64 s[4:5], s42, v48
	v_mov_b32_e32 v45, 0x7f800001
	s_and_saveexec_b64 s[36:37], s[4:5]
	s_cbranch_execz .LBB176_61
; %bb.60:                               ;   in Loop: Header=BB176_9 Depth=1
	v_and_b32_e32 v45, 7, v21
	v_ffbh_u32_e32 v49, v45
	v_min_u32_e32 v52, 32, v49
	v_subrev_u32_e32 v49, 28, v52
	v_lshlrev_b64 v[49:50], v49, v[21:22]
	v_lshrrev_b32_e32 v51, 3, v48
	v_sub_u32_e32 v21, 29, v52
	v_and_b32_e32 v49, 7, v49
	v_cmp_gt_u32_e64 s[4:5], 8, v48
	v_cndmask_b32_e64 v21, v51, v21, s[4:5]
	v_cndmask_b32_e64 v45, v45, v49, s[4:5]
	v_lshlrev_b32_e32 v47, 24, v47
	v_lshlrev_b32_e32 v45, 20, v45
	v_and_b32_e32 v47, 0x80000000, v47
	v_lshl_add_u32 v21, v21, 23, v36
	v_or3_b32 v45, v47, v21, v45
.LBB176_61:                             ;   in Loop: Header=BB176_9 Depth=1
	s_or_b64 exec, exec, s[36:37]
.LBB176_62:                             ;   in Loop: Header=BB176_9 Depth=1
	s_or_b64 exec, exec, s[34:35]
.LBB176_63:                             ;   in Loop: Header=BB176_9 Depth=1
	s_or_b64 exec, exec, s[16:17]
	global_load_ubyte v49, v[19:20], off offset:520
	v_mov_b32_e32 v47, 0
	v_mov_b32_e32 v48, 0
	s_waitcnt vmcnt(0)
	v_cmp_ne_u16_e64 s[4:5], 0, v49
	s_and_saveexec_b64 s[16:17], s[4:5]
	s_cbranch_execz .LBB176_69
; %bb.64:                               ;   in Loop: Header=BB176_9 Depth=1
	v_cmp_ne_u16_e64 s[4:5], s41, v49
	v_bfrev_b32_e32 v48, 1
	s_and_saveexec_b64 s[34:35], s[4:5]
	s_cbranch_execz .LBB176_68
; %bb.65:                               ;   in Loop: Header=BB176_9 Depth=1
	v_and_b32_e32 v21, 0xffff, v49
	v_and_b32_e32 v50, 0x7f, v21
	v_cmp_ne_u32_e64 s[4:5], s42, v50
	v_mov_b32_e32 v48, 0x7f800001
	s_and_saveexec_b64 s[36:37], s[4:5]
	s_cbranch_execz .LBB176_67
; %bb.66:                               ;   in Loop: Header=BB176_9 Depth=1
	v_and_b32_e32 v48, 7, v21
	v_ffbh_u32_e32 v51, v48
	v_min_u32_e32 v54, 32, v51
	v_subrev_u32_e32 v51, 28, v54
	v_lshlrev_b64 v[51:52], v51, v[21:22]
	v_lshrrev_b32_e32 v53, 3, v50
	v_sub_u32_e32 v21, 29, v54
	v_and_b32_e32 v51, 7, v51
	v_cmp_gt_u32_e64 s[4:5], 8, v50
	v_cndmask_b32_e64 v21, v53, v21, s[4:5]
	v_cndmask_b32_e64 v48, v48, v51, s[4:5]
	v_lshlrev_b32_e32 v49, 24, v49
	v_lshlrev_b32_e32 v48, 20, v48
	v_and_b32_e32 v49, 0x80000000, v49
	v_lshl_add_u32 v21, v21, 23, v36
	v_or3_b32 v48, v49, v21, v48
.LBB176_67:                             ;   in Loop: Header=BB176_9 Depth=1
	s_or_b64 exec, exec, s[36:37]
.LBB176_68:                             ;   in Loop: Header=BB176_9 Depth=1
	s_or_b64 exec, exec, s[34:35]
.LBB176_69:                             ;   in Loop: Header=BB176_9 Depth=1
	s_or_b64 exec, exec, s[16:17]
	global_load_ubyte v49, v[19:20], off offset:640
	s_waitcnt vmcnt(0)
	v_cmp_ne_u16_e64 s[4:5], 0, v49
	s_and_saveexec_b64 s[16:17], s[4:5]
	s_cbranch_execz .LBB176_75
; %bb.70:                               ;   in Loop: Header=BB176_9 Depth=1
	v_cmp_ne_u16_e64 s[4:5], s41, v49
	v_bfrev_b32_e32 v47, 1
	s_and_saveexec_b64 s[34:35], s[4:5]
	s_cbranch_execz .LBB176_74
; %bb.71:                               ;   in Loop: Header=BB176_9 Depth=1
	v_and_b32_e32 v21, 0xffff, v49
	v_and_b32_e32 v50, 0x7f, v21
	v_cmp_ne_u32_e64 s[4:5], s42, v50
	v_mov_b32_e32 v47, 0x7f800001
	s_and_saveexec_b64 s[36:37], s[4:5]
	s_cbranch_execz .LBB176_73
; %bb.72:                               ;   in Loop: Header=BB176_9 Depth=1
	v_and_b32_e32 v47, 7, v21
	v_ffbh_u32_e32 v51, v47
	v_min_u32_e32 v54, 32, v51
	v_subrev_u32_e32 v51, 28, v54
	v_lshlrev_b64 v[51:52], v51, v[21:22]
	v_lshrrev_b32_e32 v53, 3, v50
	v_sub_u32_e32 v21, 29, v54
	v_and_b32_e32 v51, 7, v51
	v_cmp_gt_u32_e64 s[4:5], 8, v50
	v_cndmask_b32_e64 v21, v53, v21, s[4:5]
	v_cndmask_b32_e64 v47, v47, v51, s[4:5]
	v_lshlrev_b32_e32 v49, 24, v49
	v_lshlrev_b32_e32 v47, 20, v47
	v_and_b32_e32 v49, 0x80000000, v49
	v_lshl_add_u32 v21, v21, 23, v36
	v_or3_b32 v47, v49, v21, v47
.LBB176_73:                             ;   in Loop: Header=BB176_9 Depth=1
	s_or_b64 exec, exec, s[36:37]
.LBB176_74:                             ;   in Loop: Header=BB176_9 Depth=1
	s_or_b64 exec, exec, s[34:35]
.LBB176_75:                             ;   in Loop: Header=BB176_9 Depth=1
	s_or_b64 exec, exec, s[16:17]
	global_load_ubyte v51, v[19:20], off offset:648
	v_mov_b32_e32 v49, 0
	v_mov_b32_e32 v50, 0
	s_waitcnt vmcnt(0)
	v_cmp_ne_u16_e64 s[4:5], 0, v51
	s_and_saveexec_b64 s[16:17], s[4:5]
	s_cbranch_execz .LBB176_81
; %bb.76:                               ;   in Loop: Header=BB176_9 Depth=1
	v_cmp_ne_u16_e64 s[4:5], s41, v51
	v_bfrev_b32_e32 v50, 1
	s_and_saveexec_b64 s[34:35], s[4:5]
	s_cbranch_execz .LBB176_80
; %bb.77:                               ;   in Loop: Header=BB176_9 Depth=1
	v_and_b32_e32 v21, 0xffff, v51
	v_and_b32_e32 v52, 0x7f, v21
	v_cmp_ne_u32_e64 s[4:5], s42, v52
	v_mov_b32_e32 v50, 0x7f800001
	s_and_saveexec_b64 s[36:37], s[4:5]
	s_cbranch_execz .LBB176_79
; %bb.78:                               ;   in Loop: Header=BB176_9 Depth=1
	v_and_b32_e32 v50, 7, v21
	v_ffbh_u32_e32 v53, v50
	v_min_u32_e32 v56, 32, v53
	v_subrev_u32_e32 v53, 28, v56
	v_lshlrev_b64 v[53:54], v53, v[21:22]
	v_lshrrev_b32_e32 v55, 3, v52
	v_sub_u32_e32 v21, 29, v56
	v_and_b32_e32 v53, 7, v53
	v_cmp_gt_u32_e64 s[4:5], 8, v52
	v_cndmask_b32_e64 v21, v55, v21, s[4:5]
	v_cndmask_b32_e64 v50, v50, v53, s[4:5]
	v_lshlrev_b32_e32 v51, 24, v51
	v_lshlrev_b32_e32 v50, 20, v50
	v_and_b32_e32 v51, 0x80000000, v51
	v_lshl_add_u32 v21, v21, 23, v36
	v_or3_b32 v50, v51, v21, v50
.LBB176_79:                             ;   in Loop: Header=BB176_9 Depth=1
	s_or_b64 exec, exec, s[36:37]
.LBB176_80:                             ;   in Loop: Header=BB176_9 Depth=1
	s_or_b64 exec, exec, s[34:35]
.LBB176_81:                             ;   in Loop: Header=BB176_9 Depth=1
	s_or_b64 exec, exec, s[16:17]
	global_load_ubyte v51, v[19:20], off offset:768
	s_waitcnt vmcnt(0)
	v_cmp_ne_u16_e64 s[4:5], 0, v51
	s_and_saveexec_b64 s[16:17], s[4:5]
	s_cbranch_execz .LBB176_87
; %bb.82:                               ;   in Loop: Header=BB176_9 Depth=1
	v_cmp_ne_u16_e64 s[4:5], s41, v51
	v_bfrev_b32_e32 v49, 1
	s_and_saveexec_b64 s[34:35], s[4:5]
	s_cbranch_execz .LBB176_86
; %bb.83:                               ;   in Loop: Header=BB176_9 Depth=1
	v_and_b32_e32 v21, 0xffff, v51
	v_and_b32_e32 v52, 0x7f, v21
	v_cmp_ne_u32_e64 s[4:5], s42, v52
	v_mov_b32_e32 v49, 0x7f800001
	s_and_saveexec_b64 s[36:37], s[4:5]
	s_cbranch_execz .LBB176_85
; %bb.84:                               ;   in Loop: Header=BB176_9 Depth=1
	v_and_b32_e32 v49, 7, v21
	v_ffbh_u32_e32 v53, v49
	v_min_u32_e32 v56, 32, v53
	v_subrev_u32_e32 v53, 28, v56
	v_lshlrev_b64 v[53:54], v53, v[21:22]
	v_lshrrev_b32_e32 v55, 3, v52
	v_sub_u32_e32 v21, 29, v56
	v_and_b32_e32 v53, 7, v53
	v_cmp_gt_u32_e64 s[4:5], 8, v52
	v_cndmask_b32_e64 v21, v55, v21, s[4:5]
	v_cndmask_b32_e64 v49, v49, v53, s[4:5]
	v_lshlrev_b32_e32 v51, 24, v51
	v_lshlrev_b32_e32 v49, 20, v49
	v_and_b32_e32 v51, 0x80000000, v51
	v_lshl_add_u32 v21, v21, 23, v36
	v_or3_b32 v49, v51, v21, v49
.LBB176_85:                             ;   in Loop: Header=BB176_9 Depth=1
	s_or_b64 exec, exec, s[36:37]
.LBB176_86:                             ;   in Loop: Header=BB176_9 Depth=1
	s_or_b64 exec, exec, s[34:35]
.LBB176_87:                             ;   in Loop: Header=BB176_9 Depth=1
	s_or_b64 exec, exec, s[16:17]
	global_load_ubyte v53, v[19:20], off offset:776
	v_mov_b32_e32 v51, 0
	v_mov_b32_e32 v52, 0
	s_waitcnt vmcnt(0)
	v_cmp_ne_u16_e64 s[4:5], 0, v53
	s_and_saveexec_b64 s[16:17], s[4:5]
	s_cbranch_execz .LBB176_93
; %bb.88:                               ;   in Loop: Header=BB176_9 Depth=1
	v_cmp_ne_u16_e64 s[4:5], s41, v53
	v_bfrev_b32_e32 v52, 1
	s_and_saveexec_b64 s[34:35], s[4:5]
	s_cbranch_execz .LBB176_92
; %bb.89:                               ;   in Loop: Header=BB176_9 Depth=1
	v_and_b32_e32 v21, 0xffff, v53
	v_and_b32_e32 v54, 0x7f, v21
	v_cmp_ne_u32_e64 s[4:5], s42, v54
	v_mov_b32_e32 v52, 0x7f800001
	s_and_saveexec_b64 s[36:37], s[4:5]
	s_cbranch_execz .LBB176_91
; %bb.90:                               ;   in Loop: Header=BB176_9 Depth=1
	v_and_b32_e32 v52, 7, v21
	v_ffbh_u32_e32 v55, v52
	v_min_u32_e32 v58, 32, v55
	v_subrev_u32_e32 v55, 28, v58
	v_lshlrev_b64 v[55:56], v55, v[21:22]
	v_lshrrev_b32_e32 v57, 3, v54
	v_sub_u32_e32 v21, 29, v58
	v_and_b32_e32 v55, 7, v55
	v_cmp_gt_u32_e64 s[4:5], 8, v54
	v_cndmask_b32_e64 v21, v57, v21, s[4:5]
	v_cndmask_b32_e64 v52, v52, v55, s[4:5]
	v_lshlrev_b32_e32 v53, 24, v53
	v_lshlrev_b32_e32 v52, 20, v52
	v_and_b32_e32 v53, 0x80000000, v53
	v_lshl_add_u32 v21, v21, 23, v36
	v_or3_b32 v52, v53, v21, v52
.LBB176_91:                             ;   in Loop: Header=BB176_9 Depth=1
	s_or_b64 exec, exec, s[36:37]
.LBB176_92:                             ;   in Loop: Header=BB176_9 Depth=1
	s_or_b64 exec, exec, s[34:35]
.LBB176_93:                             ;   in Loop: Header=BB176_9 Depth=1
	s_or_b64 exec, exec, s[16:17]
	global_load_ubyte v20, v[19:20], off offset:896
	s_waitcnt vmcnt(0)
	v_cmp_ne_u16_e64 s[4:5], 0, v20
	s_and_saveexec_b64 s[16:17], s[4:5]
	s_cbranch_execz .LBB176_99
; %bb.94:                               ;   in Loop: Header=BB176_9 Depth=1
	v_cmp_ne_u16_e64 s[4:5], s41, v20
	v_bfrev_b32_e32 v51, 1
	s_and_saveexec_b64 s[34:35], s[4:5]
	s_cbranch_execz .LBB176_98
; %bb.95:                               ;   in Loop: Header=BB176_9 Depth=1
	v_and_b32_e32 v19, 0xffff, v20
	v_and_b32_e32 v21, 0x7f, v19
	v_cmp_ne_u32_e64 s[4:5], s42, v21
	v_mov_b32_e32 v51, 0x7f800001
	s_and_saveexec_b64 s[36:37], s[4:5]
	s_cbranch_execz .LBB176_97
; %bb.96:                               ;   in Loop: Header=BB176_9 Depth=1
	v_and_b32_e32 v51, 7, v19
	v_ffbh_u32_e32 v53, v51
	v_min_u32_e32 v56, 32, v53
	v_subrev_u32_e32 v53, 28, v56
	v_lshlrev_b64 v[53:54], v53, v[19:20]
	v_lshrrev_b32_e32 v55, 3, v21
	v_sub_u32_e32 v19, 29, v56
	v_and_b32_e32 v53, 7, v53
	v_cmp_gt_u32_e64 s[4:5], 8, v21
	v_cndmask_b32_e64 v19, v55, v19, s[4:5]
	v_cndmask_b32_e64 v21, v51, v53, s[4:5]
	v_lshlrev_b32_e32 v20, 24, v20
	v_lshlrev_b32_e32 v21, 20, v21
	v_and_b32_e32 v20, 0x80000000, v20
	v_lshl_add_u32 v19, v19, 23, v36
	v_or3_b32 v51, v20, v19, v21
.LBB176_97:                             ;   in Loop: Header=BB176_9 Depth=1
	s_or_b64 exec, exec, s[36:37]
.LBB176_98:                             ;   in Loop: Header=BB176_9 Depth=1
	s_or_b64 exec, exec, s[34:35]
.LBB176_99:                             ;   in Loop: Header=BB176_9 Depth=1
	s_or_b64 exec, exec, s[16:17]
	s_waitcnt lgkmcnt(0)
	v_mul_f32_e32 v40, s39, v40
	v_mul_f32_e32 v38, s39, v38
	;; [unrolled: 1-line block ×4, first 2 shown]
	v_fmac_f32_e32 v40, v11, v38
	v_mul_f32_e32 v42, s39, v42
	v_fmac_f32_e32 v40, v13, v39
	v_mul_f32_e32 v41, s39, v41
	;; [unrolled: 2-line block ×12, first 2 shown]
	v_fmac_f32_e32 v40, v10, v19
	v_fmac_f32_e32 v40, v35, v49
	ds_bpermute_b32 v19, v28, v40
	s_waitcnt lgkmcnt(0)
	v_add_f32_e32 v19, v40, v19
	ds_bpermute_b32 v20, v30, v19
	s_waitcnt lgkmcnt(0)
	v_add_f32_e32 v19, v19, v20
	ds_bpermute_b32 v20, v31, v19
	s_and_saveexec_b64 s[16:17], vcc
	s_cbranch_execz .LBB176_8
; %bb.100:                              ;   in Loop: Header=BB176_9 Depth=1
	v_add_u32_e32 v21, s40, v33
	v_cvt_f32_i32_e32 v21, v21
	s_waitcnt lgkmcnt(0)
	v_add_f32_e32 v19, v19, v20
	v_cmp_gt_i32_e64 s[4:5], s30, v33
	v_max_f32_e32 v20, v32, v32
	v_mul_f32_e32 v21, s33, v21
	v_cndmask_b32_e64 v21, 0, v21, s[2:3]
	v_fmac_f32_e32 v21, s31, v19
	v_cndmask_b32_e64 v19, 0, v21, s[4:5]
	ds_write_b32 v34, v19
	v_max_f32_e32 v19, v20, v21
	v_cndmask_b32_e64 v32, v32, v19, s[4:5]
	s_branch .LBB176_8
.LBB176_101:
	s_or_b64 exec, exec, s[14:15]
.LBB176_102:
	s_or_b64 exec, exec, s[6:7]
	v_xor_b32_e32 v1, 32, v24
	v_cmp_lt_i32_e32 vcc, v1, v25
	v_cndmask_b32_e32 v1, v24, v1, vcc
	v_lshlrev_b32_e32 v3, 2, v1
	ds_bpermute_b32 v1, v3, v32
	v_xor_b32_e32 v4, 16, v24
	v_max_f32_e32 v2, v32, v32
	v_cmp_lt_i32_e32 vcc, v4, v25
	v_xor_b32_e32 v6, 8, v24
	s_waitcnt lgkmcnt(0)
	v_max_f32_e32 v1, v1, v1
	v_max_f32_e32 v1, v2, v1
	v_cndmask_b32_e32 v2, v24, v4, vcc
	v_lshlrev_b32_e32 v5, 2, v2
	ds_bpermute_b32 v2, v5, v1
	v_cmp_lt_i32_e32 vcc, v6, v25
	s_waitcnt lgkmcnt(0)
	v_max_f32_e32 v2, v2, v2
	v_max_f32_e32 v4, v1, v2
	v_cndmask_b32_e32 v1, v24, v6, vcc
	v_lshlrev_b32_e32 v6, 2, v1
	ds_bpermute_b32 v7, v6, v4
	v_and_b32_e32 v1, 63, v0
	v_cmp_eq_u32_e32 vcc, 0, v1
	v_lshlrev_b32_e32 v2, 2, v27
	s_and_saveexec_b64 s[2:3], vcc
	s_cbranch_execz .LBB176_104
; %bb.103:
	s_waitcnt lgkmcnt(0)
	v_max_f32_e32 v7, v7, v7
	v_max_f32_e32 v4, v4, v4
	v_max_f32_e32 v4, v4, v7
	ds_write_b32 v2, v4 offset:480
.LBB176_104:
	s_or_b64 exec, exec, s[2:3]
	v_cmp_gt_u32_e64 s[2:3], 2, v1
	s_waitcnt lgkmcnt(0)
	v_mov_b32_e32 v7, 0xff7fffff
	v_lshlrev_b32_e32 v4, 2, v1
	s_barrier
	s_and_saveexec_b64 s[4:5], s[2:3]
; %bb.105:
	ds_read_b32 v7, v4 offset:480
; %bb.106:
	s_or_b64 exec, exec, s[4:5]
	v_xor_b32_e32 v8, 1, v24
	v_cmp_lt_i32_e64 s[4:5], v8, v25
	v_cndmask_b32_e64 v8, v24, v8, s[4:5]
	v_lshlrev_b32_e32 v28, 2, v8
	s_waitcnt lgkmcnt(0)
	ds_bpermute_b32 v8, v28, v7
	v_max_f32_e32 v7, v7, v7
	s_lshl_b32 s4, s21, 3
	s_min_i32 s31, s4, s30
	v_cmp_gt_i32_e64 s[4:5], s31, v0
	s_waitcnt lgkmcnt(0)
	v_max_f32_e32 v8, v8, v8
	v_max_f32_e32 v7, v7, v8
	v_lshlrev_b32_e32 v8, 2, v29
	ds_bpermute_b32 v8, v8, v7
	v_mov_b32_e32 v7, 0
	s_and_saveexec_b64 s[14:15], s[4:5]
	s_cbranch_execz .LBB176_110
; %bb.107:
	v_mov_b32_e32 v7, 0x1f0
	v_lshl_add_u32 v9, v0, 2, v7
	v_mov_b32_e32 v7, 0
	s_mov_b64 s[16:17], 0
	v_mov_b32_e32 v10, v0
.LBB176_108:                            ; =>This Inner Loop Header: Depth=1
	ds_read_b32 v11, v9
	v_add_u32_e32 v10, 0x80, v10
	v_cmp_le_i32_e64 s[6:7], s31, v10
	s_or_b64 s[16:17], s[6:7], s[16:17]
	s_waitcnt lgkmcnt(0)
	v_sub_f32_e32 v11, v11, v8
	v_mul_f32_e32 v11, 0x3fb8aa3b, v11
	v_exp_f32_e32 v11, v11
	ds_write_b32 v9, v11
	v_add_f32_e32 v7, v7, v11
	v_add_u32_e32 v9, 0x200, v9
	s_andn2_b64 exec, exec, s[16:17]
	s_cbranch_execnz .LBB176_108
; %bb.109:
	s_or_b64 exec, exec, s[16:17]
.LBB176_110:
	s_or_b64 exec, exec, s[14:15]
	ds_bpermute_b32 v3, v3, v7
	s_waitcnt lgkmcnt(0)
	v_add_f32_e32 v3, v7, v3
	ds_bpermute_b32 v5, v5, v3
	s_waitcnt lgkmcnt(0)
	v_add_f32_e32 v3, v3, v5
	ds_bpermute_b32 v5, v6, v3
	v_xor_b32_e32 v6, 4, v24
	v_cmp_lt_i32_e64 s[6:7], v6, v25
	v_cndmask_b32_e64 v6, v24, v6, s[6:7]
	v_lshlrev_b32_e32 v6, 2, v6
	s_waitcnt lgkmcnt(0)
	v_add_f32_e32 v3, v3, v5
	ds_bpermute_b32 v5, v6, v3
	v_xor_b32_e32 v6, 2, v24
	v_cmp_lt_i32_e64 s[6:7], v6, v25
	v_cndmask_b32_e64 v6, v24, v6, s[6:7]
	s_waitcnt lgkmcnt(0)
	v_add_f32_e32 v3, v3, v5
	v_lshlrev_b32_e32 v5, 2, v6
	ds_bpermute_b32 v5, v5, v3
	s_waitcnt lgkmcnt(0)
	v_add_f32_e32 v3, v3, v5
	ds_bpermute_b32 v5, v28, v3
	s_waitcnt lgkmcnt(0)
	v_add_f32_e32 v3, v3, v5
	s_and_saveexec_b64 s[6:7], vcc
; %bb.111:
	ds_write_b32 v2, v3 offset:488
; %bb.112:
	s_or_b64 exec, exec, s[6:7]
	s_waitcnt lgkmcnt(0)
	s_barrier
	s_and_saveexec_b64 s[6:7], s[2:3]
; %bb.113:
	ds_read_b32 v3, v4 offset:488
; %bb.114:
	s_or_b64 exec, exec, s[6:7]
	s_waitcnt lgkmcnt(0)
	ds_bpermute_b32 v2, v28, v3
	v_lshlrev_b32_e32 v4, 2, v24
	s_waitcnt lgkmcnt(0)
	v_add_f32_e32 v2, v3, v2
	v_and_b32_e32 v3, 0xffffff00, v4
	ds_bpermute_b32 v2, v3, v2
	s_and_saveexec_b64 s[2:3], s[4:5]
	s_cbranch_execz .LBB176_117
; %bb.115:
	s_waitcnt lgkmcnt(0)
	v_add_f32_e32 v3, 0x358637bd, v2
	v_div_scale_f32 v2, s[4:5], v3, v3, 1.0
	v_div_scale_f32 v4, vcc, 1.0, v3, 1.0
	s_mov_b64 s[4:5], 0
	v_rcp_f32_e32 v5, v2
	v_fma_f32 v6, -v2, v5, 1.0
	v_fmac_f32_e32 v5, v6, v5
	v_mul_f32_e32 v6, v4, v5
	v_fma_f32 v7, -v2, v6, v4
	v_fmac_f32_e32 v6, v7, v5
	v_fma_f32 v2, -v2, v6, v4
	v_div_fmas_f32 v4, v2, v5, v6
	v_mov_b32_e32 v2, 0x1f0
	v_lshl_add_u32 v2, v0, 2, v2
	v_div_fixup_f32 v3, v4, v3, 1.0
	v_mov_b32_e32 v4, v0
.LBB176_116:                            ; =>This Inner Loop Header: Depth=1
	ds_read_b32 v5, v2
	v_add_u32_e32 v4, 0x80, v4
	v_cmp_le_i32_e32 vcc, s31, v4
	s_or_b64 s[4:5], vcc, s[4:5]
	s_waitcnt lgkmcnt(0)
	v_mul_f32_e32 v5, v3, v5
	ds_write_b32 v2, v5
	v_add_u32_e32 v2, 0x200, v2
	s_andn2_b64 exec, exec, s[4:5]
	s_cbranch_execnz .LBB176_116
.LBB176_117:
	s_or_b64 exec, exec, s[2:3]
	v_lshrrev_b32_e32 v29, 1, v1
	s_waitcnt lgkmcnt(0)
	s_barrier
	s_and_saveexec_b64 s[2:3], s[0:1]
	s_xor_b64 s[0:1], exec, s[2:3]
; %bb.118:
	v_lshrrev_b32_e32 v29, 1, v1
                                        ; implicit-def: $vgpr27
                                        ; implicit-def: $vgpr22
                                        ; implicit-def: $vgpr23
; %bb.119:
	s_or_saveexec_b64 s[4:5], s[0:1]
	v_mov_b32_e32 v32, 0
	v_and_b32_e32 v30, 1, v0
	v_mov_b32_e32 v34, 0
	v_mov_b32_e32 v33, 0
	;; [unrolled: 1-line block ×3, first 2 shown]
	s_xor_b64 exec, exec, s[4:5]
	s_cbranch_execz .LBB176_229
; %bb.120:
	s_ashr_i32 s0, s12, 31
	s_add_u32 s2, s28, s12
	v_and_b32_e32 v1, 4, v22
	s_addc_u32 s3, s29, s0
	v_or_b32_e32 v2, 0x60, v29
	s_movk_i32 s0, 0x78
	s_load_dword s28, s[18:19], 0x0
	v_cmp_gt_u32_e32 vcc, s0, v2
	v_lshl_or_b32 v35, v2, 3, v1
	v_lshlrev_b32_e32 v2, 3, v27
	s_add_i32 s29, s21, -1
	v_lshl_or_b32 v31, v29, 3, v1
	v_or3_b32 v37, v2, v1, 3
	v_lshlrev_b32_e32 v1, 4, v30
	s_lshl_b64 s[0:1], s[26:27], 2
	v_lshl_or_b32 v1, v27, 5, v1
	s_add_u32 s0, s24, s0
	v_add_u32_e32 v38, 0x1f0, v1
	v_and_b32_e32 v1, 60, v23
	s_addc_u32 s1, s25, s1
	v_mov_b32_e32 v5, 0
	v_mov_b32_e32 v2, s1
	v_add_co_u32_e64 v7, s[0:1], s0, v1
	v_mov_b32_e32 v10, s3
	s_mov_b32 s31, s13
	s_waitcnt lgkmcnt(0)
	s_mov_b32 s33, s28
	v_addc_co_u32_e64 v8, s[0:1], 0, v2, s[0:1]
	s_mov_b64 s[6:7], 0
	v_mov_b32_e32 v9, s2
	s_movk_i32 s24, 0x80
	s_movk_i32 s25, 0x7f
	s_brev_b32 s26, 1
	s_mov_b32 s27, 0xffffff
	v_bfrev_b32_e32 v39, 60
	v_bfrev_b32_e32 v6, 1
	v_mov_b32_e32 v12, 0x7f800001
	v_mov_b32_e32 v40, 7
	;; [unrolled: 1-line block ×7, first 2 shown]
	s_branch .LBB176_123
.LBB176_121:                            ;   in Loop: Header=BB176_123 Depth=1
	s_or_b64 exec, exec, s[2:3]
	s_waitcnt lgkmcnt(0)
	v_mul_f32_e32 v15, v1, v15
	v_fmac_f32_e32 v15, v2, v11
	v_fmac_f32_e32 v15, v3, v14
	;; [unrolled: 1-line block ×3, first 2 shown]
	v_add_f32_e32 v36, v36, v15
.LBB176_122:                            ;   in Loop: Header=BB176_123 Depth=1
	s_or_b64 exec, exec, s[12:13]
	s_waitcnt lgkmcnt(0)
	v_mul_f32_e32 v11, v1, v50
	v_fmac_f32_e32 v11, v2, v49
	v_fmac_f32_e32 v11, v3, v23
	;; [unrolled: 1-line block ×3, first 2 shown]
	v_add_f32_e32 v33, v33, v11
	v_mul_f32_e32 v11, v1, v48
	v_mul_f32_e32 v1, v1, v45
	v_fmac_f32_e32 v11, v2, v47
	v_fmac_f32_e32 v1, v2, v42
	v_add_u32_e32 v27, 2, v27
	v_fmac_f32_e32 v11, v3, v25
	v_fmac_f32_e32 v1, v3, v44
	v_cmp_le_i32_e64 s[0:1], s21, v27
	v_fmac_f32_e32 v11, v4, v24
	v_fmac_f32_e32 v1, v4, v43
	s_or_b64 s[6:7], s[0:1], s[6:7]
	v_add_co_u32_e64 v7, s[0:1], 8, v7
	v_add_f32_e32 v34, v34, v11
	v_add_f32_e32 v32, v32, v1
	v_add_u32_e32 v37, 16, v37
	v_add_u32_e32 v38, 64, v38
	v_addc_co_u32_e64 v8, s[0:1], 0, v8, s[0:1]
	s_andn2_b64 exec, exec, s[6:7]
	s_cbranch_execz .LBB176_228
.LBB176_123:                            ; =>This Inner Loop Header: Depth=1
	global_load_dword v1, v[7:8], off
	v_mov_b32_e32 v20, 0
	v_mov_b32_e32 v18, 0
	;; [unrolled: 1-line block ×4, first 2 shown]
	s_waitcnt vmcnt(0)
	v_mad_i64_i32 v[13:14], s[0:1], v1, s31, v[9:10]
	ds_read_b128 v[1:4], v38
	v_add_co_u32_e64 v15, s[0:1], v13, v31
	v_addc_co_u32_e64 v16, s[0:1], 0, v14, s[0:1]
	global_load_dword v17, v[15:16], off
	s_waitcnt vmcnt(0)
	v_cmp_ne_u16_sdwa s[0:1], v17, v5 src0_sel:BYTE_0 src1_sel:DWORD
	s_and_saveexec_b64 s[2:3], s[0:1]
	s_cbranch_execz .LBB176_129
; %bb.124:                              ;   in Loop: Header=BB176_123 Depth=1
	v_bfrev_b32_e32 v18, 1
	v_mov_b32_e32 v19, 0
	v_cmp_ne_u16_sdwa s[0:1], v17, s24 src0_sel:BYTE_0 src1_sel:DWORD
	s_and_saveexec_b64 s[12:13], s[0:1]
	s_cbranch_execz .LBB176_128
; %bb.125:                              ;   in Loop: Header=BB176_123 Depth=1
	v_and_b32_e32 v11, 0x7f, v17
	v_mov_b32_e32 v18, 0x7f800001
	v_mov_b32_e32 v19, 0
	v_cmp_ne_u32_e64 s[0:1], s25, v11
	s_and_saveexec_b64 s[14:15], s[0:1]
	s_cbranch_execz .LBB176_127
; %bb.126:                              ;   in Loop: Header=BB176_123 Depth=1
	v_and_b32_e32 v22, 7, v17
	v_ffbh_u32_e32 v18, v22
	v_min_u32_e32 v24, 32, v18
	v_subrev_u32_e32 v18, 28, v24
	v_lshlrev_b64 v[18:19], v18, v[17:18]
	v_lshrrev_b32_e32 v23, 3, v11
	v_sub_u32_e32 v19, 29, v24
	v_and_b32_e32 v18, 7, v18
	v_cmp_gt_u32_e64 s[0:1], 8, v11
	v_cndmask_b32_e64 v11, v23, v19, s[0:1]
	v_cndmask_b32_e64 v18, v22, v18, s[0:1]
	v_lshlrev_b32_e32 v18, 20, v18
	v_and_b32_sdwa v19, sext(v17), s26 dst_sel:DWORD dst_unused:UNUSED_PAD src0_sel:BYTE_0 src1_sel:DWORD
	v_lshl_add_u32 v11, v11, 23, v39
	v_or3_b32 v18, v19, v11, v18
	v_mov_b32_e32 v19, v5
.LBB176_127:                            ;   in Loop: Header=BB176_123 Depth=1
	s_or_b64 exec, exec, s[14:15]
.LBB176_128:                            ;   in Loop: Header=BB176_123 Depth=1
	s_or_b64 exec, exec, s[12:13]
.LBB176_129:                            ;   in Loop: Header=BB176_123 Depth=1
	s_or_b64 exec, exec, s[2:3]
	v_cmp_ne_u16_sdwa s[0:1], v17, v5 src0_sel:BYTE_1 src1_sel:DWORD
	s_and_saveexec_b64 s[2:3], s[0:1]
	s_cbranch_execz .LBB176_135
; %bb.130:                              ;   in Loop: Header=BB176_123 Depth=1
	v_mov_b32_e32 v21, v6
	v_cmp_ne_u16_sdwa s[0:1], v17, s24 src0_sel:BYTE_1 src1_sel:DWORD
	v_mov_b32_e32 v20, v5
	s_and_saveexec_b64 s[12:13], s[0:1]
	s_cbranch_execz .LBB176_134
; %bb.131:                              ;   in Loop: Header=BB176_123 Depth=1
	v_and_b32_sdwa v22, v17, s25 dst_sel:DWORD dst_unused:UNUSED_PAD src0_sel:BYTE_1 src1_sel:DWORD
	v_mov_b32_e32 v11, v5
	v_mov_b32_e32 v21, v12
	v_cmp_ne_u32_e64 s[0:1], s25, v22
	v_mov_b32_e32 v20, v11
	s_and_saveexec_b64 s[14:15], s[0:1]
	s_cbranch_execz .LBB176_133
; %bb.132:                              ;   in Loop: Header=BB176_123 Depth=1
	v_and_b32_sdwa v20, v17, v40 dst_sel:DWORD dst_unused:UNUSED_PAD src0_sel:BYTE_1 src1_sel:DWORD
	v_ffbh_u32_e32 v23, v20
	v_min_u32_e32 v25, 32, v23
	v_mov_b32_e32 v21, v5
	v_subrev_u32_e32 v23, 28, v25
	v_lshlrev_b64 v[23:24], v23, v[20:21]
	v_lshrrev_b32_e32 v11, 3, v22
	v_sub_u32_e32 v21, 29, v25
	v_cmp_gt_u32_e64 s[0:1], 8, v22
	v_and_b32_e32 v23, 7, v23
	v_cndmask_b32_e64 v11, v11, v21, s[0:1]
	v_cndmask_b32_e64 v20, v20, v23, s[0:1]
	v_lshlrev_b32_e32 v21, 16, v17
	v_lshl_add_u32 v11, v11, 23, v39
	v_and_or_b32 v11, v21, s26, v11
	v_lshlrev_b32_e32 v20, 20, v20
	v_or_b32_e32 v21, v11, v20
	v_mov_b32_e32 v20, v5
.LBB176_133:                            ;   in Loop: Header=BB176_123 Depth=1
	s_or_b64 exec, exec, s[14:15]
.LBB176_134:                            ;   in Loop: Header=BB176_123 Depth=1
	s_or_b64 exec, exec, s[12:13]
.LBB176_135:                            ;   in Loop: Header=BB176_123 Depth=1
	s_or_b64 exec, exec, s[2:3]
	v_lshrrev_b32_e32 v11, 16, v17
	v_mov_b32_e32 v24, 0
	v_mov_b32_e32 v22, 0
	;; [unrolled: 1-line block ×4, first 2 shown]
	v_cmp_ne_u16_sdwa s[0:1], v11, v5 src0_sel:BYTE_0 src1_sel:DWORD
	s_and_saveexec_b64 s[2:3], s[0:1]
	s_cbranch_execz .LBB176_141
; %bb.136:                              ;   in Loop: Header=BB176_123 Depth=1
	v_bfrev_b32_e32 v22, 1
	v_mov_b32_e32 v23, 0
	v_cmp_ne_u16_sdwa s[0:1], v11, s24 src0_sel:BYTE_0 src1_sel:DWORD
	s_and_saveexec_b64 s[12:13], s[0:1]
	s_cbranch_execz .LBB176_140
; %bb.137:                              ;   in Loop: Header=BB176_123 Depth=1
	v_bfe_u32 v42, v17, 16, 7
	v_mov_b32_e32 v22, 0x7f800001
	v_mov_b32_e32 v23, 0
	v_cmp_ne_u32_e64 s[0:1], s25, v42
	s_and_saveexec_b64 s[14:15], s[0:1]
	s_cbranch_execz .LBB176_139
; %bb.138:                              ;   in Loop: Header=BB176_123 Depth=1
	v_and_b32_e32 v43, 7, v11
	v_ffbh_u32_e32 v22, v43
	v_min_u32_e32 v45, 32, v22
	v_subrev_u32_e32 v22, 28, v45
	v_lshlrev_b64 v[22:23], v22, v[11:12]
	v_lshrrev_b32_e32 v44, 3, v42
	v_sub_u32_e32 v23, 29, v45
	v_and_b32_e32 v22, 7, v22
	v_cmp_gt_u32_e64 s[0:1], 8, v42
	v_cndmask_b32_e64 v23, v44, v23, s[0:1]
	v_cndmask_b32_e64 v22, v43, v22, s[0:1]
	v_lshlrev_b32_e32 v22, 20, v22
	v_and_b32_sdwa v11, sext(v11), s26 dst_sel:DWORD dst_unused:UNUSED_PAD src0_sel:BYTE_0 src1_sel:DWORD
	v_lshl_add_u32 v23, v23, 23, v39
	v_or3_b32 v22, v11, v23, v22
	v_mov_b32_e32 v23, v5
.LBB176_139:                            ;   in Loop: Header=BB176_123 Depth=1
	s_or_b64 exec, exec, s[14:15]
.LBB176_140:                            ;   in Loop: Header=BB176_123 Depth=1
	s_or_b64 exec, exec, s[12:13]
.LBB176_141:                            ;   in Loop: Header=BB176_123 Depth=1
	s_or_b64 exec, exec, s[2:3]
	v_cmp_lt_u32_e64 s[0:1], s27, v17
	s_and_saveexec_b64 s[2:3], s[0:1]
	s_cbranch_execz .LBB176_147
; %bb.142:                              ;   in Loop: Header=BB176_123 Depth=1
	v_mov_b32_e32 v25, v6
	v_cmp_ne_u32_sdwa s[0:1], v17, s24 src0_sel:BYTE_3 src1_sel:DWORD
	v_mov_b32_e32 v24, v5
	s_and_saveexec_b64 s[12:13], s[0:1]
	s_cbranch_execz .LBB176_146
; %bb.143:                              ;   in Loop: Header=BB176_123 Depth=1
	v_bfe_u32 v42, v17, 24, 7
	v_mov_b32_e32 v11, v5
	v_mov_b32_e32 v25, v12
	v_cmp_ne_u32_e64 s[0:1], s25, v42
	v_mov_b32_e32 v24, v11
	s_and_saveexec_b64 s[14:15], s[0:1]
	s_cbranch_execz .LBB176_145
; %bb.144:                              ;   in Loop: Header=BB176_123 Depth=1
	v_and_b32_sdwa v24, v17, v40 dst_sel:DWORD dst_unused:UNUSED_PAD src0_sel:BYTE_3 src1_sel:DWORD
	v_ffbh_u32_e32 v43, v24
	v_min_u32_e32 v45, 32, v43
	v_mov_b32_e32 v25, v5
	v_subrev_u32_e32 v43, 28, v45
	v_lshlrev_b64 v[43:44], v43, v[24:25]
	v_lshrrev_b32_e32 v11, 3, v42
	v_sub_u32_e32 v25, 29, v45
	v_cmp_gt_u32_e64 s[0:1], 8, v42
	v_and_b32_e32 v43, 7, v43
	v_cndmask_b32_e64 v11, v11, v25, s[0:1]
	v_cndmask_b32_e64 v24, v24, v43, s[0:1]
	v_lshlrev_b32_sdwa v17, v41, v17 dst_sel:DWORD dst_unused:UNUSED_PAD src0_sel:DWORD src1_sel:BYTE_3
	v_lshl_add_u32 v11, v11, 23, v39
	v_and_or_b32 v11, v17, s26, v11
	v_lshlrev_b32_e32 v17, 20, v24
	v_or_b32_e32 v25, v11, v17
	v_mov_b32_e32 v24, v5
.LBB176_145:                            ;   in Loop: Header=BB176_123 Depth=1
	s_or_b64 exec, exec, s[14:15]
.LBB176_146:                            ;   in Loop: Header=BB176_123 Depth=1
	s_or_b64 exec, exec, s[12:13]
.LBB176_147:                            ;   in Loop: Header=BB176_123 Depth=1
	s_or_b64 exec, exec, s[2:3]
	v_or_b32_e32 v11, v21, v19
	v_or_b32_e32 v17, v20, v18
	v_mul_f32_e32 v42, s33, v11
	v_mul_f32_e32 v45, s28, v17
	v_or_b32_e32 v11, v25, v23
	v_or_b32_e32 v17, v24, v22
	v_add_u32_e32 v46, -3, v37
	v_cmp_eq_u32_e64 s[0:1], s29, v27
	v_mul_f32_e32 v44, s28, v17
	v_mul_f32_e32 v43, s33, v11
	s_and_saveexec_b64 s[12:13], s[0:1]
	s_cbranch_execz .LBB176_149
; %bb.148:                              ;   in Loop: Header=BB176_123 Depth=1
	v_cmp_gt_i32_e64 s[2:3], s30, v46
	v_add_u32_e32 v11, -2, v37
	v_cndmask_b32_e64 v45, 0, v45, s[2:3]
	v_cmp_gt_i32_e64 s[2:3], s30, v11
	v_add_u32_e32 v11, -1, v37
	v_cndmask_b32_e64 v42, 0, v42, s[2:3]
	v_cmp_gt_i32_e64 s[2:3], s30, v11
	v_cndmask_b32_e64 v44, 0, v44, s[2:3]
	v_cmp_gt_i32_e64 s[2:3], s30, v37
	v_cndmask_b32_e64 v43, 0, v43, s[2:3]
.LBB176_149:                            ;   in Loop: Header=BB176_123 Depth=1
	s_or_b64 exec, exec, s[12:13]
	global_load_dword v17, v[15:16], off offset:256
	v_mov_b32_e32 v20, 0
	v_mov_b32_e32 v18, 0
	;; [unrolled: 1-line block ×4, first 2 shown]
	s_waitcnt vmcnt(0)
	v_cmp_ne_u16_sdwa s[2:3], v17, v5 src0_sel:BYTE_0 src1_sel:DWORD
	s_and_saveexec_b64 s[12:13], s[2:3]
	s_cbranch_execz .LBB176_155
; %bb.150:                              ;   in Loop: Header=BB176_123 Depth=1
	v_bfrev_b32_e32 v18, 1
	v_mov_b32_e32 v19, 0
	v_cmp_ne_u16_sdwa s[2:3], v17, s24 src0_sel:BYTE_0 src1_sel:DWORD
	s_and_saveexec_b64 s[14:15], s[2:3]
	s_cbranch_execz .LBB176_154
; %bb.151:                              ;   in Loop: Header=BB176_123 Depth=1
	v_and_b32_e32 v11, 0x7f, v17
	v_mov_b32_e32 v18, 0x7f800001
	v_mov_b32_e32 v19, 0
	v_cmp_ne_u32_e64 s[2:3], s25, v11
	s_and_saveexec_b64 s[16:17], s[2:3]
	s_cbranch_execz .LBB176_153
; %bb.152:                              ;   in Loop: Header=BB176_123 Depth=1
	v_and_b32_e32 v22, 7, v17
	v_ffbh_u32_e32 v18, v22
	v_min_u32_e32 v24, 32, v18
	v_subrev_u32_e32 v18, 28, v24
	v_lshlrev_b64 v[18:19], v18, v[17:18]
	v_lshrrev_b32_e32 v23, 3, v11
	v_sub_u32_e32 v19, 29, v24
	v_and_b32_e32 v18, 7, v18
	v_cmp_gt_u32_e64 s[2:3], 8, v11
	v_cndmask_b32_e64 v11, v23, v19, s[2:3]
	v_cndmask_b32_e64 v18, v22, v18, s[2:3]
	v_lshlrev_b32_e32 v18, 20, v18
	v_and_b32_sdwa v19, sext(v17), s26 dst_sel:DWORD dst_unused:UNUSED_PAD src0_sel:BYTE_0 src1_sel:DWORD
	v_lshl_add_u32 v11, v11, 23, v39
	v_or3_b32 v18, v19, v11, v18
	v_mov_b32_e32 v19, v5
.LBB176_153:                            ;   in Loop: Header=BB176_123 Depth=1
	s_or_b64 exec, exec, s[16:17]
.LBB176_154:                            ;   in Loop: Header=BB176_123 Depth=1
	s_or_b64 exec, exec, s[14:15]
.LBB176_155:                            ;   in Loop: Header=BB176_123 Depth=1
	s_or_b64 exec, exec, s[12:13]
	v_cmp_ne_u16_sdwa s[2:3], v17, v5 src0_sel:BYTE_1 src1_sel:DWORD
	s_and_saveexec_b64 s[12:13], s[2:3]
	s_cbranch_execz .LBB176_161
; %bb.156:                              ;   in Loop: Header=BB176_123 Depth=1
	v_mov_b32_e32 v21, v6
	v_cmp_ne_u16_sdwa s[2:3], v17, s24 src0_sel:BYTE_1 src1_sel:DWORD
	v_mov_b32_e32 v20, v5
	s_and_saveexec_b64 s[14:15], s[2:3]
	s_cbranch_execz .LBB176_160
; %bb.157:                              ;   in Loop: Header=BB176_123 Depth=1
	v_and_b32_sdwa v22, v17, s25 dst_sel:DWORD dst_unused:UNUSED_PAD src0_sel:BYTE_1 src1_sel:DWORD
	v_mov_b32_e32 v11, v5
	v_mov_b32_e32 v21, v12
	v_cmp_ne_u32_e64 s[2:3], s25, v22
	v_mov_b32_e32 v20, v11
	s_and_saveexec_b64 s[16:17], s[2:3]
	s_cbranch_execz .LBB176_159
; %bb.158:                              ;   in Loop: Header=BB176_123 Depth=1
	v_and_b32_sdwa v20, v17, v40 dst_sel:DWORD dst_unused:UNUSED_PAD src0_sel:BYTE_1 src1_sel:DWORD
	v_ffbh_u32_e32 v23, v20
	v_min_u32_e32 v25, 32, v23
	v_mov_b32_e32 v21, v5
	v_subrev_u32_e32 v23, 28, v25
	v_lshlrev_b64 v[23:24], v23, v[20:21]
	v_lshrrev_b32_e32 v11, 3, v22
	v_sub_u32_e32 v21, 29, v25
	v_cmp_gt_u32_e64 s[2:3], 8, v22
	v_and_b32_e32 v23, 7, v23
	v_cndmask_b32_e64 v11, v11, v21, s[2:3]
	v_cndmask_b32_e64 v20, v20, v23, s[2:3]
	v_lshlrev_b32_e32 v21, 16, v17
	v_lshl_add_u32 v11, v11, 23, v39
	v_and_or_b32 v11, v21, s26, v11
	v_lshlrev_b32_e32 v20, 20, v20
	v_or_b32_e32 v21, v11, v20
	v_mov_b32_e32 v20, v5
.LBB176_159:                            ;   in Loop: Header=BB176_123 Depth=1
	s_or_b64 exec, exec, s[16:17]
.LBB176_160:                            ;   in Loop: Header=BB176_123 Depth=1
	s_or_b64 exec, exec, s[14:15]
.LBB176_161:                            ;   in Loop: Header=BB176_123 Depth=1
	s_or_b64 exec, exec, s[12:13]
	v_lshrrev_b32_e32 v11, 16, v17
	v_mov_b32_e32 v24, 0
	v_mov_b32_e32 v22, 0
	;; [unrolled: 1-line block ×4, first 2 shown]
	v_cmp_ne_u16_sdwa s[2:3], v11, v5 src0_sel:BYTE_0 src1_sel:DWORD
	s_and_saveexec_b64 s[12:13], s[2:3]
	s_cbranch_execz .LBB176_167
; %bb.162:                              ;   in Loop: Header=BB176_123 Depth=1
	v_bfrev_b32_e32 v22, 1
	v_mov_b32_e32 v23, 0
	v_cmp_ne_u16_sdwa s[2:3], v11, s24 src0_sel:BYTE_0 src1_sel:DWORD
	s_and_saveexec_b64 s[14:15], s[2:3]
	s_cbranch_execz .LBB176_166
; %bb.163:                              ;   in Loop: Header=BB176_123 Depth=1
	v_bfe_u32 v47, v17, 16, 7
	v_mov_b32_e32 v22, 0x7f800001
	v_mov_b32_e32 v23, 0
	v_cmp_ne_u32_e64 s[2:3], s25, v47
	s_and_saveexec_b64 s[16:17], s[2:3]
	s_cbranch_execz .LBB176_165
; %bb.164:                              ;   in Loop: Header=BB176_123 Depth=1
	v_and_b32_e32 v48, 7, v11
	v_ffbh_u32_e32 v22, v48
	v_min_u32_e32 v50, 32, v22
	v_subrev_u32_e32 v22, 28, v50
	v_lshlrev_b64 v[22:23], v22, v[11:12]
	v_lshrrev_b32_e32 v49, 3, v47
	v_sub_u32_e32 v23, 29, v50
	v_and_b32_e32 v22, 7, v22
	v_cmp_gt_u32_e64 s[2:3], 8, v47
	v_cndmask_b32_e64 v23, v49, v23, s[2:3]
	v_cndmask_b32_e64 v22, v48, v22, s[2:3]
	v_lshlrev_b32_e32 v22, 20, v22
	v_and_b32_sdwa v11, sext(v11), s26 dst_sel:DWORD dst_unused:UNUSED_PAD src0_sel:BYTE_0 src1_sel:DWORD
	v_lshl_add_u32 v23, v23, 23, v39
	v_or3_b32 v22, v11, v23, v22
	v_mov_b32_e32 v23, v5
.LBB176_165:                            ;   in Loop: Header=BB176_123 Depth=1
	s_or_b64 exec, exec, s[16:17]
.LBB176_166:                            ;   in Loop: Header=BB176_123 Depth=1
	s_or_b64 exec, exec, s[14:15]
.LBB176_167:                            ;   in Loop: Header=BB176_123 Depth=1
	s_or_b64 exec, exec, s[12:13]
	v_cmp_lt_u32_e64 s[2:3], s27, v17
	s_and_saveexec_b64 s[12:13], s[2:3]
	s_cbranch_execz .LBB176_173
; %bb.168:                              ;   in Loop: Header=BB176_123 Depth=1
	v_mov_b32_e32 v25, v6
	v_cmp_ne_u32_sdwa s[2:3], v17, s24 src0_sel:BYTE_3 src1_sel:DWORD
	v_mov_b32_e32 v24, v5
	s_and_saveexec_b64 s[14:15], s[2:3]
	s_cbranch_execz .LBB176_172
; %bb.169:                              ;   in Loop: Header=BB176_123 Depth=1
	v_bfe_u32 v47, v17, 24, 7
	v_mov_b32_e32 v11, v5
	v_mov_b32_e32 v25, v12
	v_cmp_ne_u32_e64 s[2:3], s25, v47
	v_mov_b32_e32 v24, v11
	s_and_saveexec_b64 s[16:17], s[2:3]
	s_cbranch_execz .LBB176_171
; %bb.170:                              ;   in Loop: Header=BB176_123 Depth=1
	v_and_b32_sdwa v24, v17, v40 dst_sel:DWORD dst_unused:UNUSED_PAD src0_sel:BYTE_3 src1_sel:DWORD
	v_ffbh_u32_e32 v48, v24
	v_min_u32_e32 v50, 32, v48
	v_mov_b32_e32 v25, v5
	v_subrev_u32_e32 v48, 28, v50
	v_lshlrev_b64 v[48:49], v48, v[24:25]
	v_lshrrev_b32_e32 v11, 3, v47
	v_sub_u32_e32 v25, 29, v50
	v_cmp_gt_u32_e64 s[2:3], 8, v47
	v_and_b32_e32 v48, 7, v48
	v_cndmask_b32_e64 v11, v11, v25, s[2:3]
	v_cndmask_b32_e64 v24, v24, v48, s[2:3]
	v_lshlrev_b32_sdwa v17, v41, v17 dst_sel:DWORD dst_unused:UNUSED_PAD src0_sel:DWORD src1_sel:BYTE_3
	v_lshl_add_u32 v11, v11, 23, v39
	v_and_or_b32 v11, v17, s26, v11
	v_lshlrev_b32_e32 v17, 20, v24
	v_or_b32_e32 v25, v11, v17
	v_mov_b32_e32 v24, v5
.LBB176_171:                            ;   in Loop: Header=BB176_123 Depth=1
	s_or_b64 exec, exec, s[16:17]
.LBB176_172:                            ;   in Loop: Header=BB176_123 Depth=1
	s_or_b64 exec, exec, s[14:15]
.LBB176_173:                            ;   in Loop: Header=BB176_123 Depth=1
	s_or_b64 exec, exec, s[12:13]
	v_or_b32_e32 v11, v21, v19
	v_or_b32_e32 v17, v20, v18
	v_mul_f32_e32 v47, s33, v11
	v_mul_f32_e32 v48, s28, v17
	v_or_b32_e32 v11, v25, v23
	v_or_b32_e32 v17, v24, v22
	v_mul_f32_e32 v25, s28, v17
	v_mul_f32_e32 v24, s33, v11
	s_and_saveexec_b64 s[12:13], s[0:1]
	s_cbranch_execz .LBB176_175
; %bb.174:                              ;   in Loop: Header=BB176_123 Depth=1
	v_cmp_gt_i32_e64 s[2:3], s30, v46
	v_add_u32_e32 v11, -2, v37
	v_cndmask_b32_e64 v48, 0, v48, s[2:3]
	v_cmp_gt_i32_e64 s[2:3], s30, v11
	v_add_u32_e32 v11, -1, v37
	v_cndmask_b32_e64 v47, 0, v47, s[2:3]
	v_cmp_gt_i32_e64 s[2:3], s30, v11
	v_cndmask_b32_e64 v25, 0, v25, s[2:3]
	v_cmp_gt_i32_e64 s[2:3], s30, v37
	v_cndmask_b32_e64 v24, 0, v24, s[2:3]
.LBB176_175:                            ;   in Loop: Header=BB176_123 Depth=1
	s_or_b64 exec, exec, s[12:13]
	global_load_dword v15, v[15:16], off offset:512
	v_mov_b32_e32 v18, 0
	v_mov_b32_e32 v16, 0
	;; [unrolled: 1-line block ×4, first 2 shown]
	s_waitcnt vmcnt(0)
	v_cmp_ne_u16_sdwa s[2:3], v15, v5 src0_sel:BYTE_0 src1_sel:DWORD
	s_and_saveexec_b64 s[12:13], s[2:3]
	s_cbranch_execz .LBB176_181
; %bb.176:                              ;   in Loop: Header=BB176_123 Depth=1
	v_bfrev_b32_e32 v16, 1
	v_mov_b32_e32 v17, 0
	v_cmp_ne_u16_sdwa s[2:3], v15, s24 src0_sel:BYTE_0 src1_sel:DWORD
	s_and_saveexec_b64 s[14:15], s[2:3]
	s_cbranch_execz .LBB176_180
; %bb.177:                              ;   in Loop: Header=BB176_123 Depth=1
	v_and_b32_e32 v11, 0x7f, v15
	v_mov_b32_e32 v16, 0x7f800001
	v_mov_b32_e32 v17, 0
	v_cmp_ne_u32_e64 s[2:3], s25, v11
	s_and_saveexec_b64 s[16:17], s[2:3]
	s_cbranch_execz .LBB176_179
; %bb.178:                              ;   in Loop: Header=BB176_123 Depth=1
	v_and_b32_e32 v20, 7, v15
	v_ffbh_u32_e32 v16, v20
	v_min_u32_e32 v22, 32, v16
	v_subrev_u32_e32 v16, 28, v22
	v_lshlrev_b64 v[16:17], v16, v[15:16]
	v_lshrrev_b32_e32 v21, 3, v11
	v_sub_u32_e32 v17, 29, v22
	v_and_b32_e32 v16, 7, v16
	v_cmp_gt_u32_e64 s[2:3], 8, v11
	v_cndmask_b32_e64 v11, v21, v17, s[2:3]
	v_cndmask_b32_e64 v16, v20, v16, s[2:3]
	v_lshlrev_b32_e32 v16, 20, v16
	v_and_b32_sdwa v17, sext(v15), s26 dst_sel:DWORD dst_unused:UNUSED_PAD src0_sel:BYTE_0 src1_sel:DWORD
	v_lshl_add_u32 v11, v11, 23, v39
	v_or3_b32 v16, v17, v11, v16
	v_mov_b32_e32 v17, v5
.LBB176_179:                            ;   in Loop: Header=BB176_123 Depth=1
	s_or_b64 exec, exec, s[16:17]
.LBB176_180:                            ;   in Loop: Header=BB176_123 Depth=1
	s_or_b64 exec, exec, s[14:15]
.LBB176_181:                            ;   in Loop: Header=BB176_123 Depth=1
	s_or_b64 exec, exec, s[12:13]
	v_cmp_ne_u16_sdwa s[2:3], v15, v5 src0_sel:BYTE_1 src1_sel:DWORD
	s_and_saveexec_b64 s[12:13], s[2:3]
	s_cbranch_execz .LBB176_187
; %bb.182:                              ;   in Loop: Header=BB176_123 Depth=1
	v_mov_b32_e32 v19, v6
	v_cmp_ne_u16_sdwa s[2:3], v15, s24 src0_sel:BYTE_1 src1_sel:DWORD
	v_mov_b32_e32 v18, v5
	s_and_saveexec_b64 s[14:15], s[2:3]
	s_cbranch_execz .LBB176_186
; %bb.183:                              ;   in Loop: Header=BB176_123 Depth=1
	v_and_b32_sdwa v20, v15, s25 dst_sel:DWORD dst_unused:UNUSED_PAD src0_sel:BYTE_1 src1_sel:DWORD
	v_mov_b32_e32 v11, v5
	v_mov_b32_e32 v19, v12
	v_cmp_ne_u32_e64 s[2:3], s25, v20
	v_mov_b32_e32 v18, v11
	s_and_saveexec_b64 s[16:17], s[2:3]
	s_cbranch_execz .LBB176_185
; %bb.184:                              ;   in Loop: Header=BB176_123 Depth=1
	v_and_b32_sdwa v18, v15, v40 dst_sel:DWORD dst_unused:UNUSED_PAD src0_sel:BYTE_1 src1_sel:DWORD
	v_ffbh_u32_e32 v21, v18
	v_min_u32_e32 v23, 32, v21
	v_mov_b32_e32 v19, v5
	v_subrev_u32_e32 v21, 28, v23
	v_lshlrev_b64 v[21:22], v21, v[18:19]
	v_lshrrev_b32_e32 v11, 3, v20
	v_sub_u32_e32 v19, 29, v23
	v_cmp_gt_u32_e64 s[2:3], 8, v20
	v_and_b32_e32 v21, 7, v21
	v_cndmask_b32_e64 v11, v11, v19, s[2:3]
	v_cndmask_b32_e64 v18, v18, v21, s[2:3]
	v_lshlrev_b32_e32 v19, 16, v15
	v_lshl_add_u32 v11, v11, 23, v39
	v_and_or_b32 v11, v19, s26, v11
	v_lshlrev_b32_e32 v18, 20, v18
	v_or_b32_e32 v19, v11, v18
	v_mov_b32_e32 v18, v5
.LBB176_185:                            ;   in Loop: Header=BB176_123 Depth=1
	s_or_b64 exec, exec, s[16:17]
.LBB176_186:                            ;   in Loop: Header=BB176_123 Depth=1
	s_or_b64 exec, exec, s[14:15]
.LBB176_187:                            ;   in Loop: Header=BB176_123 Depth=1
	s_or_b64 exec, exec, s[12:13]
	v_lshrrev_b32_e32 v11, 16, v15
	v_mov_b32_e32 v22, 0
	v_mov_b32_e32 v20, 0
	;; [unrolled: 1-line block ×4, first 2 shown]
	v_cmp_ne_u16_sdwa s[2:3], v11, v5 src0_sel:BYTE_0 src1_sel:DWORD
	s_and_saveexec_b64 s[12:13], s[2:3]
	s_cbranch_execz .LBB176_193
; %bb.188:                              ;   in Loop: Header=BB176_123 Depth=1
	v_bfrev_b32_e32 v20, 1
	v_mov_b32_e32 v21, 0
	v_cmp_ne_u16_sdwa s[2:3], v11, s24 src0_sel:BYTE_0 src1_sel:DWORD
	s_and_saveexec_b64 s[14:15], s[2:3]
	s_cbranch_execz .LBB176_192
; %bb.189:                              ;   in Loop: Header=BB176_123 Depth=1
	v_bfe_u32 v49, v15, 16, 7
	v_mov_b32_e32 v20, 0x7f800001
	v_mov_b32_e32 v21, 0
	v_cmp_ne_u32_e64 s[2:3], s25, v49
	s_and_saveexec_b64 s[16:17], s[2:3]
	s_cbranch_execz .LBB176_191
; %bb.190:                              ;   in Loop: Header=BB176_123 Depth=1
	v_and_b32_e32 v50, 7, v11
	v_ffbh_u32_e32 v20, v50
	v_min_u32_e32 v52, 32, v20
	v_subrev_u32_e32 v20, 28, v52
	v_lshlrev_b64 v[20:21], v20, v[11:12]
	v_lshrrev_b32_e32 v51, 3, v49
	v_sub_u32_e32 v21, 29, v52
	v_and_b32_e32 v20, 7, v20
	v_cmp_gt_u32_e64 s[2:3], 8, v49
	v_cndmask_b32_e64 v21, v51, v21, s[2:3]
	v_cndmask_b32_e64 v20, v50, v20, s[2:3]
	v_lshlrev_b32_e32 v20, 20, v20
	v_and_b32_sdwa v11, sext(v11), s26 dst_sel:DWORD dst_unused:UNUSED_PAD src0_sel:BYTE_0 src1_sel:DWORD
	v_lshl_add_u32 v21, v21, 23, v39
	v_or3_b32 v20, v11, v21, v20
	v_mov_b32_e32 v21, v5
.LBB176_191:                            ;   in Loop: Header=BB176_123 Depth=1
	s_or_b64 exec, exec, s[16:17]
.LBB176_192:                            ;   in Loop: Header=BB176_123 Depth=1
	s_or_b64 exec, exec, s[14:15]
.LBB176_193:                            ;   in Loop: Header=BB176_123 Depth=1
	s_or_b64 exec, exec, s[12:13]
	v_cmp_lt_u32_e64 s[2:3], s27, v15
	s_and_saveexec_b64 s[12:13], s[2:3]
	s_cbranch_execz .LBB176_199
; %bb.194:                              ;   in Loop: Header=BB176_123 Depth=1
	v_mov_b32_e32 v23, v6
	v_cmp_ne_u32_sdwa s[2:3], v15, s24 src0_sel:BYTE_3 src1_sel:DWORD
	v_mov_b32_e32 v22, v5
	s_and_saveexec_b64 s[14:15], s[2:3]
	s_cbranch_execz .LBB176_198
; %bb.195:                              ;   in Loop: Header=BB176_123 Depth=1
	v_bfe_u32 v49, v15, 24, 7
	v_mov_b32_e32 v11, v5
	v_mov_b32_e32 v23, v12
	v_cmp_ne_u32_e64 s[2:3], s25, v49
	v_mov_b32_e32 v22, v11
	s_and_saveexec_b64 s[16:17], s[2:3]
	s_cbranch_execz .LBB176_197
; %bb.196:                              ;   in Loop: Header=BB176_123 Depth=1
	v_and_b32_sdwa v22, v15, v40 dst_sel:DWORD dst_unused:UNUSED_PAD src0_sel:BYTE_3 src1_sel:DWORD
	v_ffbh_u32_e32 v50, v22
	v_min_u32_e32 v52, 32, v50
	v_mov_b32_e32 v23, v5
	v_subrev_u32_e32 v50, 28, v52
	v_lshlrev_b64 v[50:51], v50, v[22:23]
	v_lshrrev_b32_e32 v11, 3, v49
	v_sub_u32_e32 v23, 29, v52
	v_cmp_gt_u32_e64 s[2:3], 8, v49
	v_and_b32_e32 v50, 7, v50
	v_cndmask_b32_e64 v11, v11, v23, s[2:3]
	v_cndmask_b32_e64 v22, v22, v50, s[2:3]
	v_lshlrev_b32_sdwa v15, v41, v15 dst_sel:DWORD dst_unused:UNUSED_PAD src0_sel:DWORD src1_sel:BYTE_3
	v_lshl_add_u32 v11, v11, 23, v39
	v_and_or_b32 v11, v15, s26, v11
	v_lshlrev_b32_e32 v15, 20, v22
	v_or_b32_e32 v23, v11, v15
	v_mov_b32_e32 v22, v5
.LBB176_197:                            ;   in Loop: Header=BB176_123 Depth=1
	s_or_b64 exec, exec, s[16:17]
.LBB176_198:                            ;   in Loop: Header=BB176_123 Depth=1
	s_or_b64 exec, exec, s[14:15]
.LBB176_199:                            ;   in Loop: Header=BB176_123 Depth=1
	s_or_b64 exec, exec, s[12:13]
	v_or_b32_e32 v11, v19, v17
	v_or_b32_e32 v15, v18, v16
	v_mul_f32_e32 v49, s33, v11
	v_mul_f32_e32 v50, s28, v15
	v_or_b32_e32 v11, v23, v21
	v_or_b32_e32 v15, v22, v20
	v_mul_f32_e32 v23, s28, v15
	v_mul_f32_e32 v22, s33, v11
	s_and_saveexec_b64 s[12:13], s[0:1]
	s_cbranch_execz .LBB176_201
; %bb.200:                              ;   in Loop: Header=BB176_123 Depth=1
	v_cmp_gt_i32_e64 s[2:3], s30, v46
	v_add_u32_e32 v11, -2, v37
	v_cndmask_b32_e64 v50, 0, v50, s[2:3]
	v_cmp_gt_i32_e64 s[2:3], s30, v11
	v_add_u32_e32 v11, -1, v37
	v_cndmask_b32_e64 v49, 0, v49, s[2:3]
	v_cmp_gt_i32_e64 s[2:3], s30, v11
	v_cndmask_b32_e64 v23, 0, v23, s[2:3]
	v_cmp_gt_i32_e64 s[2:3], s30, v37
	v_cndmask_b32_e64 v22, 0, v22, s[2:3]
.LBB176_201:                            ;   in Loop: Header=BB176_123 Depth=1
	s_or_b64 exec, exec, s[12:13]
	s_and_saveexec_b64 s[12:13], vcc
	s_cbranch_execz .LBB176_122
; %bb.202:                              ;   in Loop: Header=BB176_123 Depth=1
	v_add_co_u32_e64 v13, s[2:3], v13, v35
	v_addc_co_u32_e64 v14, s[2:3], 0, v14, s[2:3]
	global_load_dword v13, v[13:14], off
	v_mov_b32_e32 v16, 0
	v_mov_b32_e32 v14, 0
	;; [unrolled: 1-line block ×4, first 2 shown]
	s_waitcnt vmcnt(0)
	v_cmp_ne_u16_sdwa s[2:3], v13, v5 src0_sel:BYTE_0 src1_sel:DWORD
	s_and_saveexec_b64 s[14:15], s[2:3]
	s_cbranch_execz .LBB176_208
; %bb.203:                              ;   in Loop: Header=BB176_123 Depth=1
	v_bfrev_b32_e32 v14, 1
	v_mov_b32_e32 v15, 0
	v_cmp_ne_u16_sdwa s[2:3], v13, s24 src0_sel:BYTE_0 src1_sel:DWORD
	s_and_saveexec_b64 s[16:17], s[2:3]
	s_cbranch_execz .LBB176_207
; %bb.204:                              ;   in Loop: Header=BB176_123 Depth=1
	v_and_b32_e32 v11, 0x7f, v13
	v_mov_b32_e32 v14, 0x7f800001
	v_mov_b32_e32 v15, 0
	v_cmp_ne_u32_e64 s[2:3], s25, v11
	s_and_saveexec_b64 s[18:19], s[2:3]
	s_cbranch_execz .LBB176_206
; %bb.205:                              ;   in Loop: Header=BB176_123 Depth=1
	v_and_b32_e32 v18, 7, v13
	v_ffbh_u32_e32 v14, v18
	v_min_u32_e32 v20, 32, v14
	v_subrev_u32_e32 v14, 28, v20
	v_lshlrev_b64 v[14:15], v14, v[13:14]
	v_lshrrev_b32_e32 v19, 3, v11
	v_sub_u32_e32 v15, 29, v20
	v_and_b32_e32 v14, 7, v14
	v_cmp_gt_u32_e64 s[2:3], 8, v11
	v_cndmask_b32_e64 v11, v19, v15, s[2:3]
	v_cndmask_b32_e64 v14, v18, v14, s[2:3]
	v_lshlrev_b32_e32 v14, 20, v14
	v_and_b32_sdwa v15, sext(v13), s26 dst_sel:DWORD dst_unused:UNUSED_PAD src0_sel:BYTE_0 src1_sel:DWORD
	v_lshl_add_u32 v11, v11, 23, v39
	v_or3_b32 v14, v15, v11, v14
	v_mov_b32_e32 v15, v5
.LBB176_206:                            ;   in Loop: Header=BB176_123 Depth=1
	s_or_b64 exec, exec, s[18:19]
.LBB176_207:                            ;   in Loop: Header=BB176_123 Depth=1
	s_or_b64 exec, exec, s[16:17]
.LBB176_208:                            ;   in Loop: Header=BB176_123 Depth=1
	s_or_b64 exec, exec, s[14:15]
	v_cmp_ne_u16_sdwa s[2:3], v13, v5 src0_sel:BYTE_1 src1_sel:DWORD
	s_and_saveexec_b64 s[14:15], s[2:3]
	s_cbranch_execz .LBB176_214
; %bb.209:                              ;   in Loop: Header=BB176_123 Depth=1
	v_mov_b32_e32 v17, v6
	v_cmp_ne_u16_sdwa s[2:3], v13, s24 src0_sel:BYTE_1 src1_sel:DWORD
	v_mov_b32_e32 v16, v5
	s_and_saveexec_b64 s[16:17], s[2:3]
	s_cbranch_execz .LBB176_213
; %bb.210:                              ;   in Loop: Header=BB176_123 Depth=1
	v_and_b32_sdwa v18, v13, s25 dst_sel:DWORD dst_unused:UNUSED_PAD src0_sel:BYTE_1 src1_sel:DWORD
	v_mov_b32_e32 v11, v5
	v_mov_b32_e32 v17, v12
	v_cmp_ne_u32_e64 s[2:3], s25, v18
	v_mov_b32_e32 v16, v11
	s_and_saveexec_b64 s[18:19], s[2:3]
	s_cbranch_execz .LBB176_212
; %bb.211:                              ;   in Loop: Header=BB176_123 Depth=1
	v_and_b32_sdwa v16, v13, v40 dst_sel:DWORD dst_unused:UNUSED_PAD src0_sel:BYTE_1 src1_sel:DWORD
	v_ffbh_u32_e32 v19, v16
	v_min_u32_e32 v21, 32, v19
	v_mov_b32_e32 v17, v5
	v_subrev_u32_e32 v19, 28, v21
	v_lshlrev_b64 v[19:20], v19, v[16:17]
	v_lshrrev_b32_e32 v11, 3, v18
	v_sub_u32_e32 v17, 29, v21
	v_cmp_gt_u32_e64 s[2:3], 8, v18
	v_and_b32_e32 v19, 7, v19
	v_cndmask_b32_e64 v11, v11, v17, s[2:3]
	v_cndmask_b32_e64 v16, v16, v19, s[2:3]
	v_lshlrev_b32_e32 v17, 16, v13
	v_lshl_add_u32 v11, v11, 23, v39
	v_and_or_b32 v11, v17, s26, v11
	v_lshlrev_b32_e32 v16, 20, v16
	v_or_b32_e32 v17, v11, v16
	v_mov_b32_e32 v16, v5
.LBB176_212:                            ;   in Loop: Header=BB176_123 Depth=1
	s_or_b64 exec, exec, s[18:19]
.LBB176_213:                            ;   in Loop: Header=BB176_123 Depth=1
	s_or_b64 exec, exec, s[16:17]
.LBB176_214:                            ;   in Loop: Header=BB176_123 Depth=1
	s_or_b64 exec, exec, s[14:15]
	v_lshrrev_b32_e32 v11, 16, v13
	v_mov_b32_e32 v20, 0
	v_mov_b32_e32 v18, 0
	;; [unrolled: 1-line block ×4, first 2 shown]
	v_cmp_ne_u16_sdwa s[2:3], v11, v5 src0_sel:BYTE_0 src1_sel:DWORD
	s_and_saveexec_b64 s[14:15], s[2:3]
	s_cbranch_execz .LBB176_220
; %bb.215:                              ;   in Loop: Header=BB176_123 Depth=1
	v_bfrev_b32_e32 v18, 1
	v_mov_b32_e32 v19, 0
	v_cmp_ne_u16_sdwa s[2:3], v11, s24 src0_sel:BYTE_0 src1_sel:DWORD
	s_and_saveexec_b64 s[16:17], s[2:3]
	s_cbranch_execz .LBB176_219
; %bb.216:                              ;   in Loop: Header=BB176_123 Depth=1
	v_bfe_u32 v51, v13, 16, 7
	v_mov_b32_e32 v18, 0x7f800001
	v_mov_b32_e32 v19, 0
	v_cmp_ne_u32_e64 s[2:3], s25, v51
	s_and_saveexec_b64 s[18:19], s[2:3]
	s_cbranch_execz .LBB176_218
; %bb.217:                              ;   in Loop: Header=BB176_123 Depth=1
	v_and_b32_e32 v52, 7, v11
	v_ffbh_u32_e32 v18, v52
	v_min_u32_e32 v54, 32, v18
	v_subrev_u32_e32 v18, 28, v54
	v_lshlrev_b64 v[18:19], v18, v[11:12]
	v_lshrrev_b32_e32 v53, 3, v51
	v_sub_u32_e32 v19, 29, v54
	v_and_b32_e32 v18, 7, v18
	v_cmp_gt_u32_e64 s[2:3], 8, v51
	v_cndmask_b32_e64 v19, v53, v19, s[2:3]
	v_cndmask_b32_e64 v18, v52, v18, s[2:3]
	v_lshlrev_b32_e32 v18, 20, v18
	v_and_b32_sdwa v11, sext(v11), s26 dst_sel:DWORD dst_unused:UNUSED_PAD src0_sel:BYTE_0 src1_sel:DWORD
	v_lshl_add_u32 v19, v19, 23, v39
	v_or3_b32 v18, v11, v19, v18
	v_mov_b32_e32 v19, v5
.LBB176_218:                            ;   in Loop: Header=BB176_123 Depth=1
	s_or_b64 exec, exec, s[18:19]
.LBB176_219:                            ;   in Loop: Header=BB176_123 Depth=1
	s_or_b64 exec, exec, s[16:17]
.LBB176_220:                            ;   in Loop: Header=BB176_123 Depth=1
	s_or_b64 exec, exec, s[14:15]
	v_cmp_lt_u32_e64 s[2:3], s27, v13
	s_and_saveexec_b64 s[14:15], s[2:3]
	s_cbranch_execz .LBB176_226
; %bb.221:                              ;   in Loop: Header=BB176_123 Depth=1
	v_mov_b32_e32 v21, v6
	v_cmp_ne_u32_sdwa s[2:3], v13, s24 src0_sel:BYTE_3 src1_sel:DWORD
	v_mov_b32_e32 v20, v5
	s_and_saveexec_b64 s[16:17], s[2:3]
	s_cbranch_execz .LBB176_225
; %bb.222:                              ;   in Loop: Header=BB176_123 Depth=1
	v_bfe_u32 v51, v13, 24, 7
	v_mov_b32_e32 v11, v5
	v_mov_b32_e32 v21, v12
	v_cmp_ne_u32_e64 s[2:3], s25, v51
	v_mov_b32_e32 v20, v11
	s_and_saveexec_b64 s[18:19], s[2:3]
	s_cbranch_execz .LBB176_224
; %bb.223:                              ;   in Loop: Header=BB176_123 Depth=1
	v_and_b32_sdwa v20, v13, v40 dst_sel:DWORD dst_unused:UNUSED_PAD src0_sel:BYTE_3 src1_sel:DWORD
	v_ffbh_u32_e32 v52, v20
	v_min_u32_e32 v54, 32, v52
	v_mov_b32_e32 v21, v5
	v_subrev_u32_e32 v52, 28, v54
	v_lshlrev_b64 v[52:53], v52, v[20:21]
	v_lshrrev_b32_e32 v11, 3, v51
	v_sub_u32_e32 v21, 29, v54
	v_cmp_gt_u32_e64 s[2:3], 8, v51
	v_and_b32_e32 v52, 7, v52
	v_cndmask_b32_e64 v11, v11, v21, s[2:3]
	v_cndmask_b32_e64 v20, v20, v52, s[2:3]
	v_lshlrev_b32_sdwa v13, v41, v13 dst_sel:DWORD dst_unused:UNUSED_PAD src0_sel:DWORD src1_sel:BYTE_3
	v_lshl_add_u32 v11, v11, 23, v39
	v_and_or_b32 v11, v13, s26, v11
	v_lshlrev_b32_e32 v13, 20, v20
	v_or_b32_e32 v21, v11, v13
	v_mov_b32_e32 v20, v5
.LBB176_224:                            ;   in Loop: Header=BB176_123 Depth=1
	s_or_b64 exec, exec, s[18:19]
.LBB176_225:                            ;   in Loop: Header=BB176_123 Depth=1
	s_or_b64 exec, exec, s[16:17]
.LBB176_226:                            ;   in Loop: Header=BB176_123 Depth=1
	s_or_b64 exec, exec, s[14:15]
	v_or_b32_e32 v13, v16, v14
	v_or_b32_e32 v11, v17, v15
	v_mul_f32_e32 v15, s28, v13
	v_or_b32_e32 v13, v21, v19
	v_or_b32_e32 v14, v20, v18
	v_mul_f32_e32 v11, s33, v11
	v_mul_f32_e32 v14, s28, v14
	;; [unrolled: 1-line block ×3, first 2 shown]
	s_and_saveexec_b64 s[2:3], s[0:1]
	s_cbranch_execz .LBB176_121
; %bb.227:                              ;   in Loop: Header=BB176_123 Depth=1
	v_cmp_gt_i32_e64 s[0:1], s30, v46
	v_add_u32_e32 v16, -2, v37
	v_cndmask_b32_e64 v15, 0, v15, s[0:1]
	v_cmp_gt_i32_e64 s[0:1], s30, v16
	v_add_u32_e32 v16, -1, v37
	v_cndmask_b32_e64 v11, 0, v11, s[0:1]
	v_cmp_gt_i32_e64 s[0:1], s30, v16
	v_cndmask_b32_e64 v14, 0, v14, s[0:1]
	v_cmp_gt_i32_e64 s[0:1], s30, v37
	v_cndmask_b32_e64 v13, 0, v13, s[0:1]
	s_branch .LBB176_121
.LBB176_228:
	s_or_b64 exec, exec, s[6:7]
.LBB176_229:
	s_or_b64 exec, exec, s[4:5]
	ds_bpermute_b32 v2, v28, v34
	ds_bpermute_b32 v5, v28, v33
	;; [unrolled: 1-line block ×4, first 2 shown]
	v_cmp_eq_u32_e32 vcc, 0, v30
	s_waitcnt lgkmcnt(3)
	v_add_f32_e32 v3, v34, v2
	s_waitcnt lgkmcnt(2)
	v_add_f32_e32 v2, v33, v5
	v_and_b32_e32 v5, 0x3c0, v0
	s_waitcnt lgkmcnt(1)
	v_add_f32_e32 v4, v32, v1
	s_waitcnt lgkmcnt(0)
	v_add_f32_e32 v1, v36, v6
	v_cmp_eq_u32_e64 s[0:1], 64, v5
	s_barrier
	s_and_saveexec_b64 s[2:3], s[0:1]
	s_cbranch_execz .LBB176_234
; %bb.230:
	s_and_saveexec_b64 s[0:1], vcc
	s_cbranch_execz .LBB176_232
; %bb.231:
	v_mov_b32_e32 v5, 0x1f0
	v_lshl_add_u32 v5, v29, 2, v5
	ds_write2_b32 v5, v4, v3 offset1:32
	ds_write_b32 v5, v2 offset:256
.LBB176_232:
	s_or_b64 exec, exec, s[0:1]
	v_or_b32_e32 v5, 0x60, v29
	s_movk_i32 s0, 0x78
	v_cmp_gt_u32_e64 s[0:1], s0, v5
	s_and_b64 s[0:1], vcc, s[0:1]
	s_and_b64 exec, exec, s[0:1]
; %bb.233:
	v_mov_b32_e32 v5, 0x1f0
	v_lshl_add_u32 v5, v29, 2, v5
	ds_write_b32 v5, v1 offset:384
.LBB176_234:
	s_or_b64 exec, exec, s[2:3]
	v_cmp_gt_u32_e64 s[0:1], 64, v0
	s_waitcnt lgkmcnt(0)
	s_barrier
	s_and_saveexec_b64 s[4:5], s[0:1]
	s_cbranch_execz .LBB176_244
; %bb.235:
	s_and_saveexec_b64 s[2:3], vcc
	s_cbranch_execz .LBB176_237
; %bb.236:
	v_mov_b32_e32 v0, 0x1f0
	v_lshl_add_u32 v0, v26, 2, v0
	ds_read_b32 v0, v0
	s_waitcnt lgkmcnt(0)
	v_add_f32_e32 v4, v4, v0
.LBB176_237:
	s_or_b64 exec, exec, s[2:3]
	v_or_b32_e32 v0, 32, v26
	s_movk_i32 s6, 0x78
	v_cmp_gt_u32_e64 s[2:3], s6, v0
	s_and_b64 s[12:13], vcc, s[2:3]
	s_and_saveexec_b64 s[2:3], s[12:13]
	s_cbranch_execz .LBB176_239
; %bb.238:
	v_mov_b32_e32 v0, 0x1f0
	v_lshl_add_u32 v0, v26, 2, v0
	ds_read_b32 v0, v0 offset:128
	s_waitcnt lgkmcnt(0)
	v_add_f32_e32 v3, v3, v0
.LBB176_239:
	s_or_b64 exec, exec, s[2:3]
	v_or_b32_e32 v0, 64, v26
	v_cmp_gt_u32_e64 s[2:3], s6, v0
	s_and_b64 s[6:7], vcc, s[2:3]
	s_and_saveexec_b64 s[2:3], s[6:7]
	s_cbranch_execz .LBB176_241
; %bb.240:
	v_mov_b32_e32 v0, 0x1f0
	v_lshl_add_u32 v0, v26, 2, v0
	ds_read_b32 v0, v0 offset:256
	s_waitcnt lgkmcnt(0)
	v_add_f32_e32 v2, v2, v0
.LBB176_241:
	s_or_b64 exec, exec, s[2:3]
	v_or_b32_e32 v0, 0x60, v26
	s_movk_i32 s2, 0x78
	v_cmp_gt_u32_e64 s[2:3], s2, v0
	s_and_b64 s[6:7], vcc, s[2:3]
	s_and_saveexec_b64 s[2:3], s[6:7]
	s_cbranch_execz .LBB176_243
; %bb.242:
	v_mov_b32_e32 v0, 0x1f0
	v_lshl_add_u32 v0, v26, 2, v0
	ds_read_b32 v0, v0 offset:384
	s_waitcnt lgkmcnt(0)
	v_add_f32_e32 v1, v1, v0
.LBB176_243:
	s_or_b64 exec, exec, s[2:3]
.LBB176_244:
	s_or_b64 exec, exec, s[4:5]
	s_barrier
	s_and_saveexec_b64 s[2:3], s[0:1]
	s_cbranch_execz .LBB176_253
; %bb.245:
	s_mul_i32 s0, s10, s11
	s_mul_i32 s0, s0, s9
	s_mulk_i32 s0, 0x78
	s_ashr_i32 s1, s0, 31
	s_lshl_b64 s[0:1], s[0:1], 2
	s_add_u32 s2, s22, s0
	s_mul_i32 s0, s11, s20
	s_addc_u32 s3, s23, s1
	s_ashr_i32 s1, s0, 31
	s_lshl_b64 s[0:1], s[0:1], 2
	s_add_u32 s2, s2, s0
	s_mul_i32 s0, s8, 0x78
	s_addc_u32 s3, s3, s1
	s_ashr_i32 s1, s0, 31
	s_lshl_b64 s[0:1], s[0:1], 2
	s_add_u32 s2, s2, s0
	s_movk_i32 s4, 0x78
	s_addc_u32 s3, s3, s1
	v_lshlrev_b32_e32 v0, 2, v26
	s_and_saveexec_b64 s[0:1], vcc
	s_cbranch_execz .LBB176_247
; %bb.246:
	global_store_dword v0, v4, s[2:3]
.LBB176_247:
	s_or_b64 exec, exec, s[0:1]
	v_or_b32_e32 v4, 32, v26
	v_cmp_gt_u32_e64 s[0:1], s4, v4
	s_and_b64 s[4:5], vcc, s[0:1]
	s_and_saveexec_b64 s[0:1], s[4:5]
	s_cbranch_execz .LBB176_249
; %bb.248:
	global_store_dword v0, v3, s[2:3] offset:128
.LBB176_249:
	s_or_b64 exec, exec, s[0:1]
	v_or_b32_e32 v3, 64, v26
	s_movk_i32 s4, 0x78
	v_cmp_gt_u32_e64 s[0:1], s4, v3
	s_and_b64 s[6:7], vcc, s[0:1]
	s_and_saveexec_b64 s[0:1], s[6:7]
	s_cbranch_execz .LBB176_251
; %bb.250:
	global_store_dword v0, v2, s[2:3] offset:256
.LBB176_251:
	s_or_b64 exec, exec, s[0:1]
	v_or_b32_e32 v2, 0x60, v26
	v_cmp_gt_u32_e64 s[0:1], s4, v2
	s_and_b64 s[0:1], vcc, s[0:1]
	s_and_b64 exec, exec, s[0:1]
	s_cbranch_execz .LBB176_253
; %bb.252:
	global_store_dword v0, v1, s[2:3] offset:384
.LBB176_253:
	s_endpgm
	.section	.rodata,"a",@progbits
	.p2align	6, 0x0
	.amdhsa_kernel _ZN4vllm25paged_attention_v1_kernelIfhLi120ELi8ELi128ELNS_18Fp8KVCacheDataTypeE1ELb0EEEvPT_PKS2_PKT0_S8_ifPKiSA_iPKfiiiSC_SC_iiiii
		.amdhsa_group_segment_fixed_size 496
		.amdhsa_private_segment_fixed_size 0
		.amdhsa_kernarg_size 384
		.amdhsa_user_sgpr_count 6
		.amdhsa_user_sgpr_private_segment_buffer 1
		.amdhsa_user_sgpr_dispatch_ptr 0
		.amdhsa_user_sgpr_queue_ptr 0
		.amdhsa_user_sgpr_kernarg_segment_ptr 1
		.amdhsa_user_sgpr_dispatch_id 0
		.amdhsa_user_sgpr_flat_scratch_init 0
		.amdhsa_user_sgpr_private_segment_size 0
		.amdhsa_uses_dynamic_stack 0
		.amdhsa_system_sgpr_private_segment_wavefront_offset 0
		.amdhsa_system_sgpr_workgroup_id_x 1
		.amdhsa_system_sgpr_workgroup_id_y 1
		.amdhsa_system_sgpr_workgroup_id_z 1
		.amdhsa_system_sgpr_workgroup_info 0
		.amdhsa_system_vgpr_workitem_id 0
		.amdhsa_next_free_vgpr 59
		.amdhsa_next_free_sgpr 43
		.amdhsa_reserve_vcc 1
		.amdhsa_reserve_flat_scratch 0
		.amdhsa_float_round_mode_32 0
		.amdhsa_float_round_mode_16_64 0
		.amdhsa_float_denorm_mode_32 3
		.amdhsa_float_denorm_mode_16_64 3
		.amdhsa_dx10_clamp 1
		.amdhsa_ieee_mode 1
		.amdhsa_fp16_overflow 0
		.amdhsa_exception_fp_ieee_invalid_op 0
		.amdhsa_exception_fp_denorm_src 0
		.amdhsa_exception_fp_ieee_div_zero 0
		.amdhsa_exception_fp_ieee_overflow 0
		.amdhsa_exception_fp_ieee_underflow 0
		.amdhsa_exception_fp_ieee_inexact 0
		.amdhsa_exception_int_div_zero 0
	.end_amdhsa_kernel
	.section	.text._ZN4vllm25paged_attention_v1_kernelIfhLi120ELi8ELi128ELNS_18Fp8KVCacheDataTypeE1ELb0EEEvPT_PKS2_PKT0_S8_ifPKiSA_iPKfiiiSC_SC_iiiii,"axG",@progbits,_ZN4vllm25paged_attention_v1_kernelIfhLi120ELi8ELi128ELNS_18Fp8KVCacheDataTypeE1ELb0EEEvPT_PKS2_PKT0_S8_ifPKiSA_iPKfiiiSC_SC_iiiii,comdat
.Lfunc_end176:
	.size	_ZN4vllm25paged_attention_v1_kernelIfhLi120ELi8ELi128ELNS_18Fp8KVCacheDataTypeE1ELb0EEEvPT_PKS2_PKT0_S8_ifPKiSA_iPKfiiiSC_SC_iiiii, .Lfunc_end176-_ZN4vllm25paged_attention_v1_kernelIfhLi120ELi8ELi128ELNS_18Fp8KVCacheDataTypeE1ELb0EEEvPT_PKS2_PKT0_S8_ifPKiSA_iPKfiiiSC_SC_iiiii
                                        ; -- End function
	.set _ZN4vllm25paged_attention_v1_kernelIfhLi120ELi8ELi128ELNS_18Fp8KVCacheDataTypeE1ELb0EEEvPT_PKS2_PKT0_S8_ifPKiSA_iPKfiiiSC_SC_iiiii.num_vgpr, 59
	.set _ZN4vllm25paged_attention_v1_kernelIfhLi120ELi8ELi128ELNS_18Fp8KVCacheDataTypeE1ELb0EEEvPT_PKS2_PKT0_S8_ifPKiSA_iPKfiiiSC_SC_iiiii.num_agpr, 0
	.set _ZN4vllm25paged_attention_v1_kernelIfhLi120ELi8ELi128ELNS_18Fp8KVCacheDataTypeE1ELb0EEEvPT_PKS2_PKT0_S8_ifPKiSA_iPKfiiiSC_SC_iiiii.numbered_sgpr, 43
	.set _ZN4vllm25paged_attention_v1_kernelIfhLi120ELi8ELi128ELNS_18Fp8KVCacheDataTypeE1ELb0EEEvPT_PKS2_PKT0_S8_ifPKiSA_iPKfiiiSC_SC_iiiii.num_named_barrier, 0
	.set _ZN4vllm25paged_attention_v1_kernelIfhLi120ELi8ELi128ELNS_18Fp8KVCacheDataTypeE1ELb0EEEvPT_PKS2_PKT0_S8_ifPKiSA_iPKfiiiSC_SC_iiiii.private_seg_size, 0
	.set _ZN4vllm25paged_attention_v1_kernelIfhLi120ELi8ELi128ELNS_18Fp8KVCacheDataTypeE1ELb0EEEvPT_PKS2_PKT0_S8_ifPKiSA_iPKfiiiSC_SC_iiiii.uses_vcc, 1
	.set _ZN4vllm25paged_attention_v1_kernelIfhLi120ELi8ELi128ELNS_18Fp8KVCacheDataTypeE1ELb0EEEvPT_PKS2_PKT0_S8_ifPKiSA_iPKfiiiSC_SC_iiiii.uses_flat_scratch, 0
	.set _ZN4vllm25paged_attention_v1_kernelIfhLi120ELi8ELi128ELNS_18Fp8KVCacheDataTypeE1ELb0EEEvPT_PKS2_PKT0_S8_ifPKiSA_iPKfiiiSC_SC_iiiii.has_dyn_sized_stack, 0
	.set _ZN4vllm25paged_attention_v1_kernelIfhLi120ELi8ELi128ELNS_18Fp8KVCacheDataTypeE1ELb0EEEvPT_PKS2_PKT0_S8_ifPKiSA_iPKfiiiSC_SC_iiiii.has_recursion, 0
	.set _ZN4vllm25paged_attention_v1_kernelIfhLi120ELi8ELi128ELNS_18Fp8KVCacheDataTypeE1ELb0EEEvPT_PKS2_PKT0_S8_ifPKiSA_iPKfiiiSC_SC_iiiii.has_indirect_call, 0
	.section	.AMDGPU.csdata,"",@progbits
; Kernel info:
; codeLenInByte = 9812
; TotalNumSgprs: 47
; NumVgprs: 59
; ScratchSize: 0
; MemoryBound: 0
; FloatMode: 240
; IeeeMode: 1
; LDSByteSize: 496 bytes/workgroup (compile time only)
; SGPRBlocks: 5
; VGPRBlocks: 14
; NumSGPRsForWavesPerEU: 47
; NumVGPRsForWavesPerEU: 59
; Occupancy: 4
; WaveLimiterHint : 1
; COMPUTE_PGM_RSRC2:SCRATCH_EN: 0
; COMPUTE_PGM_RSRC2:USER_SGPR: 6
; COMPUTE_PGM_RSRC2:TRAP_HANDLER: 0
; COMPUTE_PGM_RSRC2:TGID_X_EN: 1
; COMPUTE_PGM_RSRC2:TGID_Y_EN: 1
; COMPUTE_PGM_RSRC2:TGID_Z_EN: 1
; COMPUTE_PGM_RSRC2:TIDIG_COMP_CNT: 0
	.section	.text._ZN4vllm25paged_attention_v1_kernelIfhLi128ELi8ELi128ELNS_18Fp8KVCacheDataTypeE1ELb0EEEvPT_PKS2_PKT0_S8_ifPKiSA_iPKfiiiSC_SC_iiiii,"axG",@progbits,_ZN4vllm25paged_attention_v1_kernelIfhLi128ELi8ELi128ELNS_18Fp8KVCacheDataTypeE1ELb0EEEvPT_PKS2_PKT0_S8_ifPKiSA_iPKfiiiSC_SC_iiiii,comdat
	.protected	_ZN4vllm25paged_attention_v1_kernelIfhLi128ELi8ELi128ELNS_18Fp8KVCacheDataTypeE1ELb0EEEvPT_PKS2_PKT0_S8_ifPKiSA_iPKfiiiSC_SC_iiiii ; -- Begin function _ZN4vllm25paged_attention_v1_kernelIfhLi128ELi8ELi128ELNS_18Fp8KVCacheDataTypeE1ELb0EEEvPT_PKS2_PKT0_S8_ifPKiSA_iPKfiiiSC_SC_iiiii
	.globl	_ZN4vllm25paged_attention_v1_kernelIfhLi128ELi8ELi128ELNS_18Fp8KVCacheDataTypeE1ELb0EEEvPT_PKS2_PKT0_S8_ifPKiSA_iPKfiiiSC_SC_iiiii
	.p2align	8
	.type	_ZN4vllm25paged_attention_v1_kernelIfhLi128ELi8ELi128ELNS_18Fp8KVCacheDataTypeE1ELb0EEEvPT_PKS2_PKT0_S8_ifPKiSA_iPKfiiiSC_SC_iiiii,@function
_ZN4vllm25paged_attention_v1_kernelIfhLi128ELi8ELi128ELNS_18Fp8KVCacheDataTypeE1ELb0EEEvPT_PKS2_PKT0_S8_ifPKiSA_iPKfiiiSC_SC_iiiii: ; @_ZN4vllm25paged_attention_v1_kernelIfhLi128ELi8ELi128ELNS_18Fp8KVCacheDataTypeE1ELb0EEEvPT_PKS2_PKT0_S8_ifPKiSA_iPKfiiiSC_SC_iiiii
; %bb.0:
	s_load_dword s9, s[4:5], 0x80
	s_load_dwordx2 s[0:1], s[4:5], 0x30
	s_load_dwordx2 s[30:31], s[4:5], 0x20
	s_mov_b32 s10, s7
	s_ashr_i32 s11, s7, 31
	s_lshl_b64 s[2:3], s[10:11], 2
	s_waitcnt lgkmcnt(0)
	s_add_u32 s0, s0, s2
	s_addc_u32 s1, s1, s3
	s_abs_i32 s2, s30
	v_cvt_f32_u32_e32 v1, s2
	s_sub_i32 s11, 0, s2
	s_abs_i32 s7, s9
	s_xor_b32 s3, s9, s30
	v_rcp_iflag_f32_e32 v1, v1
	s_ashr_i32 s3, s3, 31
	s_mov_b32 s33, 0
	v_mul_f32_e32 v1, 0x4f7ffffe, v1
	v_cvt_u32_f32_e32 v1, v1
	v_readfirstlane_b32 s12, v1
	s_mul_i32 s11, s11, s12
	s_mul_hi_u32 s11, s12, s11
	s_add_i32 s12, s12, s11
	s_mul_hi_u32 s11, s7, s12
	s_mul_i32 s12, s11, s2
	s_sub_i32 s7, s7, s12
	s_add_i32 s12, s11, 1
	s_sub_i32 s13, s7, s2
	s_cmp_ge_u32 s7, s2
	s_cselect_b32 s11, s12, s11
	s_cselect_b32 s7, s13, s7
	s_add_i32 s12, s11, 1
	s_cmp_ge_u32 s7, s2
	s_cselect_b32 s2, s12, s11
	s_xor_b32 s2, s2, s3
	s_sub_i32 s12, s2, s3
	s_abs_i32 s11, s12
	v_cvt_f32_u32_e32 v1, s11
	s_load_dwordx2 s[2:3], s[4:5], 0x40
	s_sub_i32 s7, 0, s11
	s_abs_i32 s16, s6
	v_rcp_iflag_f32_e32 v1, v1
	v_mul_f32_e32 v1, 0x4f7ffffe, v1
	v_cvt_u32_f32_e32 v1, v1
	v_readfirstlane_b32 s13, v1
	s_mul_i32 s7, s7, s13
	s_mul_hi_u32 s7, s13, s7
	s_add_i32 s13, s13, s7
	s_waitcnt lgkmcnt(0)
	s_cmp_eq_u64 s[2:3], 0
	s_mul_hi_u32 s17, s16, s13
	s_cbranch_scc1 .LBB177_2
; %bb.1:
	s_ashr_i32 s7, s6, 31
	s_lshl_b64 s[14:15], s[6:7], 2
	s_add_u32 s2, s2, s14
	s_addc_u32 s3, s3, s15
	s_load_dword s33, s[2:3], 0x0
.LBB177_2:
	s_load_dword s30, s[0:1], 0x0
	s_ashr_i32 s3, s12, 31
	s_load_dwordx4 s[12:15], s[4:5], 0x48
	s_movk_i32 s0, 0x80
	s_ashr_i32 s2, s6, 31
	v_and_b32_e32 v1, 7, v0
	s_lshl_b32 s20, s6, 7
	v_cmp_gt_u32_e32 vcc, s0, v0
	v_lshlrev_b32_e32 v27, 2, v0
	v_lshrrev_b32_e32 v24, 1, v0
	s_and_saveexec_b64 s[0:1], vcc
	s_cbranch_execz .LBB177_4
; %bb.3:
	s_load_dwordx2 s[6:7], s[4:5], 0x8
	s_waitcnt lgkmcnt(0)
	s_mul_i32 s18, s12, s10
	s_ashr_i32 s19, s18, 31
	s_lshl_b64 s[18:19], s[18:19], 2
	v_and_b32_e32 v3, 0x1fc, v24
	s_add_u32 s12, s6, s18
	s_addc_u32 s15, s7, s19
	s_ashr_i32 s21, s20, 31
	s_lshl_b64 s[6:7], s[20:21], 2
	s_add_u32 s6, s12, s6
	s_addc_u32 s7, s15, s7
	global_load_dword v2, v27, s[6:7]
	v_lshl_add_u32 v3, v1, 6, v3
	s_waitcnt vmcnt(0)
	ds_write_b32 v3, v2
.LBB177_4:
	s_or_b64 exec, exec, s[0:1]
	s_waitcnt lgkmcnt(0)
	s_add_i32 s1, s30, 7
	s_ashr_i32 s6, s1, 31
	s_lshr_b32 s6, s6, 29
	s_add_i32 s1, s1, s6
	s_ashr_i32 s21, s1, 3
	s_xor_b32 s1, s2, s3
	s_mul_i32 s2, s17, s11
	s_sub_i32 s2, s16, s2
	s_add_i32 s3, s17, 1
	s_sub_i32 s6, s2, s11
	s_load_dwordx2 s[24:25], s[4:5], 0x28
	s_load_dword s0, s[4:5], 0x38
	s_cmp_ge_u32 s2, s11
	s_cselect_b32 s3, s3, s17
	s_cselect_b32 s2, s6, s2
	s_add_i32 s6, s3, 1
	s_cmp_ge_u32 s2, s11
	s_cselect_b32 s2, s6, s3
	v_lshrrev_b32_e32 v25, 6, v0
	s_xor_b32 s2, s2, s1
	s_waitcnt lgkmcnt(0)
	s_mul_i32 s26, s0, s10
	s_sub_i32 s12, s2, s1
	s_ashr_i32 s27, s26, 31
	v_cmp_gt_i32_e64 s[0:1], s21, v25
	v_cmp_le_i32_e32 vcc, s21, v25
	v_mbcnt_lo_u32_b32 v2, -1, 0
	s_barrier
                                        ; implicit-def: $vgpr30
                                        ; implicit-def: $vgpr32
                                        ; implicit-def: $vgpr31
	s_and_saveexec_b64 s[2:3], vcc
	s_xor_b64 s[2:3], exec, s[2:3]
; %bb.5:
	v_mbcnt_hi_u32_b32 v30, -1, v2
	v_and_b32_e32 v32, 64, v30
	v_add_u32_e32 v31, 64, v32
                                        ; implicit-def: $vgpr1
                                        ; implicit-def: $vgpr2
; %bb.6:
	s_or_saveexec_b64 s[6:7], s[2:3]
	s_load_dwordx2 s[22:23], s[4:5], 0x0
	s_load_dwordx2 s[28:29], s[4:5], 0x18
	s_load_dword s11, s[4:5], 0x88
	s_load_dwordx4 s[16:19], s[4:5], 0x58
	v_mov_b32_e32 v26, 0xff7fffff
	s_mul_i32 s12, s12, s14
	v_lshrrev_b32_e32 v29, 4, v0
	s_xor_b64 exec, exec, s[6:7]
	s_cbranch_execz .LBB177_108
; %bb.7:
	s_load_dwordx2 s[2:3], s[4:5], 0x10
	s_ashr_i32 s4, s12, 31
	v_bfe_u32 v3, v0, 3, 3
	v_lshlrev_b32_e32 v4, 4, v3
	v_mbcnt_hi_u32_b32 v30, -1, v2
	s_waitcnt lgkmcnt(0)
	s_add_u32 s2, s2, s12
	s_addc_u32 s3, s3, s4
	v_mov_b32_e32 v5, s3
	v_add_co_u32_e32 v4, vcc, s2, v4
	v_and_b32_e32 v32, 64, v30
	v_addc_co_u32_e32 v5, vcc, 0, v5, vcc
	v_add_u32_e32 v31, 64, v32
	v_xor_b32_e32 v2, 4, v30
	v_cmp_lt_i32_e32 vcc, v2, v31
	v_cndmask_b32_e32 v2, v30, v2, vcc
	v_lshlrev_b32_e32 v28, 2, v2
	v_xor_b32_e32 v2, 2, v30
	v_cmp_lt_i32_e32 vcc, v2, v31
	v_cndmask_b32_e32 v2, v30, v2, vcc
	v_lshlrev_b32_e32 v33, 2, v2
	v_xor_b32_e32 v2, 1, v30
	v_add_co_u32_e64 v17, s[4:5], v4, v1
	v_cmp_lt_i32_e32 vcc, v2, v31
	v_addc_co_u32_e64 v18, s[4:5], 0, v5, s[4:5]
	v_lshlrev_b32_e32 v13, 6, v1
	v_cndmask_b32_e32 v2, v30, v2, vcc
	v_cmp_eq_u32_e32 vcc, 0, v1
	s_sub_i32 s40, 1, s30
	v_lshlrev_b32_e32 v1, 2, v3
	s_lshl_b64 s[4:5], s[26:27], 2
	v_lshl_or_b32 v1, v25, 5, v1
	s_add_u32 s4, s24, s4
	v_add_u32_e32 v36, 0x210, v1
	v_and_b32_e32 v1, 60, v29
	s_addc_u32 s5, s25, s5
	v_lshlrev_b32_e32 v34, 2, v2
	v_mov_b32_e32 v2, s5
	v_add_co_u32_e64 v19, s[4:5], s4, v1
	s_load_dword s39, s[16:17], 0x0
	v_lshl_or_b32 v35, v25, 3, v3
	v_addc_co_u32_e64 v20, s[4:5], 0, v2, s[4:5]
	ds_read_b128 v[1:4], v13
	ds_read_b128 v[5:8], v13 offset:16
	ds_read_b128 v[9:12], v13 offset:32
	;; [unrolled: 1-line block ×3, first 2 shown]
	s_mov_b32 s38, s13
	v_cmp_neq_f32_e64 s[2:3], s33, 0
	v_mov_b32_e32 v26, 0xff7fffff
	s_mov_b64 s[14:15], 0
	s_movk_i32 s41, 0x80
	s_movk_i32 s42, 0x7f
	v_bfrev_b32_e32 v37, 60
	v_mov_b32_e32 v38, v25
	s_branch .LBB177_9
.LBB177_8:                              ;   in Loop: Header=BB177_9 Depth=1
	s_or_b64 exec, exec, s[16:17]
	v_add_u32_e32 v38, 2, v38
	v_cmp_le_i32_e64 s[4:5], s21, v38
	s_or_b64 s[14:15], s[4:5], s[14:15]
	v_add_co_u32_e64 v19, s[4:5], 8, v19
	v_add_u32_e32 v35, 16, v35
	v_add_u32_e32 v36, 64, v36
	v_addc_co_u32_e64 v20, s[4:5], 0, v20, s[4:5]
	s_andn2_b64 exec, exec, s[14:15]
	s_cbranch_execz .LBB177_107
.LBB177_9:                              ; =>This Inner Loop Header: Depth=1
	global_load_dword v21, v[19:20], off
	v_mov_b32_e32 v39, 0
	s_waitcnt vmcnt(0) lgkmcnt(0)
	v_mad_i64_i32 v[21:22], s[4:5], v21, s38, v[17:18]
	global_load_ubyte v40, v[21:22], off
	s_waitcnt vmcnt(0)
	v_cmp_ne_u16_e64 s[4:5], 0, v40
	s_and_saveexec_b64 s[16:17], s[4:5]
	s_cbranch_execz .LBB177_15
; %bb.10:                               ;   in Loop: Header=BB177_9 Depth=1
	v_cmp_ne_u16_e64 s[4:5], s41, v40
	v_bfrev_b32_e32 v39, 1
	s_and_saveexec_b64 s[34:35], s[4:5]
	s_cbranch_execz .LBB177_14
; %bb.11:                               ;   in Loop: Header=BB177_9 Depth=1
	v_and_b32_e32 v23, 0xffff, v40
	v_and_b32_e32 v41, 0x7f, v23
	v_cmp_ne_u32_e64 s[4:5], s42, v41
	v_mov_b32_e32 v39, 0x7f800001
	s_and_saveexec_b64 s[36:37], s[4:5]
	s_cbranch_execz .LBB177_13
; %bb.12:                               ;   in Loop: Header=BB177_9 Depth=1
	v_and_b32_e32 v39, 7, v23
	v_ffbh_u32_e32 v42, v39
	v_min_u32_e32 v45, 32, v42
	v_subrev_u32_e32 v42, 28, v45
	v_lshlrev_b64 v[42:43], v42, v[23:24]
	v_lshrrev_b32_e32 v44, 3, v41
	v_sub_u32_e32 v23, 29, v45
	v_and_b32_e32 v42, 7, v42
	v_cmp_gt_u32_e64 s[4:5], 8, v41
	v_cndmask_b32_e64 v23, v44, v23, s[4:5]
	v_cndmask_b32_e64 v39, v39, v42, s[4:5]
	v_lshlrev_b32_e32 v40, 24, v40
	v_lshlrev_b32_e32 v39, 20, v39
	v_and_b32_e32 v40, 0x80000000, v40
	v_lshl_add_u32 v23, v23, 23, v37
	v_or3_b32 v39, v40, v23, v39
.LBB177_13:                             ;   in Loop: Header=BB177_9 Depth=1
	s_or_b64 exec, exec, s[36:37]
.LBB177_14:                             ;   in Loop: Header=BB177_9 Depth=1
	s_or_b64 exec, exec, s[34:35]
.LBB177_15:                             ;   in Loop: Header=BB177_9 Depth=1
	s_or_b64 exec, exec, s[16:17]
	global_load_ubyte v42, v[21:22], off offset:8
	v_mov_b32_e32 v40, 0
	v_mov_b32_e32 v41, 0
	s_waitcnt vmcnt(0)
	v_cmp_ne_u16_e64 s[4:5], 0, v42
	s_and_saveexec_b64 s[16:17], s[4:5]
	s_cbranch_execz .LBB177_21
; %bb.16:                               ;   in Loop: Header=BB177_9 Depth=1
	v_cmp_ne_u16_e64 s[4:5], s41, v42
	v_bfrev_b32_e32 v41, 1
	s_and_saveexec_b64 s[34:35], s[4:5]
	s_cbranch_execz .LBB177_20
; %bb.17:                               ;   in Loop: Header=BB177_9 Depth=1
	v_and_b32_e32 v23, 0xffff, v42
	v_and_b32_e32 v43, 0x7f, v23
	v_cmp_ne_u32_e64 s[4:5], s42, v43
	v_mov_b32_e32 v41, 0x7f800001
	s_and_saveexec_b64 s[36:37], s[4:5]
	s_cbranch_execz .LBB177_19
; %bb.18:                               ;   in Loop: Header=BB177_9 Depth=1
	v_and_b32_e32 v41, 7, v23
	v_ffbh_u32_e32 v44, v41
	v_min_u32_e32 v47, 32, v44
	v_subrev_u32_e32 v44, 28, v47
	v_lshlrev_b64 v[44:45], v44, v[23:24]
	v_lshrrev_b32_e32 v46, 3, v43
	v_sub_u32_e32 v23, 29, v47
	v_and_b32_e32 v44, 7, v44
	v_cmp_gt_u32_e64 s[4:5], 8, v43
	v_cndmask_b32_e64 v23, v46, v23, s[4:5]
	v_cndmask_b32_e64 v41, v41, v44, s[4:5]
	v_lshlrev_b32_e32 v42, 24, v42
	v_lshlrev_b32_e32 v41, 20, v41
	v_and_b32_e32 v42, 0x80000000, v42
	v_lshl_add_u32 v23, v23, 23, v37
	v_or3_b32 v41, v42, v23, v41
.LBB177_19:                             ;   in Loop: Header=BB177_9 Depth=1
	s_or_b64 exec, exec, s[36:37]
.LBB177_20:                             ;   in Loop: Header=BB177_9 Depth=1
	s_or_b64 exec, exec, s[34:35]
.LBB177_21:                             ;   in Loop: Header=BB177_9 Depth=1
	s_or_b64 exec, exec, s[16:17]
	global_load_ubyte v42, v[21:22], off offset:128
	s_waitcnt vmcnt(0)
	v_cmp_ne_u16_e64 s[4:5], 0, v42
	s_and_saveexec_b64 s[16:17], s[4:5]
	s_cbranch_execz .LBB177_27
; %bb.22:                               ;   in Loop: Header=BB177_9 Depth=1
	v_cmp_ne_u16_e64 s[4:5], s41, v42
	v_bfrev_b32_e32 v40, 1
	s_and_saveexec_b64 s[34:35], s[4:5]
	s_cbranch_execz .LBB177_26
; %bb.23:                               ;   in Loop: Header=BB177_9 Depth=1
	v_and_b32_e32 v23, 0xffff, v42
	v_and_b32_e32 v43, 0x7f, v23
	v_cmp_ne_u32_e64 s[4:5], s42, v43
	v_mov_b32_e32 v40, 0x7f800001
	s_and_saveexec_b64 s[36:37], s[4:5]
	s_cbranch_execz .LBB177_25
; %bb.24:                               ;   in Loop: Header=BB177_9 Depth=1
	v_and_b32_e32 v40, 7, v23
	v_ffbh_u32_e32 v44, v40
	v_min_u32_e32 v47, 32, v44
	v_subrev_u32_e32 v44, 28, v47
	v_lshlrev_b64 v[44:45], v44, v[23:24]
	v_lshrrev_b32_e32 v46, 3, v43
	v_sub_u32_e32 v23, 29, v47
	v_and_b32_e32 v44, 7, v44
	v_cmp_gt_u32_e64 s[4:5], 8, v43
	v_cndmask_b32_e64 v23, v46, v23, s[4:5]
	v_cndmask_b32_e64 v40, v40, v44, s[4:5]
	v_lshlrev_b32_e32 v42, 24, v42
	v_lshlrev_b32_e32 v40, 20, v40
	v_and_b32_e32 v42, 0x80000000, v42
	v_lshl_add_u32 v23, v23, 23, v37
	v_or3_b32 v40, v42, v23, v40
.LBB177_25:                             ;   in Loop: Header=BB177_9 Depth=1
	s_or_b64 exec, exec, s[36:37]
.LBB177_26:                             ;   in Loop: Header=BB177_9 Depth=1
	s_or_b64 exec, exec, s[34:35]
.LBB177_27:                             ;   in Loop: Header=BB177_9 Depth=1
	s_or_b64 exec, exec, s[16:17]
	global_load_ubyte v44, v[21:22], off offset:136
	v_mov_b32_e32 v42, 0
	v_mov_b32_e32 v43, 0
	s_waitcnt vmcnt(0)
	v_cmp_ne_u16_e64 s[4:5], 0, v44
	s_and_saveexec_b64 s[16:17], s[4:5]
	s_cbranch_execz .LBB177_33
; %bb.28:                               ;   in Loop: Header=BB177_9 Depth=1
	v_cmp_ne_u16_e64 s[4:5], s41, v44
	v_bfrev_b32_e32 v43, 1
	s_and_saveexec_b64 s[34:35], s[4:5]
	s_cbranch_execz .LBB177_32
; %bb.29:                               ;   in Loop: Header=BB177_9 Depth=1
	v_and_b32_e32 v23, 0xffff, v44
	v_and_b32_e32 v45, 0x7f, v23
	v_cmp_ne_u32_e64 s[4:5], s42, v45
	v_mov_b32_e32 v43, 0x7f800001
	s_and_saveexec_b64 s[36:37], s[4:5]
	s_cbranch_execz .LBB177_31
; %bb.30:                               ;   in Loop: Header=BB177_9 Depth=1
	v_and_b32_e32 v43, 7, v23
	v_ffbh_u32_e32 v46, v43
	v_min_u32_e32 v49, 32, v46
	v_subrev_u32_e32 v46, 28, v49
	v_lshlrev_b64 v[46:47], v46, v[23:24]
	v_lshrrev_b32_e32 v48, 3, v45
	v_sub_u32_e32 v23, 29, v49
	v_and_b32_e32 v46, 7, v46
	v_cmp_gt_u32_e64 s[4:5], 8, v45
	v_cndmask_b32_e64 v23, v48, v23, s[4:5]
	v_cndmask_b32_e64 v43, v43, v46, s[4:5]
	v_lshlrev_b32_e32 v44, 24, v44
	v_lshlrev_b32_e32 v43, 20, v43
	v_and_b32_e32 v44, 0x80000000, v44
	v_lshl_add_u32 v23, v23, 23, v37
	v_or3_b32 v43, v44, v23, v43
.LBB177_31:                             ;   in Loop: Header=BB177_9 Depth=1
	s_or_b64 exec, exec, s[36:37]
.LBB177_32:                             ;   in Loop: Header=BB177_9 Depth=1
	s_or_b64 exec, exec, s[34:35]
.LBB177_33:                             ;   in Loop: Header=BB177_9 Depth=1
	s_or_b64 exec, exec, s[16:17]
	global_load_ubyte v44, v[21:22], off offset:256
	s_waitcnt vmcnt(0)
	v_cmp_ne_u16_e64 s[4:5], 0, v44
	s_and_saveexec_b64 s[16:17], s[4:5]
	s_cbranch_execz .LBB177_39
; %bb.34:                               ;   in Loop: Header=BB177_9 Depth=1
	v_cmp_ne_u16_e64 s[4:5], s41, v44
	v_bfrev_b32_e32 v42, 1
	s_and_saveexec_b64 s[34:35], s[4:5]
	s_cbranch_execz .LBB177_38
; %bb.35:                               ;   in Loop: Header=BB177_9 Depth=1
	v_and_b32_e32 v23, 0xffff, v44
	v_and_b32_e32 v45, 0x7f, v23
	v_cmp_ne_u32_e64 s[4:5], s42, v45
	v_mov_b32_e32 v42, 0x7f800001
	s_and_saveexec_b64 s[36:37], s[4:5]
	s_cbranch_execz .LBB177_37
; %bb.36:                               ;   in Loop: Header=BB177_9 Depth=1
	v_and_b32_e32 v42, 7, v23
	v_ffbh_u32_e32 v46, v42
	v_min_u32_e32 v49, 32, v46
	v_subrev_u32_e32 v46, 28, v49
	v_lshlrev_b64 v[46:47], v46, v[23:24]
	v_lshrrev_b32_e32 v48, 3, v45
	v_sub_u32_e32 v23, 29, v49
	v_and_b32_e32 v46, 7, v46
	v_cmp_gt_u32_e64 s[4:5], 8, v45
	v_cndmask_b32_e64 v23, v48, v23, s[4:5]
	v_cndmask_b32_e64 v42, v42, v46, s[4:5]
	v_lshlrev_b32_e32 v44, 24, v44
	v_lshlrev_b32_e32 v42, 20, v42
	v_and_b32_e32 v44, 0x80000000, v44
	v_lshl_add_u32 v23, v23, 23, v37
	v_or3_b32 v42, v44, v23, v42
.LBB177_37:                             ;   in Loop: Header=BB177_9 Depth=1
	s_or_b64 exec, exec, s[36:37]
.LBB177_38:                             ;   in Loop: Header=BB177_9 Depth=1
	s_or_b64 exec, exec, s[34:35]
.LBB177_39:                             ;   in Loop: Header=BB177_9 Depth=1
	s_or_b64 exec, exec, s[16:17]
	global_load_ubyte v46, v[21:22], off offset:264
	v_mov_b32_e32 v44, 0
	v_mov_b32_e32 v45, 0
	s_waitcnt vmcnt(0)
	v_cmp_ne_u16_e64 s[4:5], 0, v46
	s_and_saveexec_b64 s[16:17], s[4:5]
	s_cbranch_execz .LBB177_45
; %bb.40:                               ;   in Loop: Header=BB177_9 Depth=1
	v_cmp_ne_u16_e64 s[4:5], s41, v46
	v_bfrev_b32_e32 v45, 1
	s_and_saveexec_b64 s[34:35], s[4:5]
	s_cbranch_execz .LBB177_44
; %bb.41:                               ;   in Loop: Header=BB177_9 Depth=1
	v_and_b32_e32 v23, 0xffff, v46
	v_and_b32_e32 v47, 0x7f, v23
	v_cmp_ne_u32_e64 s[4:5], s42, v47
	v_mov_b32_e32 v45, 0x7f800001
	s_and_saveexec_b64 s[36:37], s[4:5]
	s_cbranch_execz .LBB177_43
; %bb.42:                               ;   in Loop: Header=BB177_9 Depth=1
	v_and_b32_e32 v45, 7, v23
	v_ffbh_u32_e32 v48, v45
	v_min_u32_e32 v51, 32, v48
	v_subrev_u32_e32 v48, 28, v51
	v_lshlrev_b64 v[48:49], v48, v[23:24]
	v_lshrrev_b32_e32 v50, 3, v47
	v_sub_u32_e32 v23, 29, v51
	v_and_b32_e32 v48, 7, v48
	v_cmp_gt_u32_e64 s[4:5], 8, v47
	v_cndmask_b32_e64 v23, v50, v23, s[4:5]
	v_cndmask_b32_e64 v45, v45, v48, s[4:5]
	v_lshlrev_b32_e32 v46, 24, v46
	v_lshlrev_b32_e32 v45, 20, v45
	v_and_b32_e32 v46, 0x80000000, v46
	v_lshl_add_u32 v23, v23, 23, v37
	v_or3_b32 v45, v46, v23, v45
.LBB177_43:                             ;   in Loop: Header=BB177_9 Depth=1
	s_or_b64 exec, exec, s[36:37]
.LBB177_44:                             ;   in Loop: Header=BB177_9 Depth=1
	s_or_b64 exec, exec, s[34:35]
.LBB177_45:                             ;   in Loop: Header=BB177_9 Depth=1
	s_or_b64 exec, exec, s[16:17]
	global_load_ubyte v46, v[21:22], off offset:384
	s_waitcnt vmcnt(0)
	v_cmp_ne_u16_e64 s[4:5], 0, v46
	s_and_saveexec_b64 s[16:17], s[4:5]
	s_cbranch_execz .LBB177_51
; %bb.46:                               ;   in Loop: Header=BB177_9 Depth=1
	v_cmp_ne_u16_e64 s[4:5], s41, v46
	v_bfrev_b32_e32 v44, 1
	s_and_saveexec_b64 s[34:35], s[4:5]
	s_cbranch_execz .LBB177_50
; %bb.47:                               ;   in Loop: Header=BB177_9 Depth=1
	v_and_b32_e32 v23, 0xffff, v46
	v_and_b32_e32 v47, 0x7f, v23
	v_cmp_ne_u32_e64 s[4:5], s42, v47
	v_mov_b32_e32 v44, 0x7f800001
	s_and_saveexec_b64 s[36:37], s[4:5]
	s_cbranch_execz .LBB177_49
; %bb.48:                               ;   in Loop: Header=BB177_9 Depth=1
	v_and_b32_e32 v44, 7, v23
	v_ffbh_u32_e32 v48, v44
	v_min_u32_e32 v51, 32, v48
	v_subrev_u32_e32 v48, 28, v51
	v_lshlrev_b64 v[48:49], v48, v[23:24]
	v_lshrrev_b32_e32 v50, 3, v47
	v_sub_u32_e32 v23, 29, v51
	v_and_b32_e32 v48, 7, v48
	v_cmp_gt_u32_e64 s[4:5], 8, v47
	v_cndmask_b32_e64 v23, v50, v23, s[4:5]
	v_cndmask_b32_e64 v44, v44, v48, s[4:5]
	v_lshlrev_b32_e32 v46, 24, v46
	v_lshlrev_b32_e32 v44, 20, v44
	v_and_b32_e32 v46, 0x80000000, v46
	v_lshl_add_u32 v23, v23, 23, v37
	v_or3_b32 v44, v46, v23, v44
.LBB177_49:                             ;   in Loop: Header=BB177_9 Depth=1
	s_or_b64 exec, exec, s[36:37]
.LBB177_50:                             ;   in Loop: Header=BB177_9 Depth=1
	s_or_b64 exec, exec, s[34:35]
.LBB177_51:                             ;   in Loop: Header=BB177_9 Depth=1
	s_or_b64 exec, exec, s[16:17]
	global_load_ubyte v48, v[21:22], off offset:392
	v_mov_b32_e32 v46, 0
	v_mov_b32_e32 v47, 0
	s_waitcnt vmcnt(0)
	v_cmp_ne_u16_e64 s[4:5], 0, v48
	s_and_saveexec_b64 s[16:17], s[4:5]
	s_cbranch_execz .LBB177_57
; %bb.52:                               ;   in Loop: Header=BB177_9 Depth=1
	v_cmp_ne_u16_e64 s[4:5], s41, v48
	v_bfrev_b32_e32 v47, 1
	s_and_saveexec_b64 s[34:35], s[4:5]
	s_cbranch_execz .LBB177_56
; %bb.53:                               ;   in Loop: Header=BB177_9 Depth=1
	v_and_b32_e32 v23, 0xffff, v48
	v_and_b32_e32 v49, 0x7f, v23
	v_cmp_ne_u32_e64 s[4:5], s42, v49
	v_mov_b32_e32 v47, 0x7f800001
	s_and_saveexec_b64 s[36:37], s[4:5]
	s_cbranch_execz .LBB177_55
; %bb.54:                               ;   in Loop: Header=BB177_9 Depth=1
	v_and_b32_e32 v47, 7, v23
	v_ffbh_u32_e32 v50, v47
	v_min_u32_e32 v53, 32, v50
	v_subrev_u32_e32 v50, 28, v53
	v_lshlrev_b64 v[50:51], v50, v[23:24]
	v_lshrrev_b32_e32 v52, 3, v49
	v_sub_u32_e32 v23, 29, v53
	v_and_b32_e32 v50, 7, v50
	v_cmp_gt_u32_e64 s[4:5], 8, v49
	v_cndmask_b32_e64 v23, v52, v23, s[4:5]
	v_cndmask_b32_e64 v47, v47, v50, s[4:5]
	v_lshlrev_b32_e32 v48, 24, v48
	v_lshlrev_b32_e32 v47, 20, v47
	v_and_b32_e32 v48, 0x80000000, v48
	v_lshl_add_u32 v23, v23, 23, v37
	v_or3_b32 v47, v48, v23, v47
.LBB177_55:                             ;   in Loop: Header=BB177_9 Depth=1
	s_or_b64 exec, exec, s[36:37]
.LBB177_56:                             ;   in Loop: Header=BB177_9 Depth=1
	s_or_b64 exec, exec, s[34:35]
.LBB177_57:                             ;   in Loop: Header=BB177_9 Depth=1
	s_or_b64 exec, exec, s[16:17]
	global_load_ubyte v48, v[21:22], off offset:512
	s_waitcnt vmcnt(0)
	v_cmp_ne_u16_e64 s[4:5], 0, v48
	s_and_saveexec_b64 s[16:17], s[4:5]
	s_cbranch_execz .LBB177_63
; %bb.58:                               ;   in Loop: Header=BB177_9 Depth=1
	v_cmp_ne_u16_e64 s[4:5], s41, v48
	v_bfrev_b32_e32 v46, 1
	s_and_saveexec_b64 s[34:35], s[4:5]
	s_cbranch_execz .LBB177_62
; %bb.59:                               ;   in Loop: Header=BB177_9 Depth=1
	v_and_b32_e32 v23, 0xffff, v48
	v_and_b32_e32 v49, 0x7f, v23
	v_cmp_ne_u32_e64 s[4:5], s42, v49
	v_mov_b32_e32 v46, 0x7f800001
	s_and_saveexec_b64 s[36:37], s[4:5]
	s_cbranch_execz .LBB177_61
; %bb.60:                               ;   in Loop: Header=BB177_9 Depth=1
	v_and_b32_e32 v46, 7, v23
	v_ffbh_u32_e32 v50, v46
	v_min_u32_e32 v53, 32, v50
	v_subrev_u32_e32 v50, 28, v53
	v_lshlrev_b64 v[50:51], v50, v[23:24]
	v_lshrrev_b32_e32 v52, 3, v49
	v_sub_u32_e32 v23, 29, v53
	v_and_b32_e32 v50, 7, v50
	v_cmp_gt_u32_e64 s[4:5], 8, v49
	v_cndmask_b32_e64 v23, v52, v23, s[4:5]
	v_cndmask_b32_e64 v46, v46, v50, s[4:5]
	v_lshlrev_b32_e32 v48, 24, v48
	v_lshlrev_b32_e32 v46, 20, v46
	v_and_b32_e32 v48, 0x80000000, v48
	v_lshl_add_u32 v23, v23, 23, v37
	v_or3_b32 v46, v48, v23, v46
.LBB177_61:                             ;   in Loop: Header=BB177_9 Depth=1
	s_or_b64 exec, exec, s[36:37]
.LBB177_62:                             ;   in Loop: Header=BB177_9 Depth=1
	s_or_b64 exec, exec, s[34:35]
.LBB177_63:                             ;   in Loop: Header=BB177_9 Depth=1
	s_or_b64 exec, exec, s[16:17]
	global_load_ubyte v50, v[21:22], off offset:520
	v_mov_b32_e32 v48, 0
	v_mov_b32_e32 v49, 0
	s_waitcnt vmcnt(0)
	v_cmp_ne_u16_e64 s[4:5], 0, v50
	s_and_saveexec_b64 s[16:17], s[4:5]
	s_cbranch_execz .LBB177_69
; %bb.64:                               ;   in Loop: Header=BB177_9 Depth=1
	v_cmp_ne_u16_e64 s[4:5], s41, v50
	v_bfrev_b32_e32 v49, 1
	s_and_saveexec_b64 s[34:35], s[4:5]
	s_cbranch_execz .LBB177_68
; %bb.65:                               ;   in Loop: Header=BB177_9 Depth=1
	v_and_b32_e32 v23, 0xffff, v50
	v_and_b32_e32 v51, 0x7f, v23
	v_cmp_ne_u32_e64 s[4:5], s42, v51
	v_mov_b32_e32 v49, 0x7f800001
	s_and_saveexec_b64 s[36:37], s[4:5]
	s_cbranch_execz .LBB177_67
; %bb.66:                               ;   in Loop: Header=BB177_9 Depth=1
	v_and_b32_e32 v49, 7, v23
	v_ffbh_u32_e32 v52, v49
	v_min_u32_e32 v55, 32, v52
	v_subrev_u32_e32 v52, 28, v55
	v_lshlrev_b64 v[52:53], v52, v[23:24]
	v_lshrrev_b32_e32 v54, 3, v51
	v_sub_u32_e32 v23, 29, v55
	v_and_b32_e32 v52, 7, v52
	v_cmp_gt_u32_e64 s[4:5], 8, v51
	v_cndmask_b32_e64 v23, v54, v23, s[4:5]
	v_cndmask_b32_e64 v49, v49, v52, s[4:5]
	v_lshlrev_b32_e32 v50, 24, v50
	v_lshlrev_b32_e32 v49, 20, v49
	v_and_b32_e32 v50, 0x80000000, v50
	v_lshl_add_u32 v23, v23, 23, v37
	v_or3_b32 v49, v50, v23, v49
.LBB177_67:                             ;   in Loop: Header=BB177_9 Depth=1
	s_or_b64 exec, exec, s[36:37]
.LBB177_68:                             ;   in Loop: Header=BB177_9 Depth=1
	s_or_b64 exec, exec, s[34:35]
.LBB177_69:                             ;   in Loop: Header=BB177_9 Depth=1
	s_or_b64 exec, exec, s[16:17]
	global_load_ubyte v50, v[21:22], off offset:640
	s_waitcnt vmcnt(0)
	v_cmp_ne_u16_e64 s[4:5], 0, v50
	s_and_saveexec_b64 s[16:17], s[4:5]
	s_cbranch_execz .LBB177_75
; %bb.70:                               ;   in Loop: Header=BB177_9 Depth=1
	v_cmp_ne_u16_e64 s[4:5], s41, v50
	v_bfrev_b32_e32 v48, 1
	s_and_saveexec_b64 s[34:35], s[4:5]
	s_cbranch_execz .LBB177_74
; %bb.71:                               ;   in Loop: Header=BB177_9 Depth=1
	v_and_b32_e32 v23, 0xffff, v50
	v_and_b32_e32 v51, 0x7f, v23
	v_cmp_ne_u32_e64 s[4:5], s42, v51
	v_mov_b32_e32 v48, 0x7f800001
	s_and_saveexec_b64 s[36:37], s[4:5]
	s_cbranch_execz .LBB177_73
; %bb.72:                               ;   in Loop: Header=BB177_9 Depth=1
	v_and_b32_e32 v48, 7, v23
	v_ffbh_u32_e32 v52, v48
	v_min_u32_e32 v55, 32, v52
	v_subrev_u32_e32 v52, 28, v55
	v_lshlrev_b64 v[52:53], v52, v[23:24]
	v_lshrrev_b32_e32 v54, 3, v51
	v_sub_u32_e32 v23, 29, v55
	v_and_b32_e32 v52, 7, v52
	v_cmp_gt_u32_e64 s[4:5], 8, v51
	v_cndmask_b32_e64 v23, v54, v23, s[4:5]
	v_cndmask_b32_e64 v48, v48, v52, s[4:5]
	v_lshlrev_b32_e32 v50, 24, v50
	v_lshlrev_b32_e32 v48, 20, v48
	v_and_b32_e32 v50, 0x80000000, v50
	v_lshl_add_u32 v23, v23, 23, v37
	v_or3_b32 v48, v50, v23, v48
.LBB177_73:                             ;   in Loop: Header=BB177_9 Depth=1
	s_or_b64 exec, exec, s[36:37]
.LBB177_74:                             ;   in Loop: Header=BB177_9 Depth=1
	s_or_b64 exec, exec, s[34:35]
.LBB177_75:                             ;   in Loop: Header=BB177_9 Depth=1
	s_or_b64 exec, exec, s[16:17]
	global_load_ubyte v52, v[21:22], off offset:648
	v_mov_b32_e32 v50, 0
	v_mov_b32_e32 v51, 0
	s_waitcnt vmcnt(0)
	v_cmp_ne_u16_e64 s[4:5], 0, v52
	s_and_saveexec_b64 s[16:17], s[4:5]
	s_cbranch_execz .LBB177_81
; %bb.76:                               ;   in Loop: Header=BB177_9 Depth=1
	v_cmp_ne_u16_e64 s[4:5], s41, v52
	v_bfrev_b32_e32 v51, 1
	s_and_saveexec_b64 s[34:35], s[4:5]
	s_cbranch_execz .LBB177_80
; %bb.77:                               ;   in Loop: Header=BB177_9 Depth=1
	v_and_b32_e32 v23, 0xffff, v52
	v_and_b32_e32 v53, 0x7f, v23
	v_cmp_ne_u32_e64 s[4:5], s42, v53
	v_mov_b32_e32 v51, 0x7f800001
	s_and_saveexec_b64 s[36:37], s[4:5]
	s_cbranch_execz .LBB177_79
; %bb.78:                               ;   in Loop: Header=BB177_9 Depth=1
	v_and_b32_e32 v51, 7, v23
	v_ffbh_u32_e32 v54, v51
	v_min_u32_e32 v57, 32, v54
	v_subrev_u32_e32 v54, 28, v57
	v_lshlrev_b64 v[54:55], v54, v[23:24]
	v_lshrrev_b32_e32 v56, 3, v53
	v_sub_u32_e32 v23, 29, v57
	v_and_b32_e32 v54, 7, v54
	v_cmp_gt_u32_e64 s[4:5], 8, v53
	v_cndmask_b32_e64 v23, v56, v23, s[4:5]
	v_cndmask_b32_e64 v51, v51, v54, s[4:5]
	v_lshlrev_b32_e32 v52, 24, v52
	v_lshlrev_b32_e32 v51, 20, v51
	v_and_b32_e32 v52, 0x80000000, v52
	v_lshl_add_u32 v23, v23, 23, v37
	v_or3_b32 v51, v52, v23, v51
.LBB177_79:                             ;   in Loop: Header=BB177_9 Depth=1
	s_or_b64 exec, exec, s[36:37]
.LBB177_80:                             ;   in Loop: Header=BB177_9 Depth=1
	s_or_b64 exec, exec, s[34:35]
.LBB177_81:                             ;   in Loop: Header=BB177_9 Depth=1
	s_or_b64 exec, exec, s[16:17]
	global_load_ubyte v52, v[21:22], off offset:768
	s_waitcnt vmcnt(0)
	v_cmp_ne_u16_e64 s[4:5], 0, v52
	s_and_saveexec_b64 s[16:17], s[4:5]
	s_cbranch_execz .LBB177_87
; %bb.82:                               ;   in Loop: Header=BB177_9 Depth=1
	v_cmp_ne_u16_e64 s[4:5], s41, v52
	v_bfrev_b32_e32 v50, 1
	s_and_saveexec_b64 s[34:35], s[4:5]
	s_cbranch_execz .LBB177_86
; %bb.83:                               ;   in Loop: Header=BB177_9 Depth=1
	v_and_b32_e32 v23, 0xffff, v52
	v_and_b32_e32 v53, 0x7f, v23
	v_cmp_ne_u32_e64 s[4:5], s42, v53
	v_mov_b32_e32 v50, 0x7f800001
	s_and_saveexec_b64 s[36:37], s[4:5]
	s_cbranch_execz .LBB177_85
; %bb.84:                               ;   in Loop: Header=BB177_9 Depth=1
	v_and_b32_e32 v50, 7, v23
	v_ffbh_u32_e32 v54, v50
	v_min_u32_e32 v57, 32, v54
	v_subrev_u32_e32 v54, 28, v57
	v_lshlrev_b64 v[54:55], v54, v[23:24]
	v_lshrrev_b32_e32 v56, 3, v53
	v_sub_u32_e32 v23, 29, v57
	v_and_b32_e32 v54, 7, v54
	v_cmp_gt_u32_e64 s[4:5], 8, v53
	v_cndmask_b32_e64 v23, v56, v23, s[4:5]
	v_cndmask_b32_e64 v50, v50, v54, s[4:5]
	v_lshlrev_b32_e32 v52, 24, v52
	v_lshlrev_b32_e32 v50, 20, v50
	v_and_b32_e32 v52, 0x80000000, v52
	v_lshl_add_u32 v23, v23, 23, v37
	v_or3_b32 v50, v52, v23, v50
.LBB177_85:                             ;   in Loop: Header=BB177_9 Depth=1
	s_or_b64 exec, exec, s[36:37]
.LBB177_86:                             ;   in Loop: Header=BB177_9 Depth=1
	s_or_b64 exec, exec, s[34:35]
.LBB177_87:                             ;   in Loop: Header=BB177_9 Depth=1
	s_or_b64 exec, exec, s[16:17]
	global_load_ubyte v54, v[21:22], off offset:776
	v_mov_b32_e32 v52, 0
	v_mov_b32_e32 v53, 0
	s_waitcnt vmcnt(0)
	v_cmp_ne_u16_e64 s[4:5], 0, v54
	s_and_saveexec_b64 s[16:17], s[4:5]
	s_cbranch_execz .LBB177_93
; %bb.88:                               ;   in Loop: Header=BB177_9 Depth=1
	v_cmp_ne_u16_e64 s[4:5], s41, v54
	v_bfrev_b32_e32 v53, 1
	s_and_saveexec_b64 s[34:35], s[4:5]
	s_cbranch_execz .LBB177_92
; %bb.89:                               ;   in Loop: Header=BB177_9 Depth=1
	v_and_b32_e32 v23, 0xffff, v54
	v_and_b32_e32 v55, 0x7f, v23
	v_cmp_ne_u32_e64 s[4:5], s42, v55
	v_mov_b32_e32 v53, 0x7f800001
	s_and_saveexec_b64 s[36:37], s[4:5]
	s_cbranch_execz .LBB177_91
; %bb.90:                               ;   in Loop: Header=BB177_9 Depth=1
	v_and_b32_e32 v53, 7, v23
	v_ffbh_u32_e32 v56, v53
	v_min_u32_e32 v59, 32, v56
	v_subrev_u32_e32 v56, 28, v59
	v_lshlrev_b64 v[56:57], v56, v[23:24]
	v_lshrrev_b32_e32 v58, 3, v55
	v_sub_u32_e32 v23, 29, v59
	v_and_b32_e32 v56, 7, v56
	v_cmp_gt_u32_e64 s[4:5], 8, v55
	v_cndmask_b32_e64 v23, v58, v23, s[4:5]
	v_cndmask_b32_e64 v53, v53, v56, s[4:5]
	v_lshlrev_b32_e32 v54, 24, v54
	v_lshlrev_b32_e32 v53, 20, v53
	v_and_b32_e32 v54, 0x80000000, v54
	v_lshl_add_u32 v23, v23, 23, v37
	v_or3_b32 v53, v54, v23, v53
.LBB177_91:                             ;   in Loop: Header=BB177_9 Depth=1
	s_or_b64 exec, exec, s[36:37]
.LBB177_92:                             ;   in Loop: Header=BB177_9 Depth=1
	s_or_b64 exec, exec, s[34:35]
.LBB177_93:                             ;   in Loop: Header=BB177_9 Depth=1
	s_or_b64 exec, exec, s[16:17]
	global_load_ubyte v54, v[21:22], off offset:896
	s_waitcnt vmcnt(0)
	v_cmp_ne_u16_e64 s[4:5], 0, v54
	s_and_saveexec_b64 s[16:17], s[4:5]
	s_cbranch_execz .LBB177_99
; %bb.94:                               ;   in Loop: Header=BB177_9 Depth=1
	v_cmp_ne_u16_e64 s[4:5], s41, v54
	v_bfrev_b32_e32 v52, 1
	s_and_saveexec_b64 s[34:35], s[4:5]
	s_cbranch_execz .LBB177_98
; %bb.95:                               ;   in Loop: Header=BB177_9 Depth=1
	v_and_b32_e32 v23, 0xffff, v54
	v_and_b32_e32 v55, 0x7f, v23
	v_cmp_ne_u32_e64 s[4:5], s42, v55
	v_mov_b32_e32 v52, 0x7f800001
	s_and_saveexec_b64 s[36:37], s[4:5]
	s_cbranch_execz .LBB177_97
; %bb.96:                               ;   in Loop: Header=BB177_9 Depth=1
	v_and_b32_e32 v52, 7, v23
	v_ffbh_u32_e32 v56, v52
	v_min_u32_e32 v59, 32, v56
	v_subrev_u32_e32 v56, 28, v59
	v_lshlrev_b64 v[56:57], v56, v[23:24]
	v_lshrrev_b32_e32 v58, 3, v55
	v_sub_u32_e32 v23, 29, v59
	v_and_b32_e32 v56, 7, v56
	v_cmp_gt_u32_e64 s[4:5], 8, v55
	v_cndmask_b32_e64 v23, v58, v23, s[4:5]
	v_cndmask_b32_e64 v52, v52, v56, s[4:5]
	v_lshlrev_b32_e32 v54, 24, v54
	v_lshlrev_b32_e32 v52, 20, v52
	v_and_b32_e32 v54, 0x80000000, v54
	v_lshl_add_u32 v23, v23, 23, v37
	v_or3_b32 v52, v54, v23, v52
.LBB177_97:                             ;   in Loop: Header=BB177_9 Depth=1
	s_or_b64 exec, exec, s[36:37]
.LBB177_98:                             ;   in Loop: Header=BB177_9 Depth=1
	s_or_b64 exec, exec, s[34:35]
.LBB177_99:                             ;   in Loop: Header=BB177_9 Depth=1
	s_or_b64 exec, exec, s[16:17]
	global_load_ubyte v23, v[21:22], off offset:904
	v_mov_b32_e32 v22, 0
	s_waitcnt vmcnt(0)
	v_cmp_ne_u16_e64 s[4:5], 0, v23
	s_and_saveexec_b64 s[16:17], s[4:5]
	s_cbranch_execz .LBB177_105
; %bb.100:                              ;   in Loop: Header=BB177_9 Depth=1
	v_cmp_ne_u16_e64 s[4:5], s41, v23
	v_bfrev_b32_e32 v22, 1
	s_and_saveexec_b64 s[34:35], s[4:5]
	s_cbranch_execz .LBB177_104
; %bb.101:                              ;   in Loop: Header=BB177_9 Depth=1
	v_and_b32_e32 v21, 0xffff, v23
	v_and_b32_e32 v54, 0x7f, v21
	v_cmp_ne_u32_e64 s[4:5], s42, v54
	v_mov_b32_e32 v22, 0x7f800001
	s_and_saveexec_b64 s[36:37], s[4:5]
	s_cbranch_execz .LBB177_103
; %bb.102:                              ;   in Loop: Header=BB177_9 Depth=1
	v_and_b32_e32 v55, 7, v21
	v_ffbh_u32_e32 v22, v55
	v_min_u32_e32 v57, 32, v22
	v_subrev_u32_e32 v22, 28, v57
	v_lshlrev_b64 v[21:22], v22, v[21:22]
	v_lshrrev_b32_e32 v56, 3, v54
	v_sub_u32_e32 v22, 29, v57
	v_and_b32_e32 v21, 7, v21
	v_cmp_gt_u32_e64 s[4:5], 8, v54
	v_cndmask_b32_e64 v22, v56, v22, s[4:5]
	v_cndmask_b32_e64 v21, v55, v21, s[4:5]
	v_lshlrev_b32_e32 v23, 24, v23
	v_lshlrev_b32_e32 v21, 20, v21
	v_and_b32_e32 v23, 0x80000000, v23
	v_lshl_add_u32 v22, v22, 23, v37
	v_or3_b32 v22, v23, v22, v21
.LBB177_103:                            ;   in Loop: Header=BB177_9 Depth=1
	s_or_b64 exec, exec, s[36:37]
.LBB177_104:                            ;   in Loop: Header=BB177_9 Depth=1
	s_or_b64 exec, exec, s[34:35]
.LBB177_105:                            ;   in Loop: Header=BB177_9 Depth=1
	s_or_b64 exec, exec, s[16:17]
	s_waitcnt lgkmcnt(0)
	v_mul_f32_e32 v41, s39, v41
	v_mul_f32_e32 v39, s39, v39
	;; [unrolled: 1-line block ×4, first 2 shown]
	v_fmac_f32_e32 v41, v1, v39
	v_mul_f32_e32 v43, s39, v43
	v_fmac_f32_e32 v41, v3, v40
	v_mul_f32_e32 v42, s39, v42
	;; [unrolled: 2-line block ×13, first 2 shown]
	v_fmac_f32_e32 v41, v15, v21
	v_fmac_f32_e32 v41, v16, v22
	ds_bpermute_b32 v21, v28, v41
	s_waitcnt lgkmcnt(0)
	v_add_f32_e32 v21, v41, v21
	ds_bpermute_b32 v22, v33, v21
	s_waitcnt lgkmcnt(0)
	v_add_f32_e32 v21, v21, v22
	ds_bpermute_b32 v22, v34, v21
	s_and_saveexec_b64 s[16:17], vcc
	s_cbranch_execz .LBB177_8
; %bb.106:                              ;   in Loop: Header=BB177_9 Depth=1
	v_add_u32_e32 v23, s40, v35
	v_cvt_f32_i32_e32 v23, v23
	s_waitcnt lgkmcnt(0)
	v_add_f32_e32 v21, v21, v22
	v_cmp_gt_i32_e64 s[4:5], s30, v35
	v_max_f32_e32 v22, v26, v26
	v_mul_f32_e32 v23, s33, v23
	v_cndmask_b32_e64 v23, 0, v23, s[2:3]
	v_fmac_f32_e32 v23, s31, v21
	v_cndmask_b32_e64 v21, 0, v23, s[4:5]
	ds_write_b32 v36, v21
	v_max_f32_e32 v21, v22, v23
	v_cndmask_b32_e64 v26, v26, v21, s[4:5]
	s_branch .LBB177_8
.LBB177_107:
	s_or_b64 exec, exec, s[14:15]
.LBB177_108:
	s_or_b64 exec, exec, s[6:7]
	v_xor_b32_e32 v1, 32, v30
	v_cmp_lt_i32_e32 vcc, v1, v31
	v_cndmask_b32_e32 v1, v30, v1, vcc
	v_lshlrev_b32_e32 v2, 2, v1
	ds_bpermute_b32 v1, v2, v26
	v_xor_b32_e32 v4, 16, v30
	v_max_f32_e32 v3, v26, v26
	v_cmp_lt_i32_e32 vcc, v4, v31
	v_xor_b32_e32 v5, 8, v30
	s_waitcnt lgkmcnt(0)
	v_max_f32_e32 v1, v1, v1
	v_max_f32_e32 v1, v3, v1
	v_cndmask_b32_e32 v3, v30, v4, vcc
	v_lshlrev_b32_e32 v4, 2, v3
	ds_bpermute_b32 v3, v4, v1
	v_cmp_lt_i32_e32 vcc, v5, v31
	v_and_b32_e32 v26, 63, v0
	s_waitcnt lgkmcnt(0)
	v_max_f32_e32 v3, v3, v3
	v_max_f32_e32 v3, v1, v3
	v_cndmask_b32_e32 v1, v30, v5, vcc
	v_lshlrev_b32_e32 v5, 2, v1
	ds_bpermute_b32 v6, v5, v3
	v_cmp_eq_u32_e32 vcc, 0, v26
	v_lshlrev_b32_e32 v1, 2, v25
	s_and_saveexec_b64 s[2:3], vcc
	s_cbranch_execz .LBB177_110
; %bb.109:
	s_waitcnt lgkmcnt(0)
	v_max_f32_e32 v6, v6, v6
	v_max_f32_e32 v3, v3, v3
	;; [unrolled: 1-line block ×3, first 2 shown]
	ds_write_b32 v1, v3 offset:512
.LBB177_110:
	s_or_b64 exec, exec, s[2:3]
	v_cmp_gt_u32_e64 s[2:3], 2, v26
	s_waitcnt lgkmcnt(0)
	v_mov_b32_e32 v6, 0xff7fffff
	v_lshlrev_b32_e32 v3, 2, v26
	s_barrier
	s_and_saveexec_b64 s[4:5], s[2:3]
; %bb.111:
	ds_read_b32 v6, v3 offset:512
; %bb.112:
	s_or_b64 exec, exec, s[4:5]
	v_xor_b32_e32 v7, 1, v30
	v_cmp_lt_i32_e64 s[4:5], v7, v31
	v_cndmask_b32_e64 v7, v30, v7, s[4:5]
	v_lshlrev_b32_e32 v28, 2, v7
	s_waitcnt lgkmcnt(0)
	ds_bpermute_b32 v7, v28, v6
	v_max_f32_e32 v6, v6, v6
	s_lshl_b32 s4, s21, 3
	s_min_i32 s31, s4, s30
	v_cmp_gt_i32_e64 s[4:5], s31, v0
	s_waitcnt lgkmcnt(0)
	v_max_f32_e32 v7, v7, v7
	v_max_f32_e32 v6, v6, v7
	v_lshlrev_b32_e32 v7, 2, v32
	ds_bpermute_b32 v7, v7, v6
	v_mov_b32_e32 v6, 0
	s_and_saveexec_b64 s[14:15], s[4:5]
	s_cbranch_execz .LBB177_116
; %bb.113:
	v_mov_b32_e32 v6, 0x210
	v_lshl_add_u32 v8, v0, 2, v6
	v_mov_b32_e32 v6, 0
	s_mov_b64 s[16:17], 0
	v_mov_b32_e32 v9, v0
.LBB177_114:                            ; =>This Inner Loop Header: Depth=1
	ds_read_b32 v10, v8
	v_add_u32_e32 v9, 0x80, v9
	v_cmp_le_i32_e64 s[6:7], s31, v9
	s_or_b64 s[16:17], s[6:7], s[16:17]
	s_waitcnt lgkmcnt(0)
	v_sub_f32_e32 v10, v10, v7
	v_mul_f32_e32 v10, 0x3fb8aa3b, v10
	v_exp_f32_e32 v10, v10
	ds_write_b32 v8, v10
	v_add_f32_e32 v6, v6, v10
	v_add_u32_e32 v8, 0x200, v8
	s_andn2_b64 exec, exec, s[16:17]
	s_cbranch_execnz .LBB177_114
; %bb.115:
	s_or_b64 exec, exec, s[16:17]
.LBB177_116:
	s_or_b64 exec, exec, s[14:15]
	ds_bpermute_b32 v2, v2, v6
	s_waitcnt lgkmcnt(0)
	v_add_f32_e32 v2, v6, v2
	ds_bpermute_b32 v4, v4, v2
	s_waitcnt lgkmcnt(0)
	v_add_f32_e32 v2, v2, v4
	ds_bpermute_b32 v4, v5, v2
	v_xor_b32_e32 v5, 4, v30
	v_cmp_lt_i32_e64 s[6:7], v5, v31
	v_cndmask_b32_e64 v5, v30, v5, s[6:7]
	v_lshlrev_b32_e32 v5, 2, v5
	s_waitcnt lgkmcnt(0)
	v_add_f32_e32 v2, v2, v4
	ds_bpermute_b32 v4, v5, v2
	v_xor_b32_e32 v5, 2, v30
	v_cmp_lt_i32_e64 s[6:7], v5, v31
	v_cndmask_b32_e64 v5, v30, v5, s[6:7]
	s_waitcnt lgkmcnt(0)
	v_add_f32_e32 v2, v2, v4
	v_lshlrev_b32_e32 v4, 2, v5
	ds_bpermute_b32 v4, v4, v2
	s_waitcnt lgkmcnt(0)
	v_add_f32_e32 v2, v2, v4
	ds_bpermute_b32 v4, v28, v2
	s_waitcnt lgkmcnt(0)
	v_add_f32_e32 v2, v2, v4
	s_and_saveexec_b64 s[6:7], vcc
; %bb.117:
	ds_write_b32 v1, v2 offset:520
; %bb.118:
	s_or_b64 exec, exec, s[6:7]
	s_waitcnt lgkmcnt(0)
	s_barrier
	s_and_saveexec_b64 s[6:7], s[2:3]
; %bb.119:
	ds_read_b32 v2, v3 offset:520
; %bb.120:
	s_or_b64 exec, exec, s[6:7]
	s_waitcnt lgkmcnt(0)
	ds_bpermute_b32 v1, v28, v2
	v_lshlrev_b32_e32 v3, 2, v30
	s_waitcnt lgkmcnt(0)
	v_add_f32_e32 v1, v2, v1
	v_and_b32_e32 v2, 0xffffff00, v3
	ds_bpermute_b32 v1, v2, v1
	s_and_saveexec_b64 s[2:3], s[4:5]
	s_cbranch_execz .LBB177_123
; %bb.121:
	s_waitcnt lgkmcnt(0)
	v_add_f32_e32 v2, 0x358637bd, v1
	v_div_scale_f32 v1, s[4:5], v2, v2, 1.0
	v_div_scale_f32 v3, vcc, 1.0, v2, 1.0
	s_mov_b64 s[4:5], 0
	v_rcp_f32_e32 v4, v1
	v_fma_f32 v5, -v1, v4, 1.0
	v_fmac_f32_e32 v4, v5, v4
	v_mul_f32_e32 v5, v3, v4
	v_fma_f32 v6, -v1, v5, v3
	v_fmac_f32_e32 v5, v6, v4
	v_fma_f32 v1, -v1, v5, v3
	v_div_fmas_f32 v3, v1, v4, v5
	v_mov_b32_e32 v1, 0x210
	v_lshl_add_u32 v1, v0, 2, v1
	v_div_fixup_f32 v2, v3, v2, 1.0
	v_mov_b32_e32 v3, v0
.LBB177_122:                            ; =>This Inner Loop Header: Depth=1
	ds_read_b32 v4, v1
	v_add_u32_e32 v3, 0x80, v3
	v_cmp_le_i32_e32 vcc, s31, v3
	s_or_b64 s[4:5], vcc, s[4:5]
	s_waitcnt lgkmcnt(0)
	v_mul_f32_e32 v4, v2, v4
	ds_write_b32 v1, v4
	v_add_u32_e32 v1, 0x200, v1
	s_andn2_b64 exec, exec, s[4:5]
	s_cbranch_execnz .LBB177_122
.LBB177_123:
	s_or_b64 exec, exec, s[2:3]
	v_mov_b32_e32 v32, 0
	v_and_b32_e32 v30, 1, v0
	v_mov_b32_e32 v34, 0
	v_mov_b32_e32 v33, 0
	;; [unrolled: 1-line block ×3, first 2 shown]
	s_waitcnt lgkmcnt(0)
	s_barrier
	s_and_saveexec_b64 s[2:3], s[0:1]
	s_cbranch_execz .LBB177_231
; %bb.124:
	s_ashr_i32 s0, s12, 31
	s_add_u32 s1, s28, s12
	v_and_b32_e32 v2, 0xfc, v27
	v_and_b32_e32 v1, 4, v27
	s_load_dword s17, s[18:19], 0x0
	s_addc_u32 s0, s29, s0
	v_add_co_u32_e32 v7, vcc, s1, v2
	v_lshlrev_b32_e32 v2, 3, v25
	s_add_i32 s19, s21, -1
	v_mov_b32_e32 v3, s0
	v_or3_b32 v27, v2, v1, 3
	v_lshlrev_b32_e32 v1, 4, v30
	s_lshl_b64 s[0:1], s[26:27], 2
	v_lshl_or_b32 v1, v25, 5, v1
	s_add_u32 s0, s24, s0
	v_addc_co_u32_e32 v8, vcc, 0, v3, vcc
	v_add_u32_e32 v35, 0x210, v1
	v_and_b32_e32 v1, 60, v29
	s_addc_u32 s1, s25, s1
	v_mov_b32_e32 v5, 0
	v_mov_b32_e32 v2, s1
	v_add_co_u32_e32 v9, vcc, s0, v1
	s_mov_b32 s16, s13
	s_waitcnt lgkmcnt(0)
	s_mov_b32 s18, s17
	v_addc_co_u32_e32 v10, vcc, 0, v2, vcc
	s_mov_b64 s[4:5], 0
	s_movk_i32 s24, 0x80
	s_movk_i32 s25, 0x7f
	s_brev_b32 s26, 1
	s_mov_b32 s27, 0xffffff
	v_bfrev_b32_e32 v29, 60
	v_bfrev_b32_e32 v6, 1
	v_mov_b32_e32 v12, 0x7f800001
	v_mov_b32_e32 v36, 7
	;; [unrolled: 1-line block ×7, first 2 shown]
	s_branch .LBB177_126
.LBB177_125:                            ;   in Loop: Header=BB177_126 Depth=1
	s_or_b64 exec, exec, s[0:1]
	s_waitcnt lgkmcnt(0)
	v_mul_f32_e32 v16, v1, v50
	v_fmac_f32_e32 v16, v2, v49
	v_fmac_f32_e32 v16, v3, v23
	;; [unrolled: 1-line block ×3, first 2 shown]
	v_add_f32_e32 v33, v33, v16
	v_mul_f32_e32 v16, v1, v48
	v_fmac_f32_e32 v16, v2, v45
	v_fmac_f32_e32 v16, v3, v47
	;; [unrolled: 1-line block ×3, first 2 shown]
	v_add_f32_e32 v34, v34, v16
	v_mul_f32_e32 v16, v1, v41
	v_mul_f32_e32 v1, v1, v15
	v_fmac_f32_e32 v16, v2, v38
	v_fmac_f32_e32 v1, v2, v11
	v_add_u32_e32 v25, 2, v25
	v_fmac_f32_e32 v16, v3, v40
	v_fmac_f32_e32 v1, v3, v14
	v_cmp_le_i32_e32 vcc, s21, v25
	v_fmac_f32_e32 v16, v4, v39
	v_fmac_f32_e32 v1, v4, v13
	s_or_b64 s[4:5], vcc, s[4:5]
	v_add_co_u32_e32 v9, vcc, 8, v9
	v_add_f32_e32 v32, v32, v16
	v_add_f32_e32 v31, v31, v1
	v_add_u32_e32 v27, 16, v27
	v_add_u32_e32 v35, 64, v35
	v_addc_co_u32_e32 v10, vcc, 0, v10, vcc
	s_andn2_b64 exec, exec, s[4:5]
	s_cbranch_execz .LBB177_230
.LBB177_126:                            ; =>This Inner Loop Header: Depth=1
	global_load_dword v1, v[9:10], off
	v_mov_b32_e32 v18, 0
	v_mov_b32_e32 v16, 0
	;; [unrolled: 1-line block ×4, first 2 shown]
	s_waitcnt vmcnt(0)
	v_mad_i64_i32 v[13:14], s[0:1], v1, s16, v[7:8]
	ds_read_b128 v[1:4], v35
	global_load_dword v15, v[13:14], off
	s_waitcnt vmcnt(0)
	v_cmp_ne_u16_sdwa s[6:7], v15, v5 src0_sel:BYTE_0 src1_sel:DWORD
	s_and_saveexec_b64 s[0:1], s[6:7]
	s_cbranch_execz .LBB177_132
; %bb.127:                              ;   in Loop: Header=BB177_126 Depth=1
	v_bfrev_b32_e32 v16, 1
	v_mov_b32_e32 v17, 0
	v_cmp_ne_u16_sdwa s[12:13], v15, s24 src0_sel:BYTE_0 src1_sel:DWORD
	s_and_saveexec_b64 s[6:7], s[12:13]
	s_cbranch_execz .LBB177_131
; %bb.128:                              ;   in Loop: Header=BB177_126 Depth=1
	v_and_b32_e32 v11, 0x7f, v15
	v_mov_b32_e32 v16, 0x7f800001
	v_mov_b32_e32 v17, 0
	v_cmp_ne_u32_e32 vcc, s25, v11
	s_and_saveexec_b64 s[12:13], vcc
	s_cbranch_execz .LBB177_130
; %bb.129:                              ;   in Loop: Header=BB177_126 Depth=1
	v_and_b32_e32 v20, 7, v15
	v_ffbh_u32_e32 v16, v20
	v_min_u32_e32 v22, 32, v16
	v_subrev_u32_e32 v16, 28, v22
	v_lshlrev_b64 v[16:17], v16, v[15:16]
	v_lshrrev_b32_e32 v21, 3, v11
	v_sub_u32_e32 v17, 29, v22
	v_and_b32_e32 v16, 7, v16
	v_cmp_gt_u32_e32 vcc, 8, v11
	v_cndmask_b32_e32 v11, v21, v17, vcc
	v_cndmask_b32_e32 v16, v20, v16, vcc
	v_lshlrev_b32_e32 v16, 20, v16
	v_and_b32_sdwa v17, sext(v15), s26 dst_sel:DWORD dst_unused:UNUSED_PAD src0_sel:BYTE_0 src1_sel:DWORD
	v_lshl_add_u32 v11, v11, 23, v29
	v_or3_b32 v16, v17, v11, v16
	v_mov_b32_e32 v17, v5
.LBB177_130:                            ;   in Loop: Header=BB177_126 Depth=1
	s_or_b64 exec, exec, s[12:13]
.LBB177_131:                            ;   in Loop: Header=BB177_126 Depth=1
	s_or_b64 exec, exec, s[6:7]
.LBB177_132:                            ;   in Loop: Header=BB177_126 Depth=1
	s_or_b64 exec, exec, s[0:1]
	v_cmp_ne_u16_sdwa s[6:7], v15, v5 src0_sel:BYTE_1 src1_sel:DWORD
	s_and_saveexec_b64 s[0:1], s[6:7]
	s_cbranch_execz .LBB177_138
; %bb.133:                              ;   in Loop: Header=BB177_126 Depth=1
	v_mov_b32_e32 v19, v6
	v_cmp_ne_u16_sdwa s[12:13], v15, s24 src0_sel:BYTE_1 src1_sel:DWORD
	v_mov_b32_e32 v18, v5
	s_and_saveexec_b64 s[6:7], s[12:13]
	s_cbranch_execz .LBB177_137
; %bb.134:                              ;   in Loop: Header=BB177_126 Depth=1
	v_and_b32_sdwa v20, v15, s25 dst_sel:DWORD dst_unused:UNUSED_PAD src0_sel:BYTE_1 src1_sel:DWORD
	v_mov_b32_e32 v11, v5
	v_mov_b32_e32 v19, v12
	v_cmp_ne_u32_e32 vcc, s25, v20
	v_mov_b32_e32 v18, v11
	s_and_saveexec_b64 s[12:13], vcc
	s_cbranch_execz .LBB177_136
; %bb.135:                              ;   in Loop: Header=BB177_126 Depth=1
	v_and_b32_sdwa v18, v15, v36 dst_sel:DWORD dst_unused:UNUSED_PAD src0_sel:BYTE_1 src1_sel:DWORD
	v_ffbh_u32_e32 v21, v18
	v_min_u32_e32 v23, 32, v21
	v_mov_b32_e32 v19, v5
	v_subrev_u32_e32 v21, 28, v23
	v_lshlrev_b64 v[21:22], v21, v[18:19]
	v_lshrrev_b32_e32 v11, 3, v20
	v_sub_u32_e32 v19, 29, v23
	v_cmp_gt_u32_e32 vcc, 8, v20
	v_and_b32_e32 v21, 7, v21
	v_cndmask_b32_e32 v11, v11, v19, vcc
	v_cndmask_b32_e32 v18, v18, v21, vcc
	v_lshlrev_b32_e32 v19, 16, v15
	v_lshl_add_u32 v11, v11, 23, v29
	v_and_or_b32 v11, v19, s26, v11
	v_lshlrev_b32_e32 v18, 20, v18
	v_or_b32_e32 v19, v11, v18
	v_mov_b32_e32 v18, v5
.LBB177_136:                            ;   in Loop: Header=BB177_126 Depth=1
	s_or_b64 exec, exec, s[12:13]
.LBB177_137:                            ;   in Loop: Header=BB177_126 Depth=1
	s_or_b64 exec, exec, s[6:7]
.LBB177_138:                            ;   in Loop: Header=BB177_126 Depth=1
	s_or_b64 exec, exec, s[0:1]
	v_lshrrev_b32_e32 v11, 16, v15
	v_mov_b32_e32 v22, 0
	v_mov_b32_e32 v20, 0
	;; [unrolled: 1-line block ×4, first 2 shown]
	v_cmp_ne_u16_sdwa s[6:7], v11, v5 src0_sel:BYTE_0 src1_sel:DWORD
	s_and_saveexec_b64 s[0:1], s[6:7]
	s_cbranch_execz .LBB177_144
; %bb.139:                              ;   in Loop: Header=BB177_126 Depth=1
	v_bfrev_b32_e32 v20, 1
	v_mov_b32_e32 v21, 0
	v_cmp_ne_u16_sdwa s[12:13], v11, s24 src0_sel:BYTE_0 src1_sel:DWORD
	s_and_saveexec_b64 s[6:7], s[12:13]
	s_cbranch_execz .LBB177_143
; %bb.140:                              ;   in Loop: Header=BB177_126 Depth=1
	v_bfe_u32 v38, v15, 16, 7
	v_mov_b32_e32 v20, 0x7f800001
	v_mov_b32_e32 v21, 0
	v_cmp_ne_u32_e32 vcc, s25, v38
	s_and_saveexec_b64 s[12:13], vcc
	s_cbranch_execz .LBB177_142
; %bb.141:                              ;   in Loop: Header=BB177_126 Depth=1
	v_and_b32_e32 v39, 7, v11
	v_ffbh_u32_e32 v20, v39
	v_min_u32_e32 v41, 32, v20
	v_subrev_u32_e32 v20, 28, v41
	v_lshlrev_b64 v[20:21], v20, v[11:12]
	v_lshrrev_b32_e32 v40, 3, v38
	v_sub_u32_e32 v21, 29, v41
	v_and_b32_e32 v20, 7, v20
	v_cmp_gt_u32_e32 vcc, 8, v38
	v_cndmask_b32_e32 v21, v40, v21, vcc
	v_cndmask_b32_e32 v20, v39, v20, vcc
	v_lshlrev_b32_e32 v20, 20, v20
	v_and_b32_sdwa v11, sext(v11), s26 dst_sel:DWORD dst_unused:UNUSED_PAD src0_sel:BYTE_0 src1_sel:DWORD
	v_lshl_add_u32 v21, v21, 23, v29
	v_or3_b32 v20, v11, v21, v20
	v_mov_b32_e32 v21, v5
.LBB177_142:                            ;   in Loop: Header=BB177_126 Depth=1
	s_or_b64 exec, exec, s[12:13]
.LBB177_143:                            ;   in Loop: Header=BB177_126 Depth=1
	s_or_b64 exec, exec, s[6:7]
.LBB177_144:                            ;   in Loop: Header=BB177_126 Depth=1
	s_or_b64 exec, exec, s[0:1]
	v_cmp_lt_u32_e32 vcc, s27, v15
	s_and_saveexec_b64 s[0:1], vcc
	s_cbranch_execz .LBB177_150
; %bb.145:                              ;   in Loop: Header=BB177_126 Depth=1
	v_mov_b32_e32 v23, v6
	v_cmp_ne_u32_sdwa s[12:13], v15, s24 src0_sel:BYTE_3 src1_sel:DWORD
	v_mov_b32_e32 v22, v5
	s_and_saveexec_b64 s[6:7], s[12:13]
	s_cbranch_execz .LBB177_149
; %bb.146:                              ;   in Loop: Header=BB177_126 Depth=1
	v_bfe_u32 v38, v15, 24, 7
	v_mov_b32_e32 v11, v5
	v_mov_b32_e32 v23, v12
	v_cmp_ne_u32_e32 vcc, s25, v38
	v_mov_b32_e32 v22, v11
	s_and_saveexec_b64 s[12:13], vcc
	s_cbranch_execz .LBB177_148
; %bb.147:                              ;   in Loop: Header=BB177_126 Depth=1
	v_and_b32_sdwa v22, v15, v36 dst_sel:DWORD dst_unused:UNUSED_PAD src0_sel:BYTE_3 src1_sel:DWORD
	v_ffbh_u32_e32 v39, v22
	v_min_u32_e32 v41, 32, v39
	v_mov_b32_e32 v23, v5
	v_subrev_u32_e32 v39, 28, v41
	v_lshlrev_b64 v[39:40], v39, v[22:23]
	v_lshrrev_b32_e32 v11, 3, v38
	v_sub_u32_e32 v23, 29, v41
	v_cmp_gt_u32_e32 vcc, 8, v38
	v_and_b32_e32 v39, 7, v39
	v_cndmask_b32_e32 v11, v11, v23, vcc
	v_cndmask_b32_e32 v22, v22, v39, vcc
	v_lshlrev_b32_sdwa v15, v37, v15 dst_sel:DWORD dst_unused:UNUSED_PAD src0_sel:DWORD src1_sel:BYTE_3
	v_lshl_add_u32 v11, v11, 23, v29
	v_and_or_b32 v11, v15, s26, v11
	v_lshlrev_b32_e32 v15, 20, v22
	v_or_b32_e32 v23, v11, v15
	v_mov_b32_e32 v22, v5
.LBB177_148:                            ;   in Loop: Header=BB177_126 Depth=1
	s_or_b64 exec, exec, s[12:13]
.LBB177_149:                            ;   in Loop: Header=BB177_126 Depth=1
	s_or_b64 exec, exec, s[6:7]
.LBB177_150:                            ;   in Loop: Header=BB177_126 Depth=1
	s_or_b64 exec, exec, s[0:1]
	v_or_b32_e32 v11, v19, v17
	v_or_b32_e32 v15, v18, v16
	v_mul_f32_e32 v38, s18, v11
	v_mul_f32_e32 v41, s17, v15
	v_or_b32_e32 v11, v23, v21
	v_or_b32_e32 v15, v22, v20
	v_add_u32_e32 v42, -3, v27
	v_cmp_eq_u32_e32 vcc, s19, v25
	v_mul_f32_e32 v40, s17, v15
	v_mul_f32_e32 v39, s18, v11
	v_add_u32_e32 v44, -2, v27
	v_add_u32_e32 v43, -1, v27
	s_and_saveexec_b64 s[6:7], vcc
; %bb.151:                              ;   in Loop: Header=BB177_126 Depth=1
	v_cmp_gt_i32_e64 s[0:1], s30, v42
	v_cndmask_b32_e64 v41, 0, v41, s[0:1]
	v_cmp_gt_i32_e64 s[0:1], s30, v44
	v_cndmask_b32_e64 v38, 0, v38, s[0:1]
	v_cmp_gt_i32_e64 s[0:1], s30, v43
	v_cndmask_b32_e64 v40, 0, v40, s[0:1]
	v_cmp_gt_i32_e64 s[0:1], s30, v27
	v_cndmask_b32_e64 v39, 0, v39, s[0:1]
; %bb.152:                              ;   in Loop: Header=BB177_126 Depth=1
	s_or_b64 exec, exec, s[6:7]
	global_load_dword v15, v[13:14], off offset:256
	v_mov_b32_e32 v18, 0
	v_mov_b32_e32 v16, 0
	;; [unrolled: 1-line block ×4, first 2 shown]
	s_waitcnt vmcnt(0)
	v_cmp_ne_u16_sdwa s[0:1], v15, v5 src0_sel:BYTE_0 src1_sel:DWORD
	s_and_saveexec_b64 s[6:7], s[0:1]
	s_cbranch_execz .LBB177_158
; %bb.153:                              ;   in Loop: Header=BB177_126 Depth=1
	v_bfrev_b32_e32 v16, 1
	v_mov_b32_e32 v17, 0
	v_cmp_ne_u16_sdwa s[0:1], v15, s24 src0_sel:BYTE_0 src1_sel:DWORD
	s_and_saveexec_b64 s[12:13], s[0:1]
	s_cbranch_execz .LBB177_157
; %bb.154:                              ;   in Loop: Header=BB177_126 Depth=1
	v_and_b32_e32 v11, 0x7f, v15
	v_mov_b32_e32 v16, 0x7f800001
	v_mov_b32_e32 v17, 0
	v_cmp_ne_u32_e64 s[0:1], s25, v11
	s_and_saveexec_b64 s[14:15], s[0:1]
	s_cbranch_execz .LBB177_156
; %bb.155:                              ;   in Loop: Header=BB177_126 Depth=1
	v_and_b32_e32 v20, 7, v15
	v_ffbh_u32_e32 v16, v20
	v_min_u32_e32 v22, 32, v16
	v_subrev_u32_e32 v16, 28, v22
	v_lshlrev_b64 v[16:17], v16, v[15:16]
	v_lshrrev_b32_e32 v21, 3, v11
	v_sub_u32_e32 v17, 29, v22
	v_and_b32_e32 v16, 7, v16
	v_cmp_gt_u32_e64 s[0:1], 8, v11
	v_cndmask_b32_e64 v11, v21, v17, s[0:1]
	v_cndmask_b32_e64 v16, v20, v16, s[0:1]
	v_lshlrev_b32_e32 v16, 20, v16
	v_and_b32_sdwa v17, sext(v15), s26 dst_sel:DWORD dst_unused:UNUSED_PAD src0_sel:BYTE_0 src1_sel:DWORD
	v_lshl_add_u32 v11, v11, 23, v29
	v_or3_b32 v16, v17, v11, v16
	v_mov_b32_e32 v17, v5
.LBB177_156:                            ;   in Loop: Header=BB177_126 Depth=1
	s_or_b64 exec, exec, s[14:15]
.LBB177_157:                            ;   in Loop: Header=BB177_126 Depth=1
	s_or_b64 exec, exec, s[12:13]
.LBB177_158:                            ;   in Loop: Header=BB177_126 Depth=1
	s_or_b64 exec, exec, s[6:7]
	v_cmp_ne_u16_sdwa s[0:1], v15, v5 src0_sel:BYTE_1 src1_sel:DWORD
	s_and_saveexec_b64 s[6:7], s[0:1]
	s_cbranch_execz .LBB177_164
; %bb.159:                              ;   in Loop: Header=BB177_126 Depth=1
	v_mov_b32_e32 v19, v6
	v_cmp_ne_u16_sdwa s[0:1], v15, s24 src0_sel:BYTE_1 src1_sel:DWORD
	v_mov_b32_e32 v18, v5
	s_and_saveexec_b64 s[12:13], s[0:1]
	s_cbranch_execz .LBB177_163
; %bb.160:                              ;   in Loop: Header=BB177_126 Depth=1
	v_and_b32_sdwa v20, v15, s25 dst_sel:DWORD dst_unused:UNUSED_PAD src0_sel:BYTE_1 src1_sel:DWORD
	v_mov_b32_e32 v11, v5
	v_mov_b32_e32 v19, v12
	v_cmp_ne_u32_e64 s[0:1], s25, v20
	v_mov_b32_e32 v18, v11
	s_and_saveexec_b64 s[14:15], s[0:1]
	s_cbranch_execz .LBB177_162
; %bb.161:                              ;   in Loop: Header=BB177_126 Depth=1
	v_and_b32_sdwa v18, v15, v36 dst_sel:DWORD dst_unused:UNUSED_PAD src0_sel:BYTE_1 src1_sel:DWORD
	v_ffbh_u32_e32 v21, v18
	v_min_u32_e32 v23, 32, v21
	v_mov_b32_e32 v19, v5
	v_subrev_u32_e32 v21, 28, v23
	v_lshlrev_b64 v[21:22], v21, v[18:19]
	v_lshrrev_b32_e32 v11, 3, v20
	v_sub_u32_e32 v19, 29, v23
	v_cmp_gt_u32_e64 s[0:1], 8, v20
	v_and_b32_e32 v21, 7, v21
	v_cndmask_b32_e64 v11, v11, v19, s[0:1]
	v_cndmask_b32_e64 v18, v18, v21, s[0:1]
	v_lshlrev_b32_e32 v19, 16, v15
	v_lshl_add_u32 v11, v11, 23, v29
	v_and_or_b32 v11, v19, s26, v11
	v_lshlrev_b32_e32 v18, 20, v18
	v_or_b32_e32 v19, v11, v18
	v_mov_b32_e32 v18, v5
.LBB177_162:                            ;   in Loop: Header=BB177_126 Depth=1
	s_or_b64 exec, exec, s[14:15]
.LBB177_163:                            ;   in Loop: Header=BB177_126 Depth=1
	s_or_b64 exec, exec, s[12:13]
.LBB177_164:                            ;   in Loop: Header=BB177_126 Depth=1
	s_or_b64 exec, exec, s[6:7]
	v_lshrrev_b32_e32 v11, 16, v15
	v_mov_b32_e32 v22, 0
	v_mov_b32_e32 v20, 0
	;; [unrolled: 1-line block ×4, first 2 shown]
	v_cmp_ne_u16_sdwa s[0:1], v11, v5 src0_sel:BYTE_0 src1_sel:DWORD
	s_and_saveexec_b64 s[6:7], s[0:1]
	s_cbranch_execz .LBB177_170
; %bb.165:                              ;   in Loop: Header=BB177_126 Depth=1
	v_bfrev_b32_e32 v20, 1
	v_mov_b32_e32 v21, 0
	v_cmp_ne_u16_sdwa s[0:1], v11, s24 src0_sel:BYTE_0 src1_sel:DWORD
	s_and_saveexec_b64 s[12:13], s[0:1]
	s_cbranch_execz .LBB177_169
; %bb.166:                              ;   in Loop: Header=BB177_126 Depth=1
	v_bfe_u32 v45, v15, 16, 7
	v_mov_b32_e32 v20, 0x7f800001
	v_mov_b32_e32 v21, 0
	v_cmp_ne_u32_e64 s[0:1], s25, v45
	s_and_saveexec_b64 s[14:15], s[0:1]
	s_cbranch_execz .LBB177_168
; %bb.167:                              ;   in Loop: Header=BB177_126 Depth=1
	v_and_b32_e32 v46, 7, v11
	v_ffbh_u32_e32 v20, v46
	v_min_u32_e32 v48, 32, v20
	v_subrev_u32_e32 v20, 28, v48
	v_lshlrev_b64 v[20:21], v20, v[11:12]
	v_lshrrev_b32_e32 v47, 3, v45
	v_sub_u32_e32 v21, 29, v48
	v_and_b32_e32 v20, 7, v20
	v_cmp_gt_u32_e64 s[0:1], 8, v45
	v_cndmask_b32_e64 v21, v47, v21, s[0:1]
	v_cndmask_b32_e64 v20, v46, v20, s[0:1]
	v_lshlrev_b32_e32 v20, 20, v20
	v_and_b32_sdwa v11, sext(v11), s26 dst_sel:DWORD dst_unused:UNUSED_PAD src0_sel:BYTE_0 src1_sel:DWORD
	v_lshl_add_u32 v21, v21, 23, v29
	v_or3_b32 v20, v11, v21, v20
	v_mov_b32_e32 v21, v5
.LBB177_168:                            ;   in Loop: Header=BB177_126 Depth=1
	s_or_b64 exec, exec, s[14:15]
.LBB177_169:                            ;   in Loop: Header=BB177_126 Depth=1
	s_or_b64 exec, exec, s[12:13]
.LBB177_170:                            ;   in Loop: Header=BB177_126 Depth=1
	s_or_b64 exec, exec, s[6:7]
	v_cmp_lt_u32_e64 s[0:1], s27, v15
	s_and_saveexec_b64 s[6:7], s[0:1]
	s_cbranch_execz .LBB177_176
; %bb.171:                              ;   in Loop: Header=BB177_126 Depth=1
	v_mov_b32_e32 v23, v6
	v_cmp_ne_u32_sdwa s[0:1], v15, s24 src0_sel:BYTE_3 src1_sel:DWORD
	v_mov_b32_e32 v22, v5
	s_and_saveexec_b64 s[12:13], s[0:1]
	s_cbranch_execz .LBB177_175
; %bb.172:                              ;   in Loop: Header=BB177_126 Depth=1
	v_bfe_u32 v45, v15, 24, 7
	v_mov_b32_e32 v11, v5
	v_mov_b32_e32 v23, v12
	v_cmp_ne_u32_e64 s[0:1], s25, v45
	v_mov_b32_e32 v22, v11
	s_and_saveexec_b64 s[14:15], s[0:1]
	s_cbranch_execz .LBB177_174
; %bb.173:                              ;   in Loop: Header=BB177_126 Depth=1
	v_and_b32_sdwa v22, v15, v36 dst_sel:DWORD dst_unused:UNUSED_PAD src0_sel:BYTE_3 src1_sel:DWORD
	v_ffbh_u32_e32 v46, v22
	v_min_u32_e32 v48, 32, v46
	v_mov_b32_e32 v23, v5
	v_subrev_u32_e32 v46, 28, v48
	v_lshlrev_b64 v[46:47], v46, v[22:23]
	v_lshrrev_b32_e32 v11, 3, v45
	v_sub_u32_e32 v23, 29, v48
	v_cmp_gt_u32_e64 s[0:1], 8, v45
	v_and_b32_e32 v46, 7, v46
	v_cndmask_b32_e64 v11, v11, v23, s[0:1]
	v_cndmask_b32_e64 v22, v22, v46, s[0:1]
	v_lshlrev_b32_sdwa v15, v37, v15 dst_sel:DWORD dst_unused:UNUSED_PAD src0_sel:DWORD src1_sel:BYTE_3
	v_lshl_add_u32 v11, v11, 23, v29
	v_and_or_b32 v11, v15, s26, v11
	v_lshlrev_b32_e32 v15, 20, v22
	v_or_b32_e32 v23, v11, v15
	v_mov_b32_e32 v22, v5
.LBB177_174:                            ;   in Loop: Header=BB177_126 Depth=1
	s_or_b64 exec, exec, s[14:15]
.LBB177_175:                            ;   in Loop: Header=BB177_126 Depth=1
	s_or_b64 exec, exec, s[12:13]
.LBB177_176:                            ;   in Loop: Header=BB177_126 Depth=1
	s_or_b64 exec, exec, s[6:7]
	v_or_b32_e32 v11, v19, v17
	v_or_b32_e32 v15, v18, v16
	v_mul_f32_e32 v45, s18, v11
	v_mul_f32_e32 v48, s17, v15
	v_or_b32_e32 v11, v23, v21
	v_or_b32_e32 v15, v22, v20
	v_mul_f32_e32 v47, s17, v15
	v_mul_f32_e32 v46, s18, v11
	s_and_saveexec_b64 s[6:7], vcc
; %bb.177:                              ;   in Loop: Header=BB177_126 Depth=1
	v_cmp_gt_i32_e64 s[0:1], s30, v42
	v_cndmask_b32_e64 v48, 0, v48, s[0:1]
	v_cmp_gt_i32_e64 s[0:1], s30, v44
	v_cndmask_b32_e64 v45, 0, v45, s[0:1]
	;; [unrolled: 2-line block ×4, first 2 shown]
; %bb.178:                              ;   in Loop: Header=BB177_126 Depth=1
	s_or_b64 exec, exec, s[6:7]
	global_load_dword v15, v[13:14], off offset:512
	v_mov_b32_e32 v18, 0
	v_mov_b32_e32 v16, 0
	;; [unrolled: 1-line block ×4, first 2 shown]
	s_waitcnt vmcnt(0)
	v_cmp_ne_u16_sdwa s[0:1], v15, v5 src0_sel:BYTE_0 src1_sel:DWORD
	s_and_saveexec_b64 s[6:7], s[0:1]
	s_cbranch_execz .LBB177_184
; %bb.179:                              ;   in Loop: Header=BB177_126 Depth=1
	v_bfrev_b32_e32 v16, 1
	v_mov_b32_e32 v17, 0
	v_cmp_ne_u16_sdwa s[0:1], v15, s24 src0_sel:BYTE_0 src1_sel:DWORD
	s_and_saveexec_b64 s[12:13], s[0:1]
	s_cbranch_execz .LBB177_183
; %bb.180:                              ;   in Loop: Header=BB177_126 Depth=1
	v_and_b32_e32 v11, 0x7f, v15
	v_mov_b32_e32 v16, 0x7f800001
	v_mov_b32_e32 v17, 0
	v_cmp_ne_u32_e64 s[0:1], s25, v11
	s_and_saveexec_b64 s[14:15], s[0:1]
	s_cbranch_execz .LBB177_182
; %bb.181:                              ;   in Loop: Header=BB177_126 Depth=1
	v_and_b32_e32 v20, 7, v15
	v_ffbh_u32_e32 v16, v20
	v_min_u32_e32 v22, 32, v16
	v_subrev_u32_e32 v16, 28, v22
	v_lshlrev_b64 v[16:17], v16, v[15:16]
	v_lshrrev_b32_e32 v21, 3, v11
	v_sub_u32_e32 v17, 29, v22
	v_and_b32_e32 v16, 7, v16
	v_cmp_gt_u32_e64 s[0:1], 8, v11
	v_cndmask_b32_e64 v11, v21, v17, s[0:1]
	v_cndmask_b32_e64 v16, v20, v16, s[0:1]
	v_lshlrev_b32_e32 v16, 20, v16
	v_and_b32_sdwa v17, sext(v15), s26 dst_sel:DWORD dst_unused:UNUSED_PAD src0_sel:BYTE_0 src1_sel:DWORD
	v_lshl_add_u32 v11, v11, 23, v29
	v_or3_b32 v16, v17, v11, v16
	v_mov_b32_e32 v17, v5
.LBB177_182:                            ;   in Loop: Header=BB177_126 Depth=1
	s_or_b64 exec, exec, s[14:15]
.LBB177_183:                            ;   in Loop: Header=BB177_126 Depth=1
	s_or_b64 exec, exec, s[12:13]
.LBB177_184:                            ;   in Loop: Header=BB177_126 Depth=1
	s_or_b64 exec, exec, s[6:7]
	v_cmp_ne_u16_sdwa s[0:1], v15, v5 src0_sel:BYTE_1 src1_sel:DWORD
	s_and_saveexec_b64 s[6:7], s[0:1]
	s_cbranch_execz .LBB177_190
; %bb.185:                              ;   in Loop: Header=BB177_126 Depth=1
	v_mov_b32_e32 v19, v6
	v_cmp_ne_u16_sdwa s[0:1], v15, s24 src0_sel:BYTE_1 src1_sel:DWORD
	v_mov_b32_e32 v18, v5
	s_and_saveexec_b64 s[12:13], s[0:1]
	s_cbranch_execz .LBB177_189
; %bb.186:                              ;   in Loop: Header=BB177_126 Depth=1
	v_and_b32_sdwa v20, v15, s25 dst_sel:DWORD dst_unused:UNUSED_PAD src0_sel:BYTE_1 src1_sel:DWORD
	v_mov_b32_e32 v11, v5
	v_mov_b32_e32 v19, v12
	v_cmp_ne_u32_e64 s[0:1], s25, v20
	v_mov_b32_e32 v18, v11
	s_and_saveexec_b64 s[14:15], s[0:1]
	s_cbranch_execz .LBB177_188
; %bb.187:                              ;   in Loop: Header=BB177_126 Depth=1
	v_and_b32_sdwa v18, v15, v36 dst_sel:DWORD dst_unused:UNUSED_PAD src0_sel:BYTE_1 src1_sel:DWORD
	v_ffbh_u32_e32 v21, v18
	v_min_u32_e32 v23, 32, v21
	v_mov_b32_e32 v19, v5
	v_subrev_u32_e32 v21, 28, v23
	v_lshlrev_b64 v[21:22], v21, v[18:19]
	v_lshrrev_b32_e32 v11, 3, v20
	v_sub_u32_e32 v19, 29, v23
	v_cmp_gt_u32_e64 s[0:1], 8, v20
	v_and_b32_e32 v21, 7, v21
	v_cndmask_b32_e64 v11, v11, v19, s[0:1]
	v_cndmask_b32_e64 v18, v18, v21, s[0:1]
	v_lshlrev_b32_e32 v19, 16, v15
	v_lshl_add_u32 v11, v11, 23, v29
	v_and_or_b32 v11, v19, s26, v11
	v_lshlrev_b32_e32 v18, 20, v18
	v_or_b32_e32 v19, v11, v18
	v_mov_b32_e32 v18, v5
.LBB177_188:                            ;   in Loop: Header=BB177_126 Depth=1
	s_or_b64 exec, exec, s[14:15]
.LBB177_189:                            ;   in Loop: Header=BB177_126 Depth=1
	s_or_b64 exec, exec, s[12:13]
.LBB177_190:                            ;   in Loop: Header=BB177_126 Depth=1
	s_or_b64 exec, exec, s[6:7]
	v_lshrrev_b32_e32 v11, 16, v15
	v_mov_b32_e32 v22, 0
	v_mov_b32_e32 v20, 0
	;; [unrolled: 1-line block ×4, first 2 shown]
	v_cmp_ne_u16_sdwa s[0:1], v11, v5 src0_sel:BYTE_0 src1_sel:DWORD
	s_and_saveexec_b64 s[6:7], s[0:1]
	s_cbranch_execz .LBB177_196
; %bb.191:                              ;   in Loop: Header=BB177_126 Depth=1
	v_bfrev_b32_e32 v20, 1
	v_mov_b32_e32 v21, 0
	v_cmp_ne_u16_sdwa s[0:1], v11, s24 src0_sel:BYTE_0 src1_sel:DWORD
	s_and_saveexec_b64 s[12:13], s[0:1]
	s_cbranch_execz .LBB177_195
; %bb.192:                              ;   in Loop: Header=BB177_126 Depth=1
	v_bfe_u32 v49, v15, 16, 7
	v_mov_b32_e32 v20, 0x7f800001
	v_mov_b32_e32 v21, 0
	v_cmp_ne_u32_e64 s[0:1], s25, v49
	s_and_saveexec_b64 s[14:15], s[0:1]
	s_cbranch_execz .LBB177_194
; %bb.193:                              ;   in Loop: Header=BB177_126 Depth=1
	v_and_b32_e32 v50, 7, v11
	v_ffbh_u32_e32 v20, v50
	v_min_u32_e32 v52, 32, v20
	v_subrev_u32_e32 v20, 28, v52
	v_lshlrev_b64 v[20:21], v20, v[11:12]
	v_lshrrev_b32_e32 v51, 3, v49
	v_sub_u32_e32 v21, 29, v52
	v_and_b32_e32 v20, 7, v20
	v_cmp_gt_u32_e64 s[0:1], 8, v49
	v_cndmask_b32_e64 v21, v51, v21, s[0:1]
	v_cndmask_b32_e64 v20, v50, v20, s[0:1]
	v_lshlrev_b32_e32 v20, 20, v20
	v_and_b32_sdwa v11, sext(v11), s26 dst_sel:DWORD dst_unused:UNUSED_PAD src0_sel:BYTE_0 src1_sel:DWORD
	v_lshl_add_u32 v21, v21, 23, v29
	v_or3_b32 v20, v11, v21, v20
	v_mov_b32_e32 v21, v5
.LBB177_194:                            ;   in Loop: Header=BB177_126 Depth=1
	s_or_b64 exec, exec, s[14:15]
.LBB177_195:                            ;   in Loop: Header=BB177_126 Depth=1
	s_or_b64 exec, exec, s[12:13]
.LBB177_196:                            ;   in Loop: Header=BB177_126 Depth=1
	s_or_b64 exec, exec, s[6:7]
	v_cmp_lt_u32_e64 s[0:1], s27, v15
	s_and_saveexec_b64 s[6:7], s[0:1]
	s_cbranch_execz .LBB177_202
; %bb.197:                              ;   in Loop: Header=BB177_126 Depth=1
	v_mov_b32_e32 v23, v6
	v_cmp_ne_u32_sdwa s[0:1], v15, s24 src0_sel:BYTE_3 src1_sel:DWORD
	v_mov_b32_e32 v22, v5
	s_and_saveexec_b64 s[12:13], s[0:1]
	s_cbranch_execz .LBB177_201
; %bb.198:                              ;   in Loop: Header=BB177_126 Depth=1
	v_bfe_u32 v49, v15, 24, 7
	v_mov_b32_e32 v11, v5
	v_mov_b32_e32 v23, v12
	v_cmp_ne_u32_e64 s[0:1], s25, v49
	v_mov_b32_e32 v22, v11
	s_and_saveexec_b64 s[14:15], s[0:1]
	s_cbranch_execz .LBB177_200
; %bb.199:                              ;   in Loop: Header=BB177_126 Depth=1
	v_and_b32_sdwa v22, v15, v36 dst_sel:DWORD dst_unused:UNUSED_PAD src0_sel:BYTE_3 src1_sel:DWORD
	v_ffbh_u32_e32 v50, v22
	v_min_u32_e32 v52, 32, v50
	v_mov_b32_e32 v23, v5
	v_subrev_u32_e32 v50, 28, v52
	v_lshlrev_b64 v[50:51], v50, v[22:23]
	v_lshrrev_b32_e32 v11, 3, v49
	v_sub_u32_e32 v23, 29, v52
	v_cmp_gt_u32_e64 s[0:1], 8, v49
	v_and_b32_e32 v50, 7, v50
	v_cndmask_b32_e64 v11, v11, v23, s[0:1]
	v_cndmask_b32_e64 v22, v22, v50, s[0:1]
	v_lshlrev_b32_sdwa v15, v37, v15 dst_sel:DWORD dst_unused:UNUSED_PAD src0_sel:DWORD src1_sel:BYTE_3
	v_lshl_add_u32 v11, v11, 23, v29
	v_and_or_b32 v11, v15, s26, v11
	v_lshlrev_b32_e32 v15, 20, v22
	v_or_b32_e32 v23, v11, v15
	v_mov_b32_e32 v22, v5
.LBB177_200:                            ;   in Loop: Header=BB177_126 Depth=1
	s_or_b64 exec, exec, s[14:15]
.LBB177_201:                            ;   in Loop: Header=BB177_126 Depth=1
	s_or_b64 exec, exec, s[12:13]
.LBB177_202:                            ;   in Loop: Header=BB177_126 Depth=1
	s_or_b64 exec, exec, s[6:7]
	v_or_b32_e32 v11, v19, v17
	v_or_b32_e32 v15, v18, v16
	v_mul_f32_e32 v49, s18, v11
	v_mul_f32_e32 v50, s17, v15
	v_or_b32_e32 v11, v23, v21
	v_or_b32_e32 v15, v22, v20
	v_mul_f32_e32 v23, s17, v15
	v_mul_f32_e32 v22, s18, v11
	s_and_saveexec_b64 s[6:7], vcc
; %bb.203:                              ;   in Loop: Header=BB177_126 Depth=1
	v_cmp_gt_i32_e64 s[0:1], s30, v42
	v_cndmask_b32_e64 v50, 0, v50, s[0:1]
	v_cmp_gt_i32_e64 s[0:1], s30, v44
	v_cndmask_b32_e64 v49, 0, v49, s[0:1]
	;; [unrolled: 2-line block ×4, first 2 shown]
; %bb.204:                              ;   in Loop: Header=BB177_126 Depth=1
	s_or_b64 exec, exec, s[6:7]
	global_load_dword v13, v[13:14], off offset:768
	v_mov_b32_e32 v16, 0
	v_mov_b32_e32 v14, 0
	;; [unrolled: 1-line block ×4, first 2 shown]
	s_waitcnt vmcnt(0)
	v_cmp_ne_u16_sdwa s[0:1], v13, v5 src0_sel:BYTE_0 src1_sel:DWORD
	s_and_saveexec_b64 s[6:7], s[0:1]
	s_cbranch_execz .LBB177_210
; %bb.205:                              ;   in Loop: Header=BB177_126 Depth=1
	v_bfrev_b32_e32 v14, 1
	v_mov_b32_e32 v15, 0
	v_cmp_ne_u16_sdwa s[0:1], v13, s24 src0_sel:BYTE_0 src1_sel:DWORD
	s_and_saveexec_b64 s[12:13], s[0:1]
	s_cbranch_execz .LBB177_209
; %bb.206:                              ;   in Loop: Header=BB177_126 Depth=1
	v_and_b32_e32 v11, 0x7f, v13
	v_mov_b32_e32 v14, 0x7f800001
	v_mov_b32_e32 v15, 0
	v_cmp_ne_u32_e64 s[0:1], s25, v11
	s_and_saveexec_b64 s[14:15], s[0:1]
	s_cbranch_execz .LBB177_208
; %bb.207:                              ;   in Loop: Header=BB177_126 Depth=1
	v_and_b32_e32 v18, 7, v13
	v_ffbh_u32_e32 v14, v18
	v_min_u32_e32 v20, 32, v14
	v_subrev_u32_e32 v14, 28, v20
	v_lshlrev_b64 v[14:15], v14, v[13:14]
	v_lshrrev_b32_e32 v19, 3, v11
	v_sub_u32_e32 v15, 29, v20
	v_and_b32_e32 v14, 7, v14
	v_cmp_gt_u32_e64 s[0:1], 8, v11
	v_cndmask_b32_e64 v11, v19, v15, s[0:1]
	v_cndmask_b32_e64 v14, v18, v14, s[0:1]
	v_lshlrev_b32_e32 v14, 20, v14
	v_and_b32_sdwa v15, sext(v13), s26 dst_sel:DWORD dst_unused:UNUSED_PAD src0_sel:BYTE_0 src1_sel:DWORD
	v_lshl_add_u32 v11, v11, 23, v29
	v_or3_b32 v14, v15, v11, v14
	v_mov_b32_e32 v15, v5
.LBB177_208:                            ;   in Loop: Header=BB177_126 Depth=1
	s_or_b64 exec, exec, s[14:15]
.LBB177_209:                            ;   in Loop: Header=BB177_126 Depth=1
	s_or_b64 exec, exec, s[12:13]
.LBB177_210:                            ;   in Loop: Header=BB177_126 Depth=1
	s_or_b64 exec, exec, s[6:7]
	v_cmp_ne_u16_sdwa s[0:1], v13, v5 src0_sel:BYTE_1 src1_sel:DWORD
	s_and_saveexec_b64 s[6:7], s[0:1]
	s_cbranch_execz .LBB177_216
; %bb.211:                              ;   in Loop: Header=BB177_126 Depth=1
	v_mov_b32_e32 v17, v6
	v_cmp_ne_u16_sdwa s[0:1], v13, s24 src0_sel:BYTE_1 src1_sel:DWORD
	v_mov_b32_e32 v16, v5
	s_and_saveexec_b64 s[12:13], s[0:1]
	s_cbranch_execz .LBB177_215
; %bb.212:                              ;   in Loop: Header=BB177_126 Depth=1
	v_and_b32_sdwa v18, v13, s25 dst_sel:DWORD dst_unused:UNUSED_PAD src0_sel:BYTE_1 src1_sel:DWORD
	v_mov_b32_e32 v11, v5
	v_mov_b32_e32 v17, v12
	v_cmp_ne_u32_e64 s[0:1], s25, v18
	v_mov_b32_e32 v16, v11
	s_and_saveexec_b64 s[14:15], s[0:1]
	s_cbranch_execz .LBB177_214
; %bb.213:                              ;   in Loop: Header=BB177_126 Depth=1
	v_and_b32_sdwa v16, v13, v36 dst_sel:DWORD dst_unused:UNUSED_PAD src0_sel:BYTE_1 src1_sel:DWORD
	v_ffbh_u32_e32 v19, v16
	v_min_u32_e32 v21, 32, v19
	v_mov_b32_e32 v17, v5
	v_subrev_u32_e32 v19, 28, v21
	v_lshlrev_b64 v[19:20], v19, v[16:17]
	v_lshrrev_b32_e32 v11, 3, v18
	v_sub_u32_e32 v17, 29, v21
	v_cmp_gt_u32_e64 s[0:1], 8, v18
	v_and_b32_e32 v19, 7, v19
	v_cndmask_b32_e64 v11, v11, v17, s[0:1]
	v_cndmask_b32_e64 v16, v16, v19, s[0:1]
	v_lshlrev_b32_e32 v17, 16, v13
	v_lshl_add_u32 v11, v11, 23, v29
	v_and_or_b32 v11, v17, s26, v11
	v_lshlrev_b32_e32 v16, 20, v16
	v_or_b32_e32 v17, v11, v16
	v_mov_b32_e32 v16, v5
.LBB177_214:                            ;   in Loop: Header=BB177_126 Depth=1
	s_or_b64 exec, exec, s[14:15]
.LBB177_215:                            ;   in Loop: Header=BB177_126 Depth=1
	s_or_b64 exec, exec, s[12:13]
.LBB177_216:                            ;   in Loop: Header=BB177_126 Depth=1
	s_or_b64 exec, exec, s[6:7]
	v_lshrrev_b32_e32 v11, 16, v13
	v_mov_b32_e32 v20, 0
	v_mov_b32_e32 v18, 0
	v_mov_b32_e32 v21, 0
	v_mov_b32_e32 v19, 0
	v_cmp_ne_u16_sdwa s[0:1], v11, v5 src0_sel:BYTE_0 src1_sel:DWORD
	s_and_saveexec_b64 s[6:7], s[0:1]
	s_cbranch_execz .LBB177_222
; %bb.217:                              ;   in Loop: Header=BB177_126 Depth=1
	v_bfrev_b32_e32 v18, 1
	v_mov_b32_e32 v19, 0
	v_cmp_ne_u16_sdwa s[0:1], v11, s24 src0_sel:BYTE_0 src1_sel:DWORD
	s_and_saveexec_b64 s[12:13], s[0:1]
	s_cbranch_execz .LBB177_221
; %bb.218:                              ;   in Loop: Header=BB177_126 Depth=1
	v_bfe_u32 v51, v13, 16, 7
	v_mov_b32_e32 v18, 0x7f800001
	v_mov_b32_e32 v19, 0
	v_cmp_ne_u32_e64 s[0:1], s25, v51
	s_and_saveexec_b64 s[14:15], s[0:1]
	s_cbranch_execz .LBB177_220
; %bb.219:                              ;   in Loop: Header=BB177_126 Depth=1
	v_and_b32_e32 v52, 7, v11
	v_ffbh_u32_e32 v18, v52
	v_min_u32_e32 v54, 32, v18
	v_subrev_u32_e32 v18, 28, v54
	v_lshlrev_b64 v[18:19], v18, v[11:12]
	v_lshrrev_b32_e32 v53, 3, v51
	v_sub_u32_e32 v19, 29, v54
	v_and_b32_e32 v18, 7, v18
	v_cmp_gt_u32_e64 s[0:1], 8, v51
	v_cndmask_b32_e64 v19, v53, v19, s[0:1]
	v_cndmask_b32_e64 v18, v52, v18, s[0:1]
	v_lshlrev_b32_e32 v18, 20, v18
	v_and_b32_sdwa v11, sext(v11), s26 dst_sel:DWORD dst_unused:UNUSED_PAD src0_sel:BYTE_0 src1_sel:DWORD
	v_lshl_add_u32 v19, v19, 23, v29
	v_or3_b32 v18, v11, v19, v18
	v_mov_b32_e32 v19, v5
.LBB177_220:                            ;   in Loop: Header=BB177_126 Depth=1
	s_or_b64 exec, exec, s[14:15]
.LBB177_221:                            ;   in Loop: Header=BB177_126 Depth=1
	s_or_b64 exec, exec, s[12:13]
.LBB177_222:                            ;   in Loop: Header=BB177_126 Depth=1
	s_or_b64 exec, exec, s[6:7]
	v_cmp_lt_u32_e64 s[0:1], s27, v13
	s_and_saveexec_b64 s[6:7], s[0:1]
	s_cbranch_execz .LBB177_228
; %bb.223:                              ;   in Loop: Header=BB177_126 Depth=1
	v_mov_b32_e32 v21, v6
	v_cmp_ne_u32_sdwa s[0:1], v13, s24 src0_sel:BYTE_3 src1_sel:DWORD
	v_mov_b32_e32 v20, v5
	s_and_saveexec_b64 s[12:13], s[0:1]
	s_cbranch_execz .LBB177_227
; %bb.224:                              ;   in Loop: Header=BB177_126 Depth=1
	v_bfe_u32 v51, v13, 24, 7
	v_mov_b32_e32 v11, v5
	v_mov_b32_e32 v21, v12
	v_cmp_ne_u32_e64 s[0:1], s25, v51
	v_mov_b32_e32 v20, v11
	s_and_saveexec_b64 s[14:15], s[0:1]
	s_cbranch_execz .LBB177_226
; %bb.225:                              ;   in Loop: Header=BB177_126 Depth=1
	v_and_b32_sdwa v20, v13, v36 dst_sel:DWORD dst_unused:UNUSED_PAD src0_sel:BYTE_3 src1_sel:DWORD
	v_ffbh_u32_e32 v52, v20
	v_min_u32_e32 v54, 32, v52
	v_mov_b32_e32 v21, v5
	v_subrev_u32_e32 v52, 28, v54
	v_lshlrev_b64 v[52:53], v52, v[20:21]
	v_lshrrev_b32_e32 v11, 3, v51
	v_sub_u32_e32 v21, 29, v54
	v_cmp_gt_u32_e64 s[0:1], 8, v51
	v_and_b32_e32 v52, 7, v52
	v_cndmask_b32_e64 v11, v11, v21, s[0:1]
	v_cndmask_b32_e64 v20, v20, v52, s[0:1]
	v_lshlrev_b32_sdwa v13, v37, v13 dst_sel:DWORD dst_unused:UNUSED_PAD src0_sel:DWORD src1_sel:BYTE_3
	v_lshl_add_u32 v11, v11, 23, v29
	v_and_or_b32 v11, v13, s26, v11
	v_lshlrev_b32_e32 v13, 20, v20
	v_or_b32_e32 v21, v11, v13
	v_mov_b32_e32 v20, v5
.LBB177_226:                            ;   in Loop: Header=BB177_126 Depth=1
	s_or_b64 exec, exec, s[14:15]
.LBB177_227:                            ;   in Loop: Header=BB177_126 Depth=1
	s_or_b64 exec, exec, s[12:13]
.LBB177_228:                            ;   in Loop: Header=BB177_126 Depth=1
	s_or_b64 exec, exec, s[6:7]
	v_or_b32_e32 v13, v16, v14
	v_or_b32_e32 v11, v17, v15
	v_mul_f32_e32 v15, s17, v13
	v_or_b32_e32 v13, v21, v19
	v_or_b32_e32 v14, v20, v18
	v_mul_f32_e32 v11, s18, v11
	v_mul_f32_e32 v14, s17, v14
	;; [unrolled: 1-line block ×3, first 2 shown]
	s_and_saveexec_b64 s[0:1], vcc
	s_cbranch_execz .LBB177_125
; %bb.229:                              ;   in Loop: Header=BB177_126 Depth=1
	v_cmp_gt_i32_e32 vcc, s30, v42
	v_cndmask_b32_e32 v15, 0, v15, vcc
	v_cmp_gt_i32_e32 vcc, s30, v44
	v_cndmask_b32_e32 v11, 0, v11, vcc
	;; [unrolled: 2-line block ×4, first 2 shown]
	s_branch .LBB177_125
.LBB177_230:
	s_or_b64 exec, exec, s[4:5]
.LBB177_231:
	s_or_b64 exec, exec, s[2:3]
	ds_bpermute_b32 v1, v28, v32
	ds_bpermute_b32 v2, v28, v34
	;; [unrolled: 1-line block ×4, first 2 shown]
	v_and_b32_e32 v5, 0x3c1, v0
	s_waitcnt lgkmcnt(3)
	v_add_f32_e32 v1, v32, v1
	s_waitcnt lgkmcnt(2)
	v_add_f32_e32 v2, v34, v2
	s_waitcnt lgkmcnt(1)
	v_add_f32_e32 v3, v33, v3
	s_waitcnt lgkmcnt(0)
	v_add_f32_e32 v4, v31, v4
	v_cmp_eq_u32_e32 vcc, 64, v5
	s_barrier
	s_and_saveexec_b64 s[0:1], vcc
	s_cbranch_execz .LBB177_233
; %bb.232:
	v_mov_b32_e32 v6, 0x210
	v_lshl_add_u32 v6, v26, 1, v6
	ds_write2_b32 v6, v1, v2 offset1:32
	ds_write2_b32 v6, v3, v4 offset0:64 offset1:96
.LBB177_233:
	s_or_b64 exec, exec, s[0:1]
	v_cmp_gt_u32_e32 vcc, 64, v0
	s_waitcnt lgkmcnt(0)
	s_barrier
	s_and_saveexec_b64 s[0:1], vcc
	s_cbranch_execz .LBB177_240
; %bb.234:
	v_mov_b32_e32 v0, 0x210
	v_cmp_eq_u32_e32 vcc, 0, v30
	v_lshl_add_u32 v0, v24, 2, v0
	s_and_saveexec_b64 s[2:3], vcc
	s_cbranch_execnz .LBB177_243
; %bb.235:
	s_or_b64 exec, exec, s[2:3]
	s_and_saveexec_b64 s[2:3], vcc
	s_cbranch_execnz .LBB177_244
.LBB177_236:
	s_or_b64 exec, exec, s[2:3]
	s_and_saveexec_b64 s[2:3], vcc
	s_cbranch_execnz .LBB177_245
.LBB177_237:
	s_or_b64 exec, exec, s[2:3]
	s_and_saveexec_b64 s[2:3], vcc
	s_cbranch_execz .LBB177_239
.LBB177_238:
	ds_read_b32 v0, v0 offset:384
	s_waitcnt lgkmcnt(0)
	v_add_f32_e32 v4, v4, v0
.LBB177_239:
	s_or_b64 exec, exec, s[2:3]
.LBB177_240:
	s_or_b64 exec, exec, s[0:1]
	v_cmp_eq_u32_e32 vcc, 0, v5
	s_barrier
	s_and_saveexec_b64 s[0:1], vcc
	s_cbranch_execz .LBB177_242
; %bb.241:
	s_mul_i32 s0, s10, s11
	s_mul_i32 s0, s0, s9
	s_lshl_b32 s0, s0, 7
	s_ashr_i32 s1, s0, 31
	s_lshl_b64 s[0:1], s[0:1], 2
	s_add_u32 s2, s22, s0
	s_mul_i32 s0, s11, s20
	s_addc_u32 s3, s23, s1
	s_ashr_i32 s1, s0, 31
	s_lshl_b64 s[0:1], s[0:1], 2
	s_add_u32 s2, s2, s0
	s_addc_u32 s3, s3, s1
	s_lshl_b32 s0, s8, 7
	s_ashr_i32 s1, s0, 31
	s_lshl_b64 s[0:1], s[0:1], 2
	s_add_u32 s0, s2, s0
	s_addc_u32 s1, s3, s1
	v_lshlrev_b32_e32 v0, 2, v24
	global_store_dword v0, v1, s[0:1]
	global_store_dword v0, v2, s[0:1] offset:128
	global_store_dword v0, v3, s[0:1] offset:256
	;; [unrolled: 1-line block ×3, first 2 shown]
.LBB177_242:
	s_endpgm
.LBB177_243:
	ds_read_b32 v6, v0
	s_waitcnt lgkmcnt(0)
	v_add_f32_e32 v1, v1, v6
	s_or_b64 exec, exec, s[2:3]
	s_and_saveexec_b64 s[2:3], vcc
	s_cbranch_execz .LBB177_236
.LBB177_244:
	ds_read_b32 v6, v0 offset:128
	s_waitcnt lgkmcnt(0)
	v_add_f32_e32 v2, v2, v6
	s_or_b64 exec, exec, s[2:3]
	s_and_saveexec_b64 s[2:3], vcc
	s_cbranch_execz .LBB177_237
.LBB177_245:
	ds_read_b32 v6, v0 offset:256
	s_waitcnt lgkmcnt(0)
	v_add_f32_e32 v3, v3, v6
	s_or_b64 exec, exec, s[2:3]
	s_and_saveexec_b64 s[2:3], vcc
	s_cbranch_execnz .LBB177_238
	s_branch .LBB177_239
	.section	.rodata,"a",@progbits
	.p2align	6, 0x0
	.amdhsa_kernel _ZN4vllm25paged_attention_v1_kernelIfhLi128ELi8ELi128ELNS_18Fp8KVCacheDataTypeE1ELb0EEEvPT_PKS2_PKT0_S8_ifPKiSA_iPKfiiiSC_SC_iiiii
		.amdhsa_group_segment_fixed_size 528
		.amdhsa_private_segment_fixed_size 0
		.amdhsa_kernarg_size 384
		.amdhsa_user_sgpr_count 6
		.amdhsa_user_sgpr_private_segment_buffer 1
		.amdhsa_user_sgpr_dispatch_ptr 0
		.amdhsa_user_sgpr_queue_ptr 0
		.amdhsa_user_sgpr_kernarg_segment_ptr 1
		.amdhsa_user_sgpr_dispatch_id 0
		.amdhsa_user_sgpr_flat_scratch_init 0
		.amdhsa_user_sgpr_private_segment_size 0
		.amdhsa_uses_dynamic_stack 0
		.amdhsa_system_sgpr_private_segment_wavefront_offset 0
		.amdhsa_system_sgpr_workgroup_id_x 1
		.amdhsa_system_sgpr_workgroup_id_y 1
		.amdhsa_system_sgpr_workgroup_id_z 1
		.amdhsa_system_sgpr_workgroup_info 0
		.amdhsa_system_vgpr_workitem_id 0
		.amdhsa_next_free_vgpr 60
		.amdhsa_next_free_sgpr 43
		.amdhsa_reserve_vcc 1
		.amdhsa_reserve_flat_scratch 0
		.amdhsa_float_round_mode_32 0
		.amdhsa_float_round_mode_16_64 0
		.amdhsa_float_denorm_mode_32 3
		.amdhsa_float_denorm_mode_16_64 3
		.amdhsa_dx10_clamp 1
		.amdhsa_ieee_mode 1
		.amdhsa_fp16_overflow 0
		.amdhsa_exception_fp_ieee_invalid_op 0
		.amdhsa_exception_fp_denorm_src 0
		.amdhsa_exception_fp_ieee_div_zero 0
		.amdhsa_exception_fp_ieee_overflow 0
		.amdhsa_exception_fp_ieee_underflow 0
		.amdhsa_exception_fp_ieee_inexact 0
		.amdhsa_exception_int_div_zero 0
	.end_amdhsa_kernel
	.section	.text._ZN4vllm25paged_attention_v1_kernelIfhLi128ELi8ELi128ELNS_18Fp8KVCacheDataTypeE1ELb0EEEvPT_PKS2_PKT0_S8_ifPKiSA_iPKfiiiSC_SC_iiiii,"axG",@progbits,_ZN4vllm25paged_attention_v1_kernelIfhLi128ELi8ELi128ELNS_18Fp8KVCacheDataTypeE1ELb0EEEvPT_PKS2_PKT0_S8_ifPKiSA_iPKfiiiSC_SC_iiiii,comdat
.Lfunc_end177:
	.size	_ZN4vllm25paged_attention_v1_kernelIfhLi128ELi8ELi128ELNS_18Fp8KVCacheDataTypeE1ELb0EEEvPT_PKS2_PKT0_S8_ifPKiSA_iPKfiiiSC_SC_iiiii, .Lfunc_end177-_ZN4vllm25paged_attention_v1_kernelIfhLi128ELi8ELi128ELNS_18Fp8KVCacheDataTypeE1ELb0EEEvPT_PKS2_PKT0_S8_ifPKiSA_iPKfiiiSC_SC_iiiii
                                        ; -- End function
	.set _ZN4vllm25paged_attention_v1_kernelIfhLi128ELi8ELi128ELNS_18Fp8KVCacheDataTypeE1ELb0EEEvPT_PKS2_PKT0_S8_ifPKiSA_iPKfiiiSC_SC_iiiii.num_vgpr, 60
	.set _ZN4vllm25paged_attention_v1_kernelIfhLi128ELi8ELi128ELNS_18Fp8KVCacheDataTypeE1ELb0EEEvPT_PKS2_PKT0_S8_ifPKiSA_iPKfiiiSC_SC_iiiii.num_agpr, 0
	.set _ZN4vllm25paged_attention_v1_kernelIfhLi128ELi8ELi128ELNS_18Fp8KVCacheDataTypeE1ELb0EEEvPT_PKS2_PKT0_S8_ifPKiSA_iPKfiiiSC_SC_iiiii.numbered_sgpr, 43
	.set _ZN4vllm25paged_attention_v1_kernelIfhLi128ELi8ELi128ELNS_18Fp8KVCacheDataTypeE1ELb0EEEvPT_PKS2_PKT0_S8_ifPKiSA_iPKfiiiSC_SC_iiiii.num_named_barrier, 0
	.set _ZN4vllm25paged_attention_v1_kernelIfhLi128ELi8ELi128ELNS_18Fp8KVCacheDataTypeE1ELb0EEEvPT_PKS2_PKT0_S8_ifPKiSA_iPKfiiiSC_SC_iiiii.private_seg_size, 0
	.set _ZN4vllm25paged_attention_v1_kernelIfhLi128ELi8ELi128ELNS_18Fp8KVCacheDataTypeE1ELb0EEEvPT_PKS2_PKT0_S8_ifPKiSA_iPKfiiiSC_SC_iiiii.uses_vcc, 1
	.set _ZN4vllm25paged_attention_v1_kernelIfhLi128ELi8ELi128ELNS_18Fp8KVCacheDataTypeE1ELb0EEEvPT_PKS2_PKT0_S8_ifPKiSA_iPKfiiiSC_SC_iiiii.uses_flat_scratch, 0
	.set _ZN4vllm25paged_attention_v1_kernelIfhLi128ELi8ELi128ELNS_18Fp8KVCacheDataTypeE1ELb0EEEvPT_PKS2_PKT0_S8_ifPKiSA_iPKfiiiSC_SC_iiiii.has_dyn_sized_stack, 0
	.set _ZN4vllm25paged_attention_v1_kernelIfhLi128ELi8ELi128ELNS_18Fp8KVCacheDataTypeE1ELb0EEEvPT_PKS2_PKT0_S8_ifPKiSA_iPKfiiiSC_SC_iiiii.has_recursion, 0
	.set _ZN4vllm25paged_attention_v1_kernelIfhLi128ELi8ELi128ELNS_18Fp8KVCacheDataTypeE1ELb0EEEvPT_PKS2_PKT0_S8_ifPKiSA_iPKfiiiSC_SC_iiiii.has_indirect_call, 0
	.section	.AMDGPU.csdata,"",@progbits
; Kernel info:
; codeLenInByte = 9492
; TotalNumSgprs: 47
; NumVgprs: 60
; ScratchSize: 0
; MemoryBound: 0
; FloatMode: 240
; IeeeMode: 1
; LDSByteSize: 528 bytes/workgroup (compile time only)
; SGPRBlocks: 5
; VGPRBlocks: 14
; NumSGPRsForWavesPerEU: 47
; NumVGPRsForWavesPerEU: 60
; Occupancy: 4
; WaveLimiterHint : 1
; COMPUTE_PGM_RSRC2:SCRATCH_EN: 0
; COMPUTE_PGM_RSRC2:USER_SGPR: 6
; COMPUTE_PGM_RSRC2:TRAP_HANDLER: 0
; COMPUTE_PGM_RSRC2:TGID_X_EN: 1
; COMPUTE_PGM_RSRC2:TGID_Y_EN: 1
; COMPUTE_PGM_RSRC2:TGID_Z_EN: 1
; COMPUTE_PGM_RSRC2:TIDIG_COMP_CNT: 0
	.section	.text._ZN4vllm25paged_attention_v1_kernelIfhLi192ELi8ELi128ELNS_18Fp8KVCacheDataTypeE1ELb0EEEvPT_PKS2_PKT0_S8_ifPKiSA_iPKfiiiSC_SC_iiiii,"axG",@progbits,_ZN4vllm25paged_attention_v1_kernelIfhLi192ELi8ELi128ELNS_18Fp8KVCacheDataTypeE1ELb0EEEvPT_PKS2_PKT0_S8_ifPKiSA_iPKfiiiSC_SC_iiiii,comdat
	.protected	_ZN4vllm25paged_attention_v1_kernelIfhLi192ELi8ELi128ELNS_18Fp8KVCacheDataTypeE1ELb0EEEvPT_PKS2_PKT0_S8_ifPKiSA_iPKfiiiSC_SC_iiiii ; -- Begin function _ZN4vllm25paged_attention_v1_kernelIfhLi192ELi8ELi128ELNS_18Fp8KVCacheDataTypeE1ELb0EEEvPT_PKS2_PKT0_S8_ifPKiSA_iPKfiiiSC_SC_iiiii
	.globl	_ZN4vllm25paged_attention_v1_kernelIfhLi192ELi8ELi128ELNS_18Fp8KVCacheDataTypeE1ELb0EEEvPT_PKS2_PKT0_S8_ifPKiSA_iPKfiiiSC_SC_iiiii
	.p2align	8
	.type	_ZN4vllm25paged_attention_v1_kernelIfhLi192ELi8ELi128ELNS_18Fp8KVCacheDataTypeE1ELb0EEEvPT_PKS2_PKT0_S8_ifPKiSA_iPKfiiiSC_SC_iiiii,@function
_ZN4vllm25paged_attention_v1_kernelIfhLi192ELi8ELi128ELNS_18Fp8KVCacheDataTypeE1ELb0EEEvPT_PKS2_PKT0_S8_ifPKiSA_iPKfiiiSC_SC_iiiii: ; @_ZN4vllm25paged_attention_v1_kernelIfhLi192ELi8ELi128ELNS_18Fp8KVCacheDataTypeE1ELb0EEEvPT_PKS2_PKT0_S8_ifPKiSA_iPKfiiiSC_SC_iiiii
; %bb.0:
	s_mov_b64 s[46:47], s[2:3]
	s_mov_b64 s[44:45], s[0:1]
	s_add_u32 s44, s44, s9
	s_load_dword s9, s[4:5], 0x80
	s_load_dwordx2 s[0:1], s[4:5], 0x30
	s_load_dwordx2 s[30:31], s[4:5], 0x20
	s_addc_u32 s45, s45, 0
	s_mov_b32 s10, s7
	s_ashr_i32 s11, s7, 31
	s_lshl_b64 s[2:3], s[10:11], 2
	s_waitcnt lgkmcnt(0)
	s_add_u32 s0, s0, s2
	s_addc_u32 s1, s1, s3
	s_abs_i32 s2, s30
	v_mov_b32_e32 v10, v0
	v_cvt_f32_u32_e32 v0, s2
	s_sub_i32 s11, 0, s2
	s_abs_i32 s7, s9
	s_xor_b32 s3, s9, s30
	v_rcp_iflag_f32_e32 v0, v0
	s_ashr_i32 s3, s3, 31
	s_mov_b32 s33, 0
	v_mul_f32_e32 v0, 0x4f7ffffe, v0
	v_cvt_u32_f32_e32 v0, v0
	v_readfirstlane_b32 s12, v0
	s_mul_i32 s11, s11, s12
	s_mul_hi_u32 s11, s12, s11
	s_add_i32 s12, s12, s11
	s_mul_hi_u32 s11, s7, s12
	s_mul_i32 s12, s11, s2
	s_sub_i32 s7, s7, s12
	s_add_i32 s12, s11, 1
	s_sub_i32 s13, s7, s2
	s_cmp_ge_u32 s7, s2
	s_cselect_b32 s11, s12, s11
	s_cselect_b32 s7, s13, s7
	s_add_i32 s12, s11, 1
	s_cmp_ge_u32 s7, s2
	s_cselect_b32 s2, s12, s11
	s_xor_b32 s2, s2, s3
	s_sub_i32 s11, s2, s3
	s_abs_i32 s16, s11
	v_cvt_f32_u32_e32 v0, s16
	s_load_dwordx2 s[2:3], s[4:5], 0x40
	s_sub_i32 s7, 0, s16
	s_abs_i32 s17, s6
	v_rcp_iflag_f32_e32 v0, v0
	v_mul_f32_e32 v0, 0x4f7ffffe, v0
	v_cvt_u32_f32_e32 v0, v0
	v_readfirstlane_b32 s12, v0
	s_mul_i32 s7, s7, s12
	s_mul_hi_u32 s7, s12, s7
	s_add_i32 s12, s12, s7
	s_waitcnt lgkmcnt(0)
	s_cmp_eq_u64 s[2:3], 0
	s_mul_hi_u32 s18, s17, s12
	s_cbranch_scc1 .LBB178_2
; %bb.1:
	s_ashr_i32 s7, s6, 31
	s_lshl_b64 s[12:13], s[6:7], 2
	s_add_u32 s2, s2, s12
	s_addc_u32 s3, s3, s13
	s_load_dword s33, s[2:3], 0x0
.LBB178_2:
	s_load_dword s30, s[0:1], 0x0
	s_ashr_i32 s19, s11, 31
	s_load_dword s11, s[4:5], 0x88
	s_load_dwordx4 s[12:15], s[4:5], 0x48
	s_movk_i32 s0, 0xc0
	s_ashr_i32 s7, s6, 31
	v_and_b32_e32 v1, 7, v10
	s_mul_i32 s20, s6, 0xc0
	v_cmp_gt_u32_e32 vcc, s0, v10
	v_lshlrev_b32_e32 v11, 2, v10
	s_and_saveexec_b64 s[0:1], vcc
	s_cbranch_execz .LBB178_5
; %bb.3:
	s_load_dwordx2 s[2:3], s[4:5], 0x8
	s_waitcnt lgkmcnt(0)
	s_mul_i32 s22, s12, s10
	s_ashr_i32 s23, s22, 31
	s_lshl_b64 s[22:23], s[22:23], 2
	v_lshrrev_b32_e32 v2, 3, v10
	s_add_u32 s6, s2, s22
	s_addc_u32 s12, s3, s23
	s_ashr_i32 s21, s20, 31
	s_lshl_b64 s[2:3], s[20:21], 2
	s_add_u32 s2, s6, s2
	s_addc_u32 s3, s12, s3
	global_load_dword v3, v11, s[2:3]
	s_movk_i32 s6, 0x60
	v_lshlrev_b32_e32 v0, 2, v2
	v_mad_u32_u24 v0, v1, s6, v0
	v_cmp_gt_u32_e32 vcc, 64, v10
	s_waitcnt vmcnt(0)
	ds_write_b32 v0, v3
	s_and_b64 exec, exec, vcc
	s_cbranch_execz .LBB178_5
; %bb.4:
	v_lshlrev_b32_e32 v2, 5, v2
	v_lshlrev_b32_e32 v3, 2, v1
	s_movk_i32 s6, 0x200
	v_or3_b32 v2, v2, v3, s6
	global_load_dword v2, v2, s[2:3]
	s_waitcnt vmcnt(0)
	ds_write_b32 v0, v2 offset:64
.LBB178_5:
	s_or_b64 exec, exec, s[0:1]
	s_waitcnt lgkmcnt(0)
	s_add_i32 s1, s30, 7
	s_ashr_i32 s2, s1, 31
	s_lshr_b32 s2, s2, 29
	s_add_i32 s1, s1, s2
	s_mul_i32 s2, s18, s16
	s_sub_i32 s2, s17, s2
	s_ashr_i32 s21, s1, 3
	s_xor_b32 s1, s7, s19
	s_add_i32 s3, s18, 1
	s_sub_i32 s6, s2, s16
	s_load_dwordx2 s[24:25], s[4:5], 0x28
	s_load_dword s0, s[4:5], 0x38
	s_cmp_ge_u32 s2, s16
	s_cselect_b32 s3, s3, s18
	s_cselect_b32 s2, s6, s2
	s_add_i32 s6, s3, 1
	s_cmp_ge_u32 s2, s16
	s_cselect_b32 s2, s6, s3
	v_lshrrev_b32_e32 v32, 6, v10
	s_xor_b32 s2, s2, s1
	s_waitcnt lgkmcnt(0)
	s_mul_i32 s26, s0, s10
	s_sub_i32 s12, s2, s1
	s_ashr_i32 s27, s26, 31
	v_cmp_gt_i32_e64 s[0:1], s21, v32
	v_cmp_le_i32_e32 vcc, s21, v32
	v_mbcnt_lo_u32_b32 v0, -1, 0
	s_barrier
                                        ; implicit-def: $vgpr13
                                        ; implicit-def: $vgpr7
                                        ; implicit-def: $vgpr14
	s_and_saveexec_b64 s[2:3], vcc
	s_xor_b64 s[2:3], exec, s[2:3]
; %bb.6:
	v_mbcnt_hi_u32_b32 v13, -1, v0
	v_and_b32_e32 v7, 64, v13
	v_add_u32_e32 v14, 64, v7
                                        ; implicit-def: $vgpr1
                                        ; implicit-def: $vgpr0
; %bb.7:
	s_or_saveexec_b64 s[6:7], s[2:3]
	s_load_dwordx2 s[22:23], s[4:5], 0x0
	s_load_dwordx2 s[28:29], s[4:5], 0x18
	s_load_dwordx4 s[16:19], s[4:5], 0x58
	v_mov_b32_e32 v38, 0xff7fffff
	s_mul_i32 s12, s12, s14
	v_lshrrev_b32_e32 v12, 4, v10
	s_xor_b64 exec, exec, s[6:7]
	s_cbranch_execz .LBB178_157
; %bb.8:
	s_load_dwordx2 s[2:3], s[4:5], 0x10
	s_ashr_i32 s4, s12, 31
	v_bfe_u32 v2, v10, 3, 3
	v_lshlrev_b32_e32 v3, 4, v2
	v_mbcnt_hi_u32_b32 v5, -1, v0
	s_waitcnt lgkmcnt(0)
	s_add_u32 s2, s2, s12
	s_addc_u32 s3, s3, s4
	v_mov_b32_e32 v4, s3
	v_add_co_u32_e32 v3, vcc, s2, v3
	v_and_b32_e32 v0, 64, v5
	v_addc_co_u32_e32 v4, vcc, 0, v4, vcc
	buffer_store_dword v0, off, s[44:47], 0 offset:36 ; 4-byte Folded Spill
	v_add_u32_e32 v6, 64, v0
	v_xor_b32_e32 v0, 4, v5
	v_cmp_lt_i32_e32 vcc, v0, v6
	v_cndmask_b32_e32 v0, v5, v0, vcc
	v_lshlrev_b32_e32 v0, 2, v0
	buffer_store_dword v0, off, s[44:47], 0 ; 4-byte Folded Spill
	v_xor_b32_e32 v0, 2, v5
	v_cmp_lt_i32_e32 vcc, v0, v6
	v_cndmask_b32_e32 v0, v5, v0, vcc
	v_lshlrev_b32_e32 v0, 2, v0
	buffer_store_dword v0, off, s[44:47], 0 offset:4 ; 4-byte Folded Spill
	v_xor_b32_e32 v0, 1, v5
	v_cmp_lt_i32_e32 vcc, v0, v6
	v_cndmask_b32_e32 v0, v5, v0, vcc
	v_lshlrev_b32_e32 v0, 2, v0
	buffer_store_dword v0, off, s[44:47], 0 offset:8 ; 4-byte Folded Spill
	v_add_co_u32_e64 v0, s[4:5], v3, v1
	v_mul_u32_u24_e32 v21, 0x60, v1
	v_cmp_eq_u32_e32 vcc, 0, v1
	v_addc_co_u32_e64 v1, s[4:5], 0, v4, s[4:5]
	buffer_store_dword v11, off, s[44:47], 0 offset:24 ; 4-byte Folded Spill
	buffer_store_dword v10, off, s[44:47], 0 offset:20 ; 4-byte Folded Spill
	;; [unrolled: 1-line block ×3, first 2 shown]
	s_load_dword s39, s[16:17], 0x0
	buffer_store_dword v0, off, s[44:47], 0 offset:12 ; 4-byte Folded Spill
	s_nop 0
	buffer_store_dword v1, off, s[44:47], 0 offset:16 ; 4-byte Folded Spill
	s_sub_i32 s40, 1, s30
	v_lshlrev_b32_e32 v0, 2, v2
	s_lshl_b64 s[4:5], s[26:27], 2
	v_lshl_or_b32 v0, v32, 5, v0
	s_add_u32 s4, s24, s4
	v_add_u32_e32 v43, 0x310, v0
	v_and_b32_e32 v0, 60, v12
	s_addc_u32 s5, s25, s5
	buffer_store_dword v12, off, s[44:47], 0 offset:28 ; 4-byte Folded Spill
	v_mov_b32_e32 v1, s5
	v_add_co_u32_e64 v27, s[4:5], s4, v0
	v_lshl_or_b32 v42, v32, 3, v2
	v_addc_co_u32_e64 v28, s[4:5], 0, v1, s[4:5]
	ds_read_b128 v[1:4], v21
	ds_read_b128 v[5:8], v21 offset:16
	ds_read_b128 v[9:12], v21 offset:32
	ds_read_b128 v[13:16], v21 offset:48
	ds_read_b128 v[17:20], v21 offset:64
	ds_read_b128 v[21:24], v21 offset:80
	s_mov_b32 s38, s13
	v_cmp_neq_f32_e64 s[2:3], s33, 0
	v_mov_b32_e32 v38, 0xff7fffff
	s_mov_b64 s[14:15], 0
	s_movk_i32 s41, 0x80
	s_movk_i32 s42, 0x7f
	v_bfrev_b32_e32 v44, 60
	v_mov_b32_e32 v45, v32
	s_branch .LBB178_10
.LBB178_9:                              ;   in Loop: Header=BB178_10 Depth=1
	s_or_b64 exec, exec, s[16:17]
	v_add_u32_e32 v45, 2, v45
	v_cmp_le_i32_e64 s[4:5], s21, v45
	s_or_b64 s[14:15], s[4:5], s[14:15]
	v_add_co_u32_e64 v27, s[4:5], 8, v27
	v_add_u32_e32 v42, 16, v42
	v_add_u32_e32 v43, 64, v43
	v_addc_co_u32_e64 v28, s[4:5], 0, v28, s[4:5]
	s_andn2_b64 exec, exec, s[14:15]
	s_cbranch_execz .LBB178_156
.LBB178_10:                             ; =>This Inner Loop Header: Depth=1
	global_load_dword v0, v[27:28], off
	buffer_load_dword v25, off, s[44:47], 0 offset:12 ; 4-byte Folded Reload
	buffer_load_dword v26, off, s[44:47], 0 offset:16 ; 4-byte Folded Reload
	v_mov_b32_e32 v46, 0
	s_waitcnt vmcnt(0) lgkmcnt(0)
	v_mad_i64_i32 v[29:30], s[4:5], v0, s38, v[25:26]
	global_load_ubyte v0, v[29:30], off
	s_waitcnt vmcnt(0)
	v_cmp_ne_u16_e64 s[4:5], 0, v0
	s_and_saveexec_b64 s[16:17], s[4:5]
	s_cbranch_execz .LBB178_16
; %bb.11:                               ;   in Loop: Header=BB178_10 Depth=1
	v_cmp_ne_u16_e64 s[4:5], s41, v0
	v_bfrev_b32_e32 v46, 1
	s_and_saveexec_b64 s[34:35], s[4:5]
	s_cbranch_execz .LBB178_15
; %bb.12:                               ;   in Loop: Header=BB178_10 Depth=1
	v_and_b32_e32 v31, 0xffff, v0
	v_and_b32_e32 v33, 0x7f, v31
	v_cmp_ne_u32_e64 s[4:5], s42, v33
	v_mov_b32_e32 v46, 0x7f800001
	s_and_saveexec_b64 s[36:37], s[4:5]
	s_cbranch_execz .LBB178_14
; %bb.13:                               ;   in Loop: Header=BB178_10 Depth=1
	v_and_b32_e32 v36, 7, v31
	v_ffbh_u32_e32 v34, v36
	v_min_u32_e32 v39, 32, v34
	v_subrev_u32_e32 v34, 28, v39
	v_lshlrev_b64 v[34:35], v34, v[31:32]
	v_lshrrev_b32_e32 v37, 3, v33
	v_sub_u32_e32 v31, 29, v39
	v_and_b32_e32 v34, 7, v34
	v_cmp_gt_u32_e64 s[4:5], 8, v33
	v_cndmask_b32_e64 v31, v37, v31, s[4:5]
	v_cndmask_b32_e64 v33, v36, v34, s[4:5]
	v_lshlrev_b32_e32 v0, 24, v0
	v_lshlrev_b32_e32 v33, 20, v33
	v_and_b32_e32 v0, 0x80000000, v0
	v_lshl_add_u32 v31, v31, 23, v44
	v_or3_b32 v46, v0, v31, v33
.LBB178_14:                             ;   in Loop: Header=BB178_10 Depth=1
	s_or_b64 exec, exec, s[36:37]
.LBB178_15:                             ;   in Loop: Header=BB178_10 Depth=1
	s_or_b64 exec, exec, s[34:35]
.LBB178_16:                             ;   in Loop: Header=BB178_10 Depth=1
	s_or_b64 exec, exec, s[16:17]
	global_load_ubyte v0, v[29:30], off offset:8
	v_mov_b32_e32 v47, 0
	v_mov_b32_e32 v48, 0
	s_waitcnt vmcnt(0)
	v_cmp_ne_u16_e64 s[4:5], 0, v0
	s_and_saveexec_b64 s[16:17], s[4:5]
	s_cbranch_execz .LBB178_22
; %bb.17:                               ;   in Loop: Header=BB178_10 Depth=1
	v_cmp_ne_u16_e64 s[4:5], s41, v0
	v_bfrev_b32_e32 v48, 1
	s_and_saveexec_b64 s[34:35], s[4:5]
	s_cbranch_execz .LBB178_21
; %bb.18:                               ;   in Loop: Header=BB178_10 Depth=1
	v_and_b32_e32 v31, 0xffff, v0
	v_and_b32_e32 v33, 0x7f, v31
	v_cmp_ne_u32_e64 s[4:5], s42, v33
	v_mov_b32_e32 v48, 0x7f800001
	s_and_saveexec_b64 s[36:37], s[4:5]
	s_cbranch_execz .LBB178_20
; %bb.19:                               ;   in Loop: Header=BB178_10 Depth=1
	v_and_b32_e32 v36, 7, v31
	v_ffbh_u32_e32 v34, v36
	v_min_u32_e32 v39, 32, v34
	v_subrev_u32_e32 v34, 28, v39
	v_lshlrev_b64 v[34:35], v34, v[31:32]
	v_lshrrev_b32_e32 v37, 3, v33
	v_sub_u32_e32 v31, 29, v39
	v_and_b32_e32 v34, 7, v34
	v_cmp_gt_u32_e64 s[4:5], 8, v33
	v_cndmask_b32_e64 v31, v37, v31, s[4:5]
	v_cndmask_b32_e64 v33, v36, v34, s[4:5]
	v_lshlrev_b32_e32 v0, 24, v0
	v_lshlrev_b32_e32 v33, 20, v33
	v_and_b32_e32 v0, 0x80000000, v0
	v_lshl_add_u32 v31, v31, 23, v44
	v_or3_b32 v48, v0, v31, v33
.LBB178_20:                             ;   in Loop: Header=BB178_10 Depth=1
	s_or_b64 exec, exec, s[36:37]
.LBB178_21:                             ;   in Loop: Header=BB178_10 Depth=1
	s_or_b64 exec, exec, s[34:35]
.LBB178_22:                             ;   in Loop: Header=BB178_10 Depth=1
	s_or_b64 exec, exec, s[16:17]
	global_load_ubyte v0, v[29:30], off offset:128
	s_waitcnt vmcnt(0)
	v_cmp_ne_u16_e64 s[4:5], 0, v0
	s_and_saveexec_b64 s[16:17], s[4:5]
	s_cbranch_execz .LBB178_28
; %bb.23:                               ;   in Loop: Header=BB178_10 Depth=1
	v_cmp_ne_u16_e64 s[4:5], s41, v0
	v_bfrev_b32_e32 v47, 1
	s_and_saveexec_b64 s[34:35], s[4:5]
	s_cbranch_execz .LBB178_27
; %bb.24:                               ;   in Loop: Header=BB178_10 Depth=1
	v_and_b32_e32 v31, 0xffff, v0
	v_and_b32_e32 v33, 0x7f, v31
	v_cmp_ne_u32_e64 s[4:5], s42, v33
	v_mov_b32_e32 v47, 0x7f800001
	s_and_saveexec_b64 s[36:37], s[4:5]
	s_cbranch_execz .LBB178_26
; %bb.25:                               ;   in Loop: Header=BB178_10 Depth=1
	v_and_b32_e32 v36, 7, v31
	v_ffbh_u32_e32 v34, v36
	v_min_u32_e32 v39, 32, v34
	v_subrev_u32_e32 v34, 28, v39
	v_lshlrev_b64 v[34:35], v34, v[31:32]
	v_lshrrev_b32_e32 v37, 3, v33
	v_sub_u32_e32 v31, 29, v39
	v_and_b32_e32 v34, 7, v34
	v_cmp_gt_u32_e64 s[4:5], 8, v33
	v_cndmask_b32_e64 v31, v37, v31, s[4:5]
	v_cndmask_b32_e64 v33, v36, v34, s[4:5]
	v_lshlrev_b32_e32 v0, 24, v0
	v_lshlrev_b32_e32 v33, 20, v33
	v_and_b32_e32 v0, 0x80000000, v0
	v_lshl_add_u32 v31, v31, 23, v44
	v_or3_b32 v47, v0, v31, v33
.LBB178_26:                             ;   in Loop: Header=BB178_10 Depth=1
	s_or_b64 exec, exec, s[36:37]
.LBB178_27:                             ;   in Loop: Header=BB178_10 Depth=1
	s_or_b64 exec, exec, s[34:35]
.LBB178_28:                             ;   in Loop: Header=BB178_10 Depth=1
	s_or_b64 exec, exec, s[16:17]
	global_load_ubyte v0, v[29:30], off offset:136
	v_mov_b32_e32 v49, 0
	v_mov_b32_e32 v50, 0
	s_waitcnt vmcnt(0)
	v_cmp_ne_u16_e64 s[4:5], 0, v0
	s_and_saveexec_b64 s[16:17], s[4:5]
	s_cbranch_execz .LBB178_34
; %bb.29:                               ;   in Loop: Header=BB178_10 Depth=1
	v_cmp_ne_u16_e64 s[4:5], s41, v0
	v_bfrev_b32_e32 v50, 1
	s_and_saveexec_b64 s[34:35], s[4:5]
	s_cbranch_execz .LBB178_33
; %bb.30:                               ;   in Loop: Header=BB178_10 Depth=1
	v_and_b32_e32 v31, 0xffff, v0
	v_and_b32_e32 v33, 0x7f, v31
	v_cmp_ne_u32_e64 s[4:5], s42, v33
	v_mov_b32_e32 v50, 0x7f800001
	s_and_saveexec_b64 s[36:37], s[4:5]
	s_cbranch_execz .LBB178_32
; %bb.31:                               ;   in Loop: Header=BB178_10 Depth=1
	v_and_b32_e32 v36, 7, v31
	v_ffbh_u32_e32 v34, v36
	v_min_u32_e32 v39, 32, v34
	v_subrev_u32_e32 v34, 28, v39
	v_lshlrev_b64 v[34:35], v34, v[31:32]
	v_lshrrev_b32_e32 v37, 3, v33
	v_sub_u32_e32 v31, 29, v39
	v_and_b32_e32 v34, 7, v34
	v_cmp_gt_u32_e64 s[4:5], 8, v33
	v_cndmask_b32_e64 v31, v37, v31, s[4:5]
	v_cndmask_b32_e64 v33, v36, v34, s[4:5]
	v_lshlrev_b32_e32 v0, 24, v0
	v_lshlrev_b32_e32 v33, 20, v33
	v_and_b32_e32 v0, 0x80000000, v0
	v_lshl_add_u32 v31, v31, 23, v44
	v_or3_b32 v50, v0, v31, v33
.LBB178_32:                             ;   in Loop: Header=BB178_10 Depth=1
	s_or_b64 exec, exec, s[36:37]
.LBB178_33:                             ;   in Loop: Header=BB178_10 Depth=1
	s_or_b64 exec, exec, s[34:35]
.LBB178_34:                             ;   in Loop: Header=BB178_10 Depth=1
	s_or_b64 exec, exec, s[16:17]
	global_load_ubyte v0, v[29:30], off offset:256
	s_waitcnt vmcnt(0)
	v_cmp_ne_u16_e64 s[4:5], 0, v0
	s_and_saveexec_b64 s[16:17], s[4:5]
	s_cbranch_execz .LBB178_40
; %bb.35:                               ;   in Loop: Header=BB178_10 Depth=1
	v_cmp_ne_u16_e64 s[4:5], s41, v0
	v_bfrev_b32_e32 v49, 1
	s_and_saveexec_b64 s[34:35], s[4:5]
	s_cbranch_execz .LBB178_39
; %bb.36:                               ;   in Loop: Header=BB178_10 Depth=1
	v_and_b32_e32 v31, 0xffff, v0
	v_and_b32_e32 v33, 0x7f, v31
	v_cmp_ne_u32_e64 s[4:5], s42, v33
	v_mov_b32_e32 v49, 0x7f800001
	s_and_saveexec_b64 s[36:37], s[4:5]
	s_cbranch_execz .LBB178_38
; %bb.37:                               ;   in Loop: Header=BB178_10 Depth=1
	v_and_b32_e32 v36, 7, v31
	v_ffbh_u32_e32 v34, v36
	v_min_u32_e32 v39, 32, v34
	v_subrev_u32_e32 v34, 28, v39
	v_lshlrev_b64 v[34:35], v34, v[31:32]
	v_lshrrev_b32_e32 v37, 3, v33
	v_sub_u32_e32 v31, 29, v39
	v_and_b32_e32 v34, 7, v34
	v_cmp_gt_u32_e64 s[4:5], 8, v33
	v_cndmask_b32_e64 v31, v37, v31, s[4:5]
	v_cndmask_b32_e64 v33, v36, v34, s[4:5]
	v_lshlrev_b32_e32 v0, 24, v0
	v_lshlrev_b32_e32 v33, 20, v33
	v_and_b32_e32 v0, 0x80000000, v0
	v_lshl_add_u32 v31, v31, 23, v44
	v_or3_b32 v49, v0, v31, v33
.LBB178_38:                             ;   in Loop: Header=BB178_10 Depth=1
	s_or_b64 exec, exec, s[36:37]
.LBB178_39:                             ;   in Loop: Header=BB178_10 Depth=1
	s_or_b64 exec, exec, s[34:35]
.LBB178_40:                             ;   in Loop: Header=BB178_10 Depth=1
	s_or_b64 exec, exec, s[16:17]
	global_load_ubyte v0, v[29:30], off offset:264
	v_mov_b32_e32 v51, 0
	v_mov_b32_e32 v52, 0
	s_waitcnt vmcnt(0)
	v_cmp_ne_u16_e64 s[4:5], 0, v0
	s_and_saveexec_b64 s[16:17], s[4:5]
	s_cbranch_execz .LBB178_46
; %bb.41:                               ;   in Loop: Header=BB178_10 Depth=1
	v_cmp_ne_u16_e64 s[4:5], s41, v0
	v_bfrev_b32_e32 v52, 1
	s_and_saveexec_b64 s[34:35], s[4:5]
	s_cbranch_execz .LBB178_45
; %bb.42:                               ;   in Loop: Header=BB178_10 Depth=1
	v_and_b32_e32 v31, 0xffff, v0
	v_and_b32_e32 v33, 0x7f, v31
	v_cmp_ne_u32_e64 s[4:5], s42, v33
	v_mov_b32_e32 v52, 0x7f800001
	s_and_saveexec_b64 s[36:37], s[4:5]
	s_cbranch_execz .LBB178_44
; %bb.43:                               ;   in Loop: Header=BB178_10 Depth=1
	v_and_b32_e32 v36, 7, v31
	v_ffbh_u32_e32 v34, v36
	v_min_u32_e32 v39, 32, v34
	v_subrev_u32_e32 v34, 28, v39
	v_lshlrev_b64 v[34:35], v34, v[31:32]
	v_lshrrev_b32_e32 v37, 3, v33
	v_sub_u32_e32 v31, 29, v39
	v_and_b32_e32 v34, 7, v34
	v_cmp_gt_u32_e64 s[4:5], 8, v33
	v_cndmask_b32_e64 v31, v37, v31, s[4:5]
	v_cndmask_b32_e64 v33, v36, v34, s[4:5]
	v_lshlrev_b32_e32 v0, 24, v0
	v_lshlrev_b32_e32 v33, 20, v33
	v_and_b32_e32 v0, 0x80000000, v0
	v_lshl_add_u32 v31, v31, 23, v44
	v_or3_b32 v52, v0, v31, v33
.LBB178_44:                             ;   in Loop: Header=BB178_10 Depth=1
	s_or_b64 exec, exec, s[36:37]
.LBB178_45:                             ;   in Loop: Header=BB178_10 Depth=1
	s_or_b64 exec, exec, s[34:35]
.LBB178_46:                             ;   in Loop: Header=BB178_10 Depth=1
	s_or_b64 exec, exec, s[16:17]
	global_load_ubyte v0, v[29:30], off offset:384
	s_waitcnt vmcnt(0)
	v_cmp_ne_u16_e64 s[4:5], 0, v0
	s_and_saveexec_b64 s[16:17], s[4:5]
	s_cbranch_execz .LBB178_52
; %bb.47:                               ;   in Loop: Header=BB178_10 Depth=1
	v_cmp_ne_u16_e64 s[4:5], s41, v0
	v_bfrev_b32_e32 v51, 1
	s_and_saveexec_b64 s[34:35], s[4:5]
	s_cbranch_execz .LBB178_51
; %bb.48:                               ;   in Loop: Header=BB178_10 Depth=1
	v_and_b32_e32 v31, 0xffff, v0
	v_and_b32_e32 v33, 0x7f, v31
	v_cmp_ne_u32_e64 s[4:5], s42, v33
	v_mov_b32_e32 v51, 0x7f800001
	s_and_saveexec_b64 s[36:37], s[4:5]
	s_cbranch_execz .LBB178_50
; %bb.49:                               ;   in Loop: Header=BB178_10 Depth=1
	v_and_b32_e32 v36, 7, v31
	v_ffbh_u32_e32 v34, v36
	v_min_u32_e32 v39, 32, v34
	v_subrev_u32_e32 v34, 28, v39
	v_lshlrev_b64 v[34:35], v34, v[31:32]
	v_lshrrev_b32_e32 v37, 3, v33
	v_sub_u32_e32 v31, 29, v39
	v_and_b32_e32 v34, 7, v34
	v_cmp_gt_u32_e64 s[4:5], 8, v33
	v_cndmask_b32_e64 v31, v37, v31, s[4:5]
	v_cndmask_b32_e64 v33, v36, v34, s[4:5]
	v_lshlrev_b32_e32 v0, 24, v0
	v_lshlrev_b32_e32 v33, 20, v33
	v_and_b32_e32 v0, 0x80000000, v0
	v_lshl_add_u32 v31, v31, 23, v44
	v_or3_b32 v51, v0, v31, v33
.LBB178_50:                             ;   in Loop: Header=BB178_10 Depth=1
	s_or_b64 exec, exec, s[36:37]
.LBB178_51:                             ;   in Loop: Header=BB178_10 Depth=1
	s_or_b64 exec, exec, s[34:35]
.LBB178_52:                             ;   in Loop: Header=BB178_10 Depth=1
	s_or_b64 exec, exec, s[16:17]
	global_load_ubyte v0, v[29:30], off offset:392
	v_mov_b32_e32 v53, 0
	v_mov_b32_e32 v54, 0
	s_waitcnt vmcnt(0)
	v_cmp_ne_u16_e64 s[4:5], 0, v0
	s_and_saveexec_b64 s[16:17], s[4:5]
	s_cbranch_execz .LBB178_58
; %bb.53:                               ;   in Loop: Header=BB178_10 Depth=1
	v_cmp_ne_u16_e64 s[4:5], s41, v0
	v_bfrev_b32_e32 v54, 1
	s_and_saveexec_b64 s[34:35], s[4:5]
	s_cbranch_execz .LBB178_57
; %bb.54:                               ;   in Loop: Header=BB178_10 Depth=1
	v_and_b32_e32 v31, 0xffff, v0
	v_and_b32_e32 v33, 0x7f, v31
	v_cmp_ne_u32_e64 s[4:5], s42, v33
	v_mov_b32_e32 v54, 0x7f800001
	s_and_saveexec_b64 s[36:37], s[4:5]
	s_cbranch_execz .LBB178_56
; %bb.55:                               ;   in Loop: Header=BB178_10 Depth=1
	v_and_b32_e32 v36, 7, v31
	v_ffbh_u32_e32 v34, v36
	v_min_u32_e32 v39, 32, v34
	v_subrev_u32_e32 v34, 28, v39
	v_lshlrev_b64 v[34:35], v34, v[31:32]
	v_lshrrev_b32_e32 v37, 3, v33
	v_sub_u32_e32 v31, 29, v39
	v_and_b32_e32 v34, 7, v34
	v_cmp_gt_u32_e64 s[4:5], 8, v33
	v_cndmask_b32_e64 v31, v37, v31, s[4:5]
	v_cndmask_b32_e64 v33, v36, v34, s[4:5]
	v_lshlrev_b32_e32 v0, 24, v0
	v_lshlrev_b32_e32 v33, 20, v33
	v_and_b32_e32 v0, 0x80000000, v0
	v_lshl_add_u32 v31, v31, 23, v44
	v_or3_b32 v54, v0, v31, v33
.LBB178_56:                             ;   in Loop: Header=BB178_10 Depth=1
	s_or_b64 exec, exec, s[36:37]
.LBB178_57:                             ;   in Loop: Header=BB178_10 Depth=1
	s_or_b64 exec, exec, s[34:35]
.LBB178_58:                             ;   in Loop: Header=BB178_10 Depth=1
	s_or_b64 exec, exec, s[16:17]
	global_load_ubyte v0, v[29:30], off offset:512
	s_waitcnt vmcnt(0)
	v_cmp_ne_u16_e64 s[4:5], 0, v0
	s_and_saveexec_b64 s[16:17], s[4:5]
	s_cbranch_execz .LBB178_64
; %bb.59:                               ;   in Loop: Header=BB178_10 Depth=1
	v_cmp_ne_u16_e64 s[4:5], s41, v0
	v_bfrev_b32_e32 v53, 1
	s_and_saveexec_b64 s[34:35], s[4:5]
	s_cbranch_execz .LBB178_63
; %bb.60:                               ;   in Loop: Header=BB178_10 Depth=1
	v_and_b32_e32 v31, 0xffff, v0
	v_and_b32_e32 v33, 0x7f, v31
	v_cmp_ne_u32_e64 s[4:5], s42, v33
	v_mov_b32_e32 v53, 0x7f800001
	s_and_saveexec_b64 s[36:37], s[4:5]
	s_cbranch_execz .LBB178_62
; %bb.61:                               ;   in Loop: Header=BB178_10 Depth=1
	v_and_b32_e32 v36, 7, v31
	v_ffbh_u32_e32 v34, v36
	v_min_u32_e32 v39, 32, v34
	v_subrev_u32_e32 v34, 28, v39
	v_lshlrev_b64 v[34:35], v34, v[31:32]
	v_lshrrev_b32_e32 v37, 3, v33
	v_sub_u32_e32 v31, 29, v39
	v_and_b32_e32 v34, 7, v34
	v_cmp_gt_u32_e64 s[4:5], 8, v33
	v_cndmask_b32_e64 v31, v37, v31, s[4:5]
	v_cndmask_b32_e64 v33, v36, v34, s[4:5]
	v_lshlrev_b32_e32 v0, 24, v0
	v_lshlrev_b32_e32 v33, 20, v33
	v_and_b32_e32 v0, 0x80000000, v0
	v_lshl_add_u32 v31, v31, 23, v44
	v_or3_b32 v53, v0, v31, v33
.LBB178_62:                             ;   in Loop: Header=BB178_10 Depth=1
	s_or_b64 exec, exec, s[36:37]
.LBB178_63:                             ;   in Loop: Header=BB178_10 Depth=1
	s_or_b64 exec, exec, s[34:35]
.LBB178_64:                             ;   in Loop: Header=BB178_10 Depth=1
	s_or_b64 exec, exec, s[16:17]
	global_load_ubyte v0, v[29:30], off offset:520
	v_mov_b32_e32 v55, 0
	v_mov_b32_e32 v56, 0
	s_waitcnt vmcnt(0)
	v_cmp_ne_u16_e64 s[4:5], 0, v0
	s_and_saveexec_b64 s[16:17], s[4:5]
	s_cbranch_execz .LBB178_70
; %bb.65:                               ;   in Loop: Header=BB178_10 Depth=1
	v_cmp_ne_u16_e64 s[4:5], s41, v0
	v_bfrev_b32_e32 v56, 1
	s_and_saveexec_b64 s[34:35], s[4:5]
	s_cbranch_execz .LBB178_69
; %bb.66:                               ;   in Loop: Header=BB178_10 Depth=1
	v_and_b32_e32 v31, 0xffff, v0
	v_and_b32_e32 v33, 0x7f, v31
	v_cmp_ne_u32_e64 s[4:5], s42, v33
	v_mov_b32_e32 v56, 0x7f800001
	s_and_saveexec_b64 s[36:37], s[4:5]
	s_cbranch_execz .LBB178_68
; %bb.67:                               ;   in Loop: Header=BB178_10 Depth=1
	v_and_b32_e32 v36, 7, v31
	v_ffbh_u32_e32 v34, v36
	v_min_u32_e32 v39, 32, v34
	v_subrev_u32_e32 v34, 28, v39
	v_lshlrev_b64 v[34:35], v34, v[31:32]
	v_lshrrev_b32_e32 v37, 3, v33
	v_sub_u32_e32 v31, 29, v39
	v_and_b32_e32 v34, 7, v34
	v_cmp_gt_u32_e64 s[4:5], 8, v33
	v_cndmask_b32_e64 v31, v37, v31, s[4:5]
	v_cndmask_b32_e64 v33, v36, v34, s[4:5]
	v_lshlrev_b32_e32 v0, 24, v0
	v_lshlrev_b32_e32 v33, 20, v33
	v_and_b32_e32 v0, 0x80000000, v0
	v_lshl_add_u32 v31, v31, 23, v44
	v_or3_b32 v56, v0, v31, v33
.LBB178_68:                             ;   in Loop: Header=BB178_10 Depth=1
	s_or_b64 exec, exec, s[36:37]
.LBB178_69:                             ;   in Loop: Header=BB178_10 Depth=1
	s_or_b64 exec, exec, s[34:35]
.LBB178_70:                             ;   in Loop: Header=BB178_10 Depth=1
	s_or_b64 exec, exec, s[16:17]
	global_load_ubyte v0, v[29:30], off offset:640
	s_waitcnt vmcnt(0)
	v_cmp_ne_u16_e64 s[4:5], 0, v0
	s_and_saveexec_b64 s[16:17], s[4:5]
	s_cbranch_execz .LBB178_76
; %bb.71:                               ;   in Loop: Header=BB178_10 Depth=1
	v_cmp_ne_u16_e64 s[4:5], s41, v0
	v_bfrev_b32_e32 v55, 1
	s_and_saveexec_b64 s[34:35], s[4:5]
	s_cbranch_execz .LBB178_75
; %bb.72:                               ;   in Loop: Header=BB178_10 Depth=1
	v_and_b32_e32 v31, 0xffff, v0
	v_and_b32_e32 v33, 0x7f, v31
	v_cmp_ne_u32_e64 s[4:5], s42, v33
	v_mov_b32_e32 v55, 0x7f800001
	s_and_saveexec_b64 s[36:37], s[4:5]
	s_cbranch_execz .LBB178_74
; %bb.73:                               ;   in Loop: Header=BB178_10 Depth=1
	v_and_b32_e32 v36, 7, v31
	v_ffbh_u32_e32 v34, v36
	v_min_u32_e32 v39, 32, v34
	v_subrev_u32_e32 v34, 28, v39
	v_lshlrev_b64 v[34:35], v34, v[31:32]
	v_lshrrev_b32_e32 v37, 3, v33
	v_sub_u32_e32 v31, 29, v39
	v_and_b32_e32 v34, 7, v34
	v_cmp_gt_u32_e64 s[4:5], 8, v33
	v_cndmask_b32_e64 v31, v37, v31, s[4:5]
	v_cndmask_b32_e64 v33, v36, v34, s[4:5]
	v_lshlrev_b32_e32 v0, 24, v0
	v_lshlrev_b32_e32 v33, 20, v33
	v_and_b32_e32 v0, 0x80000000, v0
	v_lshl_add_u32 v31, v31, 23, v44
	v_or3_b32 v55, v0, v31, v33
.LBB178_74:                             ;   in Loop: Header=BB178_10 Depth=1
	s_or_b64 exec, exec, s[36:37]
.LBB178_75:                             ;   in Loop: Header=BB178_10 Depth=1
	s_or_b64 exec, exec, s[34:35]
.LBB178_76:                             ;   in Loop: Header=BB178_10 Depth=1
	s_or_b64 exec, exec, s[16:17]
	global_load_ubyte v0, v[29:30], off offset:648
	v_mov_b32_e32 v57, 0
	v_mov_b32_e32 v58, 0
	s_waitcnt vmcnt(0)
	v_cmp_ne_u16_e64 s[4:5], 0, v0
	s_and_saveexec_b64 s[16:17], s[4:5]
	s_cbranch_execz .LBB178_82
; %bb.77:                               ;   in Loop: Header=BB178_10 Depth=1
	v_cmp_ne_u16_e64 s[4:5], s41, v0
	v_bfrev_b32_e32 v58, 1
	s_and_saveexec_b64 s[34:35], s[4:5]
	s_cbranch_execz .LBB178_81
; %bb.78:                               ;   in Loop: Header=BB178_10 Depth=1
	v_and_b32_e32 v31, 0xffff, v0
	v_and_b32_e32 v33, 0x7f, v31
	v_cmp_ne_u32_e64 s[4:5], s42, v33
	v_mov_b32_e32 v58, 0x7f800001
	s_and_saveexec_b64 s[36:37], s[4:5]
	s_cbranch_execz .LBB178_80
; %bb.79:                               ;   in Loop: Header=BB178_10 Depth=1
	v_and_b32_e32 v35, 7, v31
	v_lshrrev_b32_e32 v36, 3, v33
	v_cmp_gt_u32_e64 s[4:5], 8, v33
	v_ffbh_u32_e32 v33, v35
	v_min_u32_e32 v37, 32, v33
	v_subrev_u32_e32 v33, 28, v37
	v_lshlrev_b64 v[33:34], v33, v[31:32]
	v_sub_u32_e32 v31, 29, v37
	v_and_b32_e32 v33, 7, v33
	v_cndmask_b32_e64 v31, v36, v31, s[4:5]
	v_cndmask_b32_e64 v33, v35, v33, s[4:5]
	v_lshlrev_b32_e32 v0, 24, v0
	v_lshlrev_b32_e32 v33, 20, v33
	v_and_b32_e32 v0, 0x80000000, v0
	v_lshl_add_u32 v31, v31, 23, v44
	v_or3_b32 v58, v0, v31, v33
.LBB178_80:                             ;   in Loop: Header=BB178_10 Depth=1
	s_or_b64 exec, exec, s[36:37]
.LBB178_81:                             ;   in Loop: Header=BB178_10 Depth=1
	s_or_b64 exec, exec, s[34:35]
.LBB178_82:                             ;   in Loop: Header=BB178_10 Depth=1
	s_or_b64 exec, exec, s[16:17]
	global_load_ubyte v0, v[29:30], off offset:768
	s_waitcnt vmcnt(0)
	v_cmp_ne_u16_e64 s[4:5], 0, v0
	s_and_saveexec_b64 s[16:17], s[4:5]
	s_cbranch_execz .LBB178_88
; %bb.83:                               ;   in Loop: Header=BB178_10 Depth=1
	v_cmp_ne_u16_e64 s[4:5], s41, v0
	v_bfrev_b32_e32 v57, 1
	s_and_saveexec_b64 s[34:35], s[4:5]
	s_cbranch_execz .LBB178_87
; %bb.84:                               ;   in Loop: Header=BB178_10 Depth=1
	v_and_b32_e32 v31, 0xffff, v0
	v_and_b32_e32 v33, 0x7f, v31
	v_cmp_ne_u32_e64 s[4:5], s42, v33
	v_mov_b32_e32 v57, 0x7f800001
	s_and_saveexec_b64 s[36:37], s[4:5]
	s_cbranch_execz .LBB178_86
; %bb.85:                               ;   in Loop: Header=BB178_10 Depth=1
	v_and_b32_e32 v35, 7, v31
	v_lshrrev_b32_e32 v36, 3, v33
	v_cmp_gt_u32_e64 s[4:5], 8, v33
	v_ffbh_u32_e32 v33, v35
	v_min_u32_e32 v37, 32, v33
	v_subrev_u32_e32 v33, 28, v37
	v_lshlrev_b64 v[33:34], v33, v[31:32]
	v_sub_u32_e32 v31, 29, v37
	v_and_b32_e32 v33, 7, v33
	v_cndmask_b32_e64 v31, v36, v31, s[4:5]
	v_cndmask_b32_e64 v33, v35, v33, s[4:5]
	v_lshlrev_b32_e32 v0, 24, v0
	v_lshlrev_b32_e32 v33, 20, v33
	v_and_b32_e32 v0, 0x80000000, v0
	v_lshl_add_u32 v31, v31, 23, v44
	v_or3_b32 v57, v0, v31, v33
.LBB178_86:                             ;   in Loop: Header=BB178_10 Depth=1
	s_or_b64 exec, exec, s[36:37]
.LBB178_87:                             ;   in Loop: Header=BB178_10 Depth=1
	s_or_b64 exec, exec, s[34:35]
.LBB178_88:                             ;   in Loop: Header=BB178_10 Depth=1
	s_or_b64 exec, exec, s[16:17]
	global_load_ubyte v0, v[29:30], off offset:776
	v_mov_b32_e32 v59, 0
	v_mov_b32_e32 v60, 0
	s_waitcnt vmcnt(0)
	v_cmp_ne_u16_e64 s[4:5], 0, v0
	s_and_saveexec_b64 s[16:17], s[4:5]
	s_cbranch_execz .LBB178_94
; %bb.89:                               ;   in Loop: Header=BB178_10 Depth=1
	v_cmp_ne_u16_e64 s[4:5], s41, v0
	v_bfrev_b32_e32 v60, 1
	s_and_saveexec_b64 s[34:35], s[4:5]
	s_cbranch_execz .LBB178_93
; %bb.90:                               ;   in Loop: Header=BB178_10 Depth=1
	v_and_b32_e32 v31, 0xffff, v0
	v_and_b32_e32 v33, 0x7f, v31
	v_cmp_ne_u32_e64 s[4:5], s42, v33
	v_mov_b32_e32 v60, 0x7f800001
	s_and_saveexec_b64 s[36:37], s[4:5]
	s_cbranch_execz .LBB178_92
; %bb.91:                               ;   in Loop: Header=BB178_10 Depth=1
	v_and_b32_e32 v35, 7, v31
	v_lshrrev_b32_e32 v36, 3, v33
	v_cmp_gt_u32_e64 s[4:5], 8, v33
	v_ffbh_u32_e32 v33, v35
	v_min_u32_e32 v37, 32, v33
	v_subrev_u32_e32 v33, 28, v37
	v_lshlrev_b64 v[33:34], v33, v[31:32]
	v_sub_u32_e32 v31, 29, v37
	v_and_b32_e32 v33, 7, v33
	v_cndmask_b32_e64 v31, v36, v31, s[4:5]
	v_cndmask_b32_e64 v33, v35, v33, s[4:5]
	v_lshlrev_b32_e32 v0, 24, v0
	v_lshlrev_b32_e32 v33, 20, v33
	v_and_b32_e32 v0, 0x80000000, v0
	v_lshl_add_u32 v31, v31, 23, v44
	v_or3_b32 v60, v0, v31, v33
.LBB178_92:                             ;   in Loop: Header=BB178_10 Depth=1
	s_or_b64 exec, exec, s[36:37]
.LBB178_93:                             ;   in Loop: Header=BB178_10 Depth=1
	s_or_b64 exec, exec, s[34:35]
.LBB178_94:                             ;   in Loop: Header=BB178_10 Depth=1
	s_or_b64 exec, exec, s[16:17]
	global_load_ubyte v0, v[29:30], off offset:896
	s_waitcnt vmcnt(0)
	v_cmp_ne_u16_e64 s[4:5], 0, v0
	s_and_saveexec_b64 s[16:17], s[4:5]
	s_cbranch_execz .LBB178_100
; %bb.95:                               ;   in Loop: Header=BB178_10 Depth=1
	v_cmp_ne_u16_e64 s[4:5], s41, v0
	v_bfrev_b32_e32 v59, 1
	s_and_saveexec_b64 s[34:35], s[4:5]
	s_cbranch_execz .LBB178_99
; %bb.96:                               ;   in Loop: Header=BB178_10 Depth=1
	v_and_b32_e32 v31, 0xffff, v0
	v_and_b32_e32 v33, 0x7f, v31
	v_cmp_ne_u32_e64 s[4:5], s42, v33
	v_mov_b32_e32 v59, 0x7f800001
	s_and_saveexec_b64 s[36:37], s[4:5]
	s_cbranch_execz .LBB178_98
; %bb.97:                               ;   in Loop: Header=BB178_10 Depth=1
	v_and_b32_e32 v35, 7, v31
	v_lshrrev_b32_e32 v36, 3, v33
	v_cmp_gt_u32_e64 s[4:5], 8, v33
	v_ffbh_u32_e32 v33, v35
	v_min_u32_e32 v37, 32, v33
	v_subrev_u32_e32 v33, 28, v37
	v_lshlrev_b64 v[33:34], v33, v[31:32]
	v_sub_u32_e32 v31, 29, v37
	v_and_b32_e32 v33, 7, v33
	v_cndmask_b32_e64 v31, v36, v31, s[4:5]
	v_cndmask_b32_e64 v33, v35, v33, s[4:5]
	v_lshlrev_b32_e32 v0, 24, v0
	v_lshlrev_b32_e32 v33, 20, v33
	v_and_b32_e32 v0, 0x80000000, v0
	v_lshl_add_u32 v31, v31, 23, v44
	v_or3_b32 v59, v0, v31, v33
.LBB178_98:                             ;   in Loop: Header=BB178_10 Depth=1
	s_or_b64 exec, exec, s[36:37]
.LBB178_99:                             ;   in Loop: Header=BB178_10 Depth=1
	s_or_b64 exec, exec, s[34:35]
.LBB178_100:                            ;   in Loop: Header=BB178_10 Depth=1
	s_or_b64 exec, exec, s[16:17]
	global_load_ubyte v0, v[29:30], off offset:904
	v_mov_b32_e32 v61, 0
	v_mov_b32_e32 v62, 0
	s_waitcnt vmcnt(0)
	v_cmp_ne_u16_e64 s[4:5], 0, v0
	s_and_saveexec_b64 s[16:17], s[4:5]
	s_cbranch_execz .LBB178_106
; %bb.101:                              ;   in Loop: Header=BB178_10 Depth=1
	v_cmp_ne_u16_e64 s[4:5], s41, v0
	v_bfrev_b32_e32 v62, 1
	s_and_saveexec_b64 s[34:35], s[4:5]
	s_cbranch_execz .LBB178_105
; %bb.102:                              ;   in Loop: Header=BB178_10 Depth=1
	v_and_b32_e32 v31, 0xffff, v0
	v_and_b32_e32 v33, 0x7f, v31
	v_cmp_ne_u32_e64 s[4:5], s42, v33
	v_mov_b32_e32 v62, 0x7f800001
	s_and_saveexec_b64 s[36:37], s[4:5]
	s_cbranch_execz .LBB178_104
; %bb.103:                              ;   in Loop: Header=BB178_10 Depth=1
	v_and_b32_e32 v35, 7, v31
	v_lshrrev_b32_e32 v36, 3, v33
	v_cmp_gt_u32_e64 s[4:5], 8, v33
	v_ffbh_u32_e32 v33, v35
	v_min_u32_e32 v37, 32, v33
	v_subrev_u32_e32 v33, 28, v37
	v_lshlrev_b64 v[33:34], v33, v[31:32]
	v_sub_u32_e32 v31, 29, v37
	v_and_b32_e32 v33, 7, v33
	v_cndmask_b32_e64 v31, v36, v31, s[4:5]
	v_cndmask_b32_e64 v33, v35, v33, s[4:5]
	v_lshlrev_b32_e32 v0, 24, v0
	v_lshlrev_b32_e32 v33, 20, v33
	v_and_b32_e32 v0, 0x80000000, v0
	v_lshl_add_u32 v31, v31, 23, v44
	v_or3_b32 v62, v0, v31, v33
.LBB178_104:                            ;   in Loop: Header=BB178_10 Depth=1
	s_or_b64 exec, exec, s[36:37]
.LBB178_105:                            ;   in Loop: Header=BB178_10 Depth=1
	s_or_b64 exec, exec, s[34:35]
.LBB178_106:                            ;   in Loop: Header=BB178_10 Depth=1
	s_or_b64 exec, exec, s[16:17]
	global_load_ubyte v0, v[29:30], off offset:1024
	s_waitcnt vmcnt(0)
	v_cmp_ne_u16_e64 s[4:5], 0, v0
	s_and_saveexec_b64 s[16:17], s[4:5]
	s_cbranch_execz .LBB178_112
; %bb.107:                              ;   in Loop: Header=BB178_10 Depth=1
	v_cmp_ne_u16_e64 s[4:5], s41, v0
	v_bfrev_b32_e32 v61, 1
	s_and_saveexec_b64 s[34:35], s[4:5]
	s_cbranch_execz .LBB178_111
; %bb.108:                              ;   in Loop: Header=BB178_10 Depth=1
	v_and_b32_e32 v31, 0xffff, v0
	v_and_b32_e32 v33, 0x7f, v31
	v_cmp_ne_u32_e64 s[4:5], s42, v33
	v_mov_b32_e32 v61, 0x7f800001
	s_and_saveexec_b64 s[36:37], s[4:5]
	s_cbranch_execz .LBB178_110
; %bb.109:                              ;   in Loop: Header=BB178_10 Depth=1
	v_and_b32_e32 v35, 7, v31
	v_lshrrev_b32_e32 v36, 3, v33
	v_cmp_gt_u32_e64 s[4:5], 8, v33
	v_ffbh_u32_e32 v33, v35
	v_min_u32_e32 v37, 32, v33
	v_subrev_u32_e32 v33, 28, v37
	v_lshlrev_b64 v[33:34], v33, v[31:32]
	v_sub_u32_e32 v31, 29, v37
	v_and_b32_e32 v33, 7, v33
	v_cndmask_b32_e64 v31, v36, v31, s[4:5]
	v_cndmask_b32_e64 v33, v35, v33, s[4:5]
	v_lshlrev_b32_e32 v0, 24, v0
	v_lshlrev_b32_e32 v33, 20, v33
	v_and_b32_e32 v0, 0x80000000, v0
	v_lshl_add_u32 v31, v31, 23, v44
	v_or3_b32 v61, v0, v31, v33
.LBB178_110:                            ;   in Loop: Header=BB178_10 Depth=1
	s_or_b64 exec, exec, s[36:37]
.LBB178_111:                            ;   in Loop: Header=BB178_10 Depth=1
	s_or_b64 exec, exec, s[34:35]
.LBB178_112:                            ;   in Loop: Header=BB178_10 Depth=1
	s_or_b64 exec, exec, s[16:17]
	global_load_ubyte v0, v[29:30], off offset:1032
	v_mov_b32_e32 v63, 0
	v_mov_b32_e32 v34, 0
	s_waitcnt vmcnt(0)
	v_cmp_ne_u16_e64 s[4:5], 0, v0
	s_and_saveexec_b64 s[16:17], s[4:5]
	s_cbranch_execz .LBB178_118
; %bb.113:                              ;   in Loop: Header=BB178_10 Depth=1
	v_cmp_ne_u16_e64 s[4:5], s41, v0
	v_bfrev_b32_e32 v34, 1
	s_and_saveexec_b64 s[34:35], s[4:5]
	s_cbranch_execz .LBB178_117
; %bb.114:                              ;   in Loop: Header=BB178_10 Depth=1
	v_and_b32_e32 v31, 0xffff, v0
	v_and_b32_e32 v33, 0x7f, v31
	v_cmp_ne_u32_e64 s[4:5], s42, v33
	v_mov_b32_e32 v34, 0x7f800001
	s_and_saveexec_b64 s[36:37], s[4:5]
	s_cbranch_execz .LBB178_116
; %bb.115:                              ;   in Loop: Header=BB178_10 Depth=1
	v_and_b32_e32 v35, 7, v31
	v_lshrrev_b32_e32 v36, 3, v33
	v_cmp_gt_u32_e64 s[4:5], 8, v33
	v_ffbh_u32_e32 v33, v35
	v_min_u32_e32 v37, 32, v33
	v_subrev_u32_e32 v33, 28, v37
	v_lshlrev_b64 v[33:34], v33, v[31:32]
	v_sub_u32_e32 v31, 29, v37
	v_and_b32_e32 v33, 7, v33
	v_cndmask_b32_e64 v31, v36, v31, s[4:5]
	v_cndmask_b32_e64 v33, v35, v33, s[4:5]
	v_lshlrev_b32_e32 v0, 24, v0
	v_lshlrev_b32_e32 v33, 20, v33
	v_and_b32_e32 v0, 0x80000000, v0
	v_lshl_add_u32 v31, v31, 23, v44
	v_or3_b32 v34, v0, v31, v33
.LBB178_116:                            ;   in Loop: Header=BB178_10 Depth=1
	s_or_b64 exec, exec, s[36:37]
.LBB178_117:                            ;   in Loop: Header=BB178_10 Depth=1
	s_or_b64 exec, exec, s[34:35]
.LBB178_118:                            ;   in Loop: Header=BB178_10 Depth=1
	s_or_b64 exec, exec, s[16:17]
	global_load_ubyte v0, v[29:30], off offset:1152
	s_waitcnt vmcnt(0)
	v_cmp_ne_u16_e64 s[4:5], 0, v0
	s_and_saveexec_b64 s[16:17], s[4:5]
	s_cbranch_execz .LBB178_124
; %bb.119:                              ;   in Loop: Header=BB178_10 Depth=1
	v_cmp_ne_u16_e64 s[4:5], s41, v0
	v_bfrev_b32_e32 v63, 1
	s_and_saveexec_b64 s[34:35], s[4:5]
	s_cbranch_execz .LBB178_123
; %bb.120:                              ;   in Loop: Header=BB178_10 Depth=1
	v_and_b32_e32 v31, 0xffff, v0
	v_and_b32_e32 v33, 0x7f, v31
	v_cmp_ne_u32_e64 s[4:5], s42, v33
	v_mov_b32_e32 v63, 0x7f800001
	s_and_saveexec_b64 s[36:37], s[4:5]
	s_cbranch_execz .LBB178_122
; %bb.121:                              ;   in Loop: Header=BB178_10 Depth=1
	v_and_b32_e32 v37, 7, v31
	v_lshrrev_b32_e32 v39, 3, v33
	v_cmp_gt_u32_e64 s[4:5], 8, v33
	v_ffbh_u32_e32 v33, v37
	v_min_u32_e32 v33, 32, v33
	v_subrev_u32_e32 v35, 28, v33
	v_lshlrev_b64 v[35:36], v35, v[31:32]
	v_sub_u32_e32 v31, 29, v33
	v_and_b32_e32 v33, 7, v35
	v_cndmask_b32_e64 v31, v39, v31, s[4:5]
	v_cndmask_b32_e64 v33, v37, v33, s[4:5]
	v_lshlrev_b32_e32 v0, 24, v0
	v_lshlrev_b32_e32 v33, 20, v33
	v_and_b32_e32 v0, 0x80000000, v0
	v_lshl_add_u32 v31, v31, 23, v44
	v_or3_b32 v63, v0, v31, v33
.LBB178_122:                            ;   in Loop: Header=BB178_10 Depth=1
	s_or_b64 exec, exec, s[36:37]
.LBB178_123:                            ;   in Loop: Header=BB178_10 Depth=1
	s_or_b64 exec, exec, s[34:35]
.LBB178_124:                            ;   in Loop: Header=BB178_10 Depth=1
	s_or_b64 exec, exec, s[16:17]
	global_load_ubyte v0, v[29:30], off offset:1160
	v_mov_b32_e32 v33, 0
	v_mov_b32_e32 v37, 0
	s_waitcnt vmcnt(0)
	v_cmp_ne_u16_e64 s[4:5], 0, v0
	s_and_saveexec_b64 s[16:17], s[4:5]
	s_cbranch_execz .LBB178_130
; %bb.125:                              ;   in Loop: Header=BB178_10 Depth=1
	v_cmp_ne_u16_e64 s[4:5], s41, v0
	v_bfrev_b32_e32 v37, 1
	s_and_saveexec_b64 s[34:35], s[4:5]
	s_cbranch_execz .LBB178_129
; %bb.126:                              ;   in Loop: Header=BB178_10 Depth=1
	v_and_b32_e32 v31, 0xffff, v0
	v_and_b32_e32 v35, 0x7f, v31
	v_cmp_ne_u32_e64 s[4:5], s42, v35
	v_mov_b32_e32 v37, 0x7f800001
	s_and_saveexec_b64 s[36:37], s[4:5]
	s_cbranch_execz .LBB178_128
; %bb.127:                              ;   in Loop: Header=BB178_10 Depth=1
	v_and_b32_e32 v37, 7, v31
	v_lshrrev_b32_e32 v39, 3, v35
	v_cmp_gt_u32_e64 s[4:5], 8, v35
	v_ffbh_u32_e32 v35, v37
	v_min_u32_e32 v40, 32, v35
	v_subrev_u32_e32 v35, 28, v40
	v_lshlrev_b64 v[35:36], v35, v[31:32]
	v_sub_u32_e32 v31, 29, v40
	v_and_b32_e32 v35, 7, v35
	v_cndmask_b32_e64 v31, v39, v31, s[4:5]
	v_cndmask_b32_e64 v35, v37, v35, s[4:5]
	v_lshlrev_b32_e32 v0, 24, v0
	v_lshlrev_b32_e32 v35, 20, v35
	v_and_b32_e32 v0, 0x80000000, v0
	v_lshl_add_u32 v31, v31, 23, v44
	v_or3_b32 v37, v0, v31, v35
.LBB178_128:                            ;   in Loop: Header=BB178_10 Depth=1
	s_or_b64 exec, exec, s[36:37]
.LBB178_129:                            ;   in Loop: Header=BB178_10 Depth=1
	s_or_b64 exec, exec, s[34:35]
.LBB178_130:                            ;   in Loop: Header=BB178_10 Depth=1
	s_or_b64 exec, exec, s[16:17]
	global_load_ubyte v0, v[29:30], off offset:1280
	s_waitcnt vmcnt(0)
	v_cmp_ne_u16_e64 s[4:5], 0, v0
	s_and_saveexec_b64 s[16:17], s[4:5]
	s_cbranch_execz .LBB178_136
; %bb.131:                              ;   in Loop: Header=BB178_10 Depth=1
	v_cmp_ne_u16_e64 s[4:5], s41, v0
	v_bfrev_b32_e32 v33, 1
	s_and_saveexec_b64 s[34:35], s[4:5]
	s_cbranch_execz .LBB178_135
; %bb.132:                              ;   in Loop: Header=BB178_10 Depth=1
	v_and_b32_e32 v31, 0xffff, v0
	v_and_b32_e32 v35, 0x7f, v31
	v_cmp_ne_u32_e64 s[4:5], s42, v35
	v_mov_b32_e32 v33, 0x7f800001
	s_and_saveexec_b64 s[36:37], s[4:5]
	s_cbranch_execz .LBB178_134
; %bb.133:                              ;   in Loop: Header=BB178_10 Depth=1
	v_and_b32_e32 v33, 7, v31
	v_lshrrev_b32_e32 v39, 3, v35
	v_cmp_gt_u32_e64 s[4:5], 8, v35
	v_ffbh_u32_e32 v35, v33
	v_min_u32_e32 v40, 32, v35
	v_subrev_u32_e32 v35, 28, v40
	v_lshlrev_b64 v[35:36], v35, v[31:32]
	v_sub_u32_e32 v31, 29, v40
	v_and_b32_e32 v35, 7, v35
	v_cndmask_b32_e64 v31, v39, v31, s[4:5]
	v_cndmask_b32_e64 v33, v33, v35, s[4:5]
	v_lshlrev_b32_e32 v0, 24, v0
	v_lshlrev_b32_e32 v33, 20, v33
	v_and_b32_e32 v0, 0x80000000, v0
	v_lshl_add_u32 v31, v31, 23, v44
	v_or3_b32 v33, v0, v31, v33
.LBB178_134:                            ;   in Loop: Header=BB178_10 Depth=1
	s_or_b64 exec, exec, s[36:37]
.LBB178_135:                            ;   in Loop: Header=BB178_10 Depth=1
	s_or_b64 exec, exec, s[34:35]
.LBB178_136:                            ;   in Loop: Header=BB178_10 Depth=1
	s_or_b64 exec, exec, s[16:17]
	global_load_ubyte v35, v[29:30], off offset:1288
	v_mov_b32_e32 v36, 0
	v_mov_b32_e32 v0, 0
	s_waitcnt vmcnt(0)
	v_cmp_ne_u16_e64 s[4:5], 0, v35
	s_and_saveexec_b64 s[16:17], s[4:5]
	s_cbranch_execz .LBB178_142
; %bb.137:                              ;   in Loop: Header=BB178_10 Depth=1
	v_cmp_ne_u16_e64 s[4:5], s41, v35
	v_bfrev_b32_e32 v0, 1
	s_and_saveexec_b64 s[34:35], s[4:5]
	s_cbranch_execz .LBB178_141
; %bb.138:                              ;   in Loop: Header=BB178_10 Depth=1
	v_and_b32_e32 v31, 0xffff, v35
	v_and_b32_e32 v39, 0x7f, v31
	v_cmp_ne_u32_e64 s[4:5], s42, v39
	v_mov_b32_e32 v0, 0x7f800001
	s_and_saveexec_b64 s[36:37], s[4:5]
	s_cbranch_execz .LBB178_140
; %bb.139:                              ;   in Loop: Header=BB178_10 Depth=1
	v_and_b32_e32 v0, 7, v31
	v_lshrrev_b32_e32 v41, 3, v39
	v_cmp_gt_u32_e64 s[4:5], 8, v39
	v_ffbh_u32_e32 v39, v0
	v_min_u32_e32 v25, 32, v39
	v_subrev_u32_e32 v26, 28, v25
	v_lshlrev_b64 v[39:40], v26, v[31:32]
	v_sub_u32_e32 v25, 29, v25
	v_and_b32_e32 v26, 7, v39
	v_cndmask_b32_e64 v25, v41, v25, s[4:5]
	v_cndmask_b32_e64 v0, v0, v26, s[4:5]
	v_lshlrev_b32_e32 v26, 24, v35
	v_lshlrev_b32_e32 v0, 20, v0
	v_and_b32_e32 v26, 0x80000000, v26
	v_lshl_add_u32 v25, v25, 23, v44
	v_or3_b32 v0, v26, v25, v0
.LBB178_140:                            ;   in Loop: Header=BB178_10 Depth=1
	s_or_b64 exec, exec, s[36:37]
.LBB178_141:                            ;   in Loop: Header=BB178_10 Depth=1
	s_or_b64 exec, exec, s[34:35]
.LBB178_142:                            ;   in Loop: Header=BB178_10 Depth=1
	s_or_b64 exec, exec, s[16:17]
	global_load_ubyte v35, v[29:30], off offset:1408
	s_waitcnt vmcnt(0)
	v_cmp_ne_u16_e64 s[4:5], 0, v35
	s_and_saveexec_b64 s[16:17], s[4:5]
	s_cbranch_execz .LBB178_148
; %bb.143:                              ;   in Loop: Header=BB178_10 Depth=1
	v_cmp_ne_u16_e64 s[4:5], s41, v35
	v_bfrev_b32_e32 v36, 1
	s_and_saveexec_b64 s[34:35], s[4:5]
	s_cbranch_execz .LBB178_147
; %bb.144:                              ;   in Loop: Header=BB178_10 Depth=1
	v_and_b32_e32 v31, 0xffff, v35
	v_and_b32_e32 v39, 0x7f, v31
	v_cmp_ne_u32_e64 s[4:5], s42, v39
	v_mov_b32_e32 v36, 0x7f800001
	s_and_saveexec_b64 s[36:37], s[4:5]
	s_cbranch_execz .LBB178_146
; %bb.145:                              ;   in Loop: Header=BB178_10 Depth=1
	v_and_b32_e32 v25, 7, v31
	v_ffbh_u32_e32 v36, v25
	v_min_u32_e32 v36, 32, v36
	v_lshrrev_b32_e32 v26, 3, v39
	v_cmp_gt_u32_e64 s[4:5], 8, v39
	v_subrev_u32_e32 v39, 28, v36
	v_lshlrev_b64 v[39:40], v39, v[31:32]
	v_sub_u32_e32 v31, 29, v36
	v_and_b32_e32 v36, 7, v39
	v_cndmask_b32_e64 v26, v26, v31, s[4:5]
	v_cndmask_b32_e64 v25, v25, v36, s[4:5]
	v_lshlrev_b32_e32 v31, 24, v35
	v_lshlrev_b32_e32 v25, 20, v25
	v_and_b32_e32 v31, 0x80000000, v31
	v_lshl_add_u32 v26, v26, 23, v44
	v_or3_b32 v36, v31, v26, v25
.LBB178_146:                            ;   in Loop: Header=BB178_10 Depth=1
	s_or_b64 exec, exec, s[36:37]
.LBB178_147:                            ;   in Loop: Header=BB178_10 Depth=1
	s_or_b64 exec, exec, s[34:35]
.LBB178_148:                            ;   in Loop: Header=BB178_10 Depth=1
	s_or_b64 exec, exec, s[16:17]
	global_load_ubyte v31, v[29:30], off offset:1416
	v_mov_b32_e32 v30, 0
	s_waitcnt vmcnt(0)
	v_cmp_ne_u16_e64 s[4:5], 0, v31
	s_and_saveexec_b64 s[16:17], s[4:5]
	s_cbranch_execz .LBB178_154
; %bb.149:                              ;   in Loop: Header=BB178_10 Depth=1
	v_cmp_ne_u16_e64 s[4:5], s41, v31
	v_bfrev_b32_e32 v30, 1
	s_and_saveexec_b64 s[34:35], s[4:5]
	s_cbranch_execz .LBB178_153
; %bb.150:                              ;   in Loop: Header=BB178_10 Depth=1
	v_and_b32_e32 v29, 0xffff, v31
	v_and_b32_e32 v35, 0x7f, v29
	v_cmp_ne_u32_e64 s[4:5], s42, v35
	v_mov_b32_e32 v30, 0x7f800001
	s_and_saveexec_b64 s[36:37], s[4:5]
	s_cbranch_execz .LBB178_152
; %bb.151:                              ;   in Loop: Header=BB178_10 Depth=1
	v_and_b32_e32 v25, 7, v29
	v_ffbh_u32_e32 v30, v25
	v_lshrrev_b32_e32 v26, 3, v35
	v_cmp_gt_u32_e64 s[4:5], 8, v35
	v_min_u32_e32 v35, 32, v30
	v_subrev_u32_e32 v30, 28, v35
	v_lshlrev_b64 v[29:30], v30, v[29:30]
	v_sub_u32_e32 v30, 29, v35
	v_and_b32_e32 v29, 7, v29
	v_cndmask_b32_e64 v26, v26, v30, s[4:5]
	v_cndmask_b32_e64 v25, v25, v29, s[4:5]
	v_lshlrev_b32_e32 v29, 24, v31
	v_lshlrev_b32_e32 v25, 20, v25
	v_and_b32_e32 v29, 0x80000000, v29
	v_lshl_add_u32 v26, v26, 23, v44
	v_or3_b32 v30, v29, v26, v25
.LBB178_152:                            ;   in Loop: Header=BB178_10 Depth=1
	s_or_b64 exec, exec, s[36:37]
.LBB178_153:                            ;   in Loop: Header=BB178_10 Depth=1
	s_or_b64 exec, exec, s[34:35]
.LBB178_154:                            ;   in Loop: Header=BB178_10 Depth=1
	s_or_b64 exec, exec, s[16:17]
	s_waitcnt lgkmcnt(0)
	v_mul_f32_e32 v48, s39, v48
	v_mul_f32_e32 v46, s39, v46
	;; [unrolled: 1-line block ×4, first 2 shown]
	v_fmac_f32_e32 v48, v1, v46
	v_mul_f32_e32 v50, s39, v50
	v_fmac_f32_e32 v48, v3, v47
	v_mul_f32_e32 v49, s39, v49
	;; [unrolled: 2-line block ×7, first 2 shown]
	v_mul_f32_e32 v55, s39, v56
	v_fmac_f32_e32 v48, v9, v53
	v_fmac_f32_e32 v48, v10, v55
	v_mul_f32_e32 v40, s39, v58
	v_fmac_f32_e32 v48, v11, v41
	v_mul_f32_e32 v39, s39, v57
	;; [unrolled: 2-line block ×3, first 2 shown]
	v_mul_f32_e32 v37, s39, v60
	v_fmac_f32_e32 v48, v13, v39
	v_mul_f32_e32 v25, s39, v36
	v_mul_f32_e32 v36, s39, v59
	v_fmac_f32_e32 v48, v14, v37
	v_mul_f32_e32 v35, s39, v62
	v_fmac_f32_e32 v48, v15, v36
	v_mul_f32_e32 v26, s39, v33
	v_mul_f32_e32 v33, s39, v34
	;; [unrolled: 1-line block ×3, first 2 shown]
	v_fmac_f32_e32 v48, v16, v35
	v_fmac_f32_e32 v48, v17, v34
	v_mul_f32_e32 v31, s39, v63
	v_fmac_f32_e32 v48, v18, v33
	v_fmac_f32_e32 v48, v19, v31
	;; [unrolled: 1-line block ×3, first 2 shown]
	v_mul_f32_e32 v0, s39, v0
	v_fmac_f32_e32 v48, v21, v26
	v_fmac_f32_e32 v48, v22, v0
	buffer_load_dword v0, off, s[44:47], 0  ; 4-byte Folded Reload
	v_fmac_f32_e32 v48, v23, v25
	buffer_load_dword v25, off, s[44:47], 0 offset:4 ; 4-byte Folded Reload
	v_mul_f32_e32 v30, s39, v30
	v_fmac_f32_e32 v48, v24, v30
	s_waitcnt vmcnt(1)
	ds_bpermute_b32 v0, v0, v48
	s_waitcnt lgkmcnt(0)
	v_add_f32_e32 v0, v48, v0
	s_waitcnt vmcnt(0)
	ds_bpermute_b32 v25, v25, v0
	s_waitcnt lgkmcnt(0)
	v_add_f32_e32 v0, v0, v25
	buffer_load_dword v25, off, s[44:47], 0 offset:8 ; 4-byte Folded Reload
	s_waitcnt vmcnt(0)
	ds_bpermute_b32 v29, v25, v0
	s_and_saveexec_b64 s[16:17], vcc
	s_cbranch_execz .LBB178_9
; %bb.155:                              ;   in Loop: Header=BB178_10 Depth=1
	v_add_u32_e32 v25, s40, v42
	v_cvt_f32_i32_e32 v25, v25
	s_waitcnt lgkmcnt(0)
	v_add_f32_e32 v0, v0, v29
	v_cmp_gt_i32_e64 s[4:5], s30, v42
	v_max_f32_e32 v26, v38, v38
	v_mul_f32_e32 v25, s33, v25
	v_cndmask_b32_e64 v25, 0, v25, s[2:3]
	v_fmac_f32_e32 v25, s31, v0
	v_cndmask_b32_e64 v0, 0, v25, s[4:5]
	ds_write_b32 v43, v0
	v_max_f32_e32 v0, v26, v25
	v_cndmask_b32_e64 v38, v38, v0, s[4:5]
	s_branch .LBB178_9
.LBB178_156:
	s_or_b64 exec, exec, s[14:15]
	buffer_load_dword v10, off, s[44:47], 0 offset:20 ; 4-byte Folded Reload
	buffer_load_dword v11, off, s[44:47], 0 offset:24 ; 4-byte Folded Reload
	;; [unrolled: 1-line block ×5, first 2 shown]
	s_waitcnt vmcnt(0)
	v_add_u32_e32 v14, 64, v7
.LBB178_157:
	s_or_b64 exec, exec, s[6:7]
	v_xor_b32_e32 v0, 32, v13
	v_cmp_lt_i32_e32 vcc, v0, v14
	v_cndmask_b32_e32 v0, v13, v0, vcc
	v_lshlrev_b32_e32 v1, 2, v0
	ds_bpermute_b32 v0, v1, v38
	v_xor_b32_e32 v3, 16, v13
	v_max_f32_e32 v2, v38, v38
	v_cmp_lt_i32_e32 vcc, v3, v14
	v_xor_b32_e32 v4, 8, v13
	s_waitcnt lgkmcnt(0)
	v_max_f32_e32 v0, v0, v0
	v_max_f32_e32 v0, v2, v0
	v_cndmask_b32_e32 v2, v13, v3, vcc
	v_lshlrev_b32_e32 v3, 2, v2
	ds_bpermute_b32 v2, v3, v0
	v_cmp_lt_i32_e32 vcc, v4, v14
	v_and_b32_e32 v24, 63, v10
	s_waitcnt lgkmcnt(0)
	v_max_f32_e32 v2, v2, v2
	v_max_f32_e32 v2, v0, v2
	v_cndmask_b32_e32 v0, v13, v4, vcc
	v_lshlrev_b32_e32 v4, 2, v0
	ds_bpermute_b32 v5, v4, v2
	v_cmp_eq_u32_e32 vcc, 0, v24
	v_lshlrev_b32_e32 v0, 2, v32
	s_and_saveexec_b64 s[2:3], vcc
	s_cbranch_execz .LBB178_159
; %bb.158:
	s_waitcnt lgkmcnt(0)
	v_max_f32_e32 v5, v5, v5
	v_max_f32_e32 v2, v2, v2
	;; [unrolled: 1-line block ×3, first 2 shown]
	ds_write_b32 v0, v2 offset:768
.LBB178_159:
	s_or_b64 exec, exec, s[2:3]
	v_cmp_gt_u32_e64 s[2:3], 2, v24
	s_waitcnt lgkmcnt(0)
	v_mov_b32_e32 v5, 0xff7fffff
	v_lshlrev_b32_e32 v2, 2, v24
	s_barrier
	s_and_saveexec_b64 s[4:5], s[2:3]
; %bb.160:
	ds_read_b32 v5, v2 offset:768
; %bb.161:
	s_or_b64 exec, exec, s[4:5]
	v_xor_b32_e32 v6, 1, v13
	v_cmp_lt_i32_e64 s[4:5], v6, v14
	v_cndmask_b32_e64 v6, v13, v6, s[4:5]
	v_lshlrev_b32_e32 v25, 2, v6
	s_waitcnt lgkmcnt(0)
	ds_bpermute_b32 v6, v25, v5
	v_max_f32_e32 v5, v5, v5
	s_lshl_b32 s4, s21, 3
	s_min_i32 s31, s4, s30
	v_cmp_gt_i32_e64 s[4:5], s31, v10
	s_waitcnt lgkmcnt(0)
	v_max_f32_e32 v6, v6, v6
	v_max_f32_e32 v5, v5, v6
	v_lshlrev_b32_e32 v6, 2, v7
	ds_bpermute_b32 v6, v6, v5
	v_mov_b32_e32 v5, 0
	s_and_saveexec_b64 s[14:15], s[4:5]
	s_cbranch_execz .LBB178_165
; %bb.162:
	v_mov_b32_e32 v5, 0x310
	v_lshl_add_u32 v7, v10, 2, v5
	v_mov_b32_e32 v5, 0
	s_mov_b64 s[16:17], 0
	v_mov_b32_e32 v8, v10
.LBB178_163:                            ; =>This Inner Loop Header: Depth=1
	ds_read_b32 v9, v7
	v_add_u32_e32 v8, 0x80, v8
	v_cmp_le_i32_e64 s[6:7], s31, v8
	s_or_b64 s[16:17], s[6:7], s[16:17]
	s_waitcnt lgkmcnt(0)
	v_sub_f32_e32 v9, v9, v6
	v_mul_f32_e32 v9, 0x3fb8aa3b, v9
	v_exp_f32_e32 v9, v9
	ds_write_b32 v7, v9
	v_add_f32_e32 v5, v5, v9
	v_add_u32_e32 v7, 0x200, v7
	s_andn2_b64 exec, exec, s[16:17]
	s_cbranch_execnz .LBB178_163
; %bb.164:
	s_or_b64 exec, exec, s[16:17]
.LBB178_165:
	s_or_b64 exec, exec, s[14:15]
	ds_bpermute_b32 v1, v1, v5
	s_waitcnt lgkmcnt(0)
	v_add_f32_e32 v1, v5, v1
	ds_bpermute_b32 v3, v3, v1
	s_waitcnt lgkmcnt(0)
	v_add_f32_e32 v1, v1, v3
	ds_bpermute_b32 v3, v4, v1
	v_xor_b32_e32 v4, 4, v13
	v_cmp_lt_i32_e64 s[6:7], v4, v14
	v_cndmask_b32_e64 v4, v13, v4, s[6:7]
	v_lshlrev_b32_e32 v4, 2, v4
	s_waitcnt lgkmcnt(0)
	v_add_f32_e32 v1, v1, v3
	ds_bpermute_b32 v3, v4, v1
	v_xor_b32_e32 v4, 2, v13
	v_cmp_lt_i32_e64 s[6:7], v4, v14
	v_cndmask_b32_e64 v4, v13, v4, s[6:7]
	s_waitcnt lgkmcnt(0)
	v_add_f32_e32 v1, v1, v3
	v_lshlrev_b32_e32 v3, 2, v4
	ds_bpermute_b32 v3, v3, v1
	s_waitcnt lgkmcnt(0)
	v_add_f32_e32 v1, v1, v3
	ds_bpermute_b32 v3, v25, v1
	s_waitcnt lgkmcnt(0)
	v_add_f32_e32 v1, v1, v3
	s_and_saveexec_b64 s[6:7], vcc
; %bb.166:
	ds_write_b32 v0, v1 offset:776
; %bb.167:
	s_or_b64 exec, exec, s[6:7]
	s_waitcnt lgkmcnt(0)
	s_barrier
	s_and_saveexec_b64 s[6:7], s[2:3]
; %bb.168:
	ds_read_b32 v1, v2 offset:776
; %bb.169:
	s_or_b64 exec, exec, s[6:7]
	s_waitcnt lgkmcnt(0)
	ds_bpermute_b32 v0, v25, v1
	v_lshlrev_b32_e32 v2, 2, v13
	s_waitcnt lgkmcnt(0)
	v_add_f32_e32 v0, v1, v0
	v_and_b32_e32 v1, 0xffffff00, v2
	ds_bpermute_b32 v0, v1, v0
	s_and_saveexec_b64 s[2:3], s[4:5]
	s_cbranch_execz .LBB178_172
; %bb.170:
	s_waitcnt lgkmcnt(0)
	v_add_f32_e32 v1, 0x358637bd, v0
	v_div_scale_f32 v0, s[4:5], v1, v1, 1.0
	v_div_scale_f32 v2, vcc, 1.0, v1, 1.0
	s_mov_b64 s[4:5], 0
	v_rcp_f32_e32 v3, v0
	v_fma_f32 v4, -v0, v3, 1.0
	v_fmac_f32_e32 v3, v4, v3
	v_mul_f32_e32 v4, v2, v3
	v_fma_f32 v5, -v0, v4, v2
	v_fmac_f32_e32 v4, v5, v3
	v_fma_f32 v0, -v0, v4, v2
	v_div_fmas_f32 v2, v0, v3, v4
	v_mov_b32_e32 v0, 0x310
	v_lshl_add_u32 v0, v10, 2, v0
	v_div_fixup_f32 v1, v2, v1, 1.0
	v_mov_b32_e32 v2, v10
.LBB178_171:                            ; =>This Inner Loop Header: Depth=1
	ds_read_b32 v3, v0
	v_add_u32_e32 v2, 0x80, v2
	v_cmp_le_i32_e32 vcc, s31, v2
	s_or_b64 s[4:5], vcc, s[4:5]
	s_waitcnt lgkmcnt(0)
	v_mul_f32_e32 v3, v1, v3
	ds_write_b32 v0, v3
	v_add_u32_e32 v0, 0x200, v0
	s_andn2_b64 exec, exec, s[4:5]
	s_cbranch_execnz .LBB178_171
.LBB178_172:
	s_or_b64 exec, exec, s[2:3]
	v_mov_b32_e32 v35, 0
	v_and_b32_e32 v26, 1, v10
	v_mov_b32_e32 v31, 0
	v_mov_b32_e32 v30, 0
	;; [unrolled: 1-line block ×5, first 2 shown]
	s_waitcnt lgkmcnt(0)
	s_barrier
	s_and_saveexec_b64 s[2:3], s[0:1]
	s_cbranch_execz .LBB178_332
; %bb.173:
	s_ashr_i32 s0, s12, 31
	s_add_u32 s1, s28, s12
	v_and_b32_e32 v1, 0xfc, v11
	v_and_b32_e32 v0, 4, v11
	s_load_dword s17, s[18:19], 0x0
	s_addc_u32 s0, s29, s0
	v_add_co_u32_e32 v7, vcc, s1, v1
	v_lshlrev_b32_e32 v1, 3, v32
	s_add_i32 s19, s21, -1
	v_mov_b32_e32 v2, s0
	v_or3_b32 v33, v1, v0, 3
	v_lshlrev_b32_e32 v0, 4, v26
	s_lshl_b64 s[0:1], s[26:27], 2
	v_lshl_or_b32 v0, v32, 5, v0
	s_add_u32 s0, s24, s0
	v_addc_co_u32_e32 v8, vcc, 0, v2, vcc
	v_add_u32_e32 v36, 0x310, v0
	v_and_b32_e32 v0, 60, v12
	s_addc_u32 s1, s25, s1
	v_mov_b32_e32 v5, 0
	v_mov_b32_e32 v1, s1
	v_add_co_u32_e32 v9, vcc, s0, v0
	v_mov_b32_e32 v62, v10
	s_mov_b32 s16, s13
	s_waitcnt lgkmcnt(0)
	s_mov_b32 s18, s17
	v_addc_co_u32_e32 v10, vcc, 0, v1, vcc
	s_mov_b64 s[4:5], 0
	s_movk_i32 s24, 0x80
	s_movk_i32 s25, 0x7f
	s_brev_b32 s26, 1
	s_mov_b32 s27, 0xffffff
	v_bfrev_b32_e32 v34, 60
	v_bfrev_b32_e32 v6, 1
	v_mov_b32_e32 v12, 0x7f800001
	v_mov_b32_e32 v37, 7
	;; [unrolled: 1-line block ×9, first 2 shown]
	s_branch .LBB178_175
.LBB178_174:                            ;   in Loop: Header=BB178_175 Depth=1
	s_or_b64 exec, exec, s[0:1]
	s_waitcnt lgkmcnt(0)
	v_mul_f32_e32 v15, v1, v59
	v_fmac_f32_e32 v15, v2, v58
	v_fmac_f32_e32 v15, v3, v23
	v_fmac_f32_e32 v15, v4, v22
	v_add_f32_e32 v28, v28, v15
	v_mul_f32_e32 v15, v1, v57
	v_fmac_f32_e32 v15, v2, v54
	v_fmac_f32_e32 v15, v3, v56
	v_fmac_f32_e32 v15, v4, v55
	v_add_f32_e32 v29, v29, v15
	;; [unrolled: 5-line block ×4, first 2 shown]
	v_mul_f32_e32 v15, v1, v42
	v_mul_f32_e32 v1, v1, v14
	v_fmac_f32_e32 v15, v2, v39
	v_fmac_f32_e32 v1, v2, v0
	v_add_u32_e32 v32, 2, v32
	v_fmac_f32_e32 v15, v3, v41
	v_fmac_f32_e32 v1, v3, v13
	v_cmp_le_i32_e32 vcc, s21, v32
	v_fmac_f32_e32 v15, v4, v40
	v_fmac_f32_e32 v1, v4, v11
	s_or_b64 s[4:5], vcc, s[4:5]
	v_add_co_u32_e32 v9, vcc, 8, v9
	v_add_f32_e32 v35, v35, v15
	v_add_f32_e32 v27, v27, v1
	v_add_u32_e32 v33, 16, v33
	v_add_u32_e32 v36, 64, v36
	v_addc_co_u32_e32 v10, vcc, 0, v10, vcc
	s_andn2_b64 exec, exec, s[4:5]
	s_cbranch_execz .LBB178_331
.LBB178_175:                            ; =>This Inner Loop Header: Depth=1
	global_load_dword v0, v[9:10], off
	ds_read_b128 v[1:4], v36
	v_mov_b32_e32 v18, 0
	v_mov_b32_e32 v16, 0
	;; [unrolled: 1-line block ×4, first 2 shown]
	s_waitcnt vmcnt(0)
	v_mad_i64_i32 v[13:14], s[0:1], v0, s16, v[7:8]
	global_load_dword v15, v[13:14], off
	s_waitcnt vmcnt(0)
	v_cmp_ne_u16_sdwa s[6:7], v15, v5 src0_sel:BYTE_0 src1_sel:DWORD
	s_and_saveexec_b64 s[0:1], s[6:7]
	s_cbranch_execz .LBB178_181
; %bb.176:                              ;   in Loop: Header=BB178_175 Depth=1
	v_bfrev_b32_e32 v16, 1
	v_mov_b32_e32 v17, 0
	v_cmp_ne_u16_sdwa s[12:13], v15, s24 src0_sel:BYTE_0 src1_sel:DWORD
	s_and_saveexec_b64 s[6:7], s[12:13]
	s_cbranch_execz .LBB178_180
; %bb.177:                              ;   in Loop: Header=BB178_175 Depth=1
	v_and_b32_e32 v0, 0x7f, v15
	v_mov_b32_e32 v16, 0x7f800001
	v_mov_b32_e32 v17, 0
	v_cmp_ne_u32_e32 vcc, s25, v0
	s_and_saveexec_b64 s[12:13], vcc
	s_cbranch_execz .LBB178_179
; %bb.178:                              ;   in Loop: Header=BB178_175 Depth=1
	v_and_b32_e32 v11, 7, v15
	v_ffbh_u32_e32 v16, v11
	v_min_u32_e32 v21, 32, v16
	v_subrev_u32_e32 v16, 28, v21
	v_lshlrev_b64 v[16:17], v16, v[15:16]
	v_lshrrev_b32_e32 v20, 3, v0
	v_sub_u32_e32 v17, 29, v21
	v_and_b32_e32 v16, 7, v16
	v_cmp_gt_u32_e32 vcc, 8, v0
	v_cndmask_b32_e32 v0, v20, v17, vcc
	v_cndmask_b32_e32 v11, v11, v16, vcc
	v_lshlrev_b32_e32 v11, 20, v11
	v_and_b32_sdwa v16, sext(v15), s26 dst_sel:DWORD dst_unused:UNUSED_PAD src0_sel:BYTE_0 src1_sel:DWORD
	v_lshl_add_u32 v0, v0, 23, v34
	v_or3_b32 v16, v16, v0, v11
	v_mov_b32_e32 v17, v5
.LBB178_179:                            ;   in Loop: Header=BB178_175 Depth=1
	s_or_b64 exec, exec, s[12:13]
.LBB178_180:                            ;   in Loop: Header=BB178_175 Depth=1
	s_or_b64 exec, exec, s[6:7]
.LBB178_181:                            ;   in Loop: Header=BB178_175 Depth=1
	s_or_b64 exec, exec, s[0:1]
	v_cmp_ne_u16_sdwa s[6:7], v15, v5 src0_sel:BYTE_1 src1_sel:DWORD
	s_and_saveexec_b64 s[0:1], s[6:7]
	s_cbranch_execz .LBB178_187
; %bb.182:                              ;   in Loop: Header=BB178_175 Depth=1
	v_mov_b32_e32 v19, v6
	v_cmp_ne_u16_sdwa s[12:13], v15, s24 src0_sel:BYTE_1 src1_sel:DWORD
	v_mov_b32_e32 v18, v5
	s_and_saveexec_b64 s[6:7], s[12:13]
	s_cbranch_execz .LBB178_186
; %bb.183:                              ;   in Loop: Header=BB178_175 Depth=1
	v_and_b32_sdwa v0, v15, s25 dst_sel:DWORD dst_unused:UNUSED_PAD src0_sel:BYTE_1 src1_sel:DWORD
	v_mov_b32_e32 v11, v5
	v_mov_b32_e32 v19, v12
	v_cmp_ne_u32_e32 vcc, s25, v0
	v_mov_b32_e32 v18, v11
	s_and_saveexec_b64 s[12:13], vcc
	s_cbranch_execz .LBB178_185
; %bb.184:                              ;   in Loop: Header=BB178_175 Depth=1
	v_and_b32_sdwa v18, v15, v37 dst_sel:DWORD dst_unused:UNUSED_PAD src0_sel:BYTE_1 src1_sel:DWORD
	v_ffbh_u32_e32 v20, v18
	v_min_u32_e32 v21, 32, v20
	v_mov_b32_e32 v19, v5
	v_subrev_u32_e32 v20, 28, v21
	v_lshlrev_b64 v[19:20], v20, v[18:19]
	v_lshrrev_b32_e32 v11, 3, v0
	v_sub_u32_e32 v20, 29, v21
	v_cmp_gt_u32_e32 vcc, 8, v0
	v_and_b32_e32 v19, 7, v19
	v_cndmask_b32_e32 v0, v11, v20, vcc
	v_cndmask_b32_e32 v11, v18, v19, vcc
	v_lshlrev_b32_e32 v18, 16, v15
	v_lshl_add_u32 v0, v0, 23, v34
	v_and_or_b32 v0, v18, s26, v0
	v_lshlrev_b32_e32 v11, 20, v11
	v_or_b32_e32 v19, v0, v11
	v_mov_b32_e32 v18, v5
.LBB178_185:                            ;   in Loop: Header=BB178_175 Depth=1
	s_or_b64 exec, exec, s[12:13]
.LBB178_186:                            ;   in Loop: Header=BB178_175 Depth=1
	s_or_b64 exec, exec, s[6:7]
.LBB178_187:                            ;   in Loop: Header=BB178_175 Depth=1
	s_or_b64 exec, exec, s[0:1]
	v_lshrrev_b32_e32 v11, 16, v15
	v_mov_b32_e32 v22, 0
	v_mov_b32_e32 v20, 0
	;; [unrolled: 1-line block ×4, first 2 shown]
	v_cmp_ne_u16_sdwa s[6:7], v11, v5 src0_sel:BYTE_0 src1_sel:DWORD
	s_and_saveexec_b64 s[0:1], s[6:7]
	s_cbranch_execz .LBB178_193
; %bb.188:                              ;   in Loop: Header=BB178_175 Depth=1
	v_bfrev_b32_e32 v20, 1
	v_mov_b32_e32 v21, 0
	v_cmp_ne_u16_sdwa s[12:13], v11, s24 src0_sel:BYTE_0 src1_sel:DWORD
	s_and_saveexec_b64 s[6:7], s[12:13]
	s_cbranch_execz .LBB178_192
; %bb.189:                              ;   in Loop: Header=BB178_175 Depth=1
	v_bfe_u32 v0, v15, 16, 7
	v_mov_b32_e32 v20, 0x7f800001
	v_mov_b32_e32 v21, 0
	v_cmp_ne_u32_e32 vcc, s25, v0
	s_and_saveexec_b64 s[12:13], vcc
	s_cbranch_execz .LBB178_191
; %bb.190:                              ;   in Loop: Header=BB178_175 Depth=1
	v_and_b32_e32 v39, 7, v11
	v_ffbh_u32_e32 v20, v39
	v_min_u32_e32 v41, 32, v20
	v_subrev_u32_e32 v20, 28, v41
	v_lshlrev_b64 v[20:21], v20, v[11:12]
	v_lshrrev_b32_e32 v40, 3, v0
	v_sub_u32_e32 v21, 29, v41
	v_and_b32_e32 v20, 7, v20
	v_cmp_gt_u32_e32 vcc, 8, v0
	v_cndmask_b32_e32 v0, v40, v21, vcc
	v_cndmask_b32_e32 v20, v39, v20, vcc
	v_lshlrev_b32_e32 v20, 20, v20
	v_and_b32_sdwa v11, sext(v11), s26 dst_sel:DWORD dst_unused:UNUSED_PAD src0_sel:BYTE_0 src1_sel:DWORD
	v_lshl_add_u32 v0, v0, 23, v34
	v_or3_b32 v20, v11, v0, v20
	v_mov_b32_e32 v21, v5
.LBB178_191:                            ;   in Loop: Header=BB178_175 Depth=1
	s_or_b64 exec, exec, s[12:13]
.LBB178_192:                            ;   in Loop: Header=BB178_175 Depth=1
	s_or_b64 exec, exec, s[6:7]
.LBB178_193:                            ;   in Loop: Header=BB178_175 Depth=1
	s_or_b64 exec, exec, s[0:1]
	v_cmp_lt_u32_e32 vcc, s27, v15
	s_and_saveexec_b64 s[0:1], vcc
	s_cbranch_execz .LBB178_199
; %bb.194:                              ;   in Loop: Header=BB178_175 Depth=1
	v_mov_b32_e32 v23, v6
	v_cmp_ne_u32_sdwa s[12:13], v15, s24 src0_sel:BYTE_3 src1_sel:DWORD
	v_mov_b32_e32 v22, v5
	s_and_saveexec_b64 s[6:7], s[12:13]
	s_cbranch_execz .LBB178_198
; %bb.195:                              ;   in Loop: Header=BB178_175 Depth=1
	v_bfe_u32 v0, v15, 24, 7
	v_mov_b32_e32 v11, v5
	v_mov_b32_e32 v23, v12
	v_cmp_ne_u32_e32 vcc, s25, v0
	v_mov_b32_e32 v22, v11
	s_and_saveexec_b64 s[12:13], vcc
	s_cbranch_execz .LBB178_197
; %bb.196:                              ;   in Loop: Header=BB178_175 Depth=1
	v_and_b32_sdwa v22, v15, v37 dst_sel:DWORD dst_unused:UNUSED_PAD src0_sel:BYTE_3 src1_sel:DWORD
	v_ffbh_u32_e32 v39, v22
	v_min_u32_e32 v41, 32, v39
	v_mov_b32_e32 v23, v5
	v_subrev_u32_e32 v39, 28, v41
	v_lshlrev_b64 v[39:40], v39, v[22:23]
	v_lshrrev_b32_e32 v11, 3, v0
	v_sub_u32_e32 v23, 29, v41
	v_cmp_gt_u32_e32 vcc, 8, v0
	v_and_b32_e32 v39, 7, v39
	v_cndmask_b32_e32 v0, v11, v23, vcc
	v_cndmask_b32_e32 v11, v22, v39, vcc
	v_lshlrev_b32_sdwa v15, v38, v15 dst_sel:DWORD dst_unused:UNUSED_PAD src0_sel:DWORD src1_sel:BYTE_3
	v_lshl_add_u32 v0, v0, 23, v34
	v_and_or_b32 v0, v15, s26, v0
	v_lshlrev_b32_e32 v11, 20, v11
	v_or_b32_e32 v23, v0, v11
	v_mov_b32_e32 v22, v5
.LBB178_197:                            ;   in Loop: Header=BB178_175 Depth=1
	s_or_b64 exec, exec, s[12:13]
.LBB178_198:                            ;   in Loop: Header=BB178_175 Depth=1
	s_or_b64 exec, exec, s[6:7]
.LBB178_199:                            ;   in Loop: Header=BB178_175 Depth=1
	s_or_b64 exec, exec, s[0:1]
	v_or_b32_e32 v0, v19, v17
	v_or_b32_e32 v11, v18, v16
	v_mul_f32_e32 v39, s18, v0
	v_mul_f32_e32 v42, s17, v11
	v_or_b32_e32 v0, v23, v21
	v_or_b32_e32 v11, v22, v20
	v_add_u32_e32 v43, -3, v33
	v_cmp_eq_u32_e32 vcc, s19, v32
	v_mul_f32_e32 v41, s17, v11
	v_mul_f32_e32 v40, s18, v0
	v_add_u32_e32 v45, -2, v33
	v_add_u32_e32 v44, -1, v33
	s_and_saveexec_b64 s[6:7], vcc
; %bb.200:                              ;   in Loop: Header=BB178_175 Depth=1
	v_cmp_gt_i32_e64 s[0:1], s30, v43
	v_cndmask_b32_e64 v42, 0, v42, s[0:1]
	v_cmp_gt_i32_e64 s[0:1], s30, v45
	v_cndmask_b32_e64 v39, 0, v39, s[0:1]
	;; [unrolled: 2-line block ×4, first 2 shown]
; %bb.201:                              ;   in Loop: Header=BB178_175 Depth=1
	s_or_b64 exec, exec, s[6:7]
	global_load_dword v15, v[13:14], off offset:256
	v_mov_b32_e32 v18, 0
	v_mov_b32_e32 v16, 0
	;; [unrolled: 1-line block ×4, first 2 shown]
	s_waitcnt vmcnt(0)
	v_cmp_ne_u16_sdwa s[0:1], v15, v5 src0_sel:BYTE_0 src1_sel:DWORD
	s_and_saveexec_b64 s[6:7], s[0:1]
	s_cbranch_execz .LBB178_207
; %bb.202:                              ;   in Loop: Header=BB178_175 Depth=1
	v_bfrev_b32_e32 v16, 1
	v_mov_b32_e32 v17, 0
	v_cmp_ne_u16_sdwa s[0:1], v15, s24 src0_sel:BYTE_0 src1_sel:DWORD
	s_and_saveexec_b64 s[12:13], s[0:1]
	s_cbranch_execz .LBB178_206
; %bb.203:                              ;   in Loop: Header=BB178_175 Depth=1
	v_and_b32_e32 v0, 0x7f, v15
	v_mov_b32_e32 v16, 0x7f800001
	v_mov_b32_e32 v17, 0
	v_cmp_ne_u32_e64 s[0:1], s25, v0
	s_and_saveexec_b64 s[14:15], s[0:1]
	s_cbranch_execz .LBB178_205
; %bb.204:                              ;   in Loop: Header=BB178_175 Depth=1
	v_and_b32_e32 v11, 7, v15
	v_ffbh_u32_e32 v16, v11
	v_min_u32_e32 v21, 32, v16
	v_subrev_u32_e32 v16, 28, v21
	v_lshlrev_b64 v[16:17], v16, v[15:16]
	v_lshrrev_b32_e32 v20, 3, v0
	v_sub_u32_e32 v17, 29, v21
	v_and_b32_e32 v16, 7, v16
	v_cmp_gt_u32_e64 s[0:1], 8, v0
	v_cndmask_b32_e64 v0, v20, v17, s[0:1]
	v_cndmask_b32_e64 v11, v11, v16, s[0:1]
	v_lshlrev_b32_e32 v11, 20, v11
	v_and_b32_sdwa v16, sext(v15), s26 dst_sel:DWORD dst_unused:UNUSED_PAD src0_sel:BYTE_0 src1_sel:DWORD
	v_lshl_add_u32 v0, v0, 23, v34
	v_or3_b32 v16, v16, v0, v11
	v_mov_b32_e32 v17, v5
.LBB178_205:                            ;   in Loop: Header=BB178_175 Depth=1
	s_or_b64 exec, exec, s[14:15]
.LBB178_206:                            ;   in Loop: Header=BB178_175 Depth=1
	s_or_b64 exec, exec, s[12:13]
.LBB178_207:                            ;   in Loop: Header=BB178_175 Depth=1
	s_or_b64 exec, exec, s[6:7]
	v_cmp_ne_u16_sdwa s[0:1], v15, v5 src0_sel:BYTE_1 src1_sel:DWORD
	s_and_saveexec_b64 s[6:7], s[0:1]
	s_cbranch_execz .LBB178_213
; %bb.208:                              ;   in Loop: Header=BB178_175 Depth=1
	v_mov_b32_e32 v19, v6
	v_cmp_ne_u16_sdwa s[0:1], v15, s24 src0_sel:BYTE_1 src1_sel:DWORD
	v_mov_b32_e32 v18, v5
	s_and_saveexec_b64 s[12:13], s[0:1]
	s_cbranch_execz .LBB178_212
; %bb.209:                              ;   in Loop: Header=BB178_175 Depth=1
	v_and_b32_sdwa v0, v15, s25 dst_sel:DWORD dst_unused:UNUSED_PAD src0_sel:BYTE_1 src1_sel:DWORD
	v_mov_b32_e32 v11, v5
	v_mov_b32_e32 v19, v12
	v_cmp_ne_u32_e64 s[0:1], s25, v0
	v_mov_b32_e32 v18, v11
	s_and_saveexec_b64 s[14:15], s[0:1]
	s_cbranch_execz .LBB178_211
; %bb.210:                              ;   in Loop: Header=BB178_175 Depth=1
	v_and_b32_sdwa v18, v15, v37 dst_sel:DWORD dst_unused:UNUSED_PAD src0_sel:BYTE_1 src1_sel:DWORD
	v_ffbh_u32_e32 v20, v18
	v_min_u32_e32 v21, 32, v20
	v_mov_b32_e32 v19, v5
	v_subrev_u32_e32 v20, 28, v21
	v_lshlrev_b64 v[19:20], v20, v[18:19]
	v_lshrrev_b32_e32 v11, 3, v0
	v_sub_u32_e32 v20, 29, v21
	v_cmp_gt_u32_e64 s[0:1], 8, v0
	v_and_b32_e32 v19, 7, v19
	v_cndmask_b32_e64 v0, v11, v20, s[0:1]
	v_cndmask_b32_e64 v11, v18, v19, s[0:1]
	v_lshlrev_b32_e32 v18, 16, v15
	v_lshl_add_u32 v0, v0, 23, v34
	v_and_or_b32 v0, v18, s26, v0
	v_lshlrev_b32_e32 v11, 20, v11
	v_or_b32_e32 v19, v0, v11
	v_mov_b32_e32 v18, v5
.LBB178_211:                            ;   in Loop: Header=BB178_175 Depth=1
	s_or_b64 exec, exec, s[14:15]
.LBB178_212:                            ;   in Loop: Header=BB178_175 Depth=1
	s_or_b64 exec, exec, s[12:13]
.LBB178_213:                            ;   in Loop: Header=BB178_175 Depth=1
	s_or_b64 exec, exec, s[6:7]
	v_lshrrev_b32_e32 v11, 16, v15
	v_mov_b32_e32 v22, 0
	v_mov_b32_e32 v20, 0
	;; [unrolled: 1-line block ×4, first 2 shown]
	v_cmp_ne_u16_sdwa s[0:1], v11, v5 src0_sel:BYTE_0 src1_sel:DWORD
	s_and_saveexec_b64 s[6:7], s[0:1]
	s_cbranch_execz .LBB178_219
; %bb.214:                              ;   in Loop: Header=BB178_175 Depth=1
	v_bfrev_b32_e32 v20, 1
	v_mov_b32_e32 v21, 0
	v_cmp_ne_u16_sdwa s[0:1], v11, s24 src0_sel:BYTE_0 src1_sel:DWORD
	s_and_saveexec_b64 s[12:13], s[0:1]
	s_cbranch_execz .LBB178_218
; %bb.215:                              ;   in Loop: Header=BB178_175 Depth=1
	v_bfe_u32 v0, v15, 16, 7
	v_mov_b32_e32 v20, 0x7f800001
	v_mov_b32_e32 v21, 0
	v_cmp_ne_u32_e64 s[0:1], s25, v0
	s_and_saveexec_b64 s[14:15], s[0:1]
	s_cbranch_execz .LBB178_217
; %bb.216:                              ;   in Loop: Header=BB178_175 Depth=1
	v_and_b32_e32 v46, 7, v11
	v_ffbh_u32_e32 v20, v46
	v_min_u32_e32 v48, 32, v20
	v_subrev_u32_e32 v20, 28, v48
	v_lshlrev_b64 v[20:21], v20, v[11:12]
	v_lshrrev_b32_e32 v47, 3, v0
	v_sub_u32_e32 v21, 29, v48
	v_and_b32_e32 v20, 7, v20
	v_cmp_gt_u32_e64 s[0:1], 8, v0
	v_cndmask_b32_e64 v0, v47, v21, s[0:1]
	v_cndmask_b32_e64 v20, v46, v20, s[0:1]
	v_lshlrev_b32_e32 v20, 20, v20
	v_and_b32_sdwa v11, sext(v11), s26 dst_sel:DWORD dst_unused:UNUSED_PAD src0_sel:BYTE_0 src1_sel:DWORD
	v_lshl_add_u32 v0, v0, 23, v34
	v_or3_b32 v20, v11, v0, v20
	v_mov_b32_e32 v21, v5
.LBB178_217:                            ;   in Loop: Header=BB178_175 Depth=1
	s_or_b64 exec, exec, s[14:15]
.LBB178_218:                            ;   in Loop: Header=BB178_175 Depth=1
	s_or_b64 exec, exec, s[12:13]
.LBB178_219:                            ;   in Loop: Header=BB178_175 Depth=1
	s_or_b64 exec, exec, s[6:7]
	v_cmp_lt_u32_e64 s[0:1], s27, v15
	s_and_saveexec_b64 s[6:7], s[0:1]
	s_cbranch_execz .LBB178_225
; %bb.220:                              ;   in Loop: Header=BB178_175 Depth=1
	v_mov_b32_e32 v23, v6
	v_cmp_ne_u32_sdwa s[0:1], v15, s24 src0_sel:BYTE_3 src1_sel:DWORD
	v_mov_b32_e32 v22, v5
	s_and_saveexec_b64 s[12:13], s[0:1]
	s_cbranch_execz .LBB178_224
; %bb.221:                              ;   in Loop: Header=BB178_175 Depth=1
	v_bfe_u32 v0, v15, 24, 7
	v_mov_b32_e32 v11, v5
	v_mov_b32_e32 v23, v12
	v_cmp_ne_u32_e64 s[0:1], s25, v0
	v_mov_b32_e32 v22, v11
	s_and_saveexec_b64 s[14:15], s[0:1]
	s_cbranch_execz .LBB178_223
; %bb.222:                              ;   in Loop: Header=BB178_175 Depth=1
	v_and_b32_sdwa v22, v15, v37 dst_sel:DWORD dst_unused:UNUSED_PAD src0_sel:BYTE_3 src1_sel:DWORD
	v_ffbh_u32_e32 v46, v22
	v_min_u32_e32 v48, 32, v46
	v_mov_b32_e32 v23, v5
	v_subrev_u32_e32 v46, 28, v48
	v_lshlrev_b64 v[46:47], v46, v[22:23]
	v_lshrrev_b32_e32 v11, 3, v0
	v_sub_u32_e32 v23, 29, v48
	v_cmp_gt_u32_e64 s[0:1], 8, v0
	v_and_b32_e32 v46, 7, v46
	v_cndmask_b32_e64 v0, v11, v23, s[0:1]
	v_cndmask_b32_e64 v11, v22, v46, s[0:1]
	v_lshlrev_b32_sdwa v15, v38, v15 dst_sel:DWORD dst_unused:UNUSED_PAD src0_sel:DWORD src1_sel:BYTE_3
	v_lshl_add_u32 v0, v0, 23, v34
	v_and_or_b32 v0, v15, s26, v0
	v_lshlrev_b32_e32 v11, 20, v11
	v_or_b32_e32 v23, v0, v11
	v_mov_b32_e32 v22, v5
.LBB178_223:                            ;   in Loop: Header=BB178_175 Depth=1
	s_or_b64 exec, exec, s[14:15]
.LBB178_224:                            ;   in Loop: Header=BB178_175 Depth=1
	s_or_b64 exec, exec, s[12:13]
.LBB178_225:                            ;   in Loop: Header=BB178_175 Depth=1
	s_or_b64 exec, exec, s[6:7]
	v_or_b32_e32 v0, v19, v17
	v_or_b32_e32 v11, v18, v16
	v_mul_f32_e32 v46, s18, v0
	v_mul_f32_e32 v49, s17, v11
	v_or_b32_e32 v0, v23, v21
	v_or_b32_e32 v11, v22, v20
	v_mul_f32_e32 v48, s17, v11
	v_mul_f32_e32 v47, s18, v0
	s_and_saveexec_b64 s[6:7], vcc
; %bb.226:                              ;   in Loop: Header=BB178_175 Depth=1
	v_cmp_gt_i32_e64 s[0:1], s30, v43
	v_cndmask_b32_e64 v49, 0, v49, s[0:1]
	v_cmp_gt_i32_e64 s[0:1], s30, v45
	v_cndmask_b32_e64 v46, 0, v46, s[0:1]
	;; [unrolled: 2-line block ×4, first 2 shown]
; %bb.227:                              ;   in Loop: Header=BB178_175 Depth=1
	s_or_b64 exec, exec, s[6:7]
	global_load_dword v15, v[13:14], off offset:512
	v_mov_b32_e32 v18, 0
	v_mov_b32_e32 v16, 0
	;; [unrolled: 1-line block ×4, first 2 shown]
	s_waitcnt vmcnt(0)
	v_cmp_ne_u16_sdwa s[0:1], v15, v5 src0_sel:BYTE_0 src1_sel:DWORD
	s_and_saveexec_b64 s[6:7], s[0:1]
	s_cbranch_execz .LBB178_233
; %bb.228:                              ;   in Loop: Header=BB178_175 Depth=1
	v_bfrev_b32_e32 v16, 1
	v_mov_b32_e32 v17, 0
	v_cmp_ne_u16_sdwa s[0:1], v15, s24 src0_sel:BYTE_0 src1_sel:DWORD
	s_and_saveexec_b64 s[12:13], s[0:1]
	s_cbranch_execz .LBB178_232
; %bb.229:                              ;   in Loop: Header=BB178_175 Depth=1
	v_and_b32_e32 v0, 0x7f, v15
	v_mov_b32_e32 v16, 0x7f800001
	v_mov_b32_e32 v17, 0
	v_cmp_ne_u32_e64 s[0:1], s25, v0
	s_and_saveexec_b64 s[14:15], s[0:1]
	s_cbranch_execz .LBB178_231
; %bb.230:                              ;   in Loop: Header=BB178_175 Depth=1
	v_and_b32_e32 v11, 7, v15
	v_ffbh_u32_e32 v16, v11
	v_min_u32_e32 v21, 32, v16
	v_subrev_u32_e32 v16, 28, v21
	v_lshlrev_b64 v[16:17], v16, v[15:16]
	v_lshrrev_b32_e32 v20, 3, v0
	v_sub_u32_e32 v17, 29, v21
	v_and_b32_e32 v16, 7, v16
	v_cmp_gt_u32_e64 s[0:1], 8, v0
	v_cndmask_b32_e64 v0, v20, v17, s[0:1]
	v_cndmask_b32_e64 v11, v11, v16, s[0:1]
	v_lshlrev_b32_e32 v11, 20, v11
	v_and_b32_sdwa v16, sext(v15), s26 dst_sel:DWORD dst_unused:UNUSED_PAD src0_sel:BYTE_0 src1_sel:DWORD
	v_lshl_add_u32 v0, v0, 23, v34
	v_or3_b32 v16, v16, v0, v11
	v_mov_b32_e32 v17, v5
.LBB178_231:                            ;   in Loop: Header=BB178_175 Depth=1
	s_or_b64 exec, exec, s[14:15]
.LBB178_232:                            ;   in Loop: Header=BB178_175 Depth=1
	s_or_b64 exec, exec, s[12:13]
.LBB178_233:                            ;   in Loop: Header=BB178_175 Depth=1
	s_or_b64 exec, exec, s[6:7]
	v_cmp_ne_u16_sdwa s[0:1], v15, v5 src0_sel:BYTE_1 src1_sel:DWORD
	s_and_saveexec_b64 s[6:7], s[0:1]
	s_cbranch_execz .LBB178_239
; %bb.234:                              ;   in Loop: Header=BB178_175 Depth=1
	v_mov_b32_e32 v19, v6
	v_cmp_ne_u16_sdwa s[0:1], v15, s24 src0_sel:BYTE_1 src1_sel:DWORD
	v_mov_b32_e32 v18, v5
	s_and_saveexec_b64 s[12:13], s[0:1]
	s_cbranch_execz .LBB178_238
; %bb.235:                              ;   in Loop: Header=BB178_175 Depth=1
	v_and_b32_sdwa v0, v15, s25 dst_sel:DWORD dst_unused:UNUSED_PAD src0_sel:BYTE_1 src1_sel:DWORD
	v_mov_b32_e32 v11, v5
	v_mov_b32_e32 v19, v12
	v_cmp_ne_u32_e64 s[0:1], s25, v0
	v_mov_b32_e32 v18, v11
	s_and_saveexec_b64 s[14:15], s[0:1]
	s_cbranch_execz .LBB178_237
; %bb.236:                              ;   in Loop: Header=BB178_175 Depth=1
	v_and_b32_sdwa v18, v15, v37 dst_sel:DWORD dst_unused:UNUSED_PAD src0_sel:BYTE_1 src1_sel:DWORD
	v_ffbh_u32_e32 v20, v18
	v_min_u32_e32 v21, 32, v20
	v_mov_b32_e32 v19, v5
	v_subrev_u32_e32 v20, 28, v21
	v_lshlrev_b64 v[19:20], v20, v[18:19]
	v_lshrrev_b32_e32 v11, 3, v0
	v_sub_u32_e32 v20, 29, v21
	v_cmp_gt_u32_e64 s[0:1], 8, v0
	v_and_b32_e32 v19, 7, v19
	v_cndmask_b32_e64 v0, v11, v20, s[0:1]
	v_cndmask_b32_e64 v11, v18, v19, s[0:1]
	v_lshlrev_b32_e32 v18, 16, v15
	v_lshl_add_u32 v0, v0, 23, v34
	v_and_or_b32 v0, v18, s26, v0
	v_lshlrev_b32_e32 v11, 20, v11
	v_or_b32_e32 v19, v0, v11
	v_mov_b32_e32 v18, v5
.LBB178_237:                            ;   in Loop: Header=BB178_175 Depth=1
	s_or_b64 exec, exec, s[14:15]
.LBB178_238:                            ;   in Loop: Header=BB178_175 Depth=1
	s_or_b64 exec, exec, s[12:13]
.LBB178_239:                            ;   in Loop: Header=BB178_175 Depth=1
	s_or_b64 exec, exec, s[6:7]
	v_lshrrev_b32_e32 v11, 16, v15
	v_mov_b32_e32 v22, 0
	v_mov_b32_e32 v20, 0
	;; [unrolled: 1-line block ×4, first 2 shown]
	v_cmp_ne_u16_sdwa s[0:1], v11, v5 src0_sel:BYTE_0 src1_sel:DWORD
	s_and_saveexec_b64 s[6:7], s[0:1]
	s_cbranch_execz .LBB178_245
; %bb.240:                              ;   in Loop: Header=BB178_175 Depth=1
	v_bfrev_b32_e32 v20, 1
	v_mov_b32_e32 v21, 0
	v_cmp_ne_u16_sdwa s[0:1], v11, s24 src0_sel:BYTE_0 src1_sel:DWORD
	s_and_saveexec_b64 s[12:13], s[0:1]
	s_cbranch_execz .LBB178_244
; %bb.241:                              ;   in Loop: Header=BB178_175 Depth=1
	v_bfe_u32 v0, v15, 16, 7
	v_mov_b32_e32 v20, 0x7f800001
	v_mov_b32_e32 v21, 0
	v_cmp_ne_u32_e64 s[0:1], s25, v0
	s_and_saveexec_b64 s[14:15], s[0:1]
	s_cbranch_execz .LBB178_243
; %bb.242:                              ;   in Loop: Header=BB178_175 Depth=1
	v_and_b32_e32 v50, 7, v11
	v_ffbh_u32_e32 v20, v50
	v_min_u32_e32 v52, 32, v20
	v_subrev_u32_e32 v20, 28, v52
	v_lshlrev_b64 v[20:21], v20, v[11:12]
	v_lshrrev_b32_e32 v51, 3, v0
	v_sub_u32_e32 v21, 29, v52
	v_and_b32_e32 v20, 7, v20
	v_cmp_gt_u32_e64 s[0:1], 8, v0
	v_cndmask_b32_e64 v0, v51, v21, s[0:1]
	v_cndmask_b32_e64 v20, v50, v20, s[0:1]
	v_lshlrev_b32_e32 v20, 20, v20
	v_and_b32_sdwa v11, sext(v11), s26 dst_sel:DWORD dst_unused:UNUSED_PAD src0_sel:BYTE_0 src1_sel:DWORD
	v_lshl_add_u32 v0, v0, 23, v34
	v_or3_b32 v20, v11, v0, v20
	v_mov_b32_e32 v21, v5
.LBB178_243:                            ;   in Loop: Header=BB178_175 Depth=1
	s_or_b64 exec, exec, s[14:15]
.LBB178_244:                            ;   in Loop: Header=BB178_175 Depth=1
	s_or_b64 exec, exec, s[12:13]
.LBB178_245:                            ;   in Loop: Header=BB178_175 Depth=1
	s_or_b64 exec, exec, s[6:7]
	v_cmp_lt_u32_e64 s[0:1], s27, v15
	s_and_saveexec_b64 s[6:7], s[0:1]
	s_cbranch_execz .LBB178_251
; %bb.246:                              ;   in Loop: Header=BB178_175 Depth=1
	v_mov_b32_e32 v23, v6
	v_cmp_ne_u32_sdwa s[0:1], v15, s24 src0_sel:BYTE_3 src1_sel:DWORD
	v_mov_b32_e32 v22, v5
	s_and_saveexec_b64 s[12:13], s[0:1]
	s_cbranch_execz .LBB178_250
; %bb.247:                              ;   in Loop: Header=BB178_175 Depth=1
	v_bfe_u32 v0, v15, 24, 7
	v_mov_b32_e32 v11, v5
	v_mov_b32_e32 v23, v12
	v_cmp_ne_u32_e64 s[0:1], s25, v0
	v_mov_b32_e32 v22, v11
	s_and_saveexec_b64 s[14:15], s[0:1]
	s_cbranch_execz .LBB178_249
; %bb.248:                              ;   in Loop: Header=BB178_175 Depth=1
	v_and_b32_sdwa v22, v15, v37 dst_sel:DWORD dst_unused:UNUSED_PAD src0_sel:BYTE_3 src1_sel:DWORD
	v_ffbh_u32_e32 v50, v22
	v_min_u32_e32 v52, 32, v50
	v_mov_b32_e32 v23, v5
	v_subrev_u32_e32 v50, 28, v52
	v_lshlrev_b64 v[50:51], v50, v[22:23]
	v_lshrrev_b32_e32 v11, 3, v0
	v_sub_u32_e32 v23, 29, v52
	v_cmp_gt_u32_e64 s[0:1], 8, v0
	v_and_b32_e32 v50, 7, v50
	v_cndmask_b32_e64 v0, v11, v23, s[0:1]
	v_cndmask_b32_e64 v11, v22, v50, s[0:1]
	v_lshlrev_b32_sdwa v15, v38, v15 dst_sel:DWORD dst_unused:UNUSED_PAD src0_sel:DWORD src1_sel:BYTE_3
	v_lshl_add_u32 v0, v0, 23, v34
	v_and_or_b32 v0, v15, s26, v0
	v_lshlrev_b32_e32 v11, 20, v11
	v_or_b32_e32 v23, v0, v11
	v_mov_b32_e32 v22, v5
.LBB178_249:                            ;   in Loop: Header=BB178_175 Depth=1
	s_or_b64 exec, exec, s[14:15]
.LBB178_250:                            ;   in Loop: Header=BB178_175 Depth=1
	s_or_b64 exec, exec, s[12:13]
.LBB178_251:                            ;   in Loop: Header=BB178_175 Depth=1
	s_or_b64 exec, exec, s[6:7]
	v_or_b32_e32 v0, v19, v17
	v_or_b32_e32 v11, v18, v16
	v_mul_f32_e32 v50, s18, v0
	v_mul_f32_e32 v53, s17, v11
	v_or_b32_e32 v0, v23, v21
	v_or_b32_e32 v11, v22, v20
	v_mul_f32_e32 v52, s17, v11
	v_mul_f32_e32 v51, s18, v0
	s_and_saveexec_b64 s[6:7], vcc
; %bb.252:                              ;   in Loop: Header=BB178_175 Depth=1
	v_cmp_gt_i32_e64 s[0:1], s30, v43
	v_cndmask_b32_e64 v53, 0, v53, s[0:1]
	v_cmp_gt_i32_e64 s[0:1], s30, v45
	v_cndmask_b32_e64 v50, 0, v50, s[0:1]
	;; [unrolled: 2-line block ×4, first 2 shown]
; %bb.253:                              ;   in Loop: Header=BB178_175 Depth=1
	s_or_b64 exec, exec, s[6:7]
	global_load_dword v15, v[13:14], off offset:768
	v_mov_b32_e32 v18, 0
	v_mov_b32_e32 v16, 0
	;; [unrolled: 1-line block ×4, first 2 shown]
	s_waitcnt vmcnt(0)
	v_cmp_ne_u16_sdwa s[0:1], v15, v5 src0_sel:BYTE_0 src1_sel:DWORD
	s_and_saveexec_b64 s[6:7], s[0:1]
	s_cbranch_execz .LBB178_259
; %bb.254:                              ;   in Loop: Header=BB178_175 Depth=1
	v_bfrev_b32_e32 v16, 1
	v_mov_b32_e32 v17, 0
	v_cmp_ne_u16_sdwa s[0:1], v15, s24 src0_sel:BYTE_0 src1_sel:DWORD
	s_and_saveexec_b64 s[12:13], s[0:1]
	s_cbranch_execz .LBB178_258
; %bb.255:                              ;   in Loop: Header=BB178_175 Depth=1
	v_and_b32_e32 v0, 0x7f, v15
	v_mov_b32_e32 v16, 0x7f800001
	v_mov_b32_e32 v17, 0
	v_cmp_ne_u32_e64 s[0:1], s25, v0
	s_and_saveexec_b64 s[14:15], s[0:1]
	s_cbranch_execz .LBB178_257
; %bb.256:                              ;   in Loop: Header=BB178_175 Depth=1
	v_and_b32_e32 v11, 7, v15
	v_ffbh_u32_e32 v16, v11
	v_min_u32_e32 v21, 32, v16
	v_subrev_u32_e32 v16, 28, v21
	v_lshlrev_b64 v[16:17], v16, v[15:16]
	v_lshrrev_b32_e32 v20, 3, v0
	v_sub_u32_e32 v17, 29, v21
	v_and_b32_e32 v16, 7, v16
	v_cmp_gt_u32_e64 s[0:1], 8, v0
	v_cndmask_b32_e64 v0, v20, v17, s[0:1]
	v_cndmask_b32_e64 v11, v11, v16, s[0:1]
	v_lshlrev_b32_e32 v11, 20, v11
	v_and_b32_sdwa v16, sext(v15), s26 dst_sel:DWORD dst_unused:UNUSED_PAD src0_sel:BYTE_0 src1_sel:DWORD
	v_lshl_add_u32 v0, v0, 23, v34
	v_or3_b32 v16, v16, v0, v11
	v_mov_b32_e32 v17, v5
.LBB178_257:                            ;   in Loop: Header=BB178_175 Depth=1
	s_or_b64 exec, exec, s[14:15]
.LBB178_258:                            ;   in Loop: Header=BB178_175 Depth=1
	s_or_b64 exec, exec, s[12:13]
.LBB178_259:                            ;   in Loop: Header=BB178_175 Depth=1
	s_or_b64 exec, exec, s[6:7]
	v_cmp_ne_u16_sdwa s[0:1], v15, v5 src0_sel:BYTE_1 src1_sel:DWORD
	s_and_saveexec_b64 s[6:7], s[0:1]
	s_cbranch_execz .LBB178_265
; %bb.260:                              ;   in Loop: Header=BB178_175 Depth=1
	v_mov_b32_e32 v19, v6
	v_cmp_ne_u16_sdwa s[0:1], v15, s24 src0_sel:BYTE_1 src1_sel:DWORD
	v_mov_b32_e32 v18, v5
	s_and_saveexec_b64 s[12:13], s[0:1]
	s_cbranch_execz .LBB178_264
; %bb.261:                              ;   in Loop: Header=BB178_175 Depth=1
	v_and_b32_sdwa v0, v15, s25 dst_sel:DWORD dst_unused:UNUSED_PAD src0_sel:BYTE_1 src1_sel:DWORD
	v_mov_b32_e32 v11, v5
	v_mov_b32_e32 v19, v12
	v_cmp_ne_u32_e64 s[0:1], s25, v0
	v_mov_b32_e32 v18, v11
	s_and_saveexec_b64 s[14:15], s[0:1]
	s_cbranch_execz .LBB178_263
; %bb.262:                              ;   in Loop: Header=BB178_175 Depth=1
	v_and_b32_sdwa v18, v15, v37 dst_sel:DWORD dst_unused:UNUSED_PAD src0_sel:BYTE_1 src1_sel:DWORD
	v_ffbh_u32_e32 v20, v18
	v_min_u32_e32 v21, 32, v20
	v_mov_b32_e32 v19, v5
	v_subrev_u32_e32 v20, 28, v21
	v_lshlrev_b64 v[19:20], v20, v[18:19]
	v_lshrrev_b32_e32 v11, 3, v0
	v_sub_u32_e32 v20, 29, v21
	v_cmp_gt_u32_e64 s[0:1], 8, v0
	v_and_b32_e32 v19, 7, v19
	v_cndmask_b32_e64 v0, v11, v20, s[0:1]
	v_cndmask_b32_e64 v11, v18, v19, s[0:1]
	v_lshlrev_b32_e32 v18, 16, v15
	v_lshl_add_u32 v0, v0, 23, v34
	v_and_or_b32 v0, v18, s26, v0
	v_lshlrev_b32_e32 v11, 20, v11
	v_or_b32_e32 v19, v0, v11
	v_mov_b32_e32 v18, v5
.LBB178_263:                            ;   in Loop: Header=BB178_175 Depth=1
	s_or_b64 exec, exec, s[14:15]
.LBB178_264:                            ;   in Loop: Header=BB178_175 Depth=1
	s_or_b64 exec, exec, s[12:13]
.LBB178_265:                            ;   in Loop: Header=BB178_175 Depth=1
	s_or_b64 exec, exec, s[6:7]
	v_lshrrev_b32_e32 v11, 16, v15
	v_mov_b32_e32 v22, 0
	v_mov_b32_e32 v20, 0
	;; [unrolled: 1-line block ×4, first 2 shown]
	v_cmp_ne_u16_sdwa s[0:1], v11, v5 src0_sel:BYTE_0 src1_sel:DWORD
	s_and_saveexec_b64 s[6:7], s[0:1]
	s_cbranch_execz .LBB178_271
; %bb.266:                              ;   in Loop: Header=BB178_175 Depth=1
	v_bfrev_b32_e32 v20, 1
	v_mov_b32_e32 v21, 0
	v_cmp_ne_u16_sdwa s[0:1], v11, s24 src0_sel:BYTE_0 src1_sel:DWORD
	s_and_saveexec_b64 s[12:13], s[0:1]
	s_cbranch_execz .LBB178_270
; %bb.267:                              ;   in Loop: Header=BB178_175 Depth=1
	v_bfe_u32 v0, v15, 16, 7
	v_mov_b32_e32 v20, 0x7f800001
	v_mov_b32_e32 v21, 0
	v_cmp_ne_u32_e64 s[0:1], s25, v0
	s_and_saveexec_b64 s[14:15], s[0:1]
	s_cbranch_execz .LBB178_269
; %bb.268:                              ;   in Loop: Header=BB178_175 Depth=1
	v_and_b32_e32 v54, 7, v11
	v_ffbh_u32_e32 v20, v54
	v_min_u32_e32 v56, 32, v20
	v_subrev_u32_e32 v20, 28, v56
	v_lshlrev_b64 v[20:21], v20, v[11:12]
	v_lshrrev_b32_e32 v55, 3, v0
	v_sub_u32_e32 v21, 29, v56
	v_and_b32_e32 v20, 7, v20
	v_cmp_gt_u32_e64 s[0:1], 8, v0
	v_cndmask_b32_e64 v0, v55, v21, s[0:1]
	v_cndmask_b32_e64 v20, v54, v20, s[0:1]
	v_lshlrev_b32_e32 v20, 20, v20
	v_and_b32_sdwa v11, sext(v11), s26 dst_sel:DWORD dst_unused:UNUSED_PAD src0_sel:BYTE_0 src1_sel:DWORD
	v_lshl_add_u32 v0, v0, 23, v34
	v_or3_b32 v20, v11, v0, v20
	v_mov_b32_e32 v21, v5
.LBB178_269:                            ;   in Loop: Header=BB178_175 Depth=1
	s_or_b64 exec, exec, s[14:15]
.LBB178_270:                            ;   in Loop: Header=BB178_175 Depth=1
	s_or_b64 exec, exec, s[12:13]
.LBB178_271:                            ;   in Loop: Header=BB178_175 Depth=1
	s_or_b64 exec, exec, s[6:7]
	v_cmp_lt_u32_e64 s[0:1], s27, v15
	s_and_saveexec_b64 s[6:7], s[0:1]
	s_cbranch_execz .LBB178_277
; %bb.272:                              ;   in Loop: Header=BB178_175 Depth=1
	v_mov_b32_e32 v23, v6
	v_cmp_ne_u32_sdwa s[0:1], v15, s24 src0_sel:BYTE_3 src1_sel:DWORD
	v_mov_b32_e32 v22, v5
	s_and_saveexec_b64 s[12:13], s[0:1]
	s_cbranch_execz .LBB178_276
; %bb.273:                              ;   in Loop: Header=BB178_175 Depth=1
	v_bfe_u32 v0, v15, 24, 7
	v_mov_b32_e32 v11, v5
	v_mov_b32_e32 v23, v12
	v_cmp_ne_u32_e64 s[0:1], s25, v0
	v_mov_b32_e32 v22, v11
	s_and_saveexec_b64 s[14:15], s[0:1]
	s_cbranch_execz .LBB178_275
; %bb.274:                              ;   in Loop: Header=BB178_175 Depth=1
	v_and_b32_sdwa v22, v15, v37 dst_sel:DWORD dst_unused:UNUSED_PAD src0_sel:BYTE_3 src1_sel:DWORD
	v_ffbh_u32_e32 v54, v22
	v_min_u32_e32 v56, 32, v54
	v_mov_b32_e32 v23, v5
	v_subrev_u32_e32 v54, 28, v56
	v_lshlrev_b64 v[54:55], v54, v[22:23]
	v_lshrrev_b32_e32 v11, 3, v0
	v_sub_u32_e32 v23, 29, v56
	v_cmp_gt_u32_e64 s[0:1], 8, v0
	v_and_b32_e32 v54, 7, v54
	v_cndmask_b32_e64 v0, v11, v23, s[0:1]
	v_cndmask_b32_e64 v11, v22, v54, s[0:1]
	v_lshlrev_b32_sdwa v15, v38, v15 dst_sel:DWORD dst_unused:UNUSED_PAD src0_sel:DWORD src1_sel:BYTE_3
	v_lshl_add_u32 v0, v0, 23, v34
	v_and_or_b32 v0, v15, s26, v0
	v_lshlrev_b32_e32 v11, 20, v11
	v_or_b32_e32 v23, v0, v11
	v_mov_b32_e32 v22, v5
.LBB178_275:                            ;   in Loop: Header=BB178_175 Depth=1
	s_or_b64 exec, exec, s[14:15]
.LBB178_276:                            ;   in Loop: Header=BB178_175 Depth=1
	s_or_b64 exec, exec, s[12:13]
.LBB178_277:                            ;   in Loop: Header=BB178_175 Depth=1
	s_or_b64 exec, exec, s[6:7]
	v_or_b32_e32 v0, v19, v17
	v_or_b32_e32 v11, v18, v16
	v_mul_f32_e32 v54, s18, v0
	v_mul_f32_e32 v57, s17, v11
	v_or_b32_e32 v0, v23, v21
	v_or_b32_e32 v11, v22, v20
	v_mul_f32_e32 v56, s17, v11
	v_mul_f32_e32 v55, s18, v0
	s_and_saveexec_b64 s[6:7], vcc
; %bb.278:                              ;   in Loop: Header=BB178_175 Depth=1
	v_cmp_gt_i32_e64 s[0:1], s30, v43
	v_cndmask_b32_e64 v57, 0, v57, s[0:1]
	v_cmp_gt_i32_e64 s[0:1], s30, v45
	v_cndmask_b32_e64 v54, 0, v54, s[0:1]
	;; [unrolled: 2-line block ×4, first 2 shown]
; %bb.279:                              ;   in Loop: Header=BB178_175 Depth=1
	s_or_b64 exec, exec, s[6:7]
	global_load_dword v15, v[13:14], off offset:1024
	v_mov_b32_e32 v18, 0
	v_mov_b32_e32 v16, 0
	v_mov_b32_e32 v19, 0
	v_mov_b32_e32 v17, 0
	s_waitcnt vmcnt(0)
	v_cmp_ne_u16_sdwa s[0:1], v15, v5 src0_sel:BYTE_0 src1_sel:DWORD
	s_and_saveexec_b64 s[6:7], s[0:1]
	s_cbranch_execz .LBB178_285
; %bb.280:                              ;   in Loop: Header=BB178_175 Depth=1
	v_bfrev_b32_e32 v16, 1
	v_mov_b32_e32 v17, 0
	v_cmp_ne_u16_sdwa s[0:1], v15, s24 src0_sel:BYTE_0 src1_sel:DWORD
	s_and_saveexec_b64 s[12:13], s[0:1]
	s_cbranch_execz .LBB178_284
; %bb.281:                              ;   in Loop: Header=BB178_175 Depth=1
	v_and_b32_e32 v0, 0x7f, v15
	v_mov_b32_e32 v16, 0x7f800001
	v_mov_b32_e32 v17, 0
	v_cmp_ne_u32_e64 s[0:1], s25, v0
	s_and_saveexec_b64 s[14:15], s[0:1]
	s_cbranch_execz .LBB178_283
; %bb.282:                              ;   in Loop: Header=BB178_175 Depth=1
	v_and_b32_e32 v11, 7, v15
	v_ffbh_u32_e32 v16, v11
	v_min_u32_e32 v21, 32, v16
	v_subrev_u32_e32 v16, 28, v21
	v_lshlrev_b64 v[16:17], v16, v[15:16]
	v_lshrrev_b32_e32 v20, 3, v0
	v_sub_u32_e32 v17, 29, v21
	v_and_b32_e32 v16, 7, v16
	v_cmp_gt_u32_e64 s[0:1], 8, v0
	v_cndmask_b32_e64 v0, v20, v17, s[0:1]
	v_cndmask_b32_e64 v11, v11, v16, s[0:1]
	v_lshlrev_b32_e32 v11, 20, v11
	v_and_b32_sdwa v16, sext(v15), s26 dst_sel:DWORD dst_unused:UNUSED_PAD src0_sel:BYTE_0 src1_sel:DWORD
	v_lshl_add_u32 v0, v0, 23, v34
	v_or3_b32 v16, v16, v0, v11
	v_mov_b32_e32 v17, v5
.LBB178_283:                            ;   in Loop: Header=BB178_175 Depth=1
	s_or_b64 exec, exec, s[14:15]
.LBB178_284:                            ;   in Loop: Header=BB178_175 Depth=1
	s_or_b64 exec, exec, s[12:13]
.LBB178_285:                            ;   in Loop: Header=BB178_175 Depth=1
	s_or_b64 exec, exec, s[6:7]
	v_cmp_ne_u16_sdwa s[0:1], v15, v5 src0_sel:BYTE_1 src1_sel:DWORD
	s_and_saveexec_b64 s[6:7], s[0:1]
	s_cbranch_execz .LBB178_291
; %bb.286:                              ;   in Loop: Header=BB178_175 Depth=1
	v_mov_b32_e32 v19, v6
	v_cmp_ne_u16_sdwa s[0:1], v15, s24 src0_sel:BYTE_1 src1_sel:DWORD
	v_mov_b32_e32 v18, v5
	s_and_saveexec_b64 s[12:13], s[0:1]
	s_cbranch_execz .LBB178_290
; %bb.287:                              ;   in Loop: Header=BB178_175 Depth=1
	v_and_b32_sdwa v0, v15, s25 dst_sel:DWORD dst_unused:UNUSED_PAD src0_sel:BYTE_1 src1_sel:DWORD
	v_mov_b32_e32 v11, v5
	v_mov_b32_e32 v19, v12
	v_cmp_ne_u32_e64 s[0:1], s25, v0
	v_mov_b32_e32 v18, v11
	s_and_saveexec_b64 s[14:15], s[0:1]
	s_cbranch_execz .LBB178_289
; %bb.288:                              ;   in Loop: Header=BB178_175 Depth=1
	v_and_b32_sdwa v18, v15, v37 dst_sel:DWORD dst_unused:UNUSED_PAD src0_sel:BYTE_1 src1_sel:DWORD
	v_ffbh_u32_e32 v20, v18
	v_min_u32_e32 v21, 32, v20
	v_mov_b32_e32 v19, v5
	v_subrev_u32_e32 v20, 28, v21
	v_lshlrev_b64 v[19:20], v20, v[18:19]
	v_lshrrev_b32_e32 v11, 3, v0
	v_sub_u32_e32 v20, 29, v21
	v_cmp_gt_u32_e64 s[0:1], 8, v0
	v_and_b32_e32 v19, 7, v19
	v_cndmask_b32_e64 v0, v11, v20, s[0:1]
	v_cndmask_b32_e64 v11, v18, v19, s[0:1]
	v_lshlrev_b32_e32 v18, 16, v15
	v_lshl_add_u32 v0, v0, 23, v34
	v_and_or_b32 v0, v18, s26, v0
	v_lshlrev_b32_e32 v11, 20, v11
	v_or_b32_e32 v19, v0, v11
	v_mov_b32_e32 v18, v5
.LBB178_289:                            ;   in Loop: Header=BB178_175 Depth=1
	s_or_b64 exec, exec, s[14:15]
.LBB178_290:                            ;   in Loop: Header=BB178_175 Depth=1
	s_or_b64 exec, exec, s[12:13]
.LBB178_291:                            ;   in Loop: Header=BB178_175 Depth=1
	s_or_b64 exec, exec, s[6:7]
	v_lshrrev_b32_e32 v11, 16, v15
	v_mov_b32_e32 v22, 0
	v_mov_b32_e32 v20, 0
	;; [unrolled: 1-line block ×4, first 2 shown]
	v_cmp_ne_u16_sdwa s[0:1], v11, v5 src0_sel:BYTE_0 src1_sel:DWORD
	s_and_saveexec_b64 s[6:7], s[0:1]
	s_cbranch_execz .LBB178_297
; %bb.292:                              ;   in Loop: Header=BB178_175 Depth=1
	v_bfrev_b32_e32 v20, 1
	v_mov_b32_e32 v21, 0
	v_cmp_ne_u16_sdwa s[0:1], v11, s24 src0_sel:BYTE_0 src1_sel:DWORD
	s_and_saveexec_b64 s[12:13], s[0:1]
	s_cbranch_execz .LBB178_296
; %bb.293:                              ;   in Loop: Header=BB178_175 Depth=1
	v_bfe_u32 v0, v15, 16, 7
	v_mov_b32_e32 v20, 0x7f800001
	v_mov_b32_e32 v21, 0
	v_cmp_ne_u32_e64 s[0:1], s25, v0
	s_and_saveexec_b64 s[14:15], s[0:1]
	s_cbranch_execz .LBB178_295
; %bb.294:                              ;   in Loop: Header=BB178_175 Depth=1
	v_and_b32_e32 v58, 7, v11
	v_ffbh_u32_e32 v20, v58
	v_min_u32_e32 v60, 32, v20
	v_subrev_u32_e32 v20, 28, v60
	v_lshlrev_b64 v[20:21], v20, v[11:12]
	v_lshrrev_b32_e32 v59, 3, v0
	v_sub_u32_e32 v21, 29, v60
	v_and_b32_e32 v20, 7, v20
	v_cmp_gt_u32_e64 s[0:1], 8, v0
	v_cndmask_b32_e64 v0, v59, v21, s[0:1]
	v_cndmask_b32_e64 v20, v58, v20, s[0:1]
	v_lshlrev_b32_e32 v20, 20, v20
	v_and_b32_sdwa v11, sext(v11), s26 dst_sel:DWORD dst_unused:UNUSED_PAD src0_sel:BYTE_0 src1_sel:DWORD
	v_lshl_add_u32 v0, v0, 23, v34
	v_or3_b32 v20, v11, v0, v20
	v_mov_b32_e32 v21, v5
.LBB178_295:                            ;   in Loop: Header=BB178_175 Depth=1
	s_or_b64 exec, exec, s[14:15]
.LBB178_296:                            ;   in Loop: Header=BB178_175 Depth=1
	s_or_b64 exec, exec, s[12:13]
.LBB178_297:                            ;   in Loop: Header=BB178_175 Depth=1
	s_or_b64 exec, exec, s[6:7]
	v_cmp_lt_u32_e64 s[0:1], s27, v15
	s_and_saveexec_b64 s[6:7], s[0:1]
	s_cbranch_execz .LBB178_303
; %bb.298:                              ;   in Loop: Header=BB178_175 Depth=1
	v_mov_b32_e32 v23, v6
	v_cmp_ne_u32_sdwa s[0:1], v15, s24 src0_sel:BYTE_3 src1_sel:DWORD
	v_mov_b32_e32 v22, v5
	s_and_saveexec_b64 s[12:13], s[0:1]
	s_cbranch_execz .LBB178_302
; %bb.299:                              ;   in Loop: Header=BB178_175 Depth=1
	v_bfe_u32 v0, v15, 24, 7
	v_mov_b32_e32 v11, v5
	v_mov_b32_e32 v23, v12
	v_cmp_ne_u32_e64 s[0:1], s25, v0
	v_mov_b32_e32 v22, v11
	s_and_saveexec_b64 s[14:15], s[0:1]
	s_cbranch_execz .LBB178_301
; %bb.300:                              ;   in Loop: Header=BB178_175 Depth=1
	v_and_b32_sdwa v22, v15, v37 dst_sel:DWORD dst_unused:UNUSED_PAD src0_sel:BYTE_3 src1_sel:DWORD
	v_ffbh_u32_e32 v58, v22
	v_min_u32_e32 v60, 32, v58
	v_mov_b32_e32 v23, v5
	v_subrev_u32_e32 v58, 28, v60
	v_lshlrev_b64 v[58:59], v58, v[22:23]
	v_lshrrev_b32_e32 v11, 3, v0
	v_sub_u32_e32 v23, 29, v60
	v_cmp_gt_u32_e64 s[0:1], 8, v0
	v_and_b32_e32 v58, 7, v58
	v_cndmask_b32_e64 v0, v11, v23, s[0:1]
	v_cndmask_b32_e64 v11, v22, v58, s[0:1]
	v_lshlrev_b32_sdwa v15, v38, v15 dst_sel:DWORD dst_unused:UNUSED_PAD src0_sel:DWORD src1_sel:BYTE_3
	v_lshl_add_u32 v0, v0, 23, v34
	v_and_or_b32 v0, v15, s26, v0
	v_lshlrev_b32_e32 v11, 20, v11
	v_or_b32_e32 v23, v0, v11
	v_mov_b32_e32 v22, v5
.LBB178_301:                            ;   in Loop: Header=BB178_175 Depth=1
	s_or_b64 exec, exec, s[14:15]
.LBB178_302:                            ;   in Loop: Header=BB178_175 Depth=1
	s_or_b64 exec, exec, s[12:13]
.LBB178_303:                            ;   in Loop: Header=BB178_175 Depth=1
	s_or_b64 exec, exec, s[6:7]
	v_or_b32_e32 v0, v19, v17
	v_or_b32_e32 v11, v18, v16
	v_mul_f32_e32 v58, s18, v0
	v_mul_f32_e32 v59, s17, v11
	v_or_b32_e32 v0, v23, v21
	v_or_b32_e32 v11, v22, v20
	v_mul_f32_e32 v23, s17, v11
	v_mul_f32_e32 v22, s18, v0
	s_and_saveexec_b64 s[6:7], vcc
; %bb.304:                              ;   in Loop: Header=BB178_175 Depth=1
	v_cmp_gt_i32_e64 s[0:1], s30, v43
	v_cndmask_b32_e64 v59, 0, v59, s[0:1]
	v_cmp_gt_i32_e64 s[0:1], s30, v45
	v_cndmask_b32_e64 v58, 0, v58, s[0:1]
	;; [unrolled: 2-line block ×4, first 2 shown]
; %bb.305:                              ;   in Loop: Header=BB178_175 Depth=1
	s_or_b64 exec, exec, s[6:7]
	global_load_dword v13, v[13:14], off offset:1280
	v_mov_b32_e32 v16, 0
	v_mov_b32_e32 v14, 0
	;; [unrolled: 1-line block ×4, first 2 shown]
	s_waitcnt vmcnt(0)
	v_cmp_ne_u16_sdwa s[0:1], v13, v5 src0_sel:BYTE_0 src1_sel:DWORD
	s_and_saveexec_b64 s[6:7], s[0:1]
	s_cbranch_execz .LBB178_311
; %bb.306:                              ;   in Loop: Header=BB178_175 Depth=1
	v_bfrev_b32_e32 v14, 1
	v_mov_b32_e32 v15, 0
	v_cmp_ne_u16_sdwa s[0:1], v13, s24 src0_sel:BYTE_0 src1_sel:DWORD
	s_and_saveexec_b64 s[12:13], s[0:1]
	s_cbranch_execz .LBB178_310
; %bb.307:                              ;   in Loop: Header=BB178_175 Depth=1
	v_and_b32_e32 v0, 0x7f, v13
	v_mov_b32_e32 v14, 0x7f800001
	v_mov_b32_e32 v15, 0
	v_cmp_ne_u32_e64 s[0:1], s25, v0
	s_and_saveexec_b64 s[14:15], s[0:1]
	s_cbranch_execz .LBB178_309
; %bb.308:                              ;   in Loop: Header=BB178_175 Depth=1
	v_and_b32_e32 v11, 7, v13
	v_ffbh_u32_e32 v14, v11
	v_min_u32_e32 v19, 32, v14
	v_subrev_u32_e32 v14, 28, v19
	v_lshlrev_b64 v[14:15], v14, v[13:14]
	v_lshrrev_b32_e32 v18, 3, v0
	v_sub_u32_e32 v15, 29, v19
	v_and_b32_e32 v14, 7, v14
	v_cmp_gt_u32_e64 s[0:1], 8, v0
	v_cndmask_b32_e64 v0, v18, v15, s[0:1]
	v_cndmask_b32_e64 v11, v11, v14, s[0:1]
	v_lshlrev_b32_e32 v11, 20, v11
	v_and_b32_sdwa v14, sext(v13), s26 dst_sel:DWORD dst_unused:UNUSED_PAD src0_sel:BYTE_0 src1_sel:DWORD
	v_lshl_add_u32 v0, v0, 23, v34
	v_or3_b32 v14, v14, v0, v11
	v_mov_b32_e32 v15, v5
.LBB178_309:                            ;   in Loop: Header=BB178_175 Depth=1
	s_or_b64 exec, exec, s[14:15]
.LBB178_310:                            ;   in Loop: Header=BB178_175 Depth=1
	s_or_b64 exec, exec, s[12:13]
.LBB178_311:                            ;   in Loop: Header=BB178_175 Depth=1
	s_or_b64 exec, exec, s[6:7]
	v_cmp_ne_u16_sdwa s[0:1], v13, v5 src0_sel:BYTE_1 src1_sel:DWORD
	s_and_saveexec_b64 s[6:7], s[0:1]
	s_cbranch_execz .LBB178_317
; %bb.312:                              ;   in Loop: Header=BB178_175 Depth=1
	v_mov_b32_e32 v17, v6
	v_cmp_ne_u16_sdwa s[0:1], v13, s24 src0_sel:BYTE_1 src1_sel:DWORD
	v_mov_b32_e32 v16, v5
	s_and_saveexec_b64 s[12:13], s[0:1]
	s_cbranch_execz .LBB178_316
; %bb.313:                              ;   in Loop: Header=BB178_175 Depth=1
	v_and_b32_sdwa v0, v13, s25 dst_sel:DWORD dst_unused:UNUSED_PAD src0_sel:BYTE_1 src1_sel:DWORD
	v_mov_b32_e32 v11, v5
	v_mov_b32_e32 v17, v12
	v_cmp_ne_u32_e64 s[0:1], s25, v0
	v_mov_b32_e32 v16, v11
	s_and_saveexec_b64 s[14:15], s[0:1]
	s_cbranch_execz .LBB178_315
; %bb.314:                              ;   in Loop: Header=BB178_175 Depth=1
	v_and_b32_sdwa v16, v13, v37 dst_sel:DWORD dst_unused:UNUSED_PAD src0_sel:BYTE_1 src1_sel:DWORD
	v_ffbh_u32_e32 v18, v16
	v_min_u32_e32 v19, 32, v18
	v_mov_b32_e32 v17, v5
	v_subrev_u32_e32 v18, 28, v19
	v_lshlrev_b64 v[17:18], v18, v[16:17]
	v_lshrrev_b32_e32 v11, 3, v0
	v_sub_u32_e32 v18, 29, v19
	v_cmp_gt_u32_e64 s[0:1], 8, v0
	v_and_b32_e32 v17, 7, v17
	v_cndmask_b32_e64 v0, v11, v18, s[0:1]
	v_cndmask_b32_e64 v11, v16, v17, s[0:1]
	v_lshlrev_b32_e32 v16, 16, v13
	v_lshl_add_u32 v0, v0, 23, v34
	v_and_or_b32 v0, v16, s26, v0
	v_lshlrev_b32_e32 v11, 20, v11
	v_or_b32_e32 v17, v0, v11
	v_mov_b32_e32 v16, v5
.LBB178_315:                            ;   in Loop: Header=BB178_175 Depth=1
	s_or_b64 exec, exec, s[14:15]
.LBB178_316:                            ;   in Loop: Header=BB178_175 Depth=1
	s_or_b64 exec, exec, s[12:13]
.LBB178_317:                            ;   in Loop: Header=BB178_175 Depth=1
	s_or_b64 exec, exec, s[6:7]
	v_lshrrev_b32_e32 v11, 16, v13
	v_mov_b32_e32 v20, 0
	v_mov_b32_e32 v18, 0
	;; [unrolled: 1-line block ×4, first 2 shown]
	v_cmp_ne_u16_sdwa s[0:1], v11, v5 src0_sel:BYTE_0 src1_sel:DWORD
	s_and_saveexec_b64 s[6:7], s[0:1]
	s_cbranch_execz .LBB178_323
; %bb.318:                              ;   in Loop: Header=BB178_175 Depth=1
	v_bfrev_b32_e32 v18, 1
	v_mov_b32_e32 v19, 0
	v_cmp_ne_u16_sdwa s[0:1], v11, s24 src0_sel:BYTE_0 src1_sel:DWORD
	s_and_saveexec_b64 s[12:13], s[0:1]
	s_cbranch_execz .LBB178_322
; %bb.319:                              ;   in Loop: Header=BB178_175 Depth=1
	v_bfe_u32 v0, v13, 16, 7
	v_mov_b32_e32 v18, 0x7f800001
	v_mov_b32_e32 v19, 0
	v_cmp_ne_u32_e64 s[0:1], s25, v0
	s_and_saveexec_b64 s[14:15], s[0:1]
	s_cbranch_execz .LBB178_321
; %bb.320:                              ;   in Loop: Header=BB178_175 Depth=1
	v_and_b32_e32 v60, 7, v11
	v_lshrrev_b32_e32 v61, 3, v0
	v_cmp_gt_u32_e64 s[0:1], 8, v0
	v_ffbh_u32_e32 v0, v60
	v_min_u32_e32 v0, 32, v0
	v_subrev_u32_e32 v18, 28, v0
	v_lshlrev_b64 v[18:19], v18, v[11:12]
	v_sub_u32_e32 v0, 29, v0
	v_and_b32_e32 v18, 7, v18
	v_cndmask_b32_e64 v0, v61, v0, s[0:1]
	v_cndmask_b32_e64 v18, v60, v18, s[0:1]
	v_lshlrev_b32_e32 v18, 20, v18
	v_and_b32_sdwa v11, sext(v11), s26 dst_sel:DWORD dst_unused:UNUSED_PAD src0_sel:BYTE_0 src1_sel:DWORD
	v_lshl_add_u32 v0, v0, 23, v34
	v_or3_b32 v18, v11, v0, v18
	v_mov_b32_e32 v19, v5
.LBB178_321:                            ;   in Loop: Header=BB178_175 Depth=1
	s_or_b64 exec, exec, s[14:15]
.LBB178_322:                            ;   in Loop: Header=BB178_175 Depth=1
	s_or_b64 exec, exec, s[12:13]
.LBB178_323:                            ;   in Loop: Header=BB178_175 Depth=1
	s_or_b64 exec, exec, s[6:7]
	v_cmp_lt_u32_e64 s[0:1], s27, v13
	s_and_saveexec_b64 s[6:7], s[0:1]
	s_cbranch_execz .LBB178_329
; %bb.324:                              ;   in Loop: Header=BB178_175 Depth=1
	v_mov_b32_e32 v21, v6
	v_cmp_ne_u32_sdwa s[0:1], v13, s24 src0_sel:BYTE_3 src1_sel:DWORD
	v_mov_b32_e32 v20, v5
	s_and_saveexec_b64 s[12:13], s[0:1]
	s_cbranch_execz .LBB178_328
; %bb.325:                              ;   in Loop: Header=BB178_175 Depth=1
	v_bfe_u32 v0, v13, 24, 7
	v_mov_b32_e32 v11, v5
	v_mov_b32_e32 v21, v12
	v_cmp_ne_u32_e64 s[0:1], s25, v0
	v_mov_b32_e32 v20, v11
	s_and_saveexec_b64 s[14:15], s[0:1]
	s_cbranch_execz .LBB178_327
; %bb.326:                              ;   in Loop: Header=BB178_175 Depth=1
	v_and_b32_sdwa v20, v13, v37 dst_sel:DWORD dst_unused:UNUSED_PAD src0_sel:BYTE_3 src1_sel:DWORD
	v_lshrrev_b32_e32 v11, 3, v0
	v_cmp_gt_u32_e64 s[0:1], 8, v0
	v_ffbh_u32_e32 v0, v20
	v_min_u32_e32 v0, 32, v0
	v_mov_b32_e32 v21, v5
	v_subrev_u32_e32 v60, 28, v0
	v_lshlrev_b64 v[60:61], v60, v[20:21]
	v_sub_u32_e32 v0, 29, v0
	v_and_b32_e32 v21, 7, v60
	v_cndmask_b32_e64 v0, v11, v0, s[0:1]
	v_cndmask_b32_e64 v11, v20, v21, s[0:1]
	v_lshlrev_b32_sdwa v13, v38, v13 dst_sel:DWORD dst_unused:UNUSED_PAD src0_sel:DWORD src1_sel:BYTE_3
	v_lshl_add_u32 v0, v0, 23, v34
	v_and_or_b32 v0, v13, s26, v0
	v_lshlrev_b32_e32 v11, 20, v11
	v_or_b32_e32 v21, v0, v11
	v_mov_b32_e32 v20, v5
.LBB178_327:                            ;   in Loop: Header=BB178_175 Depth=1
	s_or_b64 exec, exec, s[14:15]
.LBB178_328:                            ;   in Loop: Header=BB178_175 Depth=1
	s_or_b64 exec, exec, s[12:13]
.LBB178_329:                            ;   in Loop: Header=BB178_175 Depth=1
	s_or_b64 exec, exec, s[6:7]
	v_or_b32_e32 v11, v16, v14
	v_or_b32_e32 v0, v17, v15
	v_mul_f32_e32 v14, s17, v11
	v_or_b32_e32 v11, v21, v19
	v_or_b32_e32 v13, v20, v18
	v_mul_f32_e32 v0, s18, v0
	v_mul_f32_e32 v13, s17, v13
	;; [unrolled: 1-line block ×3, first 2 shown]
	s_and_saveexec_b64 s[0:1], vcc
	s_cbranch_execz .LBB178_174
; %bb.330:                              ;   in Loop: Header=BB178_175 Depth=1
	v_cmp_gt_i32_e32 vcc, s30, v43
	v_cndmask_b32_e32 v14, 0, v14, vcc
	v_cmp_gt_i32_e32 vcc, s30, v45
	v_cndmask_b32_e32 v0, 0, v0, vcc
	;; [unrolled: 2-line block ×4, first 2 shown]
	s_branch .LBB178_174
.LBB178_331:
	s_or_b64 exec, exec, s[4:5]
	v_mov_b32_e32 v10, v62
.LBB178_332:
	s_or_b64 exec, exec, s[2:3]
	ds_bpermute_b32 v0, v25, v35
	ds_bpermute_b32 v2, v25, v31
	;; [unrolled: 1-line block ×5, first 2 shown]
	s_waitcnt lgkmcnt(4)
	v_add_f32_e32 v1, v35, v0
	ds_bpermute_b32 v0, v25, v27
	v_and_b32_e32 v7, 0x3c1, v10
	s_waitcnt lgkmcnt(4)
	v_add_f32_e32 v2, v31, v2
	s_waitcnt lgkmcnt(3)
	v_add_f32_e32 v3, v30, v3
	;; [unrolled: 2-line block ×5, first 2 shown]
	v_cmp_eq_u32_e32 vcc, 64, v7
	s_barrier
	s_and_saveexec_b64 s[0:1], vcc
	s_cbranch_execz .LBB178_334
; %bb.333:
	v_mov_b32_e32 v0, 0x310
	v_lshl_add_u32 v0, v24, 1, v0
	ds_write2_b32 v0, v1, v2 offset1:32
	ds_write2_b32 v0, v3, v4 offset0:64 offset1:96
	ds_write2_b32 v0, v5, v6 offset0:128 offset1:160
.LBB178_334:
	s_or_b64 exec, exec, s[0:1]
	v_cmp_gt_u32_e32 vcc, 64, v10
	v_lshrrev_b32_e32 v0, 1, v10
	s_waitcnt lgkmcnt(0)
	s_barrier
	s_and_saveexec_b64 s[0:1], vcc
	s_cbranch_execz .LBB178_343
; %bb.335:
	v_mov_b32_e32 v8, 0x310
	v_cmp_eq_u32_e32 vcc, 0, v26
	v_lshl_add_u32 v8, v0, 2, v8
	s_and_saveexec_b64 s[2:3], vcc
	s_cbranch_execnz .LBB178_346
; %bb.336:
	s_or_b64 exec, exec, s[2:3]
	s_and_saveexec_b64 s[2:3], vcc
	s_cbranch_execnz .LBB178_347
.LBB178_337:
	s_or_b64 exec, exec, s[2:3]
	s_and_saveexec_b64 s[2:3], vcc
	s_cbranch_execnz .LBB178_348
.LBB178_338:
	s_or_b64 exec, exec, s[2:3]
	s_and_saveexec_b64 s[2:3], vcc
	s_cbranch_execnz .LBB178_349
.LBB178_339:
	s_or_b64 exec, exec, s[2:3]
	s_and_saveexec_b64 s[2:3], vcc
	s_cbranch_execnz .LBB178_350
.LBB178_340:
	s_or_b64 exec, exec, s[2:3]
	s_and_saveexec_b64 s[2:3], vcc
	s_cbranch_execz .LBB178_342
.LBB178_341:
	ds_read_b32 v8, v8 offset:640
	s_waitcnt lgkmcnt(0)
	v_add_f32_e32 v6, v6, v8
.LBB178_342:
	s_or_b64 exec, exec, s[2:3]
.LBB178_343:
	s_or_b64 exec, exec, s[0:1]
	v_cmp_eq_u32_e32 vcc, 0, v7
	s_barrier
	s_and_saveexec_b64 s[0:1], vcc
	s_cbranch_execz .LBB178_345
; %bb.344:
	s_mul_i32 s0, s10, s11
	s_mul_i32 s0, s0, s9
	s_mulk_i32 s0, 0xc0
	s_ashr_i32 s1, s0, 31
	s_lshl_b64 s[0:1], s[0:1], 2
	s_add_u32 s2, s22, s0
	s_mul_i32 s0, s11, s20
	s_addc_u32 s3, s23, s1
	s_ashr_i32 s1, s0, 31
	s_lshl_b64 s[0:1], s[0:1], 2
	s_add_u32 s2, s2, s0
	s_mul_i32 s0, s8, 0xc0
	s_addc_u32 s3, s3, s1
	s_ashr_i32 s1, s0, 31
	s_lshl_b64 s[0:1], s[0:1], 2
	s_add_u32 s0, s2, s0
	s_addc_u32 s1, s3, s1
	v_lshlrev_b32_e32 v0, 2, v0
	global_store_dword v0, v1, s[0:1]
	global_store_dword v0, v2, s[0:1] offset:128
	global_store_dword v0, v3, s[0:1] offset:256
	;; [unrolled: 1-line block ×5, first 2 shown]
.LBB178_345:
	s_endpgm
.LBB178_346:
	ds_read_b32 v9, v8
	s_waitcnt lgkmcnt(0)
	v_add_f32_e32 v1, v1, v9
	s_or_b64 exec, exec, s[2:3]
	s_and_saveexec_b64 s[2:3], vcc
	s_cbranch_execz .LBB178_337
.LBB178_347:
	ds_read_b32 v9, v8 offset:128
	s_waitcnt lgkmcnt(0)
	v_add_f32_e32 v2, v2, v9
	s_or_b64 exec, exec, s[2:3]
	s_and_saveexec_b64 s[2:3], vcc
	s_cbranch_execz .LBB178_338
.LBB178_348:
	ds_read_b32 v9, v8 offset:256
	s_waitcnt lgkmcnt(0)
	v_add_f32_e32 v3, v3, v9
	s_or_b64 exec, exec, s[2:3]
	s_and_saveexec_b64 s[2:3], vcc
	s_cbranch_execz .LBB178_339
.LBB178_349:
	ds_read_b32 v9, v8 offset:384
	s_waitcnt lgkmcnt(0)
	v_add_f32_e32 v4, v4, v9
	s_or_b64 exec, exec, s[2:3]
	s_and_saveexec_b64 s[2:3], vcc
	s_cbranch_execz .LBB178_340
.LBB178_350:
	ds_read_b32 v9, v8 offset:512
	s_waitcnt lgkmcnt(0)
	v_add_f32_e32 v5, v5, v9
	s_or_b64 exec, exec, s[2:3]
	s_and_saveexec_b64 s[2:3], vcc
	s_cbranch_execnz .LBB178_341
	s_branch .LBB178_342
	.section	.rodata,"a",@progbits
	.p2align	6, 0x0
	.amdhsa_kernel _ZN4vllm25paged_attention_v1_kernelIfhLi192ELi8ELi128ELNS_18Fp8KVCacheDataTypeE1ELb0EEEvPT_PKS2_PKT0_S8_ifPKiSA_iPKfiiiSC_SC_iiiii
		.amdhsa_group_segment_fixed_size 784
		.amdhsa_private_segment_fixed_size 44
		.amdhsa_kernarg_size 384
		.amdhsa_user_sgpr_count 6
		.amdhsa_user_sgpr_private_segment_buffer 1
		.amdhsa_user_sgpr_dispatch_ptr 0
		.amdhsa_user_sgpr_queue_ptr 0
		.amdhsa_user_sgpr_kernarg_segment_ptr 1
		.amdhsa_user_sgpr_dispatch_id 0
		.amdhsa_user_sgpr_flat_scratch_init 0
		.amdhsa_user_sgpr_private_segment_size 0
		.amdhsa_uses_dynamic_stack 0
		.amdhsa_system_sgpr_private_segment_wavefront_offset 1
		.amdhsa_system_sgpr_workgroup_id_x 1
		.amdhsa_system_sgpr_workgroup_id_y 1
		.amdhsa_system_sgpr_workgroup_id_z 1
		.amdhsa_system_sgpr_workgroup_info 0
		.amdhsa_system_vgpr_workitem_id 0
		.amdhsa_next_free_vgpr 64
		.amdhsa_next_free_sgpr 48
		.amdhsa_reserve_vcc 1
		.amdhsa_reserve_flat_scratch 0
		.amdhsa_float_round_mode_32 0
		.amdhsa_float_round_mode_16_64 0
		.amdhsa_float_denorm_mode_32 3
		.amdhsa_float_denorm_mode_16_64 3
		.amdhsa_dx10_clamp 1
		.amdhsa_ieee_mode 1
		.amdhsa_fp16_overflow 0
		.amdhsa_exception_fp_ieee_invalid_op 0
		.amdhsa_exception_fp_denorm_src 0
		.amdhsa_exception_fp_ieee_div_zero 0
		.amdhsa_exception_fp_ieee_overflow 0
		.amdhsa_exception_fp_ieee_underflow 0
		.amdhsa_exception_fp_ieee_inexact 0
		.amdhsa_exception_int_div_zero 0
	.end_amdhsa_kernel
	.section	.text._ZN4vllm25paged_attention_v1_kernelIfhLi192ELi8ELi128ELNS_18Fp8KVCacheDataTypeE1ELb0EEEvPT_PKS2_PKT0_S8_ifPKiSA_iPKfiiiSC_SC_iiiii,"axG",@progbits,_ZN4vllm25paged_attention_v1_kernelIfhLi192ELi8ELi128ELNS_18Fp8KVCacheDataTypeE1ELb0EEEvPT_PKS2_PKT0_S8_ifPKiSA_iPKfiiiSC_SC_iiiii,comdat
.Lfunc_end178:
	.size	_ZN4vllm25paged_attention_v1_kernelIfhLi192ELi8ELi128ELNS_18Fp8KVCacheDataTypeE1ELb0EEEvPT_PKS2_PKT0_S8_ifPKiSA_iPKfiiiSC_SC_iiiii, .Lfunc_end178-_ZN4vllm25paged_attention_v1_kernelIfhLi192ELi8ELi128ELNS_18Fp8KVCacheDataTypeE1ELb0EEEvPT_PKS2_PKT0_S8_ifPKiSA_iPKfiiiSC_SC_iiiii
                                        ; -- End function
	.set _ZN4vllm25paged_attention_v1_kernelIfhLi192ELi8ELi128ELNS_18Fp8KVCacheDataTypeE1ELb0EEEvPT_PKS2_PKT0_S8_ifPKiSA_iPKfiiiSC_SC_iiiii.num_vgpr, 64
	.set _ZN4vllm25paged_attention_v1_kernelIfhLi192ELi8ELi128ELNS_18Fp8KVCacheDataTypeE1ELb0EEEvPT_PKS2_PKT0_S8_ifPKiSA_iPKfiiiSC_SC_iiiii.num_agpr, 0
	.set _ZN4vllm25paged_attention_v1_kernelIfhLi192ELi8ELi128ELNS_18Fp8KVCacheDataTypeE1ELb0EEEvPT_PKS2_PKT0_S8_ifPKiSA_iPKfiiiSC_SC_iiiii.numbered_sgpr, 48
	.set _ZN4vllm25paged_attention_v1_kernelIfhLi192ELi8ELi128ELNS_18Fp8KVCacheDataTypeE1ELb0EEEvPT_PKS2_PKT0_S8_ifPKiSA_iPKfiiiSC_SC_iiiii.num_named_barrier, 0
	.set _ZN4vllm25paged_attention_v1_kernelIfhLi192ELi8ELi128ELNS_18Fp8KVCacheDataTypeE1ELb0EEEvPT_PKS2_PKT0_S8_ifPKiSA_iPKfiiiSC_SC_iiiii.private_seg_size, 44
	.set _ZN4vllm25paged_attention_v1_kernelIfhLi192ELi8ELi128ELNS_18Fp8KVCacheDataTypeE1ELb0EEEvPT_PKS2_PKT0_S8_ifPKiSA_iPKfiiiSC_SC_iiiii.uses_vcc, 1
	.set _ZN4vllm25paged_attention_v1_kernelIfhLi192ELi8ELi128ELNS_18Fp8KVCacheDataTypeE1ELb0EEEvPT_PKS2_PKT0_S8_ifPKiSA_iPKfiiiSC_SC_iiiii.uses_flat_scratch, 0
	.set _ZN4vllm25paged_attention_v1_kernelIfhLi192ELi8ELi128ELNS_18Fp8KVCacheDataTypeE1ELb0EEEvPT_PKS2_PKT0_S8_ifPKiSA_iPKfiiiSC_SC_iiiii.has_dyn_sized_stack, 0
	.set _ZN4vllm25paged_attention_v1_kernelIfhLi192ELi8ELi128ELNS_18Fp8KVCacheDataTypeE1ELb0EEEvPT_PKS2_PKT0_S8_ifPKiSA_iPKfiiiSC_SC_iiiii.has_recursion, 0
	.set _ZN4vllm25paged_attention_v1_kernelIfhLi192ELi8ELi128ELNS_18Fp8KVCacheDataTypeE1ELb0EEEvPT_PKS2_PKT0_S8_ifPKiSA_iPKfiiiSC_SC_iiiii.has_indirect_call, 0
	.section	.AMDGPU.csdata,"",@progbits
; Kernel info:
; codeLenInByte = 13396
; TotalNumSgprs: 52
; NumVgprs: 64
; ScratchSize: 44
; MemoryBound: 0
; FloatMode: 240
; IeeeMode: 1
; LDSByteSize: 784 bytes/workgroup (compile time only)
; SGPRBlocks: 6
; VGPRBlocks: 15
; NumSGPRsForWavesPerEU: 52
; NumVGPRsForWavesPerEU: 64
; Occupancy: 4
; WaveLimiterHint : 1
; COMPUTE_PGM_RSRC2:SCRATCH_EN: 1
; COMPUTE_PGM_RSRC2:USER_SGPR: 6
; COMPUTE_PGM_RSRC2:TRAP_HANDLER: 0
; COMPUTE_PGM_RSRC2:TGID_X_EN: 1
; COMPUTE_PGM_RSRC2:TGID_Y_EN: 1
; COMPUTE_PGM_RSRC2:TGID_Z_EN: 1
; COMPUTE_PGM_RSRC2:TIDIG_COMP_CNT: 0
	.section	.text._ZN4vllm25paged_attention_v1_kernelIfhLi256ELi8ELi128ELNS_18Fp8KVCacheDataTypeE1ELb0EEEvPT_PKS2_PKT0_S8_ifPKiSA_iPKfiiiSC_SC_iiiii,"axG",@progbits,_ZN4vllm25paged_attention_v1_kernelIfhLi256ELi8ELi128ELNS_18Fp8KVCacheDataTypeE1ELb0EEEvPT_PKS2_PKT0_S8_ifPKiSA_iPKfiiiSC_SC_iiiii,comdat
	.protected	_ZN4vllm25paged_attention_v1_kernelIfhLi256ELi8ELi128ELNS_18Fp8KVCacheDataTypeE1ELb0EEEvPT_PKS2_PKT0_S8_ifPKiSA_iPKfiiiSC_SC_iiiii ; -- Begin function _ZN4vllm25paged_attention_v1_kernelIfhLi256ELi8ELi128ELNS_18Fp8KVCacheDataTypeE1ELb0EEEvPT_PKS2_PKT0_S8_ifPKiSA_iPKfiiiSC_SC_iiiii
	.globl	_ZN4vllm25paged_attention_v1_kernelIfhLi256ELi8ELi128ELNS_18Fp8KVCacheDataTypeE1ELb0EEEvPT_PKS2_PKT0_S8_ifPKiSA_iPKfiiiSC_SC_iiiii
	.p2align	8
	.type	_ZN4vllm25paged_attention_v1_kernelIfhLi256ELi8ELi128ELNS_18Fp8KVCacheDataTypeE1ELb0EEEvPT_PKS2_PKT0_S8_ifPKiSA_iPKfiiiSC_SC_iiiii,@function
_ZN4vllm25paged_attention_v1_kernelIfhLi256ELi8ELi128ELNS_18Fp8KVCacheDataTypeE1ELb0EEEvPT_PKS2_PKT0_S8_ifPKiSA_iPKfiiiSC_SC_iiiii: ; @_ZN4vllm25paged_attention_v1_kernelIfhLi256ELi8ELi128ELNS_18Fp8KVCacheDataTypeE1ELb0EEEvPT_PKS2_PKT0_S8_ifPKiSA_iPKfiiiSC_SC_iiiii
; %bb.0:
	s_mov_b64 s[46:47], s[2:3]
	s_mov_b64 s[44:45], s[0:1]
	s_add_u32 s44, s44, s9
	s_load_dword s9, s[4:5], 0x80
	s_load_dwordx2 s[0:1], s[4:5], 0x30
	s_load_dwordx2 s[30:31], s[4:5], 0x20
	s_addc_u32 s45, s45, 0
	s_mov_b32 s10, s7
	s_ashr_i32 s11, s7, 31
	s_lshl_b64 s[2:3], s[10:11], 2
	s_waitcnt lgkmcnt(0)
	s_add_u32 s0, s0, s2
	s_addc_u32 s1, s1, s3
	s_abs_i32 s2, s30
	v_mov_b32_e32 v10, v0
	v_cvt_f32_u32_e32 v0, s2
	s_sub_i32 s11, 0, s2
	s_abs_i32 s7, s9
	s_xor_b32 s3, s9, s30
	v_rcp_iflag_f32_e32 v0, v0
	s_ashr_i32 s3, s3, 31
	s_mov_b32 s33, 0
	v_mul_f32_e32 v0, 0x4f7ffffe, v0
	v_cvt_u32_f32_e32 v0, v0
	v_readfirstlane_b32 s12, v0
	s_mul_i32 s11, s11, s12
	s_mul_hi_u32 s11, s12, s11
	s_add_i32 s12, s12, s11
	s_mul_hi_u32 s11, s7, s12
	s_mul_i32 s12, s11, s2
	s_sub_i32 s7, s7, s12
	s_add_i32 s12, s11, 1
	s_sub_i32 s13, s7, s2
	s_cmp_ge_u32 s7, s2
	s_cselect_b32 s11, s12, s11
	s_cselect_b32 s7, s13, s7
	s_add_i32 s12, s11, 1
	s_cmp_ge_u32 s7, s2
	s_cselect_b32 s2, s12, s11
	s_xor_b32 s2, s2, s3
	s_sub_i32 s11, s2, s3
	s_abs_i32 s16, s11
	v_cvt_f32_u32_e32 v0, s16
	s_load_dwordx2 s[2:3], s[4:5], 0x40
	s_sub_i32 s7, 0, s16
	s_abs_i32 s17, s6
	v_rcp_iflag_f32_e32 v0, v0
	v_mul_f32_e32 v0, 0x4f7ffffe, v0
	v_cvt_u32_f32_e32 v0, v0
	v_readfirstlane_b32 s12, v0
	s_mul_i32 s7, s7, s12
	s_mul_hi_u32 s7, s12, s7
	s_add_i32 s12, s12, s7
	s_waitcnt lgkmcnt(0)
	s_cmp_eq_u64 s[2:3], 0
	s_mul_hi_u32 s18, s17, s12
	s_cbranch_scc1 .LBB179_2
; %bb.1:
	s_ashr_i32 s7, s6, 31
	s_lshl_b64 s[12:13], s[6:7], 2
	s_add_u32 s2, s2, s12
	s_addc_u32 s3, s3, s13
	s_load_dword s33, s[2:3], 0x0
.LBB179_2:
	s_load_dword s30, s[0:1], 0x0
	s_ashr_i32 s19, s11, 31
	s_load_dword s11, s[4:5], 0x88
	s_load_dwordx4 s[12:15], s[4:5], 0x48
	s_movk_i32 s0, 0x100
	s_ashr_i32 s7, s6, 31
	v_and_b32_e32 v0, 7, v10
	s_lshl_b32 s20, s6, 8
	v_cmp_gt_u32_e32 vcc, s0, v10
	v_lshlrev_b32_e32 v13, 2, v10
	s_and_saveexec_b64 s[0:1], vcc
	s_cbranch_execz .LBB179_5
; %bb.3:
	s_load_dwordx2 s[2:3], s[4:5], 0x8
	s_waitcnt lgkmcnt(0)
	s_mul_i32 s22, s12, s10
	s_ashr_i32 s23, s22, 31
	s_lshl_b64 s[22:23], s[22:23], 2
	v_lshrrev_b32_e32 v1, 3, v10
	s_add_u32 s6, s2, s22
	s_addc_u32 s12, s3, s23
	s_ashr_i32 s21, s20, 31
	s_lshl_b64 s[2:3], s[20:21], 2
	s_add_u32 s2, s6, s2
	s_addc_u32 s3, s12, s3
	global_load_dword v3, v13, s[2:3]
	s_movk_i32 s6, 0x80
	v_lshlrev_b32_e32 v2, 2, v1
	v_lshl_add_u32 v2, v0, 7, v2
	v_cmp_gt_u32_e32 vcc, s6, v10
	s_waitcnt vmcnt(0)
	ds_write_b32 v2, v3
	s_and_b64 exec, exec, vcc
	s_cbranch_execz .LBB179_5
; %bb.4:
	v_lshlrev_b32_e32 v1, 5, v1
	v_lshlrev_b32_e32 v3, 2, v0
	s_movk_i32 s6, 0x200
	v_or3_b32 v1, v1, v3, s6
	global_load_dword v1, v1, s[2:3]
	s_waitcnt vmcnt(0)
	ds_write_b32 v2, v1 offset:64
.LBB179_5:
	s_or_b64 exec, exec, s[0:1]
	s_waitcnt lgkmcnt(0)
	s_add_i32 s1, s30, 7
	s_ashr_i32 s2, s1, 31
	s_lshr_b32 s2, s2, 29
	s_add_i32 s1, s1, s2
	s_mul_i32 s2, s18, s16
	s_sub_i32 s2, s17, s2
	s_ashr_i32 s21, s1, 3
	s_xor_b32 s1, s7, s19
	s_add_i32 s3, s18, 1
	s_sub_i32 s6, s2, s16
	s_load_dwordx2 s[24:25], s[4:5], 0x28
	s_load_dword s0, s[4:5], 0x38
	s_cmp_ge_u32 s2, s16
	s_cselect_b32 s3, s3, s18
	s_cselect_b32 s2, s6, s2
	s_add_i32 s6, s3, 1
	s_cmp_ge_u32 s2, s16
	s_cselect_b32 s2, s6, s3
	v_lshrrev_b32_e32 v53, 6, v10
	s_xor_b32 s2, s2, s1
	s_waitcnt lgkmcnt(0)
	s_mul_i32 s26, s0, s10
	s_sub_i32 s12, s2, s1
	s_ashr_i32 s27, s26, 31
	v_cmp_gt_i32_e64 s[0:1], s21, v53
	v_cmp_le_i32_e32 vcc, s21, v53
	v_mbcnt_lo_u32_b32 v1, -1, 0
	s_barrier
                                        ; implicit-def: $vgpr14
                                        ; implicit-def: $vgpr7
                                        ; implicit-def: $vgpr16
	s_and_saveexec_b64 s[2:3], vcc
	s_xor_b64 s[2:3], exec, s[2:3]
; %bb.6:
	v_mbcnt_hi_u32_b32 v14, -1, v1
	v_and_b32_e32 v7, 64, v14
	v_add_u32_e32 v16, 64, v7
                                        ; implicit-def: $vgpr0
                                        ; implicit-def: $vgpr1
; %bb.7:
	s_or_saveexec_b64 s[6:7], s[2:3]
	s_load_dwordx2 s[22:23], s[4:5], 0x0
	s_load_dwordx2 s[28:29], s[4:5], 0x18
	s_load_dwordx4 s[16:19], s[4:5], 0x58
	v_mov_b32_e32 v2, 0xff7fffff
	s_mul_i32 s12, s12, s14
	v_lshrrev_b32_e32 v15, 4, v10
	buffer_store_dword v10, off, s[44:47], 0 offset:84 ; 4-byte Folded Spill
	s_xor_b64 exec, exec, s[6:7]
	s_cbranch_execz .LBB179_205
; %bb.8:
	s_load_dwordx2 s[2:3], s[4:5], 0x10
	s_ashr_i32 s4, s12, 31
	v_bfe_u32 v2, v10, 3, 3
	v_lshlrev_b32_e32 v3, 4, v2
	v_mbcnt_hi_u32_b32 v5, -1, v1
	s_waitcnt lgkmcnt(0)
	s_add_u32 s2, s2, s12
	s_addc_u32 s3, s3, s4
	v_mov_b32_e32 v4, s3
	v_add_co_u32_e32 v3, vcc, s2, v3
	v_and_b32_e32 v1, 64, v5
	v_addc_co_u32_e32 v4, vcc, 0, v4, vcc
	buffer_store_dword v1, off, s[44:47], 0 offset:100 ; 4-byte Folded Spill
	v_add_u32_e32 v6, 64, v1
	v_xor_b32_e32 v1, 4, v5
	v_cmp_lt_i32_e32 vcc, v1, v6
	v_cndmask_b32_e32 v1, v5, v1, vcc
	v_lshlrev_b32_e32 v1, 2, v1
	buffer_store_dword v1, off, s[44:47], 0 offset:32 ; 4-byte Folded Spill
	v_xor_b32_e32 v1, 2, v5
	v_cmp_lt_i32_e32 vcc, v1, v6
	v_cndmask_b32_e32 v1, v5, v1, vcc
	v_lshlrev_b32_e32 v1, 2, v1
	buffer_store_dword v1, off, s[44:47], 0 offset:36 ; 4-byte Folded Spill
	v_xor_b32_e32 v1, 1, v5
	v_cmp_lt_i32_e32 vcc, v1, v6
	v_cndmask_b32_e32 v1, v5, v1, vcc
	v_lshlrev_b32_e32 v29, 7, v0
	v_lshlrev_b32_e32 v1, 2, v1
	v_cmp_eq_u32_e32 vcc, 0, v0
	v_add_co_u32_e64 v0, s[4:5], v3, v0
	buffer_store_dword v1, off, s[44:47], 0 offset:40 ; 4-byte Folded Spill
	v_addc_co_u32_e64 v1, s[4:5], 0, v4, s[4:5]
	buffer_store_dword v13, off, s[44:47], 0 offset:88 ; 4-byte Folded Spill
	buffer_store_dword v5, off, s[44:47], 0 offset:96 ; 4-byte Folded Spill
	s_load_dword s39, s[16:17], 0x0
	buffer_store_dword v0, off, s[44:47], 0 offset:44 ; 4-byte Folded Spill
	s_nop 0
	buffer_store_dword v1, off, s[44:47], 0 offset:48 ; 4-byte Folded Spill
	s_sub_i32 s40, 1, s30
	v_lshlrev_b32_e32 v0, 2, v2
	s_lshl_b64 s[4:5], s[26:27], 2
	v_lshl_or_b32 v0, v53, 5, v0
	s_add_u32 s4, s24, s4
	v_add_u32_e32 v51, 0x410, v0
	v_and_b32_e32 v0, 60, v15
	s_addc_u32 s5, s25, s5
	v_mov_b32_e32 v1, s5
	v_add_co_u32_e64 v35, s[4:5], s4, v0
	v_mov_b32_e32 v0, 0xff7fffff
	v_lshl_or_b32 v50, v53, 3, v2
	v_addc_co_u32_e64 v36, s[4:5], 0, v1, s[4:5]
	buffer_store_dword v0, off, s[44:47], 0 offset:28 ; 4-byte Folded Spill
	ds_read_b128 v[0:3], v29
	buffer_store_dword v15, off, s[44:47], 0 offset:92 ; 4-byte Folded Spill
	s_waitcnt lgkmcnt(0)
	buffer_store_dword v0, off, s[44:47], 0 offset:52 ; 4-byte Folded Spill
	s_nop 0
	buffer_store_dword v1, off, s[44:47], 0 offset:56 ; 4-byte Folded Spill
	buffer_store_dword v2, off, s[44:47], 0 offset:60 ; 4-byte Folded Spill
	;; [unrolled: 1-line block ×3, first 2 shown]
	ds_read_b128 v[0:3], v29 offset:16
	s_waitcnt lgkmcnt(0)
	buffer_store_dword v0, off, s[44:47], 0 offset:68 ; 4-byte Folded Spill
	s_nop 0
	buffer_store_dword v1, off, s[44:47], 0 offset:72 ; 4-byte Folded Spill
	buffer_store_dword v2, off, s[44:47], 0 offset:76 ; 4-byte Folded Spill
	;; [unrolled: 1-line block ×3, first 2 shown]
	ds_read_b128 v[9:12], v29 offset:32
	ds_read_b128 v[13:16], v29 offset:48
	;; [unrolled: 1-line block ×6, first 2 shown]
	s_mov_b32 s38, s13
	v_cmp_neq_f32_e64 s[2:3], s33, 0
	s_mov_b64 s[14:15], 0
	s_movk_i32 s41, 0x80
	s_movk_i32 s42, 0x7f
	v_bfrev_b32_e32 v7, 60
	buffer_store_dword v53, off, s[44:47], 0 offset:24 ; 4-byte Folded Spill
	s_branch .LBB179_10
.LBB179_9:                              ;   in Loop: Header=BB179_10 Depth=1
	s_or_b64 exec, exec, s[16:17]
	v_add_u32_e32 v53, 2, v53
	v_cmp_le_i32_e64 s[4:5], s21, v53
	s_or_b64 s[14:15], s[4:5], s[14:15]
	v_add_co_u32_e64 v35, s[4:5], 8, v35
	v_add_u32_e32 v50, 16, v50
	v_add_u32_e32 v51, 64, v51
	v_addc_co_u32_e64 v36, s[4:5], 0, v36, s[4:5]
	s_andn2_b64 exec, exec, s[14:15]
	s_cbranch_execz .LBB179_204
.LBB179_10:                             ; =>This Inner Loop Header: Depth=1
	global_load_dword v0, v[35:36], off
	s_waitcnt lgkmcnt(0)
	buffer_load_dword v1, off, s[44:47], 0 offset:44 ; 4-byte Folded Reload
	buffer_load_dword v2, off, s[44:47], 0 offset:48 ; 4-byte Folded Reload
	v_mov_b32_e32 v5, 0
	s_waitcnt vmcnt(0)
	v_mad_i64_i32 v[37:38], s[4:5], v0, s38, v[1:2]
	global_load_ubyte v0, v[37:38], off
	s_waitcnt vmcnt(0)
	v_cmp_ne_u16_e64 s[4:5], 0, v0
	s_and_saveexec_b64 s[16:17], s[4:5]
	s_cbranch_execz .LBB179_16
; %bb.11:                               ;   in Loop: Header=BB179_10 Depth=1
	v_cmp_ne_u16_e64 s[4:5], s41, v0
	v_bfrev_b32_e32 v5, 1
	s_and_saveexec_b64 s[34:35], s[4:5]
	s_cbranch_execz .LBB179_15
; %bb.12:                               ;   in Loop: Header=BB179_10 Depth=1
	v_and_b32_e32 v39, 0xffff, v0
	v_and_b32_e32 v33, 0x7f, v39
	v_cmp_ne_u32_e64 s[4:5], s42, v33
	v_mov_b32_e32 v5, 0x7f800001
	s_and_saveexec_b64 s[36:37], s[4:5]
	s_cbranch_execz .LBB179_14
; %bb.13:                               ;   in Loop: Header=BB179_10 Depth=1
	v_and_b32_e32 v3, 7, v39
	v_ffbh_u32_e32 v1, v3
	v_min_u32_e32 v34, 32, v1
	v_subrev_u32_e32 v1, 28, v34
	v_lshlrev_b64 v[1:2], v1, v[39:40]
	v_lshrrev_b32_e32 v4, 3, v33
	v_sub_u32_e32 v2, 29, v34
	v_and_b32_e32 v1, 7, v1
	v_cmp_gt_u32_e64 s[4:5], 8, v33
	v_cndmask_b32_e64 v2, v4, v2, s[4:5]
	v_cndmask_b32_e64 v1, v3, v1, s[4:5]
	v_lshlrev_b32_e32 v0, 24, v0
	v_lshlrev_b32_e32 v1, 20, v1
	v_and_b32_e32 v0, 0x80000000, v0
	v_lshl_add_u32 v2, v2, 23, v7
	v_or3_b32 v5, v0, v2, v1
.LBB179_14:                             ;   in Loop: Header=BB179_10 Depth=1
	s_or_b64 exec, exec, s[36:37]
.LBB179_15:                             ;   in Loop: Header=BB179_10 Depth=1
	s_or_b64 exec, exec, s[34:35]
.LBB179_16:                             ;   in Loop: Header=BB179_10 Depth=1
	s_or_b64 exec, exec, s[16:17]
	global_load_ubyte v0, v[37:38], off offset:8
	v_mov_b32_e32 v8, 0
	v_mov_b32_e32 v6, 0
	s_waitcnt vmcnt(0)
	v_cmp_ne_u16_e64 s[4:5], 0, v0
	s_and_saveexec_b64 s[16:17], s[4:5]
	s_cbranch_execz .LBB179_22
; %bb.17:                               ;   in Loop: Header=BB179_10 Depth=1
	v_cmp_ne_u16_e64 s[4:5], s41, v0
	v_bfrev_b32_e32 v6, 1
	s_and_saveexec_b64 s[34:35], s[4:5]
	s_cbranch_execz .LBB179_21
; %bb.18:                               ;   in Loop: Header=BB179_10 Depth=1
	v_and_b32_e32 v39, 0xffff, v0
	v_and_b32_e32 v33, 0x7f, v39
	v_cmp_ne_u32_e64 s[4:5], s42, v33
	v_mov_b32_e32 v6, 0x7f800001
	s_and_saveexec_b64 s[36:37], s[4:5]
	s_cbranch_execz .LBB179_20
; %bb.19:                               ;   in Loop: Header=BB179_10 Depth=1
	v_and_b32_e32 v3, 7, v39
	v_ffbh_u32_e32 v1, v3
	v_min_u32_e32 v34, 32, v1
	v_subrev_u32_e32 v1, 28, v34
	v_lshlrev_b64 v[1:2], v1, v[39:40]
	v_lshrrev_b32_e32 v4, 3, v33
	v_sub_u32_e32 v2, 29, v34
	v_and_b32_e32 v1, 7, v1
	v_cmp_gt_u32_e64 s[4:5], 8, v33
	v_cndmask_b32_e64 v2, v4, v2, s[4:5]
	v_cndmask_b32_e64 v1, v3, v1, s[4:5]
	v_lshlrev_b32_e32 v0, 24, v0
	v_lshlrev_b32_e32 v1, 20, v1
	v_and_b32_e32 v0, 0x80000000, v0
	v_lshl_add_u32 v2, v2, 23, v7
	v_or3_b32 v6, v0, v2, v1
.LBB179_20:                             ;   in Loop: Header=BB179_10 Depth=1
	s_or_b64 exec, exec, s[36:37]
.LBB179_21:                             ;   in Loop: Header=BB179_10 Depth=1
	s_or_b64 exec, exec, s[34:35]
.LBB179_22:                             ;   in Loop: Header=BB179_10 Depth=1
	s_or_b64 exec, exec, s[16:17]
	global_load_ubyte v0, v[37:38], off offset:128
	s_waitcnt vmcnt(0)
	v_cmp_ne_u16_e64 s[4:5], 0, v0
	s_and_saveexec_b64 s[16:17], s[4:5]
	s_cbranch_execz .LBB179_28
; %bb.23:                               ;   in Loop: Header=BB179_10 Depth=1
	v_cmp_ne_u16_e64 s[4:5], s41, v0
	v_bfrev_b32_e32 v8, 1
	s_and_saveexec_b64 s[34:35], s[4:5]
	s_cbranch_execz .LBB179_27
; %bb.24:                               ;   in Loop: Header=BB179_10 Depth=1
	v_and_b32_e32 v39, 0xffff, v0
	v_and_b32_e32 v33, 0x7f, v39
	v_cmp_ne_u32_e64 s[4:5], s42, v33
	v_mov_b32_e32 v8, 0x7f800001
	s_and_saveexec_b64 s[36:37], s[4:5]
	s_cbranch_execz .LBB179_26
; %bb.25:                               ;   in Loop: Header=BB179_10 Depth=1
	v_and_b32_e32 v3, 7, v39
	v_ffbh_u32_e32 v1, v3
	v_min_u32_e32 v34, 32, v1
	v_subrev_u32_e32 v1, 28, v34
	v_lshlrev_b64 v[1:2], v1, v[39:40]
	v_lshrrev_b32_e32 v4, 3, v33
	v_sub_u32_e32 v2, 29, v34
	v_and_b32_e32 v1, 7, v1
	v_cmp_gt_u32_e64 s[4:5], 8, v33
	v_cndmask_b32_e64 v2, v4, v2, s[4:5]
	v_cndmask_b32_e64 v1, v3, v1, s[4:5]
	v_lshlrev_b32_e32 v0, 24, v0
	v_lshlrev_b32_e32 v1, 20, v1
	v_and_b32_e32 v0, 0x80000000, v0
	v_lshl_add_u32 v2, v2, 23, v7
	v_or3_b32 v8, v0, v2, v1
.LBB179_26:                             ;   in Loop: Header=BB179_10 Depth=1
	s_or_b64 exec, exec, s[36:37]
.LBB179_27:                             ;   in Loop: Header=BB179_10 Depth=1
	s_or_b64 exec, exec, s[34:35]
.LBB179_28:                             ;   in Loop: Header=BB179_10 Depth=1
	s_or_b64 exec, exec, s[16:17]
	global_load_ubyte v0, v[37:38], off offset:136
	v_mov_b32_e32 v1, 0
	buffer_store_dword v1, off, s[44:47], 0 ; 4-byte Folded Spill
	v_mov_b32_e32 v1, 0
	buffer_store_dword v1, off, s[44:47], 0 offset:8 ; 4-byte Folded Spill
	s_waitcnt vmcnt(2)
	v_cmp_ne_u16_e64 s[4:5], 0, v0
	s_and_saveexec_b64 s[16:17], s[4:5]
	s_cbranch_execz .LBB179_34
; %bb.29:                               ;   in Loop: Header=BB179_10 Depth=1
	v_cmp_ne_u16_e64 s[4:5], s41, v0
	v_bfrev_b32_e32 v1, 1
	buffer_store_dword v1, off, s[44:47], 0 offset:8 ; 4-byte Folded Spill
	s_and_saveexec_b64 s[34:35], s[4:5]
	s_cbranch_execz .LBB179_33
; %bb.30:                               ;   in Loop: Header=BB179_10 Depth=1
	v_and_b32_e32 v39, 0xffff, v0
	v_and_b32_e32 v33, 0x7f, v39
	v_cmp_ne_u32_e64 s[4:5], s42, v33
	v_mov_b32_e32 v1, 0x7f800001
	buffer_store_dword v1, off, s[44:47], 0 offset:8 ; 4-byte Folded Spill
	s_and_saveexec_b64 s[36:37], s[4:5]
	s_cbranch_execz .LBB179_32
; %bb.31:                               ;   in Loop: Header=BB179_10 Depth=1
	v_and_b32_e32 v3, 7, v39
	v_ffbh_u32_e32 v1, v3
	v_lshrrev_b32_e32 v4, 3, v33
	v_cmp_gt_u32_e64 s[4:5], 8, v33
	v_min_u32_e32 v33, 32, v1
	v_subrev_u32_e32 v1, 28, v33
	v_lshlrev_b64 v[1:2], v1, v[39:40]
	v_sub_u32_e32 v2, 29, v33
	v_and_b32_e32 v1, 7, v1
	v_cndmask_b32_e64 v2, v4, v2, s[4:5]
	v_cndmask_b32_e64 v1, v3, v1, s[4:5]
	v_lshlrev_b32_e32 v0, 24, v0
	v_lshlrev_b32_e32 v1, 20, v1
	v_and_b32_e32 v0, 0x80000000, v0
	v_lshl_add_u32 v2, v2, 23, v7
	v_or3_b32 v0, v0, v2, v1
	buffer_store_dword v0, off, s[44:47], 0 offset:8 ; 4-byte Folded Spill
.LBB179_32:                             ;   in Loop: Header=BB179_10 Depth=1
	s_or_b64 exec, exec, s[36:37]
.LBB179_33:                             ;   in Loop: Header=BB179_10 Depth=1
	s_or_b64 exec, exec, s[34:35]
.LBB179_34:                             ;   in Loop: Header=BB179_10 Depth=1
	s_or_b64 exec, exec, s[16:17]
	global_load_ubyte v0, v[37:38], off offset:256
	s_waitcnt vmcnt(0)
	v_cmp_ne_u16_e64 s[4:5], 0, v0
	s_and_saveexec_b64 s[16:17], s[4:5]
	s_cbranch_execz .LBB179_40
; %bb.35:                               ;   in Loop: Header=BB179_10 Depth=1
	v_cmp_ne_u16_e64 s[4:5], s41, v0
	v_bfrev_b32_e32 v1, 1
	buffer_store_dword v1, off, s[44:47], 0 ; 4-byte Folded Spill
	s_and_saveexec_b64 s[34:35], s[4:5]
	s_cbranch_execz .LBB179_39
; %bb.36:                               ;   in Loop: Header=BB179_10 Depth=1
	v_and_b32_e32 v39, 0xffff, v0
	v_and_b32_e32 v33, 0x7f, v39
	v_cmp_ne_u32_e64 s[4:5], s42, v33
	v_mov_b32_e32 v1, 0x7f800001
	buffer_store_dword v1, off, s[44:47], 0 ; 4-byte Folded Spill
	s_and_saveexec_b64 s[36:37], s[4:5]
	s_cbranch_execz .LBB179_38
; %bb.37:                               ;   in Loop: Header=BB179_10 Depth=1
	v_and_b32_e32 v3, 7, v39
	v_ffbh_u32_e32 v1, v3
	v_lshrrev_b32_e32 v4, 3, v33
	v_cmp_gt_u32_e64 s[4:5], 8, v33
	v_min_u32_e32 v33, 32, v1
	v_subrev_u32_e32 v1, 28, v33
	v_lshlrev_b64 v[1:2], v1, v[39:40]
	v_sub_u32_e32 v2, 29, v33
	v_and_b32_e32 v1, 7, v1
	v_cndmask_b32_e64 v2, v4, v2, s[4:5]
	v_cndmask_b32_e64 v1, v3, v1, s[4:5]
	v_lshlrev_b32_e32 v0, 24, v0
	v_lshlrev_b32_e32 v1, 20, v1
	v_and_b32_e32 v0, 0x80000000, v0
	v_lshl_add_u32 v2, v2, 23, v7
	v_or3_b32 v0, v0, v2, v1
	buffer_store_dword v0, off, s[44:47], 0 ; 4-byte Folded Spill
.LBB179_38:                             ;   in Loop: Header=BB179_10 Depth=1
	s_or_b64 exec, exec, s[36:37]
.LBB179_39:                             ;   in Loop: Header=BB179_10 Depth=1
	s_or_b64 exec, exec, s[34:35]
.LBB179_40:                             ;   in Loop: Header=BB179_10 Depth=1
	s_or_b64 exec, exec, s[16:17]
	global_load_ubyte v0, v[37:38], off offset:264
	v_mov_b32_e32 v1, 0
	buffer_store_dword v1, off, s[44:47], 0 offset:12 ; 4-byte Folded Spill
	v_mov_b32_e32 v1, 0
	buffer_store_dword v1, off, s[44:47], 0 offset:16 ; 4-byte Folded Spill
	s_waitcnt vmcnt(2)
	v_cmp_ne_u16_e64 s[4:5], 0, v0
	s_and_saveexec_b64 s[16:17], s[4:5]
	s_cbranch_execz .LBB179_46
; %bb.41:                               ;   in Loop: Header=BB179_10 Depth=1
	v_cmp_ne_u16_e64 s[4:5], s41, v0
	v_bfrev_b32_e32 v1, 1
	buffer_store_dword v1, off, s[44:47], 0 offset:16 ; 4-byte Folded Spill
	s_and_saveexec_b64 s[34:35], s[4:5]
	s_cbranch_execz .LBB179_45
; %bb.42:                               ;   in Loop: Header=BB179_10 Depth=1
	v_and_b32_e32 v39, 0xffff, v0
	v_and_b32_e32 v33, 0x7f, v39
	v_cmp_ne_u32_e64 s[4:5], s42, v33
	v_mov_b32_e32 v1, 0x7f800001
	buffer_store_dword v1, off, s[44:47], 0 offset:16 ; 4-byte Folded Spill
	s_and_saveexec_b64 s[36:37], s[4:5]
	s_cbranch_execz .LBB179_44
; %bb.43:                               ;   in Loop: Header=BB179_10 Depth=1
	v_and_b32_e32 v3, 7, v39
	v_ffbh_u32_e32 v1, v3
	v_lshrrev_b32_e32 v4, 3, v33
	v_cmp_gt_u32_e64 s[4:5], 8, v33
	v_min_u32_e32 v33, 32, v1
	v_subrev_u32_e32 v1, 28, v33
	v_lshlrev_b64 v[1:2], v1, v[39:40]
	v_sub_u32_e32 v2, 29, v33
	v_and_b32_e32 v1, 7, v1
	v_cndmask_b32_e64 v2, v4, v2, s[4:5]
	v_cndmask_b32_e64 v1, v3, v1, s[4:5]
	v_lshlrev_b32_e32 v0, 24, v0
	v_lshlrev_b32_e32 v1, 20, v1
	v_and_b32_e32 v0, 0x80000000, v0
	v_lshl_add_u32 v2, v2, 23, v7
	v_or3_b32 v0, v0, v2, v1
	buffer_store_dword v0, off, s[44:47], 0 offset:16 ; 4-byte Folded Spill
.LBB179_44:                             ;   in Loop: Header=BB179_10 Depth=1
	s_or_b64 exec, exec, s[36:37]
.LBB179_45:                             ;   in Loop: Header=BB179_10 Depth=1
	s_or_b64 exec, exec, s[34:35]
.LBB179_46:                             ;   in Loop: Header=BB179_10 Depth=1
	s_or_b64 exec, exec, s[16:17]
	global_load_ubyte v0, v[37:38], off offset:384
	s_waitcnt vmcnt(0)
	v_cmp_ne_u16_e64 s[4:5], 0, v0
	s_and_saveexec_b64 s[16:17], s[4:5]
	s_cbranch_execz .LBB179_52
; %bb.47:                               ;   in Loop: Header=BB179_10 Depth=1
	v_cmp_ne_u16_e64 s[4:5], s41, v0
	v_bfrev_b32_e32 v1, 1
	buffer_store_dword v1, off, s[44:47], 0 offset:12 ; 4-byte Folded Spill
	s_and_saveexec_b64 s[34:35], s[4:5]
	s_cbranch_execz .LBB179_51
; %bb.48:                               ;   in Loop: Header=BB179_10 Depth=1
	v_and_b32_e32 v39, 0xffff, v0
	v_and_b32_e32 v33, 0x7f, v39
	v_cmp_ne_u32_e64 s[4:5], s42, v33
	v_mov_b32_e32 v1, 0x7f800001
	buffer_store_dword v1, off, s[44:47], 0 offset:12 ; 4-byte Folded Spill
	s_and_saveexec_b64 s[36:37], s[4:5]
	s_cbranch_execz .LBB179_50
; %bb.49:                               ;   in Loop: Header=BB179_10 Depth=1
	v_and_b32_e32 v3, 7, v39
	v_ffbh_u32_e32 v1, v3
	v_lshrrev_b32_e32 v4, 3, v33
	v_cmp_gt_u32_e64 s[4:5], 8, v33
	v_min_u32_e32 v33, 32, v1
	v_subrev_u32_e32 v1, 28, v33
	v_lshlrev_b64 v[1:2], v1, v[39:40]
	v_sub_u32_e32 v2, 29, v33
	v_and_b32_e32 v1, 7, v1
	v_cndmask_b32_e64 v2, v4, v2, s[4:5]
	v_cndmask_b32_e64 v1, v3, v1, s[4:5]
	v_lshlrev_b32_e32 v0, 24, v0
	v_lshlrev_b32_e32 v1, 20, v1
	v_and_b32_e32 v0, 0x80000000, v0
	v_lshl_add_u32 v2, v2, 23, v7
	v_or3_b32 v0, v0, v2, v1
	buffer_store_dword v0, off, s[44:47], 0 offset:12 ; 4-byte Folded Spill
.LBB179_50:                             ;   in Loop: Header=BB179_10 Depth=1
	s_or_b64 exec, exec, s[36:37]
.LBB179_51:                             ;   in Loop: Header=BB179_10 Depth=1
	s_or_b64 exec, exec, s[34:35]
.LBB179_52:                             ;   in Loop: Header=BB179_10 Depth=1
	s_or_b64 exec, exec, s[16:17]
	global_load_ubyte v0, v[37:38], off offset:392
	v_mov_b32_e32 v1, 0
	v_mov_b32_e32 v62, 0
	buffer_store_dword v1, off, s[44:47], 0 offset:20 ; 4-byte Folded Spill
	s_waitcnt vmcnt(1)
	v_cmp_ne_u16_e64 s[4:5], 0, v0
	s_and_saveexec_b64 s[16:17], s[4:5]
	s_cbranch_execz .LBB179_58
; %bb.53:                               ;   in Loop: Header=BB179_10 Depth=1
	v_cmp_ne_u16_e64 s[4:5], s41, v0
	v_bfrev_b32_e32 v62, 1
	s_and_saveexec_b64 s[34:35], s[4:5]
	s_cbranch_execz .LBB179_57
; %bb.54:                               ;   in Loop: Header=BB179_10 Depth=1
	v_and_b32_e32 v39, 0xffff, v0
	v_and_b32_e32 v33, 0x7f, v39
	v_cmp_ne_u32_e64 s[4:5], s42, v33
	v_mov_b32_e32 v62, 0x7f800001
	s_and_saveexec_b64 s[36:37], s[4:5]
	s_cbranch_execz .LBB179_56
; %bb.55:                               ;   in Loop: Header=BB179_10 Depth=1
	v_and_b32_e32 v3, 7, v39
	v_ffbh_u32_e32 v1, v3
	v_lshrrev_b32_e32 v4, 3, v33
	v_cmp_gt_u32_e64 s[4:5], 8, v33
	v_min_u32_e32 v33, 32, v1
	v_subrev_u32_e32 v1, 28, v33
	v_lshlrev_b64 v[1:2], v1, v[39:40]
	v_sub_u32_e32 v2, 29, v33
	v_and_b32_e32 v1, 7, v1
	v_cndmask_b32_e64 v2, v4, v2, s[4:5]
	v_cndmask_b32_e64 v1, v3, v1, s[4:5]
	v_lshlrev_b32_e32 v0, 24, v0
	v_lshlrev_b32_e32 v1, 20, v1
	v_and_b32_e32 v0, 0x80000000, v0
	v_lshl_add_u32 v2, v2, 23, v7
	v_or3_b32 v62, v0, v2, v1
.LBB179_56:                             ;   in Loop: Header=BB179_10 Depth=1
	s_or_b64 exec, exec, s[36:37]
.LBB179_57:                             ;   in Loop: Header=BB179_10 Depth=1
	s_or_b64 exec, exec, s[34:35]
.LBB179_58:                             ;   in Loop: Header=BB179_10 Depth=1
	s_or_b64 exec, exec, s[16:17]
	global_load_ubyte v0, v[37:38], off offset:512
	s_waitcnt vmcnt(0)
	v_cmp_ne_u16_e64 s[4:5], 0, v0
	s_and_saveexec_b64 s[16:17], s[4:5]
	s_cbranch_execz .LBB179_64
; %bb.59:                               ;   in Loop: Header=BB179_10 Depth=1
	v_cmp_ne_u16_e64 s[4:5], s41, v0
	v_bfrev_b32_e32 v1, 1
	buffer_store_dword v1, off, s[44:47], 0 offset:20 ; 4-byte Folded Spill
	s_and_saveexec_b64 s[34:35], s[4:5]
	s_cbranch_execz .LBB179_63
; %bb.60:                               ;   in Loop: Header=BB179_10 Depth=1
	v_and_b32_e32 v39, 0xffff, v0
	v_and_b32_e32 v33, 0x7f, v39
	v_cmp_ne_u32_e64 s[4:5], s42, v33
	v_mov_b32_e32 v1, 0x7f800001
	buffer_store_dword v1, off, s[44:47], 0 offset:20 ; 4-byte Folded Spill
	s_and_saveexec_b64 s[36:37], s[4:5]
	s_cbranch_execz .LBB179_62
; %bb.61:                               ;   in Loop: Header=BB179_10 Depth=1
	v_and_b32_e32 v3, 7, v39
	v_ffbh_u32_e32 v1, v3
	v_lshrrev_b32_e32 v4, 3, v33
	v_cmp_gt_u32_e64 s[4:5], 8, v33
	v_min_u32_e32 v33, 32, v1
	v_subrev_u32_e32 v1, 28, v33
	v_lshlrev_b64 v[1:2], v1, v[39:40]
	v_sub_u32_e32 v2, 29, v33
	v_and_b32_e32 v1, 7, v1
	v_cndmask_b32_e64 v2, v4, v2, s[4:5]
	v_cndmask_b32_e64 v1, v3, v1, s[4:5]
	v_lshlrev_b32_e32 v0, 24, v0
	v_lshlrev_b32_e32 v1, 20, v1
	v_and_b32_e32 v0, 0x80000000, v0
	v_lshl_add_u32 v2, v2, 23, v7
	v_or3_b32 v0, v0, v2, v1
	buffer_store_dword v0, off, s[44:47], 0 offset:20 ; 4-byte Folded Spill
.LBB179_62:                             ;   in Loop: Header=BB179_10 Depth=1
	s_or_b64 exec, exec, s[36:37]
.LBB179_63:                             ;   in Loop: Header=BB179_10 Depth=1
	s_or_b64 exec, exec, s[34:35]
.LBB179_64:                             ;   in Loop: Header=BB179_10 Depth=1
	s_or_b64 exec, exec, s[16:17]
	global_load_ubyte v0, v[37:38], off offset:520
	v_mov_b32_e32 v63, 0
	v_mov_b32_e32 v42, 0
	s_waitcnt vmcnt(0)
	v_cmp_ne_u16_e64 s[4:5], 0, v0
	s_and_saveexec_b64 s[16:17], s[4:5]
	s_cbranch_execz .LBB179_70
; %bb.65:                               ;   in Loop: Header=BB179_10 Depth=1
	v_cmp_ne_u16_e64 s[4:5], s41, v0
	v_bfrev_b32_e32 v42, 1
	s_and_saveexec_b64 s[34:35], s[4:5]
	s_cbranch_execz .LBB179_69
; %bb.66:                               ;   in Loop: Header=BB179_10 Depth=1
	v_and_b32_e32 v39, 0xffff, v0
	v_and_b32_e32 v33, 0x7f, v39
	v_cmp_ne_u32_e64 s[4:5], s42, v33
	v_mov_b32_e32 v42, 0x7f800001
	s_and_saveexec_b64 s[36:37], s[4:5]
	s_cbranch_execz .LBB179_68
; %bb.67:                               ;   in Loop: Header=BB179_10 Depth=1
	v_and_b32_e32 v3, 7, v39
	v_ffbh_u32_e32 v1, v3
	v_lshrrev_b32_e32 v4, 3, v33
	v_cmp_gt_u32_e64 s[4:5], 8, v33
	v_min_u32_e32 v33, 32, v1
	v_subrev_u32_e32 v1, 28, v33
	v_lshlrev_b64 v[1:2], v1, v[39:40]
	v_sub_u32_e32 v2, 29, v33
	v_and_b32_e32 v1, 7, v1
	v_cndmask_b32_e64 v2, v4, v2, s[4:5]
	v_cndmask_b32_e64 v1, v3, v1, s[4:5]
	v_lshlrev_b32_e32 v0, 24, v0
	v_lshlrev_b32_e32 v1, 20, v1
	v_and_b32_e32 v0, 0x80000000, v0
	v_lshl_add_u32 v2, v2, 23, v7
	v_or3_b32 v42, v0, v2, v1
.LBB179_68:                             ;   in Loop: Header=BB179_10 Depth=1
	s_or_b64 exec, exec, s[36:37]
.LBB179_69:                             ;   in Loop: Header=BB179_10 Depth=1
	s_or_b64 exec, exec, s[34:35]
.LBB179_70:                             ;   in Loop: Header=BB179_10 Depth=1
	s_or_b64 exec, exec, s[16:17]
	global_load_ubyte v0, v[37:38], off offset:640
	s_waitcnt vmcnt(0)
	v_cmp_ne_u16_e64 s[4:5], 0, v0
	s_and_saveexec_b64 s[16:17], s[4:5]
	s_cbranch_execz .LBB179_76
; %bb.71:                               ;   in Loop: Header=BB179_10 Depth=1
	v_cmp_ne_u16_e64 s[4:5], s41, v0
	v_bfrev_b32_e32 v63, 1
	s_and_saveexec_b64 s[34:35], s[4:5]
	s_cbranch_execz .LBB179_75
; %bb.72:                               ;   in Loop: Header=BB179_10 Depth=1
	v_and_b32_e32 v39, 0xffff, v0
	v_and_b32_e32 v33, 0x7f, v39
	v_cmp_ne_u32_e64 s[4:5], s42, v33
	v_mov_b32_e32 v63, 0x7f800001
	s_and_saveexec_b64 s[36:37], s[4:5]
	s_cbranch_execz .LBB179_74
; %bb.73:                               ;   in Loop: Header=BB179_10 Depth=1
	v_and_b32_e32 v3, 7, v39
	v_ffbh_u32_e32 v1, v3
	v_lshrrev_b32_e32 v4, 3, v33
	v_cmp_gt_u32_e64 s[4:5], 8, v33
	v_min_u32_e32 v33, 32, v1
	v_subrev_u32_e32 v1, 28, v33
	v_lshlrev_b64 v[1:2], v1, v[39:40]
	v_sub_u32_e32 v2, 29, v33
	v_and_b32_e32 v1, 7, v1
	v_cndmask_b32_e64 v2, v4, v2, s[4:5]
	v_cndmask_b32_e64 v1, v3, v1, s[4:5]
	v_lshlrev_b32_e32 v0, 24, v0
	v_lshlrev_b32_e32 v1, 20, v1
	v_and_b32_e32 v0, 0x80000000, v0
	v_lshl_add_u32 v2, v2, 23, v7
	v_or3_b32 v63, v0, v2, v1
.LBB179_74:                             ;   in Loop: Header=BB179_10 Depth=1
	s_or_b64 exec, exec, s[36:37]
.LBB179_75:                             ;   in Loop: Header=BB179_10 Depth=1
	s_or_b64 exec, exec, s[34:35]
.LBB179_76:                             ;   in Loop: Header=BB179_10 Depth=1
	s_or_b64 exec, exec, s[16:17]
	global_load_ubyte v0, v[37:38], off offset:648
	v_mov_b32_e32 v41, 0
	v_mov_b32_e32 v45, 0
	s_waitcnt vmcnt(0)
	v_cmp_ne_u16_e64 s[4:5], 0, v0
	s_and_saveexec_b64 s[16:17], s[4:5]
	s_cbranch_execz .LBB179_82
; %bb.77:                               ;   in Loop: Header=BB179_10 Depth=1
	v_cmp_ne_u16_e64 s[4:5], s41, v0
	v_bfrev_b32_e32 v45, 1
	s_and_saveexec_b64 s[34:35], s[4:5]
	s_cbranch_execz .LBB179_81
; %bb.78:                               ;   in Loop: Header=BB179_10 Depth=1
	v_and_b32_e32 v39, 0xffff, v0
	v_and_b32_e32 v33, 0x7f, v39
	v_cmp_ne_u32_e64 s[4:5], s42, v33
	v_mov_b32_e32 v45, 0x7f800001
	s_and_saveexec_b64 s[36:37], s[4:5]
	s_cbranch_execz .LBB179_80
; %bb.79:                               ;   in Loop: Header=BB179_10 Depth=1
	v_and_b32_e32 v3, 7, v39
	v_ffbh_u32_e32 v1, v3
	v_lshrrev_b32_e32 v4, 3, v33
	v_cmp_gt_u32_e64 s[4:5], 8, v33
	v_min_u32_e32 v33, 32, v1
	v_subrev_u32_e32 v1, 28, v33
	v_lshlrev_b64 v[1:2], v1, v[39:40]
	v_sub_u32_e32 v2, 29, v33
	v_and_b32_e32 v1, 7, v1
	v_cndmask_b32_e64 v2, v4, v2, s[4:5]
	v_cndmask_b32_e64 v1, v3, v1, s[4:5]
	v_lshlrev_b32_e32 v0, 24, v0
	v_lshlrev_b32_e32 v1, 20, v1
	v_and_b32_e32 v0, 0x80000000, v0
	v_lshl_add_u32 v2, v2, 23, v7
	v_or3_b32 v45, v0, v2, v1
.LBB179_80:                             ;   in Loop: Header=BB179_10 Depth=1
	s_or_b64 exec, exec, s[36:37]
.LBB179_81:                             ;   in Loop: Header=BB179_10 Depth=1
	s_or_b64 exec, exec, s[34:35]
.LBB179_82:                             ;   in Loop: Header=BB179_10 Depth=1
	s_or_b64 exec, exec, s[16:17]
	global_load_ubyte v0, v[37:38], off offset:768
	s_waitcnt vmcnt(0)
	v_cmp_ne_u16_e64 s[4:5], 0, v0
	s_and_saveexec_b64 s[16:17], s[4:5]
	s_cbranch_execz .LBB179_88
; %bb.83:                               ;   in Loop: Header=BB179_10 Depth=1
	v_cmp_ne_u16_e64 s[4:5], s41, v0
	v_bfrev_b32_e32 v41, 1
	s_and_saveexec_b64 s[34:35], s[4:5]
	s_cbranch_execz .LBB179_87
; %bb.84:                               ;   in Loop: Header=BB179_10 Depth=1
	v_and_b32_e32 v39, 0xffff, v0
	v_and_b32_e32 v33, 0x7f, v39
	v_cmp_ne_u32_e64 s[4:5], s42, v33
	v_mov_b32_e32 v41, 0x7f800001
	s_and_saveexec_b64 s[36:37], s[4:5]
	s_cbranch_execz .LBB179_86
; %bb.85:                               ;   in Loop: Header=BB179_10 Depth=1
	v_and_b32_e32 v3, 7, v39
	v_ffbh_u32_e32 v1, v3
	v_lshrrev_b32_e32 v4, 3, v33
	v_cmp_gt_u32_e64 s[4:5], 8, v33
	v_min_u32_e32 v33, 32, v1
	v_subrev_u32_e32 v1, 28, v33
	v_lshlrev_b64 v[1:2], v1, v[39:40]
	v_sub_u32_e32 v2, 29, v33
	v_and_b32_e32 v1, 7, v1
	v_cndmask_b32_e64 v2, v4, v2, s[4:5]
	v_cndmask_b32_e64 v1, v3, v1, s[4:5]
	v_lshlrev_b32_e32 v0, 24, v0
	v_lshlrev_b32_e32 v1, 20, v1
	v_and_b32_e32 v0, 0x80000000, v0
	v_lshl_add_u32 v2, v2, 23, v7
	v_or3_b32 v41, v0, v2, v1
.LBB179_86:                             ;   in Loop: Header=BB179_10 Depth=1
	s_or_b64 exec, exec, s[36:37]
.LBB179_87:                             ;   in Loop: Header=BB179_10 Depth=1
	s_or_b64 exec, exec, s[34:35]
.LBB179_88:                             ;   in Loop: Header=BB179_10 Depth=1
	s_or_b64 exec, exec, s[16:17]
	global_load_ubyte v33, v[37:38], off offset:776
	v_mov_b32_e32 v44, 0
	v_mov_b32_e32 v0, 0
	s_waitcnt vmcnt(0)
	v_cmp_ne_u16_e64 s[4:5], 0, v33
	s_and_saveexec_b64 s[16:17], s[4:5]
	s_cbranch_execz .LBB179_94
; %bb.89:                               ;   in Loop: Header=BB179_10 Depth=1
	v_cmp_ne_u16_e64 s[4:5], s41, v33
	v_bfrev_b32_e32 v0, 1
	s_and_saveexec_b64 s[34:35], s[4:5]
	s_cbranch_execz .LBB179_93
; %bb.90:                               ;   in Loop: Header=BB179_10 Depth=1
	v_and_b32_e32 v39, 0xffff, v33
	v_and_b32_e32 v34, 0x7f, v39
	v_cmp_ne_u32_e64 s[4:5], s42, v34
	v_mov_b32_e32 v0, 0x7f800001
	s_and_saveexec_b64 s[36:37], s[4:5]
	s_cbranch_execz .LBB179_92
; %bb.91:                               ;   in Loop: Header=BB179_10 Depth=1
	v_and_b32_e32 v2, 7, v39
	v_ffbh_u32_e32 v0, v2
	v_min_u32_e32 v4, 32, v0
	v_subrev_u32_e32 v0, 28, v4
	v_lshlrev_b64 v[0:1], v0, v[39:40]
	v_lshrrev_b32_e32 v3, 3, v34
	v_cmp_gt_u32_e64 s[4:5], 8, v34
	v_sub_u32_e32 v1, 29, v4
	v_and_b32_e32 v0, 7, v0
	v_cndmask_b32_e64 v1, v3, v1, s[4:5]
	v_cndmask_b32_e64 v0, v2, v0, s[4:5]
	v_lshlrev_b32_e32 v2, 24, v33
	v_lshlrev_b32_e32 v0, 20, v0
	v_and_b32_e32 v2, 0x80000000, v2
	v_lshl_add_u32 v1, v1, 23, v7
	v_or3_b32 v0, v2, v1, v0
.LBB179_92:                             ;   in Loop: Header=BB179_10 Depth=1
	s_or_b64 exec, exec, s[36:37]
.LBB179_93:                             ;   in Loop: Header=BB179_10 Depth=1
	s_or_b64 exec, exec, s[34:35]
.LBB179_94:                             ;   in Loop: Header=BB179_10 Depth=1
	s_or_b64 exec, exec, s[16:17]
	global_load_ubyte v33, v[37:38], off offset:896
	s_waitcnt vmcnt(0)
	v_cmp_ne_u16_e64 s[4:5], 0, v33
	s_and_saveexec_b64 s[16:17], s[4:5]
	s_cbranch_execz .LBB179_100
; %bb.95:                               ;   in Loop: Header=BB179_10 Depth=1
	v_cmp_ne_u16_e64 s[4:5], s41, v33
	v_bfrev_b32_e32 v44, 1
	s_and_saveexec_b64 s[34:35], s[4:5]
	s_cbranch_execz .LBB179_99
; %bb.96:                               ;   in Loop: Header=BB179_10 Depth=1
	v_and_b32_e32 v39, 0xffff, v33
	v_and_b32_e32 v34, 0x7f, v39
	v_cmp_ne_u32_e64 s[4:5], s42, v34
	v_mov_b32_e32 v44, 0x7f800001
	s_and_saveexec_b64 s[36:37], s[4:5]
	s_cbranch_execz .LBB179_98
; %bb.97:                               ;   in Loop: Header=BB179_10 Depth=1
	v_and_b32_e32 v3, 7, v39
	v_ffbh_u32_e32 v1, v3
	v_lshrrev_b32_e32 v4, 3, v34
	v_cmp_gt_u32_e64 s[4:5], 8, v34
	v_min_u32_e32 v34, 32, v1
	v_subrev_u32_e32 v1, 28, v34
	v_lshlrev_b64 v[1:2], v1, v[39:40]
	v_sub_u32_e32 v2, 29, v34
	v_and_b32_e32 v1, 7, v1
	v_cndmask_b32_e64 v2, v4, v2, s[4:5]
	v_cndmask_b32_e64 v1, v3, v1, s[4:5]
	v_lshlrev_b32_e32 v3, 24, v33
	v_lshlrev_b32_e32 v1, 20, v1
	v_and_b32_e32 v3, 0x80000000, v3
	v_lshl_add_u32 v2, v2, 23, v7
	v_or3_b32 v44, v3, v2, v1
.LBB179_98:                             ;   in Loop: Header=BB179_10 Depth=1
	s_or_b64 exec, exec, s[36:37]
.LBB179_99:                             ;   in Loop: Header=BB179_10 Depth=1
	s_or_b64 exec, exec, s[34:35]
.LBB179_100:                            ;   in Loop: Header=BB179_10 Depth=1
	s_or_b64 exec, exec, s[16:17]
	global_load_ubyte v33, v[37:38], off offset:904
	v_mov_b32_e32 v43, 0
	v_mov_b32_e32 v47, 0
	s_waitcnt vmcnt(0)
	v_cmp_ne_u16_e64 s[4:5], 0, v33
	s_and_saveexec_b64 s[16:17], s[4:5]
	s_cbranch_execz .LBB179_106
; %bb.101:                              ;   in Loop: Header=BB179_10 Depth=1
	v_cmp_ne_u16_e64 s[4:5], s41, v33
	v_bfrev_b32_e32 v47, 1
	s_and_saveexec_b64 s[34:35], s[4:5]
	s_cbranch_execz .LBB179_105
; %bb.102:                              ;   in Loop: Header=BB179_10 Depth=1
	v_and_b32_e32 v39, 0xffff, v33
	v_and_b32_e32 v34, 0x7f, v39
	v_cmp_ne_u32_e64 s[4:5], s42, v34
	v_mov_b32_e32 v47, 0x7f800001
	s_and_saveexec_b64 s[36:37], s[4:5]
	s_cbranch_execz .LBB179_104
; %bb.103:                              ;   in Loop: Header=BB179_10 Depth=1
	v_and_b32_e32 v3, 7, v39
	v_ffbh_u32_e32 v1, v3
	v_lshrrev_b32_e32 v4, 3, v34
	v_cmp_gt_u32_e64 s[4:5], 8, v34
	v_min_u32_e32 v34, 32, v1
	v_subrev_u32_e32 v1, 28, v34
	v_lshlrev_b64 v[1:2], v1, v[39:40]
	v_sub_u32_e32 v2, 29, v34
	v_and_b32_e32 v1, 7, v1
	v_cndmask_b32_e64 v2, v4, v2, s[4:5]
	v_cndmask_b32_e64 v1, v3, v1, s[4:5]
	v_lshlrev_b32_e32 v3, 24, v33
	v_lshlrev_b32_e32 v1, 20, v1
	v_and_b32_e32 v3, 0x80000000, v3
	v_lshl_add_u32 v2, v2, 23, v7
	v_or3_b32 v47, v3, v2, v1
.LBB179_104:                            ;   in Loop: Header=BB179_10 Depth=1
	s_or_b64 exec, exec, s[36:37]
.LBB179_105:                            ;   in Loop: Header=BB179_10 Depth=1
	s_or_b64 exec, exec, s[34:35]
.LBB179_106:                            ;   in Loop: Header=BB179_10 Depth=1
	s_or_b64 exec, exec, s[16:17]
	global_load_ubyte v33, v[37:38], off offset:1024
	s_waitcnt vmcnt(0)
	v_cmp_ne_u16_e64 s[4:5], 0, v33
	s_and_saveexec_b64 s[16:17], s[4:5]
	s_cbranch_execz .LBB179_112
; %bb.107:                              ;   in Loop: Header=BB179_10 Depth=1
	v_cmp_ne_u16_e64 s[4:5], s41, v33
	v_bfrev_b32_e32 v43, 1
	s_and_saveexec_b64 s[34:35], s[4:5]
	s_cbranch_execz .LBB179_111
; %bb.108:                              ;   in Loop: Header=BB179_10 Depth=1
	v_and_b32_e32 v39, 0xffff, v33
	v_and_b32_e32 v34, 0x7f, v39
	v_cmp_ne_u32_e64 s[4:5], s42, v34
	v_mov_b32_e32 v43, 0x7f800001
	s_and_saveexec_b64 s[36:37], s[4:5]
	s_cbranch_execz .LBB179_110
; %bb.109:                              ;   in Loop: Header=BB179_10 Depth=1
	v_and_b32_e32 v3, 7, v39
	v_ffbh_u32_e32 v1, v3
	v_lshrrev_b32_e32 v4, 3, v34
	v_cmp_gt_u32_e64 s[4:5], 8, v34
	v_min_u32_e32 v34, 32, v1
	v_subrev_u32_e32 v1, 28, v34
	v_lshlrev_b64 v[1:2], v1, v[39:40]
	v_sub_u32_e32 v2, 29, v34
	v_and_b32_e32 v1, 7, v1
	v_cndmask_b32_e64 v2, v4, v2, s[4:5]
	v_cndmask_b32_e64 v1, v3, v1, s[4:5]
	v_lshlrev_b32_e32 v3, 24, v33
	v_lshlrev_b32_e32 v1, 20, v1
	v_and_b32_e32 v3, 0x80000000, v3
	v_lshl_add_u32 v2, v2, 23, v7
	v_or3_b32 v43, v3, v2, v1
.LBB179_110:                            ;   in Loop: Header=BB179_10 Depth=1
	s_or_b64 exec, exec, s[36:37]
.LBB179_111:                            ;   in Loop: Header=BB179_10 Depth=1
	s_or_b64 exec, exec, s[34:35]
.LBB179_112:                            ;   in Loop: Header=BB179_10 Depth=1
	s_or_b64 exec, exec, s[16:17]
	global_load_ubyte v33, v[37:38], off offset:1032
	v_mov_b32_e32 v48, 0
	v_mov_b32_e32 v49, 0
	s_waitcnt vmcnt(0)
	v_cmp_ne_u16_e64 s[4:5], 0, v33
	s_and_saveexec_b64 s[16:17], s[4:5]
	s_cbranch_execz .LBB179_118
; %bb.113:                              ;   in Loop: Header=BB179_10 Depth=1
	v_cmp_ne_u16_e64 s[4:5], s41, v33
	v_bfrev_b32_e32 v49, 1
	s_and_saveexec_b64 s[34:35], s[4:5]
	s_cbranch_execz .LBB179_117
; %bb.114:                              ;   in Loop: Header=BB179_10 Depth=1
	v_and_b32_e32 v39, 0xffff, v33
	v_and_b32_e32 v34, 0x7f, v39
	v_cmp_ne_u32_e64 s[4:5], s42, v34
	v_mov_b32_e32 v49, 0x7f800001
	s_and_saveexec_b64 s[36:37], s[4:5]
	s_cbranch_execz .LBB179_116
; %bb.115:                              ;   in Loop: Header=BB179_10 Depth=1
	v_and_b32_e32 v3, 7, v39
	v_ffbh_u32_e32 v1, v3
	v_lshrrev_b32_e32 v4, 3, v34
	v_cmp_gt_u32_e64 s[4:5], 8, v34
	v_min_u32_e32 v34, 32, v1
	v_subrev_u32_e32 v1, 28, v34
	v_lshlrev_b64 v[1:2], v1, v[39:40]
	v_sub_u32_e32 v2, 29, v34
	v_and_b32_e32 v1, 7, v1
	v_cndmask_b32_e64 v2, v4, v2, s[4:5]
	v_cndmask_b32_e64 v1, v3, v1, s[4:5]
	v_lshlrev_b32_e32 v3, 24, v33
	v_lshlrev_b32_e32 v1, 20, v1
	v_and_b32_e32 v3, 0x80000000, v3
	v_lshl_add_u32 v2, v2, 23, v7
	v_or3_b32 v49, v3, v2, v1
.LBB179_116:                            ;   in Loop: Header=BB179_10 Depth=1
	s_or_b64 exec, exec, s[36:37]
.LBB179_117:                            ;   in Loop: Header=BB179_10 Depth=1
	s_or_b64 exec, exec, s[34:35]
.LBB179_118:                            ;   in Loop: Header=BB179_10 Depth=1
	s_or_b64 exec, exec, s[16:17]
	global_load_ubyte v33, v[37:38], off offset:1152
	s_waitcnt vmcnt(0)
	v_cmp_ne_u16_e64 s[4:5], 0, v33
	s_and_saveexec_b64 s[16:17], s[4:5]
	s_cbranch_execz .LBB179_124
; %bb.119:                              ;   in Loop: Header=BB179_10 Depth=1
	v_cmp_ne_u16_e64 s[4:5], s41, v33
	v_bfrev_b32_e32 v48, 1
	s_and_saveexec_b64 s[34:35], s[4:5]
	s_cbranch_execz .LBB179_123
; %bb.120:                              ;   in Loop: Header=BB179_10 Depth=1
	v_and_b32_e32 v39, 0xffff, v33
	v_and_b32_e32 v34, 0x7f, v39
	v_cmp_ne_u32_e64 s[4:5], s42, v34
	v_mov_b32_e32 v48, 0x7f800001
	s_and_saveexec_b64 s[36:37], s[4:5]
	s_cbranch_execz .LBB179_122
; %bb.121:                              ;   in Loop: Header=BB179_10 Depth=1
	v_and_b32_e32 v3, 7, v39
	v_ffbh_u32_e32 v1, v3
	v_lshrrev_b32_e32 v4, 3, v34
	v_cmp_gt_u32_e64 s[4:5], 8, v34
	v_min_u32_e32 v34, 32, v1
	v_subrev_u32_e32 v1, 28, v34
	v_lshlrev_b64 v[1:2], v1, v[39:40]
	v_sub_u32_e32 v2, 29, v34
	v_and_b32_e32 v1, 7, v1
	v_cndmask_b32_e64 v2, v4, v2, s[4:5]
	v_cndmask_b32_e64 v1, v3, v1, s[4:5]
	v_lshlrev_b32_e32 v3, 24, v33
	v_lshlrev_b32_e32 v1, 20, v1
	v_and_b32_e32 v3, 0x80000000, v3
	v_lshl_add_u32 v2, v2, 23, v7
	v_or3_b32 v48, v3, v2, v1
.LBB179_122:                            ;   in Loop: Header=BB179_10 Depth=1
	s_or_b64 exec, exec, s[36:37]
.LBB179_123:                            ;   in Loop: Header=BB179_10 Depth=1
	s_or_b64 exec, exec, s[34:35]
.LBB179_124:                            ;   in Loop: Header=BB179_10 Depth=1
	s_or_b64 exec, exec, s[16:17]
	global_load_ubyte v40, v[37:38], off offset:1160
	v_mov_b32_e32 v33, 0
	v_mov_b32_e32 v34, 0
	s_waitcnt vmcnt(0)
	v_cmp_ne_u16_e64 s[4:5], 0, v40
	s_and_saveexec_b64 s[16:17], s[4:5]
	s_cbranch_execz .LBB179_130
; %bb.125:                              ;   in Loop: Header=BB179_10 Depth=1
	v_cmp_ne_u16_e64 s[4:5], s41, v40
	v_bfrev_b32_e32 v34, 1
	s_and_saveexec_b64 s[34:35], s[4:5]
	s_cbranch_execz .LBB179_129
; %bb.126:                              ;   in Loop: Header=BB179_10 Depth=1
	v_and_b32_e32 v39, 0xffff, v40
	v_and_b32_e32 v46, 0x7f, v39
	v_cmp_ne_u32_e64 s[4:5], s42, v46
	v_mov_b32_e32 v34, 0x7f800001
	s_and_saveexec_b64 s[36:37], s[4:5]
	s_cbranch_execz .LBB179_128
; %bb.127:                              ;   in Loop: Header=BB179_10 Depth=1
	v_and_b32_e32 v3, 7, v39
	v_ffbh_u32_e32 v1, v3
	v_min_u32_e32 v34, 32, v1
	v_subrev_u32_e32 v1, 28, v34
	v_lshlrev_b64 v[1:2], v1, v[39:40]
	v_lshrrev_b32_e32 v4, 3, v46
	v_cmp_gt_u32_e64 s[4:5], 8, v46
	v_sub_u32_e32 v2, 29, v34
	v_and_b32_e32 v1, 7, v1
	v_cndmask_b32_e64 v2, v4, v2, s[4:5]
	v_cndmask_b32_e64 v1, v3, v1, s[4:5]
	v_lshlrev_b32_e32 v3, 24, v40
	v_lshlrev_b32_e32 v1, 20, v1
	v_and_b32_e32 v3, 0x80000000, v3
	v_lshl_add_u32 v2, v2, 23, v7
	v_or3_b32 v34, v3, v2, v1
.LBB179_128:                            ;   in Loop: Header=BB179_10 Depth=1
	s_or_b64 exec, exec, s[36:37]
.LBB179_129:                            ;   in Loop: Header=BB179_10 Depth=1
	s_or_b64 exec, exec, s[34:35]
.LBB179_130:                            ;   in Loop: Header=BB179_10 Depth=1
	s_or_b64 exec, exec, s[16:17]
	global_load_ubyte v40, v[37:38], off offset:1280
	s_waitcnt vmcnt(0)
	v_cmp_ne_u16_e64 s[4:5], 0, v40
	s_and_saveexec_b64 s[16:17], s[4:5]
	s_cbranch_execz .LBB179_136
; %bb.131:                              ;   in Loop: Header=BB179_10 Depth=1
	v_cmp_ne_u16_e64 s[4:5], s41, v40
	v_bfrev_b32_e32 v33, 1
	s_and_saveexec_b64 s[34:35], s[4:5]
	s_cbranch_execz .LBB179_135
; %bb.132:                              ;   in Loop: Header=BB179_10 Depth=1
	v_and_b32_e32 v39, 0xffff, v40
	v_and_b32_e32 v46, 0x7f, v39
	v_cmp_ne_u32_e64 s[4:5], s42, v46
	v_mov_b32_e32 v33, 0x7f800001
	s_and_saveexec_b64 s[36:37], s[4:5]
	s_cbranch_execz .LBB179_134
; %bb.133:                              ;   in Loop: Header=BB179_10 Depth=1
	v_and_b32_e32 v3, 7, v39
	v_ffbh_u32_e32 v1, v3
	v_min_u32_e32 v33, 32, v1
	v_subrev_u32_e32 v1, 28, v33
	v_lshlrev_b64 v[1:2], v1, v[39:40]
	v_lshrrev_b32_e32 v4, 3, v46
	v_cmp_gt_u32_e64 s[4:5], 8, v46
	v_sub_u32_e32 v2, 29, v33
	v_and_b32_e32 v1, 7, v1
	v_cndmask_b32_e64 v2, v4, v2, s[4:5]
	v_cndmask_b32_e64 v1, v3, v1, s[4:5]
	v_lshlrev_b32_e32 v3, 24, v40
	v_lshlrev_b32_e32 v1, 20, v1
	v_and_b32_e32 v3, 0x80000000, v3
	v_lshl_add_u32 v2, v2, 23, v7
	v_or3_b32 v33, v3, v2, v1
.LBB179_134:                            ;   in Loop: Header=BB179_10 Depth=1
	s_or_b64 exec, exec, s[36:37]
.LBB179_135:                            ;   in Loop: Header=BB179_10 Depth=1
	s_or_b64 exec, exec, s[34:35]
.LBB179_136:                            ;   in Loop: Header=BB179_10 Depth=1
	s_or_b64 exec, exec, s[16:17]
	global_load_ubyte v40, v[37:38], off offset:1288
	v_mov_b32_e32 v46, 0
	v_mov_b32_e32 v52, 0
	s_waitcnt vmcnt(0)
	v_cmp_ne_u16_e64 s[4:5], 0, v40
	s_and_saveexec_b64 s[16:17], s[4:5]
	s_cbranch_execz .LBB179_142
; %bb.137:                              ;   in Loop: Header=BB179_10 Depth=1
	v_cmp_ne_u16_e64 s[4:5], s41, v40
	v_bfrev_b32_e32 v52, 1
	s_and_saveexec_b64 s[34:35], s[4:5]
	s_cbranch_execz .LBB179_141
; %bb.138:                              ;   in Loop: Header=BB179_10 Depth=1
	v_and_b32_e32 v39, 0xffff, v40
	v_and_b32_e32 v54, 0x7f, v39
	v_cmp_ne_u32_e64 s[4:5], s42, v54
	v_mov_b32_e32 v52, 0x7f800001
	s_and_saveexec_b64 s[36:37], s[4:5]
	s_cbranch_execz .LBB179_140
; %bb.139:                              ;   in Loop: Header=BB179_10 Depth=1
	v_and_b32_e32 v3, 7, v39
	v_ffbh_u32_e32 v1, v3
	v_min_u32_e32 v52, 32, v1
	v_subrev_u32_e32 v1, 28, v52
	v_lshlrev_b64 v[1:2], v1, v[39:40]
	v_lshrrev_b32_e32 v4, 3, v54
	v_cmp_gt_u32_e64 s[4:5], 8, v54
	v_sub_u32_e32 v2, 29, v52
	v_and_b32_e32 v1, 7, v1
	v_cndmask_b32_e64 v2, v4, v2, s[4:5]
	v_cndmask_b32_e64 v1, v3, v1, s[4:5]
	v_lshlrev_b32_e32 v3, 24, v40
	v_lshlrev_b32_e32 v1, 20, v1
	v_and_b32_e32 v3, 0x80000000, v3
	v_lshl_add_u32 v2, v2, 23, v7
	v_or3_b32 v52, v3, v2, v1
.LBB179_140:                            ;   in Loop: Header=BB179_10 Depth=1
	s_or_b64 exec, exec, s[36:37]
.LBB179_141:                            ;   in Loop: Header=BB179_10 Depth=1
	s_or_b64 exec, exec, s[34:35]
.LBB179_142:                            ;   in Loop: Header=BB179_10 Depth=1
	s_or_b64 exec, exec, s[16:17]
	global_load_ubyte v40, v[37:38], off offset:1408
	s_waitcnt vmcnt(0)
	v_cmp_ne_u16_e64 s[4:5], 0, v40
	s_and_saveexec_b64 s[16:17], s[4:5]
	s_cbranch_execz .LBB179_148
; %bb.143:                              ;   in Loop: Header=BB179_10 Depth=1
	v_cmp_ne_u16_e64 s[4:5], s41, v40
	v_bfrev_b32_e32 v46, 1
	s_and_saveexec_b64 s[34:35], s[4:5]
	s_cbranch_execz .LBB179_147
; %bb.144:                              ;   in Loop: Header=BB179_10 Depth=1
	v_and_b32_e32 v39, 0xffff, v40
	v_and_b32_e32 v54, 0x7f, v39
	v_cmp_ne_u32_e64 s[4:5], s42, v54
	v_mov_b32_e32 v46, 0x7f800001
	s_and_saveexec_b64 s[36:37], s[4:5]
	s_cbranch_execz .LBB179_146
; %bb.145:                              ;   in Loop: Header=BB179_10 Depth=1
	v_and_b32_e32 v3, 7, v39
	v_ffbh_u32_e32 v1, v3
	v_min_u32_e32 v46, 32, v1
	v_subrev_u32_e32 v1, 28, v46
	v_lshlrev_b64 v[1:2], v1, v[39:40]
	v_lshrrev_b32_e32 v4, 3, v54
	v_cmp_gt_u32_e64 s[4:5], 8, v54
	v_sub_u32_e32 v2, 29, v46
	v_and_b32_e32 v1, 7, v1
	v_cndmask_b32_e64 v2, v4, v2, s[4:5]
	v_cndmask_b32_e64 v1, v3, v1, s[4:5]
	v_lshlrev_b32_e32 v3, 24, v40
	v_lshlrev_b32_e32 v1, 20, v1
	v_and_b32_e32 v3, 0x80000000, v3
	v_lshl_add_u32 v2, v2, 23, v7
	v_or3_b32 v46, v3, v2, v1
.LBB179_146:                            ;   in Loop: Header=BB179_10 Depth=1
	s_or_b64 exec, exec, s[36:37]
.LBB179_147:                            ;   in Loop: Header=BB179_10 Depth=1
	s_or_b64 exec, exec, s[34:35]
.LBB179_148:                            ;   in Loop: Header=BB179_10 Depth=1
	s_or_b64 exec, exec, s[16:17]
	global_load_ubyte v40, v[37:38], off offset:1416
	v_mov_b32_e32 v54, 0
	v_mov_b32_e32 v55, 0
	s_waitcnt vmcnt(0)
	v_cmp_ne_u16_e64 s[4:5], 0, v40
	s_and_saveexec_b64 s[16:17], s[4:5]
	s_cbranch_execz .LBB179_154
; %bb.149:                              ;   in Loop: Header=BB179_10 Depth=1
	v_cmp_ne_u16_e64 s[4:5], s41, v40
	v_bfrev_b32_e32 v55, 1
	s_and_saveexec_b64 s[34:35], s[4:5]
	s_cbranch_execz .LBB179_153
; %bb.150:                              ;   in Loop: Header=BB179_10 Depth=1
	v_and_b32_e32 v39, 0xffff, v40
	v_and_b32_e32 v56, 0x7f, v39
	v_cmp_ne_u32_e64 s[4:5], s42, v56
	v_mov_b32_e32 v55, 0x7f800001
	s_and_saveexec_b64 s[36:37], s[4:5]
	s_cbranch_execz .LBB179_152
; %bb.151:                              ;   in Loop: Header=BB179_10 Depth=1
	v_and_b32_e32 v3, 7, v39
	v_ffbh_u32_e32 v1, v3
	v_min_u32_e32 v55, 32, v1
	v_subrev_u32_e32 v1, 28, v55
	v_lshlrev_b64 v[1:2], v1, v[39:40]
	v_lshrrev_b32_e32 v4, 3, v56
	v_cmp_gt_u32_e64 s[4:5], 8, v56
	v_sub_u32_e32 v2, 29, v55
	v_and_b32_e32 v1, 7, v1
	v_cndmask_b32_e64 v2, v4, v2, s[4:5]
	v_cndmask_b32_e64 v1, v3, v1, s[4:5]
	v_lshlrev_b32_e32 v3, 24, v40
	v_lshlrev_b32_e32 v1, 20, v1
	v_and_b32_e32 v3, 0x80000000, v3
	v_lshl_add_u32 v2, v2, 23, v7
	v_or3_b32 v55, v3, v2, v1
.LBB179_152:                            ;   in Loop: Header=BB179_10 Depth=1
	s_or_b64 exec, exec, s[36:37]
.LBB179_153:                            ;   in Loop: Header=BB179_10 Depth=1
	s_or_b64 exec, exec, s[34:35]
.LBB179_154:                            ;   in Loop: Header=BB179_10 Depth=1
	s_or_b64 exec, exec, s[16:17]
	global_load_ubyte v40, v[37:38], off offset:1536
	s_waitcnt vmcnt(0)
	v_cmp_ne_u16_e64 s[4:5], 0, v40
	s_and_saveexec_b64 s[16:17], s[4:5]
	s_cbranch_execz .LBB179_160
; %bb.155:                              ;   in Loop: Header=BB179_10 Depth=1
	v_cmp_ne_u16_e64 s[4:5], s41, v40
	v_bfrev_b32_e32 v54, 1
	s_and_saveexec_b64 s[34:35], s[4:5]
	s_cbranch_execz .LBB179_159
; %bb.156:                              ;   in Loop: Header=BB179_10 Depth=1
	v_and_b32_e32 v39, 0xffff, v40
	v_and_b32_e32 v56, 0x7f, v39
	v_cmp_ne_u32_e64 s[4:5], s42, v56
	v_mov_b32_e32 v54, 0x7f800001
	s_and_saveexec_b64 s[36:37], s[4:5]
	s_cbranch_execz .LBB179_158
; %bb.157:                              ;   in Loop: Header=BB179_10 Depth=1
	v_and_b32_e32 v3, 7, v39
	v_ffbh_u32_e32 v1, v3
	v_min_u32_e32 v54, 32, v1
	v_subrev_u32_e32 v1, 28, v54
	v_lshlrev_b64 v[1:2], v1, v[39:40]
	v_lshrrev_b32_e32 v4, 3, v56
	v_cmp_gt_u32_e64 s[4:5], 8, v56
	v_sub_u32_e32 v2, 29, v54
	v_and_b32_e32 v1, 7, v1
	v_cndmask_b32_e64 v2, v4, v2, s[4:5]
	v_cndmask_b32_e64 v1, v3, v1, s[4:5]
	v_lshlrev_b32_e32 v3, 24, v40
	v_lshlrev_b32_e32 v1, 20, v1
	v_and_b32_e32 v3, 0x80000000, v3
	v_lshl_add_u32 v2, v2, 23, v7
	v_or3_b32 v54, v3, v2, v1
.LBB179_158:                            ;   in Loop: Header=BB179_10 Depth=1
	s_or_b64 exec, exec, s[36:37]
.LBB179_159:                            ;   in Loop: Header=BB179_10 Depth=1
	s_or_b64 exec, exec, s[34:35]
.LBB179_160:                            ;   in Loop: Header=BB179_10 Depth=1
	s_or_b64 exec, exec, s[16:17]
	global_load_ubyte v40, v[37:38], off offset:1544
	v_mov_b32_e32 v56, 0
	v_mov_b32_e32 v57, 0
	s_waitcnt vmcnt(0)
	v_cmp_ne_u16_e64 s[4:5], 0, v40
	s_and_saveexec_b64 s[16:17], s[4:5]
	s_cbranch_execz .LBB179_166
; %bb.161:                              ;   in Loop: Header=BB179_10 Depth=1
	v_cmp_ne_u16_e64 s[4:5], s41, v40
	v_bfrev_b32_e32 v57, 1
	s_and_saveexec_b64 s[34:35], s[4:5]
	s_cbranch_execz .LBB179_165
; %bb.162:                              ;   in Loop: Header=BB179_10 Depth=1
	v_and_b32_e32 v39, 0xffff, v40
	v_and_b32_e32 v58, 0x7f, v39
	v_cmp_ne_u32_e64 s[4:5], s42, v58
	v_mov_b32_e32 v57, 0x7f800001
	s_and_saveexec_b64 s[36:37], s[4:5]
	s_cbranch_execz .LBB179_164
; %bb.163:                              ;   in Loop: Header=BB179_10 Depth=1
	v_and_b32_e32 v3, 7, v39
	v_ffbh_u32_e32 v1, v3
	v_min_u32_e32 v57, 32, v1
	v_subrev_u32_e32 v1, 28, v57
	v_lshlrev_b64 v[1:2], v1, v[39:40]
	v_lshrrev_b32_e32 v4, 3, v58
	v_cmp_gt_u32_e64 s[4:5], 8, v58
	v_sub_u32_e32 v2, 29, v57
	v_and_b32_e32 v1, 7, v1
	v_cndmask_b32_e64 v2, v4, v2, s[4:5]
	v_cndmask_b32_e64 v1, v3, v1, s[4:5]
	v_lshlrev_b32_e32 v3, 24, v40
	v_lshlrev_b32_e32 v1, 20, v1
	v_and_b32_e32 v3, 0x80000000, v3
	v_lshl_add_u32 v2, v2, 23, v7
	v_or3_b32 v57, v3, v2, v1
.LBB179_164:                            ;   in Loop: Header=BB179_10 Depth=1
	s_or_b64 exec, exec, s[36:37]
.LBB179_165:                            ;   in Loop: Header=BB179_10 Depth=1
	s_or_b64 exec, exec, s[34:35]
.LBB179_166:                            ;   in Loop: Header=BB179_10 Depth=1
	s_or_b64 exec, exec, s[16:17]
	global_load_ubyte v40, v[37:38], off offset:1664
	s_waitcnt vmcnt(0)
	v_cmp_ne_u16_e64 s[4:5], 0, v40
	s_and_saveexec_b64 s[16:17], s[4:5]
	s_cbranch_execz .LBB179_172
; %bb.167:                              ;   in Loop: Header=BB179_10 Depth=1
	v_cmp_ne_u16_e64 s[4:5], s41, v40
	v_bfrev_b32_e32 v56, 1
	s_and_saveexec_b64 s[34:35], s[4:5]
	s_cbranch_execz .LBB179_171
; %bb.168:                              ;   in Loop: Header=BB179_10 Depth=1
	v_and_b32_e32 v39, 0xffff, v40
	v_and_b32_e32 v58, 0x7f, v39
	v_cmp_ne_u32_e64 s[4:5], s42, v58
	v_mov_b32_e32 v56, 0x7f800001
	s_and_saveexec_b64 s[36:37], s[4:5]
	s_cbranch_execz .LBB179_170
; %bb.169:                              ;   in Loop: Header=BB179_10 Depth=1
	v_and_b32_e32 v3, 7, v39
	v_ffbh_u32_e32 v1, v3
	v_min_u32_e32 v56, 32, v1
	v_subrev_u32_e32 v1, 28, v56
	v_lshlrev_b64 v[1:2], v1, v[39:40]
	v_lshrrev_b32_e32 v4, 3, v58
	v_cmp_gt_u32_e64 s[4:5], 8, v58
	v_sub_u32_e32 v2, 29, v56
	v_and_b32_e32 v1, 7, v1
	v_cndmask_b32_e64 v2, v4, v2, s[4:5]
	v_cndmask_b32_e64 v1, v3, v1, s[4:5]
	v_lshlrev_b32_e32 v3, 24, v40
	v_lshlrev_b32_e32 v1, 20, v1
	v_and_b32_e32 v3, 0x80000000, v3
	v_lshl_add_u32 v2, v2, 23, v7
	v_or3_b32 v56, v3, v2, v1
.LBB179_170:                            ;   in Loop: Header=BB179_10 Depth=1
	s_or_b64 exec, exec, s[36:37]
.LBB179_171:                            ;   in Loop: Header=BB179_10 Depth=1
	s_or_b64 exec, exec, s[34:35]
.LBB179_172:                            ;   in Loop: Header=BB179_10 Depth=1
	s_or_b64 exec, exec, s[16:17]
	global_load_ubyte v59, v[37:38], off offset:1672
	v_mov_b32_e32 v58, 0
	v_mov_b32_e32 v40, 0
	s_waitcnt vmcnt(0)
	v_cmp_ne_u16_e64 s[4:5], 0, v59
	s_and_saveexec_b64 s[16:17], s[4:5]
	s_cbranch_execz .LBB179_178
; %bb.173:                              ;   in Loop: Header=BB179_10 Depth=1
	v_cmp_ne_u16_e64 s[4:5], s41, v59
	v_bfrev_b32_e32 v40, 1
	s_and_saveexec_b64 s[34:35], s[4:5]
	s_cbranch_execz .LBB179_177
; %bb.174:                              ;   in Loop: Header=BB179_10 Depth=1
	v_and_b32_e32 v39, 0xffff, v59
	v_and_b32_e32 v60, 0x7f, v39
	v_cmp_ne_u32_e64 s[4:5], s42, v60
	v_mov_b32_e32 v40, 0x7f800001
	s_and_saveexec_b64 s[36:37], s[4:5]
	s_cbranch_execz .LBB179_176
; %bb.175:                              ;   in Loop: Header=BB179_10 Depth=1
	v_and_b32_e32 v3, 7, v39
	v_ffbh_u32_e32 v1, v3
	v_min_u32_e32 v40, 32, v1
	v_subrev_u32_e32 v1, 28, v40
	v_lshlrev_b64 v[1:2], v1, v[39:40]
	v_lshrrev_b32_e32 v4, 3, v60
	v_cmp_gt_u32_e64 s[4:5], 8, v60
	v_sub_u32_e32 v2, 29, v40
	v_and_b32_e32 v1, 7, v1
	v_cndmask_b32_e64 v2, v4, v2, s[4:5]
	v_cndmask_b32_e64 v1, v3, v1, s[4:5]
	v_lshlrev_b32_e32 v3, 24, v59
	v_lshlrev_b32_e32 v1, 20, v1
	v_and_b32_e32 v3, 0x80000000, v3
	v_lshl_add_u32 v2, v2, 23, v7
	v_or3_b32 v40, v3, v2, v1
.LBB179_176:                            ;   in Loop: Header=BB179_10 Depth=1
	s_or_b64 exec, exec, s[36:37]
.LBB179_177:                            ;   in Loop: Header=BB179_10 Depth=1
	s_or_b64 exec, exec, s[34:35]
.LBB179_178:                            ;   in Loop: Header=BB179_10 Depth=1
	s_or_b64 exec, exec, s[16:17]
	global_load_ubyte v59, v[37:38], off offset:1792
	s_waitcnt vmcnt(0)
	v_cmp_ne_u16_e64 s[4:5], 0, v59
	s_and_saveexec_b64 s[16:17], s[4:5]
	s_cbranch_execz .LBB179_184
; %bb.179:                              ;   in Loop: Header=BB179_10 Depth=1
	v_cmp_ne_u16_e64 s[4:5], s41, v59
	v_bfrev_b32_e32 v58, 1
	s_and_saveexec_b64 s[34:35], s[4:5]
	s_cbranch_execz .LBB179_183
; %bb.180:                              ;   in Loop: Header=BB179_10 Depth=1
	v_and_b32_e32 v39, 0xffff, v59
	v_and_b32_e32 v60, 0x7f, v39
	v_cmp_ne_u32_e64 s[4:5], s42, v60
	v_mov_b32_e32 v58, 0x7f800001
	s_and_saveexec_b64 s[36:37], s[4:5]
	s_cbranch_execz .LBB179_182
; %bb.181:                              ;   in Loop: Header=BB179_10 Depth=1
	v_and_b32_e32 v3, 7, v39
	v_ffbh_u32_e32 v1, v3
	v_min_u32_e32 v58, 32, v1
	v_subrev_u32_e32 v1, 28, v58
	v_lshlrev_b64 v[1:2], v1, v[39:40]
	v_lshrrev_b32_e32 v4, 3, v60
	v_cmp_gt_u32_e64 s[4:5], 8, v60
	v_sub_u32_e32 v2, 29, v58
	v_and_b32_e32 v1, 7, v1
	v_cndmask_b32_e64 v2, v4, v2, s[4:5]
	v_cndmask_b32_e64 v1, v3, v1, s[4:5]
	v_lshlrev_b32_e32 v3, 24, v59
	v_lshlrev_b32_e32 v1, 20, v1
	v_and_b32_e32 v3, 0x80000000, v3
	v_lshl_add_u32 v2, v2, 23, v7
	v_or3_b32 v58, v3, v2, v1
.LBB179_182:                            ;   in Loop: Header=BB179_10 Depth=1
	s_or_b64 exec, exec, s[36:37]
.LBB179_183:                            ;   in Loop: Header=BB179_10 Depth=1
	s_or_b64 exec, exec, s[34:35]
.LBB179_184:                            ;   in Loop: Header=BB179_10 Depth=1
	s_or_b64 exec, exec, s[16:17]
	global_load_ubyte v61, v[37:38], off offset:1800
	v_mov_b32_e32 v59, 0
	v_mov_b32_e32 v60, 0
	s_waitcnt vmcnt(0)
	v_cmp_ne_u16_e64 s[4:5], 0, v61
	s_and_saveexec_b64 s[16:17], s[4:5]
	s_cbranch_execz .LBB179_190
; %bb.185:                              ;   in Loop: Header=BB179_10 Depth=1
	v_cmp_ne_u16_e64 s[4:5], s41, v61
	v_bfrev_b32_e32 v60, 1
	s_and_saveexec_b64 s[34:35], s[4:5]
	s_cbranch_execz .LBB179_189
; %bb.186:                              ;   in Loop: Header=BB179_10 Depth=1
	v_and_b32_e32 v39, 0xffff, v61
	v_and_b32_e32 v1, 0x7f, v39
	v_cmp_ne_u32_e64 s[4:5], s42, v1
	v_mov_b32_e32 v60, 0x7f800001
	s_and_saveexec_b64 s[36:37], s[4:5]
	s_cbranch_execz .LBB179_188
; %bb.187:                              ;   in Loop: Header=BB179_10 Depth=1
	v_and_b32_e32 v3, 7, v39
	v_lshrrev_b32_e32 v4, 3, v1
	v_cmp_gt_u32_e64 s[4:5], 8, v1
	v_ffbh_u32_e32 v1, v3
	v_min_u32_e32 v60, 32, v1
	v_subrev_u32_e32 v1, 28, v60
	v_lshlrev_b64 v[1:2], v1, v[39:40]
	v_sub_u32_e32 v2, 29, v60
	v_and_b32_e32 v1, 7, v1
	v_cndmask_b32_e64 v2, v4, v2, s[4:5]
	v_cndmask_b32_e64 v1, v3, v1, s[4:5]
	v_lshlrev_b32_e32 v3, 24, v61
	v_lshlrev_b32_e32 v1, 20, v1
	v_and_b32_e32 v3, 0x80000000, v3
	v_lshl_add_u32 v2, v2, 23, v7
	v_or3_b32 v60, v3, v2, v1
.LBB179_188:                            ;   in Loop: Header=BB179_10 Depth=1
	s_or_b64 exec, exec, s[36:37]
.LBB179_189:                            ;   in Loop: Header=BB179_10 Depth=1
	s_or_b64 exec, exec, s[34:35]
.LBB179_190:                            ;   in Loop: Header=BB179_10 Depth=1
	s_or_b64 exec, exec, s[16:17]
	global_load_ubyte v61, v[37:38], off offset:1920
	s_waitcnt vmcnt(0)
	v_cmp_ne_u16_e64 s[4:5], 0, v61
	s_and_saveexec_b64 s[16:17], s[4:5]
	s_cbranch_execz .LBB179_196
; %bb.191:                              ;   in Loop: Header=BB179_10 Depth=1
	v_cmp_ne_u16_e64 s[4:5], s41, v61
	v_bfrev_b32_e32 v59, 1
	s_and_saveexec_b64 s[34:35], s[4:5]
	s_cbranch_execz .LBB179_195
; %bb.192:                              ;   in Loop: Header=BB179_10 Depth=1
	v_and_b32_e32 v39, 0xffff, v61
	v_and_b32_e32 v1, 0x7f, v39
	v_cmp_ne_u32_e64 s[4:5], s42, v1
	v_mov_b32_e32 v59, 0x7f800001
	s_and_saveexec_b64 s[36:37], s[4:5]
	s_cbranch_execz .LBB179_194
; %bb.193:                              ;   in Loop: Header=BB179_10 Depth=1
	v_and_b32_e32 v3, 7, v39
	v_lshrrev_b32_e32 v4, 3, v1
	v_cmp_gt_u32_e64 s[4:5], 8, v1
	v_ffbh_u32_e32 v1, v3
	v_min_u32_e32 v59, 32, v1
	v_subrev_u32_e32 v1, 28, v59
	v_lshlrev_b64 v[1:2], v1, v[39:40]
	v_sub_u32_e32 v2, 29, v59
	v_and_b32_e32 v1, 7, v1
	v_cndmask_b32_e64 v2, v4, v2, s[4:5]
	v_cndmask_b32_e64 v1, v3, v1, s[4:5]
	v_lshlrev_b32_e32 v3, 24, v61
	v_lshlrev_b32_e32 v1, 20, v1
	v_and_b32_e32 v3, 0x80000000, v3
	v_lshl_add_u32 v2, v2, 23, v7
	v_or3_b32 v59, v3, v2, v1
.LBB179_194:                            ;   in Loop: Header=BB179_10 Depth=1
	s_or_b64 exec, exec, s[36:37]
.LBB179_195:                            ;   in Loop: Header=BB179_10 Depth=1
	s_or_b64 exec, exec, s[34:35]
.LBB179_196:                            ;   in Loop: Header=BB179_10 Depth=1
	s_or_b64 exec, exec, s[16:17]
	global_load_ubyte v39, v[37:38], off offset:1928
	v_mov_b32_e32 v38, 0
	s_waitcnt vmcnt(0)
	v_cmp_ne_u16_e64 s[4:5], 0, v39
	s_and_saveexec_b64 s[16:17], s[4:5]
	s_cbranch_execz .LBB179_202
; %bb.197:                              ;   in Loop: Header=BB179_10 Depth=1
	v_cmp_ne_u16_e64 s[4:5], s41, v39
	v_bfrev_b32_e32 v38, 1
	s_and_saveexec_b64 s[34:35], s[4:5]
	s_cbranch_execz .LBB179_201
; %bb.198:                              ;   in Loop: Header=BB179_10 Depth=1
	v_and_b32_e32 v37, 0xffff, v39
	v_and_b32_e32 v1, 0x7f, v37
	v_cmp_ne_u32_e64 s[4:5], s42, v1
	v_mov_b32_e32 v38, 0x7f800001
	s_and_saveexec_b64 s[36:37], s[4:5]
	s_cbranch_execz .LBB179_200
; %bb.199:                              ;   in Loop: Header=BB179_10 Depth=1
	v_and_b32_e32 v3, 7, v37
	v_lshrrev_b32_e32 v4, 3, v1
	v_cmp_gt_u32_e64 s[4:5], 8, v1
	v_ffbh_u32_e32 v1, v3
	v_min_u32_e32 v38, 32, v1
	v_subrev_u32_e32 v1, 28, v38
	v_lshlrev_b64 v[1:2], v1, v[37:38]
	v_sub_u32_e32 v2, 29, v38
	v_and_b32_e32 v1, 7, v1
	v_cndmask_b32_e64 v2, v4, v2, s[4:5]
	v_cndmask_b32_e64 v1, v3, v1, s[4:5]
	v_lshlrev_b32_e32 v3, 24, v39
	v_lshlrev_b32_e32 v1, 20, v1
	v_and_b32_e32 v3, 0x80000000, v3
	v_lshl_add_u32 v2, v2, 23, v7
	v_or3_b32 v38, v3, v2, v1
.LBB179_200:                            ;   in Loop: Header=BB179_10 Depth=1
	s_or_b64 exec, exec, s[36:37]
.LBB179_201:                            ;   in Loop: Header=BB179_10 Depth=1
	s_or_b64 exec, exec, s[34:35]
.LBB179_202:                            ;   in Loop: Header=BB179_10 Depth=1
	s_or_b64 exec, exec, s[16:17]
	v_mul_f32_e32 v1, s39, v6
	v_mul_f32_e32 v2, s39, v5
	buffer_load_dword v3, off, s[44:47], 0 offset:52 ; 4-byte Folded Reload
	buffer_load_dword v4, off, s[44:47], 0 offset:56 ; 4-byte Folded Reload
	buffer_load_dword v5, off, s[44:47], 0 offset:60 ; 4-byte Folded Reload
	buffer_load_dword v6, off, s[44:47], 0 offset:64 ; 4-byte Folded Reload
	v_mul_f32_e32 v42, s39, v42
	v_mul_f32_e32 v39, s39, v56
	;; [unrolled: 1-line block ×18, first 2 shown]
	s_waitcnt vmcnt(2)
	v_mul_f32_e32 v37, v4, v1
	v_fmac_f32_e32 v37, v3, v2
	v_mul_f32_e32 v1, s39, v8
	s_waitcnt vmcnt(1)
	v_fmac_f32_e32 v37, v5, v1
	buffer_load_dword v1, off, s[44:47], 0 offset:8 ; 4-byte Folded Reload
	s_waitcnt vmcnt(0)
	v_mul_f32_e32 v1, s39, v1
	v_fmac_f32_e32 v37, v6, v1
	buffer_load_dword v1, off, s[44:47], 0  ; 4-byte Folded Reload
	buffer_load_dword v2, off, s[44:47], 0 offset:68 ; 4-byte Folded Reload
	buffer_load_dword v3, off, s[44:47], 0 offset:72 ; 4-byte Folded Reload
	;; [unrolled: 1-line block ×4, first 2 shown]
	s_waitcnt vmcnt(4)
	v_mul_f32_e32 v1, s39, v1
	s_waitcnt vmcnt(3)
	v_fmac_f32_e32 v37, v2, v1
	buffer_load_dword v1, off, s[44:47], 0 offset:16 ; 4-byte Folded Reload
	v_mul_f32_e32 v2, s39, v60
	s_waitcnt vmcnt(0)
	v_mul_f32_e32 v1, s39, v1
	v_fmac_f32_e32 v37, v3, v1
	buffer_load_dword v1, off, s[44:47], 0 offset:12 ; 4-byte Folded Reload
	v_mul_f32_e32 v3, s39, v58
	s_waitcnt vmcnt(0)
	v_mul_f32_e32 v1, s39, v1
	v_fmac_f32_e32 v37, v4, v1
	v_mul_f32_e32 v1, s39, v62
	v_fmac_f32_e32 v37, v5, v1
	buffer_load_dword v5, off, s[44:47], 0 offset:20 ; 4-byte Folded Reload
	v_mul_f32_e32 v4, s39, v40
	v_mul_f32_e32 v40, s39, v57
	;; [unrolled: 1-line block ×3, first 2 shown]
	s_waitcnt vmcnt(0)
	v_mul_f32_e32 v57, s39, v5
	s_waitcnt lgkmcnt(5)
	v_fmac_f32_e32 v37, v9, v57
	v_fmac_f32_e32 v37, v10, v42
	v_fmac_f32_e32 v37, v11, v56
	v_fmac_f32_e32 v37, v12, v45
	s_waitcnt lgkmcnt(4)
	v_fmac_f32_e32 v37, v13, v41
	v_fmac_f32_e32 v37, v14, v0
	v_fmac_f32_e32 v37, v15, v44
	v_fmac_f32_e32 v37, v16, v47
	;; [unrolled: 5-line block ×4, first 2 shown]
	s_waitcnt lgkmcnt(1)
	v_fmac_f32_e32 v37, v25, v54
	buffer_load_dword v0, off, s[44:47], 0 offset:32 ; 4-byte Folded Reload
	v_fmac_f32_e32 v37, v26, v40
	v_fmac_f32_e32 v37, v27, v39
	;; [unrolled: 1-line block ×3, first 2 shown]
	s_waitcnt lgkmcnt(0)
	v_fmac_f32_e32 v37, v29, v3
	v_fmac_f32_e32 v37, v30, v2
	;; [unrolled: 1-line block ×3, first 2 shown]
	buffer_load_dword v1, off, s[44:47], 0 offset:36 ; 4-byte Folded Reload
	v_fmac_f32_e32 v37, v32, v38
	s_waitcnt vmcnt(1)
	ds_bpermute_b32 v0, v0, v37
	s_waitcnt lgkmcnt(0)
	v_add_f32_e32 v0, v37, v0
	s_waitcnt vmcnt(0)
	ds_bpermute_b32 v1, v1, v0
	s_waitcnt lgkmcnt(0)
	v_add_f32_e32 v0, v0, v1
	buffer_load_dword v1, off, s[44:47], 0 offset:40 ; 4-byte Folded Reload
	s_waitcnt vmcnt(0)
	ds_bpermute_b32 v1, v1, v0
	s_and_saveexec_b64 s[16:17], vcc
	s_cbranch_execz .LBB179_9
; %bb.203:                              ;   in Loop: Header=BB179_10 Depth=1
	buffer_load_dword v3, off, s[44:47], 0 offset:28 ; 4-byte Folded Reload
	v_add_u32_e32 v2, s40, v50
	v_cvt_f32_i32_e32 v2, v2
	s_waitcnt lgkmcnt(0)
	v_add_f32_e32 v0, v0, v1
	v_cmp_gt_i32_e64 s[4:5], s30, v50
	v_mul_f32_e32 v2, s33, v2
	v_cndmask_b32_e64 v2, 0, v2, s[2:3]
	v_fmac_f32_e32 v2, s31, v0
	v_cndmask_b32_e64 v0, 0, v2, s[4:5]
	ds_write_b32 v51, v0
	s_waitcnt vmcnt(0)
	v_max_f32_e32 v1, v3, v3
	v_max_f32_e32 v0, v1, v2
	v_cndmask_b32_e64 v3, v3, v0, s[4:5]
	buffer_store_dword v3, off, s[44:47], 0 offset:28 ; 4-byte Folded Spill
	s_branch .LBB179_9
.LBB179_204:
	s_or_b64 exec, exec, s[14:15]
	buffer_load_dword v10, off, s[44:47], 0 offset:84 ; 4-byte Folded Reload
	buffer_load_dword v53, off, s[44:47], 0 offset:24 ; 4-byte Folded Reload
	;; [unrolled: 1-line block ×7, first 2 shown]
	s_waitcnt vmcnt(1)
	v_add_u32_e32 v16, 64, v7
.LBB179_205:
	s_or_b64 exec, exec, s[6:7]
	v_xor_b32_e32 v0, 32, v14
	v_cmp_lt_i32_e32 vcc, v0, v16
	v_cndmask_b32_e32 v0, v14, v0, vcc
	s_waitcnt lgkmcnt(0)
	v_lshlrev_b32_e32 v1, 2, v0
	s_waitcnt vmcnt(0)
	ds_bpermute_b32 v0, v1, v2
	v_xor_b32_e32 v3, 16, v14
	v_max_f32_e32 v2, v2, v2
	v_cmp_lt_i32_e32 vcc, v3, v16
	v_xor_b32_e32 v4, 8, v14
	s_waitcnt lgkmcnt(0)
	v_max_f32_e32 v0, v0, v0
	v_max_f32_e32 v0, v2, v0
	v_cndmask_b32_e32 v2, v14, v3, vcc
	v_lshlrev_b32_e32 v3, 2, v2
	ds_bpermute_b32 v2, v3, v0
	v_cmp_lt_i32_e32 vcc, v4, v16
	v_and_b32_e32 v11, 63, v10
	s_waitcnt lgkmcnt(0)
	v_max_f32_e32 v2, v2, v2
	v_max_f32_e32 v2, v0, v2
	v_cndmask_b32_e32 v0, v14, v4, vcc
	v_lshlrev_b32_e32 v4, 2, v0
	ds_bpermute_b32 v5, v4, v2
	v_cmp_eq_u32_e32 vcc, 0, v11
	v_lshlrev_b32_e32 v0, 2, v53
	s_and_saveexec_b64 s[2:3], vcc
	s_cbranch_execz .LBB179_207
; %bb.206:
	s_waitcnt lgkmcnt(0)
	v_max_f32_e32 v5, v5, v5
	v_max_f32_e32 v2, v2, v2
	;; [unrolled: 1-line block ×3, first 2 shown]
	ds_write_b32 v0, v2 offset:1024
.LBB179_207:
	s_or_b64 exec, exec, s[2:3]
	v_cmp_gt_u32_e64 s[2:3], 2, v11
	s_waitcnt lgkmcnt(0)
	v_mov_b32_e32 v5, 0xff7fffff
	v_lshlrev_b32_e32 v2, 2, v11
	s_barrier
	s_and_saveexec_b64 s[4:5], s[2:3]
; %bb.208:
	ds_read_b32 v5, v2 offset:1024
; %bb.209:
	s_or_b64 exec, exec, s[4:5]
	v_xor_b32_e32 v6, 1, v14
	v_cmp_lt_i32_e64 s[4:5], v6, v16
	v_cndmask_b32_e64 v6, v14, v6, s[4:5]
	v_lshlrev_b32_e32 v12, 2, v6
	s_waitcnt lgkmcnt(0)
	ds_bpermute_b32 v6, v12, v5
	v_max_f32_e32 v5, v5, v5
	s_lshl_b32 s4, s21, 3
	s_min_i32 s31, s4, s30
	v_cmp_gt_i32_e64 s[4:5], s31, v10
	s_waitcnt lgkmcnt(0)
	v_max_f32_e32 v6, v6, v6
	v_max_f32_e32 v5, v5, v6
	v_lshlrev_b32_e32 v6, 2, v7
	ds_bpermute_b32 v6, v6, v5
	v_mov_b32_e32 v5, 0
	s_and_saveexec_b64 s[14:15], s[4:5]
	s_cbranch_execz .LBB179_213
; %bb.210:
	v_mov_b32_e32 v5, 0x410
	v_lshl_add_u32 v7, v10, 2, v5
	v_mov_b32_e32 v5, 0
	s_mov_b64 s[16:17], 0
	v_mov_b32_e32 v8, v10
.LBB179_211:                            ; =>This Inner Loop Header: Depth=1
	ds_read_b32 v9, v7
	v_add_u32_e32 v8, 0x80, v8
	v_cmp_le_i32_e64 s[6:7], s31, v8
	s_or_b64 s[16:17], s[6:7], s[16:17]
	s_waitcnt lgkmcnt(0)
	v_sub_f32_e32 v9, v9, v6
	v_mul_f32_e32 v9, 0x3fb8aa3b, v9
	v_exp_f32_e32 v9, v9
	ds_write_b32 v7, v9
	v_add_f32_e32 v5, v5, v9
	v_add_u32_e32 v7, 0x200, v7
	s_andn2_b64 exec, exec, s[16:17]
	s_cbranch_execnz .LBB179_211
; %bb.212:
	s_or_b64 exec, exec, s[16:17]
.LBB179_213:
	s_or_b64 exec, exec, s[14:15]
	ds_bpermute_b32 v1, v1, v5
	s_waitcnt lgkmcnt(0)
	v_add_f32_e32 v1, v5, v1
	ds_bpermute_b32 v3, v3, v1
	s_waitcnt lgkmcnt(0)
	v_add_f32_e32 v1, v1, v3
	ds_bpermute_b32 v3, v4, v1
	v_xor_b32_e32 v4, 4, v14
	v_cmp_lt_i32_e64 s[6:7], v4, v16
	v_cndmask_b32_e64 v4, v14, v4, s[6:7]
	v_lshlrev_b32_e32 v4, 2, v4
	s_waitcnt lgkmcnt(0)
	v_add_f32_e32 v1, v1, v3
	ds_bpermute_b32 v3, v4, v1
	v_xor_b32_e32 v4, 2, v14
	v_cmp_lt_i32_e64 s[6:7], v4, v16
	v_cndmask_b32_e64 v4, v14, v4, s[6:7]
	s_waitcnt lgkmcnt(0)
	v_add_f32_e32 v1, v1, v3
	v_lshlrev_b32_e32 v3, 2, v4
	ds_bpermute_b32 v3, v3, v1
	s_waitcnt lgkmcnt(0)
	v_add_f32_e32 v1, v1, v3
	ds_bpermute_b32 v3, v12, v1
	s_waitcnt lgkmcnt(0)
	v_add_f32_e32 v1, v1, v3
	s_and_saveexec_b64 s[6:7], vcc
; %bb.214:
	ds_write_b32 v0, v1 offset:1032
; %bb.215:
	s_or_b64 exec, exec, s[6:7]
	s_waitcnt lgkmcnt(0)
	s_barrier
	s_and_saveexec_b64 s[6:7], s[2:3]
; %bb.216:
	ds_read_b32 v1, v2 offset:1032
; %bb.217:
	s_or_b64 exec, exec, s[6:7]
	s_waitcnt lgkmcnt(0)
	ds_bpermute_b32 v0, v12, v1
	v_lshlrev_b32_e32 v2, 2, v14
	s_waitcnt lgkmcnt(0)
	v_add_f32_e32 v0, v1, v0
	v_and_b32_e32 v1, 0xffffff00, v2
	ds_bpermute_b32 v0, v1, v0
	s_and_saveexec_b64 s[2:3], s[4:5]
	s_cbranch_execz .LBB179_220
; %bb.218:
	s_waitcnt lgkmcnt(0)
	v_add_f32_e32 v1, 0x358637bd, v0
	v_div_scale_f32 v0, s[4:5], v1, v1, 1.0
	v_div_scale_f32 v2, vcc, 1.0, v1, 1.0
	s_mov_b64 s[4:5], 0
	v_rcp_f32_e32 v3, v0
	v_fma_f32 v4, -v0, v3, 1.0
	v_fmac_f32_e32 v3, v4, v3
	v_mul_f32_e32 v4, v2, v3
	v_fma_f32 v5, -v0, v4, v2
	v_fmac_f32_e32 v4, v5, v3
	v_fma_f32 v0, -v0, v4, v2
	v_div_fmas_f32 v2, v0, v3, v4
	v_mov_b32_e32 v0, 0x410
	v_lshl_add_u32 v0, v10, 2, v0
	v_div_fixup_f32 v1, v2, v1, 1.0
	v_mov_b32_e32 v2, v10
.LBB179_219:                            ; =>This Inner Loop Header: Depth=1
	ds_read_b32 v3, v0
	v_add_u32_e32 v2, 0x80, v2
	v_cmp_le_i32_e32 vcc, s31, v2
	s_or_b64 s[4:5], vcc, s[4:5]
	s_waitcnt lgkmcnt(0)
	v_mul_f32_e32 v3, v1, v3
	ds_write_b32 v0, v3
	v_add_u32_e32 v0, 0x200, v0
	s_andn2_b64 exec, exec, s[4:5]
	s_cbranch_execnz .LBB179_219
.LBB179_220:
	s_or_b64 exec, exec, s[2:3]
	v_mov_b32_e32 v32, 0
	v_and_b32_e32 v14, 1, v10
	v_mov_b32_e32 v34, 0
	v_mov_b32_e32 v33, 0
	v_mov_b32_e32 v31, 0
	v_mov_b32_e32 v30, 0
	v_mov_b32_e32 v29, 0
	v_mov_b32_e32 v28, 0
	v_mov_b32_e32 v27, 0
	s_waitcnt lgkmcnt(0)
	s_barrier
	s_and_saveexec_b64 s[2:3], s[0:1]
	s_cbranch_execz .LBB179_432
; %bb.221:
	s_ashr_i32 s0, s12, 31
	s_add_u32 s1, s28, s12
	s_addc_u32 s0, s29, s0
	v_and_b32_e32 v1, 0xfc, v13
	v_mov_b32_e32 v2, s0
	v_add_co_u32_e32 v1, vcc, s1, v1
	buffer_store_dword v12, off, s[44:47], 0 offset:12 ; 4-byte Folded Spill
	buffer_store_dword v11, off, s[44:47], 0 offset:8 ; 4-byte Folded Spill
	v_addc_co_u32_e32 v2, vcc, 0, v2, vcc
	s_load_dword s17, s[18:19], 0x0
	buffer_store_dword v1, off, s[44:47], 0 ; 4-byte Folded Spill
	s_nop 0
	buffer_store_dword v2, off, s[44:47], 0 offset:4 ; 4-byte Folded Spill
	v_and_b32_e32 v0, 4, v13
	v_lshlrev_b32_e32 v1, 3, v53
	s_add_i32 s19, s21, -1
	v_or3_b32 v35, v1, v0, 3
	v_lshlrev_b32_e32 v0, 4, v14
	s_lshl_b64 s[0:1], s[26:27], 2
	v_lshl_or_b32 v0, v53, 5, v0
	s_add_u32 s0, s24, s0
	v_add_u32_e32 v36, 0x410, v0
	v_and_b32_e32 v0, 60, v15
	s_addc_u32 s1, s25, s1
	v_mov_b32_e32 v5, 0
	v_mov_b32_e32 v1, s1
	v_add_co_u32_e32 v9, vcc, s0, v0
	s_mov_b32 s16, s13
	s_waitcnt lgkmcnt(0)
	s_mov_b32 s18, s17
	v_addc_co_u32_e32 v10, vcc, 0, v1, vcc
	s_mov_b64 s[4:5], 0
	s_movk_i32 s24, 0x80
	s_movk_i32 s25, 0x7f
	s_brev_b32 s26, 1
	s_mov_b32 s27, 0xffffff
	v_bfrev_b32_e32 v38, 60
	v_bfrev_b32_e32 v6, 1
	v_mov_b32_e32 v12, 0x7f800001
	v_mov_b32_e32 v37, 7
	;; [unrolled: 1-line block ×10, first 2 shown]
	buffer_store_dword v14, off, s[44:47], 0 offset:16 ; 4-byte Folded Spill
	s_branch .LBB179_223
.LBB179_222:                            ;   in Loop: Header=BB179_223 Depth=1
	s_or_b64 exec, exec, s[0:1]
	s_waitcnt lgkmcnt(0)
	v_mul_f32_e32 v7, v1, v25
	v_fmac_f32_e32 v7, v2, v40
	v_fmac_f32_e32 v7, v3, v23
	;; [unrolled: 1-line block ×3, first 2 shown]
	v_add_f32_e32 v28, v28, v7
	v_mul_f32_e32 v7, v1, v39
	v_fmac_f32_e32 v7, v2, v63
	v_fmac_f32_e32 v7, v3, v24
	;; [unrolled: 1-line block ×3, first 2 shown]
	v_add_f32_e32 v29, v29, v7
	v_mul_f32_e32 v7, v1, v62
	v_fmac_f32_e32 v7, v2, v0
	v_mul_f32_e32 v0, v1, v59
	v_fmac_f32_e32 v0, v2, v56
	v_fmac_f32_e32 v0, v3, v58
	;; [unrolled: 1-line block ×3, first 2 shown]
	v_add_f32_e32 v31, v31, v0
	v_mul_f32_e32 v0, v1, v55
	v_fmac_f32_e32 v0, v2, v52
	v_fmac_f32_e32 v0, v3, v54
	;; [unrolled: 1-line block ×3, first 2 shown]
	buffer_load_dword v53, off, s[44:47], 0 offset:24 ; 4-byte Folded Reload
	v_add_f32_e32 v33, v33, v0
	v_mul_f32_e32 v0, v1, v51
	v_fmac_f32_e32 v0, v2, v48
	v_fmac_f32_e32 v0, v3, v50
	v_fmac_f32_e32 v0, v4, v49
	v_add_f32_e32 v34, v34, v0
	v_mul_f32_e32 v0, v1, v44
	v_fmac_f32_e32 v0, v2, v41
	v_fmac_f32_e32 v0, v3, v43
	v_fmac_f32_e32 v0, v4, v42
	v_add_f32_e32 v32, v32, v0
	v_mul_f32_e32 v0, v1, v15
	v_fmac_f32_e32 v0, v2, v11
	v_fmac_f32_e32 v7, v3, v61
	v_fmac_f32_e32 v0, v3, v14
	v_fmac_f32_e32 v7, v4, v60
	v_fmac_f32_e32 v0, v4, v13
	v_add_f32_e32 v30, v30, v7
	v_add_f32_e32 v27, v27, v0
	v_add_u32_e32 v35, 16, v35
	v_add_u32_e32 v36, 64, v36
	s_waitcnt vmcnt(0)
	v_add_u32_e32 v53, 2, v53
	v_cmp_le_i32_e32 vcc, s21, v53
	s_or_b64 s[4:5], vcc, s[4:5]
	v_add_co_u32_e32 v9, vcc, 8, v9
	v_addc_co_u32_e32 v10, vcc, 0, v10, vcc
	s_andn2_b64 exec, exec, s[4:5]
	s_cbranch_execz .LBB179_431
.LBB179_223:                            ; =>This Inner Loop Header: Depth=1
	global_load_dword v0, v[9:10], off
	buffer_load_dword v1, off, s[44:47], 0  ; 4-byte Folded Reload
	buffer_load_dword v2, off, s[44:47], 0 offset:4 ; 4-byte Folded Reload
	v_mov_b32_e32 v18, 0
	v_mov_b32_e32 v16, 0
	;; [unrolled: 1-line block ×4, first 2 shown]
	s_waitcnt vmcnt(0)
	v_mad_i64_i32 v[13:14], s[0:1], v0, s16, v[1:2]
	ds_read_b128 v[1:4], v36
	global_load_dword v15, v[13:14], off
	s_waitcnt vmcnt(0)
	v_cmp_ne_u16_sdwa s[6:7], v15, v5 src0_sel:BYTE_0 src1_sel:DWORD
	s_and_saveexec_b64 s[0:1], s[6:7]
	s_cbranch_execz .LBB179_229
; %bb.224:                              ;   in Loop: Header=BB179_223 Depth=1
	v_bfrev_b32_e32 v16, 1
	v_mov_b32_e32 v17, 0
	v_cmp_ne_u16_sdwa s[12:13], v15, s24 src0_sel:BYTE_0 src1_sel:DWORD
	s_and_saveexec_b64 s[6:7], s[12:13]
	s_cbranch_execz .LBB179_228
; %bb.225:                              ;   in Loop: Header=BB179_223 Depth=1
	v_and_b32_e32 v0, 0x7f, v15
	v_mov_b32_e32 v16, 0x7f800001
	v_mov_b32_e32 v17, 0
	v_cmp_ne_u32_e32 vcc, s25, v0
	s_and_saveexec_b64 s[12:13], vcc
	s_cbranch_execz .LBB179_227
; %bb.226:                              ;   in Loop: Header=BB179_223 Depth=1
	v_and_b32_e32 v7, 7, v15
	v_ffbh_u32_e32 v11, v7
	v_min_u32_e32 v11, 32, v11
	v_subrev_u32_e32 v16, 28, v11
	v_lshlrev_b64 v[16:17], v16, v[15:16]
	v_lshrrev_b32_e32 v8, 3, v0
	v_sub_u32_e32 v11, 29, v11
	v_and_b32_e32 v16, 7, v16
	v_cmp_gt_u32_e32 vcc, 8, v0
	v_cndmask_b32_e32 v0, v8, v11, vcc
	v_cndmask_b32_e32 v7, v7, v16, vcc
	v_lshlrev_b32_e32 v7, 20, v7
	v_and_b32_sdwa v8, sext(v15), s26 dst_sel:DWORD dst_unused:UNUSED_PAD src0_sel:BYTE_0 src1_sel:DWORD
	v_lshl_add_u32 v0, v0, 23, v38
	v_or3_b32 v16, v8, v0, v7
	v_mov_b32_e32 v17, v5
.LBB179_227:                            ;   in Loop: Header=BB179_223 Depth=1
	s_or_b64 exec, exec, s[12:13]
.LBB179_228:                            ;   in Loop: Header=BB179_223 Depth=1
	s_or_b64 exec, exec, s[6:7]
.LBB179_229:                            ;   in Loop: Header=BB179_223 Depth=1
	s_or_b64 exec, exec, s[0:1]
	v_cmp_ne_u16_sdwa s[6:7], v15, v5 src0_sel:BYTE_1 src1_sel:DWORD
	s_and_saveexec_b64 s[0:1], s[6:7]
	s_cbranch_execz .LBB179_235
; %bb.230:                              ;   in Loop: Header=BB179_223 Depth=1
	v_mov_b32_e32 v19, v6
	v_cmp_ne_u16_sdwa s[12:13], v15, s24 src0_sel:BYTE_1 src1_sel:DWORD
	v_mov_b32_e32 v18, v5
	s_and_saveexec_b64 s[6:7], s[12:13]
	s_cbranch_execz .LBB179_234
; %bb.231:                              ;   in Loop: Header=BB179_223 Depth=1
	v_and_b32_sdwa v0, v15, s25 dst_sel:DWORD dst_unused:UNUSED_PAD src0_sel:BYTE_1 src1_sel:DWORD
	v_mov_b32_e32 v11, v5
	v_mov_b32_e32 v19, v12
	v_cmp_ne_u32_e32 vcc, s25, v0
	v_mov_b32_e32 v18, v11
	s_and_saveexec_b64 s[12:13], vcc
	s_cbranch_execz .LBB179_233
; %bb.232:                              ;   in Loop: Header=BB179_223 Depth=1
	v_and_b32_sdwa v18, v15, v37 dst_sel:DWORD dst_unused:UNUSED_PAD src0_sel:BYTE_1 src1_sel:DWORD
	v_ffbh_u32_e32 v8, v18
	v_min_u32_e32 v8, 32, v8
	v_mov_b32_e32 v19, v5
	v_subrev_u32_e32 v11, 28, v8
	v_lshlrev_b64 v[19:20], v11, v[18:19]
	v_lshrrev_b32_e32 v7, 3, v0
	v_sub_u32_e32 v8, 29, v8
	v_cmp_gt_u32_e32 vcc, 8, v0
	v_and_b32_e32 v11, 7, v19
	v_cndmask_b32_e32 v0, v7, v8, vcc
	v_cndmask_b32_e32 v7, v18, v11, vcc
	v_lshlrev_b32_e32 v8, 16, v15
	v_lshl_add_u32 v0, v0, 23, v38
	v_and_or_b32 v0, v8, s26, v0
	v_lshlrev_b32_e32 v7, 20, v7
	v_or_b32_e32 v19, v0, v7
	v_mov_b32_e32 v18, v5
.LBB179_233:                            ;   in Loop: Header=BB179_223 Depth=1
	s_or_b64 exec, exec, s[12:13]
.LBB179_234:                            ;   in Loop: Header=BB179_223 Depth=1
	s_or_b64 exec, exec, s[6:7]
.LBB179_235:                            ;   in Loop: Header=BB179_223 Depth=1
	s_or_b64 exec, exec, s[0:1]
	v_lshrrev_b32_e32 v11, 16, v15
	v_mov_b32_e32 v22, 0
	v_mov_b32_e32 v20, 0
	;; [unrolled: 1-line block ×4, first 2 shown]
	v_cmp_ne_u16_sdwa s[6:7], v11, v5 src0_sel:BYTE_0 src1_sel:DWORD
	s_and_saveexec_b64 s[0:1], s[6:7]
	s_cbranch_execz .LBB179_241
; %bb.236:                              ;   in Loop: Header=BB179_223 Depth=1
	v_bfrev_b32_e32 v20, 1
	v_mov_b32_e32 v21, 0
	v_cmp_ne_u16_sdwa s[12:13], v11, s24 src0_sel:BYTE_0 src1_sel:DWORD
	s_and_saveexec_b64 s[6:7], s[12:13]
	s_cbranch_execz .LBB179_240
; %bb.237:                              ;   in Loop: Header=BB179_223 Depth=1
	v_bfe_u32 v0, v15, 16, 7
	v_mov_b32_e32 v20, 0x7f800001
	v_mov_b32_e32 v21, 0
	v_cmp_ne_u32_e32 vcc, s25, v0
	s_and_saveexec_b64 s[12:13], vcc
	s_cbranch_execz .LBB179_239
; %bb.238:                              ;   in Loop: Header=BB179_223 Depth=1
	v_and_b32_e32 v7, 7, v11
	v_ffbh_u32_e32 v20, v7
	v_min_u32_e32 v24, 32, v20
	v_subrev_u32_e32 v20, 28, v24
	v_lshlrev_b64 v[20:21], v20, v[11:12]
	v_lshrrev_b32_e32 v8, 3, v0
	v_sub_u32_e32 v21, 29, v24
	v_and_b32_e32 v20, 7, v20
	v_cmp_gt_u32_e32 vcc, 8, v0
	v_cndmask_b32_e32 v0, v8, v21, vcc
	v_cndmask_b32_e32 v7, v7, v20, vcc
	v_lshlrev_b32_e32 v7, 20, v7
	v_and_b32_sdwa v8, sext(v11), s26 dst_sel:DWORD dst_unused:UNUSED_PAD src0_sel:BYTE_0 src1_sel:DWORD
	v_lshl_add_u32 v0, v0, 23, v38
	v_or3_b32 v20, v8, v0, v7
	v_mov_b32_e32 v21, v5
.LBB179_239:                            ;   in Loop: Header=BB179_223 Depth=1
	s_or_b64 exec, exec, s[12:13]
.LBB179_240:                            ;   in Loop: Header=BB179_223 Depth=1
	s_or_b64 exec, exec, s[6:7]
.LBB179_241:                            ;   in Loop: Header=BB179_223 Depth=1
	s_or_b64 exec, exec, s[0:1]
	v_cmp_lt_u32_e32 vcc, s27, v15
	s_and_saveexec_b64 s[0:1], vcc
	s_cbranch_execz .LBB179_247
; %bb.242:                              ;   in Loop: Header=BB179_223 Depth=1
	v_mov_b32_e32 v23, v6
	v_cmp_ne_u32_sdwa s[12:13], v15, s24 src0_sel:BYTE_3 src1_sel:DWORD
	v_mov_b32_e32 v22, v5
	s_and_saveexec_b64 s[6:7], s[12:13]
	s_cbranch_execz .LBB179_246
; %bb.243:                              ;   in Loop: Header=BB179_223 Depth=1
	v_bfe_u32 v0, v15, 24, 7
	v_mov_b32_e32 v11, v5
	v_mov_b32_e32 v23, v12
	v_cmp_ne_u32_e32 vcc, s25, v0
	v_mov_b32_e32 v22, v11
	s_and_saveexec_b64 s[12:13], vcc
	s_cbranch_execz .LBB179_245
; %bb.244:                              ;   in Loop: Header=BB179_223 Depth=1
	v_and_b32_sdwa v22, v15, v37 dst_sel:DWORD dst_unused:UNUSED_PAD src0_sel:BYTE_3 src1_sel:DWORD
	v_ffbh_u32_e32 v8, v22
	v_min_u32_e32 v8, 32, v8
	v_mov_b32_e32 v23, v5
	v_subrev_u32_e32 v11, 28, v8
	v_lshlrev_b64 v[23:24], v11, v[22:23]
	v_lshrrev_b32_e32 v7, 3, v0
	v_sub_u32_e32 v8, 29, v8
	v_cmp_gt_u32_e32 vcc, 8, v0
	v_and_b32_e32 v11, 7, v23
	v_cndmask_b32_e32 v0, v7, v8, vcc
	v_mov_b32_e32 v8, 24
	v_cndmask_b32_e32 v7, v22, v11, vcc
	v_lshlrev_b32_sdwa v8, v8, v15 dst_sel:DWORD dst_unused:UNUSED_PAD src0_sel:DWORD src1_sel:BYTE_3
	v_lshl_add_u32 v0, v0, 23, v38
	v_and_or_b32 v0, v8, s26, v0
	v_lshlrev_b32_e32 v7, 20, v7
	v_or_b32_e32 v23, v0, v7
	v_mov_b32_e32 v22, v5
.LBB179_245:                            ;   in Loop: Header=BB179_223 Depth=1
	s_or_b64 exec, exec, s[12:13]
.LBB179_246:                            ;   in Loop: Header=BB179_223 Depth=1
	s_or_b64 exec, exec, s[6:7]
.LBB179_247:                            ;   in Loop: Header=BB179_223 Depth=1
	s_or_b64 exec, exec, s[0:1]
	v_or_b32_e32 v0, v19, v17
	v_or_b32_e32 v7, v18, v16
	v_mul_f32_e32 v41, s18, v0
	v_mul_f32_e32 v44, s17, v7
	v_or_b32_e32 v0, v23, v21
	v_or_b32_e32 v7, v22, v20
	v_add_u32_e32 v45, -3, v35
	v_cmp_eq_u32_e32 vcc, s19, v53
	v_mul_f32_e32 v43, s17, v7
	v_mul_f32_e32 v42, s18, v0
	v_add_u32_e32 v47, -2, v35
	v_add_u32_e32 v46, -1, v35
	buffer_store_dword v53, off, s[44:47], 0 offset:24 ; 4-byte Folded Spill
	s_and_saveexec_b64 s[6:7], vcc
; %bb.248:                              ;   in Loop: Header=BB179_223 Depth=1
	v_cmp_gt_i32_e64 s[0:1], s30, v45
	v_cndmask_b32_e64 v44, 0, v44, s[0:1]
	v_cmp_gt_i32_e64 s[0:1], s30, v47
	v_cndmask_b32_e64 v41, 0, v41, s[0:1]
	;; [unrolled: 2-line block ×4, first 2 shown]
; %bb.249:                              ;   in Loop: Header=BB179_223 Depth=1
	s_or_b64 exec, exec, s[6:7]
	global_load_dword v15, v[13:14], off offset:256
	v_mov_b32_e32 v18, 0
	v_mov_b32_e32 v16, 0
	v_mov_b32_e32 v19, 0
	v_mov_b32_e32 v17, 0
	s_waitcnt vmcnt(0)
	v_cmp_ne_u16_sdwa s[0:1], v15, v5 src0_sel:BYTE_0 src1_sel:DWORD
	s_and_saveexec_b64 s[6:7], s[0:1]
	s_cbranch_execz .LBB179_255
; %bb.250:                              ;   in Loop: Header=BB179_223 Depth=1
	v_bfrev_b32_e32 v16, 1
	v_mov_b32_e32 v17, 0
	v_cmp_ne_u16_sdwa s[0:1], v15, s24 src0_sel:BYTE_0 src1_sel:DWORD
	s_and_saveexec_b64 s[12:13], s[0:1]
	s_cbranch_execz .LBB179_254
; %bb.251:                              ;   in Loop: Header=BB179_223 Depth=1
	v_and_b32_e32 v0, 0x7f, v15
	v_mov_b32_e32 v16, 0x7f800001
	v_mov_b32_e32 v17, 0
	v_cmp_ne_u32_e64 s[0:1], s25, v0
	s_and_saveexec_b64 s[14:15], s[0:1]
	s_cbranch_execz .LBB179_253
; %bb.252:                              ;   in Loop: Header=BB179_223 Depth=1
	v_and_b32_e32 v7, 7, v15
	v_ffbh_u32_e32 v11, v7
	v_min_u32_e32 v11, 32, v11
	v_subrev_u32_e32 v16, 28, v11
	v_lshlrev_b64 v[16:17], v16, v[15:16]
	v_lshrrev_b32_e32 v8, 3, v0
	v_sub_u32_e32 v11, 29, v11
	v_and_b32_e32 v16, 7, v16
	v_cmp_gt_u32_e64 s[0:1], 8, v0
	v_cndmask_b32_e64 v0, v8, v11, s[0:1]
	v_cndmask_b32_e64 v7, v7, v16, s[0:1]
	v_lshlrev_b32_e32 v7, 20, v7
	v_and_b32_sdwa v8, sext(v15), s26 dst_sel:DWORD dst_unused:UNUSED_PAD src0_sel:BYTE_0 src1_sel:DWORD
	v_lshl_add_u32 v0, v0, 23, v38
	v_or3_b32 v16, v8, v0, v7
	v_mov_b32_e32 v17, v5
.LBB179_253:                            ;   in Loop: Header=BB179_223 Depth=1
	s_or_b64 exec, exec, s[14:15]
.LBB179_254:                            ;   in Loop: Header=BB179_223 Depth=1
	s_or_b64 exec, exec, s[12:13]
.LBB179_255:                            ;   in Loop: Header=BB179_223 Depth=1
	s_or_b64 exec, exec, s[6:7]
	v_cmp_ne_u16_sdwa s[0:1], v15, v5 src0_sel:BYTE_1 src1_sel:DWORD
	s_and_saveexec_b64 s[6:7], s[0:1]
	s_cbranch_execz .LBB179_261
; %bb.256:                              ;   in Loop: Header=BB179_223 Depth=1
	v_mov_b32_e32 v19, v6
	v_cmp_ne_u16_sdwa s[0:1], v15, s24 src0_sel:BYTE_1 src1_sel:DWORD
	v_mov_b32_e32 v18, v5
	s_and_saveexec_b64 s[12:13], s[0:1]
	s_cbranch_execz .LBB179_260
; %bb.257:                              ;   in Loop: Header=BB179_223 Depth=1
	v_and_b32_sdwa v0, v15, s25 dst_sel:DWORD dst_unused:UNUSED_PAD src0_sel:BYTE_1 src1_sel:DWORD
	v_mov_b32_e32 v11, v5
	v_mov_b32_e32 v19, v12
	v_cmp_ne_u32_e64 s[0:1], s25, v0
	v_mov_b32_e32 v18, v11
	s_and_saveexec_b64 s[14:15], s[0:1]
	s_cbranch_execz .LBB179_259
; %bb.258:                              ;   in Loop: Header=BB179_223 Depth=1
	v_and_b32_sdwa v18, v15, v37 dst_sel:DWORD dst_unused:UNUSED_PAD src0_sel:BYTE_1 src1_sel:DWORD
	v_ffbh_u32_e32 v8, v18
	v_min_u32_e32 v8, 32, v8
	v_mov_b32_e32 v19, v5
	v_subrev_u32_e32 v11, 28, v8
	v_lshlrev_b64 v[19:20], v11, v[18:19]
	v_lshrrev_b32_e32 v7, 3, v0
	v_sub_u32_e32 v8, 29, v8
	v_cmp_gt_u32_e64 s[0:1], 8, v0
	v_and_b32_e32 v11, 7, v19
	v_cndmask_b32_e64 v0, v7, v8, s[0:1]
	v_cndmask_b32_e64 v7, v18, v11, s[0:1]
	v_lshlrev_b32_e32 v8, 16, v15
	v_lshl_add_u32 v0, v0, 23, v38
	v_and_or_b32 v0, v8, s26, v0
	v_lshlrev_b32_e32 v7, 20, v7
	v_or_b32_e32 v19, v0, v7
	v_mov_b32_e32 v18, v5
.LBB179_259:                            ;   in Loop: Header=BB179_223 Depth=1
	s_or_b64 exec, exec, s[14:15]
.LBB179_260:                            ;   in Loop: Header=BB179_223 Depth=1
	s_or_b64 exec, exec, s[12:13]
.LBB179_261:                            ;   in Loop: Header=BB179_223 Depth=1
	s_or_b64 exec, exec, s[6:7]
	v_lshrrev_b32_e32 v11, 16, v15
	v_mov_b32_e32 v22, 0
	v_mov_b32_e32 v20, 0
	;; [unrolled: 1-line block ×4, first 2 shown]
	v_cmp_ne_u16_sdwa s[0:1], v11, v5 src0_sel:BYTE_0 src1_sel:DWORD
	s_and_saveexec_b64 s[6:7], s[0:1]
	s_cbranch_execz .LBB179_267
; %bb.262:                              ;   in Loop: Header=BB179_223 Depth=1
	v_bfrev_b32_e32 v20, 1
	v_mov_b32_e32 v21, 0
	v_cmp_ne_u16_sdwa s[0:1], v11, s24 src0_sel:BYTE_0 src1_sel:DWORD
	s_and_saveexec_b64 s[12:13], s[0:1]
	s_cbranch_execz .LBB179_266
; %bb.263:                              ;   in Loop: Header=BB179_223 Depth=1
	v_bfe_u32 v0, v15, 16, 7
	v_mov_b32_e32 v20, 0x7f800001
	v_mov_b32_e32 v21, 0
	v_cmp_ne_u32_e64 s[0:1], s25, v0
	s_and_saveexec_b64 s[14:15], s[0:1]
	s_cbranch_execz .LBB179_265
; %bb.264:                              ;   in Loop: Header=BB179_223 Depth=1
	v_and_b32_e32 v7, 7, v11
	v_ffbh_u32_e32 v20, v7
	v_min_u32_e32 v24, 32, v20
	v_subrev_u32_e32 v20, 28, v24
	v_lshlrev_b64 v[20:21], v20, v[11:12]
	v_lshrrev_b32_e32 v8, 3, v0
	v_sub_u32_e32 v21, 29, v24
	v_and_b32_e32 v20, 7, v20
	v_cmp_gt_u32_e64 s[0:1], 8, v0
	v_cndmask_b32_e64 v0, v8, v21, s[0:1]
	v_cndmask_b32_e64 v7, v7, v20, s[0:1]
	v_lshlrev_b32_e32 v7, 20, v7
	v_and_b32_sdwa v8, sext(v11), s26 dst_sel:DWORD dst_unused:UNUSED_PAD src0_sel:BYTE_0 src1_sel:DWORD
	v_lshl_add_u32 v0, v0, 23, v38
	v_or3_b32 v20, v8, v0, v7
	v_mov_b32_e32 v21, v5
.LBB179_265:                            ;   in Loop: Header=BB179_223 Depth=1
	s_or_b64 exec, exec, s[14:15]
.LBB179_266:                            ;   in Loop: Header=BB179_223 Depth=1
	s_or_b64 exec, exec, s[12:13]
.LBB179_267:                            ;   in Loop: Header=BB179_223 Depth=1
	s_or_b64 exec, exec, s[6:7]
	v_cmp_lt_u32_e64 s[0:1], s27, v15
	s_and_saveexec_b64 s[6:7], s[0:1]
	s_cbranch_execz .LBB179_273
; %bb.268:                              ;   in Loop: Header=BB179_223 Depth=1
	v_mov_b32_e32 v23, v6
	v_cmp_ne_u32_sdwa s[0:1], v15, s24 src0_sel:BYTE_3 src1_sel:DWORD
	v_mov_b32_e32 v22, v5
	s_and_saveexec_b64 s[12:13], s[0:1]
	s_cbranch_execz .LBB179_272
; %bb.269:                              ;   in Loop: Header=BB179_223 Depth=1
	v_bfe_u32 v0, v15, 24, 7
	v_mov_b32_e32 v11, v5
	v_mov_b32_e32 v23, v12
	v_cmp_ne_u32_e64 s[0:1], s25, v0
	v_mov_b32_e32 v22, v11
	s_and_saveexec_b64 s[14:15], s[0:1]
	s_cbranch_execz .LBB179_271
; %bb.270:                              ;   in Loop: Header=BB179_223 Depth=1
	v_and_b32_sdwa v22, v15, v37 dst_sel:DWORD dst_unused:UNUSED_PAD src0_sel:BYTE_3 src1_sel:DWORD
	v_ffbh_u32_e32 v8, v22
	v_min_u32_e32 v8, 32, v8
	v_mov_b32_e32 v23, v5
	v_subrev_u32_e32 v11, 28, v8
	v_lshlrev_b64 v[23:24], v11, v[22:23]
	v_lshrrev_b32_e32 v7, 3, v0
	v_sub_u32_e32 v8, 29, v8
	v_cmp_gt_u32_e64 s[0:1], 8, v0
	v_and_b32_e32 v11, 7, v23
	v_cndmask_b32_e64 v0, v7, v8, s[0:1]
	v_mov_b32_e32 v8, 24
	v_cndmask_b32_e64 v7, v22, v11, s[0:1]
	v_lshlrev_b32_sdwa v8, v8, v15 dst_sel:DWORD dst_unused:UNUSED_PAD src0_sel:DWORD src1_sel:BYTE_3
	v_lshl_add_u32 v0, v0, 23, v38
	v_and_or_b32 v0, v8, s26, v0
	v_lshlrev_b32_e32 v7, 20, v7
	v_or_b32_e32 v23, v0, v7
	v_mov_b32_e32 v22, v5
.LBB179_271:                            ;   in Loop: Header=BB179_223 Depth=1
	s_or_b64 exec, exec, s[14:15]
.LBB179_272:                            ;   in Loop: Header=BB179_223 Depth=1
	s_or_b64 exec, exec, s[12:13]
.LBB179_273:                            ;   in Loop: Header=BB179_223 Depth=1
	s_or_b64 exec, exec, s[6:7]
	v_or_b32_e32 v0, v19, v17
	v_or_b32_e32 v7, v18, v16
	v_mul_f32_e32 v48, s18, v0
	v_mul_f32_e32 v51, s17, v7
	v_or_b32_e32 v0, v23, v21
	v_or_b32_e32 v7, v22, v20
	v_mul_f32_e32 v50, s17, v7
	v_mul_f32_e32 v49, s18, v0
	s_and_saveexec_b64 s[6:7], vcc
; %bb.274:                              ;   in Loop: Header=BB179_223 Depth=1
	v_cmp_gt_i32_e64 s[0:1], s30, v45
	v_cndmask_b32_e64 v51, 0, v51, s[0:1]
	v_cmp_gt_i32_e64 s[0:1], s30, v47
	v_cndmask_b32_e64 v48, 0, v48, s[0:1]
	;; [unrolled: 2-line block ×4, first 2 shown]
; %bb.275:                              ;   in Loop: Header=BB179_223 Depth=1
	s_or_b64 exec, exec, s[6:7]
	global_load_dword v15, v[13:14], off offset:512
	v_mov_b32_e32 v18, 0
	v_mov_b32_e32 v16, 0
	v_mov_b32_e32 v19, 0
	v_mov_b32_e32 v17, 0
	s_waitcnt vmcnt(0)
	v_cmp_ne_u16_sdwa s[0:1], v15, v5 src0_sel:BYTE_0 src1_sel:DWORD
	s_and_saveexec_b64 s[6:7], s[0:1]
	s_cbranch_execz .LBB179_281
; %bb.276:                              ;   in Loop: Header=BB179_223 Depth=1
	v_bfrev_b32_e32 v16, 1
	v_mov_b32_e32 v17, 0
	v_cmp_ne_u16_sdwa s[0:1], v15, s24 src0_sel:BYTE_0 src1_sel:DWORD
	s_and_saveexec_b64 s[12:13], s[0:1]
	s_cbranch_execz .LBB179_280
; %bb.277:                              ;   in Loop: Header=BB179_223 Depth=1
	v_and_b32_e32 v0, 0x7f, v15
	v_mov_b32_e32 v16, 0x7f800001
	v_mov_b32_e32 v17, 0
	v_cmp_ne_u32_e64 s[0:1], s25, v0
	s_and_saveexec_b64 s[14:15], s[0:1]
	s_cbranch_execz .LBB179_279
; %bb.278:                              ;   in Loop: Header=BB179_223 Depth=1
	v_and_b32_e32 v7, 7, v15
	v_ffbh_u32_e32 v11, v7
	v_min_u32_e32 v11, 32, v11
	v_subrev_u32_e32 v16, 28, v11
	v_lshlrev_b64 v[16:17], v16, v[15:16]
	v_lshrrev_b32_e32 v8, 3, v0
	v_sub_u32_e32 v11, 29, v11
	v_and_b32_e32 v16, 7, v16
	v_cmp_gt_u32_e64 s[0:1], 8, v0
	v_cndmask_b32_e64 v0, v8, v11, s[0:1]
	v_cndmask_b32_e64 v7, v7, v16, s[0:1]
	v_lshlrev_b32_e32 v7, 20, v7
	v_and_b32_sdwa v8, sext(v15), s26 dst_sel:DWORD dst_unused:UNUSED_PAD src0_sel:BYTE_0 src1_sel:DWORD
	v_lshl_add_u32 v0, v0, 23, v38
	v_or3_b32 v16, v8, v0, v7
	v_mov_b32_e32 v17, v5
.LBB179_279:                            ;   in Loop: Header=BB179_223 Depth=1
	s_or_b64 exec, exec, s[14:15]
.LBB179_280:                            ;   in Loop: Header=BB179_223 Depth=1
	s_or_b64 exec, exec, s[12:13]
.LBB179_281:                            ;   in Loop: Header=BB179_223 Depth=1
	s_or_b64 exec, exec, s[6:7]
	v_cmp_ne_u16_sdwa s[0:1], v15, v5 src0_sel:BYTE_1 src1_sel:DWORD
	s_and_saveexec_b64 s[6:7], s[0:1]
	s_cbranch_execz .LBB179_287
; %bb.282:                              ;   in Loop: Header=BB179_223 Depth=1
	v_mov_b32_e32 v19, v6
	v_cmp_ne_u16_sdwa s[0:1], v15, s24 src0_sel:BYTE_1 src1_sel:DWORD
	v_mov_b32_e32 v18, v5
	s_and_saveexec_b64 s[12:13], s[0:1]
	s_cbranch_execz .LBB179_286
; %bb.283:                              ;   in Loop: Header=BB179_223 Depth=1
	v_and_b32_sdwa v0, v15, s25 dst_sel:DWORD dst_unused:UNUSED_PAD src0_sel:BYTE_1 src1_sel:DWORD
	v_mov_b32_e32 v11, v5
	v_mov_b32_e32 v19, v12
	v_cmp_ne_u32_e64 s[0:1], s25, v0
	v_mov_b32_e32 v18, v11
	s_and_saveexec_b64 s[14:15], s[0:1]
	s_cbranch_execz .LBB179_285
; %bb.284:                              ;   in Loop: Header=BB179_223 Depth=1
	v_and_b32_sdwa v18, v15, v37 dst_sel:DWORD dst_unused:UNUSED_PAD src0_sel:BYTE_1 src1_sel:DWORD
	v_ffbh_u32_e32 v8, v18
	v_min_u32_e32 v8, 32, v8
	v_mov_b32_e32 v19, v5
	v_subrev_u32_e32 v11, 28, v8
	v_lshlrev_b64 v[19:20], v11, v[18:19]
	v_lshrrev_b32_e32 v7, 3, v0
	v_sub_u32_e32 v8, 29, v8
	v_cmp_gt_u32_e64 s[0:1], 8, v0
	v_and_b32_e32 v11, 7, v19
	v_cndmask_b32_e64 v0, v7, v8, s[0:1]
	v_cndmask_b32_e64 v7, v18, v11, s[0:1]
	v_lshlrev_b32_e32 v8, 16, v15
	v_lshl_add_u32 v0, v0, 23, v38
	v_and_or_b32 v0, v8, s26, v0
	v_lshlrev_b32_e32 v7, 20, v7
	v_or_b32_e32 v19, v0, v7
	v_mov_b32_e32 v18, v5
.LBB179_285:                            ;   in Loop: Header=BB179_223 Depth=1
	s_or_b64 exec, exec, s[14:15]
.LBB179_286:                            ;   in Loop: Header=BB179_223 Depth=1
	s_or_b64 exec, exec, s[12:13]
.LBB179_287:                            ;   in Loop: Header=BB179_223 Depth=1
	s_or_b64 exec, exec, s[6:7]
	v_lshrrev_b32_e32 v11, 16, v15
	v_mov_b32_e32 v22, 0
	v_mov_b32_e32 v20, 0
	;; [unrolled: 1-line block ×4, first 2 shown]
	v_cmp_ne_u16_sdwa s[0:1], v11, v5 src0_sel:BYTE_0 src1_sel:DWORD
	s_and_saveexec_b64 s[6:7], s[0:1]
	s_cbranch_execz .LBB179_293
; %bb.288:                              ;   in Loop: Header=BB179_223 Depth=1
	v_bfrev_b32_e32 v20, 1
	v_mov_b32_e32 v21, 0
	v_cmp_ne_u16_sdwa s[0:1], v11, s24 src0_sel:BYTE_0 src1_sel:DWORD
	s_and_saveexec_b64 s[12:13], s[0:1]
	s_cbranch_execz .LBB179_292
; %bb.289:                              ;   in Loop: Header=BB179_223 Depth=1
	v_bfe_u32 v0, v15, 16, 7
	v_mov_b32_e32 v20, 0x7f800001
	v_mov_b32_e32 v21, 0
	v_cmp_ne_u32_e64 s[0:1], s25, v0
	s_and_saveexec_b64 s[14:15], s[0:1]
	s_cbranch_execz .LBB179_291
; %bb.290:                              ;   in Loop: Header=BB179_223 Depth=1
	v_and_b32_e32 v7, 7, v11
	v_ffbh_u32_e32 v20, v7
	v_min_u32_e32 v24, 32, v20
	v_subrev_u32_e32 v20, 28, v24
	v_lshlrev_b64 v[20:21], v20, v[11:12]
	v_lshrrev_b32_e32 v8, 3, v0
	v_sub_u32_e32 v21, 29, v24
	v_and_b32_e32 v20, 7, v20
	v_cmp_gt_u32_e64 s[0:1], 8, v0
	v_cndmask_b32_e64 v0, v8, v21, s[0:1]
	v_cndmask_b32_e64 v7, v7, v20, s[0:1]
	v_lshlrev_b32_e32 v7, 20, v7
	v_and_b32_sdwa v8, sext(v11), s26 dst_sel:DWORD dst_unused:UNUSED_PAD src0_sel:BYTE_0 src1_sel:DWORD
	v_lshl_add_u32 v0, v0, 23, v38
	v_or3_b32 v20, v8, v0, v7
	v_mov_b32_e32 v21, v5
.LBB179_291:                            ;   in Loop: Header=BB179_223 Depth=1
	s_or_b64 exec, exec, s[14:15]
.LBB179_292:                            ;   in Loop: Header=BB179_223 Depth=1
	s_or_b64 exec, exec, s[12:13]
.LBB179_293:                            ;   in Loop: Header=BB179_223 Depth=1
	s_or_b64 exec, exec, s[6:7]
	v_cmp_lt_u32_e64 s[0:1], s27, v15
	s_and_saveexec_b64 s[6:7], s[0:1]
	s_cbranch_execz .LBB179_299
; %bb.294:                              ;   in Loop: Header=BB179_223 Depth=1
	v_mov_b32_e32 v23, v6
	v_cmp_ne_u32_sdwa s[0:1], v15, s24 src0_sel:BYTE_3 src1_sel:DWORD
	v_mov_b32_e32 v22, v5
	s_and_saveexec_b64 s[12:13], s[0:1]
	s_cbranch_execz .LBB179_298
; %bb.295:                              ;   in Loop: Header=BB179_223 Depth=1
	v_bfe_u32 v0, v15, 24, 7
	v_mov_b32_e32 v11, v5
	v_mov_b32_e32 v23, v12
	v_cmp_ne_u32_e64 s[0:1], s25, v0
	v_mov_b32_e32 v22, v11
	s_and_saveexec_b64 s[14:15], s[0:1]
	s_cbranch_execz .LBB179_297
; %bb.296:                              ;   in Loop: Header=BB179_223 Depth=1
	v_and_b32_sdwa v22, v15, v37 dst_sel:DWORD dst_unused:UNUSED_PAD src0_sel:BYTE_3 src1_sel:DWORD
	v_ffbh_u32_e32 v8, v22
	v_min_u32_e32 v8, 32, v8
	v_mov_b32_e32 v23, v5
	v_subrev_u32_e32 v11, 28, v8
	v_lshlrev_b64 v[23:24], v11, v[22:23]
	v_lshrrev_b32_e32 v7, 3, v0
	v_sub_u32_e32 v8, 29, v8
	v_cmp_gt_u32_e64 s[0:1], 8, v0
	v_and_b32_e32 v11, 7, v23
	v_cndmask_b32_e64 v0, v7, v8, s[0:1]
	v_mov_b32_e32 v8, 24
	v_cndmask_b32_e64 v7, v22, v11, s[0:1]
	v_lshlrev_b32_sdwa v8, v8, v15 dst_sel:DWORD dst_unused:UNUSED_PAD src0_sel:DWORD src1_sel:BYTE_3
	v_lshl_add_u32 v0, v0, 23, v38
	v_and_or_b32 v0, v8, s26, v0
	v_lshlrev_b32_e32 v7, 20, v7
	v_or_b32_e32 v23, v0, v7
	v_mov_b32_e32 v22, v5
.LBB179_297:                            ;   in Loop: Header=BB179_223 Depth=1
	s_or_b64 exec, exec, s[14:15]
.LBB179_298:                            ;   in Loop: Header=BB179_223 Depth=1
	s_or_b64 exec, exec, s[12:13]
.LBB179_299:                            ;   in Loop: Header=BB179_223 Depth=1
	s_or_b64 exec, exec, s[6:7]
	v_or_b32_e32 v0, v19, v17
	v_or_b32_e32 v7, v18, v16
	v_mul_f32_e32 v52, s18, v0
	v_mul_f32_e32 v55, s17, v7
	v_or_b32_e32 v0, v23, v21
	v_or_b32_e32 v7, v22, v20
	v_mul_f32_e32 v54, s17, v7
	v_mul_f32_e32 v53, s18, v0
	s_and_saveexec_b64 s[6:7], vcc
; %bb.300:                              ;   in Loop: Header=BB179_223 Depth=1
	v_cmp_gt_i32_e64 s[0:1], s30, v45
	v_cndmask_b32_e64 v55, 0, v55, s[0:1]
	v_cmp_gt_i32_e64 s[0:1], s30, v47
	v_cndmask_b32_e64 v52, 0, v52, s[0:1]
	;; [unrolled: 2-line block ×4, first 2 shown]
; %bb.301:                              ;   in Loop: Header=BB179_223 Depth=1
	s_or_b64 exec, exec, s[6:7]
	global_load_dword v15, v[13:14], off offset:768
	v_mov_b32_e32 v18, 0
	v_mov_b32_e32 v16, 0
	;; [unrolled: 1-line block ×4, first 2 shown]
	s_waitcnt vmcnt(0)
	v_cmp_ne_u16_sdwa s[0:1], v15, v5 src0_sel:BYTE_0 src1_sel:DWORD
	s_and_saveexec_b64 s[6:7], s[0:1]
	s_cbranch_execz .LBB179_307
; %bb.302:                              ;   in Loop: Header=BB179_223 Depth=1
	v_bfrev_b32_e32 v16, 1
	v_mov_b32_e32 v17, 0
	v_cmp_ne_u16_sdwa s[0:1], v15, s24 src0_sel:BYTE_0 src1_sel:DWORD
	s_and_saveexec_b64 s[12:13], s[0:1]
	s_cbranch_execz .LBB179_306
; %bb.303:                              ;   in Loop: Header=BB179_223 Depth=1
	v_and_b32_e32 v0, 0x7f, v15
	v_mov_b32_e32 v16, 0x7f800001
	v_mov_b32_e32 v17, 0
	v_cmp_ne_u32_e64 s[0:1], s25, v0
	s_and_saveexec_b64 s[14:15], s[0:1]
	s_cbranch_execz .LBB179_305
; %bb.304:                              ;   in Loop: Header=BB179_223 Depth=1
	v_and_b32_e32 v7, 7, v15
	v_ffbh_u32_e32 v11, v7
	v_min_u32_e32 v11, 32, v11
	v_subrev_u32_e32 v16, 28, v11
	v_lshlrev_b64 v[16:17], v16, v[15:16]
	v_lshrrev_b32_e32 v8, 3, v0
	v_sub_u32_e32 v11, 29, v11
	v_and_b32_e32 v16, 7, v16
	v_cmp_gt_u32_e64 s[0:1], 8, v0
	v_cndmask_b32_e64 v0, v8, v11, s[0:1]
	v_cndmask_b32_e64 v7, v7, v16, s[0:1]
	v_lshlrev_b32_e32 v7, 20, v7
	v_and_b32_sdwa v8, sext(v15), s26 dst_sel:DWORD dst_unused:UNUSED_PAD src0_sel:BYTE_0 src1_sel:DWORD
	v_lshl_add_u32 v0, v0, 23, v38
	v_or3_b32 v16, v8, v0, v7
	v_mov_b32_e32 v17, v5
.LBB179_305:                            ;   in Loop: Header=BB179_223 Depth=1
	s_or_b64 exec, exec, s[14:15]
.LBB179_306:                            ;   in Loop: Header=BB179_223 Depth=1
	s_or_b64 exec, exec, s[12:13]
.LBB179_307:                            ;   in Loop: Header=BB179_223 Depth=1
	s_or_b64 exec, exec, s[6:7]
	v_cmp_ne_u16_sdwa s[0:1], v15, v5 src0_sel:BYTE_1 src1_sel:DWORD
	s_and_saveexec_b64 s[6:7], s[0:1]
	s_cbranch_execz .LBB179_313
; %bb.308:                              ;   in Loop: Header=BB179_223 Depth=1
	v_mov_b32_e32 v19, v6
	v_cmp_ne_u16_sdwa s[0:1], v15, s24 src0_sel:BYTE_1 src1_sel:DWORD
	v_mov_b32_e32 v18, v5
	s_and_saveexec_b64 s[12:13], s[0:1]
	s_cbranch_execz .LBB179_312
; %bb.309:                              ;   in Loop: Header=BB179_223 Depth=1
	v_and_b32_sdwa v0, v15, s25 dst_sel:DWORD dst_unused:UNUSED_PAD src0_sel:BYTE_1 src1_sel:DWORD
	v_mov_b32_e32 v11, v5
	v_mov_b32_e32 v19, v12
	v_cmp_ne_u32_e64 s[0:1], s25, v0
	v_mov_b32_e32 v18, v11
	s_and_saveexec_b64 s[14:15], s[0:1]
	s_cbranch_execz .LBB179_311
; %bb.310:                              ;   in Loop: Header=BB179_223 Depth=1
	v_and_b32_sdwa v18, v15, v37 dst_sel:DWORD dst_unused:UNUSED_PAD src0_sel:BYTE_1 src1_sel:DWORD
	v_ffbh_u32_e32 v8, v18
	v_min_u32_e32 v8, 32, v8
	v_mov_b32_e32 v19, v5
	v_subrev_u32_e32 v11, 28, v8
	v_lshlrev_b64 v[19:20], v11, v[18:19]
	v_lshrrev_b32_e32 v7, 3, v0
	v_sub_u32_e32 v8, 29, v8
	v_cmp_gt_u32_e64 s[0:1], 8, v0
	v_and_b32_e32 v11, 7, v19
	v_cndmask_b32_e64 v0, v7, v8, s[0:1]
	v_cndmask_b32_e64 v7, v18, v11, s[0:1]
	v_lshlrev_b32_e32 v8, 16, v15
	v_lshl_add_u32 v0, v0, 23, v38
	v_and_or_b32 v0, v8, s26, v0
	v_lshlrev_b32_e32 v7, 20, v7
	v_or_b32_e32 v19, v0, v7
	v_mov_b32_e32 v18, v5
.LBB179_311:                            ;   in Loop: Header=BB179_223 Depth=1
	s_or_b64 exec, exec, s[14:15]
.LBB179_312:                            ;   in Loop: Header=BB179_223 Depth=1
	s_or_b64 exec, exec, s[12:13]
.LBB179_313:                            ;   in Loop: Header=BB179_223 Depth=1
	s_or_b64 exec, exec, s[6:7]
	v_lshrrev_b32_e32 v11, 16, v15
	v_mov_b32_e32 v22, 0
	v_mov_b32_e32 v20, 0
	v_mov_b32_e32 v23, 0
	v_mov_b32_e32 v21, 0
	v_cmp_ne_u16_sdwa s[0:1], v11, v5 src0_sel:BYTE_0 src1_sel:DWORD
	s_and_saveexec_b64 s[6:7], s[0:1]
	s_cbranch_execz .LBB179_319
; %bb.314:                              ;   in Loop: Header=BB179_223 Depth=1
	v_bfrev_b32_e32 v20, 1
	v_mov_b32_e32 v21, 0
	v_cmp_ne_u16_sdwa s[0:1], v11, s24 src0_sel:BYTE_0 src1_sel:DWORD
	s_and_saveexec_b64 s[12:13], s[0:1]
	s_cbranch_execz .LBB179_318
; %bb.315:                              ;   in Loop: Header=BB179_223 Depth=1
	v_bfe_u32 v0, v15, 16, 7
	v_mov_b32_e32 v20, 0x7f800001
	v_mov_b32_e32 v21, 0
	v_cmp_ne_u32_e64 s[0:1], s25, v0
	s_and_saveexec_b64 s[14:15], s[0:1]
	s_cbranch_execz .LBB179_317
; %bb.316:                              ;   in Loop: Header=BB179_223 Depth=1
	v_and_b32_e32 v7, 7, v11
	v_ffbh_u32_e32 v20, v7
	v_min_u32_e32 v24, 32, v20
	v_subrev_u32_e32 v20, 28, v24
	v_lshlrev_b64 v[20:21], v20, v[11:12]
	v_lshrrev_b32_e32 v8, 3, v0
	v_sub_u32_e32 v21, 29, v24
	v_and_b32_e32 v20, 7, v20
	v_cmp_gt_u32_e64 s[0:1], 8, v0
	v_cndmask_b32_e64 v0, v8, v21, s[0:1]
	v_cndmask_b32_e64 v7, v7, v20, s[0:1]
	v_lshlrev_b32_e32 v7, 20, v7
	v_and_b32_sdwa v8, sext(v11), s26 dst_sel:DWORD dst_unused:UNUSED_PAD src0_sel:BYTE_0 src1_sel:DWORD
	v_lshl_add_u32 v0, v0, 23, v38
	v_or3_b32 v20, v8, v0, v7
	v_mov_b32_e32 v21, v5
.LBB179_317:                            ;   in Loop: Header=BB179_223 Depth=1
	s_or_b64 exec, exec, s[14:15]
.LBB179_318:                            ;   in Loop: Header=BB179_223 Depth=1
	s_or_b64 exec, exec, s[12:13]
.LBB179_319:                            ;   in Loop: Header=BB179_223 Depth=1
	s_or_b64 exec, exec, s[6:7]
	v_cmp_lt_u32_e64 s[0:1], s27, v15
	s_and_saveexec_b64 s[6:7], s[0:1]
	s_cbranch_execz .LBB179_325
; %bb.320:                              ;   in Loop: Header=BB179_223 Depth=1
	v_mov_b32_e32 v23, v6
	v_cmp_ne_u32_sdwa s[0:1], v15, s24 src0_sel:BYTE_3 src1_sel:DWORD
	v_mov_b32_e32 v22, v5
	s_and_saveexec_b64 s[12:13], s[0:1]
	s_cbranch_execz .LBB179_324
; %bb.321:                              ;   in Loop: Header=BB179_223 Depth=1
	v_bfe_u32 v0, v15, 24, 7
	v_mov_b32_e32 v11, v5
	v_mov_b32_e32 v23, v12
	v_cmp_ne_u32_e64 s[0:1], s25, v0
	v_mov_b32_e32 v22, v11
	s_and_saveexec_b64 s[14:15], s[0:1]
	s_cbranch_execz .LBB179_323
; %bb.322:                              ;   in Loop: Header=BB179_223 Depth=1
	v_and_b32_sdwa v22, v15, v37 dst_sel:DWORD dst_unused:UNUSED_PAD src0_sel:BYTE_3 src1_sel:DWORD
	v_ffbh_u32_e32 v8, v22
	v_min_u32_e32 v8, 32, v8
	v_mov_b32_e32 v23, v5
	v_subrev_u32_e32 v11, 28, v8
	v_lshlrev_b64 v[23:24], v11, v[22:23]
	v_lshrrev_b32_e32 v7, 3, v0
	v_sub_u32_e32 v8, 29, v8
	v_cmp_gt_u32_e64 s[0:1], 8, v0
	v_and_b32_e32 v11, 7, v23
	v_cndmask_b32_e64 v0, v7, v8, s[0:1]
	v_mov_b32_e32 v8, 24
	v_cndmask_b32_e64 v7, v22, v11, s[0:1]
	v_lshlrev_b32_sdwa v8, v8, v15 dst_sel:DWORD dst_unused:UNUSED_PAD src0_sel:DWORD src1_sel:BYTE_3
	v_lshl_add_u32 v0, v0, 23, v38
	v_and_or_b32 v0, v8, s26, v0
	v_lshlrev_b32_e32 v7, 20, v7
	v_or_b32_e32 v23, v0, v7
	v_mov_b32_e32 v22, v5
.LBB179_323:                            ;   in Loop: Header=BB179_223 Depth=1
	s_or_b64 exec, exec, s[14:15]
.LBB179_324:                            ;   in Loop: Header=BB179_223 Depth=1
	s_or_b64 exec, exec, s[12:13]
.LBB179_325:                            ;   in Loop: Header=BB179_223 Depth=1
	s_or_b64 exec, exec, s[6:7]
	v_or_b32_e32 v0, v19, v17
	v_or_b32_e32 v7, v18, v16
	v_mul_f32_e32 v56, s18, v0
	v_mul_f32_e32 v59, s17, v7
	v_or_b32_e32 v0, v23, v21
	v_or_b32_e32 v7, v22, v20
	v_mul_f32_e32 v58, s17, v7
	v_mul_f32_e32 v57, s18, v0
	s_and_saveexec_b64 s[6:7], vcc
; %bb.326:                              ;   in Loop: Header=BB179_223 Depth=1
	v_cmp_gt_i32_e64 s[0:1], s30, v45
	v_cndmask_b32_e64 v59, 0, v59, s[0:1]
	v_cmp_gt_i32_e64 s[0:1], s30, v47
	v_cndmask_b32_e64 v56, 0, v56, s[0:1]
	;; [unrolled: 2-line block ×4, first 2 shown]
; %bb.327:                              ;   in Loop: Header=BB179_223 Depth=1
	s_or_b64 exec, exec, s[6:7]
	global_load_dword v15, v[13:14], off offset:1024
	v_mov_b32_e32 v18, 0
	v_mov_b32_e32 v16, 0
	;; [unrolled: 1-line block ×4, first 2 shown]
	s_waitcnt vmcnt(0)
	v_cmp_ne_u16_sdwa s[0:1], v15, v5 src0_sel:BYTE_0 src1_sel:DWORD
	s_and_saveexec_b64 s[6:7], s[0:1]
	s_cbranch_execz .LBB179_333
; %bb.328:                              ;   in Loop: Header=BB179_223 Depth=1
	v_bfrev_b32_e32 v16, 1
	v_mov_b32_e32 v17, 0
	v_cmp_ne_u16_sdwa s[0:1], v15, s24 src0_sel:BYTE_0 src1_sel:DWORD
	s_and_saveexec_b64 s[12:13], s[0:1]
	s_cbranch_execz .LBB179_332
; %bb.329:                              ;   in Loop: Header=BB179_223 Depth=1
	v_and_b32_e32 v0, 0x7f, v15
	v_mov_b32_e32 v16, 0x7f800001
	v_mov_b32_e32 v17, 0
	v_cmp_ne_u32_e64 s[0:1], s25, v0
	s_and_saveexec_b64 s[14:15], s[0:1]
	s_cbranch_execz .LBB179_331
; %bb.330:                              ;   in Loop: Header=BB179_223 Depth=1
	v_and_b32_e32 v7, 7, v15
	v_ffbh_u32_e32 v11, v7
	v_min_u32_e32 v11, 32, v11
	v_subrev_u32_e32 v16, 28, v11
	v_lshlrev_b64 v[16:17], v16, v[15:16]
	v_lshrrev_b32_e32 v8, 3, v0
	v_sub_u32_e32 v11, 29, v11
	v_and_b32_e32 v16, 7, v16
	v_cmp_gt_u32_e64 s[0:1], 8, v0
	v_cndmask_b32_e64 v0, v8, v11, s[0:1]
	v_cndmask_b32_e64 v7, v7, v16, s[0:1]
	v_lshlrev_b32_e32 v7, 20, v7
	v_and_b32_sdwa v8, sext(v15), s26 dst_sel:DWORD dst_unused:UNUSED_PAD src0_sel:BYTE_0 src1_sel:DWORD
	v_lshl_add_u32 v0, v0, 23, v38
	v_or3_b32 v16, v8, v0, v7
	v_mov_b32_e32 v17, v5
.LBB179_331:                            ;   in Loop: Header=BB179_223 Depth=1
	s_or_b64 exec, exec, s[14:15]
.LBB179_332:                            ;   in Loop: Header=BB179_223 Depth=1
	s_or_b64 exec, exec, s[12:13]
.LBB179_333:                            ;   in Loop: Header=BB179_223 Depth=1
	s_or_b64 exec, exec, s[6:7]
	v_cmp_ne_u16_sdwa s[0:1], v15, v5 src0_sel:BYTE_1 src1_sel:DWORD
	s_and_saveexec_b64 s[6:7], s[0:1]
	s_cbranch_execz .LBB179_339
; %bb.334:                              ;   in Loop: Header=BB179_223 Depth=1
	v_mov_b32_e32 v19, v6
	v_cmp_ne_u16_sdwa s[0:1], v15, s24 src0_sel:BYTE_1 src1_sel:DWORD
	v_mov_b32_e32 v18, v5
	s_and_saveexec_b64 s[12:13], s[0:1]
	s_cbranch_execz .LBB179_338
; %bb.335:                              ;   in Loop: Header=BB179_223 Depth=1
	v_and_b32_sdwa v0, v15, s25 dst_sel:DWORD dst_unused:UNUSED_PAD src0_sel:BYTE_1 src1_sel:DWORD
	v_mov_b32_e32 v11, v5
	v_mov_b32_e32 v19, v12
	v_cmp_ne_u32_e64 s[0:1], s25, v0
	v_mov_b32_e32 v18, v11
	s_and_saveexec_b64 s[14:15], s[0:1]
	s_cbranch_execz .LBB179_337
; %bb.336:                              ;   in Loop: Header=BB179_223 Depth=1
	v_and_b32_sdwa v18, v15, v37 dst_sel:DWORD dst_unused:UNUSED_PAD src0_sel:BYTE_1 src1_sel:DWORD
	v_ffbh_u32_e32 v8, v18
	v_min_u32_e32 v8, 32, v8
	v_mov_b32_e32 v19, v5
	v_subrev_u32_e32 v11, 28, v8
	v_lshlrev_b64 v[19:20], v11, v[18:19]
	v_lshrrev_b32_e32 v7, 3, v0
	v_sub_u32_e32 v8, 29, v8
	v_cmp_gt_u32_e64 s[0:1], 8, v0
	v_and_b32_e32 v11, 7, v19
	v_cndmask_b32_e64 v0, v7, v8, s[0:1]
	v_cndmask_b32_e64 v7, v18, v11, s[0:1]
	v_lshlrev_b32_e32 v8, 16, v15
	v_lshl_add_u32 v0, v0, 23, v38
	v_and_or_b32 v0, v8, s26, v0
	v_lshlrev_b32_e32 v7, 20, v7
	v_or_b32_e32 v19, v0, v7
	v_mov_b32_e32 v18, v5
.LBB179_337:                            ;   in Loop: Header=BB179_223 Depth=1
	s_or_b64 exec, exec, s[14:15]
.LBB179_338:                            ;   in Loop: Header=BB179_223 Depth=1
	s_or_b64 exec, exec, s[12:13]
.LBB179_339:                            ;   in Loop: Header=BB179_223 Depth=1
	s_or_b64 exec, exec, s[6:7]
	v_lshrrev_b32_e32 v11, 16, v15
	v_mov_b32_e32 v22, 0
	v_mov_b32_e32 v20, 0
	;; [unrolled: 1-line block ×4, first 2 shown]
	v_cmp_ne_u16_sdwa s[0:1], v11, v5 src0_sel:BYTE_0 src1_sel:DWORD
	s_and_saveexec_b64 s[6:7], s[0:1]
	s_cbranch_execz .LBB179_345
; %bb.340:                              ;   in Loop: Header=BB179_223 Depth=1
	v_bfrev_b32_e32 v20, 1
	v_mov_b32_e32 v21, 0
	v_cmp_ne_u16_sdwa s[0:1], v11, s24 src0_sel:BYTE_0 src1_sel:DWORD
	s_and_saveexec_b64 s[12:13], s[0:1]
	s_cbranch_execz .LBB179_344
; %bb.341:                              ;   in Loop: Header=BB179_223 Depth=1
	v_bfe_u32 v0, v15, 16, 7
	v_mov_b32_e32 v20, 0x7f800001
	v_mov_b32_e32 v21, 0
	v_cmp_ne_u32_e64 s[0:1], s25, v0
	s_and_saveexec_b64 s[14:15], s[0:1]
	s_cbranch_execz .LBB179_343
; %bb.342:                              ;   in Loop: Header=BB179_223 Depth=1
	v_and_b32_e32 v7, 7, v11
	v_lshrrev_b32_e32 v8, 3, v0
	v_cmp_gt_u32_e64 s[0:1], 8, v0
	v_ffbh_u32_e32 v0, v7
	v_min_u32_e32 v0, 32, v0
	v_subrev_u32_e32 v20, 28, v0
	v_lshlrev_b64 v[20:21], v20, v[11:12]
	v_sub_u32_e32 v0, 29, v0
	v_and_b32_e32 v20, 7, v20
	v_cndmask_b32_e64 v0, v8, v0, s[0:1]
	v_cndmask_b32_e64 v7, v7, v20, s[0:1]
	v_lshlrev_b32_e32 v7, 20, v7
	v_and_b32_sdwa v8, sext(v11), s26 dst_sel:DWORD dst_unused:UNUSED_PAD src0_sel:BYTE_0 src1_sel:DWORD
	v_lshl_add_u32 v0, v0, 23, v38
	v_or3_b32 v20, v8, v0, v7
	v_mov_b32_e32 v21, v5
.LBB179_343:                            ;   in Loop: Header=BB179_223 Depth=1
	s_or_b64 exec, exec, s[14:15]
.LBB179_344:                            ;   in Loop: Header=BB179_223 Depth=1
	s_or_b64 exec, exec, s[12:13]
.LBB179_345:                            ;   in Loop: Header=BB179_223 Depth=1
	s_or_b64 exec, exec, s[6:7]
	v_cmp_lt_u32_e64 s[0:1], s27, v15
	s_and_saveexec_b64 s[6:7], s[0:1]
	s_cbranch_execz .LBB179_351
; %bb.346:                              ;   in Loop: Header=BB179_223 Depth=1
	v_mov_b32_e32 v23, v6
	v_cmp_ne_u32_sdwa s[0:1], v15, s24 src0_sel:BYTE_3 src1_sel:DWORD
	v_mov_b32_e32 v22, v5
	s_and_saveexec_b64 s[12:13], s[0:1]
	s_cbranch_execz .LBB179_350
; %bb.347:                              ;   in Loop: Header=BB179_223 Depth=1
	v_bfe_u32 v0, v15, 24, 7
	v_mov_b32_e32 v11, v5
	v_mov_b32_e32 v23, v12
	v_cmp_ne_u32_e64 s[0:1], s25, v0
	v_mov_b32_e32 v22, v11
	s_and_saveexec_b64 s[14:15], s[0:1]
	s_cbranch_execz .LBB179_349
; %bb.348:                              ;   in Loop: Header=BB179_223 Depth=1
	v_and_b32_sdwa v22, v15, v37 dst_sel:DWORD dst_unused:UNUSED_PAD src0_sel:BYTE_3 src1_sel:DWORD
	v_lshrrev_b32_e32 v7, 3, v0
	v_cmp_gt_u32_e64 s[0:1], 8, v0
	v_ffbh_u32_e32 v0, v22
	v_min_u32_e32 v0, 32, v0
	v_mov_b32_e32 v23, v5
	v_subrev_u32_e32 v8, 28, v0
	v_lshlrev_b64 v[23:24], v8, v[22:23]
	v_sub_u32_e32 v0, 29, v0
	v_and_b32_e32 v8, 7, v23
	v_cndmask_b32_e64 v0, v7, v0, s[0:1]
	v_cndmask_b32_e64 v7, v22, v8, s[0:1]
	v_mov_b32_e32 v8, 24
	v_lshlrev_b32_sdwa v8, v8, v15 dst_sel:DWORD dst_unused:UNUSED_PAD src0_sel:DWORD src1_sel:BYTE_3
	v_lshl_add_u32 v0, v0, 23, v38
	v_and_or_b32 v0, v8, s26, v0
	v_lshlrev_b32_e32 v7, 20, v7
	v_or_b32_e32 v23, v0, v7
	v_mov_b32_e32 v22, v5
.LBB179_349:                            ;   in Loop: Header=BB179_223 Depth=1
	s_or_b64 exec, exec, s[14:15]
.LBB179_350:                            ;   in Loop: Header=BB179_223 Depth=1
	s_or_b64 exec, exec, s[12:13]
.LBB179_351:                            ;   in Loop: Header=BB179_223 Depth=1
	s_or_b64 exec, exec, s[6:7]
	v_or_b32_e32 v7, v18, v16
	v_or_b32_e32 v0, v19, v17
	v_mul_f32_e32 v62, s17, v7
	v_or_b32_e32 v7, v23, v21
	v_or_b32_e32 v8, v22, v20
	v_mul_f32_e32 v0, s18, v0
	v_mul_f32_e32 v61, s17, v8
	;; [unrolled: 1-line block ×3, first 2 shown]
	s_and_saveexec_b64 s[6:7], vcc
; %bb.352:                              ;   in Loop: Header=BB179_223 Depth=1
	v_cmp_gt_i32_e64 s[0:1], s30, v45
	v_cndmask_b32_e64 v62, 0, v62, s[0:1]
	v_cmp_gt_i32_e64 s[0:1], s30, v47
	v_cndmask_b32_e64 v0, 0, v0, s[0:1]
	;; [unrolled: 2-line block ×4, first 2 shown]
; %bb.353:                              ;   in Loop: Header=BB179_223 Depth=1
	s_or_b64 exec, exec, s[6:7]
	global_load_dword v15, v[13:14], off offset:1280
	v_mov_b32_e32 v18, 0
	v_mov_b32_e32 v16, 0
	;; [unrolled: 1-line block ×4, first 2 shown]
	s_waitcnt vmcnt(0)
	v_cmp_ne_u16_sdwa s[0:1], v15, v5 src0_sel:BYTE_0 src1_sel:DWORD
	s_and_saveexec_b64 s[6:7], s[0:1]
	s_cbranch_execz .LBB179_359
; %bb.354:                              ;   in Loop: Header=BB179_223 Depth=1
	v_bfrev_b32_e32 v16, 1
	v_mov_b32_e32 v17, 0
	v_cmp_ne_u16_sdwa s[0:1], v15, s24 src0_sel:BYTE_0 src1_sel:DWORD
	s_and_saveexec_b64 s[12:13], s[0:1]
	s_cbranch_execz .LBB179_358
; %bb.355:                              ;   in Loop: Header=BB179_223 Depth=1
	v_and_b32_e32 v11, 0x7f, v15
	v_mov_b32_e32 v16, 0x7f800001
	v_mov_b32_e32 v17, 0
	v_cmp_ne_u32_e64 s[0:1], s25, v11
	s_and_saveexec_b64 s[14:15], s[0:1]
	s_cbranch_execz .LBB179_357
; %bb.356:                              ;   in Loop: Header=BB179_223 Depth=1
	v_and_b32_e32 v7, 7, v15
	v_ffbh_u32_e32 v16, v7
	v_min_u32_e32 v20, 32, v16
	v_subrev_u32_e32 v16, 28, v20
	v_lshlrev_b64 v[16:17], v16, v[15:16]
	v_lshrrev_b32_e32 v8, 3, v11
	v_sub_u32_e32 v17, 29, v20
	v_and_b32_e32 v16, 7, v16
	v_cmp_gt_u32_e64 s[0:1], 8, v11
	v_cndmask_b32_e64 v8, v8, v17, s[0:1]
	v_cndmask_b32_e64 v7, v7, v16, s[0:1]
	v_lshlrev_b32_e32 v7, 20, v7
	v_and_b32_sdwa v11, sext(v15), s26 dst_sel:DWORD dst_unused:UNUSED_PAD src0_sel:BYTE_0 src1_sel:DWORD
	v_lshl_add_u32 v8, v8, 23, v38
	v_or3_b32 v16, v11, v8, v7
	v_mov_b32_e32 v17, v5
.LBB179_357:                            ;   in Loop: Header=BB179_223 Depth=1
	s_or_b64 exec, exec, s[14:15]
.LBB179_358:                            ;   in Loop: Header=BB179_223 Depth=1
	s_or_b64 exec, exec, s[12:13]
.LBB179_359:                            ;   in Loop: Header=BB179_223 Depth=1
	s_or_b64 exec, exec, s[6:7]
	v_cmp_ne_u16_sdwa s[0:1], v15, v5 src0_sel:BYTE_1 src1_sel:DWORD
	s_and_saveexec_b64 s[6:7], s[0:1]
	s_cbranch_execz .LBB179_365
; %bb.360:                              ;   in Loop: Header=BB179_223 Depth=1
	v_mov_b32_e32 v19, v6
	v_cmp_ne_u16_sdwa s[0:1], v15, s24 src0_sel:BYTE_1 src1_sel:DWORD
	v_mov_b32_e32 v18, v5
	s_and_saveexec_b64 s[12:13], s[0:1]
	s_cbranch_execz .LBB179_364
; %bb.361:                              ;   in Loop: Header=BB179_223 Depth=1
	v_and_b32_sdwa v20, v15, s25 dst_sel:DWORD dst_unused:UNUSED_PAD src0_sel:BYTE_1 src1_sel:DWORD
	v_mov_b32_e32 v11, v5
	v_mov_b32_e32 v19, v12
	v_cmp_ne_u32_e64 s[0:1], s25, v20
	v_mov_b32_e32 v18, v11
	s_and_saveexec_b64 s[14:15], s[0:1]
	s_cbranch_execz .LBB179_363
; %bb.362:                              ;   in Loop: Header=BB179_223 Depth=1
	v_and_b32_sdwa v18, v15, v37 dst_sel:DWORD dst_unused:UNUSED_PAD src0_sel:BYTE_1 src1_sel:DWORD
	v_ffbh_u32_e32 v8, v18
	v_min_u32_e32 v8, 32, v8
	v_mov_b32_e32 v19, v5
	v_subrev_u32_e32 v11, 28, v8
	v_lshrrev_b32_e32 v7, 3, v20
	v_cmp_gt_u32_e64 s[0:1], 8, v20
	v_lshlrev_b64 v[19:20], v11, v[18:19]
	v_sub_u32_e32 v8, 29, v8
	v_and_b32_e32 v11, 7, v19
	v_cndmask_b32_e64 v7, v7, v8, s[0:1]
	v_cndmask_b32_e64 v8, v18, v11, s[0:1]
	v_lshlrev_b32_e32 v11, 16, v15
	v_lshl_add_u32 v7, v7, 23, v38
	v_and_or_b32 v7, v11, s26, v7
	v_lshlrev_b32_e32 v8, 20, v8
	v_or_b32_e32 v19, v7, v8
	v_mov_b32_e32 v18, v5
.LBB179_363:                            ;   in Loop: Header=BB179_223 Depth=1
	s_or_b64 exec, exec, s[14:15]
.LBB179_364:                            ;   in Loop: Header=BB179_223 Depth=1
	s_or_b64 exec, exec, s[12:13]
.LBB179_365:                            ;   in Loop: Header=BB179_223 Depth=1
	s_or_b64 exec, exec, s[6:7]
	v_lshrrev_b32_e32 v11, 16, v15
	v_mov_b32_e32 v22, 0
	v_mov_b32_e32 v20, 0
	;; [unrolled: 1-line block ×4, first 2 shown]
	v_cmp_ne_u16_sdwa s[0:1], v11, v5 src0_sel:BYTE_0 src1_sel:DWORD
	s_and_saveexec_b64 s[6:7], s[0:1]
	s_cbranch_execz .LBB179_371
; %bb.366:                              ;   in Loop: Header=BB179_223 Depth=1
	v_bfrev_b32_e32 v20, 1
	v_mov_b32_e32 v21, 0
	v_cmp_ne_u16_sdwa s[0:1], v11, s24 src0_sel:BYTE_0 src1_sel:DWORD
	s_and_saveexec_b64 s[12:13], s[0:1]
	s_cbranch_execz .LBB179_370
; %bb.367:                              ;   in Loop: Header=BB179_223 Depth=1
	v_bfe_u32 v24, v15, 16, 7
	v_mov_b32_e32 v20, 0x7f800001
	v_mov_b32_e32 v21, 0
	v_cmp_ne_u32_e64 s[0:1], s25, v24
	s_and_saveexec_b64 s[14:15], s[0:1]
	s_cbranch_execz .LBB179_369
; %bb.368:                              ;   in Loop: Header=BB179_223 Depth=1
	v_and_b32_e32 v7, 7, v11
	v_ffbh_u32_e32 v20, v7
	v_lshrrev_b32_e32 v8, 3, v24
	v_cmp_gt_u32_e64 s[0:1], 8, v24
	v_min_u32_e32 v24, 32, v20
	v_subrev_u32_e32 v20, 28, v24
	v_lshlrev_b64 v[20:21], v20, v[11:12]
	v_sub_u32_e32 v21, 29, v24
	v_and_b32_e32 v20, 7, v20
	v_cndmask_b32_e64 v8, v8, v21, s[0:1]
	v_cndmask_b32_e64 v7, v7, v20, s[0:1]
	v_lshlrev_b32_e32 v7, 20, v7
	v_and_b32_sdwa v11, sext(v11), s26 dst_sel:DWORD dst_unused:UNUSED_PAD src0_sel:BYTE_0 src1_sel:DWORD
	v_lshl_add_u32 v8, v8, 23, v38
	v_or3_b32 v20, v11, v8, v7
	v_mov_b32_e32 v21, v5
.LBB179_369:                            ;   in Loop: Header=BB179_223 Depth=1
	s_or_b64 exec, exec, s[14:15]
.LBB179_370:                            ;   in Loop: Header=BB179_223 Depth=1
	s_or_b64 exec, exec, s[12:13]
.LBB179_371:                            ;   in Loop: Header=BB179_223 Depth=1
	s_or_b64 exec, exec, s[6:7]
	v_cmp_lt_u32_e64 s[0:1], s27, v15
	s_and_saveexec_b64 s[6:7], s[0:1]
	s_cbranch_execz .LBB179_377
; %bb.372:                              ;   in Loop: Header=BB179_223 Depth=1
	v_mov_b32_e32 v23, v6
	v_cmp_ne_u32_sdwa s[0:1], v15, s24 src0_sel:BYTE_3 src1_sel:DWORD
	v_mov_b32_e32 v22, v5
	s_and_saveexec_b64 s[12:13], s[0:1]
	s_cbranch_execz .LBB179_376
; %bb.373:                              ;   in Loop: Header=BB179_223 Depth=1
	v_bfe_u32 v24, v15, 24, 7
	v_mov_b32_e32 v11, v5
	v_mov_b32_e32 v23, v12
	v_cmp_ne_u32_e64 s[0:1], s25, v24
	v_mov_b32_e32 v22, v11
	s_and_saveexec_b64 s[14:15], s[0:1]
	s_cbranch_execz .LBB179_375
; %bb.374:                              ;   in Loop: Header=BB179_223 Depth=1
	v_and_b32_sdwa v22, v15, v37 dst_sel:DWORD dst_unused:UNUSED_PAD src0_sel:BYTE_3 src1_sel:DWORD
	v_ffbh_u32_e32 v8, v22
	v_min_u32_e32 v8, 32, v8
	v_mov_b32_e32 v23, v5
	v_subrev_u32_e32 v11, 28, v8
	v_lshrrev_b32_e32 v7, 3, v24
	v_cmp_gt_u32_e64 s[0:1], 8, v24
	v_lshlrev_b64 v[23:24], v11, v[22:23]
	v_sub_u32_e32 v8, 29, v8
	v_and_b32_e32 v11, 7, v23
	v_cndmask_b32_e64 v7, v7, v8, s[0:1]
	v_cndmask_b32_e64 v8, v22, v11, s[0:1]
	v_mov_b32_e32 v11, 24
	v_lshlrev_b32_sdwa v11, v11, v15 dst_sel:DWORD dst_unused:UNUSED_PAD src0_sel:DWORD src1_sel:BYTE_3
	v_lshl_add_u32 v7, v7, 23, v38
	v_and_or_b32 v7, v11, s26, v7
	v_lshlrev_b32_e32 v8, 20, v8
	v_or_b32_e32 v23, v7, v8
	v_mov_b32_e32 v22, v5
.LBB179_375:                            ;   in Loop: Header=BB179_223 Depth=1
	s_or_b64 exec, exec, s[14:15]
.LBB179_376:                            ;   in Loop: Header=BB179_223 Depth=1
	s_or_b64 exec, exec, s[12:13]
.LBB179_377:                            ;   in Loop: Header=BB179_223 Depth=1
	s_or_b64 exec, exec, s[6:7]
	v_or_b32_e32 v7, v19, v17
	v_or_b32_e32 v8, v18, v16
	v_mul_f32_e32 v63, s18, v7
	v_mul_f32_e32 v39, s17, v8
	v_or_b32_e32 v7, v23, v21
	v_or_b32_e32 v8, v22, v20
	v_mul_f32_e32 v24, s17, v8
	v_mul_f32_e32 v26, s18, v7
	s_and_saveexec_b64 s[6:7], vcc
; %bb.378:                              ;   in Loop: Header=BB179_223 Depth=1
	v_cmp_gt_i32_e64 s[0:1], s30, v45
	v_cndmask_b32_e64 v39, 0, v39, s[0:1]
	v_cmp_gt_i32_e64 s[0:1], s30, v47
	v_cndmask_b32_e64 v63, 0, v63, s[0:1]
	;; [unrolled: 2-line block ×4, first 2 shown]
; %bb.379:                              ;   in Loop: Header=BB179_223 Depth=1
	s_or_b64 exec, exec, s[6:7]
	global_load_dword v15, v[13:14], off offset:1536
	v_mov_b32_e32 v18, 0
	v_mov_b32_e32 v16, 0
	;; [unrolled: 1-line block ×4, first 2 shown]
	s_waitcnt vmcnt(0)
	v_cmp_ne_u16_sdwa s[0:1], v15, v5 src0_sel:BYTE_0 src1_sel:DWORD
	s_and_saveexec_b64 s[6:7], s[0:1]
	s_cbranch_execz .LBB179_385
; %bb.380:                              ;   in Loop: Header=BB179_223 Depth=1
	v_bfrev_b32_e32 v16, 1
	v_mov_b32_e32 v17, 0
	v_cmp_ne_u16_sdwa s[0:1], v15, s24 src0_sel:BYTE_0 src1_sel:DWORD
	s_and_saveexec_b64 s[12:13], s[0:1]
	s_cbranch_execz .LBB179_384
; %bb.381:                              ;   in Loop: Header=BB179_223 Depth=1
	v_and_b32_e32 v11, 0x7f, v15
	v_mov_b32_e32 v16, 0x7f800001
	v_mov_b32_e32 v17, 0
	v_cmp_ne_u32_e64 s[0:1], s25, v11
	s_and_saveexec_b64 s[14:15], s[0:1]
	s_cbranch_execz .LBB179_383
; %bb.382:                              ;   in Loop: Header=BB179_223 Depth=1
	v_and_b32_e32 v7, 7, v15
	v_lshrrev_b32_e32 v8, 3, v11
	v_cmp_gt_u32_e64 s[0:1], 8, v11
	v_ffbh_u32_e32 v11, v7
	v_min_u32_e32 v11, 32, v11
	v_subrev_u32_e32 v16, 28, v11
	v_lshlrev_b64 v[16:17], v16, v[15:16]
	v_sub_u32_e32 v11, 29, v11
	v_and_b32_e32 v16, 7, v16
	v_cndmask_b32_e64 v8, v8, v11, s[0:1]
	v_cndmask_b32_e64 v7, v7, v16, s[0:1]
	v_lshlrev_b32_e32 v7, 20, v7
	v_and_b32_sdwa v11, sext(v15), s26 dst_sel:DWORD dst_unused:UNUSED_PAD src0_sel:BYTE_0 src1_sel:DWORD
	v_lshl_add_u32 v8, v8, 23, v38
	v_or3_b32 v16, v11, v8, v7
	v_mov_b32_e32 v17, v5
.LBB179_383:                            ;   in Loop: Header=BB179_223 Depth=1
	s_or_b64 exec, exec, s[14:15]
.LBB179_384:                            ;   in Loop: Header=BB179_223 Depth=1
	s_or_b64 exec, exec, s[12:13]
.LBB179_385:                            ;   in Loop: Header=BB179_223 Depth=1
	s_or_b64 exec, exec, s[6:7]
	v_cmp_ne_u16_sdwa s[0:1], v15, v5 src0_sel:BYTE_1 src1_sel:DWORD
	s_and_saveexec_b64 s[6:7], s[0:1]
	s_cbranch_execz .LBB179_391
; %bb.386:                              ;   in Loop: Header=BB179_223 Depth=1
	v_mov_b32_e32 v19, v6
	v_cmp_ne_u16_sdwa s[0:1], v15, s24 src0_sel:BYTE_1 src1_sel:DWORD
	v_mov_b32_e32 v18, v5
	s_and_saveexec_b64 s[12:13], s[0:1]
	s_cbranch_execz .LBB179_390
; %bb.387:                              ;   in Loop: Header=BB179_223 Depth=1
	v_and_b32_sdwa v20, v15, s25 dst_sel:DWORD dst_unused:UNUSED_PAD src0_sel:BYTE_1 src1_sel:DWORD
	v_mov_b32_e32 v11, v5
	v_mov_b32_e32 v19, v12
	v_cmp_ne_u32_e64 s[0:1], s25, v20
	v_mov_b32_e32 v18, v11
	s_and_saveexec_b64 s[14:15], s[0:1]
	s_cbranch_execz .LBB179_389
; %bb.388:                              ;   in Loop: Header=BB179_223 Depth=1
	v_and_b32_sdwa v18, v15, v37 dst_sel:DWORD dst_unused:UNUSED_PAD src0_sel:BYTE_1 src1_sel:DWORD
	v_ffbh_u32_e32 v8, v18
	v_min_u32_e32 v8, 32, v8
	v_mov_b32_e32 v19, v5
	v_subrev_u32_e32 v11, 28, v8
	v_lshrrev_b32_e32 v7, 3, v20
	v_cmp_gt_u32_e64 s[0:1], 8, v20
	v_lshlrev_b64 v[19:20], v11, v[18:19]
	v_sub_u32_e32 v8, 29, v8
	v_and_b32_e32 v11, 7, v19
	v_cndmask_b32_e64 v7, v7, v8, s[0:1]
	v_cndmask_b32_e64 v8, v18, v11, s[0:1]
	v_lshlrev_b32_e32 v11, 16, v15
	v_lshl_add_u32 v7, v7, 23, v38
	v_and_or_b32 v7, v11, s26, v7
	v_lshlrev_b32_e32 v8, 20, v8
	v_or_b32_e32 v19, v7, v8
	v_mov_b32_e32 v18, v5
.LBB179_389:                            ;   in Loop: Header=BB179_223 Depth=1
	s_or_b64 exec, exec, s[14:15]
.LBB179_390:                            ;   in Loop: Header=BB179_223 Depth=1
	s_or_b64 exec, exec, s[12:13]
.LBB179_391:                            ;   in Loop: Header=BB179_223 Depth=1
	s_or_b64 exec, exec, s[6:7]
	v_lshrrev_b32_e32 v11, 16, v15
	v_mov_b32_e32 v22, 0
	v_mov_b32_e32 v20, 0
	;; [unrolled: 1-line block ×4, first 2 shown]
	v_cmp_ne_u16_sdwa s[0:1], v11, v5 src0_sel:BYTE_0 src1_sel:DWORD
	s_and_saveexec_b64 s[6:7], s[0:1]
	s_cbranch_execz .LBB179_397
; %bb.392:                              ;   in Loop: Header=BB179_223 Depth=1
	v_bfrev_b32_e32 v20, 1
	v_mov_b32_e32 v21, 0
	v_cmp_ne_u16_sdwa s[0:1], v11, s24 src0_sel:BYTE_0 src1_sel:DWORD
	s_and_saveexec_b64 s[12:13], s[0:1]
	s_cbranch_execz .LBB179_396
; %bb.393:                              ;   in Loop: Header=BB179_223 Depth=1
	v_bfe_u32 v25, v15, 16, 7
	v_mov_b32_e32 v20, 0x7f800001
	v_mov_b32_e32 v21, 0
	v_cmp_ne_u32_e64 s[0:1], s25, v25
	s_and_saveexec_b64 s[14:15], s[0:1]
	s_cbranch_execz .LBB179_395
; %bb.394:                              ;   in Loop: Header=BB179_223 Depth=1
	v_and_b32_e32 v7, 7, v11
	v_ffbh_u32_e32 v20, v7
	v_lshrrev_b32_e32 v8, 3, v25
	v_cmp_gt_u32_e64 s[0:1], 8, v25
	v_min_u32_e32 v25, 32, v20
	v_subrev_u32_e32 v20, 28, v25
	v_lshlrev_b64 v[20:21], v20, v[11:12]
	v_sub_u32_e32 v21, 29, v25
	v_and_b32_e32 v20, 7, v20
	v_cndmask_b32_e64 v8, v8, v21, s[0:1]
	v_cndmask_b32_e64 v7, v7, v20, s[0:1]
	v_lshlrev_b32_e32 v7, 20, v7
	v_and_b32_sdwa v11, sext(v11), s26 dst_sel:DWORD dst_unused:UNUSED_PAD src0_sel:BYTE_0 src1_sel:DWORD
	v_lshl_add_u32 v8, v8, 23, v38
	v_or3_b32 v20, v11, v8, v7
	v_mov_b32_e32 v21, v5
.LBB179_395:                            ;   in Loop: Header=BB179_223 Depth=1
	s_or_b64 exec, exec, s[14:15]
.LBB179_396:                            ;   in Loop: Header=BB179_223 Depth=1
	s_or_b64 exec, exec, s[12:13]
.LBB179_397:                            ;   in Loop: Header=BB179_223 Depth=1
	s_or_b64 exec, exec, s[6:7]
	v_cmp_lt_u32_e64 s[0:1], s27, v15
	s_and_saveexec_b64 s[6:7], s[0:1]
	s_cbranch_execz .LBB179_403
; %bb.398:                              ;   in Loop: Header=BB179_223 Depth=1
	v_mov_b32_e32 v23, v6
	v_cmp_ne_u32_sdwa s[0:1], v15, s24 src0_sel:BYTE_3 src1_sel:DWORD
	v_mov_b32_e32 v22, v5
	s_and_saveexec_b64 s[12:13], s[0:1]
	s_cbranch_execz .LBB179_402
; %bb.399:                              ;   in Loop: Header=BB179_223 Depth=1
	v_bfe_u32 v25, v15, 24, 7
	v_mov_b32_e32 v11, v5
	v_mov_b32_e32 v23, v12
	v_cmp_ne_u32_e64 s[0:1], s25, v25
	v_mov_b32_e32 v22, v11
	s_and_saveexec_b64 s[14:15], s[0:1]
	s_cbranch_execz .LBB179_401
; %bb.400:                              ;   in Loop: Header=BB179_223 Depth=1
	v_and_b32_sdwa v22, v15, v37 dst_sel:DWORD dst_unused:UNUSED_PAD src0_sel:BYTE_3 src1_sel:DWORD
	v_ffbh_u32_e32 v7, v22
	v_lshrrev_b32_e32 v11, 3, v25
	v_cmp_gt_u32_e64 s[0:1], 8, v25
	v_min_u32_e32 v25, 32, v7
	v_mov_b32_e32 v23, v5
	v_subrev_u32_e32 v7, 28, v25
	v_lshlrev_b64 v[7:8], v7, v[22:23]
	v_sub_u32_e32 v8, 29, v25
	v_and_b32_e32 v7, 7, v7
	v_cndmask_b32_e64 v8, v11, v8, s[0:1]
	v_mov_b32_e32 v11, 24
	v_cndmask_b32_e64 v7, v22, v7, s[0:1]
	v_lshlrev_b32_sdwa v11, v11, v15 dst_sel:DWORD dst_unused:UNUSED_PAD src0_sel:DWORD src1_sel:BYTE_3
	v_lshl_add_u32 v8, v8, 23, v38
	v_and_or_b32 v8, v11, s26, v8
	v_lshlrev_b32_e32 v7, 20, v7
	v_or_b32_e32 v23, v8, v7
	v_mov_b32_e32 v22, v5
.LBB179_401:                            ;   in Loop: Header=BB179_223 Depth=1
	s_or_b64 exec, exec, s[14:15]
.LBB179_402:                            ;   in Loop: Header=BB179_223 Depth=1
	s_or_b64 exec, exec, s[12:13]
.LBB179_403:                            ;   in Loop: Header=BB179_223 Depth=1
	s_or_b64 exec, exec, s[6:7]
	v_or_b32_e32 v7, v19, v17
	v_or_b32_e32 v8, v18, v16
	v_mul_f32_e32 v40, s18, v7
	v_mul_f32_e32 v25, s17, v8
	v_or_b32_e32 v7, v23, v21
	v_or_b32_e32 v8, v22, v20
	v_mul_f32_e32 v23, s17, v8
	v_mul_f32_e32 v22, s18, v7
	s_and_saveexec_b64 s[6:7], vcc
; %bb.404:                              ;   in Loop: Header=BB179_223 Depth=1
	v_cmp_gt_i32_e64 s[0:1], s30, v45
	v_cndmask_b32_e64 v25, 0, v25, s[0:1]
	v_cmp_gt_i32_e64 s[0:1], s30, v47
	v_cndmask_b32_e64 v40, 0, v40, s[0:1]
	;; [unrolled: 2-line block ×4, first 2 shown]
; %bb.405:                              ;   in Loop: Header=BB179_223 Depth=1
	s_or_b64 exec, exec, s[6:7]
	global_load_dword v13, v[13:14], off offset:1792
	v_mov_b32_e32 v16, 0
	v_mov_b32_e32 v14, 0
	;; [unrolled: 1-line block ×4, first 2 shown]
	s_waitcnt vmcnt(0)
	v_cmp_ne_u16_sdwa s[0:1], v13, v5 src0_sel:BYTE_0 src1_sel:DWORD
	s_and_saveexec_b64 s[6:7], s[0:1]
	s_cbranch_execz .LBB179_411
; %bb.406:                              ;   in Loop: Header=BB179_223 Depth=1
	v_bfrev_b32_e32 v14, 1
	v_mov_b32_e32 v15, 0
	v_cmp_ne_u16_sdwa s[0:1], v13, s24 src0_sel:BYTE_0 src1_sel:DWORD
	s_and_saveexec_b64 s[12:13], s[0:1]
	s_cbranch_execz .LBB179_410
; %bb.407:                              ;   in Loop: Header=BB179_223 Depth=1
	v_and_b32_e32 v11, 0x7f, v13
	v_mov_b32_e32 v14, 0x7f800001
	v_mov_b32_e32 v15, 0
	v_cmp_ne_u32_e64 s[0:1], s25, v11
	s_and_saveexec_b64 s[14:15], s[0:1]
	s_cbranch_execz .LBB179_409
; %bb.408:                              ;   in Loop: Header=BB179_223 Depth=1
	v_and_b32_e32 v14, 7, v13
	v_ffbh_u32_e32 v7, v14
	v_lshrrev_b32_e32 v15, 3, v11
	v_cmp_gt_u32_e64 s[0:1], 8, v11
	v_min_u32_e32 v11, 32, v7
	v_subrev_u32_e32 v7, 28, v11
	v_lshlrev_b64 v[7:8], v7, v[13:14]
	v_sub_u32_e32 v8, 29, v11
	v_and_b32_e32 v7, 7, v7
	v_cndmask_b32_e64 v8, v15, v8, s[0:1]
	v_cndmask_b32_e64 v7, v14, v7, s[0:1]
	v_lshlrev_b32_e32 v7, 20, v7
	v_and_b32_sdwa v11, sext(v13), s26 dst_sel:DWORD dst_unused:UNUSED_PAD src0_sel:BYTE_0 src1_sel:DWORD
	v_lshl_add_u32 v8, v8, 23, v38
	v_or3_b32 v14, v11, v8, v7
	v_mov_b32_e32 v15, v5
.LBB179_409:                            ;   in Loop: Header=BB179_223 Depth=1
	s_or_b64 exec, exec, s[14:15]
.LBB179_410:                            ;   in Loop: Header=BB179_223 Depth=1
	s_or_b64 exec, exec, s[12:13]
.LBB179_411:                            ;   in Loop: Header=BB179_223 Depth=1
	s_or_b64 exec, exec, s[6:7]
	v_cmp_ne_u16_sdwa s[0:1], v13, v5 src0_sel:BYTE_1 src1_sel:DWORD
	s_and_saveexec_b64 s[6:7], s[0:1]
	s_cbranch_execz .LBB179_417
; %bb.412:                              ;   in Loop: Header=BB179_223 Depth=1
	v_mov_b32_e32 v17, v6
	v_cmp_ne_u16_sdwa s[0:1], v13, s24 src0_sel:BYTE_1 src1_sel:DWORD
	v_mov_b32_e32 v16, v5
	s_and_saveexec_b64 s[12:13], s[0:1]
	s_cbranch_execz .LBB179_416
; %bb.413:                              ;   in Loop: Header=BB179_223 Depth=1
	v_and_b32_sdwa v18, v13, s25 dst_sel:DWORD dst_unused:UNUSED_PAD src0_sel:BYTE_1 src1_sel:DWORD
	v_mov_b32_e32 v11, v5
	v_mov_b32_e32 v17, v12
	v_cmp_ne_u32_e64 s[0:1], s25, v18
	v_mov_b32_e32 v16, v11
	s_and_saveexec_b64 s[14:15], s[0:1]
	s_cbranch_execz .LBB179_415
; %bb.414:                              ;   in Loop: Header=BB179_223 Depth=1
	v_and_b32_sdwa v7, v13, v37 dst_sel:DWORD dst_unused:UNUSED_PAD src0_sel:BYTE_1 src1_sel:DWORD
	v_ffbh_u32_e32 v16, v7
	v_lshrrev_b32_e32 v11, 3, v18
	v_cmp_gt_u32_e64 s[0:1], 8, v18
	v_min_u32_e32 v18, 32, v16
	v_mov_b32_e32 v8, v5
	v_subrev_u32_e32 v16, 28, v18
	v_lshlrev_b64 v[16:17], v16, v[7:8]
	v_sub_u32_e32 v8, 29, v18
	v_and_b32_e32 v16, 7, v16
	v_cndmask_b32_e64 v8, v11, v8, s[0:1]
	v_cndmask_b32_e64 v7, v7, v16, s[0:1]
	v_lshlrev_b32_e32 v11, 16, v13
	v_lshl_add_u32 v8, v8, 23, v38
	v_and_or_b32 v8, v11, s26, v8
	v_lshlrev_b32_e32 v7, 20, v7
	v_or_b32_e32 v17, v8, v7
	v_mov_b32_e32 v16, v5
.LBB179_415:                            ;   in Loop: Header=BB179_223 Depth=1
	s_or_b64 exec, exec, s[14:15]
.LBB179_416:                            ;   in Loop: Header=BB179_223 Depth=1
	s_or_b64 exec, exec, s[12:13]
.LBB179_417:                            ;   in Loop: Header=BB179_223 Depth=1
	s_or_b64 exec, exec, s[6:7]
	v_lshrrev_b32_e32 v11, 16, v13
	v_mov_b32_e32 v20, 0
	v_mov_b32_e32 v18, 0
	v_mov_b32_e32 v21, 0
	v_mov_b32_e32 v19, 0
	v_cmp_ne_u16_sdwa s[0:1], v11, v5 src0_sel:BYTE_0 src1_sel:DWORD
	s_and_saveexec_b64 s[6:7], s[0:1]
	s_cbranch_execz .LBB179_423
; %bb.418:                              ;   in Loop: Header=BB179_223 Depth=1
	v_bfrev_b32_e32 v18, 1
	v_mov_b32_e32 v19, 0
	v_cmp_ne_u16_sdwa s[0:1], v11, s24 src0_sel:BYTE_0 src1_sel:DWORD
	s_and_saveexec_b64 s[12:13], s[0:1]
	s_cbranch_execz .LBB179_422
; %bb.419:                              ;   in Loop: Header=BB179_223 Depth=1
	v_bfe_u32 v38, v13, 16, 7
	v_mov_b32_e32 v18, 0x7f800001
	v_bfrev_b32_e32 v37, 60
	v_mov_b32_e32 v19, 0
	v_cmp_ne_u32_e64 s[0:1], s25, v38
	s_and_saveexec_b64 s[14:15], s[0:1]
	s_cbranch_execz .LBB179_421
; %bb.420:                              ;   in Loop: Header=BB179_223 Depth=1
	v_and_b32_e32 v18, 7, v11
	v_ffbh_u32_e32 v7, v18
	v_lshrrev_b32_e32 v19, 3, v38
	v_cmp_gt_u32_e64 s[0:1], 8, v38
	v_min_u32_e32 v38, 32, v7
	v_subrev_u32_e32 v7, 28, v38
	v_lshlrev_b64 v[7:8], v7, v[11:12]
	v_sub_u32_e32 v8, 29, v38
	v_and_b32_e32 v7, 7, v7
	v_cndmask_b32_e64 v8, v19, v8, s[0:1]
	v_cndmask_b32_e64 v7, v18, v7, s[0:1]
	v_lshlrev_b32_e32 v7, 20, v7
	v_and_b32_sdwa v11, sext(v11), s26 dst_sel:DWORD dst_unused:UNUSED_PAD src0_sel:BYTE_0 src1_sel:DWORD
	v_lshl_add_u32 v8, v8, 23, v37
	v_or3_b32 v18, v11, v8, v7
	v_mov_b32_e32 v19, v5
.LBB179_421:                            ;   in Loop: Header=BB179_223 Depth=1
	s_or_b64 exec, exec, s[14:15]
	v_bfrev_b32_e32 v38, 60
	v_mov_b32_e32 v37, 7
.LBB179_422:                            ;   in Loop: Header=BB179_223 Depth=1
	s_or_b64 exec, exec, s[12:13]
.LBB179_423:                            ;   in Loop: Header=BB179_223 Depth=1
	s_or_b64 exec, exec, s[6:7]
	v_cmp_lt_u32_e64 s[0:1], s27, v13
	s_and_saveexec_b64 s[6:7], s[0:1]
	s_cbranch_execz .LBB179_429
; %bb.424:                              ;   in Loop: Header=BB179_223 Depth=1
	v_mov_b32_e32 v21, v6
	v_cmp_ne_u32_sdwa s[0:1], v13, s24 src0_sel:BYTE_3 src1_sel:DWORD
	v_mov_b32_e32 v20, v5
	s_and_saveexec_b64 s[12:13], s[0:1]
	s_cbranch_execz .LBB179_428
; %bb.425:                              ;   in Loop: Header=BB179_223 Depth=1
	v_bfe_u32 v38, v13, 24, 7
	v_mov_b32_e32 v11, v5
	v_mov_b32_e32 v21, v12
	;; [unrolled: 1-line block ×3, first 2 shown]
	v_bfrev_b32_e32 v37, 60
	v_cmp_ne_u32_e64 s[0:1], s25, v38
	v_mov_b32_e32 v20, v11
	s_and_saveexec_b64 s[14:15], s[0:1]
	s_cbranch_execz .LBB179_427
; %bb.426:                              ;   in Loop: Header=BB179_223 Depth=1
	v_and_b32_sdwa v7, v13, v7 dst_sel:DWORD dst_unused:UNUSED_PAD src0_sel:BYTE_3 src1_sel:DWORD
	v_ffbh_u32_e32 v20, v7
	v_lshrrev_b32_e32 v11, 3, v38
	v_cmp_gt_u32_e64 s[0:1], 8, v38
	v_min_u32_e32 v38, 32, v20
	v_mov_b32_e32 v8, v5
	v_subrev_u32_e32 v20, 28, v38
	v_lshlrev_b64 v[20:21], v20, v[7:8]
	v_sub_u32_e32 v8, 29, v38
	v_and_b32_e32 v20, 7, v20
	v_cndmask_b32_e64 v8, v11, v8, s[0:1]
	v_mov_b32_e32 v11, 24
	v_cndmask_b32_e64 v7, v7, v20, s[0:1]
	v_lshlrev_b32_sdwa v11, v11, v13 dst_sel:DWORD dst_unused:UNUSED_PAD src0_sel:DWORD src1_sel:BYTE_3
	v_lshl_add_u32 v8, v8, 23, v37
	v_and_or_b32 v8, v11, s26, v8
	v_lshlrev_b32_e32 v7, 20, v7
	v_or_b32_e32 v21, v8, v7
	v_mov_b32_e32 v20, v5
.LBB179_427:                            ;   in Loop: Header=BB179_223 Depth=1
	s_or_b64 exec, exec, s[14:15]
	v_bfrev_b32_e32 v38, 60
	v_mov_b32_e32 v37, 7
.LBB179_428:                            ;   in Loop: Header=BB179_223 Depth=1
	s_or_b64 exec, exec, s[12:13]
.LBB179_429:                            ;   in Loop: Header=BB179_223 Depth=1
	s_or_b64 exec, exec, s[6:7]
	v_or_b32_e32 v7, v17, v15
	v_or_b32_e32 v8, v16, v14
	v_mul_f32_e32 v11, s18, v7
	v_mul_f32_e32 v15, s17, v8
	v_or_b32_e32 v7, v21, v19
	v_or_b32_e32 v8, v20, v18
	v_mul_f32_e32 v14, s17, v8
	v_mul_f32_e32 v13, s18, v7
	s_and_saveexec_b64 s[0:1], vcc
	s_cbranch_execz .LBB179_222
; %bb.430:                              ;   in Loop: Header=BB179_223 Depth=1
	v_cmp_gt_i32_e32 vcc, s30, v45
	v_cndmask_b32_e32 v15, 0, v15, vcc
	v_cmp_gt_i32_e32 vcc, s30, v47
	v_cndmask_b32_e32 v11, 0, v11, vcc
	v_cmp_gt_i32_e32 vcc, s30, v46
	v_cndmask_b32_e32 v14, 0, v14, vcc
	v_cmp_gt_i32_e32 vcc, s30, v35
	v_cndmask_b32_e32 v13, 0, v13, vcc
	s_branch .LBB179_222
.LBB179_431:
	s_or_b64 exec, exec, s[4:5]
	buffer_load_dword v10, off, s[44:47], 0 offset:84 ; 4-byte Folded Reload
	buffer_load_dword v11, off, s[44:47], 0 offset:8 ; 4-byte Folded Reload
	;; [unrolled: 1-line block ×4, first 2 shown]
.LBB179_432:
	s_or_b64 exec, exec, s[2:3]
	s_waitcnt vmcnt(1)
	ds_bpermute_b32 v0, v12, v32
	ds_bpermute_b32 v1, v12, v34
	;; [unrolled: 1-line block ×8, first 2 shown]
	v_and_b32_e32 v9, 0x3c1, v10
	s_waitcnt lgkmcnt(7)
	v_add_f32_e32 v0, v32, v0
	s_waitcnt lgkmcnt(6)
	v_add_f32_e32 v1, v34, v1
	;; [unrolled: 2-line block ×8, first 2 shown]
	v_cmp_eq_u32_e32 vcc, 64, v9
	s_waitcnt vmcnt(0)
	s_barrier
	s_and_saveexec_b64 s[0:1], vcc
	s_cbranch_execz .LBB179_434
; %bb.433:
	v_mov_b32_e32 v8, 0x410
	v_lshl_add_u32 v8, v11, 1, v8
	ds_write2_b32 v8, v0, v1 offset1:32
	ds_write2_b32 v8, v2, v3 offset0:64 offset1:96
	ds_write2_b32 v8, v4, v5 offset0:128 offset1:160
	ds_write2_b32 v8, v6, v7 offset0:192 offset1:224
.LBB179_434:
	s_or_b64 exec, exec, s[0:1]
	v_cmp_gt_u32_e32 vcc, 64, v10
	v_lshrrev_b32_e32 v8, 1, v10
	s_waitcnt lgkmcnt(0)
	s_barrier
	s_and_saveexec_b64 s[0:1], vcc
	s_cbranch_execz .LBB179_445
; %bb.435:
	v_mov_b32_e32 v10, 0x410
	v_cmp_eq_u32_e32 vcc, 0, v14
	v_lshl_add_u32 v10, v8, 2, v10
	s_and_saveexec_b64 s[2:3], vcc
	s_cbranch_execnz .LBB179_448
; %bb.436:
	s_or_b64 exec, exec, s[2:3]
	s_and_saveexec_b64 s[2:3], vcc
	s_cbranch_execnz .LBB179_449
.LBB179_437:
	s_or_b64 exec, exec, s[2:3]
	s_and_saveexec_b64 s[2:3], vcc
	s_cbranch_execnz .LBB179_450
.LBB179_438:
	s_or_b64 exec, exec, s[2:3]
	s_and_saveexec_b64 s[2:3], vcc
	s_cbranch_execnz .LBB179_451
.LBB179_439:
	s_or_b64 exec, exec, s[2:3]
	s_and_saveexec_b64 s[2:3], vcc
	s_cbranch_execnz .LBB179_452
.LBB179_440:
	s_or_b64 exec, exec, s[2:3]
	s_and_saveexec_b64 s[2:3], vcc
	s_cbranch_execnz .LBB179_453
.LBB179_441:
	s_or_b64 exec, exec, s[2:3]
	s_and_saveexec_b64 s[2:3], vcc
	s_cbranch_execnz .LBB179_454
.LBB179_442:
	s_or_b64 exec, exec, s[2:3]
	s_and_saveexec_b64 s[2:3], vcc
	s_cbranch_execz .LBB179_444
.LBB179_443:
	ds_read_b32 v10, v10 offset:896
	s_waitcnt lgkmcnt(0)
	v_add_f32_e32 v7, v7, v10
.LBB179_444:
	s_or_b64 exec, exec, s[2:3]
.LBB179_445:
	s_or_b64 exec, exec, s[0:1]
	v_cmp_eq_u32_e32 vcc, 0, v9
	s_barrier
	s_and_saveexec_b64 s[0:1], vcc
	s_cbranch_execz .LBB179_447
; %bb.446:
	s_mul_i32 s0, s10, s11
	s_mul_i32 s0, s0, s9
	s_lshl_b32 s0, s0, 8
	s_ashr_i32 s1, s0, 31
	s_lshl_b64 s[0:1], s[0:1], 2
	s_add_u32 s2, s22, s0
	s_mul_i32 s0, s11, s20
	s_addc_u32 s3, s23, s1
	s_ashr_i32 s1, s0, 31
	s_lshl_b64 s[0:1], s[0:1], 2
	s_add_u32 s2, s2, s0
	s_addc_u32 s3, s3, s1
	s_lshl_b32 s0, s8, 8
	s_ashr_i32 s1, s0, 31
	s_lshl_b64 s[0:1], s[0:1], 2
	s_add_u32 s0, s2, s0
	s_addc_u32 s1, s3, s1
	v_lshlrev_b32_e32 v8, 2, v8
	global_store_dword v8, v0, s[0:1]
	global_store_dword v8, v1, s[0:1] offset:128
	global_store_dword v8, v2, s[0:1] offset:256
	;; [unrolled: 1-line block ×7, first 2 shown]
.LBB179_447:
	s_endpgm
.LBB179_448:
	ds_read_b32 v11, v10
	s_waitcnt lgkmcnt(0)
	v_add_f32_e32 v0, v0, v11
	s_or_b64 exec, exec, s[2:3]
	s_and_saveexec_b64 s[2:3], vcc
	s_cbranch_execz .LBB179_437
.LBB179_449:
	ds_read_b32 v11, v10 offset:128
	s_waitcnt lgkmcnt(0)
	v_add_f32_e32 v1, v1, v11
	s_or_b64 exec, exec, s[2:3]
	s_and_saveexec_b64 s[2:3], vcc
	s_cbranch_execz .LBB179_438
.LBB179_450:
	ds_read_b32 v11, v10 offset:256
	s_waitcnt lgkmcnt(0)
	v_add_f32_e32 v2, v2, v11
	s_or_b64 exec, exec, s[2:3]
	s_and_saveexec_b64 s[2:3], vcc
	s_cbranch_execz .LBB179_439
.LBB179_451:
	ds_read_b32 v11, v10 offset:384
	s_waitcnt lgkmcnt(0)
	v_add_f32_e32 v3, v3, v11
	s_or_b64 exec, exec, s[2:3]
	s_and_saveexec_b64 s[2:3], vcc
	s_cbranch_execz .LBB179_440
.LBB179_452:
	ds_read_b32 v11, v10 offset:512
	s_waitcnt lgkmcnt(0)
	v_add_f32_e32 v4, v4, v11
	s_or_b64 exec, exec, s[2:3]
	s_and_saveexec_b64 s[2:3], vcc
	s_cbranch_execz .LBB179_441
.LBB179_453:
	ds_read_b32 v11, v10 offset:640
	s_waitcnt lgkmcnt(0)
	v_add_f32_e32 v5, v5, v11
	s_or_b64 exec, exec, s[2:3]
	s_and_saveexec_b64 s[2:3], vcc
	s_cbranch_execz .LBB179_442
.LBB179_454:
	ds_read_b32 v11, v10 offset:768
	s_waitcnt lgkmcnt(0)
	v_add_f32_e32 v6, v6, v11
	s_or_b64 exec, exec, s[2:3]
	s_and_saveexec_b64 s[2:3], vcc
	s_cbranch_execnz .LBB179_443
	s_branch .LBB179_444
	.section	.rodata,"a",@progbits
	.p2align	6, 0x0
	.amdhsa_kernel _ZN4vllm25paged_attention_v1_kernelIfhLi256ELi8ELi128ELNS_18Fp8KVCacheDataTypeE1ELb0EEEvPT_PKS2_PKT0_S8_ifPKiSA_iPKfiiiSC_SC_iiiii
		.amdhsa_group_segment_fixed_size 1040
		.amdhsa_private_segment_fixed_size 108
		.amdhsa_kernarg_size 384
		.amdhsa_user_sgpr_count 6
		.amdhsa_user_sgpr_private_segment_buffer 1
		.amdhsa_user_sgpr_dispatch_ptr 0
		.amdhsa_user_sgpr_queue_ptr 0
		.amdhsa_user_sgpr_kernarg_segment_ptr 1
		.amdhsa_user_sgpr_dispatch_id 0
		.amdhsa_user_sgpr_flat_scratch_init 0
		.amdhsa_user_sgpr_private_segment_size 0
		.amdhsa_uses_dynamic_stack 0
		.amdhsa_system_sgpr_private_segment_wavefront_offset 1
		.amdhsa_system_sgpr_workgroup_id_x 1
		.amdhsa_system_sgpr_workgroup_id_y 1
		.amdhsa_system_sgpr_workgroup_id_z 1
		.amdhsa_system_sgpr_workgroup_info 0
		.amdhsa_system_vgpr_workitem_id 0
		.amdhsa_next_free_vgpr 64
		.amdhsa_next_free_sgpr 48
		.amdhsa_reserve_vcc 1
		.amdhsa_reserve_flat_scratch 0
		.amdhsa_float_round_mode_32 0
		.amdhsa_float_round_mode_16_64 0
		.amdhsa_float_denorm_mode_32 3
		.amdhsa_float_denorm_mode_16_64 3
		.amdhsa_dx10_clamp 1
		.amdhsa_ieee_mode 1
		.amdhsa_fp16_overflow 0
		.amdhsa_exception_fp_ieee_invalid_op 0
		.amdhsa_exception_fp_denorm_src 0
		.amdhsa_exception_fp_ieee_div_zero 0
		.amdhsa_exception_fp_ieee_overflow 0
		.amdhsa_exception_fp_ieee_underflow 0
		.amdhsa_exception_fp_ieee_inexact 0
		.amdhsa_exception_int_div_zero 0
	.end_amdhsa_kernel
	.section	.text._ZN4vllm25paged_attention_v1_kernelIfhLi256ELi8ELi128ELNS_18Fp8KVCacheDataTypeE1ELb0EEEvPT_PKS2_PKT0_S8_ifPKiSA_iPKfiiiSC_SC_iiiii,"axG",@progbits,_ZN4vllm25paged_attention_v1_kernelIfhLi256ELi8ELi128ELNS_18Fp8KVCacheDataTypeE1ELb0EEEvPT_PKS2_PKT0_S8_ifPKiSA_iPKfiiiSC_SC_iiiii,comdat
.Lfunc_end179:
	.size	_ZN4vllm25paged_attention_v1_kernelIfhLi256ELi8ELi128ELNS_18Fp8KVCacheDataTypeE1ELb0EEEvPT_PKS2_PKT0_S8_ifPKiSA_iPKfiiiSC_SC_iiiii, .Lfunc_end179-_ZN4vllm25paged_attention_v1_kernelIfhLi256ELi8ELi128ELNS_18Fp8KVCacheDataTypeE1ELb0EEEvPT_PKS2_PKT0_S8_ifPKiSA_iPKfiiiSC_SC_iiiii
                                        ; -- End function
	.set _ZN4vllm25paged_attention_v1_kernelIfhLi256ELi8ELi128ELNS_18Fp8KVCacheDataTypeE1ELb0EEEvPT_PKS2_PKT0_S8_ifPKiSA_iPKfiiiSC_SC_iiiii.num_vgpr, 64
	.set _ZN4vllm25paged_attention_v1_kernelIfhLi256ELi8ELi128ELNS_18Fp8KVCacheDataTypeE1ELb0EEEvPT_PKS2_PKT0_S8_ifPKiSA_iPKfiiiSC_SC_iiiii.num_agpr, 0
	.set _ZN4vllm25paged_attention_v1_kernelIfhLi256ELi8ELi128ELNS_18Fp8KVCacheDataTypeE1ELb0EEEvPT_PKS2_PKT0_S8_ifPKiSA_iPKfiiiSC_SC_iiiii.numbered_sgpr, 48
	.set _ZN4vllm25paged_attention_v1_kernelIfhLi256ELi8ELi128ELNS_18Fp8KVCacheDataTypeE1ELb0EEEvPT_PKS2_PKT0_S8_ifPKiSA_iPKfiiiSC_SC_iiiii.num_named_barrier, 0
	.set _ZN4vllm25paged_attention_v1_kernelIfhLi256ELi8ELi128ELNS_18Fp8KVCacheDataTypeE1ELb0EEEvPT_PKS2_PKT0_S8_ifPKiSA_iPKfiiiSC_SC_iiiii.private_seg_size, 108
	.set _ZN4vllm25paged_attention_v1_kernelIfhLi256ELi8ELi128ELNS_18Fp8KVCacheDataTypeE1ELb0EEEvPT_PKS2_PKT0_S8_ifPKiSA_iPKfiiiSC_SC_iiiii.uses_vcc, 1
	.set _ZN4vllm25paged_attention_v1_kernelIfhLi256ELi8ELi128ELNS_18Fp8KVCacheDataTypeE1ELb0EEEvPT_PKS2_PKT0_S8_ifPKiSA_iPKfiiiSC_SC_iiiii.uses_flat_scratch, 0
	.set _ZN4vllm25paged_attention_v1_kernelIfhLi256ELi8ELi128ELNS_18Fp8KVCacheDataTypeE1ELb0EEEvPT_PKS2_PKT0_S8_ifPKiSA_iPKfiiiSC_SC_iiiii.has_dyn_sized_stack, 0
	.set _ZN4vllm25paged_attention_v1_kernelIfhLi256ELi8ELi128ELNS_18Fp8KVCacheDataTypeE1ELb0EEEvPT_PKS2_PKT0_S8_ifPKiSA_iPKfiiiSC_SC_iiiii.has_recursion, 0
	.set _ZN4vllm25paged_attention_v1_kernelIfhLi256ELi8ELi128ELNS_18Fp8KVCacheDataTypeE1ELb0EEEvPT_PKS2_PKT0_S8_ifPKiSA_iPKfiiiSC_SC_iiiii.has_indirect_call, 0
	.section	.AMDGPU.csdata,"",@progbits
; Kernel info:
; codeLenInByte = 17632
; TotalNumSgprs: 52
; NumVgprs: 64
; ScratchSize: 108
; MemoryBound: 0
; FloatMode: 240
; IeeeMode: 1
; LDSByteSize: 1040 bytes/workgroup (compile time only)
; SGPRBlocks: 6
; VGPRBlocks: 15
; NumSGPRsForWavesPerEU: 52
; NumVGPRsForWavesPerEU: 64
; Occupancy: 4
; WaveLimiterHint : 1
; COMPUTE_PGM_RSRC2:SCRATCH_EN: 1
; COMPUTE_PGM_RSRC2:USER_SGPR: 6
; COMPUTE_PGM_RSRC2:TRAP_HANDLER: 0
; COMPUTE_PGM_RSRC2:TGID_X_EN: 1
; COMPUTE_PGM_RSRC2:TGID_Y_EN: 1
; COMPUTE_PGM_RSRC2:TGID_Z_EN: 1
; COMPUTE_PGM_RSRC2:TIDIG_COMP_CNT: 0
	.section	.text._ZN4vllm25paged_attention_v1_kernelIfhLi32ELi16ELi128ELNS_18Fp8KVCacheDataTypeE1ELb1EEEvPT_PKS2_PKT0_S8_ifPKiSA_iPKfiiiSC_SC_iiiii,"axG",@progbits,_ZN4vllm25paged_attention_v1_kernelIfhLi32ELi16ELi128ELNS_18Fp8KVCacheDataTypeE1ELb1EEEvPT_PKS2_PKT0_S8_ifPKiSA_iPKfiiiSC_SC_iiiii,comdat
	.protected	_ZN4vllm25paged_attention_v1_kernelIfhLi32ELi16ELi128ELNS_18Fp8KVCacheDataTypeE1ELb1EEEvPT_PKS2_PKT0_S8_ifPKiSA_iPKfiiiSC_SC_iiiii ; -- Begin function _ZN4vllm25paged_attention_v1_kernelIfhLi32ELi16ELi128ELNS_18Fp8KVCacheDataTypeE1ELb1EEEvPT_PKS2_PKT0_S8_ifPKiSA_iPKfiiiSC_SC_iiiii
	.globl	_ZN4vllm25paged_attention_v1_kernelIfhLi32ELi16ELi128ELNS_18Fp8KVCacheDataTypeE1ELb1EEEvPT_PKS2_PKT0_S8_ifPKiSA_iPKfiiiSC_SC_iiiii
	.p2align	8
	.type	_ZN4vllm25paged_attention_v1_kernelIfhLi32ELi16ELi128ELNS_18Fp8KVCacheDataTypeE1ELb1EEEvPT_PKS2_PKT0_S8_ifPKiSA_iPKfiiiSC_SC_iiiii,@function
_ZN4vllm25paged_attention_v1_kernelIfhLi32ELi16ELi128ELNS_18Fp8KVCacheDataTypeE1ELb1EEEvPT_PKS2_PKT0_S8_ifPKiSA_iPKfiiiSC_SC_iiiii: ; @_ZN4vllm25paged_attention_v1_kernelIfhLi32ELi16ELi128ELNS_18Fp8KVCacheDataTypeE1ELb1EEEvPT_PKS2_PKT0_S8_ifPKiSA_iPKfiiiSC_SC_iiiii
; %bb.0:
	s_load_dword s9, s[4:5], 0x80
	s_load_dwordx2 s[0:1], s[4:5], 0x30
	s_load_dwordx2 s[36:37], s[4:5], 0x20
	s_mov_b32 s10, s7
	s_ashr_i32 s11, s7, 31
	s_lshl_b64 s[2:3], s[10:11], 2
	s_waitcnt lgkmcnt(0)
	s_add_u32 s0, s0, s2
	s_addc_u32 s1, s1, s3
	s_abs_i32 s2, s36
	v_cvt_f32_u32_e32 v1, s2
	s_sub_i32 s11, 0, s2
	s_abs_i32 s7, s9
	s_xor_b32 s3, s9, s36
	v_rcp_iflag_f32_e32 v1, v1
	s_ashr_i32 s3, s3, 31
	s_mov_b32 s48, 0
	v_mul_f32_e32 v1, 0x4f7ffffe, v1
	v_cvt_u32_f32_e32 v1, v1
	v_readfirstlane_b32 s12, v1
	s_mul_i32 s11, s11, s12
	s_mul_hi_u32 s11, s12, s11
	s_add_i32 s12, s12, s11
	s_mul_hi_u32 s11, s7, s12
	s_mul_i32 s12, s11, s2
	s_sub_i32 s7, s7, s12
	s_add_i32 s12, s11, 1
	s_sub_i32 s13, s7, s2
	s_cmp_ge_u32 s7, s2
	s_cselect_b32 s11, s12, s11
	s_cselect_b32 s7, s13, s7
	s_add_i32 s12, s11, 1
	s_cmp_ge_u32 s7, s2
	s_cselect_b32 s2, s12, s11
	s_xor_b32 s2, s2, s3
	s_sub_i32 s15, s2, s3
	s_abs_i32 s12, s15
	v_cvt_f32_u32_e32 v1, s12
	s_load_dwordx2 s[2:3], s[4:5], 0x40
	s_sub_i32 s7, 0, s12
	s_abs_i32 s13, s6
	v_rcp_iflag_f32_e32 v1, v1
	v_mul_f32_e32 v1, 0x4f7ffffe, v1
	v_cvt_u32_f32_e32 v1, v1
	v_readfirstlane_b32 s11, v1
	s_mul_i32 s7, s7, s11
	s_mul_hi_u32 s7, s11, s7
	s_add_i32 s11, s11, s7
	s_waitcnt lgkmcnt(0)
	s_cmp_eq_u64 s[2:3], 0
	s_mul_hi_u32 s14, s13, s11
	s_cbranch_scc1 .LBB180_2
; %bb.1:
	s_ashr_i32 s7, s6, 31
	s_lshl_b64 s[16:17], s[6:7], 2
	s_add_u32 s2, s2, s16
	s_addc_u32 s3, s3, s17
	s_load_dword s48, s[2:3], 0x0
.LBB180_2:
	s_load_dword s11, s[0:1], 0x0
	s_load_dwordx4 s[16:19], s[4:5], 0x48
	v_lshrrev_b32_e32 v25, 2, v0
	s_ashr_i32 s3, s6, 31
	s_ashr_i32 s7, s15, 31
	v_and_b32_e32 v26, 3, v0
	s_lshl_b32 s24, s6, 5
	v_cmp_gt_u32_e32 vcc, 32, v0
	v_lshlrev_b32_e32 v16, 2, v0
	v_lshlrev_b32_e32 v24, 2, v25
	s_and_saveexec_b64 s[0:1], vcc
	s_cbranch_execz .LBB180_4
; %bb.3:
	s_load_dwordx2 s[20:21], s[4:5], 0x8
	s_waitcnt lgkmcnt(0)
	s_mul_i32 s22, s16, s10
	s_ashr_i32 s23, s22, 31
	s_lshl_b64 s[22:23], s[22:23], 2
	v_lshl_add_u32 v2, v26, 5, v24
	s_add_u32 s2, s20, s22
	s_addc_u32 s15, s21, s23
	s_ashr_i32 s25, s24, 31
	s_lshl_b64 s[20:21], s[24:25], 2
	s_add_u32 s20, s2, s20
	s_addc_u32 s21, s15, s21
	global_load_dword v1, v16, s[20:21]
	s_waitcnt vmcnt(0)
	ds_write_b32 v2, v1
.LBB180_4:
	s_or_b64 exec, exec, s[0:1]
	s_mul_i32 s1, s14, s12
	s_sub_i32 s1, s13, s1
	s_xor_b32 s0, s3, s7
	s_add_i32 s3, s14, 1
	s_sub_i32 s7, s1, s12
	s_load_dwordx4 s[20:23], s[4:5], 0x68
	s_load_dword s2, s[4:5], 0x78
	s_cmp_ge_u32 s1, s12
	s_cselect_b32 s3, s3, s14
	s_cselect_b32 s1, s7, s1
	s_add_i32 s7, s3, 1
	s_cmp_ge_u32 s1, s12
	s_cselect_b32 s1, s7, s3
	s_waitcnt lgkmcnt(0)
	s_abs_i32 s25, s23
	v_cvt_f32_u32_e32 v1, s25
	s_xor_b32 s1, s1, s0
	s_sub_i32 s47, s1, s0
	s_sub_i32 s0, 0, s25
	v_rcp_iflag_f32_e32 v1, v1
	s_add_i32 s12, s11, -1
	s_abs_i32 s3, s12
	v_mul_f32_e32 v1, 0x4f7ffffe, v1
	v_cvt_u32_f32_e32 v1, v1
	s_barrier
	v_readfirstlane_b32 s33, v1
	s_mul_i32 s0, s0, s33
	s_mul_hi_u32 s0, s33, s0
	s_add_i32 s33, s33, s0
	s_cmp_lt_i32 s2, 0
	s_mul_hi_u32 s7, s3, s33
	s_cbranch_scc0 .LBB180_6
; %bb.5:
	s_mul_i32 s0, s20, s36
	s_add_i32 s0, s47, s0
	s_mul_i32 s0, s0, s2
	s_sub_i32 s36, 1, s0
	s_mov_b64 s[0:1], 0
	s_branch .LBB180_7
.LBB180_6:
	s_mov_b64 s[0:1], -1
                                        ; implicit-def: $sgpr36
.LBB180_7:
	s_load_dwordx2 s[28:29], s[4:5], 0x28
	s_ashr_i32 s16, s12, 31
	s_andn2_b64 vcc, exec, s[0:1]
	s_ashr_i32 s23, s23, 31
	s_cbranch_vccnz .LBB180_9
; %bb.8:
	s_mul_i32 s0, s9, s20
	s_add_i32 s0, s0, s6
	s_mul_i32 s0, s0, s2
	s_add_i32 s36, s0, 1
.LBB180_9:
	s_load_dword s0, s[4:5], 0x38
	s_load_dwordx2 s[26:27], s[4:5], 0x0
	s_load_dwordx2 s[34:35], s[4:5], 0x18
	s_load_dword s20, s[4:5], 0x88
	s_load_dwordx4 s[12:15], s[4:5], 0x58
	s_mul_i32 s1, s7, s25
	s_waitcnt lgkmcnt(0)
	s_mul_i32 s30, s0, s10
	s_sub_i32 s1, s3, s1
	s_ashr_i32 s31, s30, 31
	s_xor_b32 s0, s16, s23
	s_add_i32 s2, s7, 1
	s_sub_i32 s3, s1, s25
	s_cmp_ge_u32 s1, s25
	s_cselect_b32 s2, s2, s7
	s_cselect_b32 s1, s3, s1
	s_add_i32 s3, s2, 1
	s_cmp_ge_u32 s1, s25
	s_cselect_b32 s1, s3, s2
	s_xor_b32 s1, s1, s0
	s_sub_i32 s16, s1, s0
	s_add_i32 s0, s11, 15
	s_ashr_i32 s1, s0, 31
	s_lshr_b32 s1, s1, 28
	s_add_i32 s0, s0, s1
	s_ashr_i32 s46, s0, 4
	v_lshrrev_b32_e32 v27, 6, v0
	v_cmp_gt_i32_e64 s[0:1], s46, v27
	v_mov_b32_e32 v21, 0xff7fffff
	s_mul_i32 s47, s47, s18
	v_lshrrev_b32_e32 v17, 4, v0
	v_lshlrev_b32_e32 v28, 4, v27
	v_mbcnt_lo_u32_b32 v18, -1, 0
	s_and_saveexec_b64 s[18:19], s[0:1]
	s_cbranch_execz .LBB180_69
; %bb.10:
	s_load_dwordx2 s[2:3], s[4:5], 0x10
	s_sub_i32 s49, s16, s21
	s_ashr_i32 s4, s47, 31
	v_bfe_u32 v19, v0, 2, 4
	v_lshlrev_b32_e32 v2, 4, v19
	s_waitcnt lgkmcnt(0)
	s_add_u32 s5, s2, s47
	s_addc_u32 s4, s3, s4
	s_abs_i32 s50, s22
	v_cvt_f32_u32_e32 v1, s50
	v_mov_b32_e32 v3, s4
	s_sub_i32 s4, 0, s50
	v_cmp_eq_u32_e32 vcc, 0, v26
	v_rcp_iflag_f32_e32 v1, v1
	s_mov_b32 s51, s17
	v_lshlrev_b32_e32 v20, 5, v26
	v_cmp_neq_f32_e64 s[2:3], s48, 0
	v_mul_f32_e32 v1, 0x4f7ffffe, v1
	v_cvt_u32_f32_e32 v1, v1
	v_lshlrev_b32_e32 v23, 4, v27
	v_mov_b32_e32 v31, 0xff7fffff
	s_mov_b64 s[38:39], 0
	v_mul_lo_u32 v4, s4, v1
	v_add_co_u32_e64 v2, s[4:5], s5, v2
	v_addc_co_u32_e64 v3, s[4:5], 0, v3, s[4:5]
	v_mul_hi_u32 v4, v1, v4
	v_add_co_u32_e64 v9, s[4:5], v2, v26
	v_addc_co_u32_e64 v10, s[4:5], 0, v3, s[4:5]
	s_lshl_b64 s[4:5], s[30:31], 2
	s_add_u32 s4, s28, s4
	v_add_u32_e32 v22, v1, v4
	v_and_b32_e32 v1, 60, v17
	s_addc_u32 s5, s29, s5
	v_mov_b32_e32 v2, s5
	v_add_co_u32_e64 v11, s[4:5], s4, v1
	v_subrev_u32_e32 v1, s11, v19
	v_add_u32_e32 v29, 1, v1
	v_lshlrev_b32_e32 v1, 2, v19
	v_lshl_or_b32 v1, v27, 6, v1
	v_addc_co_u32_e64 v12, s[4:5], 0, v2, s[4:5]
	v_add_u32_e32 v30, 0x90, v1
	s_movk_i32 s52, 0x80
	s_movk_i32 s53, 0x7f
	v_bfrev_b32_e32 v32, 60
	v_mbcnt_hi_u32_b32 v33, -1, v18
	v_mov_b32_e32 v21, 0xff7fffff
	v_mov_b32_e32 v34, v27
	s_branch .LBB180_13
.LBB180_11:                             ;   in Loop: Header=BB180_13 Depth=1
	s_or_b64 exec, exec, s[40:41]
.LBB180_12:                             ;   in Loop: Header=BB180_13 Depth=1
	s_or_b64 exec, exec, s[6:7]
	v_add_co_u32_e64 v11, s[4:5], 8, v11
	v_add_u32_e32 v34, 2, v34
	v_addc_co_u32_e64 v12, s[4:5], 0, v12, s[4:5]
	v_cmp_le_i32_e64 s[4:5], s46, v34
	v_add_u32_e32 v23, 32, v23
	s_or_b64 s[38:39], s[4:5], s[38:39]
	v_add_u32_e32 v30, 0x80, v30
	s_andn2_b64 exec, exec, s[38:39]
	s_cbranch_execz .LBB180_68
.LBB180_13:                             ; =>This Inner Loop Header: Depth=1
	v_mul_hi_u32 v1, v23, s33
	s_waitcnt lgkmcnt(0)
	v_mul_lo_u32 v2, v1, s25
	v_add_u32_e32 v3, 1, v1
	v_sub_u32_e32 v2, v23, v2
	v_cmp_le_u32_e64 s[4:5], s25, v2
	v_cndmask_b32_e64 v1, v1, v3, s[4:5]
	v_subrev_u32_e32 v3, s25, v2
	v_cndmask_b32_e64 v2, v2, v3, s[4:5]
	v_add_u32_e32 v3, 1, v1
	v_cmp_le_u32_e64 s[4:5], s25, v2
	v_cndmask_b32_e64 v1, v1, v3, s[4:5]
	v_xor_b32_e32 v1, s23, v1
	v_subrev_u32_e32 v1, s23, v1
	v_add_u32_e32 v2, s36, v1
	v_sub_u32_e32 v3, 0, v2
	v_max_i32_e32 v3, v2, v3
	v_mul_hi_u32 v4, v3, v22
	v_ashrrev_i32_e32 v2, 31, v2
	v_cmp_ge_i32_e64 s[6:7], s49, v1
	v_mul_lo_u32 v4, v4, s50
	v_sub_u32_e32 v3, v3, v4
	v_subrev_u32_e32 v4, s50, v3
	v_cmp_le_u32_e64 s[4:5], s50, v3
	v_cndmask_b32_e64 v3, v3, v4, s[4:5]
	v_subrev_u32_e32 v4, s50, v3
	v_cmp_le_u32_e64 s[4:5], s50, v3
	v_cndmask_b32_e64 v3, v3, v4, s[4:5]
	v_xor_b32_e32 v3, v3, v2
	v_sub_u32_e32 v2, v3, v2
	v_cmp_ne_u32_e64 s[4:5], 0, v2
	s_and_b64 s[4:5], s[4:5], s[6:7]
	s_and_saveexec_b64 s[6:7], s[4:5]
	s_xor_b64 s[4:5], exec, s[6:7]
	s_cbranch_execz .LBB180_17
; %bb.14:                               ;   in Loop: Header=BB180_13 Depth=1
	s_and_saveexec_b64 s[6:7], vcc
; %bb.15:                               ;   in Loop: Header=BB180_13 Depth=1
	ds_write_b32 v30, v31
; %bb.16:                               ;   in Loop: Header=BB180_13 Depth=1
	s_or_b64 exec, exec, s[6:7]
.LBB180_17:                             ;   in Loop: Header=BB180_13 Depth=1
	s_andn2_saveexec_b64 s[6:7], s[4:5]
	s_cbranch_execz .LBB180_12
; %bb.18:                               ;   in Loop: Header=BB180_13 Depth=1
	global_load_dword v1, v[11:12], off
	v_mov_b32_e32 v35, 0
	v_mov_b32_e32 v36, 0
	s_waitcnt vmcnt(0)
	v_mad_i64_i32 v[13:14], s[4:5], v1, s51, v[9:10]
	global_load_ubyte v37, v[13:14], off
	ds_read_b128 v[5:8], v20
	ds_read_b128 v[1:4], v20 offset:16
	s_load_dword s54, s[12:13], 0x0
	s_waitcnt vmcnt(0)
	v_cmp_ne_u16_e64 s[4:5], 0, v37
	s_and_saveexec_b64 s[40:41], s[4:5]
	s_cbranch_execz .LBB180_24
; %bb.19:                               ;   in Loop: Header=BB180_13 Depth=1
	v_cmp_ne_u16_e64 s[4:5], s52, v37
	v_bfrev_b32_e32 v36, 1
	s_and_saveexec_b64 s[42:43], s[4:5]
	s_cbranch_execz .LBB180_23
; %bb.20:                               ;   in Loop: Header=BB180_13 Depth=1
	v_and_b32_e32 v15, 0xffff, v37
	v_and_b32_e32 v38, 0x7f, v15
	v_cmp_ne_u32_e64 s[4:5], s53, v38
	v_mov_b32_e32 v36, 0x7f800001
	s_and_saveexec_b64 s[44:45], s[4:5]
	s_cbranch_execz .LBB180_22
; %bb.21:                               ;   in Loop: Header=BB180_13 Depth=1
	v_and_b32_e32 v36, 7, v15
	v_ffbh_u32_e32 v39, v36
	v_min_u32_e32 v42, 32, v39
	v_subrev_u32_e32 v39, 28, v42
	v_lshlrev_b64 v[39:40], v39, v[15:16]
	v_lshrrev_b32_e32 v41, 3, v38
	v_sub_u32_e32 v15, 29, v42
	v_and_b32_e32 v39, 7, v39
	v_cmp_gt_u32_e64 s[4:5], 8, v38
	v_cndmask_b32_e64 v15, v41, v15, s[4:5]
	v_cndmask_b32_e64 v36, v36, v39, s[4:5]
	v_lshlrev_b32_e32 v37, 24, v37
	v_lshlrev_b32_e32 v36, 20, v36
	v_and_b32_e32 v37, 0x80000000, v37
	v_lshl_add_u32 v15, v15, 23, v32
	v_or3_b32 v36, v37, v15, v36
.LBB180_22:                             ;   in Loop: Header=BB180_13 Depth=1
	s_or_b64 exec, exec, s[44:45]
.LBB180_23:                             ;   in Loop: Header=BB180_13 Depth=1
	s_or_b64 exec, exec, s[42:43]
.LBB180_24:                             ;   in Loop: Header=BB180_13 Depth=1
	s_or_b64 exec, exec, s[40:41]
	global_load_ubyte v37, v[13:14], off offset:4
	s_waitcnt vmcnt(0)
	v_cmp_ne_u16_e64 s[4:5], 0, v37
	s_and_saveexec_b64 s[40:41], s[4:5]
	s_cbranch_execz .LBB180_30
; %bb.25:                               ;   in Loop: Header=BB180_13 Depth=1
	v_cmp_ne_u16_e64 s[4:5], s52, v37
	v_bfrev_b32_e32 v35, 1
	s_and_saveexec_b64 s[42:43], s[4:5]
	s_cbranch_execz .LBB180_29
; %bb.26:                               ;   in Loop: Header=BB180_13 Depth=1
	v_and_b32_e32 v15, 0xffff, v37
	v_and_b32_e32 v38, 0x7f, v15
	v_cmp_ne_u32_e64 s[4:5], s53, v38
	v_mov_b32_e32 v35, 0x7f800001
	s_and_saveexec_b64 s[44:45], s[4:5]
	s_cbranch_execz .LBB180_28
; %bb.27:                               ;   in Loop: Header=BB180_13 Depth=1
	v_and_b32_e32 v35, 7, v15
	v_ffbh_u32_e32 v39, v35
	v_min_u32_e32 v42, 32, v39
	v_subrev_u32_e32 v39, 28, v42
	v_lshlrev_b64 v[39:40], v39, v[15:16]
	v_lshrrev_b32_e32 v41, 3, v38
	v_sub_u32_e32 v15, 29, v42
	v_and_b32_e32 v39, 7, v39
	v_cmp_gt_u32_e64 s[4:5], 8, v38
	v_cndmask_b32_e64 v15, v41, v15, s[4:5]
	v_cndmask_b32_e64 v35, v35, v39, s[4:5]
	v_lshlrev_b32_e32 v37, 24, v37
	v_lshlrev_b32_e32 v35, 20, v35
	v_and_b32_e32 v37, 0x80000000, v37
	v_lshl_add_u32 v15, v15, 23, v32
	v_or3_b32 v35, v37, v15, v35
.LBB180_28:                             ;   in Loop: Header=BB180_13 Depth=1
	s_or_b64 exec, exec, s[44:45]
.LBB180_29:                             ;   in Loop: Header=BB180_13 Depth=1
	s_or_b64 exec, exec, s[42:43]
.LBB180_30:                             ;   in Loop: Header=BB180_13 Depth=1
	s_or_b64 exec, exec, s[40:41]
	global_load_ubyte v39, v[13:14], off offset:8
	v_mov_b32_e32 v37, 0
	v_mov_b32_e32 v38, 0
	s_waitcnt vmcnt(0)
	v_cmp_ne_u16_e64 s[4:5], 0, v39
	s_and_saveexec_b64 s[40:41], s[4:5]
	s_cbranch_execz .LBB180_36
; %bb.31:                               ;   in Loop: Header=BB180_13 Depth=1
	v_cmp_ne_u16_e64 s[4:5], s52, v39
	v_bfrev_b32_e32 v38, 1
	s_and_saveexec_b64 s[42:43], s[4:5]
	s_cbranch_execz .LBB180_35
; %bb.32:                               ;   in Loop: Header=BB180_13 Depth=1
	v_and_b32_e32 v15, 0xffff, v39
	v_and_b32_e32 v40, 0x7f, v15
	v_cmp_ne_u32_e64 s[4:5], s53, v40
	v_mov_b32_e32 v38, 0x7f800001
	s_and_saveexec_b64 s[44:45], s[4:5]
	s_cbranch_execz .LBB180_34
; %bb.33:                               ;   in Loop: Header=BB180_13 Depth=1
	v_and_b32_e32 v38, 7, v15
	v_ffbh_u32_e32 v41, v38
	v_min_u32_e32 v44, 32, v41
	v_subrev_u32_e32 v41, 28, v44
	v_lshlrev_b64 v[41:42], v41, v[15:16]
	v_lshrrev_b32_e32 v43, 3, v40
	v_sub_u32_e32 v15, 29, v44
	v_and_b32_e32 v41, 7, v41
	v_cmp_gt_u32_e64 s[4:5], 8, v40
	v_cndmask_b32_e64 v15, v43, v15, s[4:5]
	v_cndmask_b32_e64 v38, v38, v41, s[4:5]
	v_lshlrev_b32_e32 v39, 24, v39
	v_lshlrev_b32_e32 v38, 20, v38
	v_and_b32_e32 v39, 0x80000000, v39
	v_lshl_add_u32 v15, v15, 23, v32
	v_or3_b32 v38, v39, v15, v38
.LBB180_34:                             ;   in Loop: Header=BB180_13 Depth=1
	s_or_b64 exec, exec, s[44:45]
.LBB180_35:                             ;   in Loop: Header=BB180_13 Depth=1
	s_or_b64 exec, exec, s[42:43]
.LBB180_36:                             ;   in Loop: Header=BB180_13 Depth=1
	s_or_b64 exec, exec, s[40:41]
	global_load_ubyte v39, v[13:14], off offset:12
	s_waitcnt vmcnt(0)
	v_cmp_ne_u16_e64 s[4:5], 0, v39
	s_and_saveexec_b64 s[40:41], s[4:5]
	s_cbranch_execz .LBB180_42
; %bb.37:                               ;   in Loop: Header=BB180_13 Depth=1
	v_cmp_ne_u16_e64 s[4:5], s52, v39
	v_bfrev_b32_e32 v37, 1
	s_and_saveexec_b64 s[42:43], s[4:5]
	s_cbranch_execz .LBB180_41
; %bb.38:                               ;   in Loop: Header=BB180_13 Depth=1
	v_and_b32_e32 v15, 0xffff, v39
	v_and_b32_e32 v40, 0x7f, v15
	v_cmp_ne_u32_e64 s[4:5], s53, v40
	v_mov_b32_e32 v37, 0x7f800001
	s_and_saveexec_b64 s[44:45], s[4:5]
	s_cbranch_execz .LBB180_40
; %bb.39:                               ;   in Loop: Header=BB180_13 Depth=1
	v_and_b32_e32 v37, 7, v15
	v_ffbh_u32_e32 v41, v37
	v_min_u32_e32 v44, 32, v41
	v_subrev_u32_e32 v41, 28, v44
	v_lshlrev_b64 v[41:42], v41, v[15:16]
	v_lshrrev_b32_e32 v43, 3, v40
	v_sub_u32_e32 v15, 29, v44
	v_and_b32_e32 v41, 7, v41
	v_cmp_gt_u32_e64 s[4:5], 8, v40
	v_cndmask_b32_e64 v15, v43, v15, s[4:5]
	v_cndmask_b32_e64 v37, v37, v41, s[4:5]
	v_lshlrev_b32_e32 v39, 24, v39
	v_lshlrev_b32_e32 v37, 20, v37
	v_and_b32_e32 v39, 0x80000000, v39
	v_lshl_add_u32 v15, v15, 23, v32
	v_or3_b32 v37, v39, v15, v37
.LBB180_40:                             ;   in Loop: Header=BB180_13 Depth=1
	s_or_b64 exec, exec, s[44:45]
.LBB180_41:                             ;   in Loop: Header=BB180_13 Depth=1
	s_or_b64 exec, exec, s[42:43]
.LBB180_42:                             ;   in Loop: Header=BB180_13 Depth=1
	s_or_b64 exec, exec, s[40:41]
	global_load_ubyte v41, v[13:14], off offset:256
	v_mov_b32_e32 v39, 0
	v_mov_b32_e32 v40, 0
	s_waitcnt vmcnt(0)
	v_cmp_ne_u16_e64 s[4:5], 0, v41
	s_and_saveexec_b64 s[40:41], s[4:5]
	s_cbranch_execz .LBB180_48
; %bb.43:                               ;   in Loop: Header=BB180_13 Depth=1
	v_cmp_ne_u16_e64 s[4:5], s52, v41
	v_bfrev_b32_e32 v40, 1
	s_and_saveexec_b64 s[42:43], s[4:5]
	s_cbranch_execz .LBB180_47
; %bb.44:                               ;   in Loop: Header=BB180_13 Depth=1
	v_and_b32_e32 v15, 0xffff, v41
	v_and_b32_e32 v42, 0x7f, v15
	v_cmp_ne_u32_e64 s[4:5], s53, v42
	v_mov_b32_e32 v40, 0x7f800001
	s_and_saveexec_b64 s[44:45], s[4:5]
	s_cbranch_execz .LBB180_46
; %bb.45:                               ;   in Loop: Header=BB180_13 Depth=1
	v_and_b32_e32 v40, 7, v15
	v_ffbh_u32_e32 v43, v40
	v_min_u32_e32 v46, 32, v43
	v_subrev_u32_e32 v43, 28, v46
	v_lshlrev_b64 v[43:44], v43, v[15:16]
	v_lshrrev_b32_e32 v45, 3, v42
	v_sub_u32_e32 v15, 29, v46
	v_and_b32_e32 v43, 7, v43
	v_cmp_gt_u32_e64 s[4:5], 8, v42
	v_cndmask_b32_e64 v15, v45, v15, s[4:5]
	v_cndmask_b32_e64 v40, v40, v43, s[4:5]
	v_lshlrev_b32_e32 v41, 24, v41
	v_lshlrev_b32_e32 v40, 20, v40
	v_and_b32_e32 v41, 0x80000000, v41
	v_lshl_add_u32 v15, v15, 23, v32
	v_or3_b32 v40, v41, v15, v40
.LBB180_46:                             ;   in Loop: Header=BB180_13 Depth=1
	s_or_b64 exec, exec, s[44:45]
.LBB180_47:                             ;   in Loop: Header=BB180_13 Depth=1
	s_or_b64 exec, exec, s[42:43]
.LBB180_48:                             ;   in Loop: Header=BB180_13 Depth=1
	s_or_b64 exec, exec, s[40:41]
	global_load_ubyte v41, v[13:14], off offset:260
	s_waitcnt vmcnt(0)
	v_cmp_ne_u16_e64 s[4:5], 0, v41
	s_and_saveexec_b64 s[40:41], s[4:5]
	s_cbranch_execz .LBB180_54
; %bb.49:                               ;   in Loop: Header=BB180_13 Depth=1
	v_cmp_ne_u16_e64 s[4:5], s52, v41
	v_bfrev_b32_e32 v39, 1
	s_and_saveexec_b64 s[42:43], s[4:5]
	s_cbranch_execz .LBB180_53
; %bb.50:                               ;   in Loop: Header=BB180_13 Depth=1
	v_and_b32_e32 v15, 0xffff, v41
	v_and_b32_e32 v42, 0x7f, v15
	v_cmp_ne_u32_e64 s[4:5], s53, v42
	v_mov_b32_e32 v39, 0x7f800001
	s_and_saveexec_b64 s[44:45], s[4:5]
	s_cbranch_execz .LBB180_52
; %bb.51:                               ;   in Loop: Header=BB180_13 Depth=1
	v_and_b32_e32 v39, 7, v15
	v_ffbh_u32_e32 v43, v39
	v_min_u32_e32 v46, 32, v43
	v_subrev_u32_e32 v43, 28, v46
	v_lshlrev_b64 v[43:44], v43, v[15:16]
	v_lshrrev_b32_e32 v45, 3, v42
	v_sub_u32_e32 v15, 29, v46
	v_and_b32_e32 v43, 7, v43
	v_cmp_gt_u32_e64 s[4:5], 8, v42
	v_cndmask_b32_e64 v15, v45, v15, s[4:5]
	v_cndmask_b32_e64 v39, v39, v43, s[4:5]
	v_lshlrev_b32_e32 v41, 24, v41
	v_lshlrev_b32_e32 v39, 20, v39
	v_and_b32_e32 v41, 0x80000000, v41
	v_lshl_add_u32 v15, v15, 23, v32
	v_or3_b32 v39, v41, v15, v39
.LBB180_52:                             ;   in Loop: Header=BB180_13 Depth=1
	s_or_b64 exec, exec, s[44:45]
.LBB180_53:                             ;   in Loop: Header=BB180_13 Depth=1
	s_or_b64 exec, exec, s[42:43]
.LBB180_54:                             ;   in Loop: Header=BB180_13 Depth=1
	s_or_b64 exec, exec, s[40:41]
	global_load_ubyte v43, v[13:14], off offset:264
	v_mov_b32_e32 v41, 0
	v_mov_b32_e32 v42, 0
	s_waitcnt vmcnt(0)
	v_cmp_ne_u16_e64 s[4:5], 0, v43
	s_and_saveexec_b64 s[40:41], s[4:5]
	s_cbranch_execz .LBB180_60
; %bb.55:                               ;   in Loop: Header=BB180_13 Depth=1
	v_cmp_ne_u16_e64 s[4:5], s52, v43
	v_bfrev_b32_e32 v42, 1
	s_and_saveexec_b64 s[42:43], s[4:5]
	s_cbranch_execz .LBB180_59
; %bb.56:                               ;   in Loop: Header=BB180_13 Depth=1
	v_and_b32_e32 v15, 0xffff, v43
	v_and_b32_e32 v44, 0x7f, v15
	v_cmp_ne_u32_e64 s[4:5], s53, v44
	v_mov_b32_e32 v42, 0x7f800001
	s_and_saveexec_b64 s[44:45], s[4:5]
	s_cbranch_execz .LBB180_58
; %bb.57:                               ;   in Loop: Header=BB180_13 Depth=1
	v_and_b32_e32 v42, 7, v15
	v_ffbh_u32_e32 v45, v42
	v_min_u32_e32 v48, 32, v45
	v_subrev_u32_e32 v45, 28, v48
	v_lshlrev_b64 v[45:46], v45, v[15:16]
	v_lshrrev_b32_e32 v47, 3, v44
	v_sub_u32_e32 v15, 29, v48
	v_and_b32_e32 v45, 7, v45
	v_cmp_gt_u32_e64 s[4:5], 8, v44
	v_cndmask_b32_e64 v15, v47, v15, s[4:5]
	v_cndmask_b32_e64 v42, v42, v45, s[4:5]
	v_lshlrev_b32_e32 v43, 24, v43
	v_lshlrev_b32_e32 v42, 20, v42
	v_and_b32_e32 v43, 0x80000000, v43
	v_lshl_add_u32 v15, v15, 23, v32
	v_or3_b32 v42, v43, v15, v42
.LBB180_58:                             ;   in Loop: Header=BB180_13 Depth=1
	s_or_b64 exec, exec, s[44:45]
.LBB180_59:                             ;   in Loop: Header=BB180_13 Depth=1
	s_or_b64 exec, exec, s[42:43]
.LBB180_60:                             ;   in Loop: Header=BB180_13 Depth=1
	s_or_b64 exec, exec, s[40:41]
	global_load_ubyte v14, v[13:14], off offset:268
	s_waitcnt vmcnt(0)
	v_cmp_ne_u16_e64 s[4:5], 0, v14
	s_and_saveexec_b64 s[40:41], s[4:5]
	s_cbranch_execz .LBB180_66
; %bb.61:                               ;   in Loop: Header=BB180_13 Depth=1
	v_cmp_ne_u16_e64 s[4:5], s52, v14
	v_bfrev_b32_e32 v41, 1
	s_and_saveexec_b64 s[42:43], s[4:5]
	s_cbranch_execz .LBB180_65
; %bb.62:                               ;   in Loop: Header=BB180_13 Depth=1
	v_and_b32_e32 v13, 0xffff, v14
	v_and_b32_e32 v15, 0x7f, v13
	v_cmp_ne_u32_e64 s[4:5], s53, v15
	v_mov_b32_e32 v41, 0x7f800001
	s_and_saveexec_b64 s[44:45], s[4:5]
	s_cbranch_execz .LBB180_64
; %bb.63:                               ;   in Loop: Header=BB180_13 Depth=1
	v_and_b32_e32 v41, 7, v13
	v_ffbh_u32_e32 v43, v41
	v_min_u32_e32 v46, 32, v43
	v_subrev_u32_e32 v43, 28, v46
	v_lshlrev_b64 v[43:44], v43, v[13:14]
	v_lshrrev_b32_e32 v45, 3, v15
	v_sub_u32_e32 v13, 29, v46
	v_and_b32_e32 v43, 7, v43
	v_cmp_gt_u32_e64 s[4:5], 8, v15
	v_cndmask_b32_e64 v13, v45, v13, s[4:5]
	v_cndmask_b32_e64 v15, v41, v43, s[4:5]
	v_lshlrev_b32_e32 v14, 24, v14
	v_lshlrev_b32_e32 v15, 20, v15
	v_and_b32_e32 v14, 0x80000000, v14
	v_lshl_add_u32 v13, v13, 23, v32
	v_or3_b32 v41, v14, v13, v15
.LBB180_64:                             ;   in Loop: Header=BB180_13 Depth=1
	s_or_b64 exec, exec, s[44:45]
.LBB180_65:                             ;   in Loop: Header=BB180_13 Depth=1
	s_or_b64 exec, exec, s[42:43]
.LBB180_66:                             ;   in Loop: Header=BB180_13 Depth=1
	s_or_b64 exec, exec, s[40:41]
	s_waitcnt lgkmcnt(0)
	v_mul_f32_e32 v35, s54, v35
	v_mul_f32_e32 v36, s54, v36
	;; [unrolled: 1-line block ×4, first 2 shown]
	v_fmac_f32_e32 v6, v5, v36
	v_mul_f32_e32 v37, s54, v37
	v_fmac_f32_e32 v6, v7, v38
	v_mul_f32_e32 v14, s54, v39
	v_mul_f32_e32 v15, s54, v40
	v_and_b32_e32 v39, 64, v33
	v_fmac_f32_e32 v6, v8, v37
	v_add_u32_e32 v39, 64, v39
	v_xor_b32_e32 v40, 2, v33
	v_fmac_f32_e32 v6, v1, v15
	v_mul_f32_e32 v13, s54, v42
	v_cmp_lt_i32_e64 s[4:5], v40, v39
	v_fmac_f32_e32 v6, v2, v14
	v_cndmask_b32_e64 v40, v33, v40, s[4:5]
	v_mul_f32_e32 v41, s54, v41
	v_fmac_f32_e32 v6, v3, v13
	v_lshlrev_b32_e32 v40, 2, v40
	v_fmac_f32_e32 v6, v4, v41
	ds_bpermute_b32 v1, v40, v6
	v_xor_b32_e32 v2, 1, v33
	v_cmp_lt_i32_e64 s[4:5], v2, v39
	v_cndmask_b32_e64 v2, v33, v2, s[4:5]
	v_lshlrev_b32_e32 v2, 2, v2
	s_waitcnt lgkmcnt(0)
	v_add_f32_e32 v1, v6, v1
	ds_bpermute_b32 v2, v2, v1
	s_and_saveexec_b64 s[40:41], vcc
	s_cbranch_execz .LBB180_11
; %bb.67:                               ;   in Loop: Header=BB180_13 Depth=1
	v_add_u32_e32 v3, v29, v23
	v_cvt_f32_i32_e32 v3, v3
	s_waitcnt lgkmcnt(0)
	v_add_f32_e32 v1, v1, v2
	v_add_u32_e32 v4, v19, v23
	v_cmp_gt_i32_e64 s[4:5], s11, v4
	v_mul_f32_e32 v2, s48, v3
	v_cndmask_b32_e64 v2, 0, v2, s[2:3]
	v_fmac_f32_e32 v2, s37, v1
	v_cndmask_b32_e64 v1, 0, v2, s[4:5]
	ds_write_b32 v30, v1
	v_max_f32_e32 v1, v21, v21
	v_max_f32_e32 v1, v1, v2
	v_cndmask_b32_e64 v21, v21, v1, s[4:5]
	s_branch .LBB180_11
.LBB180_68:
	s_or_b64 exec, exec, s[38:39]
.LBB180_69:
	s_or_b64 exec, exec, s[18:19]
	v_mbcnt_hi_u32_b32 v1, -1, v18
	v_and_b32_e32 v9, 64, v1
	s_waitcnt lgkmcnt(0)
	v_add_u32_e32 v2, 64, v9
	v_xor_b32_e32 v3, 32, v1
	v_cmp_lt_i32_e32 vcc, v3, v2
	v_cndmask_b32_e32 v3, v1, v3, vcc
	v_lshlrev_b32_e32 v3, 2, v3
	ds_bpermute_b32 v4, v3, v21
	v_xor_b32_e32 v6, 16, v1
	v_max_f32_e32 v5, v21, v21
	v_cmp_lt_i32_e32 vcc, v6, v2
	v_xor_b32_e32 v7, 8, v1
	s_waitcnt lgkmcnt(0)
	v_max_f32_e32 v4, v4, v4
	v_max_f32_e32 v5, v5, v4
	v_cndmask_b32_e32 v4, v1, v6, vcc
	v_lshlrev_b32_e32 v4, 2, v4
	ds_bpermute_b32 v6, v4, v5
	v_cmp_lt_i32_e32 vcc, v7, v2
	v_xor_b32_e32 v8, 4, v1
	v_and_b32_e32 v29, 63, v0
	s_waitcnt lgkmcnt(0)
	v_max_f32_e32 v6, v6, v6
	v_max_f32_e32 v5, v5, v6
	v_cndmask_b32_e32 v6, v1, v7, vcc
	v_lshlrev_b32_e32 v7, 2, v6
	ds_bpermute_b32 v6, v7, v5
	v_cmp_lt_i32_e32 vcc, v8, v2
	s_waitcnt lgkmcnt(0)
	v_max_f32_e32 v6, v6, v6
	v_max_f32_e32 v6, v5, v6
	v_cndmask_b32_e32 v5, v1, v8, vcc
	v_lshlrev_b32_e32 v8, 2, v5
	ds_bpermute_b32 v10, v8, v6
	v_cmp_eq_u32_e32 vcc, 0, v29
	v_lshlrev_b32_e32 v5, 2, v27
	s_and_saveexec_b64 s[2:3], vcc
	s_cbranch_execz .LBB180_71
; %bb.70:
	s_waitcnt lgkmcnt(0)
	v_max_f32_e32 v10, v10, v10
	v_max_f32_e32 v6, v6, v6
	;; [unrolled: 1-line block ×3, first 2 shown]
	ds_write_b32 v5, v6 offset:128
.LBB180_71:
	s_or_b64 exec, exec, s[2:3]
	v_cmp_gt_u32_e64 s[2:3], 2, v29
	s_waitcnt lgkmcnt(0)
	v_mov_b32_e32 v10, 0xff7fffff
	v_lshlrev_b32_e32 v6, 2, v29
	s_barrier
	s_and_saveexec_b64 s[4:5], s[2:3]
; %bb.72:
	ds_read_b32 v10, v6 offset:128
; %bb.73:
	s_or_b64 exec, exec, s[4:5]
	v_xor_b32_e32 v11, 1, v1
	v_cmp_lt_i32_e64 s[4:5], v11, v2
	v_cndmask_b32_e64 v11, v1, v11, s[4:5]
	v_lshlrev_b32_e32 v30, 2, v11
	s_waitcnt lgkmcnt(0)
	ds_bpermute_b32 v11, v30, v10
	v_max_f32_e32 v10, v10, v10
	v_lshlrev_b32_e32 v9, 2, v9
	s_lshl_b32 s4, s46, 4
	s_min_i32 s37, s4, s11
	s_waitcnt lgkmcnt(0)
	v_max_f32_e32 v11, v11, v11
	v_max_f32_e32 v10, v10, v11
	ds_bpermute_b32 v10, v9, v10
	v_cmp_gt_i32_e64 s[4:5], s37, v0
	v_mov_b32_e32 v9, 0
	s_and_saveexec_b64 s[12:13], s[4:5]
	s_cbranch_execz .LBB180_77
; %bb.74:
	v_mov_b32_e32 v9, 0x90
	v_lshl_add_u32 v11, v0, 2, v9
	v_mov_b32_e32 v9, 0
	s_mov_b64 s[18:19], 0
	v_mov_b32_e32 v12, v0
.LBB180_75:                             ; =>This Inner Loop Header: Depth=1
	ds_read_b32 v13, v11
	v_add_u32_e32 v12, 0x80, v12
	v_cmp_le_i32_e64 s[6:7], s37, v12
	s_or_b64 s[18:19], s[6:7], s[18:19]
	s_waitcnt lgkmcnt(0)
	v_sub_f32_e32 v13, v13, v10
	v_mul_f32_e32 v13, 0x3fb8aa3b, v13
	v_exp_f32_e32 v13, v13
	ds_write_b32 v11, v13
	v_add_f32_e32 v9, v9, v13
	v_add_u32_e32 v11, 0x200, v11
	s_andn2_b64 exec, exec, s[18:19]
	s_cbranch_execnz .LBB180_75
; %bb.76:
	s_or_b64 exec, exec, s[18:19]
.LBB180_77:
	s_or_b64 exec, exec, s[12:13]
	ds_bpermute_b32 v3, v3, v9
	s_waitcnt lgkmcnt(0)
	v_add_f32_e32 v3, v9, v3
	ds_bpermute_b32 v4, v4, v3
	s_waitcnt lgkmcnt(0)
	v_add_f32_e32 v3, v3, v4
	ds_bpermute_b32 v4, v7, v3
	v_xor_b32_e32 v7, 2, v1
	v_cmp_lt_i32_e64 s[6:7], v7, v2
	v_cndmask_b32_e64 v2, v1, v7, s[6:7]
	v_lshlrev_b32_e32 v31, 2, v2
	s_waitcnt lgkmcnt(0)
	v_add_f32_e32 v3, v3, v4
	ds_bpermute_b32 v4, v8, v3
	s_waitcnt lgkmcnt(0)
	v_add_f32_e32 v3, v3, v4
	ds_bpermute_b32 v2, v31, v3
	;; [unrolled: 3-line block ×3, first 2 shown]
	s_waitcnt lgkmcnt(0)
	v_add_f32_e32 v2, v2, v3
	s_and_saveexec_b64 s[6:7], vcc
; %bb.78:
	ds_write_b32 v5, v2 offset:136
; %bb.79:
	s_or_b64 exec, exec, s[6:7]
	s_waitcnt lgkmcnt(0)
	s_barrier
	s_and_saveexec_b64 s[6:7], s[2:3]
; %bb.80:
	ds_read_b32 v2, v6 offset:136
; %bb.81:
	s_or_b64 exec, exec, s[6:7]
	s_waitcnt lgkmcnt(0)
	ds_bpermute_b32 v3, v30, v2
	v_lshlrev_b32_e32 v1, 2, v1
	v_and_b32_e32 v1, 0x100, v1
	s_waitcnt lgkmcnt(0)
	v_add_f32_e32 v2, v2, v3
	ds_bpermute_b32 v1, v1, v2
	s_and_saveexec_b64 s[2:3], s[4:5]
	s_cbranch_execz .LBB180_84
; %bb.82:
	s_waitcnt lgkmcnt(0)
	v_add_f32_e32 v2, 0x358637bd, v1
	v_div_scale_f32 v1, s[4:5], v2, v2, 1.0
	v_div_scale_f32 v3, vcc, 1.0, v2, 1.0
	s_mov_b64 s[4:5], 0
	v_rcp_f32_e32 v4, v1
	v_fma_f32 v5, -v1, v4, 1.0
	v_fmac_f32_e32 v4, v5, v4
	v_mul_f32_e32 v5, v3, v4
	v_fma_f32 v6, -v1, v5, v3
	v_fmac_f32_e32 v5, v6, v4
	v_fma_f32 v1, -v1, v5, v3
	v_div_fmas_f32 v3, v1, v4, v5
	v_mov_b32_e32 v1, 0x90
	v_lshl_add_u32 v1, v0, 2, v1
	v_div_fixup_f32 v2, v3, v2, 1.0
	v_mov_b32_e32 v3, v0
.LBB180_83:                             ; =>This Inner Loop Header: Depth=1
	ds_read_b32 v4, v1
	v_add_u32_e32 v3, 0x80, v3
	v_cmp_le_i32_e32 vcc, s37, v3
	s_or_b64 s[4:5], vcc, s[4:5]
	s_waitcnt lgkmcnt(0)
	v_mul_f32_e32 v4, v2, v4
	ds_write_b32 v1, v4
	v_add_u32_e32 v1, 0x200, v1
	s_andn2_b64 exec, exec, s[4:5]
	s_cbranch_execnz .LBB180_83
.LBB180_84:
	s_or_b64 exec, exec, s[2:3]
	v_mov_b32_e32 v34, 0
	v_mov_b32_e32 v33, 0
	s_waitcnt lgkmcnt(0)
	s_barrier
	s_and_saveexec_b64 s[2:3], s[0:1]
	s_cbranch_execz .LBB180_142
; %bb.85:
	s_sub_i32 s21, s16, s21
	s_ashr_i32 s0, s47, 31
	s_add_u32 s4, s34, s47
	s_addc_u32 s5, s35, s0
	s_abs_i32 s22, s22
	v_cvt_f32_u32_e32 v1, s22
	s_sub_i32 s0, 0, s22
	v_and_b32_e32 v2, 0xfc, v16
	s_add_i32 s35, s46, -1
	v_rcp_iflag_f32_e32 v1, v1
	v_mov_b32_e32 v6, s5
	v_add_co_u32_e32 v7, vcc, s4, v2
	v_mul_f32_e32 v1, 0x4f7ffffe, v1
	v_cvt_u32_f32_e32 v1, v1
	v_and_b32_e32 v3, 60, v17
	v_addc_co_u32_e32 v8, vcc, 0, v6, vcc
	v_mul_lo_u32 v4, s0, v1
	s_lshl_b64 s[0:1], s[30:31], 2
	s_add_u32 s0, s28, s0
	s_addc_u32 s1, s29, s1
	v_mul_hi_u32 v4, v1, v4
	v_add_co_u32_e32 v9, vcc, s0, v3
	v_mov_b32_e32 v5, 0
	v_add_u32_e32 v35, v1, v4
	v_mov_b32_e32 v1, s1
	v_addc_co_u32_e32 v10, vcc, 0, v1, vcc
	v_lshlrev_b32_e32 v1, 4, v26
	v_lshl_or_b32 v1, v27, 6, v1
	v_and_b32_e32 v32, 12, v16
	s_mov_b32 s34, s17
	v_add_u32_e32 v36, 0x90, v1
	s_mov_b64 s[4:5], 0
	s_movk_i32 s28, 0x80
	s_movk_i32 s29, 0x7f
	s_brev_b32 s30, 1
	s_mov_b32 s31, 0xffffff
	v_bfrev_b32_e32 v37, 60
	v_bfrev_b32_e32 v6, 1
	v_mov_b32_e32 v12, 0x7f800001
	v_mov_b32_e32 v38, 7
	;; [unrolled: 1-line block ×5, first 2 shown]
	s_branch .LBB180_88
.LBB180_86:                             ;   in Loop: Header=BB180_88 Depth=1
	s_or_b64 exec, exec, s[0:1]
	v_mul_f32_e32 v16, v1, v41
	v_mul_f32_e32 v1, v1, v15
	v_fmac_f32_e32 v16, v2, v40
	v_fmac_f32_e32 v1, v2, v11
	;; [unrolled: 1-line block ×6, first 2 shown]
	v_add_f32_e32 v34, v34, v16
	v_add_f32_e32 v33, v33, v1
.LBB180_87:                             ;   in Loop: Header=BB180_88 Depth=1
	s_or_b64 exec, exec, s[6:7]
	v_add_co_u32_e32 v9, vcc, 8, v9
	v_add_u32_e32 v27, 2, v27
	v_addc_co_u32_e32 v10, vcc, 0, v10, vcc
	v_cmp_le_i32_e32 vcc, s46, v27
	v_add_u32_e32 v28, 32, v28
	s_or_b64 s[4:5], vcc, s[4:5]
	v_add_u32_e32 v36, 0x80, v36
	s_andn2_b64 exec, exec, s[4:5]
	s_cbranch_execz .LBB180_141
.LBB180_88:                             ; =>This Inner Loop Header: Depth=1
	v_mul_hi_u32 v1, v28, s33
	v_mul_lo_u32 v2, v1, s25
	v_add_u32_e32 v3, 1, v1
	v_sub_u32_e32 v2, v28, v2
	v_cmp_le_u32_e32 vcc, s25, v2
	v_cndmask_b32_e32 v1, v1, v3, vcc
	v_subrev_u32_e32 v3, s25, v2
	v_cndmask_b32_e32 v2, v2, v3, vcc
	v_add_u32_e32 v3, 1, v1
	v_cmp_le_u32_e32 vcc, s25, v2
	v_cndmask_b32_e32 v1, v1, v3, vcc
	v_xor_b32_e32 v1, s23, v1
	v_subrev_u32_e32 v1, s23, v1
	v_add_u32_e32 v2, s36, v1
	v_sub_u32_e32 v3, 0, v2
	v_max_i32_e32 v3, v2, v3
	v_mul_hi_u32 v4, v3, v35
	v_ashrrev_i32_e32 v2, 31, v2
	v_cmp_lt_i32_e64 s[0:1], s21, v1
	v_mul_lo_u32 v4, v4, s22
	v_sub_u32_e32 v3, v3, v4
	v_subrev_u32_e32 v4, s22, v3
	v_cmp_le_u32_e32 vcc, s22, v3
	v_cndmask_b32_e32 v3, v3, v4, vcc
	v_subrev_u32_e32 v4, s22, v3
	v_cmp_le_u32_e32 vcc, s22, v3
	v_cndmask_b32_e32 v3, v3, v4, vcc
	v_xor_b32_e32 v3, v3, v2
	v_sub_u32_e32 v2, v3, v2
	v_cmp_eq_u32_e32 vcc, 0, v2
	s_or_b64 s[0:1], vcc, s[0:1]
	s_and_saveexec_b64 s[6:7], s[0:1]
	s_cbranch_execz .LBB180_87
; %bb.89:                               ;   in Loop: Header=BB180_88 Depth=1
	global_load_dword v1, v[9:10], off
	s_load_dword s37, s[14:15], 0x0
	v_mov_b32_e32 v18, 0
	v_mov_b32_e32 v16, 0
	;; [unrolled: 1-line block ×4, first 2 shown]
	s_waitcnt vmcnt(0)
	v_mad_i64_i32 v[13:14], s[0:1], v1, s34, v[7:8]
	ds_read_b128 v[1:4], v36
	global_load_dword v15, v[13:14], off
	s_waitcnt vmcnt(0)
	v_cmp_ne_u16_sdwa s[12:13], v15, v5 src0_sel:BYTE_0 src1_sel:DWORD
	s_and_saveexec_b64 s[0:1], s[12:13]
	s_cbranch_execz .LBB180_95
; %bb.90:                               ;   in Loop: Header=BB180_88 Depth=1
	v_bfrev_b32_e32 v16, 1
	v_mov_b32_e32 v17, 0
	v_cmp_ne_u16_sdwa s[16:17], v15, s28 src0_sel:BYTE_0 src1_sel:DWORD
	s_and_saveexec_b64 s[12:13], s[16:17]
	s_cbranch_execz .LBB180_94
; %bb.91:                               ;   in Loop: Header=BB180_88 Depth=1
	v_and_b32_e32 v11, 0x7f, v15
	v_mov_b32_e32 v16, 0x7f800001
	v_mov_b32_e32 v17, 0
	v_cmp_ne_u32_e32 vcc, s29, v11
	s_and_saveexec_b64 s[16:17], vcc
	s_cbranch_execz .LBB180_93
; %bb.92:                               ;   in Loop: Header=BB180_88 Depth=1
	v_and_b32_e32 v20, 7, v15
	v_ffbh_u32_e32 v16, v20
	v_min_u32_e32 v22, 32, v16
	v_subrev_u32_e32 v16, 28, v22
	v_lshlrev_b64 v[16:17], v16, v[15:16]
	v_lshrrev_b32_e32 v21, 3, v11
	v_sub_u32_e32 v17, 29, v22
	v_and_b32_e32 v16, 7, v16
	v_cmp_gt_u32_e32 vcc, 8, v11
	v_cndmask_b32_e32 v11, v21, v17, vcc
	v_cndmask_b32_e32 v16, v20, v16, vcc
	v_lshlrev_b32_e32 v16, 20, v16
	v_and_b32_sdwa v17, sext(v15), s30 dst_sel:DWORD dst_unused:UNUSED_PAD src0_sel:BYTE_0 src1_sel:DWORD
	v_lshl_add_u32 v11, v11, 23, v37
	v_or3_b32 v16, v17, v11, v16
	v_mov_b32_e32 v17, v5
.LBB180_93:                             ;   in Loop: Header=BB180_88 Depth=1
	s_or_b64 exec, exec, s[16:17]
.LBB180_94:                             ;   in Loop: Header=BB180_88 Depth=1
	s_or_b64 exec, exec, s[12:13]
.LBB180_95:                             ;   in Loop: Header=BB180_88 Depth=1
	s_or_b64 exec, exec, s[0:1]
	v_cmp_ne_u16_sdwa s[12:13], v15, v5 src0_sel:BYTE_1 src1_sel:DWORD
	s_and_saveexec_b64 s[0:1], s[12:13]
	s_cbranch_execz .LBB180_101
; %bb.96:                               ;   in Loop: Header=BB180_88 Depth=1
	v_mov_b32_e32 v19, v6
	v_cmp_ne_u16_sdwa s[16:17], v15, s28 src0_sel:BYTE_1 src1_sel:DWORD
	v_mov_b32_e32 v18, v5
	s_and_saveexec_b64 s[12:13], s[16:17]
	s_cbranch_execz .LBB180_100
; %bb.97:                               ;   in Loop: Header=BB180_88 Depth=1
	v_and_b32_sdwa v20, v15, s29 dst_sel:DWORD dst_unused:UNUSED_PAD src0_sel:BYTE_1 src1_sel:DWORD
	v_mov_b32_e32 v11, v5
	v_mov_b32_e32 v19, v12
	v_cmp_ne_u32_e32 vcc, s29, v20
	v_mov_b32_e32 v18, v11
	s_and_saveexec_b64 s[16:17], vcc
	s_cbranch_execz .LBB180_99
; %bb.98:                               ;   in Loop: Header=BB180_88 Depth=1
	v_and_b32_sdwa v18, v15, v38 dst_sel:DWORD dst_unused:UNUSED_PAD src0_sel:BYTE_1 src1_sel:DWORD
	v_ffbh_u32_e32 v21, v18
	v_min_u32_e32 v23, 32, v21
	v_mov_b32_e32 v19, v5
	v_subrev_u32_e32 v21, 28, v23
	v_lshlrev_b64 v[21:22], v21, v[18:19]
	v_lshrrev_b32_e32 v11, 3, v20
	v_sub_u32_e32 v19, 29, v23
	v_cmp_gt_u32_e32 vcc, 8, v20
	v_and_b32_e32 v21, 7, v21
	v_cndmask_b32_e32 v11, v11, v19, vcc
	v_cndmask_b32_e32 v18, v18, v21, vcc
	v_lshlrev_b32_e32 v19, 16, v15
	v_lshl_add_u32 v11, v11, 23, v37
	v_and_or_b32 v11, v19, s30, v11
	v_lshlrev_b32_e32 v18, 20, v18
	v_or_b32_e32 v19, v11, v18
	v_mov_b32_e32 v18, v5
.LBB180_99:                             ;   in Loop: Header=BB180_88 Depth=1
	s_or_b64 exec, exec, s[16:17]
.LBB180_100:                            ;   in Loop: Header=BB180_88 Depth=1
	s_or_b64 exec, exec, s[12:13]
.LBB180_101:                            ;   in Loop: Header=BB180_88 Depth=1
	s_or_b64 exec, exec, s[0:1]
	v_lshrrev_b32_e32 v11, 16, v15
	v_mov_b32_e32 v22, 0
	v_mov_b32_e32 v20, 0
	;; [unrolled: 1-line block ×4, first 2 shown]
	v_cmp_ne_u16_sdwa s[12:13], v11, v5 src0_sel:BYTE_0 src1_sel:DWORD
	s_and_saveexec_b64 s[0:1], s[12:13]
	s_cbranch_execz .LBB180_107
; %bb.102:                              ;   in Loop: Header=BB180_88 Depth=1
	v_bfrev_b32_e32 v20, 1
	v_mov_b32_e32 v21, 0
	v_cmp_ne_u16_sdwa s[16:17], v11, s28 src0_sel:BYTE_0 src1_sel:DWORD
	s_and_saveexec_b64 s[12:13], s[16:17]
	s_cbranch_execz .LBB180_106
; %bb.103:                              ;   in Loop: Header=BB180_88 Depth=1
	v_bfe_u32 v40, v15, 16, 7
	v_mov_b32_e32 v20, 0x7f800001
	v_mov_b32_e32 v21, 0
	v_cmp_ne_u32_e32 vcc, s29, v40
	s_and_saveexec_b64 s[16:17], vcc
	s_cbranch_execz .LBB180_105
; %bb.104:                              ;   in Loop: Header=BB180_88 Depth=1
	v_and_b32_e32 v41, 7, v11
	v_ffbh_u32_e32 v20, v41
	v_min_u32_e32 v43, 32, v20
	v_subrev_u32_e32 v20, 28, v43
	v_lshlrev_b64 v[20:21], v20, v[11:12]
	v_lshrrev_b32_e32 v42, 3, v40
	v_sub_u32_e32 v21, 29, v43
	v_and_b32_e32 v20, 7, v20
	v_cmp_gt_u32_e32 vcc, 8, v40
	v_cndmask_b32_e32 v21, v42, v21, vcc
	v_cndmask_b32_e32 v20, v41, v20, vcc
	v_lshlrev_b32_e32 v20, 20, v20
	v_and_b32_sdwa v11, sext(v11), s30 dst_sel:DWORD dst_unused:UNUSED_PAD src0_sel:BYTE_0 src1_sel:DWORD
	v_lshl_add_u32 v21, v21, 23, v37
	v_or3_b32 v20, v11, v21, v20
	v_mov_b32_e32 v21, v5
.LBB180_105:                            ;   in Loop: Header=BB180_88 Depth=1
	s_or_b64 exec, exec, s[16:17]
.LBB180_106:                            ;   in Loop: Header=BB180_88 Depth=1
	s_or_b64 exec, exec, s[12:13]
.LBB180_107:                            ;   in Loop: Header=BB180_88 Depth=1
	s_or_b64 exec, exec, s[0:1]
	v_cmp_lt_u32_e32 vcc, s31, v15
	s_and_saveexec_b64 s[0:1], vcc
	s_cbranch_execz .LBB180_113
; %bb.108:                              ;   in Loop: Header=BB180_88 Depth=1
	v_mov_b32_e32 v23, v6
	v_cmp_ne_u32_sdwa s[16:17], v15, s28 src0_sel:BYTE_3 src1_sel:DWORD
	v_mov_b32_e32 v22, v5
	s_and_saveexec_b64 s[12:13], s[16:17]
	s_cbranch_execz .LBB180_112
; %bb.109:                              ;   in Loop: Header=BB180_88 Depth=1
	v_bfe_u32 v40, v15, 24, 7
	v_mov_b32_e32 v11, v5
	v_mov_b32_e32 v23, v12
	v_cmp_ne_u32_e32 vcc, s29, v40
	v_mov_b32_e32 v22, v11
	s_and_saveexec_b64 s[16:17], vcc
	s_cbranch_execz .LBB180_111
; %bb.110:                              ;   in Loop: Header=BB180_88 Depth=1
	v_and_b32_sdwa v22, v15, v38 dst_sel:DWORD dst_unused:UNUSED_PAD src0_sel:BYTE_3 src1_sel:DWORD
	v_ffbh_u32_e32 v41, v22
	v_min_u32_e32 v43, 32, v41
	v_mov_b32_e32 v23, v5
	v_subrev_u32_e32 v41, 28, v43
	v_lshlrev_b64 v[41:42], v41, v[22:23]
	v_lshrrev_b32_e32 v11, 3, v40
	v_sub_u32_e32 v23, 29, v43
	v_cmp_gt_u32_e32 vcc, 8, v40
	v_and_b32_e32 v41, 7, v41
	v_cndmask_b32_e32 v11, v11, v23, vcc
	v_cndmask_b32_e32 v22, v22, v41, vcc
	v_lshlrev_b32_sdwa v15, v39, v15 dst_sel:DWORD dst_unused:UNUSED_PAD src0_sel:DWORD src1_sel:BYTE_3
	v_lshl_add_u32 v11, v11, 23, v37
	v_and_or_b32 v11, v15, s30, v11
	v_lshlrev_b32_e32 v15, 20, v22
	v_or_b32_e32 v23, v11, v15
	v_mov_b32_e32 v22, v5
.LBB180_111:                            ;   in Loop: Header=BB180_88 Depth=1
	s_or_b64 exec, exec, s[16:17]
.LBB180_112:                            ;   in Loop: Header=BB180_88 Depth=1
	s_or_b64 exec, exec, s[12:13]
.LBB180_113:                            ;   in Loop: Header=BB180_88 Depth=1
	s_or_b64 exec, exec, s[0:1]
	v_or_b32_e32 v11, v19, v17
	v_or_b32_e32 v15, v18, v16
	v_add_u32_e32 v42, v32, v28
	s_waitcnt lgkmcnt(0)
	v_mul_f32_e32 v40, s37, v11
	v_mul_f32_e32 v41, s37, v15
	v_or_b32_e32 v11, v23, v21
	v_or_b32_e32 v15, v22, v20
	v_cmp_eq_u32_e32 vcc, s35, v27
	v_mul_f32_e32 v23, s37, v15
	v_mul_f32_e32 v22, s37, v11
	v_add_u32_e32 v45, 1, v42
	v_add_u32_e32 v44, 2, v42
	;; [unrolled: 1-line block ×3, first 2 shown]
	s_and_saveexec_b64 s[12:13], vcc
; %bb.114:                              ;   in Loop: Header=BB180_88 Depth=1
	v_cmp_gt_i32_e64 s[0:1], s11, v42
	v_cndmask_b32_e64 v41, 0, v41, s[0:1]
	v_cmp_gt_i32_e64 s[0:1], s11, v45
	v_cndmask_b32_e64 v40, 0, v40, s[0:1]
	v_cmp_gt_i32_e64 s[0:1], s11, v44
	v_cndmask_b32_e64 v23, 0, v23, s[0:1]
	v_cmp_gt_i32_e64 s[0:1], s11, v43
	v_cndmask_b32_e64 v22, 0, v22, s[0:1]
; %bb.115:                              ;   in Loop: Header=BB180_88 Depth=1
	s_or_b64 exec, exec, s[12:13]
	global_load_dword v13, v[13:14], off offset:256
	v_mov_b32_e32 v16, 0
	v_mov_b32_e32 v14, 0
	;; [unrolled: 1-line block ×4, first 2 shown]
	s_waitcnt vmcnt(0)
	v_cmp_ne_u16_sdwa s[0:1], v13, v5 src0_sel:BYTE_0 src1_sel:DWORD
	s_and_saveexec_b64 s[12:13], s[0:1]
	s_cbranch_execz .LBB180_121
; %bb.116:                              ;   in Loop: Header=BB180_88 Depth=1
	v_bfrev_b32_e32 v14, 1
	v_mov_b32_e32 v15, 0
	v_cmp_ne_u16_sdwa s[0:1], v13, s28 src0_sel:BYTE_0 src1_sel:DWORD
	s_and_saveexec_b64 s[16:17], s[0:1]
	s_cbranch_execz .LBB180_120
; %bb.117:                              ;   in Loop: Header=BB180_88 Depth=1
	v_and_b32_e32 v11, 0x7f, v13
	v_mov_b32_e32 v14, 0x7f800001
	v_mov_b32_e32 v15, 0
	v_cmp_ne_u32_e64 s[0:1], s29, v11
	s_and_saveexec_b64 s[18:19], s[0:1]
	s_cbranch_execz .LBB180_119
; %bb.118:                              ;   in Loop: Header=BB180_88 Depth=1
	v_and_b32_e32 v18, 7, v13
	v_ffbh_u32_e32 v14, v18
	v_min_u32_e32 v20, 32, v14
	v_subrev_u32_e32 v14, 28, v20
	v_lshlrev_b64 v[14:15], v14, v[13:14]
	v_lshrrev_b32_e32 v19, 3, v11
	v_sub_u32_e32 v15, 29, v20
	v_and_b32_e32 v14, 7, v14
	v_cmp_gt_u32_e64 s[0:1], 8, v11
	v_cndmask_b32_e64 v11, v19, v15, s[0:1]
	v_cndmask_b32_e64 v14, v18, v14, s[0:1]
	v_lshlrev_b32_e32 v14, 20, v14
	v_and_b32_sdwa v15, sext(v13), s30 dst_sel:DWORD dst_unused:UNUSED_PAD src0_sel:BYTE_0 src1_sel:DWORD
	v_lshl_add_u32 v11, v11, 23, v37
	v_or3_b32 v14, v15, v11, v14
	v_mov_b32_e32 v15, v5
.LBB180_119:                            ;   in Loop: Header=BB180_88 Depth=1
	s_or_b64 exec, exec, s[18:19]
.LBB180_120:                            ;   in Loop: Header=BB180_88 Depth=1
	s_or_b64 exec, exec, s[16:17]
.LBB180_121:                            ;   in Loop: Header=BB180_88 Depth=1
	s_or_b64 exec, exec, s[12:13]
	v_cmp_ne_u16_sdwa s[0:1], v13, v5 src0_sel:BYTE_1 src1_sel:DWORD
	s_and_saveexec_b64 s[12:13], s[0:1]
	s_cbranch_execz .LBB180_127
; %bb.122:                              ;   in Loop: Header=BB180_88 Depth=1
	v_mov_b32_e32 v17, v6
	v_cmp_ne_u16_sdwa s[0:1], v13, s28 src0_sel:BYTE_1 src1_sel:DWORD
	v_mov_b32_e32 v16, v5
	s_and_saveexec_b64 s[16:17], s[0:1]
	s_cbranch_execz .LBB180_126
; %bb.123:                              ;   in Loop: Header=BB180_88 Depth=1
	v_and_b32_sdwa v18, v13, s29 dst_sel:DWORD dst_unused:UNUSED_PAD src0_sel:BYTE_1 src1_sel:DWORD
	v_mov_b32_e32 v11, v5
	v_mov_b32_e32 v17, v12
	v_cmp_ne_u32_e64 s[0:1], s29, v18
	v_mov_b32_e32 v16, v11
	s_and_saveexec_b64 s[18:19], s[0:1]
	s_cbranch_execz .LBB180_125
; %bb.124:                              ;   in Loop: Header=BB180_88 Depth=1
	v_and_b32_sdwa v16, v13, v38 dst_sel:DWORD dst_unused:UNUSED_PAD src0_sel:BYTE_1 src1_sel:DWORD
	v_ffbh_u32_e32 v19, v16
	v_min_u32_e32 v21, 32, v19
	v_mov_b32_e32 v17, v5
	v_subrev_u32_e32 v19, 28, v21
	v_lshlrev_b64 v[19:20], v19, v[16:17]
	v_lshrrev_b32_e32 v11, 3, v18
	v_sub_u32_e32 v17, 29, v21
	v_cmp_gt_u32_e64 s[0:1], 8, v18
	v_and_b32_e32 v19, 7, v19
	v_cndmask_b32_e64 v11, v11, v17, s[0:1]
	v_cndmask_b32_e64 v16, v16, v19, s[0:1]
	v_lshlrev_b32_e32 v17, 16, v13
	v_lshl_add_u32 v11, v11, 23, v37
	v_and_or_b32 v11, v17, s30, v11
	v_lshlrev_b32_e32 v16, 20, v16
	v_or_b32_e32 v17, v11, v16
	v_mov_b32_e32 v16, v5
.LBB180_125:                            ;   in Loop: Header=BB180_88 Depth=1
	s_or_b64 exec, exec, s[18:19]
.LBB180_126:                            ;   in Loop: Header=BB180_88 Depth=1
	s_or_b64 exec, exec, s[16:17]
.LBB180_127:                            ;   in Loop: Header=BB180_88 Depth=1
	s_or_b64 exec, exec, s[12:13]
	v_lshrrev_b32_e32 v11, 16, v13
	v_mov_b32_e32 v20, 0
	v_mov_b32_e32 v18, 0
	;; [unrolled: 1-line block ×4, first 2 shown]
	v_cmp_ne_u16_sdwa s[0:1], v11, v5 src0_sel:BYTE_0 src1_sel:DWORD
	s_and_saveexec_b64 s[12:13], s[0:1]
	s_cbranch_execz .LBB180_133
; %bb.128:                              ;   in Loop: Header=BB180_88 Depth=1
	v_bfrev_b32_e32 v18, 1
	v_mov_b32_e32 v19, 0
	v_cmp_ne_u16_sdwa s[0:1], v11, s28 src0_sel:BYTE_0 src1_sel:DWORD
	s_and_saveexec_b64 s[16:17], s[0:1]
	s_cbranch_execz .LBB180_132
; %bb.129:                              ;   in Loop: Header=BB180_88 Depth=1
	v_bfe_u32 v46, v13, 16, 7
	v_mov_b32_e32 v18, 0x7f800001
	v_mov_b32_e32 v19, 0
	v_cmp_ne_u32_e64 s[0:1], s29, v46
	s_and_saveexec_b64 s[18:19], s[0:1]
	s_cbranch_execz .LBB180_131
; %bb.130:                              ;   in Loop: Header=BB180_88 Depth=1
	v_and_b32_e32 v47, 7, v11
	v_ffbh_u32_e32 v18, v47
	v_min_u32_e32 v49, 32, v18
	v_subrev_u32_e32 v18, 28, v49
	v_lshlrev_b64 v[18:19], v18, v[11:12]
	v_lshrrev_b32_e32 v48, 3, v46
	v_sub_u32_e32 v19, 29, v49
	v_and_b32_e32 v18, 7, v18
	v_cmp_gt_u32_e64 s[0:1], 8, v46
	v_cndmask_b32_e64 v19, v48, v19, s[0:1]
	v_cndmask_b32_e64 v18, v47, v18, s[0:1]
	v_lshlrev_b32_e32 v18, 20, v18
	v_and_b32_sdwa v11, sext(v11), s30 dst_sel:DWORD dst_unused:UNUSED_PAD src0_sel:BYTE_0 src1_sel:DWORD
	v_lshl_add_u32 v19, v19, 23, v37
	v_or3_b32 v18, v11, v19, v18
	v_mov_b32_e32 v19, v5
.LBB180_131:                            ;   in Loop: Header=BB180_88 Depth=1
	s_or_b64 exec, exec, s[18:19]
.LBB180_132:                            ;   in Loop: Header=BB180_88 Depth=1
	s_or_b64 exec, exec, s[16:17]
.LBB180_133:                            ;   in Loop: Header=BB180_88 Depth=1
	s_or_b64 exec, exec, s[12:13]
	v_cmp_lt_u32_e64 s[0:1], s31, v13
	s_and_saveexec_b64 s[12:13], s[0:1]
	s_cbranch_execz .LBB180_139
; %bb.134:                              ;   in Loop: Header=BB180_88 Depth=1
	v_mov_b32_e32 v21, v6
	v_cmp_ne_u32_sdwa s[0:1], v13, s28 src0_sel:BYTE_3 src1_sel:DWORD
	v_mov_b32_e32 v20, v5
	s_and_saveexec_b64 s[16:17], s[0:1]
	s_cbranch_execz .LBB180_138
; %bb.135:                              ;   in Loop: Header=BB180_88 Depth=1
	v_bfe_u32 v46, v13, 24, 7
	v_mov_b32_e32 v11, v5
	v_mov_b32_e32 v21, v12
	v_cmp_ne_u32_e64 s[0:1], s29, v46
	v_mov_b32_e32 v20, v11
	s_and_saveexec_b64 s[18:19], s[0:1]
	s_cbranch_execz .LBB180_137
; %bb.136:                              ;   in Loop: Header=BB180_88 Depth=1
	v_and_b32_sdwa v20, v13, v38 dst_sel:DWORD dst_unused:UNUSED_PAD src0_sel:BYTE_3 src1_sel:DWORD
	v_ffbh_u32_e32 v47, v20
	v_min_u32_e32 v49, 32, v47
	v_mov_b32_e32 v21, v5
	v_subrev_u32_e32 v47, 28, v49
	v_lshlrev_b64 v[47:48], v47, v[20:21]
	v_lshrrev_b32_e32 v11, 3, v46
	v_sub_u32_e32 v21, 29, v49
	v_cmp_gt_u32_e64 s[0:1], 8, v46
	v_and_b32_e32 v47, 7, v47
	v_cndmask_b32_e64 v11, v11, v21, s[0:1]
	v_cndmask_b32_e64 v20, v20, v47, s[0:1]
	v_lshlrev_b32_sdwa v13, v39, v13 dst_sel:DWORD dst_unused:UNUSED_PAD src0_sel:DWORD src1_sel:BYTE_3
	v_lshl_add_u32 v11, v11, 23, v37
	v_and_or_b32 v11, v13, s30, v11
	v_lshlrev_b32_e32 v13, 20, v20
	v_or_b32_e32 v21, v11, v13
	v_mov_b32_e32 v20, v5
.LBB180_137:                            ;   in Loop: Header=BB180_88 Depth=1
	s_or_b64 exec, exec, s[18:19]
.LBB180_138:                            ;   in Loop: Header=BB180_88 Depth=1
	s_or_b64 exec, exec, s[16:17]
.LBB180_139:                            ;   in Loop: Header=BB180_88 Depth=1
	s_or_b64 exec, exec, s[12:13]
	v_or_b32_e32 v13, v16, v14
	s_mov_b32 s0, s37
	v_or_b32_e32 v11, v17, v15
	v_mul_f32_e32 v15, s37, v13
	v_or_b32_e32 v13, v21, v19
	v_or_b32_e32 v14, v20, v18
	v_mul_f32_e32 v11, s0, v11
	v_mul_f32_e32 v14, s37, v14
	;; [unrolled: 1-line block ×3, first 2 shown]
	s_and_saveexec_b64 s[0:1], vcc
	s_cbranch_execz .LBB180_86
; %bb.140:                              ;   in Loop: Header=BB180_88 Depth=1
	v_cmp_gt_i32_e32 vcc, s11, v42
	v_cndmask_b32_e32 v15, 0, v15, vcc
	v_cmp_gt_i32_e32 vcc, s11, v45
	v_cndmask_b32_e32 v11, 0, v11, vcc
	;; [unrolled: 2-line block ×4, first 2 shown]
	s_branch .LBB180_86
.LBB180_141:
	s_or_b64 exec, exec, s[4:5]
.LBB180_142:
	s_or_b64 exec, exec, s[2:3]
	ds_bpermute_b32 v1, v31, v34
	ds_bpermute_b32 v2, v31, v33
	v_and_b32_e32 v3, 0x3c3, v0
	v_cmp_eq_u32_e32 vcc, 64, v3
	s_waitcnt lgkmcnt(0)
	v_add_f32_e32 v1, v34, v1
	v_add_f32_e32 v2, v33, v2
	ds_bpermute_b32 v4, v30, v1
	ds_bpermute_b32 v5, v30, v2
	s_waitcnt lgkmcnt(0)
	s_barrier
	v_add_f32_e32 v1, v1, v4
	v_add_f32_e32 v2, v2, v5
	s_and_saveexec_b64 s[0:1], vcc
; %bb.143:
	v_add_u32_e32 v4, 0x90, v29
	ds_write2_b32 v4, v1, v2 offset1:16
; %bb.144:
	s_or_b64 exec, exec, s[0:1]
	v_cmp_gt_u32_e32 vcc, 64, v0
	s_waitcnt lgkmcnt(0)
	s_barrier
	s_and_saveexec_b64 s[0:1], vcc
	s_cbranch_execz .LBB180_150
; %bb.145:
	v_mov_b32_e32 v0, 0x90
	v_cmp_eq_u32_e32 vcc, 0, v26
	v_lshl_add_u32 v0, v25, 2, v0
	s_and_saveexec_b64 s[2:3], vcc
	s_cbranch_execz .LBB180_147
; %bb.146:
	ds_read_b32 v4, v0
	s_waitcnt lgkmcnt(0)
	v_add_f32_e32 v1, v1, v4
.LBB180_147:
	s_or_b64 exec, exec, s[2:3]
	s_and_saveexec_b64 s[2:3], vcc
	s_cbranch_execz .LBB180_149
; %bb.148:
	ds_read_b32 v0, v0 offset:64
	s_waitcnt lgkmcnt(0)
	v_add_f32_e32 v2, v2, v0
.LBB180_149:
	s_or_b64 exec, exec, s[2:3]
.LBB180_150:
	s_or_b64 exec, exec, s[0:1]
	v_cmp_eq_u32_e32 vcc, 0, v3
	s_barrier
	s_and_saveexec_b64 s[0:1], vcc
	s_cbranch_execz .LBB180_152
; %bb.151:
	s_mul_i32 s0, s10, s20
	s_mul_i32 s0, s0, s9
	s_lshl_b32 s0, s0, 5
	s_ashr_i32 s1, s0, 31
	s_lshl_b64 s[0:1], s[0:1], 2
	s_add_u32 s2, s26, s0
	s_mul_i32 s0, s20, s24
	s_addc_u32 s3, s27, s1
	s_ashr_i32 s1, s0, 31
	s_lshl_b64 s[0:1], s[0:1], 2
	s_add_u32 s2, s2, s0
	s_addc_u32 s3, s3, s1
	s_lshl_b32 s0, s8, 5
	s_ashr_i32 s1, s0, 31
	s_lshl_b64 s[0:1], s[0:1], 2
	s_add_u32 s0, s2, s0
	s_addc_u32 s1, s3, s1
	global_store_dword v24, v1, s[0:1]
	global_store_dword v24, v2, s[0:1] offset:64
.LBB180_152:
	s_endpgm
	.section	.rodata,"a",@progbits
	.p2align	6, 0x0
	.amdhsa_kernel _ZN4vllm25paged_attention_v1_kernelIfhLi32ELi16ELi128ELNS_18Fp8KVCacheDataTypeE1ELb1EEEvPT_PKS2_PKT0_S8_ifPKiSA_iPKfiiiSC_SC_iiiii
		.amdhsa_group_segment_fixed_size 144
		.amdhsa_private_segment_fixed_size 0
		.amdhsa_kernarg_size 384
		.amdhsa_user_sgpr_count 6
		.amdhsa_user_sgpr_private_segment_buffer 1
		.amdhsa_user_sgpr_dispatch_ptr 0
		.amdhsa_user_sgpr_queue_ptr 0
		.amdhsa_user_sgpr_kernarg_segment_ptr 1
		.amdhsa_user_sgpr_dispatch_id 0
		.amdhsa_user_sgpr_flat_scratch_init 0
		.amdhsa_user_sgpr_private_segment_size 0
		.amdhsa_uses_dynamic_stack 0
		.amdhsa_system_sgpr_private_segment_wavefront_offset 0
		.amdhsa_system_sgpr_workgroup_id_x 1
		.amdhsa_system_sgpr_workgroup_id_y 1
		.amdhsa_system_sgpr_workgroup_id_z 1
		.amdhsa_system_sgpr_workgroup_info 0
		.amdhsa_system_vgpr_workitem_id 0
		.amdhsa_next_free_vgpr 50
		.amdhsa_next_free_sgpr 55
		.amdhsa_reserve_vcc 1
		.amdhsa_reserve_flat_scratch 0
		.amdhsa_float_round_mode_32 0
		.amdhsa_float_round_mode_16_64 0
		.amdhsa_float_denorm_mode_32 3
		.amdhsa_float_denorm_mode_16_64 3
		.amdhsa_dx10_clamp 1
		.amdhsa_ieee_mode 1
		.amdhsa_fp16_overflow 0
		.amdhsa_exception_fp_ieee_invalid_op 0
		.amdhsa_exception_fp_denorm_src 0
		.amdhsa_exception_fp_ieee_div_zero 0
		.amdhsa_exception_fp_ieee_overflow 0
		.amdhsa_exception_fp_ieee_underflow 0
		.amdhsa_exception_fp_ieee_inexact 0
		.amdhsa_exception_int_div_zero 0
	.end_amdhsa_kernel
	.section	.text._ZN4vllm25paged_attention_v1_kernelIfhLi32ELi16ELi128ELNS_18Fp8KVCacheDataTypeE1ELb1EEEvPT_PKS2_PKT0_S8_ifPKiSA_iPKfiiiSC_SC_iiiii,"axG",@progbits,_ZN4vllm25paged_attention_v1_kernelIfhLi32ELi16ELi128ELNS_18Fp8KVCacheDataTypeE1ELb1EEEvPT_PKS2_PKT0_S8_ifPKiSA_iPKfiiiSC_SC_iiiii,comdat
.Lfunc_end180:
	.size	_ZN4vllm25paged_attention_v1_kernelIfhLi32ELi16ELi128ELNS_18Fp8KVCacheDataTypeE1ELb1EEEvPT_PKS2_PKT0_S8_ifPKiSA_iPKfiiiSC_SC_iiiii, .Lfunc_end180-_ZN4vllm25paged_attention_v1_kernelIfhLi32ELi16ELi128ELNS_18Fp8KVCacheDataTypeE1ELb1EEEvPT_PKS2_PKT0_S8_ifPKiSA_iPKfiiiSC_SC_iiiii
                                        ; -- End function
	.set _ZN4vllm25paged_attention_v1_kernelIfhLi32ELi16ELi128ELNS_18Fp8KVCacheDataTypeE1ELb1EEEvPT_PKS2_PKT0_S8_ifPKiSA_iPKfiiiSC_SC_iiiii.num_vgpr, 50
	.set _ZN4vllm25paged_attention_v1_kernelIfhLi32ELi16ELi128ELNS_18Fp8KVCacheDataTypeE1ELb1EEEvPT_PKS2_PKT0_S8_ifPKiSA_iPKfiiiSC_SC_iiiii.num_agpr, 0
	.set _ZN4vllm25paged_attention_v1_kernelIfhLi32ELi16ELi128ELNS_18Fp8KVCacheDataTypeE1ELb1EEEvPT_PKS2_PKT0_S8_ifPKiSA_iPKfiiiSC_SC_iiiii.numbered_sgpr, 55
	.set _ZN4vllm25paged_attention_v1_kernelIfhLi32ELi16ELi128ELNS_18Fp8KVCacheDataTypeE1ELb1EEEvPT_PKS2_PKT0_S8_ifPKiSA_iPKfiiiSC_SC_iiiii.num_named_barrier, 0
	.set _ZN4vllm25paged_attention_v1_kernelIfhLi32ELi16ELi128ELNS_18Fp8KVCacheDataTypeE1ELb1EEEvPT_PKS2_PKT0_S8_ifPKiSA_iPKfiiiSC_SC_iiiii.private_seg_size, 0
	.set _ZN4vllm25paged_attention_v1_kernelIfhLi32ELi16ELi128ELNS_18Fp8KVCacheDataTypeE1ELb1EEEvPT_PKS2_PKT0_S8_ifPKiSA_iPKfiiiSC_SC_iiiii.uses_vcc, 1
	.set _ZN4vllm25paged_attention_v1_kernelIfhLi32ELi16ELi128ELNS_18Fp8KVCacheDataTypeE1ELb1EEEvPT_PKS2_PKT0_S8_ifPKiSA_iPKfiiiSC_SC_iiiii.uses_flat_scratch, 0
	.set _ZN4vllm25paged_attention_v1_kernelIfhLi32ELi16ELi128ELNS_18Fp8KVCacheDataTypeE1ELb1EEEvPT_PKS2_PKT0_S8_ifPKiSA_iPKfiiiSC_SC_iiiii.has_dyn_sized_stack, 0
	.set _ZN4vllm25paged_attention_v1_kernelIfhLi32ELi16ELi128ELNS_18Fp8KVCacheDataTypeE1ELb1EEEvPT_PKS2_PKT0_S8_ifPKiSA_iPKfiiiSC_SC_iiiii.has_recursion, 0
	.set _ZN4vllm25paged_attention_v1_kernelIfhLi32ELi16ELi128ELNS_18Fp8KVCacheDataTypeE1ELb1EEEvPT_PKS2_PKT0_S8_ifPKiSA_iPKfiiiSC_SC_iiiii.has_indirect_call, 0
	.section	.AMDGPU.csdata,"",@progbits
; Kernel info:
; codeLenInByte = 6532
; TotalNumSgprs: 59
; NumVgprs: 50
; ScratchSize: 0
; MemoryBound: 0
; FloatMode: 240
; IeeeMode: 1
; LDSByteSize: 144 bytes/workgroup (compile time only)
; SGPRBlocks: 7
; VGPRBlocks: 12
; NumSGPRsForWavesPerEU: 59
; NumVGPRsForWavesPerEU: 50
; Occupancy: 4
; WaveLimiterHint : 1
; COMPUTE_PGM_RSRC2:SCRATCH_EN: 0
; COMPUTE_PGM_RSRC2:USER_SGPR: 6
; COMPUTE_PGM_RSRC2:TRAP_HANDLER: 0
; COMPUTE_PGM_RSRC2:TGID_X_EN: 1
; COMPUTE_PGM_RSRC2:TGID_Y_EN: 1
; COMPUTE_PGM_RSRC2:TGID_Z_EN: 1
; COMPUTE_PGM_RSRC2:TIDIG_COMP_CNT: 0
	.section	.text._ZN4vllm25paged_attention_v1_kernelIfhLi64ELi16ELi128ELNS_18Fp8KVCacheDataTypeE1ELb1EEEvPT_PKS2_PKT0_S8_ifPKiSA_iPKfiiiSC_SC_iiiii,"axG",@progbits,_ZN4vllm25paged_attention_v1_kernelIfhLi64ELi16ELi128ELNS_18Fp8KVCacheDataTypeE1ELb1EEEvPT_PKS2_PKT0_S8_ifPKiSA_iPKfiiiSC_SC_iiiii,comdat
	.protected	_ZN4vllm25paged_attention_v1_kernelIfhLi64ELi16ELi128ELNS_18Fp8KVCacheDataTypeE1ELb1EEEvPT_PKS2_PKT0_S8_ifPKiSA_iPKfiiiSC_SC_iiiii ; -- Begin function _ZN4vllm25paged_attention_v1_kernelIfhLi64ELi16ELi128ELNS_18Fp8KVCacheDataTypeE1ELb1EEEvPT_PKS2_PKT0_S8_ifPKiSA_iPKfiiiSC_SC_iiiii
	.globl	_ZN4vllm25paged_attention_v1_kernelIfhLi64ELi16ELi128ELNS_18Fp8KVCacheDataTypeE1ELb1EEEvPT_PKS2_PKT0_S8_ifPKiSA_iPKfiiiSC_SC_iiiii
	.p2align	8
	.type	_ZN4vllm25paged_attention_v1_kernelIfhLi64ELi16ELi128ELNS_18Fp8KVCacheDataTypeE1ELb1EEEvPT_PKS2_PKT0_S8_ifPKiSA_iPKfiiiSC_SC_iiiii,@function
_ZN4vllm25paged_attention_v1_kernelIfhLi64ELi16ELi128ELNS_18Fp8KVCacheDataTypeE1ELb1EEEvPT_PKS2_PKT0_S8_ifPKiSA_iPKfiiiSC_SC_iiiii: ; @_ZN4vllm25paged_attention_v1_kernelIfhLi64ELi16ELi128ELNS_18Fp8KVCacheDataTypeE1ELb1EEEvPT_PKS2_PKT0_S8_ifPKiSA_iPKfiiiSC_SC_iiiii
; %bb.0:
	s_load_dword s9, s[4:5], 0x80
	s_load_dwordx2 s[0:1], s[4:5], 0x30
	s_load_dwordx2 s[38:39], s[4:5], 0x20
	s_mov_b32 s24, s7
	s_ashr_i32 s25, s7, 31
	s_lshl_b64 s[2:3], s[24:25], 2
	s_waitcnt lgkmcnt(0)
	s_add_u32 s0, s0, s2
	s_addc_u32 s1, s1, s3
	s_abs_i32 s2, s38
	v_cvt_f32_u32_e32 v1, s2
	s_sub_i32 s10, 0, s2
	s_abs_i32 s7, s9
	s_xor_b32 s3, s9, s38
	v_rcp_iflag_f32_e32 v1, v1
	s_ashr_i32 s3, s3, 31
	s_mov_b32 s50, 0
	v_mul_f32_e32 v1, 0x4f7ffffe, v1
	v_cvt_u32_f32_e32 v1, v1
	v_readfirstlane_b32 s11, v1
	s_mul_i32 s10, s10, s11
	s_mul_hi_u32 s10, s11, s10
	s_add_i32 s11, s11, s10
	s_mul_hi_u32 s10, s7, s11
	s_mul_i32 s11, s10, s2
	s_sub_i32 s7, s7, s11
	s_add_i32 s11, s10, 1
	s_sub_i32 s12, s7, s2
	s_cmp_ge_u32 s7, s2
	s_cselect_b32 s10, s11, s10
	s_cselect_b32 s7, s12, s7
	s_add_i32 s11, s10, 1
	s_cmp_ge_u32 s7, s2
	s_cselect_b32 s2, s11, s10
	s_xor_b32 s2, s2, s3
	s_sub_i32 s14, s2, s3
	s_abs_i32 s10, s14
	v_cvt_f32_u32_e32 v1, s10
	s_load_dwordx2 s[2:3], s[4:5], 0x40
	s_sub_i32 s7, 0, s10
	s_abs_i32 s11, s6
	v_rcp_iflag_f32_e32 v1, v1
	v_mul_f32_e32 v1, 0x4f7ffffe, v1
	v_cvt_u32_f32_e32 v1, v1
	v_readfirstlane_b32 s12, v1
	s_mul_i32 s7, s7, s12
	s_mul_hi_u32 s7, s12, s7
	s_add_i32 s12, s12, s7
	s_waitcnt lgkmcnt(0)
	s_cmp_eq_u64 s[2:3], 0
	s_mul_hi_u32 s12, s11, s12
	s_cbranch_scc1 .LBB181_2
; %bb.1:
	s_ashr_i32 s7, s6, 31
	s_lshl_b64 s[16:17], s[6:7], 2
	s_add_u32 s2, s2, s16
	s_addc_u32 s3, s3, s17
	s_load_dword s50, s[2:3], 0x0
.LBB181_2:
	s_load_dword s25, s[0:1], 0x0
	s_load_dwordx4 s[16:19], s[4:5], 0x48
	v_lshrrev_b32_e32 v25, 2, v0
	s_ashr_i32 s13, s6, 31
	s_ashr_i32 s14, s14, 31
	v_and_b32_e32 v26, 3, v0
	s_lshl_b32 s26, s6, 6
	v_cmp_gt_u32_e64 s[0:1], 64, v0
	v_lshlrev_b32_e32 v29, 2, v0
	v_lshlrev_b32_e32 v24, 2, v25
	s_and_saveexec_b64 s[2:3], s[0:1]
	s_cbranch_execz .LBB181_4
; %bb.3:
	s_load_dwordx2 s[20:21], s[4:5], 0x8
	s_waitcnt lgkmcnt(0)
	s_mul_i32 s22, s16, s24
	s_ashr_i32 s23, s22, 31
	s_lshl_b64 s[22:23], s[22:23], 2
	v_lshl_add_u32 v2, v26, 6, v24
	s_add_u32 s7, s20, s22
	s_addc_u32 s15, s21, s23
	s_ashr_i32 s27, s26, 31
	s_lshl_b64 s[20:21], s[26:27], 2
	s_add_u32 s20, s7, s20
	s_addc_u32 s21, s15, s21
	global_load_dword v1, v29, s[20:21]
	s_waitcnt vmcnt(0)
	ds_write_b32 v2, v1
.LBB181_4:
	s_or_b64 exec, exec, s[2:3]
	s_mul_i32 s3, s12, s10
	s_sub_i32 s3, s11, s3
	s_xor_b32 s2, s13, s14
	s_add_i32 s11, s12, 1
	s_sub_i32 s13, s3, s10
	s_load_dwordx4 s[20:23], s[4:5], 0x68
	s_load_dword s7, s[4:5], 0x78
	s_cmp_ge_u32 s3, s10
	s_cselect_b32 s11, s11, s12
	s_cselect_b32 s3, s13, s3
	s_add_i32 s12, s11, 1
	s_cmp_ge_u32 s3, s10
	s_cselect_b32 s3, s12, s11
	s_waitcnt lgkmcnt(0)
	s_abs_i32 s27, s23
	v_cvt_f32_u32_e32 v1, s27
	s_xor_b32 s3, s3, s2
	s_sub_i32 s49, s3, s2
	s_sub_i32 s2, 0, s27
	v_rcp_iflag_f32_e32 v1, v1
	s_add_i32 s12, s25, -1
	s_abs_i32 s10, s12
	v_mul_f32_e32 v1, 0x4f7ffffe, v1
	v_cvt_u32_f32_e32 v1, v1
	s_barrier
	v_readfirstlane_b32 s33, v1
	s_mul_i32 s2, s2, s33
	s_mul_hi_u32 s2, s33, s2
	s_add_i32 s33, s33, s2
	s_cmp_lt_i32 s7, 0
	s_mul_hi_u32 s11, s10, s33
	s_cbranch_scc0 .LBB181_6
; %bb.5:
	s_mul_i32 s2, s20, s38
	s_add_i32 s2, s49, s2
	s_mul_i32 s2, s2, s7
	s_sub_i32 s38, 1, s2
	s_mov_b64 s[2:3], 0
	s_branch .LBB181_7
.LBB181_6:
	s_mov_b64 s[2:3], -1
                                        ; implicit-def: $sgpr38
.LBB181_7:
	s_load_dwordx2 s[30:31], s[4:5], 0x28
	s_ashr_i32 s16, s12, 31
	s_andn2_b64 vcc, exec, s[2:3]
	s_ashr_i32 s23, s23, 31
	s_cbranch_vccnz .LBB181_9
; %bb.8:
	s_mul_i32 s2, s9, s20
	s_add_i32 s2, s2, s6
	s_mul_i32 s2, s2, s7
	s_add_i32 s38, s2, 1
.LBB181_9:
	s_load_dword s2, s[4:5], 0x38
	s_load_dwordx2 s[28:29], s[4:5], 0x0
	s_load_dwordx2 s[36:37], s[4:5], 0x18
	s_load_dword s20, s[4:5], 0x88
	s_load_dwordx4 s[12:15], s[4:5], 0x58
	s_mul_i32 s3, s11, s27
	s_waitcnt lgkmcnt(0)
	s_mul_i32 s34, s2, s24
	s_sub_i32 s3, s10, s3
	s_ashr_i32 s35, s34, 31
	s_xor_b32 s2, s16, s23
	s_add_i32 s6, s11, 1
	s_sub_i32 s7, s3, s27
	s_cmp_ge_u32 s3, s27
	s_cselect_b32 s6, s6, s11
	s_cselect_b32 s3, s7, s3
	s_add_i32 s7, s6, 1
	s_cmp_ge_u32 s3, s27
	s_cselect_b32 s3, s7, s6
	s_xor_b32 s3, s3, s2
	s_sub_i32 s16, s3, s2
	s_add_i32 s2, s25, 15
	s_ashr_i32 s3, s2, 31
	s_lshr_b32 s3, s3, 28
	s_add_i32 s2, s2, s3
	s_ashr_i32 s48, s2, 4
	v_lshrrev_b32_e32 v27, 6, v0
	v_cmp_gt_i32_e64 s[2:3], s48, v27
	v_mov_b32_e32 v34, 0xff7fffff
	s_mul_i32 s49, s49, s18
	v_lshrrev_b32_e32 v32, 4, v0
	v_lshlrev_b32_e32 v28, 4, v27
	v_mbcnt_lo_u32_b32 v30, -1, 0
	s_and_saveexec_b64 s[18:19], s[2:3]
	s_cbranch_execz .LBB181_117
; %bb.10:
	s_load_dwordx2 s[4:5], s[4:5], 0x10
	s_sub_i32 s51, s16, s21
	s_ashr_i32 s6, s49, 31
	v_bfe_u32 v31, v0, 2, 4
	v_lshlrev_b32_e32 v2, 4, v31
	s_waitcnt lgkmcnt(0)
	s_add_u32 s7, s4, s49
	s_addc_u32 s6, s5, s6
	s_abs_i32 s52, s22
	v_cvt_f32_u32_e32 v1, s52
	v_mov_b32_e32 v3, s6
	s_sub_i32 s6, 0, s52
	v_cmp_eq_u32_e32 vcc, 0, v26
	v_rcp_iflag_f32_e32 v1, v1
	s_mov_b32 s53, s17
	v_lshlrev_b32_e32 v33, 6, v26
	v_cmp_neq_f32_e64 s[4:5], s50, 0
	v_mul_f32_e32 v1, 0x4f7ffffe, v1
	v_cvt_u32_f32_e32 v1, v1
	v_lshlrev_b32_e32 v36, 4, v27
	s_mov_b64 s[40:41], 0
	s_movk_i32 s54, 0x80
	v_mul_lo_u32 v4, s6, v1
	v_add_co_u32_e64 v2, s[6:7], s7, v2
	v_addc_co_u32_e64 v3, s[6:7], 0, v3, s[6:7]
	v_mul_hi_u32 v4, v1, v4
	v_add_co_u32_e64 v17, s[6:7], v2, v26
	v_addc_co_u32_e64 v18, s[6:7], 0, v3, s[6:7]
	s_lshl_b64 s[6:7], s[34:35], 2
	s_add_u32 s6, s30, s6
	v_add_u32_e32 v35, v1, v4
	v_and_b32_e32 v1, 60, v32
	s_addc_u32 s7, s31, s7
	v_mov_b32_e32 v2, s7
	v_add_co_u32_e64 v19, s[6:7], s6, v1
	v_subrev_u32_e32 v1, s25, v31
	v_add_u32_e32 v37, 1, v1
	v_lshlrev_b32_e32 v1, 2, v31
	v_lshl_or_b32 v1, v27, 6, v1
	v_addc_co_u32_e64 v20, s[6:7], 0, v2, s[6:7]
	v_add_u32_e32 v38, 0x110, v1
	s_movk_i32 s55, 0x7f
	v_bfrev_b32_e32 v39, 60
	v_mbcnt_hi_u32_b32 v40, -1, v30
	v_mov_b32_e32 v34, 0xff7fffff
	v_mov_b32_e32 v41, v27
	s_branch .LBB181_13
.LBB181_11:                             ;   in Loop: Header=BB181_13 Depth=1
	s_or_b64 exec, exec, s[42:43]
.LBB181_12:                             ;   in Loop: Header=BB181_13 Depth=1
	s_or_b64 exec, exec, s[10:11]
	v_add_co_u32_e64 v19, s[6:7], 8, v19
	v_add_u32_e32 v41, 2, v41
	v_addc_co_u32_e64 v20, s[6:7], 0, v20, s[6:7]
	v_cmp_le_i32_e64 s[6:7], s48, v41
	v_add_u32_e32 v36, 32, v36
	s_or_b64 s[40:41], s[6:7], s[40:41]
	v_add_u32_e32 v38, 0x80, v38
	s_andn2_b64 exec, exec, s[40:41]
	s_cbranch_execz .LBB181_116
.LBB181_13:                             ; =>This Inner Loop Header: Depth=1
	v_mul_hi_u32 v1, v36, s33
	s_waitcnt lgkmcnt(0)
	v_mul_lo_u32 v2, v1, s27
	v_add_u32_e32 v3, 1, v1
	v_sub_u32_e32 v2, v36, v2
	v_cmp_le_u32_e64 s[6:7], s27, v2
	v_cndmask_b32_e64 v1, v1, v3, s[6:7]
	v_subrev_u32_e32 v3, s27, v2
	v_cndmask_b32_e64 v2, v2, v3, s[6:7]
	v_add_u32_e32 v3, 1, v1
	v_cmp_le_u32_e64 s[6:7], s27, v2
	v_cndmask_b32_e64 v1, v1, v3, s[6:7]
	v_xor_b32_e32 v1, s23, v1
	v_subrev_u32_e32 v1, s23, v1
	v_add_u32_e32 v2, s38, v1
	v_sub_u32_e32 v3, 0, v2
	v_max_i32_e32 v3, v2, v3
	v_mul_hi_u32 v4, v3, v35
	v_ashrrev_i32_e32 v2, 31, v2
	v_cmp_ge_i32_e64 s[10:11], s51, v1
	v_mul_lo_u32 v4, v4, s52
	v_sub_u32_e32 v3, v3, v4
	v_subrev_u32_e32 v4, s52, v3
	v_cmp_le_u32_e64 s[6:7], s52, v3
	v_cndmask_b32_e64 v3, v3, v4, s[6:7]
	v_subrev_u32_e32 v4, s52, v3
	v_cmp_le_u32_e64 s[6:7], s52, v3
	v_cndmask_b32_e64 v3, v3, v4, s[6:7]
	v_xor_b32_e32 v3, v3, v2
	v_sub_u32_e32 v2, v3, v2
	v_cmp_ne_u32_e64 s[6:7], 0, v2
	s_and_b64 s[6:7], s[6:7], s[10:11]
	s_and_saveexec_b64 s[10:11], s[6:7]
	s_xor_b64 s[6:7], exec, s[10:11]
	s_cbranch_execz .LBB181_17
; %bb.14:                               ;   in Loop: Header=BB181_13 Depth=1
	s_and_saveexec_b64 s[10:11], vcc
; %bb.15:                               ;   in Loop: Header=BB181_13 Depth=1
	v_mov_b32_e32 v1, 0xff7fffff
	ds_write_b32 v38, v1
; %bb.16:                               ;   in Loop: Header=BB181_13 Depth=1
	s_or_b64 exec, exec, s[10:11]
.LBB181_17:                             ;   in Loop: Header=BB181_13 Depth=1
	s_andn2_saveexec_b64 s[10:11], s[6:7]
	s_cbranch_execz .LBB181_12
; %bb.18:                               ;   in Loop: Header=BB181_13 Depth=1
	global_load_dword v1, v[19:20], off
	v_mov_b32_e32 v42, 0
	v_mov_b32_e32 v43, 0
	s_waitcnt vmcnt(0)
	v_mad_i64_i32 v[21:22], s[6:7], v1, s53, v[17:18]
	global_load_ubyte v44, v[21:22], off
	ds_read_b128 v[13:16], v33
	ds_read_b128 v[5:8], v33 offset:16
	s_load_dword s56, s[12:13], 0x0
	ds_read_b128 v[9:12], v33 offset:32
	ds_read_b128 v[1:4], v33 offset:48
	s_waitcnt vmcnt(0)
	v_cmp_ne_u16_e64 s[6:7], 0, v44
	s_and_saveexec_b64 s[42:43], s[6:7]
	s_cbranch_execz .LBB181_24
; %bb.19:                               ;   in Loop: Header=BB181_13 Depth=1
	v_cmp_ne_u16_e64 s[6:7], s54, v44
	v_bfrev_b32_e32 v43, 1
	s_and_saveexec_b64 s[44:45], s[6:7]
	s_cbranch_execz .LBB181_23
; %bb.20:                               ;   in Loop: Header=BB181_13 Depth=1
	v_and_b32_e32 v23, 0xffff, v44
	v_and_b32_e32 v45, 0x7f, v23
	v_cmp_ne_u32_e64 s[6:7], s55, v45
	v_mov_b32_e32 v43, 0x7f800001
	s_and_saveexec_b64 s[46:47], s[6:7]
	s_cbranch_execz .LBB181_22
; %bb.21:                               ;   in Loop: Header=BB181_13 Depth=1
	v_and_b32_e32 v43, 7, v23
	v_ffbh_u32_e32 v46, v43
	v_min_u32_e32 v49, 32, v46
	v_subrev_u32_e32 v46, 28, v49
	v_lshlrev_b64 v[46:47], v46, v[23:24]
	v_lshrrev_b32_e32 v48, 3, v45
	v_sub_u32_e32 v23, 29, v49
	v_and_b32_e32 v46, 7, v46
	v_cmp_gt_u32_e64 s[6:7], 8, v45
	v_cndmask_b32_e64 v23, v48, v23, s[6:7]
	v_cndmask_b32_e64 v43, v43, v46, s[6:7]
	v_lshlrev_b32_e32 v44, 24, v44
	v_lshlrev_b32_e32 v43, 20, v43
	v_and_b32_e32 v44, 0x80000000, v44
	v_lshl_add_u32 v23, v23, 23, v39
	v_or3_b32 v43, v44, v23, v43
.LBB181_22:                             ;   in Loop: Header=BB181_13 Depth=1
	s_or_b64 exec, exec, s[46:47]
.LBB181_23:                             ;   in Loop: Header=BB181_13 Depth=1
	s_or_b64 exec, exec, s[44:45]
.LBB181_24:                             ;   in Loop: Header=BB181_13 Depth=1
	s_or_b64 exec, exec, s[42:43]
	global_load_ubyte v44, v[21:22], off offset:4
	s_waitcnt vmcnt(0)
	v_cmp_ne_u16_e64 s[6:7], 0, v44
	s_and_saveexec_b64 s[42:43], s[6:7]
	s_cbranch_execz .LBB181_30
; %bb.25:                               ;   in Loop: Header=BB181_13 Depth=1
	v_cmp_ne_u16_e64 s[6:7], s54, v44
	v_bfrev_b32_e32 v42, 1
	s_and_saveexec_b64 s[44:45], s[6:7]
	s_cbranch_execz .LBB181_29
; %bb.26:                               ;   in Loop: Header=BB181_13 Depth=1
	v_and_b32_e32 v23, 0xffff, v44
	v_and_b32_e32 v45, 0x7f, v23
	v_cmp_ne_u32_e64 s[6:7], s55, v45
	v_mov_b32_e32 v42, 0x7f800001
	s_and_saveexec_b64 s[46:47], s[6:7]
	s_cbranch_execz .LBB181_28
; %bb.27:                               ;   in Loop: Header=BB181_13 Depth=1
	v_and_b32_e32 v42, 7, v23
	v_ffbh_u32_e32 v46, v42
	v_min_u32_e32 v49, 32, v46
	v_subrev_u32_e32 v46, 28, v49
	v_lshlrev_b64 v[46:47], v46, v[23:24]
	v_lshrrev_b32_e32 v48, 3, v45
	v_sub_u32_e32 v23, 29, v49
	v_and_b32_e32 v46, 7, v46
	v_cmp_gt_u32_e64 s[6:7], 8, v45
	v_cndmask_b32_e64 v23, v48, v23, s[6:7]
	v_cndmask_b32_e64 v42, v42, v46, s[6:7]
	v_lshlrev_b32_e32 v44, 24, v44
	v_lshlrev_b32_e32 v42, 20, v42
	v_and_b32_e32 v44, 0x80000000, v44
	v_lshl_add_u32 v23, v23, 23, v39
	v_or3_b32 v42, v44, v23, v42
.LBB181_28:                             ;   in Loop: Header=BB181_13 Depth=1
	s_or_b64 exec, exec, s[46:47]
.LBB181_29:                             ;   in Loop: Header=BB181_13 Depth=1
	s_or_b64 exec, exec, s[44:45]
.LBB181_30:                             ;   in Loop: Header=BB181_13 Depth=1
	s_or_b64 exec, exec, s[42:43]
	global_load_ubyte v46, v[21:22], off offset:8
	v_mov_b32_e32 v44, 0
	v_mov_b32_e32 v45, 0
	s_waitcnt vmcnt(0)
	v_cmp_ne_u16_e64 s[6:7], 0, v46
	s_and_saveexec_b64 s[42:43], s[6:7]
	s_cbranch_execz .LBB181_36
; %bb.31:                               ;   in Loop: Header=BB181_13 Depth=1
	v_cmp_ne_u16_e64 s[6:7], s54, v46
	v_bfrev_b32_e32 v45, 1
	s_and_saveexec_b64 s[44:45], s[6:7]
	s_cbranch_execz .LBB181_35
; %bb.32:                               ;   in Loop: Header=BB181_13 Depth=1
	v_and_b32_e32 v23, 0xffff, v46
	v_and_b32_e32 v47, 0x7f, v23
	v_cmp_ne_u32_e64 s[6:7], s55, v47
	v_mov_b32_e32 v45, 0x7f800001
	s_and_saveexec_b64 s[46:47], s[6:7]
	s_cbranch_execz .LBB181_34
; %bb.33:                               ;   in Loop: Header=BB181_13 Depth=1
	v_and_b32_e32 v45, 7, v23
	v_ffbh_u32_e32 v48, v45
	v_min_u32_e32 v51, 32, v48
	v_subrev_u32_e32 v48, 28, v51
	v_lshlrev_b64 v[48:49], v48, v[23:24]
	v_lshrrev_b32_e32 v50, 3, v47
	v_sub_u32_e32 v23, 29, v51
	v_and_b32_e32 v48, 7, v48
	v_cmp_gt_u32_e64 s[6:7], 8, v47
	v_cndmask_b32_e64 v23, v50, v23, s[6:7]
	v_cndmask_b32_e64 v45, v45, v48, s[6:7]
	v_lshlrev_b32_e32 v46, 24, v46
	v_lshlrev_b32_e32 v45, 20, v45
	v_and_b32_e32 v46, 0x80000000, v46
	v_lshl_add_u32 v23, v23, 23, v39
	v_or3_b32 v45, v46, v23, v45
.LBB181_34:                             ;   in Loop: Header=BB181_13 Depth=1
	s_or_b64 exec, exec, s[46:47]
.LBB181_35:                             ;   in Loop: Header=BB181_13 Depth=1
	s_or_b64 exec, exec, s[44:45]
.LBB181_36:                             ;   in Loop: Header=BB181_13 Depth=1
	s_or_b64 exec, exec, s[42:43]
	global_load_ubyte v46, v[21:22], off offset:12
	s_waitcnt vmcnt(0)
	v_cmp_ne_u16_e64 s[6:7], 0, v46
	s_and_saveexec_b64 s[42:43], s[6:7]
	s_cbranch_execz .LBB181_42
; %bb.37:                               ;   in Loop: Header=BB181_13 Depth=1
	v_cmp_ne_u16_e64 s[6:7], s54, v46
	v_bfrev_b32_e32 v44, 1
	s_and_saveexec_b64 s[44:45], s[6:7]
	s_cbranch_execz .LBB181_41
; %bb.38:                               ;   in Loop: Header=BB181_13 Depth=1
	v_and_b32_e32 v23, 0xffff, v46
	v_and_b32_e32 v47, 0x7f, v23
	v_cmp_ne_u32_e64 s[6:7], s55, v47
	v_mov_b32_e32 v44, 0x7f800001
	s_and_saveexec_b64 s[46:47], s[6:7]
	s_cbranch_execz .LBB181_40
; %bb.39:                               ;   in Loop: Header=BB181_13 Depth=1
	v_and_b32_e32 v44, 7, v23
	v_ffbh_u32_e32 v48, v44
	v_min_u32_e32 v51, 32, v48
	v_subrev_u32_e32 v48, 28, v51
	v_lshlrev_b64 v[48:49], v48, v[23:24]
	v_lshrrev_b32_e32 v50, 3, v47
	v_sub_u32_e32 v23, 29, v51
	v_and_b32_e32 v48, 7, v48
	v_cmp_gt_u32_e64 s[6:7], 8, v47
	v_cndmask_b32_e64 v23, v50, v23, s[6:7]
	v_cndmask_b32_e64 v44, v44, v48, s[6:7]
	v_lshlrev_b32_e32 v46, 24, v46
	v_lshlrev_b32_e32 v44, 20, v44
	v_and_b32_e32 v46, 0x80000000, v46
	v_lshl_add_u32 v23, v23, 23, v39
	v_or3_b32 v44, v46, v23, v44
.LBB181_40:                             ;   in Loop: Header=BB181_13 Depth=1
	s_or_b64 exec, exec, s[46:47]
.LBB181_41:                             ;   in Loop: Header=BB181_13 Depth=1
	s_or_b64 exec, exec, s[44:45]
.LBB181_42:                             ;   in Loop: Header=BB181_13 Depth=1
	s_or_b64 exec, exec, s[42:43]
	global_load_ubyte v48, v[21:22], off offset:256
	v_mov_b32_e32 v46, 0
	v_mov_b32_e32 v47, 0
	s_waitcnt vmcnt(0)
	v_cmp_ne_u16_e64 s[6:7], 0, v48
	s_and_saveexec_b64 s[42:43], s[6:7]
	s_cbranch_execz .LBB181_48
; %bb.43:                               ;   in Loop: Header=BB181_13 Depth=1
	v_cmp_ne_u16_e64 s[6:7], s54, v48
	v_bfrev_b32_e32 v47, 1
	s_and_saveexec_b64 s[44:45], s[6:7]
	s_cbranch_execz .LBB181_47
; %bb.44:                               ;   in Loop: Header=BB181_13 Depth=1
	v_and_b32_e32 v23, 0xffff, v48
	v_and_b32_e32 v49, 0x7f, v23
	v_cmp_ne_u32_e64 s[6:7], s55, v49
	v_mov_b32_e32 v47, 0x7f800001
	s_and_saveexec_b64 s[46:47], s[6:7]
	s_cbranch_execz .LBB181_46
; %bb.45:                               ;   in Loop: Header=BB181_13 Depth=1
	v_and_b32_e32 v47, 7, v23
	v_ffbh_u32_e32 v50, v47
	v_min_u32_e32 v53, 32, v50
	v_subrev_u32_e32 v50, 28, v53
	v_lshlrev_b64 v[50:51], v50, v[23:24]
	v_lshrrev_b32_e32 v52, 3, v49
	v_sub_u32_e32 v23, 29, v53
	v_and_b32_e32 v50, 7, v50
	v_cmp_gt_u32_e64 s[6:7], 8, v49
	v_cndmask_b32_e64 v23, v52, v23, s[6:7]
	v_cndmask_b32_e64 v47, v47, v50, s[6:7]
	v_lshlrev_b32_e32 v48, 24, v48
	v_lshlrev_b32_e32 v47, 20, v47
	v_and_b32_e32 v48, 0x80000000, v48
	v_lshl_add_u32 v23, v23, 23, v39
	v_or3_b32 v47, v48, v23, v47
.LBB181_46:                             ;   in Loop: Header=BB181_13 Depth=1
	s_or_b64 exec, exec, s[46:47]
.LBB181_47:                             ;   in Loop: Header=BB181_13 Depth=1
	s_or_b64 exec, exec, s[44:45]
.LBB181_48:                             ;   in Loop: Header=BB181_13 Depth=1
	s_or_b64 exec, exec, s[42:43]
	global_load_ubyte v48, v[21:22], off offset:260
	s_waitcnt vmcnt(0)
	v_cmp_ne_u16_e64 s[6:7], 0, v48
	s_and_saveexec_b64 s[42:43], s[6:7]
	s_cbranch_execz .LBB181_54
; %bb.49:                               ;   in Loop: Header=BB181_13 Depth=1
	v_cmp_ne_u16_e64 s[6:7], s54, v48
	v_bfrev_b32_e32 v46, 1
	s_and_saveexec_b64 s[44:45], s[6:7]
	s_cbranch_execz .LBB181_53
; %bb.50:                               ;   in Loop: Header=BB181_13 Depth=1
	v_and_b32_e32 v23, 0xffff, v48
	v_and_b32_e32 v49, 0x7f, v23
	v_cmp_ne_u32_e64 s[6:7], s55, v49
	v_mov_b32_e32 v46, 0x7f800001
	s_and_saveexec_b64 s[46:47], s[6:7]
	s_cbranch_execz .LBB181_52
; %bb.51:                               ;   in Loop: Header=BB181_13 Depth=1
	v_and_b32_e32 v46, 7, v23
	v_ffbh_u32_e32 v50, v46
	v_min_u32_e32 v53, 32, v50
	v_subrev_u32_e32 v50, 28, v53
	v_lshlrev_b64 v[50:51], v50, v[23:24]
	v_lshrrev_b32_e32 v52, 3, v49
	v_sub_u32_e32 v23, 29, v53
	v_and_b32_e32 v50, 7, v50
	v_cmp_gt_u32_e64 s[6:7], 8, v49
	v_cndmask_b32_e64 v23, v52, v23, s[6:7]
	v_cndmask_b32_e64 v46, v46, v50, s[6:7]
	v_lshlrev_b32_e32 v48, 24, v48
	v_lshlrev_b32_e32 v46, 20, v46
	v_and_b32_e32 v48, 0x80000000, v48
	v_lshl_add_u32 v23, v23, 23, v39
	v_or3_b32 v46, v48, v23, v46
.LBB181_52:                             ;   in Loop: Header=BB181_13 Depth=1
	s_or_b64 exec, exec, s[46:47]
.LBB181_53:                             ;   in Loop: Header=BB181_13 Depth=1
	s_or_b64 exec, exec, s[44:45]
.LBB181_54:                             ;   in Loop: Header=BB181_13 Depth=1
	s_or_b64 exec, exec, s[42:43]
	global_load_ubyte v50, v[21:22], off offset:264
	v_mov_b32_e32 v48, 0
	v_mov_b32_e32 v49, 0
	s_waitcnt vmcnt(0)
	v_cmp_ne_u16_e64 s[6:7], 0, v50
	s_and_saveexec_b64 s[42:43], s[6:7]
	s_cbranch_execz .LBB181_60
; %bb.55:                               ;   in Loop: Header=BB181_13 Depth=1
	v_cmp_ne_u16_e64 s[6:7], s54, v50
	v_bfrev_b32_e32 v49, 1
	s_and_saveexec_b64 s[44:45], s[6:7]
	s_cbranch_execz .LBB181_59
; %bb.56:                               ;   in Loop: Header=BB181_13 Depth=1
	v_and_b32_e32 v23, 0xffff, v50
	v_and_b32_e32 v51, 0x7f, v23
	v_cmp_ne_u32_e64 s[6:7], s55, v51
	v_mov_b32_e32 v49, 0x7f800001
	s_and_saveexec_b64 s[46:47], s[6:7]
	s_cbranch_execz .LBB181_58
; %bb.57:                               ;   in Loop: Header=BB181_13 Depth=1
	v_and_b32_e32 v49, 7, v23
	v_ffbh_u32_e32 v52, v49
	v_min_u32_e32 v55, 32, v52
	v_subrev_u32_e32 v52, 28, v55
	v_lshlrev_b64 v[52:53], v52, v[23:24]
	v_lshrrev_b32_e32 v54, 3, v51
	v_sub_u32_e32 v23, 29, v55
	v_and_b32_e32 v52, 7, v52
	v_cmp_gt_u32_e64 s[6:7], 8, v51
	v_cndmask_b32_e64 v23, v54, v23, s[6:7]
	v_cndmask_b32_e64 v49, v49, v52, s[6:7]
	v_lshlrev_b32_e32 v50, 24, v50
	v_lshlrev_b32_e32 v49, 20, v49
	v_and_b32_e32 v50, 0x80000000, v50
	v_lshl_add_u32 v23, v23, 23, v39
	v_or3_b32 v49, v50, v23, v49
.LBB181_58:                             ;   in Loop: Header=BB181_13 Depth=1
	s_or_b64 exec, exec, s[46:47]
.LBB181_59:                             ;   in Loop: Header=BB181_13 Depth=1
	s_or_b64 exec, exec, s[44:45]
.LBB181_60:                             ;   in Loop: Header=BB181_13 Depth=1
	s_or_b64 exec, exec, s[42:43]
	global_load_ubyte v50, v[21:22], off offset:268
	s_waitcnt vmcnt(0)
	v_cmp_ne_u16_e64 s[6:7], 0, v50
	s_and_saveexec_b64 s[42:43], s[6:7]
	s_cbranch_execz .LBB181_66
; %bb.61:                               ;   in Loop: Header=BB181_13 Depth=1
	v_cmp_ne_u16_e64 s[6:7], s54, v50
	v_bfrev_b32_e32 v48, 1
	s_and_saveexec_b64 s[44:45], s[6:7]
	s_cbranch_execz .LBB181_65
; %bb.62:                               ;   in Loop: Header=BB181_13 Depth=1
	v_and_b32_e32 v23, 0xffff, v50
	v_and_b32_e32 v51, 0x7f, v23
	v_cmp_ne_u32_e64 s[6:7], s55, v51
	v_mov_b32_e32 v48, 0x7f800001
	s_and_saveexec_b64 s[46:47], s[6:7]
	s_cbranch_execz .LBB181_64
; %bb.63:                               ;   in Loop: Header=BB181_13 Depth=1
	v_and_b32_e32 v48, 7, v23
	v_ffbh_u32_e32 v52, v48
	v_min_u32_e32 v55, 32, v52
	v_subrev_u32_e32 v52, 28, v55
	v_lshlrev_b64 v[52:53], v52, v[23:24]
	v_lshrrev_b32_e32 v54, 3, v51
	v_sub_u32_e32 v23, 29, v55
	v_and_b32_e32 v52, 7, v52
	v_cmp_gt_u32_e64 s[6:7], 8, v51
	v_cndmask_b32_e64 v23, v54, v23, s[6:7]
	v_cndmask_b32_e64 v48, v48, v52, s[6:7]
	v_lshlrev_b32_e32 v50, 24, v50
	v_lshlrev_b32_e32 v48, 20, v48
	v_and_b32_e32 v50, 0x80000000, v50
	v_lshl_add_u32 v23, v23, 23, v39
	v_or3_b32 v48, v50, v23, v48
.LBB181_64:                             ;   in Loop: Header=BB181_13 Depth=1
	s_or_b64 exec, exec, s[46:47]
.LBB181_65:                             ;   in Loop: Header=BB181_13 Depth=1
	s_or_b64 exec, exec, s[44:45]
.LBB181_66:                             ;   in Loop: Header=BB181_13 Depth=1
	s_or_b64 exec, exec, s[42:43]
	global_load_ubyte v52, v[21:22], off offset:512
	v_mov_b32_e32 v50, 0
	v_mov_b32_e32 v51, 0
	s_waitcnt vmcnt(0)
	v_cmp_ne_u16_e64 s[6:7], 0, v52
	s_and_saveexec_b64 s[42:43], s[6:7]
	s_cbranch_execz .LBB181_72
; %bb.67:                               ;   in Loop: Header=BB181_13 Depth=1
	v_cmp_ne_u16_e64 s[6:7], s54, v52
	v_bfrev_b32_e32 v51, 1
	s_and_saveexec_b64 s[44:45], s[6:7]
	s_cbranch_execz .LBB181_71
; %bb.68:                               ;   in Loop: Header=BB181_13 Depth=1
	v_and_b32_e32 v23, 0xffff, v52
	v_and_b32_e32 v53, 0x7f, v23
	v_cmp_ne_u32_e64 s[6:7], s55, v53
	v_mov_b32_e32 v51, 0x7f800001
	s_and_saveexec_b64 s[46:47], s[6:7]
	s_cbranch_execz .LBB181_70
; %bb.69:                               ;   in Loop: Header=BB181_13 Depth=1
	v_and_b32_e32 v51, 7, v23
	v_ffbh_u32_e32 v54, v51
	v_min_u32_e32 v57, 32, v54
	v_subrev_u32_e32 v54, 28, v57
	v_lshlrev_b64 v[54:55], v54, v[23:24]
	v_lshrrev_b32_e32 v56, 3, v53
	v_sub_u32_e32 v23, 29, v57
	v_and_b32_e32 v54, 7, v54
	v_cmp_gt_u32_e64 s[6:7], 8, v53
	v_cndmask_b32_e64 v23, v56, v23, s[6:7]
	v_cndmask_b32_e64 v51, v51, v54, s[6:7]
	v_lshlrev_b32_e32 v52, 24, v52
	v_lshlrev_b32_e32 v51, 20, v51
	v_and_b32_e32 v52, 0x80000000, v52
	v_lshl_add_u32 v23, v23, 23, v39
	v_or3_b32 v51, v52, v23, v51
.LBB181_70:                             ;   in Loop: Header=BB181_13 Depth=1
	s_or_b64 exec, exec, s[46:47]
.LBB181_71:                             ;   in Loop: Header=BB181_13 Depth=1
	s_or_b64 exec, exec, s[44:45]
.LBB181_72:                             ;   in Loop: Header=BB181_13 Depth=1
	s_or_b64 exec, exec, s[42:43]
	global_load_ubyte v52, v[21:22], off offset:516
	s_waitcnt vmcnt(0)
	v_cmp_ne_u16_e64 s[6:7], 0, v52
	s_and_saveexec_b64 s[42:43], s[6:7]
	s_cbranch_execz .LBB181_78
; %bb.73:                               ;   in Loop: Header=BB181_13 Depth=1
	v_cmp_ne_u16_e64 s[6:7], s54, v52
	v_bfrev_b32_e32 v50, 1
	s_and_saveexec_b64 s[44:45], s[6:7]
	s_cbranch_execz .LBB181_77
; %bb.74:                               ;   in Loop: Header=BB181_13 Depth=1
	v_and_b32_e32 v23, 0xffff, v52
	v_and_b32_e32 v53, 0x7f, v23
	v_cmp_ne_u32_e64 s[6:7], s55, v53
	v_mov_b32_e32 v50, 0x7f800001
	s_and_saveexec_b64 s[46:47], s[6:7]
	s_cbranch_execz .LBB181_76
; %bb.75:                               ;   in Loop: Header=BB181_13 Depth=1
	v_and_b32_e32 v50, 7, v23
	v_ffbh_u32_e32 v54, v50
	v_min_u32_e32 v57, 32, v54
	v_subrev_u32_e32 v54, 28, v57
	v_lshlrev_b64 v[54:55], v54, v[23:24]
	v_lshrrev_b32_e32 v56, 3, v53
	v_sub_u32_e32 v23, 29, v57
	v_and_b32_e32 v54, 7, v54
	v_cmp_gt_u32_e64 s[6:7], 8, v53
	v_cndmask_b32_e64 v23, v56, v23, s[6:7]
	v_cndmask_b32_e64 v50, v50, v54, s[6:7]
	v_lshlrev_b32_e32 v52, 24, v52
	v_lshlrev_b32_e32 v50, 20, v50
	v_and_b32_e32 v52, 0x80000000, v52
	v_lshl_add_u32 v23, v23, 23, v39
	v_or3_b32 v50, v52, v23, v50
.LBB181_76:                             ;   in Loop: Header=BB181_13 Depth=1
	s_or_b64 exec, exec, s[46:47]
.LBB181_77:                             ;   in Loop: Header=BB181_13 Depth=1
	s_or_b64 exec, exec, s[44:45]
.LBB181_78:                             ;   in Loop: Header=BB181_13 Depth=1
	s_or_b64 exec, exec, s[42:43]
	global_load_ubyte v54, v[21:22], off offset:520
	v_mov_b32_e32 v52, 0
	v_mov_b32_e32 v53, 0
	s_waitcnt vmcnt(0)
	v_cmp_ne_u16_e64 s[6:7], 0, v54
	s_and_saveexec_b64 s[42:43], s[6:7]
	s_cbranch_execz .LBB181_84
; %bb.79:                               ;   in Loop: Header=BB181_13 Depth=1
	v_cmp_ne_u16_e64 s[6:7], s54, v54
	v_bfrev_b32_e32 v53, 1
	s_and_saveexec_b64 s[44:45], s[6:7]
	s_cbranch_execz .LBB181_83
; %bb.80:                               ;   in Loop: Header=BB181_13 Depth=1
	v_and_b32_e32 v23, 0xffff, v54
	v_and_b32_e32 v55, 0x7f, v23
	v_cmp_ne_u32_e64 s[6:7], s55, v55
	v_mov_b32_e32 v53, 0x7f800001
	s_and_saveexec_b64 s[46:47], s[6:7]
	s_cbranch_execz .LBB181_82
; %bb.81:                               ;   in Loop: Header=BB181_13 Depth=1
	v_and_b32_e32 v53, 7, v23
	v_ffbh_u32_e32 v56, v53
	v_min_u32_e32 v59, 32, v56
	v_subrev_u32_e32 v56, 28, v59
	v_lshlrev_b64 v[56:57], v56, v[23:24]
	v_lshrrev_b32_e32 v58, 3, v55
	v_sub_u32_e32 v23, 29, v59
	v_and_b32_e32 v56, 7, v56
	v_cmp_gt_u32_e64 s[6:7], 8, v55
	v_cndmask_b32_e64 v23, v58, v23, s[6:7]
	v_cndmask_b32_e64 v53, v53, v56, s[6:7]
	v_lshlrev_b32_e32 v54, 24, v54
	v_lshlrev_b32_e32 v53, 20, v53
	v_and_b32_e32 v54, 0x80000000, v54
	v_lshl_add_u32 v23, v23, 23, v39
	v_or3_b32 v53, v54, v23, v53
.LBB181_82:                             ;   in Loop: Header=BB181_13 Depth=1
	s_or_b64 exec, exec, s[46:47]
.LBB181_83:                             ;   in Loop: Header=BB181_13 Depth=1
	s_or_b64 exec, exec, s[44:45]
.LBB181_84:                             ;   in Loop: Header=BB181_13 Depth=1
	s_or_b64 exec, exec, s[42:43]
	global_load_ubyte v54, v[21:22], off offset:524
	s_waitcnt vmcnt(0)
	v_cmp_ne_u16_e64 s[6:7], 0, v54
	s_and_saveexec_b64 s[42:43], s[6:7]
	s_cbranch_execz .LBB181_90
; %bb.85:                               ;   in Loop: Header=BB181_13 Depth=1
	v_cmp_ne_u16_e64 s[6:7], s54, v54
	v_bfrev_b32_e32 v52, 1
	s_and_saveexec_b64 s[44:45], s[6:7]
	s_cbranch_execz .LBB181_89
; %bb.86:                               ;   in Loop: Header=BB181_13 Depth=1
	v_and_b32_e32 v23, 0xffff, v54
	v_and_b32_e32 v55, 0x7f, v23
	v_cmp_ne_u32_e64 s[6:7], s55, v55
	v_mov_b32_e32 v52, 0x7f800001
	s_and_saveexec_b64 s[46:47], s[6:7]
	s_cbranch_execz .LBB181_88
; %bb.87:                               ;   in Loop: Header=BB181_13 Depth=1
	v_and_b32_e32 v52, 7, v23
	v_ffbh_u32_e32 v56, v52
	v_min_u32_e32 v59, 32, v56
	v_subrev_u32_e32 v56, 28, v59
	v_lshlrev_b64 v[56:57], v56, v[23:24]
	v_lshrrev_b32_e32 v58, 3, v55
	v_sub_u32_e32 v23, 29, v59
	v_and_b32_e32 v56, 7, v56
	v_cmp_gt_u32_e64 s[6:7], 8, v55
	v_cndmask_b32_e64 v23, v58, v23, s[6:7]
	v_cndmask_b32_e64 v52, v52, v56, s[6:7]
	v_lshlrev_b32_e32 v54, 24, v54
	v_lshlrev_b32_e32 v52, 20, v52
	v_and_b32_e32 v54, 0x80000000, v54
	v_lshl_add_u32 v23, v23, 23, v39
	v_or3_b32 v52, v54, v23, v52
.LBB181_88:                             ;   in Loop: Header=BB181_13 Depth=1
	s_or_b64 exec, exec, s[46:47]
.LBB181_89:                             ;   in Loop: Header=BB181_13 Depth=1
	s_or_b64 exec, exec, s[44:45]
.LBB181_90:                             ;   in Loop: Header=BB181_13 Depth=1
	s_or_b64 exec, exec, s[42:43]
	global_load_ubyte v56, v[21:22], off offset:768
	v_mov_b32_e32 v54, 0
	v_mov_b32_e32 v55, 0
	s_waitcnt vmcnt(0)
	v_cmp_ne_u16_e64 s[6:7], 0, v56
	s_and_saveexec_b64 s[42:43], s[6:7]
	s_cbranch_execz .LBB181_96
; %bb.91:                               ;   in Loop: Header=BB181_13 Depth=1
	v_cmp_ne_u16_e64 s[6:7], s54, v56
	v_bfrev_b32_e32 v55, 1
	s_and_saveexec_b64 s[44:45], s[6:7]
	s_cbranch_execz .LBB181_95
; %bb.92:                               ;   in Loop: Header=BB181_13 Depth=1
	v_and_b32_e32 v23, 0xffff, v56
	v_and_b32_e32 v57, 0x7f, v23
	v_cmp_ne_u32_e64 s[6:7], s55, v57
	v_mov_b32_e32 v55, 0x7f800001
	s_and_saveexec_b64 s[46:47], s[6:7]
	s_cbranch_execz .LBB181_94
; %bb.93:                               ;   in Loop: Header=BB181_13 Depth=1
	v_and_b32_e32 v55, 7, v23
	v_ffbh_u32_e32 v58, v55
	v_min_u32_e32 v61, 32, v58
	v_subrev_u32_e32 v58, 28, v61
	v_lshlrev_b64 v[58:59], v58, v[23:24]
	v_lshrrev_b32_e32 v60, 3, v57
	v_sub_u32_e32 v23, 29, v61
	v_and_b32_e32 v58, 7, v58
	v_cmp_gt_u32_e64 s[6:7], 8, v57
	v_cndmask_b32_e64 v23, v60, v23, s[6:7]
	v_cndmask_b32_e64 v55, v55, v58, s[6:7]
	v_lshlrev_b32_e32 v56, 24, v56
	v_lshlrev_b32_e32 v55, 20, v55
	v_and_b32_e32 v56, 0x80000000, v56
	v_lshl_add_u32 v23, v23, 23, v39
	v_or3_b32 v55, v56, v23, v55
.LBB181_94:                             ;   in Loop: Header=BB181_13 Depth=1
	s_or_b64 exec, exec, s[46:47]
.LBB181_95:                             ;   in Loop: Header=BB181_13 Depth=1
	s_or_b64 exec, exec, s[44:45]
.LBB181_96:                             ;   in Loop: Header=BB181_13 Depth=1
	s_or_b64 exec, exec, s[42:43]
	global_load_ubyte v56, v[21:22], off offset:772
	s_waitcnt vmcnt(0)
	v_cmp_ne_u16_e64 s[6:7], 0, v56
	s_and_saveexec_b64 s[42:43], s[6:7]
	s_cbranch_execz .LBB181_102
; %bb.97:                               ;   in Loop: Header=BB181_13 Depth=1
	v_cmp_ne_u16_e64 s[6:7], s54, v56
	v_bfrev_b32_e32 v54, 1
	s_and_saveexec_b64 s[44:45], s[6:7]
	s_cbranch_execz .LBB181_101
; %bb.98:                               ;   in Loop: Header=BB181_13 Depth=1
	v_and_b32_e32 v23, 0xffff, v56
	v_and_b32_e32 v57, 0x7f, v23
	v_cmp_ne_u32_e64 s[6:7], s55, v57
	v_mov_b32_e32 v54, 0x7f800001
	s_and_saveexec_b64 s[46:47], s[6:7]
	s_cbranch_execz .LBB181_100
; %bb.99:                               ;   in Loop: Header=BB181_13 Depth=1
	v_and_b32_e32 v54, 7, v23
	v_ffbh_u32_e32 v58, v54
	v_min_u32_e32 v61, 32, v58
	v_subrev_u32_e32 v58, 28, v61
	v_lshlrev_b64 v[58:59], v58, v[23:24]
	v_lshrrev_b32_e32 v60, 3, v57
	v_sub_u32_e32 v23, 29, v61
	v_and_b32_e32 v58, 7, v58
	v_cmp_gt_u32_e64 s[6:7], 8, v57
	v_cndmask_b32_e64 v23, v60, v23, s[6:7]
	v_cndmask_b32_e64 v54, v54, v58, s[6:7]
	v_lshlrev_b32_e32 v56, 24, v56
	v_lshlrev_b32_e32 v54, 20, v54
	v_and_b32_e32 v56, 0x80000000, v56
	v_lshl_add_u32 v23, v23, 23, v39
	v_or3_b32 v54, v56, v23, v54
.LBB181_100:                            ;   in Loop: Header=BB181_13 Depth=1
	s_or_b64 exec, exec, s[46:47]
.LBB181_101:                            ;   in Loop: Header=BB181_13 Depth=1
	s_or_b64 exec, exec, s[44:45]
.LBB181_102:                            ;   in Loop: Header=BB181_13 Depth=1
	s_or_b64 exec, exec, s[42:43]
	global_load_ubyte v58, v[21:22], off offset:776
	v_mov_b32_e32 v56, 0
	v_mov_b32_e32 v57, 0
	s_waitcnt vmcnt(0)
	v_cmp_ne_u16_e64 s[6:7], 0, v58
	s_and_saveexec_b64 s[42:43], s[6:7]
	s_cbranch_execz .LBB181_108
; %bb.103:                              ;   in Loop: Header=BB181_13 Depth=1
	v_cmp_ne_u16_e64 s[6:7], s54, v58
	v_bfrev_b32_e32 v57, 1
	s_and_saveexec_b64 s[44:45], s[6:7]
	s_cbranch_execz .LBB181_107
; %bb.104:                              ;   in Loop: Header=BB181_13 Depth=1
	v_and_b32_e32 v23, 0xffff, v58
	v_and_b32_e32 v59, 0x7f, v23
	v_cmp_ne_u32_e64 s[6:7], s55, v59
	v_mov_b32_e32 v57, 0x7f800001
	s_and_saveexec_b64 s[46:47], s[6:7]
	s_cbranch_execz .LBB181_106
; %bb.105:                              ;   in Loop: Header=BB181_13 Depth=1
	v_and_b32_e32 v57, 7, v23
	v_lshrrev_b32_e32 v61, 3, v59
	v_cmp_gt_u32_e64 s[6:7], 8, v59
	v_ffbh_u32_e32 v59, v57
	v_min_u32_e32 v62, 32, v59
	v_subrev_u32_e32 v59, 28, v62
	v_lshlrev_b64 v[59:60], v59, v[23:24]
	v_sub_u32_e32 v23, 29, v62
	v_and_b32_e32 v59, 7, v59
	v_cndmask_b32_e64 v23, v61, v23, s[6:7]
	v_cndmask_b32_e64 v57, v57, v59, s[6:7]
	v_lshlrev_b32_e32 v58, 24, v58
	v_lshlrev_b32_e32 v57, 20, v57
	v_and_b32_e32 v58, 0x80000000, v58
	v_lshl_add_u32 v23, v23, 23, v39
	v_or3_b32 v57, v58, v23, v57
.LBB181_106:                            ;   in Loop: Header=BB181_13 Depth=1
	s_or_b64 exec, exec, s[46:47]
.LBB181_107:                            ;   in Loop: Header=BB181_13 Depth=1
	s_or_b64 exec, exec, s[44:45]
.LBB181_108:                            ;   in Loop: Header=BB181_13 Depth=1
	s_or_b64 exec, exec, s[42:43]
	global_load_ubyte v22, v[21:22], off offset:780
	s_waitcnt vmcnt(0)
	v_cmp_ne_u16_e64 s[6:7], 0, v22
	s_and_saveexec_b64 s[42:43], s[6:7]
	s_cbranch_execz .LBB181_114
; %bb.109:                              ;   in Loop: Header=BB181_13 Depth=1
	v_cmp_ne_u16_e64 s[6:7], s54, v22
	v_bfrev_b32_e32 v56, 1
	s_and_saveexec_b64 s[44:45], s[6:7]
	s_cbranch_execz .LBB181_113
; %bb.110:                              ;   in Loop: Header=BB181_13 Depth=1
	v_and_b32_e32 v21, 0xffff, v22
	v_and_b32_e32 v23, 0x7f, v21
	v_cmp_ne_u32_e64 s[6:7], s55, v23
	v_mov_b32_e32 v56, 0x7f800001
	s_and_saveexec_b64 s[46:47], s[6:7]
	s_cbranch_execz .LBB181_112
; %bb.111:                              ;   in Loop: Header=BB181_13 Depth=1
	v_and_b32_e32 v56, 7, v21
	v_ffbh_u32_e32 v58, v56
	v_min_u32_e32 v61, 32, v58
	v_subrev_u32_e32 v58, 28, v61
	v_lshlrev_b64 v[58:59], v58, v[21:22]
	v_lshrrev_b32_e32 v60, 3, v23
	v_sub_u32_e32 v21, 29, v61
	v_and_b32_e32 v58, 7, v58
	v_cmp_gt_u32_e64 s[6:7], 8, v23
	v_cndmask_b32_e64 v21, v60, v21, s[6:7]
	v_cndmask_b32_e64 v23, v56, v58, s[6:7]
	v_lshlrev_b32_e32 v22, 24, v22
	v_lshlrev_b32_e32 v23, 20, v23
	v_and_b32_e32 v22, 0x80000000, v22
	v_lshl_add_u32 v21, v21, 23, v39
	v_or3_b32 v56, v22, v21, v23
.LBB181_112:                            ;   in Loop: Header=BB181_13 Depth=1
	s_or_b64 exec, exec, s[46:47]
.LBB181_113:                            ;   in Loop: Header=BB181_13 Depth=1
	s_or_b64 exec, exec, s[44:45]
.LBB181_114:                            ;   in Loop: Header=BB181_13 Depth=1
	s_or_b64 exec, exec, s[42:43]
	s_waitcnt lgkmcnt(0)
	v_mul_f32_e32 v42, s56, v42
	v_mul_f32_e32 v43, s56, v43
	;; [unrolled: 1-line block ×4, first 2 shown]
	v_fmac_f32_e32 v14, v13, v43
	v_mul_f32_e32 v44, s56, v44
	v_fmac_f32_e32 v14, v15, v45
	v_mul_f32_e32 v47, s56, v47
	v_fmac_f32_e32 v14, v16, v44
	v_mul_f32_e32 v46, s56, v46
	v_fmac_f32_e32 v14, v5, v47
	v_mul_f32_e32 v49, s56, v49
	v_fmac_f32_e32 v14, v6, v46
	v_mul_f32_e32 v48, s56, v48
	v_fmac_f32_e32 v14, v7, v49
	v_mul_f32_e32 v51, s56, v51
	v_fmac_f32_e32 v14, v8, v48
	v_mul_f32_e32 v50, s56, v50
	v_fmac_f32_e32 v14, v9, v51
	v_mul_f32_e32 v53, s56, v53
	v_fmac_f32_e32 v14, v10, v50
	v_mul_f32_e32 v52, s56, v52
	v_fmac_f32_e32 v14, v11, v53
	v_mul_f32_e32 v22, s56, v54
	v_mul_f32_e32 v23, s56, v55
	v_and_b32_e32 v54, 64, v40
	v_fmac_f32_e32 v14, v12, v52
	v_add_u32_e32 v54, 64, v54
	v_xor_b32_e32 v55, 2, v40
	v_fmac_f32_e32 v14, v1, v23
	v_mul_f32_e32 v21, s56, v57
	v_cmp_lt_i32_e64 s[6:7], v55, v54
	v_fmac_f32_e32 v14, v2, v22
	v_cndmask_b32_e64 v55, v40, v55, s[6:7]
	v_mul_f32_e32 v56, s56, v56
	v_fmac_f32_e32 v14, v3, v21
	v_lshlrev_b32_e32 v55, 2, v55
	v_fmac_f32_e32 v14, v4, v56
	ds_bpermute_b32 v1, v55, v14
	v_xor_b32_e32 v2, 1, v40
	v_cmp_lt_i32_e64 s[6:7], v2, v54
	v_cndmask_b32_e64 v2, v40, v2, s[6:7]
	v_lshlrev_b32_e32 v2, 2, v2
	s_waitcnt lgkmcnt(0)
	v_add_f32_e32 v1, v14, v1
	ds_bpermute_b32 v2, v2, v1
	s_and_saveexec_b64 s[42:43], vcc
	s_cbranch_execz .LBB181_11
; %bb.115:                              ;   in Loop: Header=BB181_13 Depth=1
	v_add_u32_e32 v3, v37, v36
	v_cvt_f32_i32_e32 v3, v3
	s_waitcnt lgkmcnt(0)
	v_add_f32_e32 v1, v1, v2
	v_add_u32_e32 v4, v31, v36
	v_cmp_gt_i32_e64 s[6:7], s25, v4
	v_mul_f32_e32 v2, s50, v3
	v_cndmask_b32_e64 v2, 0, v2, s[4:5]
	v_fmac_f32_e32 v2, s39, v1
	v_cndmask_b32_e64 v1, 0, v2, s[6:7]
	ds_write_b32 v38, v1
	v_max_f32_e32 v1, v34, v34
	v_max_f32_e32 v1, v1, v2
	v_cndmask_b32_e64 v34, v34, v1, s[6:7]
	s_branch .LBB181_11
.LBB181_116:
	s_or_b64 exec, exec, s[40:41]
.LBB181_117:
	s_or_b64 exec, exec, s[18:19]
	v_mbcnt_hi_u32_b32 v1, -1, v30
	v_and_b32_e32 v9, 64, v1
	s_waitcnt lgkmcnt(0)
	v_add_u32_e32 v2, 64, v9
	v_xor_b32_e32 v3, 32, v1
	v_cmp_lt_i32_e32 vcc, v3, v2
	v_cndmask_b32_e32 v3, v1, v3, vcc
	v_lshlrev_b32_e32 v3, 2, v3
	ds_bpermute_b32 v4, v3, v34
	v_xor_b32_e32 v6, 16, v1
	v_max_f32_e32 v5, v34, v34
	v_cmp_lt_i32_e32 vcc, v6, v2
	v_xor_b32_e32 v7, 8, v1
	s_waitcnt lgkmcnt(0)
	v_max_f32_e32 v4, v4, v4
	v_max_f32_e32 v5, v5, v4
	v_cndmask_b32_e32 v4, v1, v6, vcc
	v_lshlrev_b32_e32 v4, 2, v4
	ds_bpermute_b32 v6, v4, v5
	v_cmp_lt_i32_e32 vcc, v7, v2
	v_xor_b32_e32 v8, 4, v1
	v_and_b32_e32 v30, 63, v0
	s_waitcnt lgkmcnt(0)
	v_max_f32_e32 v6, v6, v6
	v_max_f32_e32 v5, v5, v6
	v_cndmask_b32_e32 v6, v1, v7, vcc
	v_lshlrev_b32_e32 v7, 2, v6
	ds_bpermute_b32 v6, v7, v5
	v_cmp_lt_i32_e32 vcc, v8, v2
	s_waitcnt lgkmcnt(0)
	v_max_f32_e32 v6, v6, v6
	v_max_f32_e32 v6, v5, v6
	v_cndmask_b32_e32 v5, v1, v8, vcc
	v_lshlrev_b32_e32 v8, 2, v5
	ds_bpermute_b32 v10, v8, v6
	v_cmp_eq_u32_e32 vcc, 0, v30
	v_lshlrev_b32_e32 v5, 2, v27
	s_and_saveexec_b64 s[4:5], vcc
	s_cbranch_execz .LBB181_119
; %bb.118:
	s_waitcnt lgkmcnt(0)
	v_max_f32_e32 v10, v10, v10
	v_max_f32_e32 v6, v6, v6
	;; [unrolled: 1-line block ×3, first 2 shown]
	ds_write_b32 v5, v6 offset:256
.LBB181_119:
	s_or_b64 exec, exec, s[4:5]
	v_cmp_gt_u32_e64 s[4:5], 2, v30
	s_waitcnt lgkmcnt(0)
	v_mov_b32_e32 v10, 0xff7fffff
	v_lshlrev_b32_e32 v6, 2, v30
	s_barrier
	s_and_saveexec_b64 s[6:7], s[4:5]
; %bb.120:
	ds_read_b32 v10, v6 offset:256
; %bb.121:
	s_or_b64 exec, exec, s[6:7]
	v_xor_b32_e32 v11, 1, v1
	v_cmp_lt_i32_e64 s[6:7], v11, v2
	v_cndmask_b32_e64 v11, v1, v11, s[6:7]
	v_lshlrev_b32_e32 v31, 2, v11
	s_waitcnt lgkmcnt(0)
	ds_bpermute_b32 v11, v31, v10
	v_max_f32_e32 v10, v10, v10
	v_lshlrev_b32_e32 v9, 2, v9
	s_lshl_b32 s6, s48, 4
	s_min_i32 s39, s6, s25
	s_waitcnt lgkmcnt(0)
	v_max_f32_e32 v11, v11, v11
	v_max_f32_e32 v10, v10, v11
	ds_bpermute_b32 v10, v9, v10
	v_cmp_gt_i32_e64 s[6:7], s39, v0
	v_mov_b32_e32 v9, 0
	s_and_saveexec_b64 s[12:13], s[6:7]
	s_cbranch_execz .LBB181_125
; %bb.122:
	v_mov_b32_e32 v9, 0x110
	v_lshl_add_u32 v11, v0, 2, v9
	v_mov_b32_e32 v9, 0
	s_mov_b64 s[18:19], 0
	v_mov_b32_e32 v12, v0
.LBB181_123:                            ; =>This Inner Loop Header: Depth=1
	ds_read_b32 v13, v11
	v_add_u32_e32 v12, 0x80, v12
	v_cmp_le_i32_e64 s[10:11], s39, v12
	s_or_b64 s[18:19], s[10:11], s[18:19]
	s_waitcnt lgkmcnt(0)
	v_sub_f32_e32 v13, v13, v10
	v_mul_f32_e32 v13, 0x3fb8aa3b, v13
	v_exp_f32_e32 v13, v13
	ds_write_b32 v11, v13
	v_add_f32_e32 v9, v9, v13
	v_add_u32_e32 v11, 0x200, v11
	s_andn2_b64 exec, exec, s[18:19]
	s_cbranch_execnz .LBB181_123
; %bb.124:
	s_or_b64 exec, exec, s[18:19]
.LBB181_125:
	s_or_b64 exec, exec, s[12:13]
	ds_bpermute_b32 v3, v3, v9
	s_waitcnt lgkmcnt(0)
	v_add_f32_e32 v3, v9, v3
	ds_bpermute_b32 v4, v4, v3
	s_waitcnt lgkmcnt(0)
	v_add_f32_e32 v3, v3, v4
	ds_bpermute_b32 v4, v7, v3
	v_xor_b32_e32 v7, 2, v1
	v_cmp_lt_i32_e64 s[10:11], v7, v2
	v_cndmask_b32_e64 v2, v1, v7, s[10:11]
	v_lshlrev_b32_e32 v33, 2, v2
	s_waitcnt lgkmcnt(0)
	v_add_f32_e32 v3, v3, v4
	ds_bpermute_b32 v4, v8, v3
	s_waitcnt lgkmcnt(0)
	v_add_f32_e32 v3, v3, v4
	ds_bpermute_b32 v2, v33, v3
	;; [unrolled: 3-line block ×3, first 2 shown]
	s_waitcnt lgkmcnt(0)
	v_add_f32_e32 v2, v2, v3
	s_and_saveexec_b64 s[10:11], vcc
; %bb.126:
	ds_write_b32 v5, v2 offset:264
; %bb.127:
	s_or_b64 exec, exec, s[10:11]
	s_waitcnt lgkmcnt(0)
	s_barrier
	s_and_saveexec_b64 s[10:11], s[4:5]
; %bb.128:
	ds_read_b32 v2, v6 offset:264
; %bb.129:
	s_or_b64 exec, exec, s[10:11]
	s_waitcnt lgkmcnt(0)
	ds_bpermute_b32 v3, v31, v2
	v_lshlrev_b32_e32 v1, 2, v1
	v_and_b32_e32 v1, 0x100, v1
	s_waitcnt lgkmcnt(0)
	v_add_f32_e32 v2, v2, v3
	ds_bpermute_b32 v1, v1, v2
	s_and_saveexec_b64 s[4:5], s[6:7]
	s_cbranch_execz .LBB181_132
; %bb.130:
	s_waitcnt lgkmcnt(0)
	v_add_f32_e32 v2, 0x358637bd, v1
	v_div_scale_f32 v1, s[6:7], v2, v2, 1.0
	v_div_scale_f32 v3, vcc, 1.0, v2, 1.0
	s_mov_b64 s[6:7], 0
	v_rcp_f32_e32 v4, v1
	v_fma_f32 v5, -v1, v4, 1.0
	v_fmac_f32_e32 v4, v5, v4
	v_mul_f32_e32 v5, v3, v4
	v_fma_f32 v6, -v1, v5, v3
	v_fmac_f32_e32 v5, v6, v4
	v_fma_f32 v1, -v1, v5, v3
	v_div_fmas_f32 v3, v1, v4, v5
	v_mov_b32_e32 v1, 0x110
	v_lshl_add_u32 v1, v0, 2, v1
	v_div_fixup_f32 v2, v3, v2, 1.0
	v_mov_b32_e32 v3, v0
.LBB181_131:                            ; =>This Inner Loop Header: Depth=1
	ds_read_b32 v4, v1
	v_add_u32_e32 v3, 0x80, v3
	v_cmp_le_i32_e32 vcc, s39, v3
	s_or_b64 s[6:7], vcc, s[6:7]
	s_waitcnt lgkmcnt(0)
	v_mul_f32_e32 v4, v2, v4
	ds_write_b32 v1, v4
	v_add_u32_e32 v1, 0x200, v1
	s_andn2_b64 exec, exec, s[6:7]
	s_cbranch_execnz .LBB181_131
.LBB181_132:
	s_or_b64 exec, exec, s[4:5]
	v_mov_b32_e32 v38, 0
	v_mov_b32_e32 v37, 0
	;; [unrolled: 1-line block ×4, first 2 shown]
	s_waitcnt lgkmcnt(0)
	s_barrier
	s_and_saveexec_b64 s[4:5], s[2:3]
	s_cbranch_execz .LBB181_242
; %bb.133:
	s_sub_i32 s21, s16, s21
	s_ashr_i32 s2, s49, 31
	s_add_u32 s6, s36, s49
	s_addc_u32 s7, s37, s2
	s_abs_i32 s22, s22
	v_cvt_f32_u32_e32 v1, s22
	s_sub_i32 s2, 0, s22
	v_and_b32_e32 v2, 0xfc, v29
	s_add_i32 s37, s48, -1
	v_rcp_iflag_f32_e32 v1, v1
	v_mov_b32_e32 v6, s7
	v_add_co_u32_e32 v7, vcc, s6, v2
	v_mul_f32_e32 v1, 0x4f7ffffe, v1
	v_cvt_u32_f32_e32 v1, v1
	v_and_b32_e32 v3, 60, v32
	v_addc_co_u32_e32 v8, vcc, 0, v6, vcc
	v_mul_lo_u32 v4, s2, v1
	s_lshl_b64 s[2:3], s[34:35], 2
	s_add_u32 s2, s30, s2
	s_addc_u32 s3, s31, s3
	v_mul_hi_u32 v4, v1, v4
	v_and_b32_e32 v34, 12, v29
	v_add_co_u32_e32 v9, vcc, s2, v3
	v_add_u32_e32 v29, v1, v4
	v_mov_b32_e32 v1, s3
	v_addc_co_u32_e32 v10, vcc, 0, v1, vcc
	v_lshlrev_b32_e32 v1, 4, v26
	v_mov_b32_e32 v5, 0
	v_lshl_or_b32 v1, v27, 6, v1
	s_mov_b32 s36, s17
	v_add_u32_e32 v32, 0x110, v1
	s_mov_b64 s[6:7], 0
	s_movk_i32 s30, 0x80
	s_movk_i32 s31, 0x7f
	s_brev_b32 s34, 1
	s_mov_b32 s35, 0xffffff
	v_bfrev_b32_e32 v39, 60
	v_bfrev_b32_e32 v6, 1
	v_mov_b32_e32 v12, 0x7f800001
	v_mov_b32_e32 v40, 7
	;; [unrolled: 1-line block ×7, first 2 shown]
	s_branch .LBB181_136
.LBB181_134:                            ;   in Loop: Header=BB181_136 Depth=1
	s_or_b64 exec, exec, s[2:3]
	v_mul_f32_e32 v16, v1, v55
	v_fmac_f32_e32 v16, v2, v54
	v_fmac_f32_e32 v16, v3, v23
	;; [unrolled: 1-line block ×3, first 2 shown]
	v_add_f32_e32 v36, v36, v16
	v_mul_f32_e32 v16, v1, v53
	v_fmac_f32_e32 v16, v2, v50
	v_fmac_f32_e32 v16, v3, v52
	;; [unrolled: 1-line block ×3, first 2 shown]
	v_add_f32_e32 v37, v37, v16
	v_mul_f32_e32 v16, v1, v45
	v_mul_f32_e32 v1, v1, v15
	v_fmac_f32_e32 v16, v2, v42
	v_fmac_f32_e32 v1, v2, v11
	;; [unrolled: 1-line block ×6, first 2 shown]
	v_add_f32_e32 v38, v38, v16
	v_add_f32_e32 v35, v35, v1
.LBB181_135:                            ;   in Loop: Header=BB181_136 Depth=1
	s_or_b64 exec, exec, s[10:11]
	v_add_co_u32_e32 v9, vcc, 8, v9
	v_add_u32_e32 v27, 2, v27
	v_addc_co_u32_e32 v10, vcc, 0, v10, vcc
	v_cmp_le_i32_e32 vcc, s48, v27
	v_add_u32_e32 v28, 32, v28
	s_or_b64 s[6:7], vcc, s[6:7]
	v_add_u32_e32 v32, 0x80, v32
	s_andn2_b64 exec, exec, s[6:7]
	s_cbranch_execz .LBB181_241
.LBB181_136:                            ; =>This Inner Loop Header: Depth=1
	v_mul_hi_u32 v1, v28, s33
	v_mul_lo_u32 v2, v1, s27
	v_add_u32_e32 v3, 1, v1
	v_sub_u32_e32 v2, v28, v2
	v_cmp_le_u32_e32 vcc, s27, v2
	v_cndmask_b32_e32 v1, v1, v3, vcc
	v_subrev_u32_e32 v3, s27, v2
	v_cndmask_b32_e32 v2, v2, v3, vcc
	v_add_u32_e32 v3, 1, v1
	v_cmp_le_u32_e32 vcc, s27, v2
	v_cndmask_b32_e32 v1, v1, v3, vcc
	v_xor_b32_e32 v1, s23, v1
	v_subrev_u32_e32 v1, s23, v1
	v_add_u32_e32 v2, s38, v1
	v_sub_u32_e32 v3, 0, v2
	v_max_i32_e32 v3, v2, v3
	v_mul_hi_u32 v4, v3, v29
	v_ashrrev_i32_e32 v2, 31, v2
	v_cmp_lt_i32_e64 s[2:3], s21, v1
	v_mul_lo_u32 v4, v4, s22
	v_sub_u32_e32 v3, v3, v4
	v_subrev_u32_e32 v4, s22, v3
	v_cmp_le_u32_e32 vcc, s22, v3
	v_cndmask_b32_e32 v3, v3, v4, vcc
	v_subrev_u32_e32 v4, s22, v3
	v_cmp_le_u32_e32 vcc, s22, v3
	v_cndmask_b32_e32 v3, v3, v4, vcc
	v_xor_b32_e32 v3, v3, v2
	v_sub_u32_e32 v2, v3, v2
	v_cmp_eq_u32_e32 vcc, 0, v2
	s_or_b64 s[2:3], vcc, s[2:3]
	s_and_saveexec_b64 s[10:11], s[2:3]
	s_cbranch_execz .LBB181_135
; %bb.137:                              ;   in Loop: Header=BB181_136 Depth=1
	global_load_dword v1, v[9:10], off
	s_load_dword s39, s[14:15], 0x0
	v_mov_b32_e32 v18, 0
	v_mov_b32_e32 v16, 0
	;; [unrolled: 1-line block ×4, first 2 shown]
	s_waitcnt vmcnt(0)
	v_mad_i64_i32 v[13:14], s[2:3], v1, s36, v[7:8]
	ds_read_b128 v[1:4], v32
	global_load_dword v15, v[13:14], off
	s_waitcnt vmcnt(0)
	v_cmp_ne_u16_sdwa s[12:13], v15, v5 src0_sel:BYTE_0 src1_sel:DWORD
	s_and_saveexec_b64 s[2:3], s[12:13]
	s_cbranch_execz .LBB181_143
; %bb.138:                              ;   in Loop: Header=BB181_136 Depth=1
	v_bfrev_b32_e32 v16, 1
	v_mov_b32_e32 v17, 0
	v_cmp_ne_u16_sdwa s[16:17], v15, s30 src0_sel:BYTE_0 src1_sel:DWORD
	s_and_saveexec_b64 s[12:13], s[16:17]
	s_cbranch_execz .LBB181_142
; %bb.139:                              ;   in Loop: Header=BB181_136 Depth=1
	v_and_b32_e32 v11, 0x7f, v15
	v_mov_b32_e32 v16, 0x7f800001
	v_mov_b32_e32 v17, 0
	v_cmp_ne_u32_e32 vcc, s31, v11
	s_and_saveexec_b64 s[16:17], vcc
	s_cbranch_execz .LBB181_141
; %bb.140:                              ;   in Loop: Header=BB181_136 Depth=1
	v_and_b32_e32 v20, 7, v15
	v_ffbh_u32_e32 v16, v20
	v_min_u32_e32 v22, 32, v16
	v_subrev_u32_e32 v16, 28, v22
	v_lshlrev_b64 v[16:17], v16, v[15:16]
	v_lshrrev_b32_e32 v21, 3, v11
	v_sub_u32_e32 v17, 29, v22
	v_and_b32_e32 v16, 7, v16
	v_cmp_gt_u32_e32 vcc, 8, v11
	v_cndmask_b32_e32 v11, v21, v17, vcc
	v_cndmask_b32_e32 v16, v20, v16, vcc
	v_lshlrev_b32_e32 v16, 20, v16
	v_and_b32_sdwa v17, sext(v15), s34 dst_sel:DWORD dst_unused:UNUSED_PAD src0_sel:BYTE_0 src1_sel:DWORD
	v_lshl_add_u32 v11, v11, 23, v39
	v_or3_b32 v16, v17, v11, v16
	v_mov_b32_e32 v17, v5
.LBB181_141:                            ;   in Loop: Header=BB181_136 Depth=1
	s_or_b64 exec, exec, s[16:17]
.LBB181_142:                            ;   in Loop: Header=BB181_136 Depth=1
	s_or_b64 exec, exec, s[12:13]
.LBB181_143:                            ;   in Loop: Header=BB181_136 Depth=1
	s_or_b64 exec, exec, s[2:3]
	v_cmp_ne_u16_sdwa s[12:13], v15, v5 src0_sel:BYTE_1 src1_sel:DWORD
	s_and_saveexec_b64 s[2:3], s[12:13]
	s_cbranch_execz .LBB181_149
; %bb.144:                              ;   in Loop: Header=BB181_136 Depth=1
	v_mov_b32_e32 v19, v6
	v_cmp_ne_u16_sdwa s[16:17], v15, s30 src0_sel:BYTE_1 src1_sel:DWORD
	v_mov_b32_e32 v18, v5
	s_and_saveexec_b64 s[12:13], s[16:17]
	s_cbranch_execz .LBB181_148
; %bb.145:                              ;   in Loop: Header=BB181_136 Depth=1
	v_and_b32_sdwa v20, v15, s31 dst_sel:DWORD dst_unused:UNUSED_PAD src0_sel:BYTE_1 src1_sel:DWORD
	v_mov_b32_e32 v11, v5
	v_mov_b32_e32 v19, v12
	v_cmp_ne_u32_e32 vcc, s31, v20
	v_mov_b32_e32 v18, v11
	s_and_saveexec_b64 s[16:17], vcc
	s_cbranch_execz .LBB181_147
; %bb.146:                              ;   in Loop: Header=BB181_136 Depth=1
	v_and_b32_sdwa v18, v15, v40 dst_sel:DWORD dst_unused:UNUSED_PAD src0_sel:BYTE_1 src1_sel:DWORD
	v_ffbh_u32_e32 v21, v18
	v_min_u32_e32 v23, 32, v21
	v_mov_b32_e32 v19, v5
	v_subrev_u32_e32 v21, 28, v23
	v_lshlrev_b64 v[21:22], v21, v[18:19]
	v_lshrrev_b32_e32 v11, 3, v20
	v_sub_u32_e32 v19, 29, v23
	v_cmp_gt_u32_e32 vcc, 8, v20
	v_and_b32_e32 v21, 7, v21
	v_cndmask_b32_e32 v11, v11, v19, vcc
	v_cndmask_b32_e32 v18, v18, v21, vcc
	v_lshlrev_b32_e32 v19, 16, v15
	v_lshl_add_u32 v11, v11, 23, v39
	v_and_or_b32 v11, v19, s34, v11
	v_lshlrev_b32_e32 v18, 20, v18
	v_or_b32_e32 v19, v11, v18
	v_mov_b32_e32 v18, v5
.LBB181_147:                            ;   in Loop: Header=BB181_136 Depth=1
	s_or_b64 exec, exec, s[16:17]
.LBB181_148:                            ;   in Loop: Header=BB181_136 Depth=1
	s_or_b64 exec, exec, s[12:13]
.LBB181_149:                            ;   in Loop: Header=BB181_136 Depth=1
	s_or_b64 exec, exec, s[2:3]
	v_lshrrev_b32_e32 v11, 16, v15
	v_mov_b32_e32 v22, 0
	v_mov_b32_e32 v20, 0
	;; [unrolled: 1-line block ×4, first 2 shown]
	v_cmp_ne_u16_sdwa s[12:13], v11, v5 src0_sel:BYTE_0 src1_sel:DWORD
	s_and_saveexec_b64 s[2:3], s[12:13]
	s_cbranch_execz .LBB181_155
; %bb.150:                              ;   in Loop: Header=BB181_136 Depth=1
	v_bfrev_b32_e32 v20, 1
	v_mov_b32_e32 v21, 0
	v_cmp_ne_u16_sdwa s[16:17], v11, s30 src0_sel:BYTE_0 src1_sel:DWORD
	s_and_saveexec_b64 s[12:13], s[16:17]
	s_cbranch_execz .LBB181_154
; %bb.151:                              ;   in Loop: Header=BB181_136 Depth=1
	v_bfe_u32 v42, v15, 16, 7
	v_mov_b32_e32 v20, 0x7f800001
	v_mov_b32_e32 v21, 0
	v_cmp_ne_u32_e32 vcc, s31, v42
	s_and_saveexec_b64 s[16:17], vcc
	s_cbranch_execz .LBB181_153
; %bb.152:                              ;   in Loop: Header=BB181_136 Depth=1
	v_and_b32_e32 v43, 7, v11
	v_ffbh_u32_e32 v20, v43
	v_min_u32_e32 v45, 32, v20
	v_subrev_u32_e32 v20, 28, v45
	v_lshlrev_b64 v[20:21], v20, v[11:12]
	v_lshrrev_b32_e32 v44, 3, v42
	v_sub_u32_e32 v21, 29, v45
	v_and_b32_e32 v20, 7, v20
	v_cmp_gt_u32_e32 vcc, 8, v42
	v_cndmask_b32_e32 v21, v44, v21, vcc
	v_cndmask_b32_e32 v20, v43, v20, vcc
	v_lshlrev_b32_e32 v20, 20, v20
	v_and_b32_sdwa v11, sext(v11), s34 dst_sel:DWORD dst_unused:UNUSED_PAD src0_sel:BYTE_0 src1_sel:DWORD
	v_lshl_add_u32 v21, v21, 23, v39
	v_or3_b32 v20, v11, v21, v20
	v_mov_b32_e32 v21, v5
.LBB181_153:                            ;   in Loop: Header=BB181_136 Depth=1
	s_or_b64 exec, exec, s[16:17]
.LBB181_154:                            ;   in Loop: Header=BB181_136 Depth=1
	s_or_b64 exec, exec, s[12:13]
.LBB181_155:                            ;   in Loop: Header=BB181_136 Depth=1
	s_or_b64 exec, exec, s[2:3]
	v_cmp_lt_u32_e32 vcc, s35, v15
	s_and_saveexec_b64 s[2:3], vcc
	s_cbranch_execz .LBB181_161
; %bb.156:                              ;   in Loop: Header=BB181_136 Depth=1
	v_mov_b32_e32 v23, v6
	v_cmp_ne_u32_sdwa s[16:17], v15, s30 src0_sel:BYTE_3 src1_sel:DWORD
	v_mov_b32_e32 v22, v5
	s_and_saveexec_b64 s[12:13], s[16:17]
	s_cbranch_execz .LBB181_160
; %bb.157:                              ;   in Loop: Header=BB181_136 Depth=1
	v_bfe_u32 v42, v15, 24, 7
	v_mov_b32_e32 v11, v5
	v_mov_b32_e32 v23, v12
	v_cmp_ne_u32_e32 vcc, s31, v42
	v_mov_b32_e32 v22, v11
	s_and_saveexec_b64 s[16:17], vcc
	s_cbranch_execz .LBB181_159
; %bb.158:                              ;   in Loop: Header=BB181_136 Depth=1
	v_and_b32_sdwa v22, v15, v40 dst_sel:DWORD dst_unused:UNUSED_PAD src0_sel:BYTE_3 src1_sel:DWORD
	v_ffbh_u32_e32 v43, v22
	v_min_u32_e32 v45, 32, v43
	v_mov_b32_e32 v23, v5
	v_subrev_u32_e32 v43, 28, v45
	v_lshlrev_b64 v[43:44], v43, v[22:23]
	v_lshrrev_b32_e32 v11, 3, v42
	v_sub_u32_e32 v23, 29, v45
	v_cmp_gt_u32_e32 vcc, 8, v42
	v_and_b32_e32 v43, 7, v43
	v_cndmask_b32_e32 v11, v11, v23, vcc
	v_cndmask_b32_e32 v22, v22, v43, vcc
	v_lshlrev_b32_sdwa v15, v41, v15 dst_sel:DWORD dst_unused:UNUSED_PAD src0_sel:DWORD src1_sel:BYTE_3
	v_lshl_add_u32 v11, v11, 23, v39
	v_and_or_b32 v11, v15, s34, v11
	v_lshlrev_b32_e32 v15, 20, v22
	v_or_b32_e32 v23, v11, v15
	v_mov_b32_e32 v22, v5
.LBB181_159:                            ;   in Loop: Header=BB181_136 Depth=1
	s_or_b64 exec, exec, s[16:17]
.LBB181_160:                            ;   in Loop: Header=BB181_136 Depth=1
	s_or_b64 exec, exec, s[12:13]
.LBB181_161:                            ;   in Loop: Header=BB181_136 Depth=1
	s_or_b64 exec, exec, s[2:3]
	v_or_b32_e32 v11, v19, v17
	v_or_b32_e32 v15, v18, v16
	v_add_u32_e32 v46, v34, v28
	s_waitcnt lgkmcnt(0)
	v_mul_f32_e32 v42, s39, v11
	v_mul_f32_e32 v45, s39, v15
	v_or_b32_e32 v11, v23, v21
	v_or_b32_e32 v15, v22, v20
	v_cmp_eq_u32_e32 vcc, s37, v27
	v_mul_f32_e32 v44, s39, v15
	v_mul_f32_e32 v43, s39, v11
	v_add_u32_e32 v49, 1, v46
	v_add_u32_e32 v48, 2, v46
	;; [unrolled: 1-line block ×3, first 2 shown]
	s_and_saveexec_b64 s[12:13], vcc
; %bb.162:                              ;   in Loop: Header=BB181_136 Depth=1
	v_cmp_gt_i32_e64 s[2:3], s25, v46
	v_cndmask_b32_e64 v45, 0, v45, s[2:3]
	v_cmp_gt_i32_e64 s[2:3], s25, v49
	v_cndmask_b32_e64 v42, 0, v42, s[2:3]
	;; [unrolled: 2-line block ×4, first 2 shown]
; %bb.163:                              ;   in Loop: Header=BB181_136 Depth=1
	s_or_b64 exec, exec, s[12:13]
	global_load_dword v15, v[13:14], off offset:256
	v_mov_b32_e32 v18, 0
	v_mov_b32_e32 v16, 0
	;; [unrolled: 1-line block ×4, first 2 shown]
	s_waitcnt vmcnt(0)
	v_cmp_ne_u16_sdwa s[2:3], v15, v5 src0_sel:BYTE_0 src1_sel:DWORD
	s_and_saveexec_b64 s[12:13], s[2:3]
	s_cbranch_execz .LBB181_169
; %bb.164:                              ;   in Loop: Header=BB181_136 Depth=1
	v_bfrev_b32_e32 v16, 1
	v_mov_b32_e32 v17, 0
	v_cmp_ne_u16_sdwa s[2:3], v15, s30 src0_sel:BYTE_0 src1_sel:DWORD
	s_and_saveexec_b64 s[16:17], s[2:3]
	s_cbranch_execz .LBB181_168
; %bb.165:                              ;   in Loop: Header=BB181_136 Depth=1
	v_and_b32_e32 v11, 0x7f, v15
	v_mov_b32_e32 v16, 0x7f800001
	v_mov_b32_e32 v17, 0
	v_cmp_ne_u32_e64 s[2:3], s31, v11
	s_and_saveexec_b64 s[18:19], s[2:3]
	s_cbranch_execz .LBB181_167
; %bb.166:                              ;   in Loop: Header=BB181_136 Depth=1
	v_and_b32_e32 v20, 7, v15
	v_ffbh_u32_e32 v16, v20
	v_min_u32_e32 v22, 32, v16
	v_subrev_u32_e32 v16, 28, v22
	v_lshlrev_b64 v[16:17], v16, v[15:16]
	v_lshrrev_b32_e32 v21, 3, v11
	v_sub_u32_e32 v17, 29, v22
	v_and_b32_e32 v16, 7, v16
	v_cmp_gt_u32_e64 s[2:3], 8, v11
	v_cndmask_b32_e64 v11, v21, v17, s[2:3]
	v_cndmask_b32_e64 v16, v20, v16, s[2:3]
	v_lshlrev_b32_e32 v16, 20, v16
	v_and_b32_sdwa v17, sext(v15), s34 dst_sel:DWORD dst_unused:UNUSED_PAD src0_sel:BYTE_0 src1_sel:DWORD
	v_lshl_add_u32 v11, v11, 23, v39
	v_or3_b32 v16, v17, v11, v16
	v_mov_b32_e32 v17, v5
.LBB181_167:                            ;   in Loop: Header=BB181_136 Depth=1
	s_or_b64 exec, exec, s[18:19]
.LBB181_168:                            ;   in Loop: Header=BB181_136 Depth=1
	s_or_b64 exec, exec, s[16:17]
.LBB181_169:                            ;   in Loop: Header=BB181_136 Depth=1
	s_or_b64 exec, exec, s[12:13]
	v_cmp_ne_u16_sdwa s[2:3], v15, v5 src0_sel:BYTE_1 src1_sel:DWORD
	s_and_saveexec_b64 s[12:13], s[2:3]
	s_cbranch_execz .LBB181_175
; %bb.170:                              ;   in Loop: Header=BB181_136 Depth=1
	v_mov_b32_e32 v19, v6
	v_cmp_ne_u16_sdwa s[2:3], v15, s30 src0_sel:BYTE_1 src1_sel:DWORD
	v_mov_b32_e32 v18, v5
	s_and_saveexec_b64 s[16:17], s[2:3]
	s_cbranch_execz .LBB181_174
; %bb.171:                              ;   in Loop: Header=BB181_136 Depth=1
	v_and_b32_sdwa v20, v15, s31 dst_sel:DWORD dst_unused:UNUSED_PAD src0_sel:BYTE_1 src1_sel:DWORD
	v_mov_b32_e32 v11, v5
	v_mov_b32_e32 v19, v12
	v_cmp_ne_u32_e64 s[2:3], s31, v20
	v_mov_b32_e32 v18, v11
	s_and_saveexec_b64 s[18:19], s[2:3]
	s_cbranch_execz .LBB181_173
; %bb.172:                              ;   in Loop: Header=BB181_136 Depth=1
	v_and_b32_sdwa v18, v15, v40 dst_sel:DWORD dst_unused:UNUSED_PAD src0_sel:BYTE_1 src1_sel:DWORD
	v_ffbh_u32_e32 v21, v18
	v_min_u32_e32 v23, 32, v21
	v_mov_b32_e32 v19, v5
	v_subrev_u32_e32 v21, 28, v23
	v_lshlrev_b64 v[21:22], v21, v[18:19]
	v_lshrrev_b32_e32 v11, 3, v20
	v_sub_u32_e32 v19, 29, v23
	v_cmp_gt_u32_e64 s[2:3], 8, v20
	v_and_b32_e32 v21, 7, v21
	v_cndmask_b32_e64 v11, v11, v19, s[2:3]
	v_cndmask_b32_e64 v18, v18, v21, s[2:3]
	v_lshlrev_b32_e32 v19, 16, v15
	v_lshl_add_u32 v11, v11, 23, v39
	v_and_or_b32 v11, v19, s34, v11
	v_lshlrev_b32_e32 v18, 20, v18
	v_or_b32_e32 v19, v11, v18
	v_mov_b32_e32 v18, v5
.LBB181_173:                            ;   in Loop: Header=BB181_136 Depth=1
	s_or_b64 exec, exec, s[18:19]
.LBB181_174:                            ;   in Loop: Header=BB181_136 Depth=1
	s_or_b64 exec, exec, s[16:17]
.LBB181_175:                            ;   in Loop: Header=BB181_136 Depth=1
	s_or_b64 exec, exec, s[12:13]
	v_lshrrev_b32_e32 v11, 16, v15
	v_mov_b32_e32 v22, 0
	v_mov_b32_e32 v20, 0
	;; [unrolled: 1-line block ×4, first 2 shown]
	v_cmp_ne_u16_sdwa s[2:3], v11, v5 src0_sel:BYTE_0 src1_sel:DWORD
	s_and_saveexec_b64 s[12:13], s[2:3]
	s_cbranch_execz .LBB181_181
; %bb.176:                              ;   in Loop: Header=BB181_136 Depth=1
	v_bfrev_b32_e32 v20, 1
	v_mov_b32_e32 v21, 0
	v_cmp_ne_u16_sdwa s[2:3], v11, s30 src0_sel:BYTE_0 src1_sel:DWORD
	s_and_saveexec_b64 s[16:17], s[2:3]
	s_cbranch_execz .LBB181_180
; %bb.177:                              ;   in Loop: Header=BB181_136 Depth=1
	v_bfe_u32 v50, v15, 16, 7
	v_mov_b32_e32 v20, 0x7f800001
	v_mov_b32_e32 v21, 0
	v_cmp_ne_u32_e64 s[2:3], s31, v50
	s_and_saveexec_b64 s[18:19], s[2:3]
	s_cbranch_execz .LBB181_179
; %bb.178:                              ;   in Loop: Header=BB181_136 Depth=1
	v_and_b32_e32 v51, 7, v11
	v_ffbh_u32_e32 v20, v51
	v_min_u32_e32 v53, 32, v20
	v_subrev_u32_e32 v20, 28, v53
	v_lshlrev_b64 v[20:21], v20, v[11:12]
	v_lshrrev_b32_e32 v52, 3, v50
	v_sub_u32_e32 v21, 29, v53
	v_and_b32_e32 v20, 7, v20
	v_cmp_gt_u32_e64 s[2:3], 8, v50
	v_cndmask_b32_e64 v21, v52, v21, s[2:3]
	v_cndmask_b32_e64 v20, v51, v20, s[2:3]
	v_lshlrev_b32_e32 v20, 20, v20
	v_and_b32_sdwa v11, sext(v11), s34 dst_sel:DWORD dst_unused:UNUSED_PAD src0_sel:BYTE_0 src1_sel:DWORD
	v_lshl_add_u32 v21, v21, 23, v39
	v_or3_b32 v20, v11, v21, v20
	v_mov_b32_e32 v21, v5
.LBB181_179:                            ;   in Loop: Header=BB181_136 Depth=1
	s_or_b64 exec, exec, s[18:19]
.LBB181_180:                            ;   in Loop: Header=BB181_136 Depth=1
	s_or_b64 exec, exec, s[16:17]
.LBB181_181:                            ;   in Loop: Header=BB181_136 Depth=1
	s_or_b64 exec, exec, s[12:13]
	v_cmp_lt_u32_e64 s[2:3], s35, v15
	s_and_saveexec_b64 s[12:13], s[2:3]
	s_cbranch_execz .LBB181_187
; %bb.182:                              ;   in Loop: Header=BB181_136 Depth=1
	v_mov_b32_e32 v23, v6
	v_cmp_ne_u32_sdwa s[2:3], v15, s30 src0_sel:BYTE_3 src1_sel:DWORD
	v_mov_b32_e32 v22, v5
	s_and_saveexec_b64 s[16:17], s[2:3]
	s_cbranch_execz .LBB181_186
; %bb.183:                              ;   in Loop: Header=BB181_136 Depth=1
	v_bfe_u32 v50, v15, 24, 7
	v_mov_b32_e32 v11, v5
	v_mov_b32_e32 v23, v12
	v_cmp_ne_u32_e64 s[2:3], s31, v50
	v_mov_b32_e32 v22, v11
	s_and_saveexec_b64 s[18:19], s[2:3]
	s_cbranch_execz .LBB181_185
; %bb.184:                              ;   in Loop: Header=BB181_136 Depth=1
	v_and_b32_sdwa v22, v15, v40 dst_sel:DWORD dst_unused:UNUSED_PAD src0_sel:BYTE_3 src1_sel:DWORD
	v_ffbh_u32_e32 v51, v22
	v_min_u32_e32 v53, 32, v51
	v_mov_b32_e32 v23, v5
	v_subrev_u32_e32 v51, 28, v53
	v_lshlrev_b64 v[51:52], v51, v[22:23]
	v_lshrrev_b32_e32 v11, 3, v50
	v_sub_u32_e32 v23, 29, v53
	v_cmp_gt_u32_e64 s[2:3], 8, v50
	v_and_b32_e32 v51, 7, v51
	v_cndmask_b32_e64 v11, v11, v23, s[2:3]
	v_cndmask_b32_e64 v22, v22, v51, s[2:3]
	v_lshlrev_b32_sdwa v15, v41, v15 dst_sel:DWORD dst_unused:UNUSED_PAD src0_sel:DWORD src1_sel:BYTE_3
	v_lshl_add_u32 v11, v11, 23, v39
	v_and_or_b32 v11, v15, s34, v11
	v_lshlrev_b32_e32 v15, 20, v22
	v_or_b32_e32 v23, v11, v15
	v_mov_b32_e32 v22, v5
.LBB181_185:                            ;   in Loop: Header=BB181_136 Depth=1
	s_or_b64 exec, exec, s[18:19]
.LBB181_186:                            ;   in Loop: Header=BB181_136 Depth=1
	s_or_b64 exec, exec, s[16:17]
.LBB181_187:                            ;   in Loop: Header=BB181_136 Depth=1
	s_or_b64 exec, exec, s[12:13]
	s_mov_b32 s40, s39
	v_or_b32_e32 v11, v19, v17
	v_or_b32_e32 v15, v18, v16
	v_mul_f32_e32 v50, s40, v11
	v_mul_f32_e32 v53, s39, v15
	v_or_b32_e32 v11, v23, v21
	v_or_b32_e32 v15, v22, v20
	v_mul_f32_e32 v52, s39, v15
	v_mul_f32_e32 v51, s40, v11
	s_and_saveexec_b64 s[12:13], vcc
; %bb.188:                              ;   in Loop: Header=BB181_136 Depth=1
	v_cmp_gt_i32_e64 s[2:3], s25, v46
	v_cndmask_b32_e64 v53, 0, v53, s[2:3]
	v_cmp_gt_i32_e64 s[2:3], s25, v49
	v_cndmask_b32_e64 v50, 0, v50, s[2:3]
	;; [unrolled: 2-line block ×4, first 2 shown]
; %bb.189:                              ;   in Loop: Header=BB181_136 Depth=1
	s_or_b64 exec, exec, s[12:13]
	global_load_dword v15, v[13:14], off offset:512
	v_mov_b32_e32 v18, 0
	v_mov_b32_e32 v16, 0
	;; [unrolled: 1-line block ×4, first 2 shown]
	s_waitcnt vmcnt(0)
	v_cmp_ne_u16_sdwa s[2:3], v15, v5 src0_sel:BYTE_0 src1_sel:DWORD
	s_and_saveexec_b64 s[12:13], s[2:3]
	s_cbranch_execz .LBB181_195
; %bb.190:                              ;   in Loop: Header=BB181_136 Depth=1
	v_bfrev_b32_e32 v16, 1
	v_mov_b32_e32 v17, 0
	v_cmp_ne_u16_sdwa s[2:3], v15, s30 src0_sel:BYTE_0 src1_sel:DWORD
	s_and_saveexec_b64 s[16:17], s[2:3]
	s_cbranch_execz .LBB181_194
; %bb.191:                              ;   in Loop: Header=BB181_136 Depth=1
	v_and_b32_e32 v11, 0x7f, v15
	v_mov_b32_e32 v16, 0x7f800001
	v_mov_b32_e32 v17, 0
	v_cmp_ne_u32_e64 s[2:3], s31, v11
	s_and_saveexec_b64 s[18:19], s[2:3]
	s_cbranch_execz .LBB181_193
; %bb.192:                              ;   in Loop: Header=BB181_136 Depth=1
	v_and_b32_e32 v20, 7, v15
	v_ffbh_u32_e32 v16, v20
	v_min_u32_e32 v22, 32, v16
	v_subrev_u32_e32 v16, 28, v22
	v_lshlrev_b64 v[16:17], v16, v[15:16]
	v_lshrrev_b32_e32 v21, 3, v11
	v_sub_u32_e32 v17, 29, v22
	v_and_b32_e32 v16, 7, v16
	v_cmp_gt_u32_e64 s[2:3], 8, v11
	v_cndmask_b32_e64 v11, v21, v17, s[2:3]
	v_cndmask_b32_e64 v16, v20, v16, s[2:3]
	v_lshlrev_b32_e32 v16, 20, v16
	v_and_b32_sdwa v17, sext(v15), s34 dst_sel:DWORD dst_unused:UNUSED_PAD src0_sel:BYTE_0 src1_sel:DWORD
	v_lshl_add_u32 v11, v11, 23, v39
	v_or3_b32 v16, v17, v11, v16
	v_mov_b32_e32 v17, v5
.LBB181_193:                            ;   in Loop: Header=BB181_136 Depth=1
	s_or_b64 exec, exec, s[18:19]
.LBB181_194:                            ;   in Loop: Header=BB181_136 Depth=1
	s_or_b64 exec, exec, s[16:17]
.LBB181_195:                            ;   in Loop: Header=BB181_136 Depth=1
	s_or_b64 exec, exec, s[12:13]
	v_cmp_ne_u16_sdwa s[2:3], v15, v5 src0_sel:BYTE_1 src1_sel:DWORD
	s_and_saveexec_b64 s[12:13], s[2:3]
	s_cbranch_execz .LBB181_201
; %bb.196:                              ;   in Loop: Header=BB181_136 Depth=1
	v_mov_b32_e32 v19, v6
	v_cmp_ne_u16_sdwa s[2:3], v15, s30 src0_sel:BYTE_1 src1_sel:DWORD
	v_mov_b32_e32 v18, v5
	s_and_saveexec_b64 s[16:17], s[2:3]
	s_cbranch_execz .LBB181_200
; %bb.197:                              ;   in Loop: Header=BB181_136 Depth=1
	v_and_b32_sdwa v20, v15, s31 dst_sel:DWORD dst_unused:UNUSED_PAD src0_sel:BYTE_1 src1_sel:DWORD
	v_mov_b32_e32 v11, v5
	v_mov_b32_e32 v19, v12
	v_cmp_ne_u32_e64 s[2:3], s31, v20
	v_mov_b32_e32 v18, v11
	s_and_saveexec_b64 s[18:19], s[2:3]
	s_cbranch_execz .LBB181_199
; %bb.198:                              ;   in Loop: Header=BB181_136 Depth=1
	v_and_b32_sdwa v18, v15, v40 dst_sel:DWORD dst_unused:UNUSED_PAD src0_sel:BYTE_1 src1_sel:DWORD
	v_ffbh_u32_e32 v21, v18
	v_min_u32_e32 v23, 32, v21
	v_mov_b32_e32 v19, v5
	v_subrev_u32_e32 v21, 28, v23
	v_lshlrev_b64 v[21:22], v21, v[18:19]
	v_lshrrev_b32_e32 v11, 3, v20
	v_sub_u32_e32 v19, 29, v23
	v_cmp_gt_u32_e64 s[2:3], 8, v20
	v_and_b32_e32 v21, 7, v21
	v_cndmask_b32_e64 v11, v11, v19, s[2:3]
	v_cndmask_b32_e64 v18, v18, v21, s[2:3]
	v_lshlrev_b32_e32 v19, 16, v15
	v_lshl_add_u32 v11, v11, 23, v39
	v_and_or_b32 v11, v19, s34, v11
	v_lshlrev_b32_e32 v18, 20, v18
	v_or_b32_e32 v19, v11, v18
	v_mov_b32_e32 v18, v5
.LBB181_199:                            ;   in Loop: Header=BB181_136 Depth=1
	s_or_b64 exec, exec, s[18:19]
.LBB181_200:                            ;   in Loop: Header=BB181_136 Depth=1
	s_or_b64 exec, exec, s[16:17]
.LBB181_201:                            ;   in Loop: Header=BB181_136 Depth=1
	s_or_b64 exec, exec, s[12:13]
	v_lshrrev_b32_e32 v11, 16, v15
	v_mov_b32_e32 v22, 0
	v_mov_b32_e32 v20, 0
	;; [unrolled: 1-line block ×4, first 2 shown]
	v_cmp_ne_u16_sdwa s[2:3], v11, v5 src0_sel:BYTE_0 src1_sel:DWORD
	s_and_saveexec_b64 s[12:13], s[2:3]
	s_cbranch_execz .LBB181_207
; %bb.202:                              ;   in Loop: Header=BB181_136 Depth=1
	v_bfrev_b32_e32 v20, 1
	v_mov_b32_e32 v21, 0
	v_cmp_ne_u16_sdwa s[2:3], v11, s30 src0_sel:BYTE_0 src1_sel:DWORD
	s_and_saveexec_b64 s[16:17], s[2:3]
	s_cbranch_execz .LBB181_206
; %bb.203:                              ;   in Loop: Header=BB181_136 Depth=1
	v_bfe_u32 v54, v15, 16, 7
	v_mov_b32_e32 v20, 0x7f800001
	v_mov_b32_e32 v21, 0
	v_cmp_ne_u32_e64 s[2:3], s31, v54
	s_and_saveexec_b64 s[18:19], s[2:3]
	s_cbranch_execz .LBB181_205
; %bb.204:                              ;   in Loop: Header=BB181_136 Depth=1
	v_and_b32_e32 v55, 7, v11
	v_ffbh_u32_e32 v20, v55
	v_min_u32_e32 v57, 32, v20
	v_subrev_u32_e32 v20, 28, v57
	v_lshlrev_b64 v[20:21], v20, v[11:12]
	v_lshrrev_b32_e32 v56, 3, v54
	v_sub_u32_e32 v21, 29, v57
	v_and_b32_e32 v20, 7, v20
	v_cmp_gt_u32_e64 s[2:3], 8, v54
	v_cndmask_b32_e64 v21, v56, v21, s[2:3]
	v_cndmask_b32_e64 v20, v55, v20, s[2:3]
	v_lshlrev_b32_e32 v20, 20, v20
	v_and_b32_sdwa v11, sext(v11), s34 dst_sel:DWORD dst_unused:UNUSED_PAD src0_sel:BYTE_0 src1_sel:DWORD
	v_lshl_add_u32 v21, v21, 23, v39
	v_or3_b32 v20, v11, v21, v20
	v_mov_b32_e32 v21, v5
.LBB181_205:                            ;   in Loop: Header=BB181_136 Depth=1
	s_or_b64 exec, exec, s[18:19]
.LBB181_206:                            ;   in Loop: Header=BB181_136 Depth=1
	s_or_b64 exec, exec, s[16:17]
.LBB181_207:                            ;   in Loop: Header=BB181_136 Depth=1
	s_or_b64 exec, exec, s[12:13]
	v_cmp_lt_u32_e64 s[2:3], s35, v15
	s_and_saveexec_b64 s[12:13], s[2:3]
	s_cbranch_execz .LBB181_213
; %bb.208:                              ;   in Loop: Header=BB181_136 Depth=1
	v_mov_b32_e32 v23, v6
	v_cmp_ne_u32_sdwa s[2:3], v15, s30 src0_sel:BYTE_3 src1_sel:DWORD
	v_mov_b32_e32 v22, v5
	s_and_saveexec_b64 s[16:17], s[2:3]
	s_cbranch_execz .LBB181_212
; %bb.209:                              ;   in Loop: Header=BB181_136 Depth=1
	v_bfe_u32 v54, v15, 24, 7
	v_mov_b32_e32 v11, v5
	v_mov_b32_e32 v23, v12
	v_cmp_ne_u32_e64 s[2:3], s31, v54
	v_mov_b32_e32 v22, v11
	s_and_saveexec_b64 s[18:19], s[2:3]
	s_cbranch_execz .LBB181_211
; %bb.210:                              ;   in Loop: Header=BB181_136 Depth=1
	v_and_b32_sdwa v22, v15, v40 dst_sel:DWORD dst_unused:UNUSED_PAD src0_sel:BYTE_3 src1_sel:DWORD
	v_ffbh_u32_e32 v55, v22
	v_min_u32_e32 v57, 32, v55
	v_mov_b32_e32 v23, v5
	v_subrev_u32_e32 v55, 28, v57
	v_lshlrev_b64 v[55:56], v55, v[22:23]
	v_lshrrev_b32_e32 v11, 3, v54
	v_sub_u32_e32 v23, 29, v57
	v_cmp_gt_u32_e64 s[2:3], 8, v54
	v_and_b32_e32 v55, 7, v55
	v_cndmask_b32_e64 v11, v11, v23, s[2:3]
	v_cndmask_b32_e64 v22, v22, v55, s[2:3]
	v_lshlrev_b32_sdwa v15, v41, v15 dst_sel:DWORD dst_unused:UNUSED_PAD src0_sel:DWORD src1_sel:BYTE_3
	v_lshl_add_u32 v11, v11, 23, v39
	v_and_or_b32 v11, v15, s34, v11
	v_lshlrev_b32_e32 v15, 20, v22
	v_or_b32_e32 v23, v11, v15
	v_mov_b32_e32 v22, v5
.LBB181_211:                            ;   in Loop: Header=BB181_136 Depth=1
	s_or_b64 exec, exec, s[18:19]
.LBB181_212:                            ;   in Loop: Header=BB181_136 Depth=1
	s_or_b64 exec, exec, s[16:17]
.LBB181_213:                            ;   in Loop: Header=BB181_136 Depth=1
	s_or_b64 exec, exec, s[12:13]
	v_or_b32_e32 v11, v19, v17
	v_or_b32_e32 v15, v18, v16
	v_mul_f32_e32 v54, s40, v11
	v_mul_f32_e32 v55, s39, v15
	v_or_b32_e32 v11, v23, v21
	v_or_b32_e32 v15, v22, v20
	v_mul_f32_e32 v23, s39, v15
	v_mul_f32_e32 v22, s40, v11
	s_and_saveexec_b64 s[12:13], vcc
; %bb.214:                              ;   in Loop: Header=BB181_136 Depth=1
	v_cmp_gt_i32_e64 s[2:3], s25, v46
	v_cndmask_b32_e64 v55, 0, v55, s[2:3]
	v_cmp_gt_i32_e64 s[2:3], s25, v49
	v_cndmask_b32_e64 v54, 0, v54, s[2:3]
	;; [unrolled: 2-line block ×4, first 2 shown]
; %bb.215:                              ;   in Loop: Header=BB181_136 Depth=1
	s_or_b64 exec, exec, s[12:13]
	global_load_dword v13, v[13:14], off offset:768
	v_mov_b32_e32 v16, 0
	v_mov_b32_e32 v14, 0
	v_mov_b32_e32 v17, 0
	v_mov_b32_e32 v15, 0
	s_waitcnt vmcnt(0)
	v_cmp_ne_u16_sdwa s[2:3], v13, v5 src0_sel:BYTE_0 src1_sel:DWORD
	s_and_saveexec_b64 s[12:13], s[2:3]
	s_cbranch_execz .LBB181_221
; %bb.216:                              ;   in Loop: Header=BB181_136 Depth=1
	v_bfrev_b32_e32 v14, 1
	v_mov_b32_e32 v15, 0
	v_cmp_ne_u16_sdwa s[2:3], v13, s30 src0_sel:BYTE_0 src1_sel:DWORD
	s_and_saveexec_b64 s[16:17], s[2:3]
	s_cbranch_execz .LBB181_220
; %bb.217:                              ;   in Loop: Header=BB181_136 Depth=1
	v_and_b32_e32 v11, 0x7f, v13
	v_mov_b32_e32 v14, 0x7f800001
	v_mov_b32_e32 v15, 0
	v_cmp_ne_u32_e64 s[2:3], s31, v11
	s_and_saveexec_b64 s[18:19], s[2:3]
	s_cbranch_execz .LBB181_219
; %bb.218:                              ;   in Loop: Header=BB181_136 Depth=1
	v_and_b32_e32 v18, 7, v13
	v_ffbh_u32_e32 v14, v18
	v_min_u32_e32 v20, 32, v14
	v_subrev_u32_e32 v14, 28, v20
	v_lshlrev_b64 v[14:15], v14, v[13:14]
	v_lshrrev_b32_e32 v19, 3, v11
	v_sub_u32_e32 v15, 29, v20
	v_and_b32_e32 v14, 7, v14
	v_cmp_gt_u32_e64 s[2:3], 8, v11
	v_cndmask_b32_e64 v11, v19, v15, s[2:3]
	v_cndmask_b32_e64 v14, v18, v14, s[2:3]
	v_lshlrev_b32_e32 v14, 20, v14
	v_and_b32_sdwa v15, sext(v13), s34 dst_sel:DWORD dst_unused:UNUSED_PAD src0_sel:BYTE_0 src1_sel:DWORD
	v_lshl_add_u32 v11, v11, 23, v39
	v_or3_b32 v14, v15, v11, v14
	v_mov_b32_e32 v15, v5
.LBB181_219:                            ;   in Loop: Header=BB181_136 Depth=1
	s_or_b64 exec, exec, s[18:19]
.LBB181_220:                            ;   in Loop: Header=BB181_136 Depth=1
	s_or_b64 exec, exec, s[16:17]
.LBB181_221:                            ;   in Loop: Header=BB181_136 Depth=1
	s_or_b64 exec, exec, s[12:13]
	v_cmp_ne_u16_sdwa s[2:3], v13, v5 src0_sel:BYTE_1 src1_sel:DWORD
	s_and_saveexec_b64 s[12:13], s[2:3]
	s_cbranch_execz .LBB181_227
; %bb.222:                              ;   in Loop: Header=BB181_136 Depth=1
	v_mov_b32_e32 v17, v6
	v_cmp_ne_u16_sdwa s[2:3], v13, s30 src0_sel:BYTE_1 src1_sel:DWORD
	v_mov_b32_e32 v16, v5
	s_and_saveexec_b64 s[16:17], s[2:3]
	s_cbranch_execz .LBB181_226
; %bb.223:                              ;   in Loop: Header=BB181_136 Depth=1
	v_and_b32_sdwa v18, v13, s31 dst_sel:DWORD dst_unused:UNUSED_PAD src0_sel:BYTE_1 src1_sel:DWORD
	v_mov_b32_e32 v11, v5
	v_mov_b32_e32 v17, v12
	v_cmp_ne_u32_e64 s[2:3], s31, v18
	v_mov_b32_e32 v16, v11
	s_and_saveexec_b64 s[18:19], s[2:3]
	s_cbranch_execz .LBB181_225
; %bb.224:                              ;   in Loop: Header=BB181_136 Depth=1
	v_and_b32_sdwa v16, v13, v40 dst_sel:DWORD dst_unused:UNUSED_PAD src0_sel:BYTE_1 src1_sel:DWORD
	v_ffbh_u32_e32 v19, v16
	v_min_u32_e32 v21, 32, v19
	v_mov_b32_e32 v17, v5
	v_subrev_u32_e32 v19, 28, v21
	v_lshlrev_b64 v[19:20], v19, v[16:17]
	v_lshrrev_b32_e32 v11, 3, v18
	v_sub_u32_e32 v17, 29, v21
	v_cmp_gt_u32_e64 s[2:3], 8, v18
	v_and_b32_e32 v19, 7, v19
	v_cndmask_b32_e64 v11, v11, v17, s[2:3]
	v_cndmask_b32_e64 v16, v16, v19, s[2:3]
	v_lshlrev_b32_e32 v17, 16, v13
	v_lshl_add_u32 v11, v11, 23, v39
	v_and_or_b32 v11, v17, s34, v11
	v_lshlrev_b32_e32 v16, 20, v16
	v_or_b32_e32 v17, v11, v16
	v_mov_b32_e32 v16, v5
.LBB181_225:                            ;   in Loop: Header=BB181_136 Depth=1
	s_or_b64 exec, exec, s[18:19]
.LBB181_226:                            ;   in Loop: Header=BB181_136 Depth=1
	s_or_b64 exec, exec, s[16:17]
.LBB181_227:                            ;   in Loop: Header=BB181_136 Depth=1
	s_or_b64 exec, exec, s[12:13]
	v_lshrrev_b32_e32 v11, 16, v13
	v_mov_b32_e32 v20, 0
	v_mov_b32_e32 v18, 0
	;; [unrolled: 1-line block ×4, first 2 shown]
	v_cmp_ne_u16_sdwa s[2:3], v11, v5 src0_sel:BYTE_0 src1_sel:DWORD
	s_and_saveexec_b64 s[12:13], s[2:3]
	s_cbranch_execz .LBB181_233
; %bb.228:                              ;   in Loop: Header=BB181_136 Depth=1
	v_bfrev_b32_e32 v18, 1
	v_mov_b32_e32 v19, 0
	v_cmp_ne_u16_sdwa s[2:3], v11, s30 src0_sel:BYTE_0 src1_sel:DWORD
	s_and_saveexec_b64 s[16:17], s[2:3]
	s_cbranch_execz .LBB181_232
; %bb.229:                              ;   in Loop: Header=BB181_136 Depth=1
	v_bfe_u32 v56, v13, 16, 7
	v_mov_b32_e32 v18, 0x7f800001
	v_mov_b32_e32 v19, 0
	v_cmp_ne_u32_e64 s[2:3], s31, v56
	s_and_saveexec_b64 s[18:19], s[2:3]
	s_cbranch_execz .LBB181_231
; %bb.230:                              ;   in Loop: Header=BB181_136 Depth=1
	v_and_b32_e32 v57, 7, v11
	v_ffbh_u32_e32 v18, v57
	v_min_u32_e32 v59, 32, v18
	v_subrev_u32_e32 v18, 28, v59
	v_lshlrev_b64 v[18:19], v18, v[11:12]
	v_lshrrev_b32_e32 v58, 3, v56
	v_sub_u32_e32 v19, 29, v59
	v_and_b32_e32 v18, 7, v18
	v_cmp_gt_u32_e64 s[2:3], 8, v56
	v_cndmask_b32_e64 v19, v58, v19, s[2:3]
	v_cndmask_b32_e64 v18, v57, v18, s[2:3]
	v_lshlrev_b32_e32 v18, 20, v18
	v_and_b32_sdwa v11, sext(v11), s34 dst_sel:DWORD dst_unused:UNUSED_PAD src0_sel:BYTE_0 src1_sel:DWORD
	v_lshl_add_u32 v19, v19, 23, v39
	v_or3_b32 v18, v11, v19, v18
	v_mov_b32_e32 v19, v5
.LBB181_231:                            ;   in Loop: Header=BB181_136 Depth=1
	s_or_b64 exec, exec, s[18:19]
.LBB181_232:                            ;   in Loop: Header=BB181_136 Depth=1
	s_or_b64 exec, exec, s[16:17]
.LBB181_233:                            ;   in Loop: Header=BB181_136 Depth=1
	s_or_b64 exec, exec, s[12:13]
	v_cmp_lt_u32_e64 s[2:3], s35, v13
	s_and_saveexec_b64 s[12:13], s[2:3]
	s_cbranch_execz .LBB181_239
; %bb.234:                              ;   in Loop: Header=BB181_136 Depth=1
	v_mov_b32_e32 v21, v6
	v_cmp_ne_u32_sdwa s[2:3], v13, s30 src0_sel:BYTE_3 src1_sel:DWORD
	v_mov_b32_e32 v20, v5
	s_and_saveexec_b64 s[16:17], s[2:3]
	s_cbranch_execz .LBB181_238
; %bb.235:                              ;   in Loop: Header=BB181_136 Depth=1
	v_bfe_u32 v56, v13, 24, 7
	v_mov_b32_e32 v11, v5
	v_mov_b32_e32 v21, v12
	v_cmp_ne_u32_e64 s[2:3], s31, v56
	v_mov_b32_e32 v20, v11
	s_and_saveexec_b64 s[18:19], s[2:3]
	s_cbranch_execz .LBB181_237
; %bb.236:                              ;   in Loop: Header=BB181_136 Depth=1
	v_and_b32_sdwa v20, v13, v40 dst_sel:DWORD dst_unused:UNUSED_PAD src0_sel:BYTE_3 src1_sel:DWORD
	v_ffbh_u32_e32 v57, v20
	v_min_u32_e32 v59, 32, v57
	v_mov_b32_e32 v21, v5
	v_subrev_u32_e32 v57, 28, v59
	v_lshlrev_b64 v[57:58], v57, v[20:21]
	v_lshrrev_b32_e32 v11, 3, v56
	v_sub_u32_e32 v21, 29, v59
	v_cmp_gt_u32_e64 s[2:3], 8, v56
	v_and_b32_e32 v57, 7, v57
	v_cndmask_b32_e64 v11, v11, v21, s[2:3]
	v_cndmask_b32_e64 v20, v20, v57, s[2:3]
	v_lshlrev_b32_sdwa v13, v41, v13 dst_sel:DWORD dst_unused:UNUSED_PAD src0_sel:DWORD src1_sel:BYTE_3
	v_lshl_add_u32 v11, v11, 23, v39
	v_and_or_b32 v11, v13, s34, v11
	v_lshlrev_b32_e32 v13, 20, v20
	v_or_b32_e32 v21, v11, v13
	v_mov_b32_e32 v20, v5
.LBB181_237:                            ;   in Loop: Header=BB181_136 Depth=1
	s_or_b64 exec, exec, s[18:19]
.LBB181_238:                            ;   in Loop: Header=BB181_136 Depth=1
	s_or_b64 exec, exec, s[16:17]
.LBB181_239:                            ;   in Loop: Header=BB181_136 Depth=1
	s_or_b64 exec, exec, s[12:13]
	v_or_b32_e32 v13, v16, v14
	v_or_b32_e32 v11, v17, v15
	v_mul_f32_e32 v15, s39, v13
	v_or_b32_e32 v13, v21, v19
	v_or_b32_e32 v14, v20, v18
	v_mul_f32_e32 v11, s40, v11
	v_mul_f32_e32 v14, s39, v14
	;; [unrolled: 1-line block ×3, first 2 shown]
	s_and_saveexec_b64 s[2:3], vcc
	s_cbranch_execz .LBB181_134
; %bb.240:                              ;   in Loop: Header=BB181_136 Depth=1
	v_cmp_gt_i32_e32 vcc, s25, v46
	v_cndmask_b32_e32 v15, 0, v15, vcc
	v_cmp_gt_i32_e32 vcc, s25, v49
	v_cndmask_b32_e32 v11, 0, v11, vcc
	;; [unrolled: 2-line block ×4, first 2 shown]
	s_branch .LBB181_134
.LBB181_241:
	s_or_b64 exec, exec, s[6:7]
.LBB181_242:
	s_or_b64 exec, exec, s[4:5]
	ds_bpermute_b32 v1, v33, v38
	ds_bpermute_b32 v2, v33, v37
	;; [unrolled: 1-line block ×4, first 2 shown]
	v_and_b32_e32 v0, 0x3c3, v0
	s_waitcnt lgkmcnt(3)
	v_add_f32_e32 v1, v38, v1
	s_waitcnt lgkmcnt(2)
	v_add_f32_e32 v2, v37, v2
	;; [unrolled: 2-line block ×4, first 2 shown]
	ds_bpermute_b32 v5, v31, v1
	ds_bpermute_b32 v6, v31, v2
	;; [unrolled: 1-line block ×4, first 2 shown]
	v_cmp_eq_u32_e32 vcc, 64, v0
	s_waitcnt lgkmcnt(3)
	v_add_f32_e32 v1, v1, v5
	s_waitcnt lgkmcnt(2)
	v_add_f32_e32 v2, v2, v6
	;; [unrolled: 2-line block ×4, first 2 shown]
	s_barrier
	s_and_saveexec_b64 s[2:3], vcc
	s_cbranch_execz .LBB181_244
; %bb.243:
	v_add_u32_e32 v5, 0x110, v30
	ds_write2_b32 v5, v1, v2 offset1:16
	ds_write2_b32 v5, v3, v4 offset0:32 offset1:48
.LBB181_244:
	s_or_b64 exec, exec, s[2:3]
	s_waitcnt lgkmcnt(0)
	s_barrier
	s_and_saveexec_b64 s[2:3], s[0:1]
	s_cbranch_execz .LBB181_251
; %bb.245:
	v_mov_b32_e32 v5, 0x110
	v_cmp_eq_u32_e32 vcc, 0, v26
	v_lshl_add_u32 v5, v25, 2, v5
	s_and_saveexec_b64 s[0:1], vcc
	s_cbranch_execnz .LBB181_254
; %bb.246:
	s_or_b64 exec, exec, s[0:1]
	s_and_saveexec_b64 s[0:1], vcc
	s_cbranch_execnz .LBB181_255
.LBB181_247:
	s_or_b64 exec, exec, s[0:1]
	s_and_saveexec_b64 s[0:1], vcc
	s_cbranch_execnz .LBB181_256
.LBB181_248:
	s_or_b64 exec, exec, s[0:1]
	s_and_saveexec_b64 s[0:1], vcc
	s_cbranch_execz .LBB181_250
.LBB181_249:
	ds_read_b32 v5, v5 offset:192
	s_waitcnt lgkmcnt(0)
	v_add_f32_e32 v4, v4, v5
.LBB181_250:
	s_or_b64 exec, exec, s[0:1]
.LBB181_251:
	s_or_b64 exec, exec, s[2:3]
	v_cmp_eq_u32_e32 vcc, 0, v0
	s_barrier
	s_and_saveexec_b64 s[0:1], vcc
	s_cbranch_execz .LBB181_253
; %bb.252:
	s_mul_i32 s0, s24, s20
	s_mul_i32 s0, s0, s9
	s_lshl_b32 s0, s0, 6
	s_ashr_i32 s1, s0, 31
	s_lshl_b64 s[0:1], s[0:1], 2
	s_add_u32 s2, s28, s0
	s_mul_i32 s0, s20, s26
	s_addc_u32 s3, s29, s1
	s_ashr_i32 s1, s0, 31
	s_lshl_b64 s[0:1], s[0:1], 2
	s_add_u32 s2, s2, s0
	s_addc_u32 s3, s3, s1
	s_lshl_b32 s0, s8, 6
	s_ashr_i32 s1, s0, 31
	s_lshl_b64 s[0:1], s[0:1], 2
	s_add_u32 s0, s2, s0
	s_addc_u32 s1, s3, s1
	global_store_dword v24, v1, s[0:1]
	global_store_dword v24, v2, s[0:1] offset:64
	global_store_dword v24, v3, s[0:1] offset:128
	;; [unrolled: 1-line block ×3, first 2 shown]
.LBB181_253:
	s_endpgm
.LBB181_254:
	ds_read_b32 v6, v5
	s_waitcnt lgkmcnt(0)
	v_add_f32_e32 v1, v1, v6
	s_or_b64 exec, exec, s[0:1]
	s_and_saveexec_b64 s[0:1], vcc
	s_cbranch_execz .LBB181_247
.LBB181_255:
	ds_read_b32 v6, v5 offset:64
	s_waitcnt lgkmcnt(0)
	v_add_f32_e32 v2, v2, v6
	s_or_b64 exec, exec, s[0:1]
	s_and_saveexec_b64 s[0:1], vcc
	s_cbranch_execz .LBB181_248
.LBB181_256:
	ds_read_b32 v6, v5 offset:128
	s_waitcnt lgkmcnt(0)
	v_add_f32_e32 v3, v3, v6
	s_or_b64 exec, exec, s[0:1]
	s_and_saveexec_b64 s[0:1], vcc
	s_cbranch_execnz .LBB181_249
	s_branch .LBB181_250
	.section	.rodata,"a",@progbits
	.p2align	6, 0x0
	.amdhsa_kernel _ZN4vllm25paged_attention_v1_kernelIfhLi64ELi16ELi128ELNS_18Fp8KVCacheDataTypeE1ELb1EEEvPT_PKS2_PKT0_S8_ifPKiSA_iPKfiiiSC_SC_iiiii
		.amdhsa_group_segment_fixed_size 272
		.amdhsa_private_segment_fixed_size 0
		.amdhsa_kernarg_size 384
		.amdhsa_user_sgpr_count 6
		.amdhsa_user_sgpr_private_segment_buffer 1
		.amdhsa_user_sgpr_dispatch_ptr 0
		.amdhsa_user_sgpr_queue_ptr 0
		.amdhsa_user_sgpr_kernarg_segment_ptr 1
		.amdhsa_user_sgpr_dispatch_id 0
		.amdhsa_user_sgpr_flat_scratch_init 0
		.amdhsa_user_sgpr_private_segment_size 0
		.amdhsa_uses_dynamic_stack 0
		.amdhsa_system_sgpr_private_segment_wavefront_offset 0
		.amdhsa_system_sgpr_workgroup_id_x 1
		.amdhsa_system_sgpr_workgroup_id_y 1
		.amdhsa_system_sgpr_workgroup_id_z 1
		.amdhsa_system_sgpr_workgroup_info 0
		.amdhsa_system_vgpr_workitem_id 0
		.amdhsa_next_free_vgpr 63
		.amdhsa_next_free_sgpr 57
		.amdhsa_reserve_vcc 1
		.amdhsa_reserve_flat_scratch 0
		.amdhsa_float_round_mode_32 0
		.amdhsa_float_round_mode_16_64 0
		.amdhsa_float_denorm_mode_32 3
		.amdhsa_float_denorm_mode_16_64 3
		.amdhsa_dx10_clamp 1
		.amdhsa_ieee_mode 1
		.amdhsa_fp16_overflow 0
		.amdhsa_exception_fp_ieee_invalid_op 0
		.amdhsa_exception_fp_denorm_src 0
		.amdhsa_exception_fp_ieee_div_zero 0
		.amdhsa_exception_fp_ieee_overflow 0
		.amdhsa_exception_fp_ieee_underflow 0
		.amdhsa_exception_fp_ieee_inexact 0
		.amdhsa_exception_int_div_zero 0
	.end_amdhsa_kernel
	.section	.text._ZN4vllm25paged_attention_v1_kernelIfhLi64ELi16ELi128ELNS_18Fp8KVCacheDataTypeE1ELb1EEEvPT_PKS2_PKT0_S8_ifPKiSA_iPKfiiiSC_SC_iiiii,"axG",@progbits,_ZN4vllm25paged_attention_v1_kernelIfhLi64ELi16ELi128ELNS_18Fp8KVCacheDataTypeE1ELb1EEEvPT_PKS2_PKT0_S8_ifPKiSA_iPKfiiiSC_SC_iiiii,comdat
.Lfunc_end181:
	.size	_ZN4vllm25paged_attention_v1_kernelIfhLi64ELi16ELi128ELNS_18Fp8KVCacheDataTypeE1ELb1EEEvPT_PKS2_PKT0_S8_ifPKiSA_iPKfiiiSC_SC_iiiii, .Lfunc_end181-_ZN4vllm25paged_attention_v1_kernelIfhLi64ELi16ELi128ELNS_18Fp8KVCacheDataTypeE1ELb1EEEvPT_PKS2_PKT0_S8_ifPKiSA_iPKfiiiSC_SC_iiiii
                                        ; -- End function
	.set _ZN4vllm25paged_attention_v1_kernelIfhLi64ELi16ELi128ELNS_18Fp8KVCacheDataTypeE1ELb1EEEvPT_PKS2_PKT0_S8_ifPKiSA_iPKfiiiSC_SC_iiiii.num_vgpr, 63
	.set _ZN4vllm25paged_attention_v1_kernelIfhLi64ELi16ELi128ELNS_18Fp8KVCacheDataTypeE1ELb1EEEvPT_PKS2_PKT0_S8_ifPKiSA_iPKfiiiSC_SC_iiiii.num_agpr, 0
	.set _ZN4vllm25paged_attention_v1_kernelIfhLi64ELi16ELi128ELNS_18Fp8KVCacheDataTypeE1ELb1EEEvPT_PKS2_PKT0_S8_ifPKiSA_iPKfiiiSC_SC_iiiii.numbered_sgpr, 57
	.set _ZN4vllm25paged_attention_v1_kernelIfhLi64ELi16ELi128ELNS_18Fp8KVCacheDataTypeE1ELb1EEEvPT_PKS2_PKT0_S8_ifPKiSA_iPKfiiiSC_SC_iiiii.num_named_barrier, 0
	.set _ZN4vllm25paged_attention_v1_kernelIfhLi64ELi16ELi128ELNS_18Fp8KVCacheDataTypeE1ELb1EEEvPT_PKS2_PKT0_S8_ifPKiSA_iPKfiiiSC_SC_iiiii.private_seg_size, 0
	.set _ZN4vllm25paged_attention_v1_kernelIfhLi64ELi16ELi128ELNS_18Fp8KVCacheDataTypeE1ELb1EEEvPT_PKS2_PKT0_S8_ifPKiSA_iPKfiiiSC_SC_iiiii.uses_vcc, 1
	.set _ZN4vllm25paged_attention_v1_kernelIfhLi64ELi16ELi128ELNS_18Fp8KVCacheDataTypeE1ELb1EEEvPT_PKS2_PKT0_S8_ifPKiSA_iPKfiiiSC_SC_iiiii.uses_flat_scratch, 0
	.set _ZN4vllm25paged_attention_v1_kernelIfhLi64ELi16ELi128ELNS_18Fp8KVCacheDataTypeE1ELb1EEEvPT_PKS2_PKT0_S8_ifPKiSA_iPKfiiiSC_SC_iiiii.has_dyn_sized_stack, 0
	.set _ZN4vllm25paged_attention_v1_kernelIfhLi64ELi16ELi128ELNS_18Fp8KVCacheDataTypeE1ELb1EEEvPT_PKS2_PKT0_S8_ifPKiSA_iPKfiiiSC_SC_iiiii.has_recursion, 0
	.set _ZN4vllm25paged_attention_v1_kernelIfhLi64ELi16ELi128ELNS_18Fp8KVCacheDataTypeE1ELb1EEEvPT_PKS2_PKT0_S8_ifPKiSA_iPKfiiiSC_SC_iiiii.has_indirect_call, 0
	.section	.AMDGPU.csdata,"",@progbits
; Kernel info:
; codeLenInByte = 10216
; TotalNumSgprs: 61
; NumVgprs: 63
; ScratchSize: 0
; MemoryBound: 0
; FloatMode: 240
; IeeeMode: 1
; LDSByteSize: 272 bytes/workgroup (compile time only)
; SGPRBlocks: 7
; VGPRBlocks: 15
; NumSGPRsForWavesPerEU: 61
; NumVGPRsForWavesPerEU: 63
; Occupancy: 4
; WaveLimiterHint : 1
; COMPUTE_PGM_RSRC2:SCRATCH_EN: 0
; COMPUTE_PGM_RSRC2:USER_SGPR: 6
; COMPUTE_PGM_RSRC2:TRAP_HANDLER: 0
; COMPUTE_PGM_RSRC2:TGID_X_EN: 1
; COMPUTE_PGM_RSRC2:TGID_Y_EN: 1
; COMPUTE_PGM_RSRC2:TGID_Z_EN: 1
; COMPUTE_PGM_RSRC2:TIDIG_COMP_CNT: 0
	.section	.text._ZN4vllm25paged_attention_v1_kernelIfhLi80ELi16ELi128ELNS_18Fp8KVCacheDataTypeE1ELb1EEEvPT_PKS2_PKT0_S8_ifPKiSA_iPKfiiiSC_SC_iiiii,"axG",@progbits,_ZN4vllm25paged_attention_v1_kernelIfhLi80ELi16ELi128ELNS_18Fp8KVCacheDataTypeE1ELb1EEEvPT_PKS2_PKT0_S8_ifPKiSA_iPKfiiiSC_SC_iiiii,comdat
	.protected	_ZN4vllm25paged_attention_v1_kernelIfhLi80ELi16ELi128ELNS_18Fp8KVCacheDataTypeE1ELb1EEEvPT_PKS2_PKT0_S8_ifPKiSA_iPKfiiiSC_SC_iiiii ; -- Begin function _ZN4vllm25paged_attention_v1_kernelIfhLi80ELi16ELi128ELNS_18Fp8KVCacheDataTypeE1ELb1EEEvPT_PKS2_PKT0_S8_ifPKiSA_iPKfiiiSC_SC_iiiii
	.globl	_ZN4vllm25paged_attention_v1_kernelIfhLi80ELi16ELi128ELNS_18Fp8KVCacheDataTypeE1ELb1EEEvPT_PKS2_PKT0_S8_ifPKiSA_iPKfiiiSC_SC_iiiii
	.p2align	8
	.type	_ZN4vllm25paged_attention_v1_kernelIfhLi80ELi16ELi128ELNS_18Fp8KVCacheDataTypeE1ELb1EEEvPT_PKS2_PKT0_S8_ifPKiSA_iPKfiiiSC_SC_iiiii,@function
_ZN4vllm25paged_attention_v1_kernelIfhLi80ELi16ELi128ELNS_18Fp8KVCacheDataTypeE1ELb1EEEvPT_PKS2_PKT0_S8_ifPKiSA_iPKfiiiSC_SC_iiiii: ; @_ZN4vllm25paged_attention_v1_kernelIfhLi80ELi16ELi128ELNS_18Fp8KVCacheDataTypeE1ELb1EEEvPT_PKS2_PKT0_S8_ifPKiSA_iPKfiiiSC_SC_iiiii
; %bb.0:
	s_mov_b64 s[58:59], s[2:3]
	s_mov_b64 s[56:57], s[0:1]
	s_add_u32 s56, s56, s9
	s_load_dword s9, s[4:5], 0x80
	s_load_dwordx2 s[0:1], s[4:5], 0x30
	s_load_dwordx2 s[36:37], s[4:5], 0x20
	s_addc_u32 s57, s57, 0
	s_mov_b32 s10, s7
	s_ashr_i32 s11, s7, 31
	s_lshl_b64 s[2:3], s[10:11], 2
	s_waitcnt lgkmcnt(0)
	s_add_u32 s0, s0, s2
	s_addc_u32 s1, s1, s3
	s_abs_i32 s2, s36
	v_cvt_f32_u32_e32 v1, s2
	s_sub_i32 s11, 0, s2
	s_abs_i32 s7, s9
	s_xor_b32 s3, s9, s36
	v_rcp_iflag_f32_e32 v1, v1
	s_ashr_i32 s3, s3, 31
	s_mov_b32 s48, 0
	v_mul_f32_e32 v1, 0x4f7ffffe, v1
	v_cvt_u32_f32_e32 v1, v1
	v_readfirstlane_b32 s12, v1
	s_mul_i32 s11, s11, s12
	s_mul_hi_u32 s11, s12, s11
	s_add_i32 s12, s12, s11
	s_mul_hi_u32 s11, s7, s12
	s_mul_i32 s12, s11, s2
	s_sub_i32 s7, s7, s12
	s_add_i32 s12, s11, 1
	s_sub_i32 s13, s7, s2
	s_cmp_ge_u32 s7, s2
	s_cselect_b32 s11, s12, s11
	s_cselect_b32 s7, s13, s7
	s_add_i32 s12, s11, 1
	s_cmp_ge_u32 s7, s2
	s_cselect_b32 s2, s12, s11
	s_xor_b32 s2, s2, s3
	s_sub_i32 s14, s2, s3
	s_abs_i32 s11, s14
	v_cvt_f32_u32_e32 v1, s11
	s_load_dwordx2 s[2:3], s[4:5], 0x40
	s_sub_i32 s7, 0, s11
	s_abs_i32 s12, s6
	v_rcp_iflag_f32_e32 v1, v1
	v_mul_f32_e32 v1, 0x4f7ffffe, v1
	v_cvt_u32_f32_e32 v1, v1
	v_readfirstlane_b32 s13, v1
	s_mul_i32 s7, s7, s13
	s_mul_hi_u32 s7, s13, s7
	s_add_i32 s13, s13, s7
	s_waitcnt lgkmcnt(0)
	s_cmp_eq_u64 s[2:3], 0
	s_mul_hi_u32 s13, s12, s13
	s_cbranch_scc1 .LBB182_2
; %bb.1:
	s_ashr_i32 s7, s6, 31
	s_lshl_b64 s[16:17], s[6:7], 2
	s_add_u32 s2, s2, s16
	s_addc_u32 s3, s3, s17
	s_load_dword s48, s[2:3], 0x0
.LBB182_2:
	s_load_dword s33, s[0:1], 0x0
	s_load_dwordx4 s[16:19], s[4:5], 0x48
	v_lshrrev_b32_e32 v3, 2, v0
	s_movk_i32 s2, 0x50
	s_ashr_i32 s3, s6, 31
	s_ashr_i32 s7, s14, 31
	v_and_b32_e32 v14, 3, v0
	s_mul_i32 s24, s6, 0x50
	v_cmp_gt_u32_e32 vcc, s2, v0
	v_lshlrev_b32_e32 v15, 2, v0
	v_lshlrev_b32_e32 v1, 2, v3
	buffer_store_dword v1, off, s[56:59], 0 ; 4-byte Folded Spill
	s_and_saveexec_b64 s[0:1], vcc
	s_cbranch_execz .LBB182_4
; %bb.3:
	s_load_dwordx2 s[14:15], s[4:5], 0x8
	s_waitcnt lgkmcnt(0)
	s_mul_i32 s20, s16, s10
	s_ashr_i32 s21, s20, 31
	s_lshl_b64 s[20:21], s[20:21], 2
	v_lshlrev_b32_e32 v2, 2, v3
	s_add_u32 s16, s14, s20
	s_addc_u32 s19, s15, s21
	s_ashr_i32 s25, s24, 31
	s_lshl_b64 s[14:15], s[24:25], 2
	s_add_u32 s14, s16, s14
	s_addc_u32 s15, s19, s15
	global_load_dword v1, v15, s[14:15]
	v_mad_u32_u24 v2, v14, s2, v2
	s_waitcnt vmcnt(0)
	ds_write_b32 v2, v1
.LBB182_4:
	s_or_b64 exec, exec, s[0:1]
	s_mul_i32 s1, s13, s11
	s_sub_i32 s1, s12, s1
	s_xor_b32 s0, s3, s7
	s_add_i32 s3, s13, 1
	s_sub_i32 s7, s1, s11
	s_load_dwordx4 s[20:23], s[4:5], 0x68
	s_load_dword s2, s[4:5], 0x78
	s_cmp_ge_u32 s1, s11
	s_cselect_b32 s3, s3, s13
	s_cselect_b32 s1, s7, s1
	s_add_i32 s7, s3, 1
	s_cmp_ge_u32 s1, s11
	s_cselect_b32 s1, s7, s3
	s_waitcnt lgkmcnt(0)
	s_abs_i32 s25, s23
	v_cvt_f32_u32_e32 v1, s25
	s_xor_b32 s1, s1, s0
	s_sub_i32 s47, s1, s0
	s_sub_i32 s0, 0, s25
	v_rcp_iflag_f32_e32 v1, v1
	s_add_i32 s11, s33, -1
	s_abs_i32 s3, s11
	v_mul_f32_e32 v1, 0x4f7ffffe, v1
	v_cvt_u32_f32_e32 v1, v1
	s_waitcnt vmcnt(0)
	s_barrier
	v_readfirstlane_b32 s46, v1
	s_mul_i32 s0, s0, s46
	s_mul_hi_u32 s0, s46, s0
	s_add_i32 s46, s46, s0
	s_cmp_lt_i32 s2, 0
	s_mul_hi_u32 s7, s3, s46
	s_cbranch_scc0 .LBB182_6
; %bb.5:
	s_mul_i32 s0, s20, s36
	s_add_i32 s0, s47, s0
	s_mul_i32 s0, s0, s2
	s_sub_i32 s36, 1, s0
	s_mov_b64 s[0:1], 0
	s_branch .LBB182_7
.LBB182_6:
	s_mov_b64 s[0:1], -1
                                        ; implicit-def: $sgpr36
.LBB182_7:
	s_load_dwordx2 s[28:29], s[4:5], 0x28
	s_ashr_i32 s16, s11, 31
	s_andn2_b64 vcc, exec, s[0:1]
	s_ashr_i32 s23, s23, 31
	s_cbranch_vccnz .LBB182_9
; %bb.8:
	s_mul_i32 s0, s9, s20
	s_add_i32 s0, s0, s6
	s_mul_i32 s0, s0, s2
	s_add_i32 s36, s0, 1
.LBB182_9:
	buffer_store_dword v3, off, s[56:59], 0 offset:4 ; 4-byte Folded Spill
	s_load_dword s0, s[4:5], 0x38
	s_load_dwordx2 s[26:27], s[4:5], 0x0
	s_load_dwordx2 s[34:35], s[4:5], 0x18
	s_load_dword s11, s[4:5], 0x88
	s_load_dwordx4 s[12:15], s[4:5], 0x58
	s_mul_i32 s1, s7, s25
	s_waitcnt lgkmcnt(0)
	s_mul_i32 s30, s0, s10
	s_sub_i32 s1, s3, s1
	s_ashr_i32 s31, s30, 31
	s_xor_b32 s0, s16, s23
	s_add_i32 s2, s7, 1
	s_sub_i32 s3, s1, s25
	s_cmp_ge_u32 s1, s25
	s_cselect_b32 s2, s2, s7
	s_cselect_b32 s1, s3, s1
	s_add_i32 s3, s2, 1
	s_cmp_ge_u32 s1, s25
	s_cselect_b32 s1, s3, s2
	s_xor_b32 s1, s1, s0
	s_sub_i32 s16, s1, s0
	s_add_i32 s0, s33, 15
	s_ashr_i32 s1, s0, 31
	s_lshr_b32 s1, s1, 28
	s_add_i32 s0, s0, s1
	s_ashr_i32 s20, s0, 4
	v_lshrrev_b32_e32 v31, 6, v0
	v_cmp_gt_i32_e64 s[0:1], s20, v31
	v_mov_b32_e32 v38, 0xff7fffff
	s_mul_i32 s47, s47, s18
	v_lshrrev_b32_e32 v16, 4, v0
	v_lshlrev_b32_e32 v32, 4, v31
	v_mbcnt_lo_u32_b32 v5, -1, 0
	s_and_saveexec_b64 s[18:19], s[0:1]
	s_cbranch_execz .LBB182_141
; %bb.10:
	s_load_dwordx2 s[2:3], s[4:5], 0x10
	s_sub_i32 s49, s16, s21
	s_ashr_i32 s4, s47, 31
	v_bfe_u32 v36, v0, 2, 4
	v_lshlrev_b32_e32 v2, 4, v36
	s_waitcnt lgkmcnt(0)
	s_add_u32 s5, s2, s47
	s_addc_u32 s4, s3, s4
	s_abs_i32 s50, s22
	v_cvt_f32_u32_e32 v1, s50
	v_mov_b32_e32 v3, s4
	s_sub_i32 s4, 0, s50
	v_cmp_eq_u32_e32 vcc, 0, v14
	v_rcp_iflag_f32_e32 v1, v1
	s_mov_b32 s51, s17
	v_mul_u32_u24_e32 v37, 0x50, v14
	v_cmp_neq_f32_e64 s[2:3], s48, 0
	v_mul_f32_e32 v1, 0x4f7ffffe, v1
	v_cvt_u32_f32_e32 v1, v1
	v_lshlrev_b32_e32 v40, 4, v31
	s_mov_b64 s[38:39], 0
	s_movk_i32 s52, 0x80
	v_mul_lo_u32 v4, s4, v1
	v_add_co_u32_e64 v2, s[4:5], s5, v2
	v_addc_co_u32_e64 v3, s[4:5], 0, v3, s[4:5]
	v_mul_hi_u32 v4, v1, v4
	v_add_co_u32_e64 v21, s[4:5], v2, v14
	v_addc_co_u32_e64 v22, s[4:5], 0, v3, s[4:5]
	s_lshl_b64 s[4:5], s[30:31], 2
	s_add_u32 s4, s28, s4
	v_add_u32_e32 v39, v1, v4
	v_and_b32_e32 v1, 60, v16
	s_addc_u32 s5, s29, s5
	v_mov_b32_e32 v2, s5
	v_add_co_u32_e64 v23, s[4:5], s4, v1
	v_subrev_u32_e32 v1, s33, v36
	v_add_u32_e32 v41, 1, v1
	v_lshlrev_b32_e32 v1, 2, v36
	v_lshl_or_b32 v1, v31, 6, v1
	v_addc_co_u32_e64 v24, s[4:5], 0, v2, s[4:5]
	v_add_u32_e32 v42, 0x150, v1
	s_movk_i32 s53, 0x7f
	v_bfrev_b32_e32 v43, 60
	v_mbcnt_hi_u32_b32 v44, -1, v5
	v_mov_b32_e32 v38, 0xff7fffff
	v_mov_b32_e32 v45, v31
	s_branch .LBB182_13
.LBB182_11:                             ;   in Loop: Header=BB182_13 Depth=1
	s_or_b64 exec, exec, s[40:41]
.LBB182_12:                             ;   in Loop: Header=BB182_13 Depth=1
	s_or_b64 exec, exec, s[6:7]
	v_add_co_u32_e64 v23, s[4:5], 8, v23
	v_add_u32_e32 v45, 2, v45
	v_addc_co_u32_e64 v24, s[4:5], 0, v24, s[4:5]
	v_cmp_le_i32_e64 s[4:5], s20, v45
	v_add_u32_e32 v40, 32, v40
	s_or_b64 s[38:39], s[4:5], s[38:39]
	v_add_u32_e32 v42, 0x80, v42
	s_andn2_b64 exec, exec, s[38:39]
	s_cbranch_execz .LBB182_140
.LBB182_13:                             ; =>This Inner Loop Header: Depth=1
	v_mul_hi_u32 v1, v40, s46
	s_waitcnt lgkmcnt(0)
	v_mul_lo_u32 v2, v1, s25
	v_add_u32_e32 v3, 1, v1
	v_sub_u32_e32 v2, v40, v2
	v_cmp_le_u32_e64 s[4:5], s25, v2
	v_cndmask_b32_e64 v1, v1, v3, s[4:5]
	v_subrev_u32_e32 v3, s25, v2
	v_cndmask_b32_e64 v2, v2, v3, s[4:5]
	v_add_u32_e32 v3, 1, v1
	v_cmp_le_u32_e64 s[4:5], s25, v2
	v_cndmask_b32_e64 v1, v1, v3, s[4:5]
	v_xor_b32_e32 v1, s23, v1
	v_subrev_u32_e32 v1, s23, v1
	v_add_u32_e32 v2, s36, v1
	v_sub_u32_e32 v3, 0, v2
	v_max_i32_e32 v3, v2, v3
	v_mul_hi_u32 v4, v3, v39
	v_ashrrev_i32_e32 v2, 31, v2
	v_cmp_ge_i32_e64 s[6:7], s49, v1
	v_mul_lo_u32 v4, v4, s50
	v_sub_u32_e32 v3, v3, v4
	v_subrev_u32_e32 v4, s50, v3
	v_cmp_le_u32_e64 s[4:5], s50, v3
	v_cndmask_b32_e64 v3, v3, v4, s[4:5]
	v_subrev_u32_e32 v4, s50, v3
	v_cmp_le_u32_e64 s[4:5], s50, v3
	v_cndmask_b32_e64 v3, v3, v4, s[4:5]
	v_xor_b32_e32 v3, v3, v2
	v_sub_u32_e32 v2, v3, v2
	v_cmp_ne_u32_e64 s[4:5], 0, v2
	s_and_b64 s[4:5], s[4:5], s[6:7]
	s_and_saveexec_b64 s[6:7], s[4:5]
	s_xor_b64 s[4:5], exec, s[6:7]
	s_cbranch_execz .LBB182_17
; %bb.14:                               ;   in Loop: Header=BB182_13 Depth=1
	s_and_saveexec_b64 s[6:7], vcc
; %bb.15:                               ;   in Loop: Header=BB182_13 Depth=1
	v_mov_b32_e32 v1, 0xff7fffff
	ds_write_b32 v42, v1
; %bb.16:                               ;   in Loop: Header=BB182_13 Depth=1
	s_or_b64 exec, exec, s[6:7]
.LBB182_17:                             ;   in Loop: Header=BB182_13 Depth=1
	s_andn2_saveexec_b64 s[6:7], s[4:5]
	s_cbranch_execz .LBB182_12
; %bb.18:                               ;   in Loop: Header=BB182_13 Depth=1
	global_load_dword v1, v[23:24], off
	v_mov_b32_e32 v47, 0
	v_mov_b32_e32 v46, 0
	s_waitcnt vmcnt(0)
	v_mad_i64_i32 v[25:26], s[4:5], v1, s51, v[21:22]
	global_load_ubyte v33, v[25:26], off
	ds_read_b128 v[17:20], v37
	ds_read_b128 v[9:12], v37 offset:16
	s_load_dword s54, s[12:13], 0x0
	ds_read_b128 v[13:16], v37 offset:32
	ds_read_b128 v[5:8], v37 offset:48
	;; [unrolled: 1-line block ×3, first 2 shown]
	s_waitcnt vmcnt(0)
	v_cmp_ne_u16_e64 s[4:5], 0, v33
	s_and_saveexec_b64 s[40:41], s[4:5]
	s_cbranch_execz .LBB182_24
; %bb.19:                               ;   in Loop: Header=BB182_13 Depth=1
	v_cmp_ne_u16_e64 s[4:5], s52, v33
	v_bfrev_b32_e32 v46, 1
	s_and_saveexec_b64 s[42:43], s[4:5]
	s_cbranch_execz .LBB182_23
; %bb.20:                               ;   in Loop: Header=BB182_13 Depth=1
	v_and_b32_e32 v27, 0xffff, v33
	v_and_b32_e32 v29, 0x7f, v27
	v_cmp_ne_u32_e64 s[4:5], s53, v29
	v_mov_b32_e32 v46, 0x7f800001
	s_and_saveexec_b64 s[44:45], s[4:5]
	s_cbranch_execz .LBB182_22
; %bb.21:                               ;   in Loop: Header=BB182_13 Depth=1
	v_and_b32_e32 v28, 7, v27
	v_ffbh_u32_e32 v34, v28
	v_min_u32_e32 v48, 32, v34
	v_subrev_u32_e32 v34, 28, v48
	v_lshlrev_b64 v[34:35], v34, v[27:28]
	v_lshrrev_b32_e32 v46, 3, v29
	v_sub_u32_e32 v27, 29, v48
	v_and_b32_e32 v34, 7, v34
	v_cmp_gt_u32_e64 s[4:5], 8, v29
	v_cndmask_b32_e64 v27, v46, v27, s[4:5]
	v_cndmask_b32_e64 v28, v28, v34, s[4:5]
	v_lshlrev_b32_e32 v29, 24, v33
	v_lshlrev_b32_e32 v28, 20, v28
	v_and_b32_e32 v29, 0x80000000, v29
	v_lshl_add_u32 v27, v27, 23, v43
	v_or3_b32 v46, v29, v27, v28
.LBB182_22:                             ;   in Loop: Header=BB182_13 Depth=1
	s_or_b64 exec, exec, s[44:45]
.LBB182_23:                             ;   in Loop: Header=BB182_13 Depth=1
	s_or_b64 exec, exec, s[42:43]
.LBB182_24:                             ;   in Loop: Header=BB182_13 Depth=1
	s_or_b64 exec, exec, s[40:41]
	global_load_ubyte v29, v[25:26], off offset:4
	s_waitcnt vmcnt(0)
	v_cmp_ne_u16_e64 s[4:5], 0, v29
	s_and_saveexec_b64 s[40:41], s[4:5]
	s_cbranch_execz .LBB182_30
; %bb.25:                               ;   in Loop: Header=BB182_13 Depth=1
	v_cmp_ne_u16_e64 s[4:5], s52, v29
	v_bfrev_b32_e32 v47, 1
	s_and_saveexec_b64 s[42:43], s[4:5]
	s_cbranch_execz .LBB182_29
; %bb.26:                               ;   in Loop: Header=BB182_13 Depth=1
	v_and_b32_e32 v27, 0xffff, v29
	v_and_b32_e32 v33, 0x7f, v27
	v_cmp_ne_u32_e64 s[4:5], s53, v33
	v_mov_b32_e32 v47, 0x7f800001
	s_and_saveexec_b64 s[44:45], s[4:5]
	s_cbranch_execz .LBB182_28
; %bb.27:                               ;   in Loop: Header=BB182_13 Depth=1
	v_and_b32_e32 v28, 7, v27
	v_ffbh_u32_e32 v34, v28
	v_min_u32_e32 v48, 32, v34
	v_subrev_u32_e32 v34, 28, v48
	v_lshlrev_b64 v[34:35], v34, v[27:28]
	v_lshrrev_b32_e32 v47, 3, v33
	v_sub_u32_e32 v27, 29, v48
	v_and_b32_e32 v34, 7, v34
	v_cmp_gt_u32_e64 s[4:5], 8, v33
	v_cndmask_b32_e64 v27, v47, v27, s[4:5]
	v_cndmask_b32_e64 v28, v28, v34, s[4:5]
	v_lshlrev_b32_e32 v29, 24, v29
	v_lshlrev_b32_e32 v28, 20, v28
	v_and_b32_e32 v29, 0x80000000, v29
	v_lshl_add_u32 v27, v27, 23, v43
	v_or3_b32 v47, v29, v27, v28
.LBB182_28:                             ;   in Loop: Header=BB182_13 Depth=1
	s_or_b64 exec, exec, s[44:45]
.LBB182_29:                             ;   in Loop: Header=BB182_13 Depth=1
	s_or_b64 exec, exec, s[42:43]
.LBB182_30:                             ;   in Loop: Header=BB182_13 Depth=1
	s_or_b64 exec, exec, s[40:41]
	global_load_ubyte v29, v[25:26], off offset:8
	v_mov_b32_e32 v48, 0
	v_mov_b32_e32 v49, 0
	s_waitcnt vmcnt(0)
	v_cmp_ne_u16_e64 s[4:5], 0, v29
	s_and_saveexec_b64 s[40:41], s[4:5]
	s_cbranch_execz .LBB182_36
; %bb.31:                               ;   in Loop: Header=BB182_13 Depth=1
	v_cmp_ne_u16_e64 s[4:5], s52, v29
	v_bfrev_b32_e32 v49, 1
	s_and_saveexec_b64 s[42:43], s[4:5]
	s_cbranch_execz .LBB182_35
; %bb.32:                               ;   in Loop: Header=BB182_13 Depth=1
	v_and_b32_e32 v27, 0xffff, v29
	v_and_b32_e32 v33, 0x7f, v27
	v_cmp_ne_u32_e64 s[4:5], s53, v33
	v_mov_b32_e32 v49, 0x7f800001
	s_and_saveexec_b64 s[44:45], s[4:5]
	s_cbranch_execz .LBB182_34
; %bb.33:                               ;   in Loop: Header=BB182_13 Depth=1
	v_and_b32_e32 v28, 7, v27
	v_ffbh_u32_e32 v34, v28
	v_min_u32_e32 v50, 32, v34
	v_subrev_u32_e32 v34, 28, v50
	v_lshlrev_b64 v[34:35], v34, v[27:28]
	v_lshrrev_b32_e32 v49, 3, v33
	v_sub_u32_e32 v27, 29, v50
	v_and_b32_e32 v34, 7, v34
	v_cmp_gt_u32_e64 s[4:5], 8, v33
	v_cndmask_b32_e64 v27, v49, v27, s[4:5]
	v_cndmask_b32_e64 v28, v28, v34, s[4:5]
	v_lshlrev_b32_e32 v29, 24, v29
	v_lshlrev_b32_e32 v28, 20, v28
	v_and_b32_e32 v29, 0x80000000, v29
	v_lshl_add_u32 v27, v27, 23, v43
	v_or3_b32 v49, v29, v27, v28
.LBB182_34:                             ;   in Loop: Header=BB182_13 Depth=1
	s_or_b64 exec, exec, s[44:45]
.LBB182_35:                             ;   in Loop: Header=BB182_13 Depth=1
	s_or_b64 exec, exec, s[42:43]
.LBB182_36:                             ;   in Loop: Header=BB182_13 Depth=1
	s_or_b64 exec, exec, s[40:41]
	global_load_ubyte v29, v[25:26], off offset:12
	s_waitcnt vmcnt(0)
	v_cmp_ne_u16_e64 s[4:5], 0, v29
	s_and_saveexec_b64 s[40:41], s[4:5]
	s_cbranch_execz .LBB182_42
; %bb.37:                               ;   in Loop: Header=BB182_13 Depth=1
	v_cmp_ne_u16_e64 s[4:5], s52, v29
	v_bfrev_b32_e32 v48, 1
	s_and_saveexec_b64 s[42:43], s[4:5]
	s_cbranch_execz .LBB182_41
; %bb.38:                               ;   in Loop: Header=BB182_13 Depth=1
	v_and_b32_e32 v27, 0xffff, v29
	v_and_b32_e32 v33, 0x7f, v27
	v_cmp_ne_u32_e64 s[4:5], s53, v33
	v_mov_b32_e32 v48, 0x7f800001
	s_and_saveexec_b64 s[44:45], s[4:5]
	s_cbranch_execz .LBB182_40
; %bb.39:                               ;   in Loop: Header=BB182_13 Depth=1
	v_and_b32_e32 v28, 7, v27
	v_ffbh_u32_e32 v34, v28
	v_min_u32_e32 v50, 32, v34
	v_subrev_u32_e32 v34, 28, v50
	v_lshlrev_b64 v[34:35], v34, v[27:28]
	v_lshrrev_b32_e32 v48, 3, v33
	v_sub_u32_e32 v27, 29, v50
	v_and_b32_e32 v34, 7, v34
	v_cmp_gt_u32_e64 s[4:5], 8, v33
	v_cndmask_b32_e64 v27, v48, v27, s[4:5]
	v_cndmask_b32_e64 v28, v28, v34, s[4:5]
	v_lshlrev_b32_e32 v29, 24, v29
	v_lshlrev_b32_e32 v28, 20, v28
	v_and_b32_e32 v29, 0x80000000, v29
	v_lshl_add_u32 v27, v27, 23, v43
	v_or3_b32 v48, v29, v27, v28
.LBB182_40:                             ;   in Loop: Header=BB182_13 Depth=1
	s_or_b64 exec, exec, s[44:45]
.LBB182_41:                             ;   in Loop: Header=BB182_13 Depth=1
	s_or_b64 exec, exec, s[42:43]
.LBB182_42:                             ;   in Loop: Header=BB182_13 Depth=1
	s_or_b64 exec, exec, s[40:41]
	global_load_ubyte v29, v[25:26], off offset:256
	v_mov_b32_e32 v50, 0
	v_mov_b32_e32 v51, 0
	s_waitcnt vmcnt(0)
	v_cmp_ne_u16_e64 s[4:5], 0, v29
	s_and_saveexec_b64 s[40:41], s[4:5]
	s_cbranch_execz .LBB182_48
; %bb.43:                               ;   in Loop: Header=BB182_13 Depth=1
	v_cmp_ne_u16_e64 s[4:5], s52, v29
	v_bfrev_b32_e32 v51, 1
	s_and_saveexec_b64 s[42:43], s[4:5]
	s_cbranch_execz .LBB182_47
; %bb.44:                               ;   in Loop: Header=BB182_13 Depth=1
	v_and_b32_e32 v27, 0xffff, v29
	v_and_b32_e32 v33, 0x7f, v27
	v_cmp_ne_u32_e64 s[4:5], s53, v33
	v_mov_b32_e32 v51, 0x7f800001
	s_and_saveexec_b64 s[44:45], s[4:5]
	s_cbranch_execz .LBB182_46
; %bb.45:                               ;   in Loop: Header=BB182_13 Depth=1
	v_and_b32_e32 v28, 7, v27
	v_ffbh_u32_e32 v34, v28
	v_min_u32_e32 v52, 32, v34
	v_subrev_u32_e32 v34, 28, v52
	v_lshlrev_b64 v[34:35], v34, v[27:28]
	v_lshrrev_b32_e32 v51, 3, v33
	v_sub_u32_e32 v27, 29, v52
	v_and_b32_e32 v34, 7, v34
	v_cmp_gt_u32_e64 s[4:5], 8, v33
	v_cndmask_b32_e64 v27, v51, v27, s[4:5]
	v_cndmask_b32_e64 v28, v28, v34, s[4:5]
	v_lshlrev_b32_e32 v29, 24, v29
	v_lshlrev_b32_e32 v28, 20, v28
	v_and_b32_e32 v29, 0x80000000, v29
	v_lshl_add_u32 v27, v27, 23, v43
	v_or3_b32 v51, v29, v27, v28
.LBB182_46:                             ;   in Loop: Header=BB182_13 Depth=1
	s_or_b64 exec, exec, s[44:45]
.LBB182_47:                             ;   in Loop: Header=BB182_13 Depth=1
	s_or_b64 exec, exec, s[42:43]
.LBB182_48:                             ;   in Loop: Header=BB182_13 Depth=1
	s_or_b64 exec, exec, s[40:41]
	global_load_ubyte v29, v[25:26], off offset:260
	s_waitcnt vmcnt(0)
	v_cmp_ne_u16_e64 s[4:5], 0, v29
	s_and_saveexec_b64 s[40:41], s[4:5]
	s_cbranch_execz .LBB182_54
; %bb.49:                               ;   in Loop: Header=BB182_13 Depth=1
	v_cmp_ne_u16_e64 s[4:5], s52, v29
	v_bfrev_b32_e32 v50, 1
	s_and_saveexec_b64 s[42:43], s[4:5]
	s_cbranch_execz .LBB182_53
; %bb.50:                               ;   in Loop: Header=BB182_13 Depth=1
	v_and_b32_e32 v27, 0xffff, v29
	v_and_b32_e32 v33, 0x7f, v27
	v_cmp_ne_u32_e64 s[4:5], s53, v33
	v_mov_b32_e32 v50, 0x7f800001
	s_and_saveexec_b64 s[44:45], s[4:5]
	s_cbranch_execz .LBB182_52
; %bb.51:                               ;   in Loop: Header=BB182_13 Depth=1
	v_and_b32_e32 v28, 7, v27
	v_ffbh_u32_e32 v34, v28
	v_min_u32_e32 v52, 32, v34
	v_subrev_u32_e32 v34, 28, v52
	v_lshlrev_b64 v[34:35], v34, v[27:28]
	v_lshrrev_b32_e32 v50, 3, v33
	v_sub_u32_e32 v27, 29, v52
	v_and_b32_e32 v34, 7, v34
	v_cmp_gt_u32_e64 s[4:5], 8, v33
	v_cndmask_b32_e64 v27, v50, v27, s[4:5]
	v_cndmask_b32_e64 v28, v28, v34, s[4:5]
	v_lshlrev_b32_e32 v29, 24, v29
	v_lshlrev_b32_e32 v28, 20, v28
	v_and_b32_e32 v29, 0x80000000, v29
	v_lshl_add_u32 v27, v27, 23, v43
	v_or3_b32 v50, v29, v27, v28
.LBB182_52:                             ;   in Loop: Header=BB182_13 Depth=1
	s_or_b64 exec, exec, s[44:45]
.LBB182_53:                             ;   in Loop: Header=BB182_13 Depth=1
	s_or_b64 exec, exec, s[42:43]
.LBB182_54:                             ;   in Loop: Header=BB182_13 Depth=1
	s_or_b64 exec, exec, s[40:41]
	global_load_ubyte v29, v[25:26], off offset:264
	v_mov_b32_e32 v52, 0
	v_mov_b32_e32 v53, 0
	s_waitcnt vmcnt(0)
	v_cmp_ne_u16_e64 s[4:5], 0, v29
	s_and_saveexec_b64 s[40:41], s[4:5]
	s_cbranch_execz .LBB182_60
; %bb.55:                               ;   in Loop: Header=BB182_13 Depth=1
	v_cmp_ne_u16_e64 s[4:5], s52, v29
	v_bfrev_b32_e32 v53, 1
	s_and_saveexec_b64 s[42:43], s[4:5]
	s_cbranch_execz .LBB182_59
; %bb.56:                               ;   in Loop: Header=BB182_13 Depth=1
	v_and_b32_e32 v27, 0xffff, v29
	v_and_b32_e32 v33, 0x7f, v27
	v_cmp_ne_u32_e64 s[4:5], s53, v33
	v_mov_b32_e32 v53, 0x7f800001
	s_and_saveexec_b64 s[44:45], s[4:5]
	s_cbranch_execz .LBB182_58
; %bb.57:                               ;   in Loop: Header=BB182_13 Depth=1
	v_and_b32_e32 v28, 7, v27
	v_ffbh_u32_e32 v34, v28
	v_min_u32_e32 v54, 32, v34
	v_subrev_u32_e32 v34, 28, v54
	v_lshlrev_b64 v[34:35], v34, v[27:28]
	v_lshrrev_b32_e32 v53, 3, v33
	v_sub_u32_e32 v27, 29, v54
	v_and_b32_e32 v34, 7, v34
	v_cmp_gt_u32_e64 s[4:5], 8, v33
	v_cndmask_b32_e64 v27, v53, v27, s[4:5]
	v_cndmask_b32_e64 v28, v28, v34, s[4:5]
	v_lshlrev_b32_e32 v29, 24, v29
	v_lshlrev_b32_e32 v28, 20, v28
	v_and_b32_e32 v29, 0x80000000, v29
	v_lshl_add_u32 v27, v27, 23, v43
	v_or3_b32 v53, v29, v27, v28
.LBB182_58:                             ;   in Loop: Header=BB182_13 Depth=1
	s_or_b64 exec, exec, s[44:45]
.LBB182_59:                             ;   in Loop: Header=BB182_13 Depth=1
	s_or_b64 exec, exec, s[42:43]
.LBB182_60:                             ;   in Loop: Header=BB182_13 Depth=1
	s_or_b64 exec, exec, s[40:41]
	global_load_ubyte v29, v[25:26], off offset:268
	s_waitcnt vmcnt(0)
	v_cmp_ne_u16_e64 s[4:5], 0, v29
	s_and_saveexec_b64 s[40:41], s[4:5]
	s_cbranch_execz .LBB182_66
; %bb.61:                               ;   in Loop: Header=BB182_13 Depth=1
	v_cmp_ne_u16_e64 s[4:5], s52, v29
	v_bfrev_b32_e32 v52, 1
	s_and_saveexec_b64 s[42:43], s[4:5]
	s_cbranch_execz .LBB182_65
; %bb.62:                               ;   in Loop: Header=BB182_13 Depth=1
	v_and_b32_e32 v27, 0xffff, v29
	v_and_b32_e32 v33, 0x7f, v27
	v_cmp_ne_u32_e64 s[4:5], s53, v33
	v_mov_b32_e32 v52, 0x7f800001
	s_and_saveexec_b64 s[44:45], s[4:5]
	s_cbranch_execz .LBB182_64
; %bb.63:                               ;   in Loop: Header=BB182_13 Depth=1
	v_and_b32_e32 v28, 7, v27
	v_ffbh_u32_e32 v34, v28
	v_min_u32_e32 v54, 32, v34
	v_subrev_u32_e32 v34, 28, v54
	v_lshlrev_b64 v[34:35], v34, v[27:28]
	v_lshrrev_b32_e32 v52, 3, v33
	v_sub_u32_e32 v27, 29, v54
	v_and_b32_e32 v34, 7, v34
	v_cmp_gt_u32_e64 s[4:5], 8, v33
	v_cndmask_b32_e64 v27, v52, v27, s[4:5]
	v_cndmask_b32_e64 v28, v28, v34, s[4:5]
	v_lshlrev_b32_e32 v29, 24, v29
	v_lshlrev_b32_e32 v28, 20, v28
	v_and_b32_e32 v29, 0x80000000, v29
	v_lshl_add_u32 v27, v27, 23, v43
	v_or3_b32 v52, v29, v27, v28
.LBB182_64:                             ;   in Loop: Header=BB182_13 Depth=1
	s_or_b64 exec, exec, s[44:45]
.LBB182_65:                             ;   in Loop: Header=BB182_13 Depth=1
	s_or_b64 exec, exec, s[42:43]
.LBB182_66:                             ;   in Loop: Header=BB182_13 Depth=1
	s_or_b64 exec, exec, s[40:41]
	global_load_ubyte v29, v[25:26], off offset:512
	v_mov_b32_e32 v54, 0
	v_mov_b32_e32 v55, 0
	s_waitcnt vmcnt(0)
	v_cmp_ne_u16_e64 s[4:5], 0, v29
	s_and_saveexec_b64 s[40:41], s[4:5]
	s_cbranch_execz .LBB182_72
; %bb.67:                               ;   in Loop: Header=BB182_13 Depth=1
	v_cmp_ne_u16_e64 s[4:5], s52, v29
	v_bfrev_b32_e32 v55, 1
	s_and_saveexec_b64 s[42:43], s[4:5]
	s_cbranch_execz .LBB182_71
; %bb.68:                               ;   in Loop: Header=BB182_13 Depth=1
	v_and_b32_e32 v27, 0xffff, v29
	v_and_b32_e32 v33, 0x7f, v27
	v_cmp_ne_u32_e64 s[4:5], s53, v33
	v_mov_b32_e32 v55, 0x7f800001
	s_and_saveexec_b64 s[44:45], s[4:5]
	s_cbranch_execz .LBB182_70
; %bb.69:                               ;   in Loop: Header=BB182_13 Depth=1
	v_and_b32_e32 v28, 7, v27
	v_ffbh_u32_e32 v34, v28
	v_min_u32_e32 v56, 32, v34
	v_subrev_u32_e32 v34, 28, v56
	v_lshlrev_b64 v[34:35], v34, v[27:28]
	v_lshrrev_b32_e32 v55, 3, v33
	v_sub_u32_e32 v27, 29, v56
	v_and_b32_e32 v34, 7, v34
	v_cmp_gt_u32_e64 s[4:5], 8, v33
	v_cndmask_b32_e64 v27, v55, v27, s[4:5]
	v_cndmask_b32_e64 v28, v28, v34, s[4:5]
	v_lshlrev_b32_e32 v29, 24, v29
	v_lshlrev_b32_e32 v28, 20, v28
	v_and_b32_e32 v29, 0x80000000, v29
	v_lshl_add_u32 v27, v27, 23, v43
	v_or3_b32 v55, v29, v27, v28
.LBB182_70:                             ;   in Loop: Header=BB182_13 Depth=1
	s_or_b64 exec, exec, s[44:45]
.LBB182_71:                             ;   in Loop: Header=BB182_13 Depth=1
	s_or_b64 exec, exec, s[42:43]
.LBB182_72:                             ;   in Loop: Header=BB182_13 Depth=1
	s_or_b64 exec, exec, s[40:41]
	global_load_ubyte v29, v[25:26], off offset:516
	s_waitcnt vmcnt(0)
	v_cmp_ne_u16_e64 s[4:5], 0, v29
	s_and_saveexec_b64 s[40:41], s[4:5]
	s_cbranch_execz .LBB182_78
; %bb.73:                               ;   in Loop: Header=BB182_13 Depth=1
	v_cmp_ne_u16_e64 s[4:5], s52, v29
	v_bfrev_b32_e32 v54, 1
	s_and_saveexec_b64 s[42:43], s[4:5]
	s_cbranch_execz .LBB182_77
; %bb.74:                               ;   in Loop: Header=BB182_13 Depth=1
	v_and_b32_e32 v27, 0xffff, v29
	v_and_b32_e32 v33, 0x7f, v27
	v_cmp_ne_u32_e64 s[4:5], s53, v33
	v_mov_b32_e32 v54, 0x7f800001
	s_and_saveexec_b64 s[44:45], s[4:5]
	s_cbranch_execz .LBB182_76
; %bb.75:                               ;   in Loop: Header=BB182_13 Depth=1
	v_and_b32_e32 v28, 7, v27
	v_ffbh_u32_e32 v34, v28
	v_min_u32_e32 v56, 32, v34
	v_subrev_u32_e32 v34, 28, v56
	v_lshlrev_b64 v[34:35], v34, v[27:28]
	v_lshrrev_b32_e32 v54, 3, v33
	v_sub_u32_e32 v27, 29, v56
	v_and_b32_e32 v34, 7, v34
	v_cmp_gt_u32_e64 s[4:5], 8, v33
	v_cndmask_b32_e64 v27, v54, v27, s[4:5]
	v_cndmask_b32_e64 v28, v28, v34, s[4:5]
	v_lshlrev_b32_e32 v29, 24, v29
	v_lshlrev_b32_e32 v28, 20, v28
	v_and_b32_e32 v29, 0x80000000, v29
	v_lshl_add_u32 v27, v27, 23, v43
	v_or3_b32 v54, v29, v27, v28
.LBB182_76:                             ;   in Loop: Header=BB182_13 Depth=1
	s_or_b64 exec, exec, s[44:45]
.LBB182_77:                             ;   in Loop: Header=BB182_13 Depth=1
	s_or_b64 exec, exec, s[42:43]
.LBB182_78:                             ;   in Loop: Header=BB182_13 Depth=1
	s_or_b64 exec, exec, s[40:41]
	global_load_ubyte v33, v[25:26], off offset:520
	v_mov_b32_e32 v56, 0
	v_mov_b32_e32 v57, 0
	s_waitcnt vmcnt(0)
	v_cmp_ne_u16_e64 s[4:5], 0, v33
	s_and_saveexec_b64 s[40:41], s[4:5]
	s_cbranch_execz .LBB182_84
; %bb.79:                               ;   in Loop: Header=BB182_13 Depth=1
	v_cmp_ne_u16_e64 s[4:5], s52, v33
	v_bfrev_b32_e32 v57, 1
	s_and_saveexec_b64 s[42:43], s[4:5]
	s_cbranch_execz .LBB182_83
; %bb.80:                               ;   in Loop: Header=BB182_13 Depth=1
	v_and_b32_e32 v27, 0xffff, v33
	v_and_b32_e32 v29, 0x7f, v27
	v_cmp_ne_u32_e64 s[4:5], s53, v29
	v_mov_b32_e32 v57, 0x7f800001
	s_and_saveexec_b64 s[44:45], s[4:5]
	s_cbranch_execz .LBB182_82
; %bb.81:                               ;   in Loop: Header=BB182_13 Depth=1
	v_and_b32_e32 v28, 7, v27
	v_lshrrev_b32_e32 v57, 3, v29
	v_cmp_gt_u32_e64 s[4:5], 8, v29
	v_ffbh_u32_e32 v29, v28
	v_min_u32_e32 v29, 32, v29
	v_subrev_u32_e32 v34, 28, v29
	v_lshlrev_b64 v[34:35], v34, v[27:28]
	v_sub_u32_e32 v27, 29, v29
	v_and_b32_e32 v29, 7, v34
	v_cndmask_b32_e64 v27, v57, v27, s[4:5]
	v_cndmask_b32_e64 v28, v28, v29, s[4:5]
	v_lshlrev_b32_e32 v29, 24, v33
	v_lshlrev_b32_e32 v28, 20, v28
	v_and_b32_e32 v29, 0x80000000, v29
	v_lshl_add_u32 v27, v27, 23, v43
	v_or3_b32 v57, v29, v27, v28
.LBB182_82:                             ;   in Loop: Header=BB182_13 Depth=1
	s_or_b64 exec, exec, s[44:45]
.LBB182_83:                             ;   in Loop: Header=BB182_13 Depth=1
	s_or_b64 exec, exec, s[42:43]
.LBB182_84:                             ;   in Loop: Header=BB182_13 Depth=1
	s_or_b64 exec, exec, s[40:41]
	global_load_ubyte v29, v[25:26], off offset:524
	s_waitcnt vmcnt(0)
	v_cmp_ne_u16_e64 s[4:5], 0, v29
	s_and_saveexec_b64 s[40:41], s[4:5]
	s_cbranch_execz .LBB182_90
; %bb.85:                               ;   in Loop: Header=BB182_13 Depth=1
	v_cmp_ne_u16_e64 s[4:5], s52, v29
	v_bfrev_b32_e32 v56, 1
	s_and_saveexec_b64 s[42:43], s[4:5]
	s_cbranch_execz .LBB182_89
; %bb.86:                               ;   in Loop: Header=BB182_13 Depth=1
	v_and_b32_e32 v27, 0xffff, v29
	v_and_b32_e32 v33, 0x7f, v27
	v_cmp_ne_u32_e64 s[4:5], s53, v33
	v_mov_b32_e32 v56, 0x7f800001
	s_and_saveexec_b64 s[44:45], s[4:5]
	s_cbranch_execz .LBB182_88
; %bb.87:                               ;   in Loop: Header=BB182_13 Depth=1
	v_and_b32_e32 v28, 7, v27
	v_lshrrev_b32_e32 v35, 3, v33
	v_cmp_gt_u32_e64 s[4:5], 8, v33
	v_ffbh_u32_e32 v33, v28
	v_min_u32_e32 v56, 32, v33
	v_subrev_u32_e32 v33, 28, v56
	v_lshlrev_b64 v[33:34], v33, v[27:28]
	v_sub_u32_e32 v27, 29, v56
	v_and_b32_e32 v33, 7, v33
	v_cndmask_b32_e64 v27, v35, v27, s[4:5]
	v_cndmask_b32_e64 v28, v28, v33, s[4:5]
	v_lshlrev_b32_e32 v29, 24, v29
	v_lshlrev_b32_e32 v28, 20, v28
	v_and_b32_e32 v29, 0x80000000, v29
	v_lshl_add_u32 v27, v27, 23, v43
	v_or3_b32 v56, v29, v27, v28
.LBB182_88:                             ;   in Loop: Header=BB182_13 Depth=1
	s_or_b64 exec, exec, s[44:45]
.LBB182_89:                             ;   in Loop: Header=BB182_13 Depth=1
	s_or_b64 exec, exec, s[42:43]
.LBB182_90:                             ;   in Loop: Header=BB182_13 Depth=1
	s_or_b64 exec, exec, s[40:41]
	global_load_ubyte v33, v[25:26], off offset:768
	v_mov_b32_e32 v58, 0
	v_mov_b32_e32 v59, 0
	s_waitcnt vmcnt(0)
	v_cmp_ne_u16_e64 s[4:5], 0, v33
	s_and_saveexec_b64 s[40:41], s[4:5]
	s_cbranch_execz .LBB182_96
; %bb.91:                               ;   in Loop: Header=BB182_13 Depth=1
	v_cmp_ne_u16_e64 s[4:5], s52, v33
	v_bfrev_b32_e32 v59, 1
	s_and_saveexec_b64 s[42:43], s[4:5]
	s_cbranch_execz .LBB182_95
; %bb.92:                               ;   in Loop: Header=BB182_13 Depth=1
	v_and_b32_e32 v27, 0xffff, v33
	v_and_b32_e32 v29, 0x7f, v27
	v_cmp_ne_u32_e64 s[4:5], s53, v29
	v_mov_b32_e32 v59, 0x7f800001
	s_and_saveexec_b64 s[44:45], s[4:5]
	s_cbranch_execz .LBB182_94
; %bb.93:                               ;   in Loop: Header=BB182_13 Depth=1
	v_and_b32_e32 v28, 7, v27
	v_lshrrev_b32_e32 v59, 3, v29
	v_cmp_gt_u32_e64 s[4:5], 8, v29
	v_ffbh_u32_e32 v29, v28
	v_min_u32_e32 v29, 32, v29
	v_subrev_u32_e32 v34, 28, v29
	v_lshlrev_b64 v[34:35], v34, v[27:28]
	v_sub_u32_e32 v27, 29, v29
	v_and_b32_e32 v29, 7, v34
	v_cndmask_b32_e64 v27, v59, v27, s[4:5]
	v_cndmask_b32_e64 v28, v28, v29, s[4:5]
	v_lshlrev_b32_e32 v29, 24, v33
	v_lshlrev_b32_e32 v28, 20, v28
	v_and_b32_e32 v29, 0x80000000, v29
	v_lshl_add_u32 v27, v27, 23, v43
	v_or3_b32 v59, v29, v27, v28
.LBB182_94:                             ;   in Loop: Header=BB182_13 Depth=1
	s_or_b64 exec, exec, s[44:45]
.LBB182_95:                             ;   in Loop: Header=BB182_13 Depth=1
	s_or_b64 exec, exec, s[42:43]
.LBB182_96:                             ;   in Loop: Header=BB182_13 Depth=1
	s_or_b64 exec, exec, s[40:41]
	global_load_ubyte v29, v[25:26], off offset:772
	s_waitcnt vmcnt(0)
	v_cmp_ne_u16_e64 s[4:5], 0, v29
	s_and_saveexec_b64 s[40:41], s[4:5]
	s_cbranch_execz .LBB182_102
; %bb.97:                               ;   in Loop: Header=BB182_13 Depth=1
	v_cmp_ne_u16_e64 s[4:5], s52, v29
	v_bfrev_b32_e32 v58, 1
	s_and_saveexec_b64 s[42:43], s[4:5]
	s_cbranch_execz .LBB182_101
; %bb.98:                               ;   in Loop: Header=BB182_13 Depth=1
	v_and_b32_e32 v27, 0xffff, v29
	v_and_b32_e32 v33, 0x7f, v27
	v_cmp_ne_u32_e64 s[4:5], s53, v33
	v_mov_b32_e32 v58, 0x7f800001
	s_and_saveexec_b64 s[44:45], s[4:5]
	s_cbranch_execz .LBB182_100
; %bb.99:                               ;   in Loop: Header=BB182_13 Depth=1
	v_and_b32_e32 v28, 7, v27
	v_lshrrev_b32_e32 v35, 3, v33
	v_cmp_gt_u32_e64 s[4:5], 8, v33
	v_ffbh_u32_e32 v33, v28
	v_min_u32_e32 v58, 32, v33
	v_subrev_u32_e32 v33, 28, v58
	v_lshlrev_b64 v[33:34], v33, v[27:28]
	v_sub_u32_e32 v27, 29, v58
	v_and_b32_e32 v33, 7, v33
	v_cndmask_b32_e64 v27, v35, v27, s[4:5]
	v_cndmask_b32_e64 v28, v28, v33, s[4:5]
	v_lshlrev_b32_e32 v29, 24, v29
	v_lshlrev_b32_e32 v28, 20, v28
	v_and_b32_e32 v29, 0x80000000, v29
	v_lshl_add_u32 v27, v27, 23, v43
	v_or3_b32 v58, v29, v27, v28
.LBB182_100:                            ;   in Loop: Header=BB182_13 Depth=1
	s_or_b64 exec, exec, s[44:45]
.LBB182_101:                            ;   in Loop: Header=BB182_13 Depth=1
	s_or_b64 exec, exec, s[42:43]
.LBB182_102:                            ;   in Loop: Header=BB182_13 Depth=1
	s_or_b64 exec, exec, s[40:41]
	global_load_ubyte v33, v[25:26], off offset:776
	v_mov_b32_e32 v60, 0
	v_mov_b32_e32 v61, 0
	s_waitcnt vmcnt(0)
	v_cmp_ne_u16_e64 s[4:5], 0, v33
	s_and_saveexec_b64 s[40:41], s[4:5]
	s_cbranch_execz .LBB182_108
; %bb.103:                              ;   in Loop: Header=BB182_13 Depth=1
	v_cmp_ne_u16_e64 s[4:5], s52, v33
	v_bfrev_b32_e32 v61, 1
	s_and_saveexec_b64 s[42:43], s[4:5]
	s_cbranch_execz .LBB182_107
; %bb.104:                              ;   in Loop: Header=BB182_13 Depth=1
	v_and_b32_e32 v27, 0xffff, v33
	v_and_b32_e32 v29, 0x7f, v27
	v_cmp_ne_u32_e64 s[4:5], s53, v29
	v_mov_b32_e32 v61, 0x7f800001
	s_and_saveexec_b64 s[44:45], s[4:5]
	s_cbranch_execz .LBB182_106
; %bb.105:                              ;   in Loop: Header=BB182_13 Depth=1
	v_and_b32_e32 v28, 7, v27
	v_lshrrev_b32_e32 v61, 3, v29
	v_cmp_gt_u32_e64 s[4:5], 8, v29
	v_ffbh_u32_e32 v29, v28
	v_min_u32_e32 v29, 32, v29
	v_subrev_u32_e32 v34, 28, v29
	v_lshlrev_b64 v[34:35], v34, v[27:28]
	v_sub_u32_e32 v27, 29, v29
	v_and_b32_e32 v29, 7, v34
	v_cndmask_b32_e64 v27, v61, v27, s[4:5]
	v_cndmask_b32_e64 v28, v28, v29, s[4:5]
	v_lshlrev_b32_e32 v29, 24, v33
	v_lshlrev_b32_e32 v28, 20, v28
	v_and_b32_e32 v29, 0x80000000, v29
	v_lshl_add_u32 v27, v27, 23, v43
	v_or3_b32 v61, v29, v27, v28
.LBB182_106:                            ;   in Loop: Header=BB182_13 Depth=1
	s_or_b64 exec, exec, s[44:45]
.LBB182_107:                            ;   in Loop: Header=BB182_13 Depth=1
	s_or_b64 exec, exec, s[42:43]
.LBB182_108:                            ;   in Loop: Header=BB182_13 Depth=1
	s_or_b64 exec, exec, s[40:41]
	global_load_ubyte v29, v[25:26], off offset:780
	s_waitcnt vmcnt(0)
	v_cmp_ne_u16_e64 s[4:5], 0, v29
	s_and_saveexec_b64 s[40:41], s[4:5]
	s_cbranch_execz .LBB182_114
; %bb.109:                              ;   in Loop: Header=BB182_13 Depth=1
	v_cmp_ne_u16_e64 s[4:5], s52, v29
	v_bfrev_b32_e32 v60, 1
	s_and_saveexec_b64 s[42:43], s[4:5]
	s_cbranch_execz .LBB182_113
; %bb.110:                              ;   in Loop: Header=BB182_13 Depth=1
	v_and_b32_e32 v27, 0xffff, v29
	v_and_b32_e32 v33, 0x7f, v27
	v_cmp_ne_u32_e64 s[4:5], s53, v33
	v_mov_b32_e32 v60, 0x7f800001
	s_and_saveexec_b64 s[44:45], s[4:5]
	s_cbranch_execz .LBB182_112
; %bb.111:                              ;   in Loop: Header=BB182_13 Depth=1
	v_and_b32_e32 v28, 7, v27
	v_lshrrev_b32_e32 v35, 3, v33
	v_cmp_gt_u32_e64 s[4:5], 8, v33
	v_ffbh_u32_e32 v33, v28
	v_min_u32_e32 v60, 32, v33
	v_subrev_u32_e32 v33, 28, v60
	v_lshlrev_b64 v[33:34], v33, v[27:28]
	v_sub_u32_e32 v27, 29, v60
	v_and_b32_e32 v33, 7, v33
	v_cndmask_b32_e64 v27, v35, v27, s[4:5]
	v_cndmask_b32_e64 v28, v28, v33, s[4:5]
	v_lshlrev_b32_e32 v29, 24, v29
	v_lshlrev_b32_e32 v28, 20, v28
	v_and_b32_e32 v29, 0x80000000, v29
	v_lshl_add_u32 v27, v27, 23, v43
	v_or3_b32 v60, v29, v27, v28
.LBB182_112:                            ;   in Loop: Header=BB182_13 Depth=1
	s_or_b64 exec, exec, s[44:45]
.LBB182_113:                            ;   in Loop: Header=BB182_13 Depth=1
	s_or_b64 exec, exec, s[42:43]
.LBB182_114:                            ;   in Loop: Header=BB182_13 Depth=1
	s_or_b64 exec, exec, s[40:41]
	global_load_ubyte v33, v[25:26], off offset:1024
	v_mov_b32_e32 v62, 0
	v_mov_b32_e32 v63, 0
	s_waitcnt vmcnt(0)
	v_cmp_ne_u16_e64 s[4:5], 0, v33
	s_and_saveexec_b64 s[40:41], s[4:5]
	s_cbranch_execz .LBB182_120
; %bb.115:                              ;   in Loop: Header=BB182_13 Depth=1
	v_cmp_ne_u16_e64 s[4:5], s52, v33
	v_bfrev_b32_e32 v63, 1
	s_and_saveexec_b64 s[42:43], s[4:5]
	s_cbranch_execz .LBB182_119
; %bb.116:                              ;   in Loop: Header=BB182_13 Depth=1
	v_and_b32_e32 v27, 0xffff, v33
	v_and_b32_e32 v29, 0x7f, v27
	v_cmp_ne_u32_e64 s[4:5], s53, v29
	v_mov_b32_e32 v63, 0x7f800001
	s_and_saveexec_b64 s[44:45], s[4:5]
	s_cbranch_execz .LBB182_118
; %bb.117:                              ;   in Loop: Header=BB182_13 Depth=1
	v_and_b32_e32 v28, 7, v27
	v_lshrrev_b32_e32 v63, 3, v29
	v_cmp_gt_u32_e64 s[4:5], 8, v29
	v_ffbh_u32_e32 v29, v28
	v_min_u32_e32 v29, 32, v29
	v_subrev_u32_e32 v34, 28, v29
	v_lshlrev_b64 v[34:35], v34, v[27:28]
	v_sub_u32_e32 v27, 29, v29
	v_and_b32_e32 v29, 7, v34
	v_cndmask_b32_e64 v27, v63, v27, s[4:5]
	v_cndmask_b32_e64 v28, v28, v29, s[4:5]
	v_lshlrev_b32_e32 v29, 24, v33
	v_lshlrev_b32_e32 v28, 20, v28
	v_and_b32_e32 v29, 0x80000000, v29
	v_lshl_add_u32 v27, v27, 23, v43
	v_or3_b32 v63, v29, v27, v28
.LBB182_118:                            ;   in Loop: Header=BB182_13 Depth=1
	s_or_b64 exec, exec, s[44:45]
.LBB182_119:                            ;   in Loop: Header=BB182_13 Depth=1
	s_or_b64 exec, exec, s[42:43]
.LBB182_120:                            ;   in Loop: Header=BB182_13 Depth=1
	s_or_b64 exec, exec, s[40:41]
	global_load_ubyte v29, v[25:26], off offset:1028
	s_waitcnt vmcnt(0)
	v_cmp_ne_u16_e64 s[4:5], 0, v29
	s_and_saveexec_b64 s[40:41], s[4:5]
	s_cbranch_execz .LBB182_126
; %bb.121:                              ;   in Loop: Header=BB182_13 Depth=1
	v_cmp_ne_u16_e64 s[4:5], s52, v29
	v_bfrev_b32_e32 v62, 1
	s_and_saveexec_b64 s[42:43], s[4:5]
	s_cbranch_execz .LBB182_125
; %bb.122:                              ;   in Loop: Header=BB182_13 Depth=1
	v_and_b32_e32 v27, 0xffff, v29
	v_and_b32_e32 v33, 0x7f, v27
	v_cmp_ne_u32_e64 s[4:5], s53, v33
	v_mov_b32_e32 v62, 0x7f800001
	s_and_saveexec_b64 s[44:45], s[4:5]
	s_cbranch_execz .LBB182_124
; %bb.123:                              ;   in Loop: Header=BB182_13 Depth=1
	v_and_b32_e32 v28, 7, v27
	v_lshrrev_b32_e32 v35, 3, v33
	v_cmp_gt_u32_e64 s[4:5], 8, v33
	v_ffbh_u32_e32 v33, v28
	v_min_u32_e32 v62, 32, v33
	v_subrev_u32_e32 v33, 28, v62
	v_lshlrev_b64 v[33:34], v33, v[27:28]
	v_sub_u32_e32 v27, 29, v62
	v_and_b32_e32 v33, 7, v33
	v_cndmask_b32_e64 v27, v35, v27, s[4:5]
	v_cndmask_b32_e64 v28, v28, v33, s[4:5]
	v_lshlrev_b32_e32 v29, 24, v29
	v_lshlrev_b32_e32 v28, 20, v28
	v_and_b32_e32 v29, 0x80000000, v29
	v_lshl_add_u32 v27, v27, 23, v43
	v_or3_b32 v62, v29, v27, v28
.LBB182_124:                            ;   in Loop: Header=BB182_13 Depth=1
	s_or_b64 exec, exec, s[44:45]
.LBB182_125:                            ;   in Loop: Header=BB182_13 Depth=1
	s_or_b64 exec, exec, s[42:43]
.LBB182_126:                            ;   in Loop: Header=BB182_13 Depth=1
	s_or_b64 exec, exec, s[40:41]
	global_load_ubyte v29, v[25:26], off offset:1032
	v_mov_b32_e32 v34, 0
	v_mov_b32_e32 v33, 0
	s_waitcnt vmcnt(0)
	v_cmp_ne_u16_e64 s[4:5], 0, v29
	s_and_saveexec_b64 s[40:41], s[4:5]
	s_cbranch_execz .LBB182_132
; %bb.127:                              ;   in Loop: Header=BB182_13 Depth=1
	v_cmp_ne_u16_e64 s[4:5], s52, v29
	v_bfrev_b32_e32 v33, 1
	s_and_saveexec_b64 s[42:43], s[4:5]
	s_cbranch_execz .LBB182_131
; %bb.128:                              ;   in Loop: Header=BB182_13 Depth=1
	v_and_b32_e32 v27, 0xffff, v29
	v_and_b32_e32 v35, 0x7f, v27
	v_cmp_ne_u32_e64 s[4:5], s53, v35
	v_mov_b32_e32 v33, 0x7f800001
	s_and_saveexec_b64 s[44:45], s[4:5]
	s_cbranch_execz .LBB182_130
; %bb.129:                              ;   in Loop: Header=BB182_13 Depth=1
	v_and_b32_e32 v33, 7, v27
	v_ffbh_u32_e32 v28, v33
	v_lshrrev_b32_e32 v30, 3, v35
	v_cmp_gt_u32_e64 s[4:5], 8, v35
	v_min_u32_e32 v35, 32, v28
	v_subrev_u32_e32 v28, 28, v35
	v_lshlrev_b64 v[27:28], v28, v[27:28]
	v_sub_u32_e32 v28, 29, v35
	v_and_b32_e32 v27, 7, v27
	v_cndmask_b32_e64 v28, v30, v28, s[4:5]
	v_cndmask_b32_e64 v27, v33, v27, s[4:5]
	v_lshlrev_b32_e32 v29, 24, v29
	v_lshlrev_b32_e32 v27, 20, v27
	v_and_b32_e32 v29, 0x80000000, v29
	v_lshl_add_u32 v28, v28, 23, v43
	v_or3_b32 v33, v29, v28, v27
.LBB182_130:                            ;   in Loop: Header=BB182_13 Depth=1
	s_or_b64 exec, exec, s[44:45]
.LBB182_131:                            ;   in Loop: Header=BB182_13 Depth=1
	s_or_b64 exec, exec, s[42:43]
.LBB182_132:                            ;   in Loop: Header=BB182_13 Depth=1
	s_or_b64 exec, exec, s[40:41]
	global_load_ubyte v26, v[25:26], off offset:1036
	s_waitcnt vmcnt(0)
	v_cmp_ne_u16_e64 s[4:5], 0, v26
	s_and_saveexec_b64 s[40:41], s[4:5]
	s_cbranch_execz .LBB182_138
; %bb.133:                              ;   in Loop: Header=BB182_13 Depth=1
	v_cmp_ne_u16_e64 s[4:5], s52, v26
	v_bfrev_b32_e32 v34, 1
	s_and_saveexec_b64 s[42:43], s[4:5]
	s_cbranch_execz .LBB182_137
; %bb.134:                              ;   in Loop: Header=BB182_13 Depth=1
	v_and_b32_e32 v25, 0xffff, v26
	v_and_b32_e32 v27, 0x7f, v25
	v_cmp_ne_u32_e64 s[4:5], s53, v27
	v_mov_b32_e32 v34, 0x7f800001
	s_and_saveexec_b64 s[44:45], s[4:5]
	s_cbranch_execz .LBB182_136
; %bb.135:                              ;   in Loop: Header=BB182_13 Depth=1
	v_and_b32_e32 v29, 7, v25
	v_lshrrev_b32_e32 v30, 3, v27
	v_cmp_gt_u32_e64 s[4:5], 8, v27
	v_ffbh_u32_e32 v27, v29
	v_min_u32_e32 v34, 32, v27
	v_subrev_u32_e32 v27, 28, v34
	v_lshlrev_b64 v[27:28], v27, v[25:26]
	v_sub_u32_e32 v25, 29, v34
	v_and_b32_e32 v27, 7, v27
	v_cndmask_b32_e64 v25, v30, v25, s[4:5]
	v_cndmask_b32_e64 v27, v29, v27, s[4:5]
	v_lshlrev_b32_e32 v26, 24, v26
	v_lshlrev_b32_e32 v27, 20, v27
	v_and_b32_e32 v26, 0x80000000, v26
	v_lshl_add_u32 v25, v25, 23, v43
	v_or3_b32 v34, v26, v25, v27
.LBB182_136:                            ;   in Loop: Header=BB182_13 Depth=1
	s_or_b64 exec, exec, s[44:45]
.LBB182_137:                            ;   in Loop: Header=BB182_13 Depth=1
	s_or_b64 exec, exec, s[42:43]
.LBB182_138:                            ;   in Loop: Header=BB182_13 Depth=1
	s_or_b64 exec, exec, s[40:41]
	s_waitcnt lgkmcnt(0)
	v_mul_f32_e32 v47, s54, v47
	v_mul_f32_e32 v46, s54, v46
	;; [unrolled: 1-line block ×4, first 2 shown]
	v_fmac_f32_e32 v18, v17, v46
	v_mul_f32_e32 v48, s54, v48
	v_fmac_f32_e32 v18, v19, v49
	v_mul_f32_e32 v51, s54, v51
	;; [unrolled: 2-line block ×8, first 2 shown]
	v_mul_f32_e32 v56, s54, v57
	v_fmac_f32_e32 v18, v14, v54
	v_fmac_f32_e32 v18, v15, v56
	v_mul_f32_e32 v25, s54, v33
	v_mul_f32_e32 v33, s54, v59
	v_fmac_f32_e32 v18, v16, v35
	v_mul_f32_e32 v30, s54, v58
	v_fmac_f32_e32 v18, v5, v33
	v_mul_f32_e32 v29, s54, v61
	v_fmac_f32_e32 v18, v6, v30
	v_mul_f32_e32 v28, s54, v60
	v_fmac_f32_e32 v18, v7, v29
	v_mul_f32_e32 v27, s54, v63
	v_and_b32_e32 v57, 64, v44
	v_fmac_f32_e32 v18, v8, v28
	v_mul_f32_e32 v26, s54, v62
	v_add_u32_e32 v57, 64, v57
	v_xor_b32_e32 v58, 2, v44
	v_fmac_f32_e32 v18, v1, v27
	v_cmp_lt_i32_e64 s[4:5], v58, v57
	v_fmac_f32_e32 v18, v2, v26
	v_cndmask_b32_e64 v58, v44, v58, s[4:5]
	v_mul_f32_e32 v34, s54, v34
	v_fmac_f32_e32 v18, v3, v25
	v_lshlrev_b32_e32 v58, 2, v58
	v_fmac_f32_e32 v18, v4, v34
	ds_bpermute_b32 v1, v58, v18
	v_xor_b32_e32 v2, 1, v44
	v_cmp_lt_i32_e64 s[4:5], v2, v57
	v_cndmask_b32_e64 v2, v44, v2, s[4:5]
	v_lshlrev_b32_e32 v2, 2, v2
	s_waitcnt lgkmcnt(0)
	v_add_f32_e32 v1, v18, v1
	ds_bpermute_b32 v2, v2, v1
	s_and_saveexec_b64 s[40:41], vcc
	s_cbranch_execz .LBB182_11
; %bb.139:                              ;   in Loop: Header=BB182_13 Depth=1
	v_add_u32_e32 v3, v41, v40
	v_cvt_f32_i32_e32 v3, v3
	s_waitcnt lgkmcnt(0)
	v_add_f32_e32 v1, v1, v2
	v_add_u32_e32 v4, v36, v40
	v_cmp_gt_i32_e64 s[4:5], s33, v4
	v_mul_f32_e32 v2, s48, v3
	v_cndmask_b32_e64 v2, 0, v2, s[2:3]
	v_fmac_f32_e32 v2, s37, v1
	v_cndmask_b32_e64 v1, 0, v2, s[4:5]
	ds_write_b32 v42, v1
	v_max_f32_e32 v1, v38, v38
	v_max_f32_e32 v1, v1, v2
	v_cndmask_b32_e64 v38, v38, v1, s[4:5]
	s_branch .LBB182_11
.LBB182_140:
	s_or_b64 exec, exec, s[38:39]
	v_and_b32_e32 v14, 3, v0
	v_lshlrev_b32_e32 v15, 2, v0
	v_lshrrev_b32_e32 v16, 4, v0
	v_mbcnt_lo_u32_b32 v5, -1, 0
.LBB182_141:
	s_or_b64 exec, exec, s[18:19]
	v_mbcnt_hi_u32_b32 v1, -1, v5
	v_and_b32_e32 v9, 64, v1
	s_waitcnt lgkmcnt(0)
	v_add_u32_e32 v2, 64, v9
	v_xor_b32_e32 v3, 32, v1
	v_cmp_lt_i32_e32 vcc, v3, v2
	v_cndmask_b32_e32 v3, v1, v3, vcc
	v_lshlrev_b32_e32 v3, 2, v3
	ds_bpermute_b32 v4, v3, v38
	v_xor_b32_e32 v6, 16, v1
	v_max_f32_e32 v5, v38, v38
	v_cmp_lt_i32_e32 vcc, v6, v2
	v_xor_b32_e32 v7, 8, v1
	s_waitcnt lgkmcnt(0)
	v_max_f32_e32 v4, v4, v4
	v_max_f32_e32 v5, v5, v4
	v_cndmask_b32_e32 v4, v1, v6, vcc
	v_lshlrev_b32_e32 v4, 2, v4
	ds_bpermute_b32 v6, v4, v5
	v_cmp_lt_i32_e32 vcc, v7, v2
	v_xor_b32_e32 v8, 4, v1
	v_and_b32_e32 v24, 63, v0
	s_waitcnt lgkmcnt(0)
	v_max_f32_e32 v6, v6, v6
	v_max_f32_e32 v5, v5, v6
	v_cndmask_b32_e32 v6, v1, v7, vcc
	v_lshlrev_b32_e32 v7, 2, v6
	ds_bpermute_b32 v6, v7, v5
	v_cmp_lt_i32_e32 vcc, v8, v2
	s_waitcnt lgkmcnt(0)
	v_max_f32_e32 v6, v6, v6
	v_max_f32_e32 v6, v5, v6
	v_cndmask_b32_e32 v5, v1, v8, vcc
	v_lshlrev_b32_e32 v8, 2, v5
	ds_bpermute_b32 v10, v8, v6
	v_cmp_eq_u32_e32 vcc, 0, v24
	v_lshlrev_b32_e32 v5, 2, v31
	s_and_saveexec_b64 s[2:3], vcc
	s_cbranch_execz .LBB182_143
; %bb.142:
	s_waitcnt lgkmcnt(0)
	v_max_f32_e32 v10, v10, v10
	v_max_f32_e32 v6, v6, v6
	;; [unrolled: 1-line block ×3, first 2 shown]
	ds_write_b32 v5, v6 offset:320
.LBB182_143:
	s_or_b64 exec, exec, s[2:3]
	v_cmp_gt_u32_e64 s[2:3], 2, v24
	s_waitcnt lgkmcnt(0)
	v_mov_b32_e32 v10, 0xff7fffff
	v_lshlrev_b32_e32 v6, 2, v24
	s_waitcnt vmcnt(0)
	s_barrier
	s_and_saveexec_b64 s[4:5], s[2:3]
; %bb.144:
	ds_read_b32 v10, v6 offset:320
; %bb.145:
	s_or_b64 exec, exec, s[4:5]
	v_xor_b32_e32 v11, 1, v1
	v_cmp_lt_i32_e64 s[4:5], v11, v2
	v_cndmask_b32_e64 v11, v1, v11, s[4:5]
	v_lshlrev_b32_e32 v25, 2, v11
	s_waitcnt lgkmcnt(0)
	ds_bpermute_b32 v11, v25, v10
	v_max_f32_e32 v10, v10, v10
	v_lshlrev_b32_e32 v9, 2, v9
	s_lshl_b32 s4, s20, 4
	s_min_i32 s37, s4, s33
	s_waitcnt lgkmcnt(0)
	v_max_f32_e32 v11, v11, v11
	v_max_f32_e32 v10, v10, v11
	ds_bpermute_b32 v10, v9, v10
	v_cmp_gt_i32_e64 s[4:5], s37, v0
	v_mov_b32_e32 v9, 0
	s_and_saveexec_b64 s[12:13], s[4:5]
	s_cbranch_execz .LBB182_149
; %bb.146:
	v_mov_b32_e32 v9, 0x150
	v_lshl_add_u32 v11, v0, 2, v9
	v_mov_b32_e32 v9, 0
	s_mov_b64 s[18:19], 0
	v_mov_b32_e32 v12, v0
.LBB182_147:                            ; =>This Inner Loop Header: Depth=1
	ds_read_b32 v13, v11
	v_add_u32_e32 v12, 0x80, v12
	v_cmp_le_i32_e64 s[6:7], s37, v12
	s_or_b64 s[18:19], s[6:7], s[18:19]
	s_waitcnt lgkmcnt(0)
	v_sub_f32_e32 v13, v13, v10
	v_mul_f32_e32 v13, 0x3fb8aa3b, v13
	v_exp_f32_e32 v13, v13
	ds_write_b32 v11, v13
	v_add_f32_e32 v9, v9, v13
	v_add_u32_e32 v11, 0x200, v11
	s_andn2_b64 exec, exec, s[18:19]
	s_cbranch_execnz .LBB182_147
; %bb.148:
	s_or_b64 exec, exec, s[18:19]
.LBB182_149:
	s_or_b64 exec, exec, s[12:13]
	ds_bpermute_b32 v3, v3, v9
	s_waitcnt lgkmcnt(0)
	v_add_f32_e32 v3, v9, v3
	ds_bpermute_b32 v4, v4, v3
	s_waitcnt lgkmcnt(0)
	v_add_f32_e32 v3, v3, v4
	ds_bpermute_b32 v4, v7, v3
	v_xor_b32_e32 v7, 2, v1
	v_cmp_lt_i32_e64 s[6:7], v7, v2
	v_cndmask_b32_e64 v2, v1, v7, s[6:7]
	v_lshlrev_b32_e32 v26, 2, v2
	s_waitcnt lgkmcnt(0)
	v_add_f32_e32 v3, v3, v4
	ds_bpermute_b32 v4, v8, v3
	s_waitcnt lgkmcnt(0)
	v_add_f32_e32 v3, v3, v4
	ds_bpermute_b32 v2, v26, v3
	;; [unrolled: 3-line block ×3, first 2 shown]
	s_waitcnt lgkmcnt(0)
	v_add_f32_e32 v2, v2, v3
	s_and_saveexec_b64 s[6:7], vcc
; %bb.150:
	ds_write_b32 v5, v2 offset:328
; %bb.151:
	s_or_b64 exec, exec, s[6:7]
	s_waitcnt lgkmcnt(0)
	s_barrier
	s_and_saveexec_b64 s[6:7], s[2:3]
; %bb.152:
	ds_read_b32 v2, v6 offset:328
; %bb.153:
	s_or_b64 exec, exec, s[6:7]
	s_waitcnt lgkmcnt(0)
	ds_bpermute_b32 v3, v25, v2
	v_lshlrev_b32_e32 v1, 2, v1
	v_and_b32_e32 v1, 0x100, v1
	s_waitcnt lgkmcnt(0)
	v_add_f32_e32 v2, v2, v3
	ds_bpermute_b32 v1, v1, v2
	s_and_saveexec_b64 s[2:3], s[4:5]
	s_cbranch_execz .LBB182_156
; %bb.154:
	s_waitcnt lgkmcnt(0)
	v_add_f32_e32 v2, 0x358637bd, v1
	v_div_scale_f32 v1, s[4:5], v2, v2, 1.0
	v_div_scale_f32 v3, vcc, 1.0, v2, 1.0
	s_mov_b64 s[4:5], 0
	v_rcp_f32_e32 v4, v1
	v_fma_f32 v5, -v1, v4, 1.0
	v_fmac_f32_e32 v4, v5, v4
	v_mul_f32_e32 v5, v3, v4
	v_fma_f32 v6, -v1, v5, v3
	v_fmac_f32_e32 v5, v6, v4
	v_fma_f32 v1, -v1, v5, v3
	v_div_fmas_f32 v3, v1, v4, v5
	v_mov_b32_e32 v1, 0x150
	v_lshl_add_u32 v1, v0, 2, v1
	v_div_fixup_f32 v2, v3, v2, 1.0
	v_mov_b32_e32 v3, v0
.LBB182_155:                            ; =>This Inner Loop Header: Depth=1
	ds_read_b32 v4, v1
	v_add_u32_e32 v3, 0x80, v3
	v_cmp_le_i32_e32 vcc, s37, v3
	s_or_b64 s[4:5], vcc, s[4:5]
	s_waitcnt lgkmcnt(0)
	v_mul_f32_e32 v4, v2, v4
	ds_write_b32 v1, v4
	v_add_u32_e32 v1, 0x200, v1
	s_andn2_b64 exec, exec, s[4:5]
	s_cbranch_execnz .LBB182_155
.LBB182_156:
	s_or_b64 exec, exec, s[2:3]
	v_mov_b32_e32 v39, 0
	v_mov_b32_e32 v38, 0
	;; [unrolled: 1-line block ×5, first 2 shown]
	s_waitcnt lgkmcnt(0)
	s_barrier
	s_and_saveexec_b64 s[2:3], s[0:1]
	s_cbranch_execz .LBB182_292
; %bb.157:
	s_sub_i32 s21, s16, s21
	s_ashr_i32 s0, s47, 31
	s_add_u32 s4, s34, s47
	s_addc_u32 s5, s35, s0
	s_abs_i32 s22, s22
	v_cvt_f32_u32_e32 v1, s22
	s_sub_i32 s0, 0, s22
	v_and_b32_e32 v2, 0xfc, v15
	s_add_i32 s35, s20, -1
	v_rcp_iflag_f32_e32 v1, v1
	v_mov_b32_e32 v6, s5
	v_add_co_u32_e32 v7, vcc, s4, v2
	v_mul_f32_e32 v1, 0x4f7ffffe, v1
	v_cvt_u32_f32_e32 v1, v1
	v_and_b32_e32 v3, 60, v16
	v_addc_co_u32_e32 v8, vcc, 0, v6, vcc
	v_mul_lo_u32 v4, s0, v1
	s_lshl_b64 s[0:1], s[30:31], 2
	s_add_u32 s0, s28, s0
	s_addc_u32 s1, s29, s1
	v_mul_hi_u32 v4, v1, v4
	v_add_co_u32_e32 v9, vcc, s0, v3
	v_mov_b32_e32 v5, 0
	v_add_u32_e32 v33, v1, v4
	v_mov_b32_e32 v1, s1
	v_addc_co_u32_e32 v10, vcc, 0, v1, vcc
	v_lshlrev_b32_e32 v1, 4, v14
	v_lshl_or_b32 v1, v31, 6, v1
	v_and_b32_e32 v36, 12, v15
	s_mov_b32 s34, s17
	v_mov_b32_e32 v61, v14
	v_add_u32_e32 v34, 0x150, v1
	s_mov_b64 s[4:5], 0
	s_movk_i32 s28, 0x80
	s_movk_i32 s29, 0x7f
	s_brev_b32 s30, 1
	s_mov_b32 s31, 0xffffff
	v_bfrev_b32_e32 v40, 60
	v_bfrev_b32_e32 v6, 1
	v_mov_b32_e32 v12, 0x7f800001
	v_mov_b32_e32 v41, 7
	;; [unrolled: 1-line block ×8, first 2 shown]
	s_branch .LBB182_160
.LBB182_158:                            ;   in Loop: Header=BB182_160 Depth=1
	s_or_b64 exec, exec, s[0:1]
	v_mul_f32_e32 v16, v1, v60
	v_fmac_f32_e32 v16, v2, v59
	v_fmac_f32_e32 v16, v3, v23
	v_fmac_f32_e32 v16, v4, v22
	v_add_f32_e32 v35, v35, v16
	v_mul_f32_e32 v16, v1, v58
	v_fmac_f32_e32 v16, v2, v55
	v_fmac_f32_e32 v16, v3, v57
	v_fmac_f32_e32 v16, v4, v56
	v_add_f32_e32 v37, v37, v16
	;; [unrolled: 5-line block ×3, first 2 shown]
	v_mul_f32_e32 v16, v1, v46
	v_mul_f32_e32 v1, v1, v15
	v_fmac_f32_e32 v16, v2, v43
	v_fmac_f32_e32 v1, v2, v11
	;; [unrolled: 1-line block ×6, first 2 shown]
	v_add_f32_e32 v39, v39, v16
	v_add_f32_e32 v27, v27, v1
.LBB182_159:                            ;   in Loop: Header=BB182_160 Depth=1
	s_or_b64 exec, exec, s[6:7]
	v_add_co_u32_e32 v9, vcc, 8, v9
	v_add_u32_e32 v31, 2, v31
	v_addc_co_u32_e32 v10, vcc, 0, v10, vcc
	v_cmp_le_i32_e32 vcc, s20, v31
	v_add_u32_e32 v32, 32, v32
	s_or_b64 s[4:5], vcc, s[4:5]
	v_add_u32_e32 v34, 0x80, v34
	s_andn2_b64 exec, exec, s[4:5]
	s_cbranch_execz .LBB182_291
.LBB182_160:                            ; =>This Inner Loop Header: Depth=1
	v_mul_hi_u32 v1, v32, s46
	v_mul_lo_u32 v2, v1, s25
	v_add_u32_e32 v3, 1, v1
	v_sub_u32_e32 v2, v32, v2
	v_cmp_le_u32_e32 vcc, s25, v2
	v_cndmask_b32_e32 v1, v1, v3, vcc
	v_subrev_u32_e32 v3, s25, v2
	v_cndmask_b32_e32 v2, v2, v3, vcc
	v_add_u32_e32 v3, 1, v1
	v_cmp_le_u32_e32 vcc, s25, v2
	v_cndmask_b32_e32 v1, v1, v3, vcc
	v_xor_b32_e32 v1, s23, v1
	v_subrev_u32_e32 v1, s23, v1
	v_add_u32_e32 v2, s36, v1
	v_sub_u32_e32 v3, 0, v2
	v_max_i32_e32 v3, v2, v3
	v_mul_hi_u32 v4, v3, v33
	v_ashrrev_i32_e32 v2, 31, v2
	v_cmp_lt_i32_e64 s[0:1], s21, v1
	v_mul_lo_u32 v4, v4, s22
	v_sub_u32_e32 v3, v3, v4
	v_subrev_u32_e32 v4, s22, v3
	v_cmp_le_u32_e32 vcc, s22, v3
	v_cndmask_b32_e32 v3, v3, v4, vcc
	v_subrev_u32_e32 v4, s22, v3
	v_cmp_le_u32_e32 vcc, s22, v3
	v_cndmask_b32_e32 v3, v3, v4, vcc
	v_xor_b32_e32 v3, v3, v2
	v_sub_u32_e32 v2, v3, v2
	v_cmp_eq_u32_e32 vcc, 0, v2
	s_or_b64 s[0:1], vcc, s[0:1]
	s_and_saveexec_b64 s[6:7], s[0:1]
	s_cbranch_execz .LBB182_159
; %bb.161:                              ;   in Loop: Header=BB182_160 Depth=1
	global_load_dword v1, v[9:10], off
	s_load_dword s37, s[14:15], 0x0
	v_mov_b32_e32 v18, 0
	v_mov_b32_e32 v16, 0
	;; [unrolled: 1-line block ×4, first 2 shown]
	s_waitcnt vmcnt(0)
	v_mad_i64_i32 v[13:14], s[0:1], v1, s34, v[7:8]
	ds_read_b128 v[1:4], v34
	global_load_dword v15, v[13:14], off
	s_waitcnt vmcnt(0)
	v_cmp_ne_u16_sdwa s[12:13], v15, v5 src0_sel:BYTE_0 src1_sel:DWORD
	s_and_saveexec_b64 s[0:1], s[12:13]
	s_cbranch_execz .LBB182_167
; %bb.162:                              ;   in Loop: Header=BB182_160 Depth=1
	v_bfrev_b32_e32 v16, 1
	v_mov_b32_e32 v17, 0
	v_cmp_ne_u16_sdwa s[16:17], v15, s28 src0_sel:BYTE_0 src1_sel:DWORD
	s_and_saveexec_b64 s[12:13], s[16:17]
	s_cbranch_execz .LBB182_166
; %bb.163:                              ;   in Loop: Header=BB182_160 Depth=1
	v_and_b32_e32 v11, 0x7f, v15
	v_mov_b32_e32 v16, 0x7f800001
	v_mov_b32_e32 v17, 0
	v_cmp_ne_u32_e32 vcc, s29, v11
	s_and_saveexec_b64 s[16:17], vcc
	s_cbranch_execz .LBB182_165
; %bb.164:                              ;   in Loop: Header=BB182_160 Depth=1
	v_and_b32_e32 v20, 7, v15
	v_ffbh_u32_e32 v16, v20
	v_min_u32_e32 v22, 32, v16
	v_subrev_u32_e32 v16, 28, v22
	v_lshlrev_b64 v[16:17], v16, v[15:16]
	v_lshrrev_b32_e32 v21, 3, v11
	v_sub_u32_e32 v17, 29, v22
	v_and_b32_e32 v16, 7, v16
	v_cmp_gt_u32_e32 vcc, 8, v11
	v_cndmask_b32_e32 v11, v21, v17, vcc
	v_cndmask_b32_e32 v16, v20, v16, vcc
	v_lshlrev_b32_e32 v16, 20, v16
	v_and_b32_sdwa v17, sext(v15), s30 dst_sel:DWORD dst_unused:UNUSED_PAD src0_sel:BYTE_0 src1_sel:DWORD
	v_lshl_add_u32 v11, v11, 23, v40
	v_or3_b32 v16, v17, v11, v16
	v_mov_b32_e32 v17, v5
.LBB182_165:                            ;   in Loop: Header=BB182_160 Depth=1
	s_or_b64 exec, exec, s[16:17]
.LBB182_166:                            ;   in Loop: Header=BB182_160 Depth=1
	s_or_b64 exec, exec, s[12:13]
.LBB182_167:                            ;   in Loop: Header=BB182_160 Depth=1
	s_or_b64 exec, exec, s[0:1]
	v_cmp_ne_u16_sdwa s[12:13], v15, v5 src0_sel:BYTE_1 src1_sel:DWORD
	s_and_saveexec_b64 s[0:1], s[12:13]
	s_cbranch_execz .LBB182_173
; %bb.168:                              ;   in Loop: Header=BB182_160 Depth=1
	v_mov_b32_e32 v19, v6
	v_cmp_ne_u16_sdwa s[16:17], v15, s28 src0_sel:BYTE_1 src1_sel:DWORD
	v_mov_b32_e32 v18, v5
	s_and_saveexec_b64 s[12:13], s[16:17]
	s_cbranch_execz .LBB182_172
; %bb.169:                              ;   in Loop: Header=BB182_160 Depth=1
	v_and_b32_sdwa v20, v15, s29 dst_sel:DWORD dst_unused:UNUSED_PAD src0_sel:BYTE_1 src1_sel:DWORD
	v_mov_b32_e32 v11, v5
	v_mov_b32_e32 v19, v12
	v_cmp_ne_u32_e32 vcc, s29, v20
	v_mov_b32_e32 v18, v11
	s_and_saveexec_b64 s[16:17], vcc
	s_cbranch_execz .LBB182_171
; %bb.170:                              ;   in Loop: Header=BB182_160 Depth=1
	v_and_b32_sdwa v18, v15, v41 dst_sel:DWORD dst_unused:UNUSED_PAD src0_sel:BYTE_1 src1_sel:DWORD
	v_ffbh_u32_e32 v21, v18
	v_min_u32_e32 v23, 32, v21
	v_mov_b32_e32 v19, v5
	v_subrev_u32_e32 v21, 28, v23
	v_lshlrev_b64 v[21:22], v21, v[18:19]
	v_lshrrev_b32_e32 v11, 3, v20
	v_sub_u32_e32 v19, 29, v23
	v_cmp_gt_u32_e32 vcc, 8, v20
	v_and_b32_e32 v21, 7, v21
	v_cndmask_b32_e32 v11, v11, v19, vcc
	v_cndmask_b32_e32 v18, v18, v21, vcc
	v_lshlrev_b32_e32 v19, 16, v15
	v_lshl_add_u32 v11, v11, 23, v40
	v_and_or_b32 v11, v19, s30, v11
	v_lshlrev_b32_e32 v18, 20, v18
	v_or_b32_e32 v19, v11, v18
	v_mov_b32_e32 v18, v5
.LBB182_171:                            ;   in Loop: Header=BB182_160 Depth=1
	s_or_b64 exec, exec, s[16:17]
.LBB182_172:                            ;   in Loop: Header=BB182_160 Depth=1
	s_or_b64 exec, exec, s[12:13]
.LBB182_173:                            ;   in Loop: Header=BB182_160 Depth=1
	s_or_b64 exec, exec, s[0:1]
	v_lshrrev_b32_e32 v11, 16, v15
	v_mov_b32_e32 v22, 0
	v_mov_b32_e32 v20, 0
	;; [unrolled: 1-line block ×4, first 2 shown]
	v_cmp_ne_u16_sdwa s[12:13], v11, v5 src0_sel:BYTE_0 src1_sel:DWORD
	s_and_saveexec_b64 s[0:1], s[12:13]
	s_cbranch_execz .LBB182_179
; %bb.174:                              ;   in Loop: Header=BB182_160 Depth=1
	v_bfrev_b32_e32 v20, 1
	v_mov_b32_e32 v21, 0
	v_cmp_ne_u16_sdwa s[16:17], v11, s28 src0_sel:BYTE_0 src1_sel:DWORD
	s_and_saveexec_b64 s[12:13], s[16:17]
	s_cbranch_execz .LBB182_178
; %bb.175:                              ;   in Loop: Header=BB182_160 Depth=1
	v_bfe_u32 v29, v15, 16, 7
	v_mov_b32_e32 v20, 0x7f800001
	v_mov_b32_e32 v21, 0
	v_cmp_ne_u32_e32 vcc, s29, v29
	s_and_saveexec_b64 s[16:17], vcc
	s_cbranch_execz .LBB182_177
; %bb.176:                              ;   in Loop: Header=BB182_160 Depth=1
	v_and_b32_e32 v28, 7, v11
	v_ffbh_u32_e32 v20, v28
	v_min_u32_e32 v43, 32, v20
	v_subrev_u32_e32 v20, 28, v43
	v_lshlrev_b64 v[20:21], v20, v[11:12]
	v_lshrrev_b32_e32 v30, 3, v29
	v_sub_u32_e32 v21, 29, v43
	v_and_b32_e32 v20, 7, v20
	v_cmp_gt_u32_e32 vcc, 8, v29
	v_cndmask_b32_e32 v21, v30, v21, vcc
	v_cndmask_b32_e32 v20, v28, v20, vcc
	v_lshlrev_b32_e32 v20, 20, v20
	v_and_b32_sdwa v11, sext(v11), s30 dst_sel:DWORD dst_unused:UNUSED_PAD src0_sel:BYTE_0 src1_sel:DWORD
	v_lshl_add_u32 v21, v21, 23, v40
	v_or3_b32 v20, v11, v21, v20
	v_mov_b32_e32 v21, v5
.LBB182_177:                            ;   in Loop: Header=BB182_160 Depth=1
	s_or_b64 exec, exec, s[16:17]
.LBB182_178:                            ;   in Loop: Header=BB182_160 Depth=1
	s_or_b64 exec, exec, s[12:13]
.LBB182_179:                            ;   in Loop: Header=BB182_160 Depth=1
	s_or_b64 exec, exec, s[0:1]
	v_cmp_lt_u32_e32 vcc, s31, v15
	s_and_saveexec_b64 s[0:1], vcc
	s_cbranch_execz .LBB182_185
; %bb.180:                              ;   in Loop: Header=BB182_160 Depth=1
	v_mov_b32_e32 v23, v6
	v_cmp_ne_u32_sdwa s[16:17], v15, s28 src0_sel:BYTE_3 src1_sel:DWORD
	v_mov_b32_e32 v22, v5
	s_and_saveexec_b64 s[12:13], s[16:17]
	s_cbranch_execz .LBB182_184
; %bb.181:                              ;   in Loop: Header=BB182_160 Depth=1
	v_bfe_u32 v29, v15, 24, 7
	v_mov_b32_e32 v11, v5
	v_mov_b32_e32 v23, v12
	v_cmp_ne_u32_e32 vcc, s29, v29
	v_mov_b32_e32 v22, v11
	s_and_saveexec_b64 s[16:17], vcc
	s_cbranch_execz .LBB182_183
; %bb.182:                              ;   in Loop: Header=BB182_160 Depth=1
	v_and_b32_sdwa v22, v15, v41 dst_sel:DWORD dst_unused:UNUSED_PAD src0_sel:BYTE_3 src1_sel:DWORD
	v_ffbh_u32_e32 v28, v22
	v_min_u32_e32 v28, 32, v28
	v_mov_b32_e32 v23, v5
	v_subrev_u32_e32 v30, 28, v28
	v_lshlrev_b64 v[43:44], v30, v[22:23]
	v_lshrrev_b32_e32 v11, 3, v29
	v_sub_u32_e32 v23, 29, v28
	v_cmp_gt_u32_e32 vcc, 8, v29
	v_and_b32_e32 v28, 7, v43
	v_cndmask_b32_e32 v11, v11, v23, vcc
	v_cndmask_b32_e32 v22, v22, v28, vcc
	v_lshlrev_b32_sdwa v15, v42, v15 dst_sel:DWORD dst_unused:UNUSED_PAD src0_sel:DWORD src1_sel:BYTE_3
	v_lshl_add_u32 v11, v11, 23, v40
	v_and_or_b32 v11, v15, s30, v11
	v_lshlrev_b32_e32 v15, 20, v22
	v_or_b32_e32 v23, v11, v15
	v_mov_b32_e32 v22, v5
.LBB182_183:                            ;   in Loop: Header=BB182_160 Depth=1
	s_or_b64 exec, exec, s[16:17]
.LBB182_184:                            ;   in Loop: Header=BB182_160 Depth=1
	s_or_b64 exec, exec, s[12:13]
.LBB182_185:                            ;   in Loop: Header=BB182_160 Depth=1
	s_or_b64 exec, exec, s[0:1]
	v_or_b32_e32 v11, v19, v17
	v_or_b32_e32 v15, v18, v16
	v_add_u32_e32 v47, v36, v32
	s_waitcnt lgkmcnt(0)
	v_mul_f32_e32 v43, s37, v11
	v_mul_f32_e32 v46, s37, v15
	v_or_b32_e32 v11, v23, v21
	v_or_b32_e32 v15, v22, v20
	v_cmp_eq_u32_e32 vcc, s35, v31
	v_mul_f32_e32 v45, s37, v15
	v_mul_f32_e32 v44, s37, v11
	v_add_u32_e32 v50, 1, v47
	v_add_u32_e32 v49, 2, v47
	;; [unrolled: 1-line block ×3, first 2 shown]
	s_and_saveexec_b64 s[12:13], vcc
; %bb.186:                              ;   in Loop: Header=BB182_160 Depth=1
	v_cmp_gt_i32_e64 s[0:1], s33, v47
	v_cndmask_b32_e64 v46, 0, v46, s[0:1]
	v_cmp_gt_i32_e64 s[0:1], s33, v50
	v_cndmask_b32_e64 v43, 0, v43, s[0:1]
	;; [unrolled: 2-line block ×4, first 2 shown]
; %bb.187:                              ;   in Loop: Header=BB182_160 Depth=1
	s_or_b64 exec, exec, s[12:13]
	global_load_dword v15, v[13:14], off offset:256
	v_mov_b32_e32 v18, 0
	v_mov_b32_e32 v16, 0
	;; [unrolled: 1-line block ×4, first 2 shown]
	s_waitcnt vmcnt(0)
	v_cmp_ne_u16_sdwa s[0:1], v15, v5 src0_sel:BYTE_0 src1_sel:DWORD
	s_and_saveexec_b64 s[12:13], s[0:1]
	s_cbranch_execz .LBB182_193
; %bb.188:                              ;   in Loop: Header=BB182_160 Depth=1
	v_bfrev_b32_e32 v16, 1
	v_mov_b32_e32 v17, 0
	v_cmp_ne_u16_sdwa s[0:1], v15, s28 src0_sel:BYTE_0 src1_sel:DWORD
	s_and_saveexec_b64 s[16:17], s[0:1]
	s_cbranch_execz .LBB182_192
; %bb.189:                              ;   in Loop: Header=BB182_160 Depth=1
	v_and_b32_e32 v11, 0x7f, v15
	v_mov_b32_e32 v16, 0x7f800001
	v_mov_b32_e32 v17, 0
	v_cmp_ne_u32_e64 s[0:1], s29, v11
	s_and_saveexec_b64 s[18:19], s[0:1]
	s_cbranch_execz .LBB182_191
; %bb.190:                              ;   in Loop: Header=BB182_160 Depth=1
	v_and_b32_e32 v20, 7, v15
	v_ffbh_u32_e32 v16, v20
	v_min_u32_e32 v22, 32, v16
	v_subrev_u32_e32 v16, 28, v22
	v_lshlrev_b64 v[16:17], v16, v[15:16]
	v_lshrrev_b32_e32 v21, 3, v11
	v_sub_u32_e32 v17, 29, v22
	v_and_b32_e32 v16, 7, v16
	v_cmp_gt_u32_e64 s[0:1], 8, v11
	v_cndmask_b32_e64 v11, v21, v17, s[0:1]
	v_cndmask_b32_e64 v16, v20, v16, s[0:1]
	v_lshlrev_b32_e32 v16, 20, v16
	v_and_b32_sdwa v17, sext(v15), s30 dst_sel:DWORD dst_unused:UNUSED_PAD src0_sel:BYTE_0 src1_sel:DWORD
	v_lshl_add_u32 v11, v11, 23, v40
	v_or3_b32 v16, v17, v11, v16
	v_mov_b32_e32 v17, v5
.LBB182_191:                            ;   in Loop: Header=BB182_160 Depth=1
	s_or_b64 exec, exec, s[18:19]
.LBB182_192:                            ;   in Loop: Header=BB182_160 Depth=1
	s_or_b64 exec, exec, s[16:17]
.LBB182_193:                            ;   in Loop: Header=BB182_160 Depth=1
	s_or_b64 exec, exec, s[12:13]
	v_cmp_ne_u16_sdwa s[0:1], v15, v5 src0_sel:BYTE_1 src1_sel:DWORD
	s_and_saveexec_b64 s[12:13], s[0:1]
	s_cbranch_execz .LBB182_199
; %bb.194:                              ;   in Loop: Header=BB182_160 Depth=1
	v_mov_b32_e32 v19, v6
	v_cmp_ne_u16_sdwa s[0:1], v15, s28 src0_sel:BYTE_1 src1_sel:DWORD
	v_mov_b32_e32 v18, v5
	s_and_saveexec_b64 s[16:17], s[0:1]
	s_cbranch_execz .LBB182_198
; %bb.195:                              ;   in Loop: Header=BB182_160 Depth=1
	v_and_b32_sdwa v20, v15, s29 dst_sel:DWORD dst_unused:UNUSED_PAD src0_sel:BYTE_1 src1_sel:DWORD
	v_mov_b32_e32 v11, v5
	v_mov_b32_e32 v19, v12
	v_cmp_ne_u32_e64 s[0:1], s29, v20
	v_mov_b32_e32 v18, v11
	s_and_saveexec_b64 s[18:19], s[0:1]
	s_cbranch_execz .LBB182_197
; %bb.196:                              ;   in Loop: Header=BB182_160 Depth=1
	v_and_b32_sdwa v18, v15, v41 dst_sel:DWORD dst_unused:UNUSED_PAD src0_sel:BYTE_1 src1_sel:DWORD
	v_ffbh_u32_e32 v21, v18
	v_min_u32_e32 v23, 32, v21
	v_mov_b32_e32 v19, v5
	v_subrev_u32_e32 v21, 28, v23
	v_lshlrev_b64 v[21:22], v21, v[18:19]
	v_lshrrev_b32_e32 v11, 3, v20
	v_sub_u32_e32 v19, 29, v23
	v_cmp_gt_u32_e64 s[0:1], 8, v20
	v_and_b32_e32 v21, 7, v21
	v_cndmask_b32_e64 v11, v11, v19, s[0:1]
	v_cndmask_b32_e64 v18, v18, v21, s[0:1]
	v_lshlrev_b32_e32 v19, 16, v15
	v_lshl_add_u32 v11, v11, 23, v40
	v_and_or_b32 v11, v19, s30, v11
	v_lshlrev_b32_e32 v18, 20, v18
	v_or_b32_e32 v19, v11, v18
	v_mov_b32_e32 v18, v5
.LBB182_197:                            ;   in Loop: Header=BB182_160 Depth=1
	s_or_b64 exec, exec, s[18:19]
.LBB182_198:                            ;   in Loop: Header=BB182_160 Depth=1
	s_or_b64 exec, exec, s[16:17]
.LBB182_199:                            ;   in Loop: Header=BB182_160 Depth=1
	s_or_b64 exec, exec, s[12:13]
	v_lshrrev_b32_e32 v11, 16, v15
	v_mov_b32_e32 v22, 0
	v_mov_b32_e32 v20, 0
	;; [unrolled: 1-line block ×4, first 2 shown]
	v_cmp_ne_u16_sdwa s[0:1], v11, v5 src0_sel:BYTE_0 src1_sel:DWORD
	s_and_saveexec_b64 s[12:13], s[0:1]
	s_cbranch_execz .LBB182_205
; %bb.200:                              ;   in Loop: Header=BB182_160 Depth=1
	v_bfrev_b32_e32 v20, 1
	v_mov_b32_e32 v21, 0
	v_cmp_ne_u16_sdwa s[0:1], v11, s28 src0_sel:BYTE_0 src1_sel:DWORD
	s_and_saveexec_b64 s[16:17], s[0:1]
	s_cbranch_execz .LBB182_204
; %bb.201:                              ;   in Loop: Header=BB182_160 Depth=1
	v_bfe_u32 v29, v15, 16, 7
	v_mov_b32_e32 v20, 0x7f800001
	v_mov_b32_e32 v21, 0
	v_cmp_ne_u32_e64 s[0:1], s29, v29
	s_and_saveexec_b64 s[18:19], s[0:1]
	s_cbranch_execz .LBB182_203
; %bb.202:                              ;   in Loop: Header=BB182_160 Depth=1
	v_and_b32_e32 v28, 7, v11
	v_ffbh_u32_e32 v20, v28
	v_min_u32_e32 v51, 32, v20
	v_subrev_u32_e32 v20, 28, v51
	v_lshlrev_b64 v[20:21], v20, v[11:12]
	v_lshrrev_b32_e32 v30, 3, v29
	v_sub_u32_e32 v21, 29, v51
	v_and_b32_e32 v20, 7, v20
	v_cmp_gt_u32_e64 s[0:1], 8, v29
	v_cndmask_b32_e64 v21, v30, v21, s[0:1]
	v_cndmask_b32_e64 v20, v28, v20, s[0:1]
	v_lshlrev_b32_e32 v20, 20, v20
	v_and_b32_sdwa v11, sext(v11), s30 dst_sel:DWORD dst_unused:UNUSED_PAD src0_sel:BYTE_0 src1_sel:DWORD
	v_lshl_add_u32 v21, v21, 23, v40
	v_or3_b32 v20, v11, v21, v20
	v_mov_b32_e32 v21, v5
.LBB182_203:                            ;   in Loop: Header=BB182_160 Depth=1
	s_or_b64 exec, exec, s[18:19]
.LBB182_204:                            ;   in Loop: Header=BB182_160 Depth=1
	s_or_b64 exec, exec, s[16:17]
.LBB182_205:                            ;   in Loop: Header=BB182_160 Depth=1
	s_or_b64 exec, exec, s[12:13]
	v_cmp_lt_u32_e64 s[0:1], s31, v15
	s_and_saveexec_b64 s[12:13], s[0:1]
	s_cbranch_execz .LBB182_211
; %bb.206:                              ;   in Loop: Header=BB182_160 Depth=1
	v_mov_b32_e32 v23, v6
	v_cmp_ne_u32_sdwa s[0:1], v15, s28 src0_sel:BYTE_3 src1_sel:DWORD
	v_mov_b32_e32 v22, v5
	s_and_saveexec_b64 s[16:17], s[0:1]
	s_cbranch_execz .LBB182_210
; %bb.207:                              ;   in Loop: Header=BB182_160 Depth=1
	v_bfe_u32 v29, v15, 24, 7
	v_mov_b32_e32 v11, v5
	v_mov_b32_e32 v23, v12
	v_cmp_ne_u32_e64 s[0:1], s29, v29
	v_mov_b32_e32 v22, v11
	s_and_saveexec_b64 s[18:19], s[0:1]
	s_cbranch_execz .LBB182_209
; %bb.208:                              ;   in Loop: Header=BB182_160 Depth=1
	v_and_b32_sdwa v22, v15, v41 dst_sel:DWORD dst_unused:UNUSED_PAD src0_sel:BYTE_3 src1_sel:DWORD
	v_ffbh_u32_e32 v28, v22
	v_min_u32_e32 v28, 32, v28
	v_mov_b32_e32 v23, v5
	v_subrev_u32_e32 v30, 28, v28
	v_lshlrev_b64 v[51:52], v30, v[22:23]
	v_lshrrev_b32_e32 v11, 3, v29
	v_sub_u32_e32 v23, 29, v28
	v_cmp_gt_u32_e64 s[0:1], 8, v29
	v_and_b32_e32 v28, 7, v51
	v_cndmask_b32_e64 v11, v11, v23, s[0:1]
	v_cndmask_b32_e64 v22, v22, v28, s[0:1]
	v_lshlrev_b32_sdwa v15, v42, v15 dst_sel:DWORD dst_unused:UNUSED_PAD src0_sel:DWORD src1_sel:BYTE_3
	v_lshl_add_u32 v11, v11, 23, v40
	v_and_or_b32 v11, v15, s30, v11
	v_lshlrev_b32_e32 v15, 20, v22
	v_or_b32_e32 v23, v11, v15
	v_mov_b32_e32 v22, v5
.LBB182_209:                            ;   in Loop: Header=BB182_160 Depth=1
	s_or_b64 exec, exec, s[18:19]
.LBB182_210:                            ;   in Loop: Header=BB182_160 Depth=1
	s_or_b64 exec, exec, s[16:17]
.LBB182_211:                            ;   in Loop: Header=BB182_160 Depth=1
	s_or_b64 exec, exec, s[12:13]
	s_mov_b32 s38, s37
	v_or_b32_e32 v11, v19, v17
	v_or_b32_e32 v15, v18, v16
	v_mul_f32_e32 v51, s38, v11
	v_mul_f32_e32 v54, s37, v15
	v_or_b32_e32 v11, v23, v21
	v_or_b32_e32 v15, v22, v20
	v_mul_f32_e32 v53, s37, v15
	v_mul_f32_e32 v52, s38, v11
	s_and_saveexec_b64 s[12:13], vcc
; %bb.212:                              ;   in Loop: Header=BB182_160 Depth=1
	v_cmp_gt_i32_e64 s[0:1], s33, v47
	v_cndmask_b32_e64 v54, 0, v54, s[0:1]
	v_cmp_gt_i32_e64 s[0:1], s33, v50
	v_cndmask_b32_e64 v51, 0, v51, s[0:1]
	;; [unrolled: 2-line block ×4, first 2 shown]
; %bb.213:                              ;   in Loop: Header=BB182_160 Depth=1
	s_or_b64 exec, exec, s[12:13]
	global_load_dword v15, v[13:14], off offset:512
	v_mov_b32_e32 v18, 0
	v_mov_b32_e32 v16, 0
	;; [unrolled: 1-line block ×4, first 2 shown]
	s_waitcnt vmcnt(0)
	v_cmp_ne_u16_sdwa s[0:1], v15, v5 src0_sel:BYTE_0 src1_sel:DWORD
	s_and_saveexec_b64 s[12:13], s[0:1]
	s_cbranch_execz .LBB182_219
; %bb.214:                              ;   in Loop: Header=BB182_160 Depth=1
	v_bfrev_b32_e32 v16, 1
	v_mov_b32_e32 v17, 0
	v_cmp_ne_u16_sdwa s[0:1], v15, s28 src0_sel:BYTE_0 src1_sel:DWORD
	s_and_saveexec_b64 s[16:17], s[0:1]
	s_cbranch_execz .LBB182_218
; %bb.215:                              ;   in Loop: Header=BB182_160 Depth=1
	v_and_b32_e32 v11, 0x7f, v15
	v_mov_b32_e32 v16, 0x7f800001
	v_mov_b32_e32 v17, 0
	v_cmp_ne_u32_e64 s[0:1], s29, v11
	s_and_saveexec_b64 s[18:19], s[0:1]
	s_cbranch_execz .LBB182_217
; %bb.216:                              ;   in Loop: Header=BB182_160 Depth=1
	v_and_b32_e32 v20, 7, v15
	v_ffbh_u32_e32 v16, v20
	v_min_u32_e32 v22, 32, v16
	v_subrev_u32_e32 v16, 28, v22
	v_lshlrev_b64 v[16:17], v16, v[15:16]
	v_lshrrev_b32_e32 v21, 3, v11
	v_sub_u32_e32 v17, 29, v22
	v_and_b32_e32 v16, 7, v16
	v_cmp_gt_u32_e64 s[0:1], 8, v11
	v_cndmask_b32_e64 v11, v21, v17, s[0:1]
	v_cndmask_b32_e64 v16, v20, v16, s[0:1]
	v_lshlrev_b32_e32 v16, 20, v16
	v_and_b32_sdwa v17, sext(v15), s30 dst_sel:DWORD dst_unused:UNUSED_PAD src0_sel:BYTE_0 src1_sel:DWORD
	v_lshl_add_u32 v11, v11, 23, v40
	v_or3_b32 v16, v17, v11, v16
	v_mov_b32_e32 v17, v5
.LBB182_217:                            ;   in Loop: Header=BB182_160 Depth=1
	s_or_b64 exec, exec, s[18:19]
.LBB182_218:                            ;   in Loop: Header=BB182_160 Depth=1
	s_or_b64 exec, exec, s[16:17]
.LBB182_219:                            ;   in Loop: Header=BB182_160 Depth=1
	s_or_b64 exec, exec, s[12:13]
	v_cmp_ne_u16_sdwa s[0:1], v15, v5 src0_sel:BYTE_1 src1_sel:DWORD
	s_and_saveexec_b64 s[12:13], s[0:1]
	s_cbranch_execz .LBB182_225
; %bb.220:                              ;   in Loop: Header=BB182_160 Depth=1
	v_mov_b32_e32 v19, v6
	v_cmp_ne_u16_sdwa s[0:1], v15, s28 src0_sel:BYTE_1 src1_sel:DWORD
	v_mov_b32_e32 v18, v5
	s_and_saveexec_b64 s[16:17], s[0:1]
	s_cbranch_execz .LBB182_224
; %bb.221:                              ;   in Loop: Header=BB182_160 Depth=1
	v_and_b32_sdwa v20, v15, s29 dst_sel:DWORD dst_unused:UNUSED_PAD src0_sel:BYTE_1 src1_sel:DWORD
	v_mov_b32_e32 v11, v5
	v_mov_b32_e32 v19, v12
	v_cmp_ne_u32_e64 s[0:1], s29, v20
	v_mov_b32_e32 v18, v11
	s_and_saveexec_b64 s[18:19], s[0:1]
	s_cbranch_execz .LBB182_223
; %bb.222:                              ;   in Loop: Header=BB182_160 Depth=1
	v_and_b32_sdwa v18, v15, v41 dst_sel:DWORD dst_unused:UNUSED_PAD src0_sel:BYTE_1 src1_sel:DWORD
	v_ffbh_u32_e32 v21, v18
	v_min_u32_e32 v23, 32, v21
	v_mov_b32_e32 v19, v5
	v_subrev_u32_e32 v21, 28, v23
	v_lshlrev_b64 v[21:22], v21, v[18:19]
	v_lshrrev_b32_e32 v11, 3, v20
	v_sub_u32_e32 v19, 29, v23
	v_cmp_gt_u32_e64 s[0:1], 8, v20
	v_and_b32_e32 v21, 7, v21
	v_cndmask_b32_e64 v11, v11, v19, s[0:1]
	v_cndmask_b32_e64 v18, v18, v21, s[0:1]
	v_lshlrev_b32_e32 v19, 16, v15
	v_lshl_add_u32 v11, v11, 23, v40
	v_and_or_b32 v11, v19, s30, v11
	v_lshlrev_b32_e32 v18, 20, v18
	v_or_b32_e32 v19, v11, v18
	v_mov_b32_e32 v18, v5
.LBB182_223:                            ;   in Loop: Header=BB182_160 Depth=1
	s_or_b64 exec, exec, s[18:19]
.LBB182_224:                            ;   in Loop: Header=BB182_160 Depth=1
	s_or_b64 exec, exec, s[16:17]
.LBB182_225:                            ;   in Loop: Header=BB182_160 Depth=1
	s_or_b64 exec, exec, s[12:13]
	v_lshrrev_b32_e32 v11, 16, v15
	v_mov_b32_e32 v22, 0
	v_mov_b32_e32 v20, 0
	;; [unrolled: 1-line block ×4, first 2 shown]
	v_cmp_ne_u16_sdwa s[0:1], v11, v5 src0_sel:BYTE_0 src1_sel:DWORD
	s_and_saveexec_b64 s[12:13], s[0:1]
	s_cbranch_execz .LBB182_231
; %bb.226:                              ;   in Loop: Header=BB182_160 Depth=1
	v_bfrev_b32_e32 v20, 1
	v_mov_b32_e32 v21, 0
	v_cmp_ne_u16_sdwa s[0:1], v11, s28 src0_sel:BYTE_0 src1_sel:DWORD
	s_and_saveexec_b64 s[16:17], s[0:1]
	s_cbranch_execz .LBB182_230
; %bb.227:                              ;   in Loop: Header=BB182_160 Depth=1
	v_bfe_u32 v29, v15, 16, 7
	v_mov_b32_e32 v20, 0x7f800001
	v_mov_b32_e32 v21, 0
	v_cmp_ne_u32_e64 s[0:1], s29, v29
	s_and_saveexec_b64 s[18:19], s[0:1]
	s_cbranch_execz .LBB182_229
; %bb.228:                              ;   in Loop: Header=BB182_160 Depth=1
	v_and_b32_e32 v28, 7, v11
	v_ffbh_u32_e32 v20, v28
	v_min_u32_e32 v55, 32, v20
	v_subrev_u32_e32 v20, 28, v55
	v_lshlrev_b64 v[20:21], v20, v[11:12]
	v_lshrrev_b32_e32 v30, 3, v29
	v_sub_u32_e32 v21, 29, v55
	v_and_b32_e32 v20, 7, v20
	v_cmp_gt_u32_e64 s[0:1], 8, v29
	v_cndmask_b32_e64 v21, v30, v21, s[0:1]
	v_cndmask_b32_e64 v20, v28, v20, s[0:1]
	v_lshlrev_b32_e32 v20, 20, v20
	v_and_b32_sdwa v11, sext(v11), s30 dst_sel:DWORD dst_unused:UNUSED_PAD src0_sel:BYTE_0 src1_sel:DWORD
	v_lshl_add_u32 v21, v21, 23, v40
	v_or3_b32 v20, v11, v21, v20
	v_mov_b32_e32 v21, v5
.LBB182_229:                            ;   in Loop: Header=BB182_160 Depth=1
	s_or_b64 exec, exec, s[18:19]
.LBB182_230:                            ;   in Loop: Header=BB182_160 Depth=1
	s_or_b64 exec, exec, s[16:17]
.LBB182_231:                            ;   in Loop: Header=BB182_160 Depth=1
	s_or_b64 exec, exec, s[12:13]
	v_cmp_lt_u32_e64 s[0:1], s31, v15
	s_and_saveexec_b64 s[12:13], s[0:1]
	s_cbranch_execz .LBB182_237
; %bb.232:                              ;   in Loop: Header=BB182_160 Depth=1
	v_mov_b32_e32 v23, v6
	v_cmp_ne_u32_sdwa s[0:1], v15, s28 src0_sel:BYTE_3 src1_sel:DWORD
	v_mov_b32_e32 v22, v5
	s_and_saveexec_b64 s[16:17], s[0:1]
	s_cbranch_execz .LBB182_236
; %bb.233:                              ;   in Loop: Header=BB182_160 Depth=1
	v_bfe_u32 v29, v15, 24, 7
	v_mov_b32_e32 v11, v5
	v_mov_b32_e32 v23, v12
	v_cmp_ne_u32_e64 s[0:1], s29, v29
	v_mov_b32_e32 v22, v11
	s_and_saveexec_b64 s[18:19], s[0:1]
	s_cbranch_execz .LBB182_235
; %bb.234:                              ;   in Loop: Header=BB182_160 Depth=1
	v_and_b32_sdwa v22, v15, v41 dst_sel:DWORD dst_unused:UNUSED_PAD src0_sel:BYTE_3 src1_sel:DWORD
	v_ffbh_u32_e32 v28, v22
	v_min_u32_e32 v28, 32, v28
	v_mov_b32_e32 v23, v5
	v_subrev_u32_e32 v30, 28, v28
	v_lshlrev_b64 v[55:56], v30, v[22:23]
	v_lshrrev_b32_e32 v11, 3, v29
	v_sub_u32_e32 v23, 29, v28
	v_cmp_gt_u32_e64 s[0:1], 8, v29
	v_and_b32_e32 v28, 7, v55
	v_cndmask_b32_e64 v11, v11, v23, s[0:1]
	v_cndmask_b32_e64 v22, v22, v28, s[0:1]
	v_lshlrev_b32_sdwa v15, v42, v15 dst_sel:DWORD dst_unused:UNUSED_PAD src0_sel:DWORD src1_sel:BYTE_3
	v_lshl_add_u32 v11, v11, 23, v40
	v_and_or_b32 v11, v15, s30, v11
	v_lshlrev_b32_e32 v15, 20, v22
	v_or_b32_e32 v23, v11, v15
	v_mov_b32_e32 v22, v5
.LBB182_235:                            ;   in Loop: Header=BB182_160 Depth=1
	s_or_b64 exec, exec, s[18:19]
.LBB182_236:                            ;   in Loop: Header=BB182_160 Depth=1
	s_or_b64 exec, exec, s[16:17]
.LBB182_237:                            ;   in Loop: Header=BB182_160 Depth=1
	s_or_b64 exec, exec, s[12:13]
	v_or_b32_e32 v11, v19, v17
	v_or_b32_e32 v15, v18, v16
	v_mul_f32_e32 v55, s38, v11
	v_mul_f32_e32 v58, s37, v15
	v_or_b32_e32 v11, v23, v21
	v_or_b32_e32 v15, v22, v20
	v_mul_f32_e32 v57, s37, v15
	v_mul_f32_e32 v56, s38, v11
	s_and_saveexec_b64 s[12:13], vcc
; %bb.238:                              ;   in Loop: Header=BB182_160 Depth=1
	v_cmp_gt_i32_e64 s[0:1], s33, v47
	v_cndmask_b32_e64 v58, 0, v58, s[0:1]
	v_cmp_gt_i32_e64 s[0:1], s33, v50
	v_cndmask_b32_e64 v55, 0, v55, s[0:1]
	;; [unrolled: 2-line block ×4, first 2 shown]
; %bb.239:                              ;   in Loop: Header=BB182_160 Depth=1
	s_or_b64 exec, exec, s[12:13]
	global_load_dword v15, v[13:14], off offset:768
	v_mov_b32_e32 v18, 0
	v_mov_b32_e32 v16, 0
	;; [unrolled: 1-line block ×4, first 2 shown]
	s_waitcnt vmcnt(0)
	v_cmp_ne_u16_sdwa s[0:1], v15, v5 src0_sel:BYTE_0 src1_sel:DWORD
	s_and_saveexec_b64 s[12:13], s[0:1]
	s_cbranch_execz .LBB182_245
; %bb.240:                              ;   in Loop: Header=BB182_160 Depth=1
	v_bfrev_b32_e32 v16, 1
	v_mov_b32_e32 v17, 0
	v_cmp_ne_u16_sdwa s[0:1], v15, s28 src0_sel:BYTE_0 src1_sel:DWORD
	s_and_saveexec_b64 s[16:17], s[0:1]
	s_cbranch_execz .LBB182_244
; %bb.241:                              ;   in Loop: Header=BB182_160 Depth=1
	v_and_b32_e32 v11, 0x7f, v15
	v_mov_b32_e32 v16, 0x7f800001
	v_mov_b32_e32 v17, 0
	v_cmp_ne_u32_e64 s[0:1], s29, v11
	s_and_saveexec_b64 s[18:19], s[0:1]
	s_cbranch_execz .LBB182_243
; %bb.242:                              ;   in Loop: Header=BB182_160 Depth=1
	v_and_b32_e32 v20, 7, v15
	v_ffbh_u32_e32 v16, v20
	v_min_u32_e32 v22, 32, v16
	v_subrev_u32_e32 v16, 28, v22
	v_lshlrev_b64 v[16:17], v16, v[15:16]
	v_lshrrev_b32_e32 v21, 3, v11
	v_sub_u32_e32 v17, 29, v22
	v_and_b32_e32 v16, 7, v16
	v_cmp_gt_u32_e64 s[0:1], 8, v11
	v_cndmask_b32_e64 v11, v21, v17, s[0:1]
	v_cndmask_b32_e64 v16, v20, v16, s[0:1]
	v_lshlrev_b32_e32 v16, 20, v16
	v_and_b32_sdwa v17, sext(v15), s30 dst_sel:DWORD dst_unused:UNUSED_PAD src0_sel:BYTE_0 src1_sel:DWORD
	v_lshl_add_u32 v11, v11, 23, v40
	v_or3_b32 v16, v17, v11, v16
	v_mov_b32_e32 v17, v5
.LBB182_243:                            ;   in Loop: Header=BB182_160 Depth=1
	s_or_b64 exec, exec, s[18:19]
.LBB182_244:                            ;   in Loop: Header=BB182_160 Depth=1
	s_or_b64 exec, exec, s[16:17]
.LBB182_245:                            ;   in Loop: Header=BB182_160 Depth=1
	s_or_b64 exec, exec, s[12:13]
	v_cmp_ne_u16_sdwa s[0:1], v15, v5 src0_sel:BYTE_1 src1_sel:DWORD
	s_and_saveexec_b64 s[12:13], s[0:1]
	s_cbranch_execz .LBB182_251
; %bb.246:                              ;   in Loop: Header=BB182_160 Depth=1
	v_mov_b32_e32 v19, v6
	v_cmp_ne_u16_sdwa s[0:1], v15, s28 src0_sel:BYTE_1 src1_sel:DWORD
	v_mov_b32_e32 v18, v5
	s_and_saveexec_b64 s[16:17], s[0:1]
	s_cbranch_execz .LBB182_250
; %bb.247:                              ;   in Loop: Header=BB182_160 Depth=1
	v_and_b32_sdwa v20, v15, s29 dst_sel:DWORD dst_unused:UNUSED_PAD src0_sel:BYTE_1 src1_sel:DWORD
	v_mov_b32_e32 v11, v5
	v_mov_b32_e32 v19, v12
	v_cmp_ne_u32_e64 s[0:1], s29, v20
	v_mov_b32_e32 v18, v11
	s_and_saveexec_b64 s[18:19], s[0:1]
	s_cbranch_execz .LBB182_249
; %bb.248:                              ;   in Loop: Header=BB182_160 Depth=1
	v_and_b32_sdwa v18, v15, v41 dst_sel:DWORD dst_unused:UNUSED_PAD src0_sel:BYTE_1 src1_sel:DWORD
	v_ffbh_u32_e32 v21, v18
	v_min_u32_e32 v23, 32, v21
	v_mov_b32_e32 v19, v5
	v_subrev_u32_e32 v21, 28, v23
	v_lshlrev_b64 v[21:22], v21, v[18:19]
	v_lshrrev_b32_e32 v11, 3, v20
	v_sub_u32_e32 v19, 29, v23
	v_cmp_gt_u32_e64 s[0:1], 8, v20
	v_and_b32_e32 v21, 7, v21
	v_cndmask_b32_e64 v11, v11, v19, s[0:1]
	v_cndmask_b32_e64 v18, v18, v21, s[0:1]
	v_lshlrev_b32_e32 v19, 16, v15
	v_lshl_add_u32 v11, v11, 23, v40
	v_and_or_b32 v11, v19, s30, v11
	v_lshlrev_b32_e32 v18, 20, v18
	v_or_b32_e32 v19, v11, v18
	v_mov_b32_e32 v18, v5
.LBB182_249:                            ;   in Loop: Header=BB182_160 Depth=1
	s_or_b64 exec, exec, s[18:19]
.LBB182_250:                            ;   in Loop: Header=BB182_160 Depth=1
	s_or_b64 exec, exec, s[16:17]
.LBB182_251:                            ;   in Loop: Header=BB182_160 Depth=1
	s_or_b64 exec, exec, s[12:13]
	v_lshrrev_b32_e32 v11, 16, v15
	v_mov_b32_e32 v22, 0
	v_mov_b32_e32 v20, 0
	;; [unrolled: 1-line block ×4, first 2 shown]
	v_cmp_ne_u16_sdwa s[0:1], v11, v5 src0_sel:BYTE_0 src1_sel:DWORD
	s_and_saveexec_b64 s[12:13], s[0:1]
	s_cbranch_execz .LBB182_257
; %bb.252:                              ;   in Loop: Header=BB182_160 Depth=1
	v_bfrev_b32_e32 v20, 1
	v_mov_b32_e32 v21, 0
	v_cmp_ne_u16_sdwa s[0:1], v11, s28 src0_sel:BYTE_0 src1_sel:DWORD
	s_and_saveexec_b64 s[16:17], s[0:1]
	s_cbranch_execz .LBB182_256
; %bb.253:                              ;   in Loop: Header=BB182_160 Depth=1
	v_bfe_u32 v29, v15, 16, 7
	v_mov_b32_e32 v20, 0x7f800001
	v_mov_b32_e32 v21, 0
	v_cmp_ne_u32_e64 s[0:1], s29, v29
	s_and_saveexec_b64 s[18:19], s[0:1]
	s_cbranch_execz .LBB182_255
; %bb.254:                              ;   in Loop: Header=BB182_160 Depth=1
	v_and_b32_e32 v28, 7, v11
	v_ffbh_u32_e32 v20, v28
	v_min_u32_e32 v59, 32, v20
	v_subrev_u32_e32 v20, 28, v59
	v_lshlrev_b64 v[20:21], v20, v[11:12]
	v_lshrrev_b32_e32 v30, 3, v29
	v_sub_u32_e32 v21, 29, v59
	v_and_b32_e32 v20, 7, v20
	v_cmp_gt_u32_e64 s[0:1], 8, v29
	v_cndmask_b32_e64 v21, v30, v21, s[0:1]
	v_cndmask_b32_e64 v20, v28, v20, s[0:1]
	v_lshlrev_b32_e32 v20, 20, v20
	v_and_b32_sdwa v11, sext(v11), s30 dst_sel:DWORD dst_unused:UNUSED_PAD src0_sel:BYTE_0 src1_sel:DWORD
	v_lshl_add_u32 v21, v21, 23, v40
	v_or3_b32 v20, v11, v21, v20
	v_mov_b32_e32 v21, v5
.LBB182_255:                            ;   in Loop: Header=BB182_160 Depth=1
	s_or_b64 exec, exec, s[18:19]
.LBB182_256:                            ;   in Loop: Header=BB182_160 Depth=1
	s_or_b64 exec, exec, s[16:17]
.LBB182_257:                            ;   in Loop: Header=BB182_160 Depth=1
	s_or_b64 exec, exec, s[12:13]
	v_cmp_lt_u32_e64 s[0:1], s31, v15
	s_and_saveexec_b64 s[12:13], s[0:1]
	s_cbranch_execz .LBB182_263
; %bb.258:                              ;   in Loop: Header=BB182_160 Depth=1
	v_mov_b32_e32 v23, v6
	v_cmp_ne_u32_sdwa s[0:1], v15, s28 src0_sel:BYTE_3 src1_sel:DWORD
	v_mov_b32_e32 v22, v5
	s_and_saveexec_b64 s[16:17], s[0:1]
	s_cbranch_execz .LBB182_262
; %bb.259:                              ;   in Loop: Header=BB182_160 Depth=1
	v_bfe_u32 v29, v15, 24, 7
	v_mov_b32_e32 v11, v5
	v_mov_b32_e32 v23, v12
	v_cmp_ne_u32_e64 s[0:1], s29, v29
	v_mov_b32_e32 v22, v11
	s_and_saveexec_b64 s[18:19], s[0:1]
	s_cbranch_execz .LBB182_261
; %bb.260:                              ;   in Loop: Header=BB182_160 Depth=1
	v_and_b32_sdwa v22, v15, v41 dst_sel:DWORD dst_unused:UNUSED_PAD src0_sel:BYTE_3 src1_sel:DWORD
	v_ffbh_u32_e32 v28, v22
	v_min_u32_e32 v28, 32, v28
	v_mov_b32_e32 v23, v5
	v_subrev_u32_e32 v30, 28, v28
	v_lshlrev_b64 v[59:60], v30, v[22:23]
	v_lshrrev_b32_e32 v11, 3, v29
	v_sub_u32_e32 v23, 29, v28
	v_cmp_gt_u32_e64 s[0:1], 8, v29
	v_and_b32_e32 v28, 7, v59
	v_cndmask_b32_e64 v11, v11, v23, s[0:1]
	v_cndmask_b32_e64 v22, v22, v28, s[0:1]
	v_lshlrev_b32_sdwa v15, v42, v15 dst_sel:DWORD dst_unused:UNUSED_PAD src0_sel:DWORD src1_sel:BYTE_3
	v_lshl_add_u32 v11, v11, 23, v40
	v_and_or_b32 v11, v15, s30, v11
	v_lshlrev_b32_e32 v15, 20, v22
	v_or_b32_e32 v23, v11, v15
	v_mov_b32_e32 v22, v5
.LBB182_261:                            ;   in Loop: Header=BB182_160 Depth=1
	s_or_b64 exec, exec, s[18:19]
.LBB182_262:                            ;   in Loop: Header=BB182_160 Depth=1
	s_or_b64 exec, exec, s[16:17]
.LBB182_263:                            ;   in Loop: Header=BB182_160 Depth=1
	s_or_b64 exec, exec, s[12:13]
	v_or_b32_e32 v11, v19, v17
	v_or_b32_e32 v15, v18, v16
	v_mul_f32_e32 v59, s38, v11
	v_mul_f32_e32 v60, s37, v15
	v_or_b32_e32 v11, v23, v21
	v_or_b32_e32 v15, v22, v20
	v_mul_f32_e32 v23, s37, v15
	v_mul_f32_e32 v22, s38, v11
	s_and_saveexec_b64 s[12:13], vcc
; %bb.264:                              ;   in Loop: Header=BB182_160 Depth=1
	v_cmp_gt_i32_e64 s[0:1], s33, v47
	v_cndmask_b32_e64 v60, 0, v60, s[0:1]
	v_cmp_gt_i32_e64 s[0:1], s33, v50
	v_cndmask_b32_e64 v59, 0, v59, s[0:1]
	;; [unrolled: 2-line block ×4, first 2 shown]
; %bb.265:                              ;   in Loop: Header=BB182_160 Depth=1
	s_or_b64 exec, exec, s[12:13]
	global_load_dword v13, v[13:14], off offset:1024
	v_mov_b32_e32 v16, 0
	v_mov_b32_e32 v14, 0
	;; [unrolled: 1-line block ×4, first 2 shown]
	s_waitcnt vmcnt(0)
	v_cmp_ne_u16_sdwa s[0:1], v13, v5 src0_sel:BYTE_0 src1_sel:DWORD
	s_and_saveexec_b64 s[12:13], s[0:1]
	s_cbranch_execz .LBB182_271
; %bb.266:                              ;   in Loop: Header=BB182_160 Depth=1
	v_bfrev_b32_e32 v14, 1
	v_mov_b32_e32 v15, 0
	v_cmp_ne_u16_sdwa s[0:1], v13, s28 src0_sel:BYTE_0 src1_sel:DWORD
	s_and_saveexec_b64 s[16:17], s[0:1]
	s_cbranch_execz .LBB182_270
; %bb.267:                              ;   in Loop: Header=BB182_160 Depth=1
	v_and_b32_e32 v11, 0x7f, v13
	v_mov_b32_e32 v14, 0x7f800001
	v_mov_b32_e32 v15, 0
	v_cmp_ne_u32_e64 s[0:1], s29, v11
	s_and_saveexec_b64 s[18:19], s[0:1]
	s_cbranch_execz .LBB182_269
; %bb.268:                              ;   in Loop: Header=BB182_160 Depth=1
	v_and_b32_e32 v18, 7, v13
	v_ffbh_u32_e32 v14, v18
	v_min_u32_e32 v20, 32, v14
	v_subrev_u32_e32 v14, 28, v20
	v_lshlrev_b64 v[14:15], v14, v[13:14]
	v_lshrrev_b32_e32 v19, 3, v11
	v_sub_u32_e32 v15, 29, v20
	v_and_b32_e32 v14, 7, v14
	v_cmp_gt_u32_e64 s[0:1], 8, v11
	v_cndmask_b32_e64 v11, v19, v15, s[0:1]
	v_cndmask_b32_e64 v14, v18, v14, s[0:1]
	v_lshlrev_b32_e32 v14, 20, v14
	v_and_b32_sdwa v15, sext(v13), s30 dst_sel:DWORD dst_unused:UNUSED_PAD src0_sel:BYTE_0 src1_sel:DWORD
	v_lshl_add_u32 v11, v11, 23, v40
	v_or3_b32 v14, v15, v11, v14
	v_mov_b32_e32 v15, v5
.LBB182_269:                            ;   in Loop: Header=BB182_160 Depth=1
	s_or_b64 exec, exec, s[18:19]
.LBB182_270:                            ;   in Loop: Header=BB182_160 Depth=1
	s_or_b64 exec, exec, s[16:17]
.LBB182_271:                            ;   in Loop: Header=BB182_160 Depth=1
	s_or_b64 exec, exec, s[12:13]
	v_cmp_ne_u16_sdwa s[0:1], v13, v5 src0_sel:BYTE_1 src1_sel:DWORD
	s_and_saveexec_b64 s[12:13], s[0:1]
	s_cbranch_execz .LBB182_277
; %bb.272:                              ;   in Loop: Header=BB182_160 Depth=1
	v_mov_b32_e32 v17, v6
	v_cmp_ne_u16_sdwa s[0:1], v13, s28 src0_sel:BYTE_1 src1_sel:DWORD
	v_mov_b32_e32 v16, v5
	s_and_saveexec_b64 s[16:17], s[0:1]
	s_cbranch_execz .LBB182_276
; %bb.273:                              ;   in Loop: Header=BB182_160 Depth=1
	v_and_b32_sdwa v18, v13, s29 dst_sel:DWORD dst_unused:UNUSED_PAD src0_sel:BYTE_1 src1_sel:DWORD
	v_mov_b32_e32 v11, v5
	v_mov_b32_e32 v17, v12
	v_cmp_ne_u32_e64 s[0:1], s29, v18
	v_mov_b32_e32 v16, v11
	s_and_saveexec_b64 s[18:19], s[0:1]
	s_cbranch_execz .LBB182_275
; %bb.274:                              ;   in Loop: Header=BB182_160 Depth=1
	v_and_b32_sdwa v16, v13, v41 dst_sel:DWORD dst_unused:UNUSED_PAD src0_sel:BYTE_1 src1_sel:DWORD
	v_ffbh_u32_e32 v19, v16
	v_min_u32_e32 v21, 32, v19
	v_mov_b32_e32 v17, v5
	v_subrev_u32_e32 v19, 28, v21
	v_lshlrev_b64 v[19:20], v19, v[16:17]
	v_lshrrev_b32_e32 v11, 3, v18
	v_sub_u32_e32 v17, 29, v21
	v_cmp_gt_u32_e64 s[0:1], 8, v18
	v_and_b32_e32 v19, 7, v19
	v_cndmask_b32_e64 v11, v11, v17, s[0:1]
	v_cndmask_b32_e64 v16, v16, v19, s[0:1]
	v_lshlrev_b32_e32 v17, 16, v13
	v_lshl_add_u32 v11, v11, 23, v40
	v_and_or_b32 v11, v17, s30, v11
	v_lshlrev_b32_e32 v16, 20, v16
	v_or_b32_e32 v17, v11, v16
	v_mov_b32_e32 v16, v5
.LBB182_275:                            ;   in Loop: Header=BB182_160 Depth=1
	s_or_b64 exec, exec, s[18:19]
.LBB182_276:                            ;   in Loop: Header=BB182_160 Depth=1
	s_or_b64 exec, exec, s[16:17]
.LBB182_277:                            ;   in Loop: Header=BB182_160 Depth=1
	s_or_b64 exec, exec, s[12:13]
	v_lshrrev_b32_e32 v11, 16, v13
	v_mov_b32_e32 v20, 0
	v_mov_b32_e32 v18, 0
	;; [unrolled: 1-line block ×4, first 2 shown]
	v_cmp_ne_u16_sdwa s[0:1], v11, v5 src0_sel:BYTE_0 src1_sel:DWORD
	s_and_saveexec_b64 s[12:13], s[0:1]
	s_cbranch_execz .LBB182_283
; %bb.278:                              ;   in Loop: Header=BB182_160 Depth=1
	v_bfrev_b32_e32 v18, 1
	v_mov_b32_e32 v19, 0
	v_cmp_ne_u16_sdwa s[0:1], v11, s28 src0_sel:BYTE_0 src1_sel:DWORD
	s_and_saveexec_b64 s[16:17], s[0:1]
	s_cbranch_execz .LBB182_282
; %bb.279:                              ;   in Loop: Header=BB182_160 Depth=1
	v_bfe_u32 v29, v13, 16, 7
	v_mov_b32_e32 v18, 0x7f800001
	v_mov_b32_e32 v19, 0
	v_cmp_ne_u32_e64 s[0:1], s29, v29
	s_and_saveexec_b64 s[18:19], s[0:1]
	s_cbranch_execz .LBB182_281
; %bb.280:                              ;   in Loop: Header=BB182_160 Depth=1
	v_and_b32_e32 v28, 7, v11
	v_ffbh_u32_e32 v18, v28
	v_lshrrev_b32_e32 v30, 3, v29
	v_cmp_gt_u32_e64 s[0:1], 8, v29
	v_min_u32_e32 v29, 32, v18
	v_subrev_u32_e32 v18, 28, v29
	v_lshlrev_b64 v[18:19], v18, v[11:12]
	v_sub_u32_e32 v19, 29, v29
	v_and_b32_e32 v18, 7, v18
	v_cndmask_b32_e64 v19, v30, v19, s[0:1]
	v_cndmask_b32_e64 v18, v28, v18, s[0:1]
	v_lshlrev_b32_e32 v18, 20, v18
	v_and_b32_sdwa v11, sext(v11), s30 dst_sel:DWORD dst_unused:UNUSED_PAD src0_sel:BYTE_0 src1_sel:DWORD
	v_lshl_add_u32 v19, v19, 23, v40
	v_or3_b32 v18, v11, v19, v18
	v_mov_b32_e32 v19, v5
.LBB182_281:                            ;   in Loop: Header=BB182_160 Depth=1
	s_or_b64 exec, exec, s[18:19]
.LBB182_282:                            ;   in Loop: Header=BB182_160 Depth=1
	s_or_b64 exec, exec, s[16:17]
.LBB182_283:                            ;   in Loop: Header=BB182_160 Depth=1
	s_or_b64 exec, exec, s[12:13]
	v_cmp_lt_u32_e64 s[0:1], s31, v13
	s_and_saveexec_b64 s[12:13], s[0:1]
	s_cbranch_execz .LBB182_289
; %bb.284:                              ;   in Loop: Header=BB182_160 Depth=1
	v_mov_b32_e32 v21, v6
	v_cmp_ne_u32_sdwa s[0:1], v13, s28 src0_sel:BYTE_3 src1_sel:DWORD
	v_mov_b32_e32 v20, v5
	s_and_saveexec_b64 s[16:17], s[0:1]
	s_cbranch_execz .LBB182_288
; %bb.285:                              ;   in Loop: Header=BB182_160 Depth=1
	v_bfe_u32 v29, v13, 24, 7
	v_mov_b32_e32 v11, v5
	v_mov_b32_e32 v21, v12
	v_cmp_ne_u32_e64 s[0:1], s29, v29
	v_mov_b32_e32 v20, v11
	s_and_saveexec_b64 s[18:19], s[0:1]
	s_cbranch_execz .LBB182_287
; %bb.286:                              ;   in Loop: Header=BB182_160 Depth=1
	v_and_b32_sdwa v20, v13, v41 dst_sel:DWORD dst_unused:UNUSED_PAD src0_sel:BYTE_3 src1_sel:DWORD
	v_ffbh_u32_e32 v28, v20
	v_min_u32_e32 v30, 32, v28
	v_mov_b32_e32 v21, v5
	v_subrev_u32_e32 v28, 28, v30
	v_lshrrev_b32_e32 v11, 3, v29
	v_cmp_gt_u32_e64 s[0:1], 8, v29
	v_lshlrev_b64 v[28:29], v28, v[20:21]
	v_sub_u32_e32 v21, 29, v30
	v_and_b32_e32 v28, 7, v28
	v_cndmask_b32_e64 v11, v11, v21, s[0:1]
	v_cndmask_b32_e64 v20, v20, v28, s[0:1]
	v_lshlrev_b32_sdwa v13, v42, v13 dst_sel:DWORD dst_unused:UNUSED_PAD src0_sel:DWORD src1_sel:BYTE_3
	v_lshl_add_u32 v11, v11, 23, v40
	v_and_or_b32 v11, v13, s30, v11
	v_lshlrev_b32_e32 v13, 20, v20
	v_or_b32_e32 v21, v11, v13
	v_mov_b32_e32 v20, v5
.LBB182_287:                            ;   in Loop: Header=BB182_160 Depth=1
	s_or_b64 exec, exec, s[18:19]
.LBB182_288:                            ;   in Loop: Header=BB182_160 Depth=1
	s_or_b64 exec, exec, s[16:17]
.LBB182_289:                            ;   in Loop: Header=BB182_160 Depth=1
	s_or_b64 exec, exec, s[12:13]
	v_or_b32_e32 v13, v16, v14
	v_or_b32_e32 v11, v17, v15
	v_mul_f32_e32 v15, s37, v13
	v_or_b32_e32 v13, v21, v19
	v_or_b32_e32 v14, v20, v18
	v_mul_f32_e32 v11, s38, v11
	v_mul_f32_e32 v14, s37, v14
	v_mul_f32_e32 v13, s38, v13
	s_and_saveexec_b64 s[0:1], vcc
	s_cbranch_execz .LBB182_158
; %bb.290:                              ;   in Loop: Header=BB182_160 Depth=1
	v_cmp_gt_i32_e32 vcc, s33, v47
	v_cndmask_b32_e32 v15, 0, v15, vcc
	v_cmp_gt_i32_e32 vcc, s33, v50
	v_cndmask_b32_e32 v11, 0, v11, vcc
	v_cmp_gt_i32_e32 vcc, s33, v49
	v_cndmask_b32_e32 v14, 0, v14, vcc
	v_cmp_gt_i32_e32 vcc, s33, v48
	v_cndmask_b32_e32 v13, 0, v13, vcc
	s_branch .LBB182_158
.LBB182_291:
	s_or_b64 exec, exec, s[4:5]
	v_mov_b32_e32 v14, v61
.LBB182_292:
	s_or_b64 exec, exec, s[2:3]
	ds_bpermute_b32 v2, v26, v38
	ds_bpermute_b32 v1, v26, v39
	;; [unrolled: 1-line block ×5, first 2 shown]
	s_waitcnt lgkmcnt(4)
	v_add_f32_e32 v2, v38, v2
	s_waitcnt lgkmcnt(3)
	v_add_f32_e32 v1, v39, v1
	ds_bpermute_b32 v6, v25, v2
	s_waitcnt lgkmcnt(3)
	v_add_f32_e32 v3, v37, v3
	s_waitcnt lgkmcnt(2)
	v_add_f32_e32 v4, v35, v4
	;; [unrolled: 2-line block ×3, first 2 shown]
	ds_bpermute_b32 v5, v25, v1
	ds_bpermute_b32 v8, v25, v3
	;; [unrolled: 1-line block ×4, first 2 shown]
	s_waitcnt lgkmcnt(4)
	v_add_f32_e32 v2, v2, v6
	v_and_b32_e32 v6, 0x3c3, v0
	s_waitcnt lgkmcnt(3)
	v_add_f32_e32 v1, v1, v5
	s_waitcnt lgkmcnt(2)
	v_add_f32_e32 v3, v3, v8
	;; [unrolled: 2-line block ×4, first 2 shown]
	v_cmp_eq_u32_e32 vcc, 64, v6
	s_barrier
	s_and_saveexec_b64 s[0:1], vcc
	s_cbranch_execz .LBB182_294
; %bb.293:
	v_add_u32_e32 v7, 0x150, v24
	ds_write2_b32 v7, v1, v2 offset1:16
	ds_write2_b32 v7, v3, v4 offset0:32 offset1:48
	ds_write_b32 v7, v5 offset:256
.LBB182_294:
	s_or_b64 exec, exec, s[0:1]
	v_cmp_gt_u32_e32 vcc, 64, v0
	s_waitcnt lgkmcnt(0)
	s_barrier
	s_and_saveexec_b64 s[0:1], vcc
	s_cbranch_execz .LBB182_302
; %bb.295:
	buffer_load_dword v7, off, s[56:59], 0 offset:4 ; 4-byte Folded Reload
	v_mov_b32_e32 v0, 0x150
	v_cmp_eq_u32_e32 vcc, 0, v14
	s_waitcnt vmcnt(0)
	v_lshl_add_u32 v0, v7, 2, v0
	s_and_saveexec_b64 s[2:3], vcc
	s_cbranch_execnz .LBB182_305
; %bb.296:
	s_or_b64 exec, exec, s[2:3]
	s_and_saveexec_b64 s[2:3], vcc
	s_cbranch_execnz .LBB182_306
.LBB182_297:
	s_or_b64 exec, exec, s[2:3]
	s_and_saveexec_b64 s[2:3], vcc
	s_cbranch_execnz .LBB182_307
.LBB182_298:
	s_or_b64 exec, exec, s[2:3]
	s_and_saveexec_b64 s[2:3], vcc
	s_cbranch_execnz .LBB182_308
.LBB182_299:
	s_or_b64 exec, exec, s[2:3]
	s_and_saveexec_b64 s[2:3], vcc
	s_cbranch_execz .LBB182_301
.LBB182_300:
	ds_read_b32 v0, v0 offset:256
	s_waitcnt lgkmcnt(0)
	v_add_f32_e32 v5, v5, v0
.LBB182_301:
	s_or_b64 exec, exec, s[2:3]
.LBB182_302:
	s_or_b64 exec, exec, s[0:1]
	v_cmp_eq_u32_e32 vcc, 0, v6
	s_barrier
	s_and_saveexec_b64 s[0:1], vcc
	s_cbranch_execz .LBB182_304
; %bb.303:
	buffer_load_dword v0, off, s[56:59], 0  ; 4-byte Folded Reload
	s_mul_i32 s0, s10, s11
	s_mul_i32 s0, s0, s9
	s_mulk_i32 s0, 0x50
	s_ashr_i32 s1, s0, 31
	s_lshl_b64 s[0:1], s[0:1], 2
	s_add_u32 s2, s26, s0
	s_mul_i32 s0, s11, s24
	s_addc_u32 s3, s27, s1
	s_ashr_i32 s1, s0, 31
	s_lshl_b64 s[0:1], s[0:1], 2
	s_add_u32 s2, s2, s0
	s_mul_i32 s0, s8, 0x50
	s_addc_u32 s3, s3, s1
	s_ashr_i32 s1, s0, 31
	s_lshl_b64 s[0:1], s[0:1], 2
	s_add_u32 s0, s2, s0
	s_addc_u32 s1, s3, s1
	s_waitcnt vmcnt(0)
	global_store_dword v0, v1, s[0:1]
	global_store_dword v0, v2, s[0:1] offset:64
	global_store_dword v0, v3, s[0:1] offset:128
	;; [unrolled: 1-line block ×4, first 2 shown]
.LBB182_304:
	s_endpgm
.LBB182_305:
	ds_read_b32 v7, v0
	s_waitcnt lgkmcnt(0)
	v_add_f32_e32 v1, v1, v7
	s_or_b64 exec, exec, s[2:3]
	s_and_saveexec_b64 s[2:3], vcc
	s_cbranch_execz .LBB182_297
.LBB182_306:
	ds_read_b32 v7, v0 offset:64
	s_waitcnt lgkmcnt(0)
	v_add_f32_e32 v2, v2, v7
	s_or_b64 exec, exec, s[2:3]
	s_and_saveexec_b64 s[2:3], vcc
	s_cbranch_execz .LBB182_298
.LBB182_307:
	ds_read_b32 v7, v0 offset:128
	s_waitcnt lgkmcnt(0)
	v_add_f32_e32 v3, v3, v7
	s_or_b64 exec, exec, s[2:3]
	s_and_saveexec_b64 s[2:3], vcc
	s_cbranch_execz .LBB182_299
.LBB182_308:
	ds_read_b32 v7, v0 offset:192
	s_waitcnt lgkmcnt(0)
	v_add_f32_e32 v4, v4, v7
	s_or_b64 exec, exec, s[2:3]
	s_and_saveexec_b64 s[2:3], vcc
	s_cbranch_execnz .LBB182_300
	s_branch .LBB182_301
	.section	.rodata,"a",@progbits
	.p2align	6, 0x0
	.amdhsa_kernel _ZN4vllm25paged_attention_v1_kernelIfhLi80ELi16ELi128ELNS_18Fp8KVCacheDataTypeE1ELb1EEEvPT_PKS2_PKT0_S8_ifPKiSA_iPKfiiiSC_SC_iiiii
		.amdhsa_group_segment_fixed_size 336
		.amdhsa_private_segment_fixed_size 12
		.amdhsa_kernarg_size 384
		.amdhsa_user_sgpr_count 6
		.amdhsa_user_sgpr_private_segment_buffer 1
		.amdhsa_user_sgpr_dispatch_ptr 0
		.amdhsa_user_sgpr_queue_ptr 0
		.amdhsa_user_sgpr_kernarg_segment_ptr 1
		.amdhsa_user_sgpr_dispatch_id 0
		.amdhsa_user_sgpr_flat_scratch_init 0
		.amdhsa_user_sgpr_private_segment_size 0
		.amdhsa_uses_dynamic_stack 0
		.amdhsa_system_sgpr_private_segment_wavefront_offset 1
		.amdhsa_system_sgpr_workgroup_id_x 1
		.amdhsa_system_sgpr_workgroup_id_y 1
		.amdhsa_system_sgpr_workgroup_id_z 1
		.amdhsa_system_sgpr_workgroup_info 0
		.amdhsa_system_vgpr_workitem_id 0
		.amdhsa_next_free_vgpr 64
		.amdhsa_next_free_sgpr 60
		.amdhsa_reserve_vcc 1
		.amdhsa_reserve_flat_scratch 0
		.amdhsa_float_round_mode_32 0
		.amdhsa_float_round_mode_16_64 0
		.amdhsa_float_denorm_mode_32 3
		.amdhsa_float_denorm_mode_16_64 3
		.amdhsa_dx10_clamp 1
		.amdhsa_ieee_mode 1
		.amdhsa_fp16_overflow 0
		.amdhsa_exception_fp_ieee_invalid_op 0
		.amdhsa_exception_fp_denorm_src 0
		.amdhsa_exception_fp_ieee_div_zero 0
		.amdhsa_exception_fp_ieee_overflow 0
		.amdhsa_exception_fp_ieee_underflow 0
		.amdhsa_exception_fp_ieee_inexact 0
		.amdhsa_exception_int_div_zero 0
	.end_amdhsa_kernel
	.section	.text._ZN4vllm25paged_attention_v1_kernelIfhLi80ELi16ELi128ELNS_18Fp8KVCacheDataTypeE1ELb1EEEvPT_PKS2_PKT0_S8_ifPKiSA_iPKfiiiSC_SC_iiiii,"axG",@progbits,_ZN4vllm25paged_attention_v1_kernelIfhLi80ELi16ELi128ELNS_18Fp8KVCacheDataTypeE1ELb1EEEvPT_PKS2_PKT0_S8_ifPKiSA_iPKfiiiSC_SC_iiiii,comdat
.Lfunc_end182:
	.size	_ZN4vllm25paged_attention_v1_kernelIfhLi80ELi16ELi128ELNS_18Fp8KVCacheDataTypeE1ELb1EEEvPT_PKS2_PKT0_S8_ifPKiSA_iPKfiiiSC_SC_iiiii, .Lfunc_end182-_ZN4vllm25paged_attention_v1_kernelIfhLi80ELi16ELi128ELNS_18Fp8KVCacheDataTypeE1ELb1EEEvPT_PKS2_PKT0_S8_ifPKiSA_iPKfiiiSC_SC_iiiii
                                        ; -- End function
	.set _ZN4vllm25paged_attention_v1_kernelIfhLi80ELi16ELi128ELNS_18Fp8KVCacheDataTypeE1ELb1EEEvPT_PKS2_PKT0_S8_ifPKiSA_iPKfiiiSC_SC_iiiii.num_vgpr, 64
	.set _ZN4vllm25paged_attention_v1_kernelIfhLi80ELi16ELi128ELNS_18Fp8KVCacheDataTypeE1ELb1EEEvPT_PKS2_PKT0_S8_ifPKiSA_iPKfiiiSC_SC_iiiii.num_agpr, 0
	.set _ZN4vllm25paged_attention_v1_kernelIfhLi80ELi16ELi128ELNS_18Fp8KVCacheDataTypeE1ELb1EEEvPT_PKS2_PKT0_S8_ifPKiSA_iPKfiiiSC_SC_iiiii.numbered_sgpr, 60
	.set _ZN4vllm25paged_attention_v1_kernelIfhLi80ELi16ELi128ELNS_18Fp8KVCacheDataTypeE1ELb1EEEvPT_PKS2_PKT0_S8_ifPKiSA_iPKfiiiSC_SC_iiiii.num_named_barrier, 0
	.set _ZN4vllm25paged_attention_v1_kernelIfhLi80ELi16ELi128ELNS_18Fp8KVCacheDataTypeE1ELb1EEEvPT_PKS2_PKT0_S8_ifPKiSA_iPKfiiiSC_SC_iiiii.private_seg_size, 12
	.set _ZN4vllm25paged_attention_v1_kernelIfhLi80ELi16ELi128ELNS_18Fp8KVCacheDataTypeE1ELb1EEEvPT_PKS2_PKT0_S8_ifPKiSA_iPKfiiiSC_SC_iiiii.uses_vcc, 1
	.set _ZN4vllm25paged_attention_v1_kernelIfhLi80ELi16ELi128ELNS_18Fp8KVCacheDataTypeE1ELb1EEEvPT_PKS2_PKT0_S8_ifPKiSA_iPKfiiiSC_SC_iiiii.uses_flat_scratch, 0
	.set _ZN4vllm25paged_attention_v1_kernelIfhLi80ELi16ELi128ELNS_18Fp8KVCacheDataTypeE1ELb1EEEvPT_PKS2_PKT0_S8_ifPKiSA_iPKfiiiSC_SC_iiiii.has_dyn_sized_stack, 0
	.set _ZN4vllm25paged_attention_v1_kernelIfhLi80ELi16ELi128ELNS_18Fp8KVCacheDataTypeE1ELb1EEEvPT_PKS2_PKT0_S8_ifPKiSA_iPKfiiiSC_SC_iiiii.has_recursion, 0
	.set _ZN4vllm25paged_attention_v1_kernelIfhLi80ELi16ELi128ELNS_18Fp8KVCacheDataTypeE1ELb1EEEvPT_PKS2_PKT0_S8_ifPKiSA_iPKfiiiSC_SC_iiiii.has_indirect_call, 0
	.section	.AMDGPU.csdata,"",@progbits
; Kernel info:
; codeLenInByte = 12160
; TotalNumSgprs: 64
; NumVgprs: 64
; ScratchSize: 12
; MemoryBound: 0
; FloatMode: 240
; IeeeMode: 1
; LDSByteSize: 336 bytes/workgroup (compile time only)
; SGPRBlocks: 7
; VGPRBlocks: 15
; NumSGPRsForWavesPerEU: 64
; NumVGPRsForWavesPerEU: 64
; Occupancy: 4
; WaveLimiterHint : 1
; COMPUTE_PGM_RSRC2:SCRATCH_EN: 1
; COMPUTE_PGM_RSRC2:USER_SGPR: 6
; COMPUTE_PGM_RSRC2:TRAP_HANDLER: 0
; COMPUTE_PGM_RSRC2:TGID_X_EN: 1
; COMPUTE_PGM_RSRC2:TGID_Y_EN: 1
; COMPUTE_PGM_RSRC2:TGID_Z_EN: 1
; COMPUTE_PGM_RSRC2:TIDIG_COMP_CNT: 0
	.section	.text._ZN4vllm25paged_attention_v1_kernelIfhLi96ELi16ELi128ELNS_18Fp8KVCacheDataTypeE1ELb1EEEvPT_PKS2_PKT0_S8_ifPKiSA_iPKfiiiSC_SC_iiiii,"axG",@progbits,_ZN4vllm25paged_attention_v1_kernelIfhLi96ELi16ELi128ELNS_18Fp8KVCacheDataTypeE1ELb1EEEvPT_PKS2_PKT0_S8_ifPKiSA_iPKfiiiSC_SC_iiiii,comdat
	.protected	_ZN4vllm25paged_attention_v1_kernelIfhLi96ELi16ELi128ELNS_18Fp8KVCacheDataTypeE1ELb1EEEvPT_PKS2_PKT0_S8_ifPKiSA_iPKfiiiSC_SC_iiiii ; -- Begin function _ZN4vllm25paged_attention_v1_kernelIfhLi96ELi16ELi128ELNS_18Fp8KVCacheDataTypeE1ELb1EEEvPT_PKS2_PKT0_S8_ifPKiSA_iPKfiiiSC_SC_iiiii
	.globl	_ZN4vllm25paged_attention_v1_kernelIfhLi96ELi16ELi128ELNS_18Fp8KVCacheDataTypeE1ELb1EEEvPT_PKS2_PKT0_S8_ifPKiSA_iPKfiiiSC_SC_iiiii
	.p2align	8
	.type	_ZN4vllm25paged_attention_v1_kernelIfhLi96ELi16ELi128ELNS_18Fp8KVCacheDataTypeE1ELb1EEEvPT_PKS2_PKT0_S8_ifPKiSA_iPKfiiiSC_SC_iiiii,@function
_ZN4vllm25paged_attention_v1_kernelIfhLi96ELi16ELi128ELNS_18Fp8KVCacheDataTypeE1ELb1EEEvPT_PKS2_PKT0_S8_ifPKiSA_iPKfiiiSC_SC_iiiii: ; @_ZN4vllm25paged_attention_v1_kernelIfhLi96ELi16ELi128ELNS_18Fp8KVCacheDataTypeE1ELb1EEEvPT_PKS2_PKT0_S8_ifPKiSA_iPKfiiiSC_SC_iiiii
; %bb.0:
	s_mov_b64 s[58:59], s[2:3]
	s_mov_b64 s[56:57], s[0:1]
	s_add_u32 s56, s56, s9
	s_load_dword s9, s[4:5], 0x80
	s_load_dwordx2 s[0:1], s[4:5], 0x30
	s_load_dwordx2 s[36:37], s[4:5], 0x20
	s_addc_u32 s57, s57, 0
	s_mov_b32 s10, s7
	s_ashr_i32 s11, s7, 31
	s_lshl_b64 s[2:3], s[10:11], 2
	s_waitcnt lgkmcnt(0)
	s_add_u32 s0, s0, s2
	s_addc_u32 s1, s1, s3
	s_abs_i32 s2, s36
	v_mov_b32_e32 v13, v0
	v_cvt_f32_u32_e32 v0, s2
	s_sub_i32 s11, 0, s2
	s_abs_i32 s7, s9
	s_xor_b32 s3, s9, s36
	v_rcp_iflag_f32_e32 v0, v0
	s_ashr_i32 s3, s3, 31
	s_mov_b32 s48, 0
	v_mul_f32_e32 v0, 0x4f7ffffe, v0
	v_cvt_u32_f32_e32 v0, v0
	v_readfirstlane_b32 s12, v0
	s_mul_i32 s11, s11, s12
	s_mul_hi_u32 s11, s12, s11
	s_add_i32 s12, s12, s11
	s_mul_hi_u32 s11, s7, s12
	s_mul_i32 s12, s11, s2
	s_sub_i32 s7, s7, s12
	s_add_i32 s12, s11, 1
	s_sub_i32 s13, s7, s2
	s_cmp_ge_u32 s7, s2
	s_cselect_b32 s11, s12, s11
	s_cselect_b32 s7, s13, s7
	s_add_i32 s12, s11, 1
	s_cmp_ge_u32 s7, s2
	s_cselect_b32 s2, s12, s11
	s_xor_b32 s2, s2, s3
	s_sub_i32 s14, s2, s3
	s_abs_i32 s11, s14
	v_cvt_f32_u32_e32 v0, s11
	s_load_dwordx2 s[2:3], s[4:5], 0x40
	s_sub_i32 s7, 0, s11
	s_abs_i32 s12, s6
	v_rcp_iflag_f32_e32 v0, v0
	v_mul_f32_e32 v0, 0x4f7ffffe, v0
	v_cvt_u32_f32_e32 v0, v0
	v_readfirstlane_b32 s13, v0
	s_mul_i32 s7, s7, s13
	s_mul_hi_u32 s7, s13, s7
	s_add_i32 s13, s13, s7
	s_waitcnt lgkmcnt(0)
	s_cmp_eq_u64 s[2:3], 0
	s_mul_hi_u32 s13, s12, s13
	s_cbranch_scc1 .LBB183_2
; %bb.1:
	s_ashr_i32 s7, s6, 31
	s_lshl_b64 s[16:17], s[6:7], 2
	s_add_u32 s2, s2, s16
	s_addc_u32 s3, s3, s17
	s_load_dword s48, s[2:3], 0x0
.LBB183_2:
	s_load_dword s33, s[0:1], 0x0
	s_load_dwordx4 s[16:19], s[4:5], 0x48
	v_lshrrev_b32_e32 v0, 2, v13
	s_movk_i32 s2, 0x60
	s_ashr_i32 s3, s6, 31
	s_ashr_i32 s7, s14, 31
	v_and_b32_e32 v14, 3, v13
	s_mul_i32 s24, s6, 0x60
	v_cmp_gt_u32_e32 vcc, s2, v13
	v_lshlrev_b32_e32 v16, 2, v13
	buffer_store_dword v0, off, s[56:59], 0 offset:40 ; 4-byte Folded Spill
	v_lshlrev_b32_e32 v0, 2, v0
	buffer_store_dword v0, off, s[56:59], 0 offset:36 ; 4-byte Folded Spill
	s_and_saveexec_b64 s[0:1], vcc
	s_cbranch_execz .LBB183_4
; %bb.3:
	s_load_dwordx2 s[14:15], s[4:5], 0x8
	s_waitcnt lgkmcnt(0)
	s_mul_i32 s20, s16, s10
	s_ashr_i32 s21, s20, 31
	s_lshl_b64 s[20:21], s[20:21], 2
	v_lshrrev_b32_e32 v1, 2, v13
	s_add_u32 s16, s14, s20
	s_addc_u32 s19, s15, s21
	s_ashr_i32 s25, s24, 31
	s_lshl_b64 s[14:15], s[24:25], 2
	s_add_u32 s14, s16, s14
	s_addc_u32 s15, s19, s15
	global_load_dword v0, v16, s[14:15]
	v_lshlrev_b32_e32 v1, 2, v1
	v_mad_u32_u24 v1, v14, s2, v1
	s_waitcnt vmcnt(0)
	ds_write_b32 v1, v0
.LBB183_4:
	s_or_b64 exec, exec, s[0:1]
	s_mul_i32 s1, s13, s11
	s_sub_i32 s1, s12, s1
	s_xor_b32 s0, s3, s7
	s_add_i32 s3, s13, 1
	s_sub_i32 s7, s1, s11
	s_load_dwordx4 s[20:23], s[4:5], 0x68
	s_load_dword s2, s[4:5], 0x78
	s_cmp_ge_u32 s1, s11
	s_cselect_b32 s3, s3, s13
	s_cselect_b32 s1, s7, s1
	s_add_i32 s7, s3, 1
	s_cmp_ge_u32 s1, s11
	s_cselect_b32 s1, s7, s3
	s_waitcnt lgkmcnt(0)
	s_abs_i32 s25, s23
	v_cvt_f32_u32_e32 v0, s25
	s_xor_b32 s1, s1, s0
	s_sub_i32 s47, s1, s0
	s_sub_i32 s0, 0, s25
	v_rcp_iflag_f32_e32 v0, v0
	s_add_i32 s11, s33, -1
	s_abs_i32 s3, s11
	v_mul_f32_e32 v0, 0x4f7ffffe, v0
	v_cvt_u32_f32_e32 v0, v0
	s_waitcnt vmcnt(0)
	s_barrier
	v_readfirstlane_b32 s46, v0
	s_mul_i32 s0, s0, s46
	s_mul_hi_u32 s0, s46, s0
	s_add_i32 s46, s46, s0
	s_cmp_lt_i32 s2, 0
	s_mul_hi_u32 s7, s3, s46
	s_cbranch_scc0 .LBB183_6
; %bb.5:
	s_mul_i32 s0, s20, s36
	s_add_i32 s0, s47, s0
	s_mul_i32 s0, s0, s2
	s_sub_i32 s36, 1, s0
	s_mov_b64 s[0:1], 0
	s_branch .LBB183_7
.LBB183_6:
	s_mov_b64 s[0:1], -1
                                        ; implicit-def: $sgpr36
.LBB183_7:
	s_load_dwordx2 s[28:29], s[4:5], 0x28
	s_ashr_i32 s16, s11, 31
	s_andn2_b64 vcc, exec, s[0:1]
	s_ashr_i32 s23, s23, 31
	s_cbranch_vccnz .LBB183_9
; %bb.8:
	s_mul_i32 s0, s9, s20
	s_add_i32 s0, s0, s6
	s_mul_i32 s0, s0, s2
	s_add_i32 s36, s0, 1
.LBB183_9:
	s_load_dword s0, s[4:5], 0x38
	s_load_dwordx2 s[26:27], s[4:5], 0x0
	s_load_dwordx2 s[34:35], s[4:5], 0x18
	s_load_dword s11, s[4:5], 0x88
	s_load_dwordx4 s[12:15], s[4:5], 0x58
	s_mul_i32 s1, s7, s25
	s_waitcnt lgkmcnt(0)
	s_mul_i32 s30, s0, s10
	s_sub_i32 s1, s3, s1
	s_ashr_i32 s31, s30, 31
	s_xor_b32 s0, s16, s23
	s_add_i32 s2, s7, 1
	s_sub_i32 s3, s1, s25
	s_cmp_ge_u32 s1, s25
	s_cselect_b32 s2, s2, s7
	s_cselect_b32 s1, s3, s1
	s_add_i32 s3, s2, 1
	s_cmp_ge_u32 s1, s25
	s_cselect_b32 s1, s3, s2
	s_xor_b32 s1, s1, s0
	s_sub_i32 s16, s1, s0
	s_add_i32 s0, s33, 15
	s_ashr_i32 s1, s0, 31
	s_lshr_b32 s1, s1, 28
	s_add_i32 s0, s0, s1
	s_ashr_i32 s20, s0, 4
	v_lshrrev_b32_e32 v35, 6, v13
	v_cmp_gt_i32_e64 s[0:1], s20, v35
	v_mov_b32_e32 v5, 0xff7fffff
	s_mul_i32 s47, s47, s18
	v_lshrrev_b32_e32 v17, 4, v13
	v_lshlrev_b32_e32 v36, 4, v35
	v_mbcnt_lo_u32_b32 v4, -1, 0
	s_mov_b64 s[18:19], exec
	s_and_b64 s[2:3], s[18:19], s[0:1]
	buffer_store_dword v13, off, s[56:59], 0 offset:28 ; 4-byte Folded Spill
	buffer_store_dword v14, off, s[56:59], 0 offset:32 ; 4-byte Folded Spill
	s_mov_b64 exec, s[2:3]
	s_cbranch_execz .LBB183_165
; %bb.10:
	s_load_dwordx2 s[2:3], s[4:5], 0x10
	s_sub_i32 s49, s16, s21
	s_ashr_i32 s4, s47, 31
	v_bfe_u32 v5, v13, 2, 4
	v_lshlrev_b32_e32 v1, 4, v5
	s_waitcnt lgkmcnt(0)
	s_add_u32 s5, s2, s47
	s_addc_u32 s4, s3, s4
	s_abs_i32 s50, s22
	v_cvt_f32_u32_e32 v0, s50
	v_mov_b32_e32 v2, s4
	s_sub_i32 s4, 0, s50
	buffer_store_dword v16, off, s[56:59], 0 offset:44 ; 4-byte Folded Spill
	v_rcp_iflag_f32_e32 v0, v0
	v_cmp_eq_u32_e32 vcc, 0, v14
	s_mov_b32 s51, s17
	v_mul_u32_u24_e32 v41, 0x60, v14
	v_mul_f32_e32 v0, 0x4f7ffffe, v0
	v_cvt_u32_f32_e32 v0, v0
	v_cmp_neq_f32_e64 s[2:3], s48, 0
	v_lshlrev_b32_e32 v44, 4, v35
	s_mov_b64 s[38:39], 0
	v_mul_lo_u32 v3, s4, v0
	v_add_co_u32_e64 v1, s[4:5], s5, v1
	v_addc_co_u32_e64 v2, s[4:5], 0, v2, s[4:5]
	v_mul_hi_u32 v3, v0, v3
	v_add_co_u32_e64 v1, s[4:5], v1, v14
	v_addc_co_u32_e64 v2, s[4:5], 0, v2, s[4:5]
	s_lshl_b64 s[4:5], s[30:31], 2
	v_add_u32_e32 v0, v0, v3
	s_add_u32 s4, s28, s4
	buffer_store_dword v1, off, s[56:59], 0 offset:8 ; 4-byte Folded Spill
	s_nop 0
	buffer_store_dword v2, off, s[56:59], 0 offset:12 ; 4-byte Folded Spill
	buffer_store_dword v0, off, s[56:59], 0 ; 4-byte Folded Spill
	buffer_store_dword v17, off, s[56:59], 0 offset:48 ; 4-byte Folded Spill
	v_and_b32_e32 v0, 60, v17
	s_addc_u32 s5, s29, s5
	v_mov_b32_e32 v1, s5
	v_add_co_u32_e64 v27, s[4:5], s4, v0
	v_subrev_u32_e32 v0, s33, v5
	v_add_u32_e32 v0, 1, v0
	buffer_store_dword v0, off, s[56:59], 0 offset:24 ; 4-byte Folded Spill
	buffer_store_dword v5, off, s[56:59], 0 offset:20 ; 4-byte Folded Spill
	v_lshlrev_b32_e32 v0, 2, v5
	v_lshl_or_b32 v0, v35, 6, v0
	v_add_u32_e32 v46, 0x190, v0
	v_mbcnt_hi_u32_b32 v0, -1, v4
	v_addc_co_u32_e64 v28, s[4:5], 0, v1, s[4:5]
	s_movk_i32 s52, 0x80
	s_movk_i32 s53, 0x7f
	buffer_store_dword v0, off, s[56:59], 0 offset:16 ; 4-byte Folded Spill
	v_mov_b32_e32 v0, 0xff7fffff
	v_mov_b32_e32 v49, v35
	buffer_store_dword v0, off, s[56:59], 0 offset:4 ; 4-byte Folded Spill
	s_branch .LBB183_13
.LBB183_11:                             ;   in Loop: Header=BB183_13 Depth=1
	s_or_b64 exec, exec, s[40:41]
.LBB183_12:                             ;   in Loop: Header=BB183_13 Depth=1
	s_or_b64 exec, exec, s[6:7]
	v_add_co_u32_e64 v27, s[4:5], 8, v27
	v_add_u32_e32 v49, 2, v49
	v_addc_co_u32_e64 v28, s[4:5], 0, v28, s[4:5]
	v_cmp_le_i32_e64 s[4:5], s20, v49
	v_add_u32_e32 v44, 32, v44
	s_or_b64 s[38:39], s[4:5], s[38:39]
	v_add_u32_e32 v46, 0x80, v46
	s_andn2_b64 exec, exec, s[38:39]
	s_cbranch_execz .LBB183_164
.LBB183_13:                             ; =>This Inner Loop Header: Depth=1
	buffer_load_dword v3, off, s[56:59], 0  ; 4-byte Folded Reload
	v_mul_hi_u32 v0, v44, s46
	v_mul_lo_u32 v1, v0, s25
	s_waitcnt lgkmcnt(0)
	v_add_u32_e32 v2, 1, v0
	v_sub_u32_e32 v1, v44, v1
	v_cmp_le_u32_e64 s[4:5], s25, v1
	v_cndmask_b32_e64 v0, v0, v2, s[4:5]
	v_subrev_u32_e32 v2, s25, v1
	v_cndmask_b32_e64 v1, v1, v2, s[4:5]
	v_add_u32_e32 v2, 1, v0
	v_cmp_le_u32_e64 s[4:5], s25, v1
	v_cndmask_b32_e64 v0, v0, v2, s[4:5]
	v_xor_b32_e32 v0, s23, v0
	v_subrev_u32_e32 v0, s23, v0
	v_add_u32_e32 v1, s36, v0
	v_sub_u32_e32 v2, 0, v1
	v_max_i32_e32 v2, v1, v2
	v_ashrrev_i32_e32 v1, 31, v1
	v_cmp_ge_i32_e64 s[6:7], s49, v0
	s_waitcnt vmcnt(0)
	v_mul_hi_u32 v3, v2, v3
	v_mul_lo_u32 v3, v3, s50
	v_sub_u32_e32 v2, v2, v3
	v_subrev_u32_e32 v3, s50, v2
	v_cmp_le_u32_e64 s[4:5], s50, v2
	v_cndmask_b32_e64 v2, v2, v3, s[4:5]
	v_subrev_u32_e32 v3, s50, v2
	v_cmp_le_u32_e64 s[4:5], s50, v2
	v_cndmask_b32_e64 v2, v2, v3, s[4:5]
	v_xor_b32_e32 v2, v2, v1
	v_sub_u32_e32 v1, v2, v1
	v_cmp_ne_u32_e64 s[4:5], 0, v1
	s_and_b64 s[4:5], s[4:5], s[6:7]
	s_and_saveexec_b64 s[6:7], s[4:5]
	s_xor_b64 s[4:5], exec, s[6:7]
	s_cbranch_execz .LBB183_17
; %bb.14:                               ;   in Loop: Header=BB183_13 Depth=1
	s_and_saveexec_b64 s[6:7], vcc
; %bb.15:                               ;   in Loop: Header=BB183_13 Depth=1
	v_mov_b32_e32 v0, 0xff7fffff
	ds_write_b32 v46, v0
; %bb.16:                               ;   in Loop: Header=BB183_13 Depth=1
	s_or_b64 exec, exec, s[6:7]
.LBB183_17:                             ;   in Loop: Header=BB183_13 Depth=1
	s_andn2_saveexec_b64 s[6:7], s[4:5]
	s_cbranch_execz .LBB183_12
; %bb.18:                               ;   in Loop: Header=BB183_13 Depth=1
	global_load_dword v0, v[27:28], off
	buffer_load_dword v1, off, s[56:59], 0 offset:8 ; 4-byte Folded Reload
	buffer_load_dword v2, off, s[56:59], 0 offset:12 ; 4-byte Folded Reload
	v_mov_b32_e32 v51, 0
	v_mov_b32_e32 v50, 0
	s_waitcnt vmcnt(0)
	v_mad_i64_i32 v[29:30], s[4:5], v0, s51, v[1:2]
	global_load_ubyte v25, v[29:30], off
	ds_read_b128 v[21:24], v41
	ds_read_b128 v[13:16], v41 offset:16
	s_load_dword s54, s[12:13], 0x0
	ds_read_b128 v[17:20], v41 offset:32
	ds_read_b128 v[9:12], v41 offset:48
	;; [unrolled: 1-line block ×4, first 2 shown]
	s_waitcnt vmcnt(0)
	v_cmp_ne_u16_e64 s[4:5], 0, v25
	s_and_saveexec_b64 s[40:41], s[4:5]
	s_cbranch_execz .LBB183_24
; %bb.19:                               ;   in Loop: Header=BB183_13 Depth=1
	v_cmp_ne_u16_e64 s[4:5], s52, v25
	v_bfrev_b32_e32 v50, 1
	s_and_saveexec_b64 s[42:43], s[4:5]
	s_cbranch_execz .LBB183_23
; %bb.20:                               ;   in Loop: Header=BB183_13 Depth=1
	v_and_b32_e32 v31, 0xffff, v25
	v_and_b32_e32 v26, 0x7f, v31
	v_cmp_ne_u32_e64 s[4:5], s53, v26
	v_mov_b32_e32 v50, 0x7f800001
	s_and_saveexec_b64 s[44:45], s[4:5]
	s_cbranch_execz .LBB183_22
; %bb.21:                               ;   in Loop: Header=BB183_13 Depth=1
	v_and_b32_e32 v0, 7, v31
	v_ffbh_u32_e32 v32, v0
	v_min_u32_e32 v34, 32, v32
	v_subrev_u32_e32 v32, 28, v34
	v_lshlrev_b64 v[31:32], v32, v[31:32]
	v_lshrrev_b32_e32 v33, 3, v26
	v_sub_u32_e32 v32, 29, v34
	v_and_b32_e32 v31, 7, v31
	v_cmp_gt_u32_e64 s[4:5], 8, v26
	v_cndmask_b32_e64 v26, v33, v32, s[4:5]
	v_cndmask_b32_e64 v0, v0, v31, s[4:5]
	v_lshlrev_b32_e32 v25, 24, v25
	v_bfrev_b32_e32 v31, 60
	v_lshlrev_b32_e32 v0, 20, v0
	v_and_b32_e32 v25, 0x80000000, v25
	v_lshl_add_u32 v26, v26, 23, v31
	v_or3_b32 v50, v25, v26, v0
.LBB183_22:                             ;   in Loop: Header=BB183_13 Depth=1
	s_or_b64 exec, exec, s[44:45]
.LBB183_23:                             ;   in Loop: Header=BB183_13 Depth=1
	s_or_b64 exec, exec, s[42:43]
.LBB183_24:                             ;   in Loop: Header=BB183_13 Depth=1
	s_or_b64 exec, exec, s[40:41]
	global_load_ubyte v25, v[29:30], off offset:4
	s_waitcnt vmcnt(0)
	v_cmp_ne_u16_e64 s[4:5], 0, v25
	s_and_saveexec_b64 s[40:41], s[4:5]
	s_cbranch_execz .LBB183_30
; %bb.25:                               ;   in Loop: Header=BB183_13 Depth=1
	v_cmp_ne_u16_e64 s[4:5], s52, v25
	v_bfrev_b32_e32 v51, 1
	s_and_saveexec_b64 s[42:43], s[4:5]
	s_cbranch_execz .LBB183_29
; %bb.26:                               ;   in Loop: Header=BB183_13 Depth=1
	v_and_b32_e32 v31, 0xffff, v25
	v_and_b32_e32 v26, 0x7f, v31
	v_cmp_ne_u32_e64 s[4:5], s53, v26
	v_mov_b32_e32 v51, 0x7f800001
	s_and_saveexec_b64 s[44:45], s[4:5]
	s_cbranch_execz .LBB183_28
; %bb.27:                               ;   in Loop: Header=BB183_13 Depth=1
	v_and_b32_e32 v0, 7, v31
	v_ffbh_u32_e32 v32, v0
	v_min_u32_e32 v34, 32, v32
	v_subrev_u32_e32 v32, 28, v34
	v_lshlrev_b64 v[31:32], v32, v[31:32]
	v_lshrrev_b32_e32 v33, 3, v26
	v_sub_u32_e32 v32, 29, v34
	v_and_b32_e32 v31, 7, v31
	v_cmp_gt_u32_e64 s[4:5], 8, v26
	v_cndmask_b32_e64 v26, v33, v32, s[4:5]
	v_cndmask_b32_e64 v0, v0, v31, s[4:5]
	v_lshlrev_b32_e32 v25, 24, v25
	v_bfrev_b32_e32 v31, 60
	v_lshlrev_b32_e32 v0, 20, v0
	v_and_b32_e32 v25, 0x80000000, v25
	v_lshl_add_u32 v26, v26, 23, v31
	v_or3_b32 v51, v25, v26, v0
.LBB183_28:                             ;   in Loop: Header=BB183_13 Depth=1
	s_or_b64 exec, exec, s[44:45]
.LBB183_29:                             ;   in Loop: Header=BB183_13 Depth=1
	s_or_b64 exec, exec, s[42:43]
.LBB183_30:                             ;   in Loop: Header=BB183_13 Depth=1
	s_or_b64 exec, exec, s[40:41]
	global_load_ubyte v25, v[29:30], off offset:8
	v_mov_b32_e32 v52, 0
	v_mov_b32_e32 v53, 0
	s_waitcnt vmcnt(0)
	v_cmp_ne_u16_e64 s[4:5], 0, v25
	s_and_saveexec_b64 s[40:41], s[4:5]
	s_cbranch_execz .LBB183_36
; %bb.31:                               ;   in Loop: Header=BB183_13 Depth=1
	v_cmp_ne_u16_e64 s[4:5], s52, v25
	v_bfrev_b32_e32 v53, 1
	s_and_saveexec_b64 s[42:43], s[4:5]
	s_cbranch_execz .LBB183_35
; %bb.32:                               ;   in Loop: Header=BB183_13 Depth=1
	v_and_b32_e32 v31, 0xffff, v25
	v_and_b32_e32 v26, 0x7f, v31
	v_cmp_ne_u32_e64 s[4:5], s53, v26
	v_mov_b32_e32 v53, 0x7f800001
	s_and_saveexec_b64 s[44:45], s[4:5]
	s_cbranch_execz .LBB183_34
; %bb.33:                               ;   in Loop: Header=BB183_13 Depth=1
	v_and_b32_e32 v0, 7, v31
	v_ffbh_u32_e32 v32, v0
	v_min_u32_e32 v34, 32, v32
	v_subrev_u32_e32 v32, 28, v34
	v_lshlrev_b64 v[31:32], v32, v[31:32]
	v_lshrrev_b32_e32 v33, 3, v26
	v_sub_u32_e32 v32, 29, v34
	v_and_b32_e32 v31, 7, v31
	v_cmp_gt_u32_e64 s[4:5], 8, v26
	v_cndmask_b32_e64 v26, v33, v32, s[4:5]
	v_cndmask_b32_e64 v0, v0, v31, s[4:5]
	v_lshlrev_b32_e32 v25, 24, v25
	v_bfrev_b32_e32 v31, 60
	v_lshlrev_b32_e32 v0, 20, v0
	v_and_b32_e32 v25, 0x80000000, v25
	v_lshl_add_u32 v26, v26, 23, v31
	v_or3_b32 v53, v25, v26, v0
.LBB183_34:                             ;   in Loop: Header=BB183_13 Depth=1
	s_or_b64 exec, exec, s[44:45]
.LBB183_35:                             ;   in Loop: Header=BB183_13 Depth=1
	s_or_b64 exec, exec, s[42:43]
.LBB183_36:                             ;   in Loop: Header=BB183_13 Depth=1
	s_or_b64 exec, exec, s[40:41]
	global_load_ubyte v25, v[29:30], off offset:12
	s_waitcnt vmcnt(0)
	v_cmp_ne_u16_e64 s[4:5], 0, v25
	s_and_saveexec_b64 s[40:41], s[4:5]
	s_cbranch_execz .LBB183_42
; %bb.37:                               ;   in Loop: Header=BB183_13 Depth=1
	v_cmp_ne_u16_e64 s[4:5], s52, v25
	v_bfrev_b32_e32 v52, 1
	s_and_saveexec_b64 s[42:43], s[4:5]
	s_cbranch_execz .LBB183_41
; %bb.38:                               ;   in Loop: Header=BB183_13 Depth=1
	v_and_b32_e32 v31, 0xffff, v25
	v_and_b32_e32 v26, 0x7f, v31
	v_cmp_ne_u32_e64 s[4:5], s53, v26
	v_mov_b32_e32 v52, 0x7f800001
	s_and_saveexec_b64 s[44:45], s[4:5]
	s_cbranch_execz .LBB183_40
; %bb.39:                               ;   in Loop: Header=BB183_13 Depth=1
	v_and_b32_e32 v0, 7, v31
	v_ffbh_u32_e32 v32, v0
	v_min_u32_e32 v34, 32, v32
	v_subrev_u32_e32 v32, 28, v34
	v_lshlrev_b64 v[31:32], v32, v[31:32]
	v_lshrrev_b32_e32 v33, 3, v26
	v_sub_u32_e32 v32, 29, v34
	v_and_b32_e32 v31, 7, v31
	v_cmp_gt_u32_e64 s[4:5], 8, v26
	v_cndmask_b32_e64 v26, v33, v32, s[4:5]
	v_cndmask_b32_e64 v0, v0, v31, s[4:5]
	v_lshlrev_b32_e32 v25, 24, v25
	v_bfrev_b32_e32 v31, 60
	v_lshlrev_b32_e32 v0, 20, v0
	v_and_b32_e32 v25, 0x80000000, v25
	v_lshl_add_u32 v26, v26, 23, v31
	v_or3_b32 v52, v25, v26, v0
.LBB183_40:                             ;   in Loop: Header=BB183_13 Depth=1
	s_or_b64 exec, exec, s[44:45]
.LBB183_41:                             ;   in Loop: Header=BB183_13 Depth=1
	s_or_b64 exec, exec, s[42:43]
.LBB183_42:                             ;   in Loop: Header=BB183_13 Depth=1
	s_or_b64 exec, exec, s[40:41]
	global_load_ubyte v25, v[29:30], off offset:256
	v_mov_b32_e32 v54, 0
	v_mov_b32_e32 v55, 0
	s_waitcnt vmcnt(0)
	v_cmp_ne_u16_e64 s[4:5], 0, v25
	s_and_saveexec_b64 s[40:41], s[4:5]
	s_cbranch_execz .LBB183_48
; %bb.43:                               ;   in Loop: Header=BB183_13 Depth=1
	v_cmp_ne_u16_e64 s[4:5], s52, v25
	v_bfrev_b32_e32 v55, 1
	s_and_saveexec_b64 s[42:43], s[4:5]
	s_cbranch_execz .LBB183_47
; %bb.44:                               ;   in Loop: Header=BB183_13 Depth=1
	v_and_b32_e32 v31, 0xffff, v25
	v_and_b32_e32 v26, 0x7f, v31
	v_cmp_ne_u32_e64 s[4:5], s53, v26
	v_mov_b32_e32 v55, 0x7f800001
	s_and_saveexec_b64 s[44:45], s[4:5]
	s_cbranch_execz .LBB183_46
; %bb.45:                               ;   in Loop: Header=BB183_13 Depth=1
	v_and_b32_e32 v0, 7, v31
	v_ffbh_u32_e32 v32, v0
	v_min_u32_e32 v34, 32, v32
	v_subrev_u32_e32 v32, 28, v34
	v_lshlrev_b64 v[31:32], v32, v[31:32]
	v_lshrrev_b32_e32 v33, 3, v26
	v_sub_u32_e32 v32, 29, v34
	v_and_b32_e32 v31, 7, v31
	v_cmp_gt_u32_e64 s[4:5], 8, v26
	v_cndmask_b32_e64 v26, v33, v32, s[4:5]
	v_cndmask_b32_e64 v0, v0, v31, s[4:5]
	v_lshlrev_b32_e32 v25, 24, v25
	v_bfrev_b32_e32 v31, 60
	v_lshlrev_b32_e32 v0, 20, v0
	v_and_b32_e32 v25, 0x80000000, v25
	v_lshl_add_u32 v26, v26, 23, v31
	v_or3_b32 v55, v25, v26, v0
.LBB183_46:                             ;   in Loop: Header=BB183_13 Depth=1
	s_or_b64 exec, exec, s[44:45]
.LBB183_47:                             ;   in Loop: Header=BB183_13 Depth=1
	s_or_b64 exec, exec, s[42:43]
.LBB183_48:                             ;   in Loop: Header=BB183_13 Depth=1
	s_or_b64 exec, exec, s[40:41]
	global_load_ubyte v25, v[29:30], off offset:260
	s_waitcnt vmcnt(0)
	v_cmp_ne_u16_e64 s[4:5], 0, v25
	s_and_saveexec_b64 s[40:41], s[4:5]
	s_cbranch_execz .LBB183_54
; %bb.49:                               ;   in Loop: Header=BB183_13 Depth=1
	v_cmp_ne_u16_e64 s[4:5], s52, v25
	v_bfrev_b32_e32 v54, 1
	s_and_saveexec_b64 s[42:43], s[4:5]
	s_cbranch_execz .LBB183_53
; %bb.50:                               ;   in Loop: Header=BB183_13 Depth=1
	v_and_b32_e32 v31, 0xffff, v25
	v_and_b32_e32 v26, 0x7f, v31
	v_cmp_ne_u32_e64 s[4:5], s53, v26
	v_mov_b32_e32 v54, 0x7f800001
	s_and_saveexec_b64 s[44:45], s[4:5]
	s_cbranch_execz .LBB183_52
; %bb.51:                               ;   in Loop: Header=BB183_13 Depth=1
	v_and_b32_e32 v0, 7, v31
	v_ffbh_u32_e32 v32, v0
	v_min_u32_e32 v34, 32, v32
	v_subrev_u32_e32 v32, 28, v34
	v_lshlrev_b64 v[31:32], v32, v[31:32]
	v_lshrrev_b32_e32 v33, 3, v26
	v_sub_u32_e32 v32, 29, v34
	v_and_b32_e32 v31, 7, v31
	v_cmp_gt_u32_e64 s[4:5], 8, v26
	v_cndmask_b32_e64 v26, v33, v32, s[4:5]
	v_cndmask_b32_e64 v0, v0, v31, s[4:5]
	v_lshlrev_b32_e32 v25, 24, v25
	v_bfrev_b32_e32 v31, 60
	v_lshlrev_b32_e32 v0, 20, v0
	v_and_b32_e32 v25, 0x80000000, v25
	v_lshl_add_u32 v26, v26, 23, v31
	v_or3_b32 v54, v25, v26, v0
.LBB183_52:                             ;   in Loop: Header=BB183_13 Depth=1
	s_or_b64 exec, exec, s[44:45]
.LBB183_53:                             ;   in Loop: Header=BB183_13 Depth=1
	s_or_b64 exec, exec, s[42:43]
.LBB183_54:                             ;   in Loop: Header=BB183_13 Depth=1
	s_or_b64 exec, exec, s[40:41]
	global_load_ubyte v25, v[29:30], off offset:264
	v_mov_b32_e32 v56, 0
	v_mov_b32_e32 v57, 0
	s_waitcnt vmcnt(0)
	v_cmp_ne_u16_e64 s[4:5], 0, v25
	s_and_saveexec_b64 s[40:41], s[4:5]
	s_cbranch_execz .LBB183_60
; %bb.55:                               ;   in Loop: Header=BB183_13 Depth=1
	v_cmp_ne_u16_e64 s[4:5], s52, v25
	v_bfrev_b32_e32 v57, 1
	s_and_saveexec_b64 s[42:43], s[4:5]
	s_cbranch_execz .LBB183_59
; %bb.56:                               ;   in Loop: Header=BB183_13 Depth=1
	v_and_b32_e32 v31, 0xffff, v25
	v_and_b32_e32 v26, 0x7f, v31
	v_cmp_ne_u32_e64 s[4:5], s53, v26
	v_mov_b32_e32 v57, 0x7f800001
	s_and_saveexec_b64 s[44:45], s[4:5]
	s_cbranch_execz .LBB183_58
; %bb.57:                               ;   in Loop: Header=BB183_13 Depth=1
	v_and_b32_e32 v0, 7, v31
	v_lshrrev_b32_e32 v33, 3, v26
	v_cmp_gt_u32_e64 s[4:5], 8, v26
	v_ffbh_u32_e32 v26, v0
	v_min_u32_e32 v26, 32, v26
	v_subrev_u32_e32 v32, 28, v26
	v_lshlrev_b64 v[31:32], v32, v[31:32]
	v_sub_u32_e32 v26, 29, v26
	v_and_b32_e32 v31, 7, v31
	v_cndmask_b32_e64 v26, v33, v26, s[4:5]
	v_cndmask_b32_e64 v0, v0, v31, s[4:5]
	v_lshlrev_b32_e32 v25, 24, v25
	v_bfrev_b32_e32 v31, 60
	v_lshlrev_b32_e32 v0, 20, v0
	v_and_b32_e32 v25, 0x80000000, v25
	v_lshl_add_u32 v26, v26, 23, v31
	v_or3_b32 v57, v25, v26, v0
.LBB183_58:                             ;   in Loop: Header=BB183_13 Depth=1
	s_or_b64 exec, exec, s[44:45]
.LBB183_59:                             ;   in Loop: Header=BB183_13 Depth=1
	s_or_b64 exec, exec, s[42:43]
.LBB183_60:                             ;   in Loop: Header=BB183_13 Depth=1
	s_or_b64 exec, exec, s[40:41]
	global_load_ubyte v25, v[29:30], off offset:268
	s_waitcnt vmcnt(0)
	v_cmp_ne_u16_e64 s[4:5], 0, v25
	s_and_saveexec_b64 s[40:41], s[4:5]
	s_cbranch_execz .LBB183_66
; %bb.61:                               ;   in Loop: Header=BB183_13 Depth=1
	v_cmp_ne_u16_e64 s[4:5], s52, v25
	v_bfrev_b32_e32 v56, 1
	s_and_saveexec_b64 s[42:43], s[4:5]
	s_cbranch_execz .LBB183_65
; %bb.62:                               ;   in Loop: Header=BB183_13 Depth=1
	v_and_b32_e32 v31, 0xffff, v25
	v_and_b32_e32 v26, 0x7f, v31
	v_cmp_ne_u32_e64 s[4:5], s53, v26
	v_mov_b32_e32 v56, 0x7f800001
	s_and_saveexec_b64 s[44:45], s[4:5]
	s_cbranch_execz .LBB183_64
; %bb.63:                               ;   in Loop: Header=BB183_13 Depth=1
	v_and_b32_e32 v0, 7, v31
	v_lshrrev_b32_e32 v33, 3, v26
	v_cmp_gt_u32_e64 s[4:5], 8, v26
	v_ffbh_u32_e32 v26, v0
	v_min_u32_e32 v26, 32, v26
	v_subrev_u32_e32 v32, 28, v26
	v_lshlrev_b64 v[31:32], v32, v[31:32]
	v_sub_u32_e32 v26, 29, v26
	v_and_b32_e32 v31, 7, v31
	v_cndmask_b32_e64 v26, v33, v26, s[4:5]
	v_cndmask_b32_e64 v0, v0, v31, s[4:5]
	v_lshlrev_b32_e32 v25, 24, v25
	v_bfrev_b32_e32 v31, 60
	v_lshlrev_b32_e32 v0, 20, v0
	v_and_b32_e32 v25, 0x80000000, v25
	v_lshl_add_u32 v26, v26, 23, v31
	v_or3_b32 v56, v25, v26, v0
.LBB183_64:                             ;   in Loop: Header=BB183_13 Depth=1
	s_or_b64 exec, exec, s[44:45]
.LBB183_65:                             ;   in Loop: Header=BB183_13 Depth=1
	s_or_b64 exec, exec, s[42:43]
.LBB183_66:                             ;   in Loop: Header=BB183_13 Depth=1
	s_or_b64 exec, exec, s[40:41]
	global_load_ubyte v25, v[29:30], off offset:512
	v_mov_b32_e32 v58, 0
	v_mov_b32_e32 v59, 0
	s_waitcnt vmcnt(0)
	v_cmp_ne_u16_e64 s[4:5], 0, v25
	s_and_saveexec_b64 s[40:41], s[4:5]
	s_cbranch_execz .LBB183_72
; %bb.67:                               ;   in Loop: Header=BB183_13 Depth=1
	v_cmp_ne_u16_e64 s[4:5], s52, v25
	v_bfrev_b32_e32 v59, 1
	s_and_saveexec_b64 s[42:43], s[4:5]
	s_cbranch_execz .LBB183_71
; %bb.68:                               ;   in Loop: Header=BB183_13 Depth=1
	v_and_b32_e32 v31, 0xffff, v25
	v_and_b32_e32 v26, 0x7f, v31
	v_cmp_ne_u32_e64 s[4:5], s53, v26
	v_mov_b32_e32 v59, 0x7f800001
	s_and_saveexec_b64 s[44:45], s[4:5]
	s_cbranch_execz .LBB183_70
; %bb.69:                               ;   in Loop: Header=BB183_13 Depth=1
	v_and_b32_e32 v0, 7, v31
	v_lshrrev_b32_e32 v33, 3, v26
	v_cmp_gt_u32_e64 s[4:5], 8, v26
	v_ffbh_u32_e32 v26, v0
	v_min_u32_e32 v26, 32, v26
	v_subrev_u32_e32 v32, 28, v26
	v_lshlrev_b64 v[31:32], v32, v[31:32]
	v_sub_u32_e32 v26, 29, v26
	v_and_b32_e32 v31, 7, v31
	v_cndmask_b32_e64 v26, v33, v26, s[4:5]
	v_cndmask_b32_e64 v0, v0, v31, s[4:5]
	v_lshlrev_b32_e32 v25, 24, v25
	v_bfrev_b32_e32 v31, 60
	v_lshlrev_b32_e32 v0, 20, v0
	v_and_b32_e32 v25, 0x80000000, v25
	v_lshl_add_u32 v26, v26, 23, v31
	v_or3_b32 v59, v25, v26, v0
.LBB183_70:                             ;   in Loop: Header=BB183_13 Depth=1
	s_or_b64 exec, exec, s[44:45]
.LBB183_71:                             ;   in Loop: Header=BB183_13 Depth=1
	s_or_b64 exec, exec, s[42:43]
.LBB183_72:                             ;   in Loop: Header=BB183_13 Depth=1
	s_or_b64 exec, exec, s[40:41]
	global_load_ubyte v25, v[29:30], off offset:516
	s_waitcnt vmcnt(0)
	v_cmp_ne_u16_e64 s[4:5], 0, v25
	s_and_saveexec_b64 s[40:41], s[4:5]
	s_cbranch_execz .LBB183_78
; %bb.73:                               ;   in Loop: Header=BB183_13 Depth=1
	v_cmp_ne_u16_e64 s[4:5], s52, v25
	v_bfrev_b32_e32 v58, 1
	s_and_saveexec_b64 s[42:43], s[4:5]
	s_cbranch_execz .LBB183_77
; %bb.74:                               ;   in Loop: Header=BB183_13 Depth=1
	v_and_b32_e32 v31, 0xffff, v25
	v_and_b32_e32 v26, 0x7f, v31
	v_cmp_ne_u32_e64 s[4:5], s53, v26
	v_mov_b32_e32 v58, 0x7f800001
	s_and_saveexec_b64 s[44:45], s[4:5]
	s_cbranch_execz .LBB183_76
; %bb.75:                               ;   in Loop: Header=BB183_13 Depth=1
	v_and_b32_e32 v0, 7, v31
	v_lshrrev_b32_e32 v33, 3, v26
	v_cmp_gt_u32_e64 s[4:5], 8, v26
	v_ffbh_u32_e32 v26, v0
	v_min_u32_e32 v26, 32, v26
	v_subrev_u32_e32 v32, 28, v26
	v_lshlrev_b64 v[31:32], v32, v[31:32]
	v_sub_u32_e32 v26, 29, v26
	v_and_b32_e32 v31, 7, v31
	v_cndmask_b32_e64 v26, v33, v26, s[4:5]
	v_cndmask_b32_e64 v0, v0, v31, s[4:5]
	v_lshlrev_b32_e32 v25, 24, v25
	v_bfrev_b32_e32 v31, 60
	v_lshlrev_b32_e32 v0, 20, v0
	v_and_b32_e32 v25, 0x80000000, v25
	v_lshl_add_u32 v26, v26, 23, v31
	v_or3_b32 v58, v25, v26, v0
.LBB183_76:                             ;   in Loop: Header=BB183_13 Depth=1
	s_or_b64 exec, exec, s[44:45]
.LBB183_77:                             ;   in Loop: Header=BB183_13 Depth=1
	s_or_b64 exec, exec, s[42:43]
.LBB183_78:                             ;   in Loop: Header=BB183_13 Depth=1
	s_or_b64 exec, exec, s[40:41]
	global_load_ubyte v25, v[29:30], off offset:520
	v_mov_b32_e32 v60, 0
	v_mov_b32_e32 v61, 0
	s_waitcnt vmcnt(0)
	v_cmp_ne_u16_e64 s[4:5], 0, v25
	s_and_saveexec_b64 s[40:41], s[4:5]
	s_cbranch_execz .LBB183_84
; %bb.79:                               ;   in Loop: Header=BB183_13 Depth=1
	v_cmp_ne_u16_e64 s[4:5], s52, v25
	v_bfrev_b32_e32 v61, 1
	s_and_saveexec_b64 s[42:43], s[4:5]
	s_cbranch_execz .LBB183_83
; %bb.80:                               ;   in Loop: Header=BB183_13 Depth=1
	v_and_b32_e32 v31, 0xffff, v25
	v_and_b32_e32 v26, 0x7f, v31
	v_cmp_ne_u32_e64 s[4:5], s53, v26
	v_mov_b32_e32 v61, 0x7f800001
	s_and_saveexec_b64 s[44:45], s[4:5]
	s_cbranch_execz .LBB183_82
; %bb.81:                               ;   in Loop: Header=BB183_13 Depth=1
	v_and_b32_e32 v0, 7, v31
	v_lshrrev_b32_e32 v33, 3, v26
	v_cmp_gt_u32_e64 s[4:5], 8, v26
	v_ffbh_u32_e32 v26, v0
	v_min_u32_e32 v26, 32, v26
	v_subrev_u32_e32 v32, 28, v26
	v_lshlrev_b64 v[31:32], v32, v[31:32]
	v_sub_u32_e32 v26, 29, v26
	v_and_b32_e32 v31, 7, v31
	v_cndmask_b32_e64 v26, v33, v26, s[4:5]
	v_cndmask_b32_e64 v0, v0, v31, s[4:5]
	v_lshlrev_b32_e32 v25, 24, v25
	v_bfrev_b32_e32 v31, 60
	v_lshlrev_b32_e32 v0, 20, v0
	v_and_b32_e32 v25, 0x80000000, v25
	v_lshl_add_u32 v26, v26, 23, v31
	v_or3_b32 v61, v25, v26, v0
.LBB183_82:                             ;   in Loop: Header=BB183_13 Depth=1
	s_or_b64 exec, exec, s[44:45]
.LBB183_83:                             ;   in Loop: Header=BB183_13 Depth=1
	s_or_b64 exec, exec, s[42:43]
.LBB183_84:                             ;   in Loop: Header=BB183_13 Depth=1
	s_or_b64 exec, exec, s[40:41]
	global_load_ubyte v25, v[29:30], off offset:524
	s_waitcnt vmcnt(0)
	v_cmp_ne_u16_e64 s[4:5], 0, v25
	s_and_saveexec_b64 s[40:41], s[4:5]
	s_cbranch_execz .LBB183_90
; %bb.85:                               ;   in Loop: Header=BB183_13 Depth=1
	v_cmp_ne_u16_e64 s[4:5], s52, v25
	v_bfrev_b32_e32 v60, 1
	s_and_saveexec_b64 s[42:43], s[4:5]
	s_cbranch_execz .LBB183_89
; %bb.86:                               ;   in Loop: Header=BB183_13 Depth=1
	v_and_b32_e32 v31, 0xffff, v25
	v_and_b32_e32 v26, 0x7f, v31
	v_cmp_ne_u32_e64 s[4:5], s53, v26
	v_mov_b32_e32 v60, 0x7f800001
	s_and_saveexec_b64 s[44:45], s[4:5]
	s_cbranch_execz .LBB183_88
; %bb.87:                               ;   in Loop: Header=BB183_13 Depth=1
	v_and_b32_e32 v0, 7, v31
	v_lshrrev_b32_e32 v33, 3, v26
	v_cmp_gt_u32_e64 s[4:5], 8, v26
	v_ffbh_u32_e32 v26, v0
	v_min_u32_e32 v26, 32, v26
	v_subrev_u32_e32 v32, 28, v26
	v_lshlrev_b64 v[31:32], v32, v[31:32]
	v_sub_u32_e32 v26, 29, v26
	v_and_b32_e32 v31, 7, v31
	v_cndmask_b32_e64 v26, v33, v26, s[4:5]
	v_cndmask_b32_e64 v0, v0, v31, s[4:5]
	v_lshlrev_b32_e32 v25, 24, v25
	v_bfrev_b32_e32 v31, 60
	v_lshlrev_b32_e32 v0, 20, v0
	v_and_b32_e32 v25, 0x80000000, v25
	v_lshl_add_u32 v26, v26, 23, v31
	v_or3_b32 v60, v25, v26, v0
.LBB183_88:                             ;   in Loop: Header=BB183_13 Depth=1
	s_or_b64 exec, exec, s[44:45]
.LBB183_89:                             ;   in Loop: Header=BB183_13 Depth=1
	s_or_b64 exec, exec, s[42:43]
.LBB183_90:                             ;   in Loop: Header=BB183_13 Depth=1
	s_or_b64 exec, exec, s[40:41]
	global_load_ubyte v25, v[29:30], off offset:768
	v_mov_b32_e32 v62, 0
	v_mov_b32_e32 v63, 0
	s_waitcnt vmcnt(0)
	v_cmp_ne_u16_e64 s[4:5], 0, v25
	s_and_saveexec_b64 s[40:41], s[4:5]
	s_cbranch_execz .LBB183_96
; %bb.91:                               ;   in Loop: Header=BB183_13 Depth=1
	v_cmp_ne_u16_e64 s[4:5], s52, v25
	v_bfrev_b32_e32 v63, 1
	s_and_saveexec_b64 s[42:43], s[4:5]
	s_cbranch_execz .LBB183_95
; %bb.92:                               ;   in Loop: Header=BB183_13 Depth=1
	v_and_b32_e32 v31, 0xffff, v25
	v_and_b32_e32 v26, 0x7f, v31
	v_cmp_ne_u32_e64 s[4:5], s53, v26
	v_mov_b32_e32 v63, 0x7f800001
	s_and_saveexec_b64 s[44:45], s[4:5]
	s_cbranch_execz .LBB183_94
; %bb.93:                               ;   in Loop: Header=BB183_13 Depth=1
	v_and_b32_e32 v0, 7, v31
	v_lshrrev_b32_e32 v33, 3, v26
	v_cmp_gt_u32_e64 s[4:5], 8, v26
	v_ffbh_u32_e32 v26, v0
	v_min_u32_e32 v26, 32, v26
	v_subrev_u32_e32 v32, 28, v26
	v_lshlrev_b64 v[31:32], v32, v[31:32]
	v_sub_u32_e32 v26, 29, v26
	v_and_b32_e32 v31, 7, v31
	v_cndmask_b32_e64 v26, v33, v26, s[4:5]
	v_cndmask_b32_e64 v0, v0, v31, s[4:5]
	v_lshlrev_b32_e32 v25, 24, v25
	v_bfrev_b32_e32 v31, 60
	v_lshlrev_b32_e32 v0, 20, v0
	v_and_b32_e32 v25, 0x80000000, v25
	v_lshl_add_u32 v26, v26, 23, v31
	v_or3_b32 v63, v25, v26, v0
.LBB183_94:                             ;   in Loop: Header=BB183_13 Depth=1
	s_or_b64 exec, exec, s[44:45]
.LBB183_95:                             ;   in Loop: Header=BB183_13 Depth=1
	s_or_b64 exec, exec, s[42:43]
.LBB183_96:                             ;   in Loop: Header=BB183_13 Depth=1
	s_or_b64 exec, exec, s[40:41]
	global_load_ubyte v25, v[29:30], off offset:772
	s_waitcnt vmcnt(0)
	v_cmp_ne_u16_e64 s[4:5], 0, v25
	s_and_saveexec_b64 s[40:41], s[4:5]
	s_cbranch_execz .LBB183_102
; %bb.97:                               ;   in Loop: Header=BB183_13 Depth=1
	v_cmp_ne_u16_e64 s[4:5], s52, v25
	v_bfrev_b32_e32 v62, 1
	s_and_saveexec_b64 s[42:43], s[4:5]
	s_cbranch_execz .LBB183_101
; %bb.98:                               ;   in Loop: Header=BB183_13 Depth=1
	v_and_b32_e32 v31, 0xffff, v25
	v_and_b32_e32 v26, 0x7f, v31
	v_cmp_ne_u32_e64 s[4:5], s53, v26
	v_mov_b32_e32 v62, 0x7f800001
	s_and_saveexec_b64 s[44:45], s[4:5]
	s_cbranch_execz .LBB183_100
; %bb.99:                               ;   in Loop: Header=BB183_13 Depth=1
	v_and_b32_e32 v0, 7, v31
	v_lshrrev_b32_e32 v33, 3, v26
	v_cmp_gt_u32_e64 s[4:5], 8, v26
	v_ffbh_u32_e32 v26, v0
	v_min_u32_e32 v26, 32, v26
	v_subrev_u32_e32 v32, 28, v26
	v_lshlrev_b64 v[31:32], v32, v[31:32]
	v_sub_u32_e32 v26, 29, v26
	v_and_b32_e32 v31, 7, v31
	v_cndmask_b32_e64 v26, v33, v26, s[4:5]
	v_cndmask_b32_e64 v0, v0, v31, s[4:5]
	v_lshlrev_b32_e32 v25, 24, v25
	v_bfrev_b32_e32 v31, 60
	v_lshlrev_b32_e32 v0, 20, v0
	v_and_b32_e32 v25, 0x80000000, v25
	v_lshl_add_u32 v26, v26, 23, v31
	v_or3_b32 v62, v25, v26, v0
.LBB183_100:                            ;   in Loop: Header=BB183_13 Depth=1
	s_or_b64 exec, exec, s[44:45]
.LBB183_101:                            ;   in Loop: Header=BB183_13 Depth=1
	s_or_b64 exec, exec, s[42:43]
.LBB183_102:                            ;   in Loop: Header=BB183_13 Depth=1
	s_or_b64 exec, exec, s[40:41]
	global_load_ubyte v25, v[29:30], off offset:776
	v_mov_b32_e32 v38, 0
	v_mov_b32_e32 v37, 0
	s_waitcnt vmcnt(0)
	v_cmp_ne_u16_e64 s[4:5], 0, v25
	s_and_saveexec_b64 s[40:41], s[4:5]
	s_cbranch_execz .LBB183_108
; %bb.103:                              ;   in Loop: Header=BB183_13 Depth=1
	v_cmp_ne_u16_e64 s[4:5], s52, v25
	v_bfrev_b32_e32 v37, 1
	s_and_saveexec_b64 s[42:43], s[4:5]
	s_cbranch_execz .LBB183_107
; %bb.104:                              ;   in Loop: Header=BB183_13 Depth=1
	v_and_b32_e32 v31, 0xffff, v25
	v_and_b32_e32 v26, 0x7f, v31
	v_cmp_ne_u32_e64 s[4:5], s53, v26
	v_mov_b32_e32 v37, 0x7f800001
	s_and_saveexec_b64 s[44:45], s[4:5]
	s_cbranch_execz .LBB183_106
; %bb.105:                              ;   in Loop: Header=BB183_13 Depth=1
	v_and_b32_e32 v0, 7, v31
	v_lshrrev_b32_e32 v33, 3, v26
	v_cmp_gt_u32_e64 s[4:5], 8, v26
	v_ffbh_u32_e32 v26, v0
	v_min_u32_e32 v26, 32, v26
	v_subrev_u32_e32 v32, 28, v26
	v_lshlrev_b64 v[31:32], v32, v[31:32]
	v_sub_u32_e32 v26, 29, v26
	v_and_b32_e32 v31, 7, v31
	v_cndmask_b32_e64 v26, v33, v26, s[4:5]
	v_cndmask_b32_e64 v0, v0, v31, s[4:5]
	v_lshlrev_b32_e32 v25, 24, v25
	v_bfrev_b32_e32 v31, 60
	v_lshlrev_b32_e32 v0, 20, v0
	v_and_b32_e32 v25, 0x80000000, v25
	v_lshl_add_u32 v26, v26, 23, v31
	v_or3_b32 v37, v25, v26, v0
.LBB183_106:                            ;   in Loop: Header=BB183_13 Depth=1
	s_or_b64 exec, exec, s[44:45]
.LBB183_107:                            ;   in Loop: Header=BB183_13 Depth=1
	s_or_b64 exec, exec, s[42:43]
.LBB183_108:                            ;   in Loop: Header=BB183_13 Depth=1
	s_or_b64 exec, exec, s[40:41]
	global_load_ubyte v25, v[29:30], off offset:780
	s_waitcnt vmcnt(0)
	v_cmp_ne_u16_e64 s[4:5], 0, v25
	s_and_saveexec_b64 s[40:41], s[4:5]
	s_cbranch_execz .LBB183_114
; %bb.109:                              ;   in Loop: Header=BB183_13 Depth=1
	v_cmp_ne_u16_e64 s[4:5], s52, v25
	v_bfrev_b32_e32 v38, 1
	s_and_saveexec_b64 s[42:43], s[4:5]
	s_cbranch_execz .LBB183_113
; %bb.110:                              ;   in Loop: Header=BB183_13 Depth=1
	v_and_b32_e32 v31, 0xffff, v25
	v_and_b32_e32 v26, 0x7f, v31
	v_cmp_ne_u32_e64 s[4:5], s53, v26
	v_mov_b32_e32 v38, 0x7f800001
	s_and_saveexec_b64 s[44:45], s[4:5]
	s_cbranch_execz .LBB183_112
; %bb.111:                              ;   in Loop: Header=BB183_13 Depth=1
	v_and_b32_e32 v0, 7, v31
	v_lshrrev_b32_e32 v33, 3, v26
	v_cmp_gt_u32_e64 s[4:5], 8, v26
	v_ffbh_u32_e32 v26, v0
	v_min_u32_e32 v26, 32, v26
	v_subrev_u32_e32 v32, 28, v26
	v_lshlrev_b64 v[31:32], v32, v[31:32]
	v_sub_u32_e32 v26, 29, v26
	v_and_b32_e32 v31, 7, v31
	v_cndmask_b32_e64 v26, v33, v26, s[4:5]
	v_cndmask_b32_e64 v0, v0, v31, s[4:5]
	v_lshlrev_b32_e32 v25, 24, v25
	v_bfrev_b32_e32 v31, 60
	v_lshlrev_b32_e32 v0, 20, v0
	v_and_b32_e32 v25, 0x80000000, v25
	v_lshl_add_u32 v26, v26, 23, v31
	v_or3_b32 v38, v25, v26, v0
.LBB183_112:                            ;   in Loop: Header=BB183_13 Depth=1
	s_or_b64 exec, exec, s[44:45]
.LBB183_113:                            ;   in Loop: Header=BB183_13 Depth=1
	s_or_b64 exec, exec, s[42:43]
.LBB183_114:                            ;   in Loop: Header=BB183_13 Depth=1
	s_or_b64 exec, exec, s[40:41]
	global_load_ubyte v25, v[29:30], off offset:1024
	v_mov_b32_e32 v33, 0
	v_mov_b32_e32 v39, 0
	s_waitcnt vmcnt(0)
	v_cmp_ne_u16_e64 s[4:5], 0, v25
	s_and_saveexec_b64 s[40:41], s[4:5]
	s_cbranch_execz .LBB183_120
; %bb.115:                              ;   in Loop: Header=BB183_13 Depth=1
	v_cmp_ne_u16_e64 s[4:5], s52, v25
	v_bfrev_b32_e32 v39, 1
	s_and_saveexec_b64 s[42:43], s[4:5]
	s_cbranch_execz .LBB183_119
; %bb.116:                              ;   in Loop: Header=BB183_13 Depth=1
	v_and_b32_e32 v31, 0xffff, v25
	v_and_b32_e32 v26, 0x7f, v31
	v_cmp_ne_u32_e64 s[4:5], s53, v26
	v_mov_b32_e32 v39, 0x7f800001
	s_and_saveexec_b64 s[44:45], s[4:5]
	s_cbranch_execz .LBB183_118
; %bb.117:                              ;   in Loop: Header=BB183_13 Depth=1
	v_and_b32_e32 v0, 7, v31
	v_lshrrev_b32_e32 v34, 3, v26
	v_cmp_gt_u32_e64 s[4:5], 8, v26
	v_ffbh_u32_e32 v26, v0
	v_min_u32_e32 v26, 32, v26
	v_subrev_u32_e32 v32, 28, v26
	v_lshlrev_b64 v[31:32], v32, v[31:32]
	v_sub_u32_e32 v26, 29, v26
	v_and_b32_e32 v31, 7, v31
	v_cndmask_b32_e64 v26, v34, v26, s[4:5]
	v_cndmask_b32_e64 v0, v0, v31, s[4:5]
	v_lshlrev_b32_e32 v25, 24, v25
	v_bfrev_b32_e32 v31, 60
	v_lshlrev_b32_e32 v0, 20, v0
	v_and_b32_e32 v25, 0x80000000, v25
	v_lshl_add_u32 v26, v26, 23, v31
	v_or3_b32 v39, v25, v26, v0
.LBB183_118:                            ;   in Loop: Header=BB183_13 Depth=1
	s_or_b64 exec, exec, s[44:45]
.LBB183_119:                            ;   in Loop: Header=BB183_13 Depth=1
	s_or_b64 exec, exec, s[42:43]
.LBB183_120:                            ;   in Loop: Header=BB183_13 Depth=1
	s_or_b64 exec, exec, s[40:41]
	global_load_ubyte v25, v[29:30], off offset:1028
	s_waitcnt vmcnt(0)
	v_cmp_ne_u16_e64 s[4:5], 0, v25
	s_and_saveexec_b64 s[40:41], s[4:5]
	s_cbranch_execz .LBB183_126
; %bb.121:                              ;   in Loop: Header=BB183_13 Depth=1
	v_cmp_ne_u16_e64 s[4:5], s52, v25
	v_bfrev_b32_e32 v33, 1
	s_and_saveexec_b64 s[42:43], s[4:5]
	s_cbranch_execz .LBB183_125
; %bb.122:                              ;   in Loop: Header=BB183_13 Depth=1
	v_and_b32_e32 v31, 0xffff, v25
	v_and_b32_e32 v26, 0x7f, v31
	v_cmp_ne_u32_e64 s[4:5], s53, v26
	v_mov_b32_e32 v33, 0x7f800001
	s_and_saveexec_b64 s[44:45], s[4:5]
	s_cbranch_execz .LBB183_124
; %bb.123:                              ;   in Loop: Header=BB183_13 Depth=1
	v_and_b32_e32 v0, 7, v31
	v_lshrrev_b32_e32 v33, 3, v26
	v_cmp_gt_u32_e64 s[4:5], 8, v26
	v_ffbh_u32_e32 v26, v0
	v_min_u32_e32 v26, 32, v26
	v_subrev_u32_e32 v32, 28, v26
	v_lshlrev_b64 v[31:32], v32, v[31:32]
	v_sub_u32_e32 v26, 29, v26
	v_and_b32_e32 v31, 7, v31
	v_cndmask_b32_e64 v26, v33, v26, s[4:5]
	v_cndmask_b32_e64 v0, v0, v31, s[4:5]
	v_lshlrev_b32_e32 v25, 24, v25
	v_bfrev_b32_e32 v31, 60
	v_lshlrev_b32_e32 v0, 20, v0
	v_and_b32_e32 v25, 0x80000000, v25
	v_lshl_add_u32 v26, v26, 23, v31
	v_or3_b32 v33, v25, v26, v0
.LBB183_124:                            ;   in Loop: Header=BB183_13 Depth=1
	s_or_b64 exec, exec, s[44:45]
.LBB183_125:                            ;   in Loop: Header=BB183_13 Depth=1
	s_or_b64 exec, exec, s[42:43]
.LBB183_126:                            ;   in Loop: Header=BB183_13 Depth=1
	s_or_b64 exec, exec, s[40:41]
	global_load_ubyte v25, v[29:30], off offset:1032
	v_mov_b32_e32 v34, 0
	v_mov_b32_e32 v32, 0
	s_waitcnt vmcnt(0)
	v_cmp_ne_u16_e64 s[4:5], 0, v25
	s_and_saveexec_b64 s[40:41], s[4:5]
	s_cbranch_execz .LBB183_132
; %bb.127:                              ;   in Loop: Header=BB183_13 Depth=1
	v_cmp_ne_u16_e64 s[4:5], s52, v25
	v_bfrev_b32_e32 v32, 1
	s_and_saveexec_b64 s[42:43], s[4:5]
	s_cbranch_execz .LBB183_131
; %bb.128:                              ;   in Loop: Header=BB183_13 Depth=1
	v_and_b32_e32 v31, 0xffff, v25
	v_and_b32_e32 v26, 0x7f, v31
	v_cmp_ne_u32_e64 s[4:5], s53, v26
	v_mov_b32_e32 v32, 0x7f800001
	s_and_saveexec_b64 s[44:45], s[4:5]
	s_cbranch_execz .LBB183_130
; %bb.129:                              ;   in Loop: Header=BB183_13 Depth=1
	v_and_b32_e32 v0, 7, v31
	v_lshrrev_b32_e32 v40, 3, v26
	v_cmp_gt_u32_e64 s[4:5], 8, v26
	v_ffbh_u32_e32 v26, v0
	v_min_u32_e32 v26, 32, v26
	v_subrev_u32_e32 v32, 28, v26
	v_lshlrev_b64 v[31:32], v32, v[31:32]
	v_sub_u32_e32 v26, 29, v26
	v_and_b32_e32 v31, 7, v31
	v_cndmask_b32_e64 v26, v40, v26, s[4:5]
	v_cndmask_b32_e64 v0, v0, v31, s[4:5]
	v_lshlrev_b32_e32 v25, 24, v25
	v_bfrev_b32_e32 v31, 60
	v_lshlrev_b32_e32 v0, 20, v0
	v_and_b32_e32 v25, 0x80000000, v25
	v_lshl_add_u32 v26, v26, 23, v31
	v_or3_b32 v32, v25, v26, v0
.LBB183_130:                            ;   in Loop: Header=BB183_13 Depth=1
	s_or_b64 exec, exec, s[44:45]
.LBB183_131:                            ;   in Loop: Header=BB183_13 Depth=1
	s_or_b64 exec, exec, s[42:43]
.LBB183_132:                            ;   in Loop: Header=BB183_13 Depth=1
	s_or_b64 exec, exec, s[40:41]
	global_load_ubyte v25, v[29:30], off offset:1036
	s_waitcnt vmcnt(0)
	v_cmp_ne_u16_e64 s[4:5], 0, v25
	s_and_saveexec_b64 s[40:41], s[4:5]
	s_cbranch_execz .LBB183_138
; %bb.133:                              ;   in Loop: Header=BB183_13 Depth=1
	v_cmp_ne_u16_e64 s[4:5], s52, v25
	v_bfrev_b32_e32 v34, 1
	s_and_saveexec_b64 s[42:43], s[4:5]
	s_cbranch_execz .LBB183_137
; %bb.134:                              ;   in Loop: Header=BB183_13 Depth=1
	v_and_b32_e32 v31, 0xffff, v25
	v_and_b32_e32 v26, 0x7f, v31
	v_cmp_ne_u32_e64 s[4:5], s53, v26
	v_mov_b32_e32 v34, 0x7f800001
	s_and_saveexec_b64 s[44:45], s[4:5]
	s_cbranch_execz .LBB183_136
; %bb.135:                              ;   in Loop: Header=BB183_13 Depth=1
	v_and_b32_e32 v0, 7, v31
	v_lshrrev_b32_e32 v34, 3, v26
	v_cmp_gt_u32_e64 s[4:5], 8, v26
	v_ffbh_u32_e32 v26, v0
	v_min_u32_e32 v26, 32, v26
	v_subrev_u32_e32 v40, 28, v26
	v_lshlrev_b64 v[42:43], v40, v[31:32]
	v_sub_u32_e32 v26, 29, v26
	v_and_b32_e32 v31, 7, v42
	v_cndmask_b32_e64 v26, v34, v26, s[4:5]
	v_cndmask_b32_e64 v0, v0, v31, s[4:5]
	v_lshlrev_b32_e32 v25, 24, v25
	v_bfrev_b32_e32 v31, 60
	v_lshlrev_b32_e32 v0, 20, v0
	v_and_b32_e32 v25, 0x80000000, v25
	v_lshl_add_u32 v26, v26, 23, v31
	v_or3_b32 v34, v25, v26, v0
.LBB183_136:                            ;   in Loop: Header=BB183_13 Depth=1
	s_or_b64 exec, exec, s[44:45]
.LBB183_137:                            ;   in Loop: Header=BB183_13 Depth=1
	s_or_b64 exec, exec, s[42:43]
.LBB183_138:                            ;   in Loop: Header=BB183_13 Depth=1
	s_or_b64 exec, exec, s[40:41]
	global_load_ubyte v25, v[29:30], off offset:1280
	v_mov_b32_e32 v40, 0
	v_mov_b32_e32 v45, 0
	s_waitcnt vmcnt(0)
	v_cmp_ne_u16_e64 s[4:5], 0, v25
	s_and_saveexec_b64 s[40:41], s[4:5]
	s_cbranch_execz .LBB183_144
; %bb.139:                              ;   in Loop: Header=BB183_13 Depth=1
	v_cmp_ne_u16_e64 s[4:5], s52, v25
	v_bfrev_b32_e32 v45, 1
	s_and_saveexec_b64 s[42:43], s[4:5]
	s_cbranch_execz .LBB183_143
; %bb.140:                              ;   in Loop: Header=BB183_13 Depth=1
	v_and_b32_e32 v31, 0xffff, v25
	v_and_b32_e32 v26, 0x7f, v31
	v_cmp_ne_u32_e64 s[4:5], s53, v26
	v_mov_b32_e32 v45, 0x7f800001
	s_and_saveexec_b64 s[44:45], s[4:5]
	s_cbranch_execz .LBB183_142
; %bb.141:                              ;   in Loop: Header=BB183_13 Depth=1
	v_and_b32_e32 v0, 7, v31
	v_lshrrev_b32_e32 v45, 3, v26
	v_cmp_gt_u32_e64 s[4:5], 8, v26
	v_ffbh_u32_e32 v26, v0
	v_min_u32_e32 v26, 32, v26
	v_subrev_u32_e32 v42, 28, v26
	v_lshlrev_b64 v[42:43], v42, v[31:32]
	v_sub_u32_e32 v26, 29, v26
	v_and_b32_e32 v31, 7, v42
	v_cndmask_b32_e64 v26, v45, v26, s[4:5]
	v_cndmask_b32_e64 v0, v0, v31, s[4:5]
	v_lshlrev_b32_e32 v25, 24, v25
	v_bfrev_b32_e32 v31, 60
	v_lshlrev_b32_e32 v0, 20, v0
	v_and_b32_e32 v25, 0x80000000, v25
	v_lshl_add_u32 v26, v26, 23, v31
	v_or3_b32 v45, v25, v26, v0
.LBB183_142:                            ;   in Loop: Header=BB183_13 Depth=1
	s_or_b64 exec, exec, s[44:45]
.LBB183_143:                            ;   in Loop: Header=BB183_13 Depth=1
	s_or_b64 exec, exec, s[42:43]
.LBB183_144:                            ;   in Loop: Header=BB183_13 Depth=1
	s_or_b64 exec, exec, s[40:41]
	global_load_ubyte v25, v[29:30], off offset:1284
	s_waitcnt vmcnt(0)
	v_cmp_ne_u16_e64 s[4:5], 0, v25
	s_and_saveexec_b64 s[40:41], s[4:5]
	s_cbranch_execz .LBB183_150
; %bb.145:                              ;   in Loop: Header=BB183_13 Depth=1
	v_cmp_ne_u16_e64 s[4:5], s52, v25
	v_bfrev_b32_e32 v40, 1
	s_and_saveexec_b64 s[42:43], s[4:5]
	s_cbranch_execz .LBB183_149
; %bb.146:                              ;   in Loop: Header=BB183_13 Depth=1
	v_and_b32_e32 v31, 0xffff, v25
	v_and_b32_e32 v26, 0x7f, v31
	v_cmp_ne_u32_e64 s[4:5], s53, v26
	v_mov_b32_e32 v40, 0x7f800001
	s_and_saveexec_b64 s[44:45], s[4:5]
	s_cbranch_execz .LBB183_148
; %bb.147:                              ;   in Loop: Header=BB183_13 Depth=1
	v_and_b32_e32 v0, 7, v31
	v_lshrrev_b32_e32 v40, 3, v26
	v_cmp_gt_u32_e64 s[4:5], 8, v26
	v_ffbh_u32_e32 v26, v0
	v_min_u32_e32 v26, 32, v26
	v_subrev_u32_e32 v42, 28, v26
	v_lshlrev_b64 v[42:43], v42, v[31:32]
	v_sub_u32_e32 v26, 29, v26
	v_and_b32_e32 v31, 7, v42
	v_cndmask_b32_e64 v26, v40, v26, s[4:5]
	v_cndmask_b32_e64 v0, v0, v31, s[4:5]
	v_lshlrev_b32_e32 v25, 24, v25
	v_bfrev_b32_e32 v31, 60
	v_lshlrev_b32_e32 v0, 20, v0
	v_and_b32_e32 v25, 0x80000000, v25
	v_lshl_add_u32 v26, v26, 23, v31
	v_or3_b32 v40, v25, v26, v0
.LBB183_148:                            ;   in Loop: Header=BB183_13 Depth=1
	s_or_b64 exec, exec, s[44:45]
.LBB183_149:                            ;   in Loop: Header=BB183_13 Depth=1
	s_or_b64 exec, exec, s[42:43]
.LBB183_150:                            ;   in Loop: Header=BB183_13 Depth=1
	s_or_b64 exec, exec, s[40:41]
	global_load_ubyte v47, v[29:30], off offset:1288
	v_mov_b32_e32 v25, 0
	v_mov_b32_e32 v26, 0
	s_waitcnt vmcnt(0)
	v_cmp_ne_u16_e64 s[4:5], 0, v47
	s_and_saveexec_b64 s[40:41], s[4:5]
	s_cbranch_execz .LBB183_156
; %bb.151:                              ;   in Loop: Header=BB183_13 Depth=1
	v_cmp_ne_u16_e64 s[4:5], s52, v47
	v_bfrev_b32_e32 v26, 1
	s_and_saveexec_b64 s[42:43], s[4:5]
	s_cbranch_execz .LBB183_155
; %bb.152:                              ;   in Loop: Header=BB183_13 Depth=1
	v_and_b32_e32 v31, 0xffff, v47
	v_and_b32_e32 v0, 0x7f, v31
	v_cmp_ne_u32_e64 s[4:5], s53, v0
	v_mov_b32_e32 v26, 0x7f800001
	s_and_saveexec_b64 s[44:45], s[4:5]
	s_cbranch_execz .LBB183_154
; %bb.153:                              ;   in Loop: Header=BB183_13 Depth=1
	v_and_b32_e32 v26, 7, v31
	v_lshrrev_b32_e32 v48, 3, v0
	v_cmp_gt_u32_e64 s[4:5], 8, v0
	v_ffbh_u32_e32 v0, v26
	v_min_u32_e32 v0, 32, v0
	v_subrev_u32_e32 v42, 28, v0
	v_lshlrev_b64 v[42:43], v42, v[31:32]
	v_sub_u32_e32 v0, 29, v0
	v_and_b32_e32 v31, 7, v42
	v_cndmask_b32_e64 v0, v48, v0, s[4:5]
	v_cndmask_b32_e64 v26, v26, v31, s[4:5]
	v_lshlrev_b32_e32 v31, 24, v47
	v_bfrev_b32_e32 v42, 60
	v_lshlrev_b32_e32 v26, 20, v26
	v_and_b32_e32 v31, 0x80000000, v31
	v_lshl_add_u32 v0, v0, 23, v42
	v_or3_b32 v26, v31, v0, v26
.LBB183_154:                            ;   in Loop: Header=BB183_13 Depth=1
	s_or_b64 exec, exec, s[44:45]
.LBB183_155:                            ;   in Loop: Header=BB183_13 Depth=1
	s_or_b64 exec, exec, s[42:43]
.LBB183_156:                            ;   in Loop: Header=BB183_13 Depth=1
	s_or_b64 exec, exec, s[40:41]
	global_load_ubyte v30, v[29:30], off offset:1292
	s_waitcnt vmcnt(0)
	v_cmp_ne_u16_e64 s[4:5], 0, v30
	s_and_saveexec_b64 s[40:41], s[4:5]
	s_cbranch_execz .LBB183_162
; %bb.157:                              ;   in Loop: Header=BB183_13 Depth=1
	v_cmp_ne_u16_e64 s[4:5], s52, v30
	v_bfrev_b32_e32 v25, 1
	s_and_saveexec_b64 s[42:43], s[4:5]
	s_cbranch_execz .LBB183_161
; %bb.158:                              ;   in Loop: Header=BB183_13 Depth=1
	v_and_b32_e32 v29, 0xffff, v30
	v_and_b32_e32 v0, 0x7f, v29
	v_cmp_ne_u32_e64 s[4:5], s53, v0
	v_mov_b32_e32 v25, 0x7f800001
	s_and_saveexec_b64 s[44:45], s[4:5]
	s_cbranch_execz .LBB183_160
; %bb.159:                              ;   in Loop: Header=BB183_13 Depth=1
	v_and_b32_e32 v25, 7, v29
	v_lshrrev_b32_e32 v31, 3, v0
	v_cmp_gt_u32_e64 s[4:5], 8, v0
	v_ffbh_u32_e32 v0, v25
	v_min_u32_e32 v0, 32, v0
	v_subrev_u32_e32 v42, 28, v0
	v_lshlrev_b64 v[42:43], v42, v[29:30]
	v_sub_u32_e32 v0, 29, v0
	v_and_b32_e32 v29, 7, v42
	v_cndmask_b32_e64 v0, v31, v0, s[4:5]
	v_cndmask_b32_e64 v25, v25, v29, s[4:5]
	v_lshlrev_b32_e32 v29, 24, v30
	v_bfrev_b32_e32 v30, 60
	v_lshlrev_b32_e32 v25, 20, v25
	v_and_b32_e32 v29, 0x80000000, v29
	v_lshl_add_u32 v0, v0, 23, v30
	v_or3_b32 v25, v29, v0, v25
.LBB183_160:                            ;   in Loop: Header=BB183_13 Depth=1
	s_or_b64 exec, exec, s[44:45]
.LBB183_161:                            ;   in Loop: Header=BB183_13 Depth=1
	s_or_b64 exec, exec, s[42:43]
.LBB183_162:                            ;   in Loop: Header=BB183_13 Depth=1
	s_or_b64 exec, exec, s[40:41]
	s_waitcnt lgkmcnt(0)
	v_mul_f32_e32 v43, s54, v58
	buffer_load_dword v58, off, s[56:59], 0 offset:16 ; 4-byte Folded Reload
	v_mul_f32_e32 v51, s54, v51
	v_mul_f32_e32 v50, s54, v50
	;; [unrolled: 1-line block ×4, first 2 shown]
	v_fmac_f32_e32 v22, v21, v50
	v_mul_f32_e32 v52, s54, v52
	v_fmac_f32_e32 v22, v23, v53
	v_mul_f32_e32 v55, s54, v55
	v_fmac_f32_e32 v22, v24, v52
	v_mul_f32_e32 v54, s54, v54
	v_fmac_f32_e32 v22, v13, v55
	v_mul_f32_e32 v48, s54, v57
	v_fmac_f32_e32 v22, v14, v54
	v_mul_f32_e32 v47, s54, v56
	v_fmac_f32_e32 v22, v15, v48
	v_mul_f32_e32 v29, s54, v45
	v_mul_f32_e32 v45, s54, v59
	v_fmac_f32_e32 v22, v16, v47
	v_fmac_f32_e32 v22, v17, v45
	v_mul_f32_e32 v42, s54, v61
	v_fmac_f32_e32 v22, v18, v43
	v_mul_f32_e32 v0, s54, v26
	v_mul_f32_e32 v26, s54, v40
	;; [unrolled: 1-line block ×3, first 2 shown]
	v_fmac_f32_e32 v22, v19, v42
	v_mul_f32_e32 v31, s54, v32
	v_mul_f32_e32 v32, s54, v33
	;; [unrolled: 1-line block ×4, first 2 shown]
	v_fmac_f32_e32 v22, v20, v40
	v_mul_f32_e32 v30, s54, v34
	v_mul_f32_e32 v34, s54, v38
	v_mul_f32_e32 v38, s54, v62
	v_fmac_f32_e32 v22, v9, v39
	v_mul_f32_e32 v37, s54, v37
	v_fmac_f32_e32 v22, v10, v38
	v_fmac_f32_e32 v22, v11, v37
	;; [unrolled: 1-line block ×9, first 2 shown]
	v_mul_f32_e32 v25, s54, v25
	v_fmac_f32_e32 v22, v3, v0
	v_fmac_f32_e32 v22, v4, v25
	s_waitcnt vmcnt(0)
	v_and_b32_e32 v56, 64, v58
	v_add_u32_e32 v56, 64, v56
	v_xor_b32_e32 v57, 2, v58
	v_cmp_lt_i32_e64 s[4:5], v57, v56
	v_cndmask_b32_e64 v57, v58, v57, s[4:5]
	v_lshlrev_b32_e32 v57, 2, v57
	ds_bpermute_b32 v0, v57, v22
	v_xor_b32_e32 v1, 1, v58
	v_cmp_lt_i32_e64 s[4:5], v1, v56
	v_cndmask_b32_e64 v1, v58, v1, s[4:5]
	v_lshlrev_b32_e32 v2, 2, v1
	s_waitcnt lgkmcnt(0)
	v_add_f32_e32 v1, v22, v0
	ds_bpermute_b32 v2, v2, v1
	s_and_saveexec_b64 s[40:41], vcc
	s_cbranch_execz .LBB183_11
; %bb.163:                              ;   in Loop: Header=BB183_13 Depth=1
	buffer_load_dword v0, off, s[56:59], 0 offset:24 ; 4-byte Folded Reload
	buffer_load_dword v3, off, s[56:59], 0 offset:20 ; 4-byte Folded Reload
	s_waitcnt lgkmcnt(0)
	v_add_f32_e32 v1, v1, v2
	buffer_load_dword v2, off, s[56:59], 0 offset:4 ; 4-byte Folded Reload
	s_waitcnt vmcnt(2)
	v_add_u32_e32 v0, v0, v44
	v_cvt_f32_i32_e32 v0, v0
	s_waitcnt vmcnt(1)
	v_add_u32_e32 v3, v3, v44
	v_cmp_gt_i32_e64 s[4:5], s33, v3
	v_mul_f32_e32 v0, s48, v0
	v_cndmask_b32_e64 v0, 0, v0, s[2:3]
	v_fmac_f32_e32 v0, s37, v1
	v_cndmask_b32_e64 v1, 0, v0, s[4:5]
	ds_write_b32 v46, v1
	s_waitcnt vmcnt(0)
	v_max_f32_e32 v1, v2, v2
	v_max_f32_e32 v0, v1, v0
	v_cndmask_b32_e64 v2, v2, v0, s[4:5]
	buffer_store_dword v2, off, s[56:59], 0 offset:4 ; 4-byte Folded Spill
	s_branch .LBB183_11
.LBB183_164:
	s_or_b64 exec, exec, s[38:39]
	buffer_load_dword v13, off, s[56:59], 0 offset:28 ; 4-byte Folded Reload
	buffer_load_dword v14, off, s[56:59], 0 offset:32 ; 4-byte Folded Reload
	;; [unrolled: 1-line block ×5, first 2 shown]
	v_mbcnt_lo_u32_b32 v4, -1, 0
.LBB183_165:
	s_or_b64 exec, exec, s[18:19]
	v_mbcnt_hi_u32_b32 v1, -1, v4
	v_and_b32_e32 v9, 64, v1
	s_waitcnt lgkmcnt(0)
	v_add_u32_e32 v2, 64, v9
	v_xor_b32_e32 v0, 32, v1
	v_cmp_lt_i32_e32 vcc, v0, v2
	v_cndmask_b32_e32 v0, v1, v0, vcc
	v_lshlrev_b32_e32 v3, 2, v0
	s_waitcnt vmcnt(0)
	ds_bpermute_b32 v0, v3, v5
	v_max_f32_e32 v4, v5, v5
	v_xor_b32_e32 v5, 16, v1
	v_cmp_lt_i32_e32 vcc, v5, v2
	v_xor_b32_e32 v6, 8, v1
	s_waitcnt lgkmcnt(0)
	v_max_f32_e32 v0, v0, v0
	v_max_f32_e32 v0, v4, v0
	v_cndmask_b32_e32 v4, v1, v5, vcc
	v_lshlrev_b32_e32 v4, 2, v4
	ds_bpermute_b32 v5, v4, v0
	v_cmp_lt_i32_e32 vcc, v6, v2
	v_and_b32_e32 v15, 63, v13
	s_waitcnt lgkmcnt(0)
	v_max_f32_e32 v5, v5, v5
	v_max_f32_e32 v0, v0, v5
	v_cndmask_b32_e32 v5, v1, v6, vcc
	v_lshlrev_b32_e32 v7, 2, v5
	ds_bpermute_b32 v5, v7, v0
	v_xor_b32_e32 v6, 4, v1
	v_cmp_lt_i32_e32 vcc, v6, v2
	s_waitcnt lgkmcnt(0)
	v_max_f32_e32 v5, v5, v5
	v_max_f32_e32 v0, v0, v5
	v_cndmask_b32_e32 v5, v1, v6, vcc
	v_lshlrev_b32_e32 v8, 2, v5
	ds_bpermute_b32 v6, v8, v0
	v_cmp_eq_u32_e32 vcc, 0, v15
	v_lshlrev_b32_e32 v5, 2, v35
	s_and_saveexec_b64 s[2:3], vcc
	s_cbranch_execz .LBB183_167
; %bb.166:
	s_waitcnt lgkmcnt(0)
	v_max_f32_e32 v6, v6, v6
	v_max_f32_e32 v0, v0, v0
	;; [unrolled: 1-line block ×3, first 2 shown]
	ds_write_b32 v5, v0 offset:384
.LBB183_167:
	s_or_b64 exec, exec, s[2:3]
	v_cmp_gt_u32_e64 s[2:3], 2, v15
	v_mov_b32_e32 v0, 0xff7fffff
	s_waitcnt lgkmcnt(0)
	v_lshlrev_b32_e32 v6, 2, v15
	s_barrier
	s_and_saveexec_b64 s[4:5], s[2:3]
; %bb.168:
	ds_read_b32 v0, v6 offset:384
; %bb.169:
	s_or_b64 exec, exec, s[4:5]
	v_xor_b32_e32 v10, 1, v1
	v_cmp_lt_i32_e64 s[4:5], v10, v2
	v_cndmask_b32_e64 v10, v1, v10, s[4:5]
	v_lshlrev_b32_e32 v25, 2, v10
	s_waitcnt lgkmcnt(0)
	ds_bpermute_b32 v10, v25, v0
	v_max_f32_e32 v0, v0, v0
	v_lshlrev_b32_e32 v9, 2, v9
	s_lshl_b32 s4, s20, 4
	s_min_i32 s37, s4, s33
	s_waitcnt lgkmcnt(0)
	v_max_f32_e32 v10, v10, v10
	v_max_f32_e32 v0, v0, v10
	ds_bpermute_b32 v9, v9, v0
	v_cmp_gt_i32_e64 s[4:5], s37, v13
	v_mov_b32_e32 v0, 0
	s_and_saveexec_b64 s[12:13], s[4:5]
	s_cbranch_execz .LBB183_173
; %bb.170:
	v_mov_b32_e32 v0, 0x190
	v_lshl_add_u32 v10, v13, 2, v0
	v_mov_b32_e32 v0, 0
	s_mov_b64 s[18:19], 0
	v_mov_b32_e32 v11, v13
.LBB183_171:                            ; =>This Inner Loop Header: Depth=1
	ds_read_b32 v12, v10
	v_add_u32_e32 v11, 0x80, v11
	v_cmp_le_i32_e64 s[6:7], s37, v11
	s_or_b64 s[18:19], s[6:7], s[18:19]
	s_waitcnt lgkmcnt(0)
	v_sub_f32_e32 v12, v12, v9
	v_mul_f32_e32 v12, 0x3fb8aa3b, v12
	v_exp_f32_e32 v12, v12
	ds_write_b32 v10, v12
	v_add_f32_e32 v0, v0, v12
	v_add_u32_e32 v10, 0x200, v10
	s_andn2_b64 exec, exec, s[18:19]
	s_cbranch_execnz .LBB183_171
; %bb.172:
	s_or_b64 exec, exec, s[18:19]
.LBB183_173:
	s_or_b64 exec, exec, s[12:13]
	ds_bpermute_b32 v3, v3, v0
	s_waitcnt lgkmcnt(0)
	v_add_f32_e32 v0, v0, v3
	ds_bpermute_b32 v3, v4, v0
	v_xor_b32_e32 v4, 2, v1
	v_cmp_lt_i32_e64 s[6:7], v4, v2
	v_cndmask_b32_e64 v2, v1, v4, s[6:7]
	v_lshlrev_b32_e32 v26, 2, v2
	s_waitcnt lgkmcnt(0)
	v_add_f32_e32 v0, v0, v3
	ds_bpermute_b32 v3, v7, v0
	s_waitcnt lgkmcnt(0)
	v_add_f32_e32 v0, v0, v3
	ds_bpermute_b32 v3, v8, v0
	;; [unrolled: 3-line block ×4, first 2 shown]
	s_waitcnt lgkmcnt(0)
	v_add_f32_e32 v0, v0, v2
	s_and_saveexec_b64 s[6:7], vcc
; %bb.174:
	ds_write_b32 v5, v0 offset:392
; %bb.175:
	s_or_b64 exec, exec, s[6:7]
	s_waitcnt lgkmcnt(0)
	s_barrier
	s_and_saveexec_b64 s[6:7], s[2:3]
; %bb.176:
	ds_read_b32 v0, v6 offset:392
; %bb.177:
	s_or_b64 exec, exec, s[6:7]
	s_waitcnt lgkmcnt(0)
	ds_bpermute_b32 v2, v25, v0
	v_lshlrev_b32_e32 v1, 2, v1
	v_and_b32_e32 v1, 0x100, v1
	s_waitcnt lgkmcnt(0)
	v_add_f32_e32 v0, v0, v2
	ds_bpermute_b32 v0, v1, v0
	s_and_saveexec_b64 s[2:3], s[4:5]
	s_cbranch_execz .LBB183_180
; %bb.178:
	s_waitcnt lgkmcnt(0)
	v_add_f32_e32 v1, 0x358637bd, v0
	v_div_scale_f32 v0, s[4:5], v1, v1, 1.0
	v_div_scale_f32 v2, vcc, 1.0, v1, 1.0
	s_mov_b64 s[4:5], 0
	v_rcp_f32_e32 v3, v0
	v_fma_f32 v4, -v0, v3, 1.0
	v_fmac_f32_e32 v3, v4, v3
	v_mul_f32_e32 v4, v2, v3
	v_fma_f32 v5, -v0, v4, v2
	v_fmac_f32_e32 v4, v5, v3
	v_fma_f32 v0, -v0, v4, v2
	v_div_fmas_f32 v2, v0, v3, v4
	v_mov_b32_e32 v0, 0x190
	v_lshl_add_u32 v0, v13, 2, v0
	v_div_fixup_f32 v1, v2, v1, 1.0
	v_mov_b32_e32 v2, v13
.LBB183_179:                            ; =>This Inner Loop Header: Depth=1
	ds_read_b32 v3, v0
	v_add_u32_e32 v2, 0x80, v2
	v_cmp_le_i32_e32 vcc, s37, v2
	s_or_b64 s[4:5], vcc, s[4:5]
	s_waitcnt lgkmcnt(0)
	v_mul_f32_e32 v3, v1, v3
	ds_write_b32 v0, v3
	v_add_u32_e32 v0, 0x200, v0
	s_andn2_b64 exec, exec, s[4:5]
	s_cbranch_execnz .LBB183_179
.LBB183_180:
	s_or_b64 exec, exec, s[2:3]
	v_mov_b32_e32 v40, 0
	v_mov_b32_e32 v39, 0
	v_mov_b32_e32 v31, 0
	v_mov_b32_e32 v29, 0
	v_mov_b32_e32 v28, 0
	v_mov_b32_e32 v27, 0
	s_waitcnt lgkmcnt(0)
	s_barrier
	s_and_saveexec_b64 s[2:3], s[0:1]
	s_cbranch_execz .LBB183_342
; %bb.181:
	s_sub_i32 s21, s16, s21
	s_ashr_i32 s0, s47, 31
	s_add_u32 s4, s34, s47
	s_addc_u32 s5, s35, s0
	s_abs_i32 s22, s22
	v_cvt_f32_u32_e32 v0, s22
	s_sub_i32 s0, 0, s22
	v_and_b32_e32 v1, 0xfc, v16
	s_add_i32 s35, s20, -1
	v_rcp_iflag_f32_e32 v0, v0
	v_mov_b32_e32 v4, s5
	v_add_co_u32_e32 v7, vcc, s4, v1
	v_mul_f32_e32 v0, 0x4f7ffffe, v0
	v_cvt_u32_f32_e32 v0, v0
	v_and_b32_e32 v2, 60, v17
	v_addc_co_u32_e32 v8, vcc, 0, v4, vcc
	v_mul_lo_u32 v3, s0, v0
	s_lshl_b64 s[0:1], s[30:31], 2
	s_add_u32 s0, s28, s0
	s_addc_u32 s1, s29, s1
	v_mul_hi_u32 v3, v0, v3
	v_add_co_u32_e32 v9, vcc, s0, v2
	v_mov_b32_e32 v5, 0
	v_add_u32_e32 v37, v0, v3
	v_mov_b32_e32 v0, s1
	v_addc_co_u32_e32 v10, vcc, 0, v0, vcc
	v_lshlrev_b32_e32 v0, 4, v14
	v_lshl_or_b32 v0, v35, 6, v0
	v_and_b32_e32 v30, 12, v16
	s_mov_b32 s34, s17
	v_add_u32_e32 v38, 0x190, v0
	s_mov_b64 s[4:5], 0
	s_movk_i32 s28, 0x80
	s_movk_i32 s29, 0x7f
	s_brev_b32 s30, 1
	s_mov_b32 s31, 0xffffff
	v_bfrev_b32_e32 v41, 60
	v_bfrev_b32_e32 v6, 1
	v_mov_b32_e32 v12, 0x7f800001
	v_mov_b32_e32 v34, 7
	v_mov_b32_e32 v24, 24
	v_mov_b32_e32 v27, v5
	v_mov_b32_e32 v28, v5
	v_mov_b32_e32 v29, v5
	v_mov_b32_e32 v31, v5
	v_mov_b32_e32 v39, v5
	v_mov_b32_e32 v40, v5
	buffer_store_dword v15, off, s[56:59], 0 ; 4-byte Folded Spill
	s_branch .LBB183_184
.LBB183_182:                            ;   in Loop: Header=BB183_184 Depth=1
	s_or_b64 exec, exec, s[0:1]
	v_mul_f32_e32 v0, v1, v33
	v_fmac_f32_e32 v0, v2, v32
	v_fmac_f32_e32 v0, v3, v23
	v_fmac_f32_e32 v0, v4, v22
	v_add_f32_e32 v28, v28, v0
	v_mul_f32_e32 v0, v1, v63
	v_fmac_f32_e32 v0, v2, v60
	v_fmac_f32_e32 v0, v3, v62
	v_fmac_f32_e32 v0, v4, v61
	v_add_f32_e32 v29, v29, v0
	;; [unrolled: 5-line block ×6, first 2 shown]
.LBB183_183:                            ;   in Loop: Header=BB183_184 Depth=1
	s_or_b64 exec, exec, s[6:7]
	v_add_co_u32_e32 v9, vcc, 8, v9
	v_add_u32_e32 v35, 2, v35
	v_addc_co_u32_e32 v10, vcc, 0, v10, vcc
	v_cmp_le_i32_e32 vcc, s20, v35
	v_add_u32_e32 v36, 32, v36
	s_or_b64 s[4:5], vcc, s[4:5]
	v_add_u32_e32 v38, 0x80, v38
	s_andn2_b64 exec, exec, s[4:5]
	s_cbranch_execz .LBB183_341
.LBB183_184:                            ; =>This Inner Loop Header: Depth=1
	v_mul_hi_u32 v0, v36, s46
	v_mul_lo_u32 v1, v0, s25
	v_add_u32_e32 v2, 1, v0
	v_sub_u32_e32 v1, v36, v1
	v_cmp_le_u32_e32 vcc, s25, v1
	v_cndmask_b32_e32 v0, v0, v2, vcc
	v_subrev_u32_e32 v2, s25, v1
	v_cndmask_b32_e32 v1, v1, v2, vcc
	v_add_u32_e32 v2, 1, v0
	v_cmp_le_u32_e32 vcc, s25, v1
	v_cndmask_b32_e32 v0, v0, v2, vcc
	v_xor_b32_e32 v0, s23, v0
	v_subrev_u32_e32 v0, s23, v0
	v_add_u32_e32 v1, s36, v0
	v_sub_u32_e32 v2, 0, v1
	v_max_i32_e32 v2, v1, v2
	v_mul_hi_u32 v3, v2, v37
	v_ashrrev_i32_e32 v1, 31, v1
	v_cmp_lt_i32_e64 s[0:1], s21, v0
	v_mul_lo_u32 v3, v3, s22
	v_sub_u32_e32 v2, v2, v3
	v_subrev_u32_e32 v3, s22, v2
	v_cmp_le_u32_e32 vcc, s22, v2
	v_cndmask_b32_e32 v2, v2, v3, vcc
	v_subrev_u32_e32 v3, s22, v2
	v_cmp_le_u32_e32 vcc, s22, v2
	v_cndmask_b32_e32 v2, v2, v3, vcc
	v_xor_b32_e32 v2, v2, v1
	v_sub_u32_e32 v1, v2, v1
	v_cmp_eq_u32_e32 vcc, 0, v1
	s_or_b64 s[0:1], vcc, s[0:1]
	s_and_saveexec_b64 s[6:7], s[0:1]
	s_cbranch_execz .LBB183_183
; %bb.185:                              ;   in Loop: Header=BB183_184 Depth=1
	global_load_dword v0, v[9:10], off
	ds_read_b128 v[1:4], v38
	s_load_dword s37, s[14:15], 0x0
	v_mov_b32_e32 v18, 0
	v_mov_b32_e32 v16, 0
	;; [unrolled: 1-line block ×4, first 2 shown]
	s_waitcnt vmcnt(0)
	v_mad_i64_i32 v[13:14], s[0:1], v0, s34, v[7:8]
	global_load_dword v15, v[13:14], off
	s_waitcnt vmcnt(0)
	v_cmp_ne_u16_sdwa s[12:13], v15, v5 src0_sel:BYTE_0 src1_sel:DWORD
	s_and_saveexec_b64 s[0:1], s[12:13]
	s_cbranch_execz .LBB183_191
; %bb.186:                              ;   in Loop: Header=BB183_184 Depth=1
	v_bfrev_b32_e32 v16, 1
	v_mov_b32_e32 v17, 0
	v_cmp_ne_u16_sdwa s[16:17], v15, s28 src0_sel:BYTE_0 src1_sel:DWORD
	s_and_saveexec_b64 s[12:13], s[16:17]
	s_cbranch_execz .LBB183_190
; %bb.187:                              ;   in Loop: Header=BB183_184 Depth=1
	v_and_b32_e32 v0, 0x7f, v15
	v_mov_b32_e32 v16, 0x7f800001
	v_mov_b32_e32 v17, 0
	v_cmp_ne_u32_e32 vcc, s29, v0
	s_and_saveexec_b64 s[16:17], vcc
	s_cbranch_execz .LBB183_189
; %bb.188:                              ;   in Loop: Header=BB183_184 Depth=1
	v_and_b32_e32 v11, 7, v15
	v_ffbh_u32_e32 v16, v11
	v_min_u32_e32 v21, 32, v16
	v_subrev_u32_e32 v16, 28, v21
	v_lshlrev_b64 v[16:17], v16, v[15:16]
	v_lshrrev_b32_e32 v20, 3, v0
	v_sub_u32_e32 v17, 29, v21
	v_and_b32_e32 v16, 7, v16
	v_cmp_gt_u32_e32 vcc, 8, v0
	v_cndmask_b32_e32 v0, v20, v17, vcc
	v_cndmask_b32_e32 v11, v11, v16, vcc
	v_lshlrev_b32_e32 v11, 20, v11
	v_and_b32_sdwa v16, sext(v15), s30 dst_sel:DWORD dst_unused:UNUSED_PAD src0_sel:BYTE_0 src1_sel:DWORD
	v_lshl_add_u32 v0, v0, 23, v41
	v_or3_b32 v16, v16, v0, v11
	v_mov_b32_e32 v17, v5
.LBB183_189:                            ;   in Loop: Header=BB183_184 Depth=1
	s_or_b64 exec, exec, s[16:17]
.LBB183_190:                            ;   in Loop: Header=BB183_184 Depth=1
	s_or_b64 exec, exec, s[12:13]
.LBB183_191:                            ;   in Loop: Header=BB183_184 Depth=1
	s_or_b64 exec, exec, s[0:1]
	v_cmp_ne_u16_sdwa s[12:13], v15, v5 src0_sel:BYTE_1 src1_sel:DWORD
	s_and_saveexec_b64 s[0:1], s[12:13]
	s_cbranch_execz .LBB183_197
; %bb.192:                              ;   in Loop: Header=BB183_184 Depth=1
	v_mov_b32_e32 v19, v6
	v_cmp_ne_u16_sdwa s[16:17], v15, s28 src0_sel:BYTE_1 src1_sel:DWORD
	v_mov_b32_e32 v18, v5
	s_and_saveexec_b64 s[12:13], s[16:17]
	s_cbranch_execz .LBB183_196
; %bb.193:                              ;   in Loop: Header=BB183_184 Depth=1
	v_and_b32_sdwa v0, v15, s29 dst_sel:DWORD dst_unused:UNUSED_PAD src0_sel:BYTE_1 src1_sel:DWORD
	v_mov_b32_e32 v11, v5
	v_mov_b32_e32 v19, v12
	v_cmp_ne_u32_e32 vcc, s29, v0
	v_mov_b32_e32 v18, v11
	s_and_saveexec_b64 s[16:17], vcc
	s_cbranch_execz .LBB183_195
; %bb.194:                              ;   in Loop: Header=BB183_184 Depth=1
	v_and_b32_sdwa v18, v15, v34 dst_sel:DWORD dst_unused:UNUSED_PAD src0_sel:BYTE_1 src1_sel:DWORD
	v_ffbh_u32_e32 v20, v18
	v_min_u32_e32 v21, 32, v20
	v_mov_b32_e32 v19, v5
	v_subrev_u32_e32 v20, 28, v21
	v_lshlrev_b64 v[19:20], v20, v[18:19]
	v_lshrrev_b32_e32 v11, 3, v0
	v_sub_u32_e32 v20, 29, v21
	v_cmp_gt_u32_e32 vcc, 8, v0
	v_and_b32_e32 v19, 7, v19
	v_cndmask_b32_e32 v0, v11, v20, vcc
	v_cndmask_b32_e32 v11, v18, v19, vcc
	v_lshlrev_b32_e32 v18, 16, v15
	v_lshl_add_u32 v0, v0, 23, v41
	v_and_or_b32 v0, v18, s30, v0
	v_lshlrev_b32_e32 v11, 20, v11
	v_or_b32_e32 v19, v0, v11
	v_mov_b32_e32 v18, v5
.LBB183_195:                            ;   in Loop: Header=BB183_184 Depth=1
	s_or_b64 exec, exec, s[16:17]
.LBB183_196:                            ;   in Loop: Header=BB183_184 Depth=1
	s_or_b64 exec, exec, s[12:13]
.LBB183_197:                            ;   in Loop: Header=BB183_184 Depth=1
	s_or_b64 exec, exec, s[0:1]
	v_lshrrev_b32_e32 v11, 16, v15
	v_mov_b32_e32 v22, 0
	v_mov_b32_e32 v20, 0
	;; [unrolled: 1-line block ×4, first 2 shown]
	v_cmp_ne_u16_sdwa s[12:13], v11, v5 src0_sel:BYTE_0 src1_sel:DWORD
	s_and_saveexec_b64 s[0:1], s[12:13]
	s_cbranch_execz .LBB183_203
; %bb.198:                              ;   in Loop: Header=BB183_184 Depth=1
	v_bfrev_b32_e32 v20, 1
	v_mov_b32_e32 v21, 0
	v_cmp_ne_u16_sdwa s[16:17], v11, s28 src0_sel:BYTE_0 src1_sel:DWORD
	s_and_saveexec_b64 s[12:13], s[16:17]
	s_cbranch_execz .LBB183_202
; %bb.199:                              ;   in Loop: Header=BB183_184 Depth=1
	v_bfe_u32 v0, v15, 16, 7
	v_mov_b32_e32 v20, 0x7f800001
	v_mov_b32_e32 v21, 0
	v_cmp_ne_u32_e32 vcc, s29, v0
	s_and_saveexec_b64 s[16:17], vcc
	s_cbranch_execz .LBB183_201
; %bb.200:                              ;   in Loop: Header=BB183_184 Depth=1
	v_and_b32_e32 v32, 7, v11
	v_ffbh_u32_e32 v20, v32
	v_min_u32_e32 v42, 32, v20
	v_subrev_u32_e32 v20, 28, v42
	v_lshlrev_b64 v[20:21], v20, v[11:12]
	v_lshrrev_b32_e32 v33, 3, v0
	v_sub_u32_e32 v21, 29, v42
	v_and_b32_e32 v20, 7, v20
	v_cmp_gt_u32_e32 vcc, 8, v0
	v_cndmask_b32_e32 v0, v33, v21, vcc
	v_cndmask_b32_e32 v20, v32, v20, vcc
	v_lshlrev_b32_e32 v20, 20, v20
	v_and_b32_sdwa v11, sext(v11), s30 dst_sel:DWORD dst_unused:UNUSED_PAD src0_sel:BYTE_0 src1_sel:DWORD
	v_lshl_add_u32 v0, v0, 23, v41
	v_or3_b32 v20, v11, v0, v20
	v_mov_b32_e32 v21, v5
.LBB183_201:                            ;   in Loop: Header=BB183_184 Depth=1
	s_or_b64 exec, exec, s[16:17]
.LBB183_202:                            ;   in Loop: Header=BB183_184 Depth=1
	s_or_b64 exec, exec, s[12:13]
.LBB183_203:                            ;   in Loop: Header=BB183_184 Depth=1
	s_or_b64 exec, exec, s[0:1]
	v_cmp_lt_u32_e32 vcc, s31, v15
	s_and_saveexec_b64 s[0:1], vcc
	s_cbranch_execz .LBB183_209
; %bb.204:                              ;   in Loop: Header=BB183_184 Depth=1
	v_mov_b32_e32 v23, v6
	v_cmp_ne_u32_sdwa s[16:17], v15, s28 src0_sel:BYTE_3 src1_sel:DWORD
	v_mov_b32_e32 v22, v5
	s_and_saveexec_b64 s[12:13], s[16:17]
	s_cbranch_execz .LBB183_208
; %bb.205:                              ;   in Loop: Header=BB183_184 Depth=1
	v_bfe_u32 v0, v15, 24, 7
	v_mov_b32_e32 v11, v5
	v_mov_b32_e32 v23, v12
	v_cmp_ne_u32_e32 vcc, s29, v0
	v_mov_b32_e32 v22, v11
	s_and_saveexec_b64 s[16:17], vcc
	s_cbranch_execz .LBB183_207
; %bb.206:                              ;   in Loop: Header=BB183_184 Depth=1
	v_and_b32_sdwa v22, v15, v34 dst_sel:DWORD dst_unused:UNUSED_PAD src0_sel:BYTE_3 src1_sel:DWORD
	v_ffbh_u32_e32 v32, v22
	v_min_u32_e32 v42, 32, v32
	v_mov_b32_e32 v23, v5
	v_subrev_u32_e32 v32, 28, v42
	v_lshlrev_b64 v[32:33], v32, v[22:23]
	v_lshrrev_b32_e32 v11, 3, v0
	v_sub_u32_e32 v23, 29, v42
	v_cmp_gt_u32_e32 vcc, 8, v0
	v_and_b32_e32 v32, 7, v32
	v_cndmask_b32_e32 v0, v11, v23, vcc
	v_cndmask_b32_e32 v11, v22, v32, vcc
	v_lshlrev_b32_sdwa v15, v24, v15 dst_sel:DWORD dst_unused:UNUSED_PAD src0_sel:DWORD src1_sel:BYTE_3
	v_lshl_add_u32 v0, v0, 23, v41
	v_and_or_b32 v0, v15, s30, v0
	v_lshlrev_b32_e32 v11, 20, v11
	v_or_b32_e32 v23, v0, v11
	v_mov_b32_e32 v22, v5
.LBB183_207:                            ;   in Loop: Header=BB183_184 Depth=1
	s_or_b64 exec, exec, s[16:17]
.LBB183_208:                            ;   in Loop: Header=BB183_184 Depth=1
	s_or_b64 exec, exec, s[12:13]
.LBB183_209:                            ;   in Loop: Header=BB183_184 Depth=1
	s_or_b64 exec, exec, s[0:1]
	v_or_b32_e32 v0, v19, v17
	v_or_b32_e32 v11, v18, v16
	v_add_u32_e32 v48, v30, v36
	s_waitcnt lgkmcnt(0)
	v_mul_f32_e32 v44, s37, v0
	v_mul_f32_e32 v47, s37, v11
	v_or_b32_e32 v0, v23, v21
	v_or_b32_e32 v11, v22, v20
	v_cmp_eq_u32_e32 vcc, s35, v35
	v_mul_f32_e32 v46, s37, v11
	v_mul_f32_e32 v45, s37, v0
	v_add_u32_e32 v51, 1, v48
	v_add_u32_e32 v50, 2, v48
	;; [unrolled: 1-line block ×3, first 2 shown]
	s_and_saveexec_b64 s[12:13], vcc
; %bb.210:                              ;   in Loop: Header=BB183_184 Depth=1
	v_cmp_gt_i32_e64 s[0:1], s33, v48
	v_cndmask_b32_e64 v47, 0, v47, s[0:1]
	v_cmp_gt_i32_e64 s[0:1], s33, v51
	v_cndmask_b32_e64 v44, 0, v44, s[0:1]
	;; [unrolled: 2-line block ×4, first 2 shown]
; %bb.211:                              ;   in Loop: Header=BB183_184 Depth=1
	s_or_b64 exec, exec, s[12:13]
	global_load_dword v15, v[13:14], off offset:256
	v_mov_b32_e32 v18, 0
	v_mov_b32_e32 v16, 0
	v_mov_b32_e32 v19, 0
	v_mov_b32_e32 v17, 0
	s_waitcnt vmcnt(0)
	v_cmp_ne_u16_sdwa s[0:1], v15, v5 src0_sel:BYTE_0 src1_sel:DWORD
	s_and_saveexec_b64 s[12:13], s[0:1]
	s_cbranch_execz .LBB183_217
; %bb.212:                              ;   in Loop: Header=BB183_184 Depth=1
	v_bfrev_b32_e32 v16, 1
	v_mov_b32_e32 v17, 0
	v_cmp_ne_u16_sdwa s[0:1], v15, s28 src0_sel:BYTE_0 src1_sel:DWORD
	s_and_saveexec_b64 s[16:17], s[0:1]
	s_cbranch_execz .LBB183_216
; %bb.213:                              ;   in Loop: Header=BB183_184 Depth=1
	v_and_b32_e32 v0, 0x7f, v15
	v_mov_b32_e32 v16, 0x7f800001
	v_mov_b32_e32 v17, 0
	v_cmp_ne_u32_e64 s[0:1], s29, v0
	s_and_saveexec_b64 s[18:19], s[0:1]
	s_cbranch_execz .LBB183_215
; %bb.214:                              ;   in Loop: Header=BB183_184 Depth=1
	v_and_b32_e32 v11, 7, v15
	v_ffbh_u32_e32 v16, v11
	v_min_u32_e32 v21, 32, v16
	v_subrev_u32_e32 v16, 28, v21
	v_lshlrev_b64 v[16:17], v16, v[15:16]
	v_lshrrev_b32_e32 v20, 3, v0
	v_sub_u32_e32 v17, 29, v21
	v_and_b32_e32 v16, 7, v16
	v_cmp_gt_u32_e64 s[0:1], 8, v0
	v_cndmask_b32_e64 v0, v20, v17, s[0:1]
	v_cndmask_b32_e64 v11, v11, v16, s[0:1]
	v_lshlrev_b32_e32 v11, 20, v11
	v_and_b32_sdwa v16, sext(v15), s30 dst_sel:DWORD dst_unused:UNUSED_PAD src0_sel:BYTE_0 src1_sel:DWORD
	v_lshl_add_u32 v0, v0, 23, v41
	v_or3_b32 v16, v16, v0, v11
	v_mov_b32_e32 v17, v5
.LBB183_215:                            ;   in Loop: Header=BB183_184 Depth=1
	s_or_b64 exec, exec, s[18:19]
.LBB183_216:                            ;   in Loop: Header=BB183_184 Depth=1
	s_or_b64 exec, exec, s[16:17]
.LBB183_217:                            ;   in Loop: Header=BB183_184 Depth=1
	s_or_b64 exec, exec, s[12:13]
	v_cmp_ne_u16_sdwa s[0:1], v15, v5 src0_sel:BYTE_1 src1_sel:DWORD
	s_and_saveexec_b64 s[12:13], s[0:1]
	s_cbranch_execz .LBB183_223
; %bb.218:                              ;   in Loop: Header=BB183_184 Depth=1
	v_mov_b32_e32 v19, v6
	v_cmp_ne_u16_sdwa s[0:1], v15, s28 src0_sel:BYTE_1 src1_sel:DWORD
	v_mov_b32_e32 v18, v5
	s_and_saveexec_b64 s[16:17], s[0:1]
	s_cbranch_execz .LBB183_222
; %bb.219:                              ;   in Loop: Header=BB183_184 Depth=1
	v_and_b32_sdwa v0, v15, s29 dst_sel:DWORD dst_unused:UNUSED_PAD src0_sel:BYTE_1 src1_sel:DWORD
	v_mov_b32_e32 v11, v5
	v_mov_b32_e32 v19, v12
	v_cmp_ne_u32_e64 s[0:1], s29, v0
	v_mov_b32_e32 v18, v11
	s_and_saveexec_b64 s[18:19], s[0:1]
	s_cbranch_execz .LBB183_221
; %bb.220:                              ;   in Loop: Header=BB183_184 Depth=1
	v_and_b32_sdwa v18, v15, v34 dst_sel:DWORD dst_unused:UNUSED_PAD src0_sel:BYTE_1 src1_sel:DWORD
	v_ffbh_u32_e32 v20, v18
	v_min_u32_e32 v21, 32, v20
	v_mov_b32_e32 v19, v5
	v_subrev_u32_e32 v20, 28, v21
	v_lshlrev_b64 v[19:20], v20, v[18:19]
	v_lshrrev_b32_e32 v11, 3, v0
	v_sub_u32_e32 v20, 29, v21
	v_cmp_gt_u32_e64 s[0:1], 8, v0
	v_and_b32_e32 v19, 7, v19
	v_cndmask_b32_e64 v0, v11, v20, s[0:1]
	v_cndmask_b32_e64 v11, v18, v19, s[0:1]
	v_lshlrev_b32_e32 v18, 16, v15
	v_lshl_add_u32 v0, v0, 23, v41
	v_and_or_b32 v0, v18, s30, v0
	v_lshlrev_b32_e32 v11, 20, v11
	v_or_b32_e32 v19, v0, v11
	v_mov_b32_e32 v18, v5
.LBB183_221:                            ;   in Loop: Header=BB183_184 Depth=1
	s_or_b64 exec, exec, s[18:19]
.LBB183_222:                            ;   in Loop: Header=BB183_184 Depth=1
	s_or_b64 exec, exec, s[16:17]
.LBB183_223:                            ;   in Loop: Header=BB183_184 Depth=1
	s_or_b64 exec, exec, s[12:13]
	v_lshrrev_b32_e32 v11, 16, v15
	v_mov_b32_e32 v22, 0
	v_mov_b32_e32 v20, 0
	;; [unrolled: 1-line block ×4, first 2 shown]
	v_cmp_ne_u16_sdwa s[0:1], v11, v5 src0_sel:BYTE_0 src1_sel:DWORD
	s_and_saveexec_b64 s[12:13], s[0:1]
	s_cbranch_execz .LBB183_229
; %bb.224:                              ;   in Loop: Header=BB183_184 Depth=1
	v_bfrev_b32_e32 v20, 1
	v_mov_b32_e32 v21, 0
	v_cmp_ne_u16_sdwa s[0:1], v11, s28 src0_sel:BYTE_0 src1_sel:DWORD
	s_and_saveexec_b64 s[16:17], s[0:1]
	s_cbranch_execz .LBB183_228
; %bb.225:                              ;   in Loop: Header=BB183_184 Depth=1
	v_bfe_u32 v0, v15, 16, 7
	v_mov_b32_e32 v20, 0x7f800001
	v_mov_b32_e32 v21, 0
	v_cmp_ne_u32_e64 s[0:1], s29, v0
	s_and_saveexec_b64 s[18:19], s[0:1]
	s_cbranch_execz .LBB183_227
; %bb.226:                              ;   in Loop: Header=BB183_184 Depth=1
	v_and_b32_e32 v32, 7, v11
	v_ffbh_u32_e32 v20, v32
	v_min_u32_e32 v42, 32, v20
	v_subrev_u32_e32 v20, 28, v42
	v_lshlrev_b64 v[20:21], v20, v[11:12]
	v_lshrrev_b32_e32 v33, 3, v0
	v_sub_u32_e32 v21, 29, v42
	v_and_b32_e32 v20, 7, v20
	v_cmp_gt_u32_e64 s[0:1], 8, v0
	v_cndmask_b32_e64 v0, v33, v21, s[0:1]
	v_cndmask_b32_e64 v20, v32, v20, s[0:1]
	v_lshlrev_b32_e32 v20, 20, v20
	v_and_b32_sdwa v11, sext(v11), s30 dst_sel:DWORD dst_unused:UNUSED_PAD src0_sel:BYTE_0 src1_sel:DWORD
	v_lshl_add_u32 v0, v0, 23, v41
	v_or3_b32 v20, v11, v0, v20
	v_mov_b32_e32 v21, v5
.LBB183_227:                            ;   in Loop: Header=BB183_184 Depth=1
	s_or_b64 exec, exec, s[18:19]
.LBB183_228:                            ;   in Loop: Header=BB183_184 Depth=1
	s_or_b64 exec, exec, s[16:17]
.LBB183_229:                            ;   in Loop: Header=BB183_184 Depth=1
	s_or_b64 exec, exec, s[12:13]
	v_cmp_lt_u32_e64 s[0:1], s31, v15
	s_and_saveexec_b64 s[12:13], s[0:1]
	s_cbranch_execz .LBB183_235
; %bb.230:                              ;   in Loop: Header=BB183_184 Depth=1
	v_mov_b32_e32 v23, v6
	v_cmp_ne_u32_sdwa s[0:1], v15, s28 src0_sel:BYTE_3 src1_sel:DWORD
	v_mov_b32_e32 v22, v5
	s_and_saveexec_b64 s[16:17], s[0:1]
	s_cbranch_execz .LBB183_234
; %bb.231:                              ;   in Loop: Header=BB183_184 Depth=1
	v_bfe_u32 v0, v15, 24, 7
	v_mov_b32_e32 v11, v5
	v_mov_b32_e32 v23, v12
	v_cmp_ne_u32_e64 s[0:1], s29, v0
	v_mov_b32_e32 v22, v11
	s_and_saveexec_b64 s[18:19], s[0:1]
	s_cbranch_execz .LBB183_233
; %bb.232:                              ;   in Loop: Header=BB183_184 Depth=1
	v_and_b32_sdwa v22, v15, v34 dst_sel:DWORD dst_unused:UNUSED_PAD src0_sel:BYTE_3 src1_sel:DWORD
	v_ffbh_u32_e32 v32, v22
	v_min_u32_e32 v42, 32, v32
	v_mov_b32_e32 v23, v5
	v_subrev_u32_e32 v32, 28, v42
	v_lshlrev_b64 v[32:33], v32, v[22:23]
	v_lshrrev_b32_e32 v11, 3, v0
	v_sub_u32_e32 v23, 29, v42
	v_cmp_gt_u32_e64 s[0:1], 8, v0
	v_and_b32_e32 v32, 7, v32
	v_cndmask_b32_e64 v0, v11, v23, s[0:1]
	v_cndmask_b32_e64 v11, v22, v32, s[0:1]
	v_lshlrev_b32_sdwa v15, v24, v15 dst_sel:DWORD dst_unused:UNUSED_PAD src0_sel:DWORD src1_sel:BYTE_3
	v_lshl_add_u32 v0, v0, 23, v41
	v_and_or_b32 v0, v15, s30, v0
	v_lshlrev_b32_e32 v11, 20, v11
	v_or_b32_e32 v23, v0, v11
	v_mov_b32_e32 v22, v5
.LBB183_233:                            ;   in Loop: Header=BB183_184 Depth=1
	s_or_b64 exec, exec, s[18:19]
.LBB183_234:                            ;   in Loop: Header=BB183_184 Depth=1
	s_or_b64 exec, exec, s[16:17]
.LBB183_235:                            ;   in Loop: Header=BB183_184 Depth=1
	s_or_b64 exec, exec, s[12:13]
	s_mov_b32 s38, s37
	v_or_b32_e32 v0, v19, v17
	v_or_b32_e32 v11, v18, v16
	v_mul_f32_e32 v52, s38, v0
	v_mul_f32_e32 v55, s37, v11
	v_or_b32_e32 v0, v23, v21
	v_or_b32_e32 v11, v22, v20
	v_mul_f32_e32 v54, s37, v11
	v_mul_f32_e32 v53, s38, v0
	s_and_saveexec_b64 s[12:13], vcc
; %bb.236:                              ;   in Loop: Header=BB183_184 Depth=1
	v_cmp_gt_i32_e64 s[0:1], s33, v48
	v_cndmask_b32_e64 v55, 0, v55, s[0:1]
	v_cmp_gt_i32_e64 s[0:1], s33, v51
	v_cndmask_b32_e64 v52, 0, v52, s[0:1]
	;; [unrolled: 2-line block ×4, first 2 shown]
; %bb.237:                              ;   in Loop: Header=BB183_184 Depth=1
	s_or_b64 exec, exec, s[12:13]
	global_load_dword v15, v[13:14], off offset:512
	v_mov_b32_e32 v18, 0
	v_mov_b32_e32 v16, 0
	;; [unrolled: 1-line block ×4, first 2 shown]
	s_waitcnt vmcnt(0)
	v_cmp_ne_u16_sdwa s[0:1], v15, v5 src0_sel:BYTE_0 src1_sel:DWORD
	s_and_saveexec_b64 s[12:13], s[0:1]
	s_cbranch_execz .LBB183_243
; %bb.238:                              ;   in Loop: Header=BB183_184 Depth=1
	v_bfrev_b32_e32 v16, 1
	v_mov_b32_e32 v17, 0
	v_cmp_ne_u16_sdwa s[0:1], v15, s28 src0_sel:BYTE_0 src1_sel:DWORD
	s_and_saveexec_b64 s[16:17], s[0:1]
	s_cbranch_execz .LBB183_242
; %bb.239:                              ;   in Loop: Header=BB183_184 Depth=1
	v_and_b32_e32 v0, 0x7f, v15
	v_mov_b32_e32 v16, 0x7f800001
	v_mov_b32_e32 v17, 0
	v_cmp_ne_u32_e64 s[0:1], s29, v0
	s_and_saveexec_b64 s[18:19], s[0:1]
	s_cbranch_execz .LBB183_241
; %bb.240:                              ;   in Loop: Header=BB183_184 Depth=1
	v_and_b32_e32 v11, 7, v15
	v_ffbh_u32_e32 v16, v11
	v_min_u32_e32 v21, 32, v16
	v_subrev_u32_e32 v16, 28, v21
	v_lshlrev_b64 v[16:17], v16, v[15:16]
	v_lshrrev_b32_e32 v20, 3, v0
	v_sub_u32_e32 v17, 29, v21
	v_and_b32_e32 v16, 7, v16
	v_cmp_gt_u32_e64 s[0:1], 8, v0
	v_cndmask_b32_e64 v0, v20, v17, s[0:1]
	v_cndmask_b32_e64 v11, v11, v16, s[0:1]
	v_lshlrev_b32_e32 v11, 20, v11
	v_and_b32_sdwa v16, sext(v15), s30 dst_sel:DWORD dst_unused:UNUSED_PAD src0_sel:BYTE_0 src1_sel:DWORD
	v_lshl_add_u32 v0, v0, 23, v41
	v_or3_b32 v16, v16, v0, v11
	v_mov_b32_e32 v17, v5
.LBB183_241:                            ;   in Loop: Header=BB183_184 Depth=1
	s_or_b64 exec, exec, s[18:19]
.LBB183_242:                            ;   in Loop: Header=BB183_184 Depth=1
	s_or_b64 exec, exec, s[16:17]
.LBB183_243:                            ;   in Loop: Header=BB183_184 Depth=1
	s_or_b64 exec, exec, s[12:13]
	v_cmp_ne_u16_sdwa s[0:1], v15, v5 src0_sel:BYTE_1 src1_sel:DWORD
	s_and_saveexec_b64 s[12:13], s[0:1]
	s_cbranch_execz .LBB183_249
; %bb.244:                              ;   in Loop: Header=BB183_184 Depth=1
	v_mov_b32_e32 v19, v6
	v_cmp_ne_u16_sdwa s[0:1], v15, s28 src0_sel:BYTE_1 src1_sel:DWORD
	v_mov_b32_e32 v18, v5
	s_and_saveexec_b64 s[16:17], s[0:1]
	s_cbranch_execz .LBB183_248
; %bb.245:                              ;   in Loop: Header=BB183_184 Depth=1
	v_and_b32_sdwa v0, v15, s29 dst_sel:DWORD dst_unused:UNUSED_PAD src0_sel:BYTE_1 src1_sel:DWORD
	v_mov_b32_e32 v11, v5
	v_mov_b32_e32 v19, v12
	v_cmp_ne_u32_e64 s[0:1], s29, v0
	v_mov_b32_e32 v18, v11
	s_and_saveexec_b64 s[18:19], s[0:1]
	s_cbranch_execz .LBB183_247
; %bb.246:                              ;   in Loop: Header=BB183_184 Depth=1
	v_and_b32_sdwa v18, v15, v34 dst_sel:DWORD dst_unused:UNUSED_PAD src0_sel:BYTE_1 src1_sel:DWORD
	v_ffbh_u32_e32 v20, v18
	v_min_u32_e32 v21, 32, v20
	v_mov_b32_e32 v19, v5
	v_subrev_u32_e32 v20, 28, v21
	v_lshlrev_b64 v[19:20], v20, v[18:19]
	v_lshrrev_b32_e32 v11, 3, v0
	v_sub_u32_e32 v20, 29, v21
	v_cmp_gt_u32_e64 s[0:1], 8, v0
	v_and_b32_e32 v19, 7, v19
	v_cndmask_b32_e64 v0, v11, v20, s[0:1]
	v_cndmask_b32_e64 v11, v18, v19, s[0:1]
	v_lshlrev_b32_e32 v18, 16, v15
	v_lshl_add_u32 v0, v0, 23, v41
	v_and_or_b32 v0, v18, s30, v0
	v_lshlrev_b32_e32 v11, 20, v11
	v_or_b32_e32 v19, v0, v11
	v_mov_b32_e32 v18, v5
.LBB183_247:                            ;   in Loop: Header=BB183_184 Depth=1
	s_or_b64 exec, exec, s[18:19]
.LBB183_248:                            ;   in Loop: Header=BB183_184 Depth=1
	s_or_b64 exec, exec, s[16:17]
.LBB183_249:                            ;   in Loop: Header=BB183_184 Depth=1
	s_or_b64 exec, exec, s[12:13]
	v_lshrrev_b32_e32 v11, 16, v15
	v_mov_b32_e32 v22, 0
	v_mov_b32_e32 v20, 0
	;; [unrolled: 1-line block ×4, first 2 shown]
	v_cmp_ne_u16_sdwa s[0:1], v11, v5 src0_sel:BYTE_0 src1_sel:DWORD
	s_and_saveexec_b64 s[12:13], s[0:1]
	s_cbranch_execz .LBB183_255
; %bb.250:                              ;   in Loop: Header=BB183_184 Depth=1
	v_bfrev_b32_e32 v20, 1
	v_mov_b32_e32 v21, 0
	v_cmp_ne_u16_sdwa s[0:1], v11, s28 src0_sel:BYTE_0 src1_sel:DWORD
	s_and_saveexec_b64 s[16:17], s[0:1]
	s_cbranch_execz .LBB183_254
; %bb.251:                              ;   in Loop: Header=BB183_184 Depth=1
	v_bfe_u32 v0, v15, 16, 7
	v_mov_b32_e32 v20, 0x7f800001
	v_mov_b32_e32 v21, 0
	v_cmp_ne_u32_e64 s[0:1], s29, v0
	s_and_saveexec_b64 s[18:19], s[0:1]
	s_cbranch_execz .LBB183_253
; %bb.252:                              ;   in Loop: Header=BB183_184 Depth=1
	v_and_b32_e32 v32, 7, v11
	v_ffbh_u32_e32 v20, v32
	v_min_u32_e32 v42, 32, v20
	v_subrev_u32_e32 v20, 28, v42
	v_lshlrev_b64 v[20:21], v20, v[11:12]
	v_lshrrev_b32_e32 v33, 3, v0
	v_sub_u32_e32 v21, 29, v42
	v_and_b32_e32 v20, 7, v20
	v_cmp_gt_u32_e64 s[0:1], 8, v0
	v_cndmask_b32_e64 v0, v33, v21, s[0:1]
	v_cndmask_b32_e64 v20, v32, v20, s[0:1]
	v_lshlrev_b32_e32 v20, 20, v20
	v_and_b32_sdwa v11, sext(v11), s30 dst_sel:DWORD dst_unused:UNUSED_PAD src0_sel:BYTE_0 src1_sel:DWORD
	v_lshl_add_u32 v0, v0, 23, v41
	v_or3_b32 v20, v11, v0, v20
	v_mov_b32_e32 v21, v5
.LBB183_253:                            ;   in Loop: Header=BB183_184 Depth=1
	s_or_b64 exec, exec, s[18:19]
.LBB183_254:                            ;   in Loop: Header=BB183_184 Depth=1
	s_or_b64 exec, exec, s[16:17]
.LBB183_255:                            ;   in Loop: Header=BB183_184 Depth=1
	s_or_b64 exec, exec, s[12:13]
	v_cmp_lt_u32_e64 s[0:1], s31, v15
	s_and_saveexec_b64 s[12:13], s[0:1]
	s_cbranch_execz .LBB183_261
; %bb.256:                              ;   in Loop: Header=BB183_184 Depth=1
	v_mov_b32_e32 v23, v6
	v_cmp_ne_u32_sdwa s[0:1], v15, s28 src0_sel:BYTE_3 src1_sel:DWORD
	v_mov_b32_e32 v22, v5
	s_and_saveexec_b64 s[16:17], s[0:1]
	s_cbranch_execz .LBB183_260
; %bb.257:                              ;   in Loop: Header=BB183_184 Depth=1
	v_bfe_u32 v0, v15, 24, 7
	v_mov_b32_e32 v11, v5
	v_mov_b32_e32 v23, v12
	v_cmp_ne_u32_e64 s[0:1], s29, v0
	v_mov_b32_e32 v22, v11
	s_and_saveexec_b64 s[18:19], s[0:1]
	s_cbranch_execz .LBB183_259
; %bb.258:                              ;   in Loop: Header=BB183_184 Depth=1
	v_and_b32_sdwa v22, v15, v34 dst_sel:DWORD dst_unused:UNUSED_PAD src0_sel:BYTE_3 src1_sel:DWORD
	v_ffbh_u32_e32 v32, v22
	v_min_u32_e32 v42, 32, v32
	v_mov_b32_e32 v23, v5
	v_subrev_u32_e32 v32, 28, v42
	v_lshlrev_b64 v[32:33], v32, v[22:23]
	v_lshrrev_b32_e32 v11, 3, v0
	v_sub_u32_e32 v23, 29, v42
	v_cmp_gt_u32_e64 s[0:1], 8, v0
	v_and_b32_e32 v32, 7, v32
	v_cndmask_b32_e64 v0, v11, v23, s[0:1]
	v_cndmask_b32_e64 v11, v22, v32, s[0:1]
	v_lshlrev_b32_sdwa v15, v24, v15 dst_sel:DWORD dst_unused:UNUSED_PAD src0_sel:DWORD src1_sel:BYTE_3
	v_lshl_add_u32 v0, v0, 23, v41
	v_and_or_b32 v0, v15, s30, v0
	v_lshlrev_b32_e32 v11, 20, v11
	v_or_b32_e32 v23, v0, v11
	v_mov_b32_e32 v22, v5
.LBB183_259:                            ;   in Loop: Header=BB183_184 Depth=1
	s_or_b64 exec, exec, s[18:19]
.LBB183_260:                            ;   in Loop: Header=BB183_184 Depth=1
	s_or_b64 exec, exec, s[16:17]
.LBB183_261:                            ;   in Loop: Header=BB183_184 Depth=1
	s_or_b64 exec, exec, s[12:13]
	v_or_b32_e32 v0, v19, v17
	v_or_b32_e32 v11, v18, v16
	v_mul_f32_e32 v56, s38, v0
	v_mul_f32_e32 v59, s37, v11
	v_or_b32_e32 v0, v23, v21
	v_or_b32_e32 v11, v22, v20
	v_mul_f32_e32 v58, s37, v11
	v_mul_f32_e32 v57, s38, v0
	s_and_saveexec_b64 s[12:13], vcc
; %bb.262:                              ;   in Loop: Header=BB183_184 Depth=1
	v_cmp_gt_i32_e64 s[0:1], s33, v48
	v_cndmask_b32_e64 v59, 0, v59, s[0:1]
	v_cmp_gt_i32_e64 s[0:1], s33, v51
	v_cndmask_b32_e64 v56, 0, v56, s[0:1]
	;; [unrolled: 2-line block ×4, first 2 shown]
; %bb.263:                              ;   in Loop: Header=BB183_184 Depth=1
	s_or_b64 exec, exec, s[12:13]
	global_load_dword v15, v[13:14], off offset:768
	v_mov_b32_e32 v18, 0
	v_mov_b32_e32 v16, 0
	;; [unrolled: 1-line block ×4, first 2 shown]
	s_waitcnt vmcnt(0)
	v_cmp_ne_u16_sdwa s[0:1], v15, v5 src0_sel:BYTE_0 src1_sel:DWORD
	s_and_saveexec_b64 s[12:13], s[0:1]
	s_cbranch_execz .LBB183_269
; %bb.264:                              ;   in Loop: Header=BB183_184 Depth=1
	v_bfrev_b32_e32 v16, 1
	v_mov_b32_e32 v17, 0
	v_cmp_ne_u16_sdwa s[0:1], v15, s28 src0_sel:BYTE_0 src1_sel:DWORD
	s_and_saveexec_b64 s[16:17], s[0:1]
	s_cbranch_execz .LBB183_268
; %bb.265:                              ;   in Loop: Header=BB183_184 Depth=1
	v_and_b32_e32 v0, 0x7f, v15
	v_mov_b32_e32 v16, 0x7f800001
	v_mov_b32_e32 v17, 0
	v_cmp_ne_u32_e64 s[0:1], s29, v0
	s_and_saveexec_b64 s[18:19], s[0:1]
	s_cbranch_execz .LBB183_267
; %bb.266:                              ;   in Loop: Header=BB183_184 Depth=1
	v_and_b32_e32 v11, 7, v15
	v_ffbh_u32_e32 v16, v11
	v_min_u32_e32 v21, 32, v16
	v_subrev_u32_e32 v16, 28, v21
	v_lshlrev_b64 v[16:17], v16, v[15:16]
	v_lshrrev_b32_e32 v20, 3, v0
	v_sub_u32_e32 v17, 29, v21
	v_and_b32_e32 v16, 7, v16
	v_cmp_gt_u32_e64 s[0:1], 8, v0
	v_cndmask_b32_e64 v0, v20, v17, s[0:1]
	v_cndmask_b32_e64 v11, v11, v16, s[0:1]
	v_lshlrev_b32_e32 v11, 20, v11
	v_and_b32_sdwa v16, sext(v15), s30 dst_sel:DWORD dst_unused:UNUSED_PAD src0_sel:BYTE_0 src1_sel:DWORD
	v_lshl_add_u32 v0, v0, 23, v41
	v_or3_b32 v16, v16, v0, v11
	v_mov_b32_e32 v17, v5
.LBB183_267:                            ;   in Loop: Header=BB183_184 Depth=1
	s_or_b64 exec, exec, s[18:19]
.LBB183_268:                            ;   in Loop: Header=BB183_184 Depth=1
	s_or_b64 exec, exec, s[16:17]
.LBB183_269:                            ;   in Loop: Header=BB183_184 Depth=1
	s_or_b64 exec, exec, s[12:13]
	v_cmp_ne_u16_sdwa s[0:1], v15, v5 src0_sel:BYTE_1 src1_sel:DWORD
	s_and_saveexec_b64 s[12:13], s[0:1]
	s_cbranch_execz .LBB183_275
; %bb.270:                              ;   in Loop: Header=BB183_184 Depth=1
	v_mov_b32_e32 v19, v6
	v_cmp_ne_u16_sdwa s[0:1], v15, s28 src0_sel:BYTE_1 src1_sel:DWORD
	v_mov_b32_e32 v18, v5
	s_and_saveexec_b64 s[16:17], s[0:1]
	s_cbranch_execz .LBB183_274
; %bb.271:                              ;   in Loop: Header=BB183_184 Depth=1
	v_and_b32_sdwa v0, v15, s29 dst_sel:DWORD dst_unused:UNUSED_PAD src0_sel:BYTE_1 src1_sel:DWORD
	v_mov_b32_e32 v11, v5
	v_mov_b32_e32 v19, v12
	v_cmp_ne_u32_e64 s[0:1], s29, v0
	v_mov_b32_e32 v18, v11
	s_and_saveexec_b64 s[18:19], s[0:1]
	s_cbranch_execz .LBB183_273
; %bb.272:                              ;   in Loop: Header=BB183_184 Depth=1
	v_and_b32_sdwa v18, v15, v34 dst_sel:DWORD dst_unused:UNUSED_PAD src0_sel:BYTE_1 src1_sel:DWORD
	v_ffbh_u32_e32 v20, v18
	v_min_u32_e32 v21, 32, v20
	v_mov_b32_e32 v19, v5
	v_subrev_u32_e32 v20, 28, v21
	v_lshlrev_b64 v[19:20], v20, v[18:19]
	v_lshrrev_b32_e32 v11, 3, v0
	v_sub_u32_e32 v20, 29, v21
	v_cmp_gt_u32_e64 s[0:1], 8, v0
	v_and_b32_e32 v19, 7, v19
	v_cndmask_b32_e64 v0, v11, v20, s[0:1]
	v_cndmask_b32_e64 v11, v18, v19, s[0:1]
	v_lshlrev_b32_e32 v18, 16, v15
	v_lshl_add_u32 v0, v0, 23, v41
	v_and_or_b32 v0, v18, s30, v0
	v_lshlrev_b32_e32 v11, 20, v11
	v_or_b32_e32 v19, v0, v11
	v_mov_b32_e32 v18, v5
.LBB183_273:                            ;   in Loop: Header=BB183_184 Depth=1
	s_or_b64 exec, exec, s[18:19]
.LBB183_274:                            ;   in Loop: Header=BB183_184 Depth=1
	s_or_b64 exec, exec, s[16:17]
.LBB183_275:                            ;   in Loop: Header=BB183_184 Depth=1
	s_or_b64 exec, exec, s[12:13]
	v_lshrrev_b32_e32 v11, 16, v15
	v_mov_b32_e32 v22, 0
	v_mov_b32_e32 v20, 0
	;; [unrolled: 1-line block ×4, first 2 shown]
	v_cmp_ne_u16_sdwa s[0:1], v11, v5 src0_sel:BYTE_0 src1_sel:DWORD
	s_and_saveexec_b64 s[12:13], s[0:1]
	s_cbranch_execz .LBB183_281
; %bb.276:                              ;   in Loop: Header=BB183_184 Depth=1
	v_bfrev_b32_e32 v20, 1
	v_mov_b32_e32 v21, 0
	v_cmp_ne_u16_sdwa s[0:1], v11, s28 src0_sel:BYTE_0 src1_sel:DWORD
	s_and_saveexec_b64 s[16:17], s[0:1]
	s_cbranch_execz .LBB183_280
; %bb.277:                              ;   in Loop: Header=BB183_184 Depth=1
	v_bfe_u32 v0, v15, 16, 7
	v_mov_b32_e32 v20, 0x7f800001
	v_mov_b32_e32 v21, 0
	v_cmp_ne_u32_e64 s[0:1], s29, v0
	s_and_saveexec_b64 s[18:19], s[0:1]
	s_cbranch_execz .LBB183_279
; %bb.278:                              ;   in Loop: Header=BB183_184 Depth=1
	v_and_b32_e32 v32, 7, v11
	v_lshrrev_b32_e32 v33, 3, v0
	v_cmp_gt_u32_e64 s[0:1], 8, v0
	v_ffbh_u32_e32 v0, v32
	v_min_u32_e32 v0, 32, v0
	v_subrev_u32_e32 v20, 28, v0
	v_lshlrev_b64 v[20:21], v20, v[11:12]
	v_sub_u32_e32 v0, 29, v0
	v_and_b32_e32 v20, 7, v20
	v_cndmask_b32_e64 v0, v33, v0, s[0:1]
	v_cndmask_b32_e64 v20, v32, v20, s[0:1]
	v_lshlrev_b32_e32 v20, 20, v20
	v_and_b32_sdwa v11, sext(v11), s30 dst_sel:DWORD dst_unused:UNUSED_PAD src0_sel:BYTE_0 src1_sel:DWORD
	v_lshl_add_u32 v0, v0, 23, v41
	v_or3_b32 v20, v11, v0, v20
	v_mov_b32_e32 v21, v5
.LBB183_279:                            ;   in Loop: Header=BB183_184 Depth=1
	s_or_b64 exec, exec, s[18:19]
.LBB183_280:                            ;   in Loop: Header=BB183_184 Depth=1
	s_or_b64 exec, exec, s[16:17]
.LBB183_281:                            ;   in Loop: Header=BB183_184 Depth=1
	s_or_b64 exec, exec, s[12:13]
	v_cmp_lt_u32_e64 s[0:1], s31, v15
	s_and_saveexec_b64 s[12:13], s[0:1]
	s_cbranch_execz .LBB183_287
; %bb.282:                              ;   in Loop: Header=BB183_184 Depth=1
	v_mov_b32_e32 v23, v6
	v_cmp_ne_u32_sdwa s[0:1], v15, s28 src0_sel:BYTE_3 src1_sel:DWORD
	v_mov_b32_e32 v22, v5
	s_and_saveexec_b64 s[16:17], s[0:1]
	s_cbranch_execz .LBB183_286
; %bb.283:                              ;   in Loop: Header=BB183_184 Depth=1
	v_bfe_u32 v0, v15, 24, 7
	v_mov_b32_e32 v11, v5
	v_mov_b32_e32 v23, v12
	v_cmp_ne_u32_e64 s[0:1], s29, v0
	v_mov_b32_e32 v22, v11
	s_and_saveexec_b64 s[18:19], s[0:1]
	s_cbranch_execz .LBB183_285
; %bb.284:                              ;   in Loop: Header=BB183_184 Depth=1
	v_and_b32_sdwa v22, v15, v34 dst_sel:DWORD dst_unused:UNUSED_PAD src0_sel:BYTE_3 src1_sel:DWORD
	v_lshrrev_b32_e32 v11, 3, v0
	v_cmp_gt_u32_e64 s[0:1], 8, v0
	v_ffbh_u32_e32 v0, v22
	v_min_u32_e32 v0, 32, v0
	v_mov_b32_e32 v23, v5
	v_subrev_u32_e32 v32, 28, v0
	v_lshlrev_b64 v[32:33], v32, v[22:23]
	v_sub_u32_e32 v0, 29, v0
	v_and_b32_e32 v23, 7, v32
	v_cndmask_b32_e64 v0, v11, v0, s[0:1]
	v_cndmask_b32_e64 v11, v22, v23, s[0:1]
	v_lshlrev_b32_sdwa v15, v24, v15 dst_sel:DWORD dst_unused:UNUSED_PAD src0_sel:DWORD src1_sel:BYTE_3
	v_lshl_add_u32 v0, v0, 23, v41
	v_and_or_b32 v0, v15, s30, v0
	v_lshlrev_b32_e32 v11, 20, v11
	v_or_b32_e32 v23, v0, v11
	v_mov_b32_e32 v22, v5
.LBB183_285:                            ;   in Loop: Header=BB183_184 Depth=1
	s_or_b64 exec, exec, s[18:19]
.LBB183_286:                            ;   in Loop: Header=BB183_184 Depth=1
	s_or_b64 exec, exec, s[16:17]
.LBB183_287:                            ;   in Loop: Header=BB183_184 Depth=1
	s_or_b64 exec, exec, s[12:13]
	v_or_b32_e32 v0, v19, v17
	v_or_b32_e32 v11, v18, v16
	v_mul_f32_e32 v60, s38, v0
	v_mul_f32_e32 v63, s37, v11
	v_or_b32_e32 v0, v23, v21
	v_or_b32_e32 v11, v22, v20
	v_mul_f32_e32 v62, s37, v11
	v_mul_f32_e32 v61, s38, v0
	s_and_saveexec_b64 s[12:13], vcc
; %bb.288:                              ;   in Loop: Header=BB183_184 Depth=1
	v_cmp_gt_i32_e64 s[0:1], s33, v48
	v_cndmask_b32_e64 v63, 0, v63, s[0:1]
	v_cmp_gt_i32_e64 s[0:1], s33, v51
	v_cndmask_b32_e64 v60, 0, v60, s[0:1]
	;; [unrolled: 2-line block ×4, first 2 shown]
; %bb.289:                              ;   in Loop: Header=BB183_184 Depth=1
	s_or_b64 exec, exec, s[12:13]
	global_load_dword v15, v[13:14], off offset:1024
	v_mov_b32_e32 v18, 0
	v_mov_b32_e32 v16, 0
	;; [unrolled: 1-line block ×4, first 2 shown]
	s_waitcnt vmcnt(0)
	v_cmp_ne_u16_sdwa s[0:1], v15, v5 src0_sel:BYTE_0 src1_sel:DWORD
	s_and_saveexec_b64 s[12:13], s[0:1]
	s_cbranch_execz .LBB183_295
; %bb.290:                              ;   in Loop: Header=BB183_184 Depth=1
	v_bfrev_b32_e32 v16, 1
	v_mov_b32_e32 v17, 0
	v_cmp_ne_u16_sdwa s[0:1], v15, s28 src0_sel:BYTE_0 src1_sel:DWORD
	s_and_saveexec_b64 s[16:17], s[0:1]
	s_cbranch_execz .LBB183_294
; %bb.291:                              ;   in Loop: Header=BB183_184 Depth=1
	v_and_b32_e32 v0, 0x7f, v15
	v_mov_b32_e32 v16, 0x7f800001
	v_mov_b32_e32 v17, 0
	v_cmp_ne_u32_e64 s[0:1], s29, v0
	s_and_saveexec_b64 s[18:19], s[0:1]
	s_cbranch_execz .LBB183_293
; %bb.292:                              ;   in Loop: Header=BB183_184 Depth=1
	v_and_b32_e32 v11, 7, v15
	v_ffbh_u32_e32 v16, v11
	v_min_u32_e32 v21, 32, v16
	v_subrev_u32_e32 v16, 28, v21
	v_lshlrev_b64 v[16:17], v16, v[15:16]
	v_lshrrev_b32_e32 v20, 3, v0
	v_sub_u32_e32 v17, 29, v21
	v_and_b32_e32 v16, 7, v16
	v_cmp_gt_u32_e64 s[0:1], 8, v0
	v_cndmask_b32_e64 v0, v20, v17, s[0:1]
	v_cndmask_b32_e64 v11, v11, v16, s[0:1]
	v_lshlrev_b32_e32 v11, 20, v11
	v_and_b32_sdwa v16, sext(v15), s30 dst_sel:DWORD dst_unused:UNUSED_PAD src0_sel:BYTE_0 src1_sel:DWORD
	v_lshl_add_u32 v0, v0, 23, v41
	v_or3_b32 v16, v16, v0, v11
	v_mov_b32_e32 v17, v5
.LBB183_293:                            ;   in Loop: Header=BB183_184 Depth=1
	s_or_b64 exec, exec, s[18:19]
.LBB183_294:                            ;   in Loop: Header=BB183_184 Depth=1
	s_or_b64 exec, exec, s[16:17]
.LBB183_295:                            ;   in Loop: Header=BB183_184 Depth=1
	s_or_b64 exec, exec, s[12:13]
	v_cmp_ne_u16_sdwa s[0:1], v15, v5 src0_sel:BYTE_1 src1_sel:DWORD
	s_and_saveexec_b64 s[12:13], s[0:1]
	s_cbranch_execz .LBB183_301
; %bb.296:                              ;   in Loop: Header=BB183_184 Depth=1
	v_mov_b32_e32 v19, v6
	v_cmp_ne_u16_sdwa s[0:1], v15, s28 src0_sel:BYTE_1 src1_sel:DWORD
	v_mov_b32_e32 v18, v5
	s_and_saveexec_b64 s[16:17], s[0:1]
	s_cbranch_execz .LBB183_300
; %bb.297:                              ;   in Loop: Header=BB183_184 Depth=1
	v_and_b32_sdwa v0, v15, s29 dst_sel:DWORD dst_unused:UNUSED_PAD src0_sel:BYTE_1 src1_sel:DWORD
	v_mov_b32_e32 v11, v5
	v_mov_b32_e32 v19, v12
	v_cmp_ne_u32_e64 s[0:1], s29, v0
	v_mov_b32_e32 v18, v11
	s_and_saveexec_b64 s[18:19], s[0:1]
	s_cbranch_execz .LBB183_299
; %bb.298:                              ;   in Loop: Header=BB183_184 Depth=1
	v_and_b32_sdwa v18, v15, v34 dst_sel:DWORD dst_unused:UNUSED_PAD src0_sel:BYTE_1 src1_sel:DWORD
	v_lshrrev_b32_e32 v11, 3, v0
	v_cmp_gt_u32_e64 s[0:1], 8, v0
	v_ffbh_u32_e32 v0, v18
	v_min_u32_e32 v0, 32, v0
	v_mov_b32_e32 v19, v5
	v_subrev_u32_e32 v20, 28, v0
	v_lshlrev_b64 v[19:20], v20, v[18:19]
	v_sub_u32_e32 v0, 29, v0
	v_and_b32_e32 v19, 7, v19
	v_cndmask_b32_e64 v0, v11, v0, s[0:1]
	v_cndmask_b32_e64 v11, v18, v19, s[0:1]
	v_lshlrev_b32_e32 v18, 16, v15
	v_lshl_add_u32 v0, v0, 23, v41
	v_and_or_b32 v0, v18, s30, v0
	v_lshlrev_b32_e32 v11, 20, v11
	v_or_b32_e32 v19, v0, v11
	v_mov_b32_e32 v18, v5
.LBB183_299:                            ;   in Loop: Header=BB183_184 Depth=1
	s_or_b64 exec, exec, s[18:19]
.LBB183_300:                            ;   in Loop: Header=BB183_184 Depth=1
	s_or_b64 exec, exec, s[16:17]
.LBB183_301:                            ;   in Loop: Header=BB183_184 Depth=1
	s_or_b64 exec, exec, s[12:13]
	v_lshrrev_b32_e32 v11, 16, v15
	v_mov_b32_e32 v22, 0
	v_mov_b32_e32 v20, 0
	;; [unrolled: 1-line block ×4, first 2 shown]
	v_cmp_ne_u16_sdwa s[0:1], v11, v5 src0_sel:BYTE_0 src1_sel:DWORD
	s_and_saveexec_b64 s[12:13], s[0:1]
	s_cbranch_execz .LBB183_307
; %bb.302:                              ;   in Loop: Header=BB183_184 Depth=1
	v_bfrev_b32_e32 v20, 1
	v_mov_b32_e32 v21, 0
	v_cmp_ne_u16_sdwa s[0:1], v11, s28 src0_sel:BYTE_0 src1_sel:DWORD
	s_and_saveexec_b64 s[16:17], s[0:1]
	s_cbranch_execz .LBB183_306
; %bb.303:                              ;   in Loop: Header=BB183_184 Depth=1
	v_bfe_u32 v0, v15, 16, 7
	v_mov_b32_e32 v20, 0x7f800001
	v_mov_b32_e32 v21, 0
	v_cmp_ne_u32_e64 s[0:1], s29, v0
	s_and_saveexec_b64 s[18:19], s[0:1]
	s_cbranch_execz .LBB183_305
; %bb.304:                              ;   in Loop: Header=BB183_184 Depth=1
	v_and_b32_e32 v32, 7, v11
	v_lshrrev_b32_e32 v33, 3, v0
	v_cmp_gt_u32_e64 s[0:1], 8, v0
	v_ffbh_u32_e32 v0, v32
	v_min_u32_e32 v0, 32, v0
	v_subrev_u32_e32 v20, 28, v0
	v_lshlrev_b64 v[20:21], v20, v[11:12]
	v_sub_u32_e32 v0, 29, v0
	v_and_b32_e32 v20, 7, v20
	v_cndmask_b32_e64 v0, v33, v0, s[0:1]
	v_cndmask_b32_e64 v20, v32, v20, s[0:1]
	v_lshlrev_b32_e32 v20, 20, v20
	v_and_b32_sdwa v11, sext(v11), s30 dst_sel:DWORD dst_unused:UNUSED_PAD src0_sel:BYTE_0 src1_sel:DWORD
	v_lshl_add_u32 v0, v0, 23, v41
	v_or3_b32 v20, v11, v0, v20
	v_mov_b32_e32 v21, v5
.LBB183_305:                            ;   in Loop: Header=BB183_184 Depth=1
	s_or_b64 exec, exec, s[18:19]
.LBB183_306:                            ;   in Loop: Header=BB183_184 Depth=1
	s_or_b64 exec, exec, s[16:17]
.LBB183_307:                            ;   in Loop: Header=BB183_184 Depth=1
	s_or_b64 exec, exec, s[12:13]
	v_cmp_lt_u32_e64 s[0:1], s31, v15
	s_and_saveexec_b64 s[12:13], s[0:1]
	s_cbranch_execz .LBB183_313
; %bb.308:                              ;   in Loop: Header=BB183_184 Depth=1
	v_mov_b32_e32 v23, v6
	v_cmp_ne_u32_sdwa s[0:1], v15, s28 src0_sel:BYTE_3 src1_sel:DWORD
	v_mov_b32_e32 v22, v5
	s_and_saveexec_b64 s[16:17], s[0:1]
	s_cbranch_execz .LBB183_312
; %bb.309:                              ;   in Loop: Header=BB183_184 Depth=1
	v_bfe_u32 v0, v15, 24, 7
	v_mov_b32_e32 v11, v5
	v_mov_b32_e32 v23, v12
	v_cmp_ne_u32_e64 s[0:1], s29, v0
	v_mov_b32_e32 v22, v11
	s_and_saveexec_b64 s[18:19], s[0:1]
	s_cbranch_execz .LBB183_311
; %bb.310:                              ;   in Loop: Header=BB183_184 Depth=1
	v_and_b32_sdwa v22, v15, v34 dst_sel:DWORD dst_unused:UNUSED_PAD src0_sel:BYTE_3 src1_sel:DWORD
	v_lshrrev_b32_e32 v11, 3, v0
	v_cmp_gt_u32_e64 s[0:1], 8, v0
	v_ffbh_u32_e32 v0, v22
	v_min_u32_e32 v0, 32, v0
	v_mov_b32_e32 v23, v5
	v_subrev_u32_e32 v32, 28, v0
	v_lshlrev_b64 v[32:33], v32, v[22:23]
	v_sub_u32_e32 v0, 29, v0
	v_and_b32_e32 v23, 7, v32
	v_cndmask_b32_e64 v0, v11, v0, s[0:1]
	v_cndmask_b32_e64 v11, v22, v23, s[0:1]
	v_lshlrev_b32_sdwa v15, v24, v15 dst_sel:DWORD dst_unused:UNUSED_PAD src0_sel:DWORD src1_sel:BYTE_3
	v_lshl_add_u32 v0, v0, 23, v41
	v_and_or_b32 v0, v15, s30, v0
	v_lshlrev_b32_e32 v11, 20, v11
	v_or_b32_e32 v23, v0, v11
	v_mov_b32_e32 v22, v5
.LBB183_311:                            ;   in Loop: Header=BB183_184 Depth=1
	s_or_b64 exec, exec, s[18:19]
.LBB183_312:                            ;   in Loop: Header=BB183_184 Depth=1
	s_or_b64 exec, exec, s[16:17]
.LBB183_313:                            ;   in Loop: Header=BB183_184 Depth=1
	s_or_b64 exec, exec, s[12:13]
	v_or_b32_e32 v0, v19, v17
	v_or_b32_e32 v11, v18, v16
	v_mul_f32_e32 v32, s38, v0
	v_mul_f32_e32 v33, s37, v11
	v_or_b32_e32 v0, v23, v21
	v_or_b32_e32 v11, v22, v20
	v_mul_f32_e32 v23, s37, v11
	v_mul_f32_e32 v22, s38, v0
	s_and_saveexec_b64 s[12:13], vcc
; %bb.314:                              ;   in Loop: Header=BB183_184 Depth=1
	v_cmp_gt_i32_e64 s[0:1], s33, v48
	v_cndmask_b32_e64 v33, 0, v33, s[0:1]
	v_cmp_gt_i32_e64 s[0:1], s33, v51
	v_cndmask_b32_e64 v32, 0, v32, s[0:1]
	;; [unrolled: 2-line block ×4, first 2 shown]
; %bb.315:                              ;   in Loop: Header=BB183_184 Depth=1
	s_or_b64 exec, exec, s[12:13]
	global_load_dword v13, v[13:14], off offset:1280
	v_mov_b32_e32 v16, 0
	v_mov_b32_e32 v14, 0
	v_mov_b32_e32 v17, 0
	v_mov_b32_e32 v15, 0
	s_waitcnt vmcnt(0)
	v_cmp_ne_u16_sdwa s[0:1], v13, v5 src0_sel:BYTE_0 src1_sel:DWORD
	s_and_saveexec_b64 s[12:13], s[0:1]
	s_cbranch_execz .LBB183_321
; %bb.316:                              ;   in Loop: Header=BB183_184 Depth=1
	v_bfrev_b32_e32 v14, 1
	v_mov_b32_e32 v15, 0
	v_cmp_ne_u16_sdwa s[0:1], v13, s28 src0_sel:BYTE_0 src1_sel:DWORD
	s_and_saveexec_b64 s[16:17], s[0:1]
	s_cbranch_execz .LBB183_320
; %bb.317:                              ;   in Loop: Header=BB183_184 Depth=1
	v_and_b32_e32 v0, 0x7f, v13
	v_mov_b32_e32 v14, 0x7f800001
	v_mov_b32_e32 v15, 0
	v_cmp_ne_u32_e64 s[0:1], s29, v0
	s_and_saveexec_b64 s[18:19], s[0:1]
	s_cbranch_execz .LBB183_319
; %bb.318:                              ;   in Loop: Header=BB183_184 Depth=1
	v_and_b32_e32 v11, 7, v13
	v_lshrrev_b32_e32 v18, 3, v0
	v_cmp_gt_u32_e64 s[0:1], 8, v0
	v_ffbh_u32_e32 v0, v11
	v_min_u32_e32 v0, 32, v0
	v_subrev_u32_e32 v14, 28, v0
	v_lshlrev_b64 v[14:15], v14, v[13:14]
	v_sub_u32_e32 v0, 29, v0
	v_and_b32_e32 v14, 7, v14
	v_cndmask_b32_e64 v0, v18, v0, s[0:1]
	v_cndmask_b32_e64 v11, v11, v14, s[0:1]
	v_lshlrev_b32_e32 v11, 20, v11
	v_and_b32_sdwa v14, sext(v13), s30 dst_sel:DWORD dst_unused:UNUSED_PAD src0_sel:BYTE_0 src1_sel:DWORD
	v_lshl_add_u32 v0, v0, 23, v41
	v_or3_b32 v14, v14, v0, v11
	v_mov_b32_e32 v15, v5
.LBB183_319:                            ;   in Loop: Header=BB183_184 Depth=1
	s_or_b64 exec, exec, s[18:19]
.LBB183_320:                            ;   in Loop: Header=BB183_184 Depth=1
	s_or_b64 exec, exec, s[16:17]
.LBB183_321:                            ;   in Loop: Header=BB183_184 Depth=1
	s_or_b64 exec, exec, s[12:13]
	v_cmp_ne_u16_sdwa s[0:1], v13, v5 src0_sel:BYTE_1 src1_sel:DWORD
	s_and_saveexec_b64 s[12:13], s[0:1]
	s_cbranch_execz .LBB183_327
; %bb.322:                              ;   in Loop: Header=BB183_184 Depth=1
	v_mov_b32_e32 v17, v6
	v_cmp_ne_u16_sdwa s[0:1], v13, s28 src0_sel:BYTE_1 src1_sel:DWORD
	v_mov_b32_e32 v16, v5
	s_and_saveexec_b64 s[16:17], s[0:1]
	s_cbranch_execz .LBB183_326
; %bb.323:                              ;   in Loop: Header=BB183_184 Depth=1
	v_and_b32_sdwa v0, v13, s29 dst_sel:DWORD dst_unused:UNUSED_PAD src0_sel:BYTE_1 src1_sel:DWORD
	v_mov_b32_e32 v11, v5
	v_mov_b32_e32 v17, v12
	v_cmp_ne_u32_e64 s[0:1], s29, v0
	v_mov_b32_e32 v16, v11
	s_and_saveexec_b64 s[18:19], s[0:1]
	s_cbranch_execz .LBB183_325
; %bb.324:                              ;   in Loop: Header=BB183_184 Depth=1
	v_and_b32_sdwa v16, v13, v34 dst_sel:DWORD dst_unused:UNUSED_PAD src0_sel:BYTE_1 src1_sel:DWORD
	v_lshrrev_b32_e32 v11, 3, v0
	v_cmp_gt_u32_e64 s[0:1], 8, v0
	v_ffbh_u32_e32 v0, v16
	v_min_u32_e32 v0, 32, v0
	v_mov_b32_e32 v17, v5
	v_subrev_u32_e32 v18, 28, v0
	v_lshlrev_b64 v[17:18], v18, v[16:17]
	v_sub_u32_e32 v0, 29, v0
	v_and_b32_e32 v17, 7, v17
	v_cndmask_b32_e64 v0, v11, v0, s[0:1]
	v_cndmask_b32_e64 v11, v16, v17, s[0:1]
	v_lshlrev_b32_e32 v16, 16, v13
	v_lshl_add_u32 v0, v0, 23, v41
	v_and_or_b32 v0, v16, s30, v0
	v_lshlrev_b32_e32 v11, 20, v11
	v_or_b32_e32 v17, v0, v11
	v_mov_b32_e32 v16, v5
.LBB183_325:                            ;   in Loop: Header=BB183_184 Depth=1
	s_or_b64 exec, exec, s[18:19]
.LBB183_326:                            ;   in Loop: Header=BB183_184 Depth=1
	s_or_b64 exec, exec, s[16:17]
.LBB183_327:                            ;   in Loop: Header=BB183_184 Depth=1
	s_or_b64 exec, exec, s[12:13]
	v_lshrrev_b32_e32 v11, 16, v13
	v_mov_b32_e32 v20, 0
	v_mov_b32_e32 v18, 0
	v_mov_b32_e32 v21, 0
	v_mov_b32_e32 v19, 0
	v_cmp_ne_u16_sdwa s[0:1], v11, v5 src0_sel:BYTE_0 src1_sel:DWORD
	s_and_saveexec_b64 s[12:13], s[0:1]
	s_cbranch_execz .LBB183_333
; %bb.328:                              ;   in Loop: Header=BB183_184 Depth=1
	v_bfrev_b32_e32 v18, 1
	v_mov_b32_e32 v19, 0
	v_cmp_ne_u16_sdwa s[0:1], v11, s28 src0_sel:BYTE_0 src1_sel:DWORD
	s_and_saveexec_b64 s[16:17], s[0:1]
	s_cbranch_execz .LBB183_332
; %bb.329:                              ;   in Loop: Header=BB183_184 Depth=1
	v_bfe_u32 v0, v13, 16, 7
	v_mov_b32_e32 v18, 0x7f800001
	v_mov_b32_e32 v19, 0
	v_cmp_ne_u32_e64 s[0:1], s29, v0
	s_and_saveexec_b64 s[18:19], s[0:1]
	s_cbranch_execz .LBB183_331
; %bb.330:                              ;   in Loop: Header=BB183_184 Depth=1
	v_and_b32_e32 v42, 7, v11
	v_lshrrev_b32_e32 v43, 3, v0
	v_cmp_gt_u32_e64 s[0:1], 8, v0
	v_ffbh_u32_e32 v0, v42
	v_min_u32_e32 v0, 32, v0
	v_subrev_u32_e32 v18, 28, v0
	v_lshlrev_b64 v[18:19], v18, v[11:12]
	v_sub_u32_e32 v0, 29, v0
	v_and_b32_e32 v18, 7, v18
	v_cndmask_b32_e64 v0, v43, v0, s[0:1]
	v_cndmask_b32_e64 v18, v42, v18, s[0:1]
	v_lshlrev_b32_e32 v18, 20, v18
	v_and_b32_sdwa v11, sext(v11), s30 dst_sel:DWORD dst_unused:UNUSED_PAD src0_sel:BYTE_0 src1_sel:DWORD
	v_lshl_add_u32 v0, v0, 23, v41
	v_or3_b32 v18, v11, v0, v18
	v_mov_b32_e32 v19, v5
.LBB183_331:                            ;   in Loop: Header=BB183_184 Depth=1
	s_or_b64 exec, exec, s[18:19]
.LBB183_332:                            ;   in Loop: Header=BB183_184 Depth=1
	s_or_b64 exec, exec, s[16:17]
.LBB183_333:                            ;   in Loop: Header=BB183_184 Depth=1
	s_or_b64 exec, exec, s[12:13]
	v_cmp_lt_u32_e64 s[0:1], s31, v13
	s_and_saveexec_b64 s[12:13], s[0:1]
	s_cbranch_execz .LBB183_339
; %bb.334:                              ;   in Loop: Header=BB183_184 Depth=1
	v_mov_b32_e32 v21, v6
	v_cmp_ne_u32_sdwa s[0:1], v13, s28 src0_sel:BYTE_3 src1_sel:DWORD
	v_mov_b32_e32 v20, v5
	s_and_saveexec_b64 s[16:17], s[0:1]
	s_cbranch_execz .LBB183_338
; %bb.335:                              ;   in Loop: Header=BB183_184 Depth=1
	v_bfe_u32 v0, v13, 24, 7
	v_mov_b32_e32 v11, v5
	v_mov_b32_e32 v21, v12
	v_cmp_ne_u32_e64 s[0:1], s29, v0
	v_mov_b32_e32 v20, v11
	s_and_saveexec_b64 s[18:19], s[0:1]
	s_cbranch_execz .LBB183_337
; %bb.336:                              ;   in Loop: Header=BB183_184 Depth=1
	v_and_b32_sdwa v20, v13, v34 dst_sel:DWORD dst_unused:UNUSED_PAD src0_sel:BYTE_3 src1_sel:DWORD
	v_lshrrev_b32_e32 v11, 3, v0
	v_cmp_gt_u32_e64 s[0:1], 8, v0
	v_ffbh_u32_e32 v0, v20
	v_min_u32_e32 v0, 32, v0
	v_mov_b32_e32 v21, v5
	v_subrev_u32_e32 v42, 28, v0
	v_lshlrev_b64 v[42:43], v42, v[20:21]
	v_sub_u32_e32 v0, 29, v0
	v_and_b32_e32 v21, 7, v42
	v_cndmask_b32_e64 v0, v11, v0, s[0:1]
	v_cndmask_b32_e64 v11, v20, v21, s[0:1]
	v_lshlrev_b32_sdwa v13, v24, v13 dst_sel:DWORD dst_unused:UNUSED_PAD src0_sel:DWORD src1_sel:BYTE_3
	v_lshl_add_u32 v0, v0, 23, v41
	v_and_or_b32 v0, v13, s30, v0
	v_lshlrev_b32_e32 v11, 20, v11
	v_or_b32_e32 v21, v0, v11
	v_mov_b32_e32 v20, v5
.LBB183_337:                            ;   in Loop: Header=BB183_184 Depth=1
	s_or_b64 exec, exec, s[18:19]
.LBB183_338:                            ;   in Loop: Header=BB183_184 Depth=1
	s_or_b64 exec, exec, s[16:17]
.LBB183_339:                            ;   in Loop: Header=BB183_184 Depth=1
	s_or_b64 exec, exec, s[12:13]
	v_or_b32_e32 v0, v17, v15
	v_or_b32_e32 v13, v16, v14
	v_mul_f32_e32 v11, s38, v0
	v_mul_f32_e32 v15, s37, v13
	v_or_b32_e32 v0, v21, v19
	v_or_b32_e32 v13, v20, v18
	v_mul_f32_e32 v14, s37, v13
	v_mul_f32_e32 v13, s38, v0
	s_and_saveexec_b64 s[0:1], vcc
	s_cbranch_execz .LBB183_182
; %bb.340:                              ;   in Loop: Header=BB183_184 Depth=1
	v_cmp_gt_i32_e32 vcc, s33, v48
	v_cndmask_b32_e32 v15, 0, v15, vcc
	v_cmp_gt_i32_e32 vcc, s33, v51
	v_cndmask_b32_e32 v11, 0, v11, vcc
	;; [unrolled: 2-line block ×4, first 2 shown]
	s_branch .LBB183_182
.LBB183_341:
	s_or_b64 exec, exec, s[4:5]
	buffer_load_dword v13, off, s[56:59], 0 offset:28 ; 4-byte Folded Reload
	buffer_load_dword v14, off, s[56:59], 0 offset:32 ; 4-byte Folded Reload
	buffer_load_dword v15, off, s[56:59], 0 ; 4-byte Folded Reload
.LBB183_342:
	s_or_b64 exec, exec, s[2:3]
	ds_bpermute_b32 v0, v26, v40
	ds_bpermute_b32 v1, v26, v39
	;; [unrolled: 1-line block ×5, first 2 shown]
	s_waitcnt lgkmcnt(4)
	v_add_f32_e32 v0, v40, v0
	ds_bpermute_b32 v5, v25, v0
	s_waitcnt lgkmcnt(4)
	v_add_f32_e32 v6, v39, v1
	s_waitcnt lgkmcnt(3)
	v_add_f32_e32 v7, v31, v2
	ds_bpermute_b32 v8, v25, v7
	s_waitcnt lgkmcnt(2)
	v_add_f32_e32 v10, v28, v4
	s_waitcnt lgkmcnt(1)
	v_add_f32_e32 v1, v0, v5
	ds_bpermute_b32 v0, v26, v27
	v_add_f32_e32 v5, v29, v3
	ds_bpermute_b32 v2, v25, v6
	ds_bpermute_b32 v9, v25, v5
	;; [unrolled: 1-line block ×3, first 2 shown]
	s_waitcnt lgkmcnt(3)
	v_add_f32_e32 v0, v27, v0
	ds_bpermute_b32 v12, v25, v0
	v_add_f32_e32 v3, v7, v8
	s_waitcnt vmcnt(2)
	v_and_b32_e32 v7, 0x3c3, v13
	s_waitcnt lgkmcnt(3)
	v_add_f32_e32 v2, v6, v2
	s_waitcnt lgkmcnt(2)
	v_add_f32_e32 v4, v5, v9
	;; [unrolled: 2-line block ×4, first 2 shown]
	v_cmp_eq_u32_e32 vcc, 64, v7
	s_waitcnt vmcnt(0)
	s_barrier
	s_and_saveexec_b64 s[0:1], vcc
	s_cbranch_execz .LBB183_344
; %bb.343:
	v_add_u32_e32 v0, 0x190, v15
	ds_write2_b32 v0, v1, v2 offset1:16
	ds_write2_b32 v0, v3, v4 offset0:32 offset1:48
	ds_write2_b32 v0, v5, v6 offset0:64 offset1:80
.LBB183_344:
	s_or_b64 exec, exec, s[0:1]
	v_cmp_gt_u32_e32 vcc, 64, v13
	s_waitcnt lgkmcnt(0)
	s_barrier
	s_and_saveexec_b64 s[0:1], vcc
	s_cbranch_execz .LBB183_353
; %bb.345:
	buffer_load_dword v8, off, s[56:59], 0 offset:40 ; 4-byte Folded Reload
	v_mov_b32_e32 v0, 0x190
	v_cmp_eq_u32_e32 vcc, 0, v14
	s_waitcnt vmcnt(0)
	v_lshl_add_u32 v0, v8, 2, v0
	s_and_saveexec_b64 s[2:3], vcc
	s_cbranch_execnz .LBB183_356
; %bb.346:
	s_or_b64 exec, exec, s[2:3]
	s_and_saveexec_b64 s[2:3], vcc
	s_cbranch_execnz .LBB183_357
.LBB183_347:
	s_or_b64 exec, exec, s[2:3]
	s_and_saveexec_b64 s[2:3], vcc
	s_cbranch_execnz .LBB183_358
.LBB183_348:
	s_or_b64 exec, exec, s[2:3]
	s_and_saveexec_b64 s[2:3], vcc
	s_cbranch_execnz .LBB183_359
.LBB183_349:
	s_or_b64 exec, exec, s[2:3]
	s_and_saveexec_b64 s[2:3], vcc
	s_cbranch_execnz .LBB183_360
.LBB183_350:
	s_or_b64 exec, exec, s[2:3]
	s_and_saveexec_b64 s[2:3], vcc
	s_cbranch_execz .LBB183_352
.LBB183_351:
	ds_read_b32 v0, v0 offset:320
	s_waitcnt lgkmcnt(0)
	v_add_f32_e32 v6, v6, v0
.LBB183_352:
	s_or_b64 exec, exec, s[2:3]
.LBB183_353:
	s_or_b64 exec, exec, s[0:1]
	v_cmp_eq_u32_e32 vcc, 0, v7
	s_barrier
	s_and_saveexec_b64 s[0:1], vcc
	s_cbranch_execz .LBB183_355
; %bb.354:
	buffer_load_dword v0, off, s[56:59], 0 offset:36 ; 4-byte Folded Reload
	s_mul_i32 s0, s10, s11
	s_mul_i32 s0, s0, s9
	s_mulk_i32 s0, 0x60
	s_ashr_i32 s1, s0, 31
	s_lshl_b64 s[0:1], s[0:1], 2
	s_add_u32 s2, s26, s0
	s_mul_i32 s0, s11, s24
	s_addc_u32 s3, s27, s1
	s_ashr_i32 s1, s0, 31
	s_lshl_b64 s[0:1], s[0:1], 2
	s_add_u32 s2, s2, s0
	s_mul_i32 s0, s8, 0x60
	s_addc_u32 s3, s3, s1
	s_ashr_i32 s1, s0, 31
	s_lshl_b64 s[0:1], s[0:1], 2
	s_add_u32 s0, s2, s0
	s_addc_u32 s1, s3, s1
	s_waitcnt vmcnt(0)
	global_store_dword v0, v1, s[0:1]
	global_store_dword v0, v2, s[0:1] offset:64
	global_store_dword v0, v3, s[0:1] offset:128
	;; [unrolled: 1-line block ×5, first 2 shown]
.LBB183_355:
	s_endpgm
.LBB183_356:
	ds_read_b32 v8, v0
	s_waitcnt lgkmcnt(0)
	v_add_f32_e32 v1, v1, v8
	s_or_b64 exec, exec, s[2:3]
	s_and_saveexec_b64 s[2:3], vcc
	s_cbranch_execz .LBB183_347
.LBB183_357:
	ds_read_b32 v8, v0 offset:64
	s_waitcnt lgkmcnt(0)
	v_add_f32_e32 v2, v2, v8
	s_or_b64 exec, exec, s[2:3]
	s_and_saveexec_b64 s[2:3], vcc
	s_cbranch_execz .LBB183_348
.LBB183_358:
	ds_read_b32 v8, v0 offset:128
	s_waitcnt lgkmcnt(0)
	v_add_f32_e32 v3, v3, v8
	s_or_b64 exec, exec, s[2:3]
	s_and_saveexec_b64 s[2:3], vcc
	s_cbranch_execz .LBB183_349
.LBB183_359:
	ds_read_b32 v8, v0 offset:192
	s_waitcnt lgkmcnt(0)
	v_add_f32_e32 v4, v4, v8
	s_or_b64 exec, exec, s[2:3]
	s_and_saveexec_b64 s[2:3], vcc
	s_cbranch_execz .LBB183_350
.LBB183_360:
	ds_read_b32 v8, v0 offset:256
	s_waitcnt lgkmcnt(0)
	v_add_f32_e32 v5, v5, v8
	s_or_b64 exec, exec, s[2:3]
	s_and_saveexec_b64 s[2:3], vcc
	s_cbranch_execnz .LBB183_351
	s_branch .LBB183_352
	.section	.rodata,"a",@progbits
	.p2align	6, 0x0
	.amdhsa_kernel _ZN4vllm25paged_attention_v1_kernelIfhLi96ELi16ELi128ELNS_18Fp8KVCacheDataTypeE1ELb1EEEvPT_PKS2_PKT0_S8_ifPKiSA_iPKfiiiSC_SC_iiiii
		.amdhsa_group_segment_fixed_size 400
		.amdhsa_private_segment_fixed_size 56
		.amdhsa_kernarg_size 384
		.amdhsa_user_sgpr_count 6
		.amdhsa_user_sgpr_private_segment_buffer 1
		.amdhsa_user_sgpr_dispatch_ptr 0
		.amdhsa_user_sgpr_queue_ptr 0
		.amdhsa_user_sgpr_kernarg_segment_ptr 1
		.amdhsa_user_sgpr_dispatch_id 0
		.amdhsa_user_sgpr_flat_scratch_init 0
		.amdhsa_user_sgpr_private_segment_size 0
		.amdhsa_uses_dynamic_stack 0
		.amdhsa_system_sgpr_private_segment_wavefront_offset 1
		.amdhsa_system_sgpr_workgroup_id_x 1
		.amdhsa_system_sgpr_workgroup_id_y 1
		.amdhsa_system_sgpr_workgroup_id_z 1
		.amdhsa_system_sgpr_workgroup_info 0
		.amdhsa_system_vgpr_workitem_id 0
		.amdhsa_next_free_vgpr 64
		.amdhsa_next_free_sgpr 60
		.amdhsa_reserve_vcc 1
		.amdhsa_reserve_flat_scratch 0
		.amdhsa_float_round_mode_32 0
		.amdhsa_float_round_mode_16_64 0
		.amdhsa_float_denorm_mode_32 3
		.amdhsa_float_denorm_mode_16_64 3
		.amdhsa_dx10_clamp 1
		.amdhsa_ieee_mode 1
		.amdhsa_fp16_overflow 0
		.amdhsa_exception_fp_ieee_invalid_op 0
		.amdhsa_exception_fp_denorm_src 0
		.amdhsa_exception_fp_ieee_div_zero 0
		.amdhsa_exception_fp_ieee_overflow 0
		.amdhsa_exception_fp_ieee_underflow 0
		.amdhsa_exception_fp_ieee_inexact 0
		.amdhsa_exception_int_div_zero 0
	.end_amdhsa_kernel
	.section	.text._ZN4vllm25paged_attention_v1_kernelIfhLi96ELi16ELi128ELNS_18Fp8KVCacheDataTypeE1ELb1EEEvPT_PKS2_PKT0_S8_ifPKiSA_iPKfiiiSC_SC_iiiii,"axG",@progbits,_ZN4vllm25paged_attention_v1_kernelIfhLi96ELi16ELi128ELNS_18Fp8KVCacheDataTypeE1ELb1EEEvPT_PKS2_PKT0_S8_ifPKiSA_iPKfiiiSC_SC_iiiii,comdat
.Lfunc_end183:
	.size	_ZN4vllm25paged_attention_v1_kernelIfhLi96ELi16ELi128ELNS_18Fp8KVCacheDataTypeE1ELb1EEEvPT_PKS2_PKT0_S8_ifPKiSA_iPKfiiiSC_SC_iiiii, .Lfunc_end183-_ZN4vllm25paged_attention_v1_kernelIfhLi96ELi16ELi128ELNS_18Fp8KVCacheDataTypeE1ELb1EEEvPT_PKS2_PKT0_S8_ifPKiSA_iPKfiiiSC_SC_iiiii
                                        ; -- End function
	.set _ZN4vllm25paged_attention_v1_kernelIfhLi96ELi16ELi128ELNS_18Fp8KVCacheDataTypeE1ELb1EEEvPT_PKS2_PKT0_S8_ifPKiSA_iPKfiiiSC_SC_iiiii.num_vgpr, 64
	.set _ZN4vllm25paged_attention_v1_kernelIfhLi96ELi16ELi128ELNS_18Fp8KVCacheDataTypeE1ELb1EEEvPT_PKS2_PKT0_S8_ifPKiSA_iPKfiiiSC_SC_iiiii.num_agpr, 0
	.set _ZN4vllm25paged_attention_v1_kernelIfhLi96ELi16ELi128ELNS_18Fp8KVCacheDataTypeE1ELb1EEEvPT_PKS2_PKT0_S8_ifPKiSA_iPKfiiiSC_SC_iiiii.numbered_sgpr, 60
	.set _ZN4vllm25paged_attention_v1_kernelIfhLi96ELi16ELi128ELNS_18Fp8KVCacheDataTypeE1ELb1EEEvPT_PKS2_PKT0_S8_ifPKiSA_iPKfiiiSC_SC_iiiii.num_named_barrier, 0
	.set _ZN4vllm25paged_attention_v1_kernelIfhLi96ELi16ELi128ELNS_18Fp8KVCacheDataTypeE1ELb1EEEvPT_PKS2_PKT0_S8_ifPKiSA_iPKfiiiSC_SC_iiiii.private_seg_size, 56
	.set _ZN4vllm25paged_attention_v1_kernelIfhLi96ELi16ELi128ELNS_18Fp8KVCacheDataTypeE1ELb1EEEvPT_PKS2_PKT0_S8_ifPKiSA_iPKfiiiSC_SC_iiiii.uses_vcc, 1
	.set _ZN4vllm25paged_attention_v1_kernelIfhLi96ELi16ELi128ELNS_18Fp8KVCacheDataTypeE1ELb1EEEvPT_PKS2_PKT0_S8_ifPKiSA_iPKfiiiSC_SC_iiiii.uses_flat_scratch, 0
	.set _ZN4vllm25paged_attention_v1_kernelIfhLi96ELi16ELi128ELNS_18Fp8KVCacheDataTypeE1ELb1EEEvPT_PKS2_PKT0_S8_ifPKiSA_iPKfiiiSC_SC_iiiii.has_dyn_sized_stack, 0
	.set _ZN4vllm25paged_attention_v1_kernelIfhLi96ELi16ELi128ELNS_18Fp8KVCacheDataTypeE1ELb1EEEvPT_PKS2_PKT0_S8_ifPKiSA_iPKfiiiSC_SC_iiiii.has_recursion, 0
	.set _ZN4vllm25paged_attention_v1_kernelIfhLi96ELi16ELi128ELNS_18Fp8KVCacheDataTypeE1ELb1EEEvPT_PKS2_PKT0_S8_ifPKiSA_iPKfiiiSC_SC_iiiii.has_indirect_call, 0
	.section	.AMDGPU.csdata,"",@progbits
; Kernel info:
; codeLenInByte = 14320
; TotalNumSgprs: 64
; NumVgprs: 64
; ScratchSize: 56
; MemoryBound: 0
; FloatMode: 240
; IeeeMode: 1
; LDSByteSize: 400 bytes/workgroup (compile time only)
; SGPRBlocks: 7
; VGPRBlocks: 15
; NumSGPRsForWavesPerEU: 64
; NumVGPRsForWavesPerEU: 64
; Occupancy: 4
; WaveLimiterHint : 1
; COMPUTE_PGM_RSRC2:SCRATCH_EN: 1
; COMPUTE_PGM_RSRC2:USER_SGPR: 6
; COMPUTE_PGM_RSRC2:TRAP_HANDLER: 0
; COMPUTE_PGM_RSRC2:TGID_X_EN: 1
; COMPUTE_PGM_RSRC2:TGID_Y_EN: 1
; COMPUTE_PGM_RSRC2:TGID_Z_EN: 1
; COMPUTE_PGM_RSRC2:TIDIG_COMP_CNT: 0
	.section	.text._ZN4vllm25paged_attention_v1_kernelIfhLi112ELi16ELi128ELNS_18Fp8KVCacheDataTypeE1ELb1EEEvPT_PKS2_PKT0_S8_ifPKiSA_iPKfiiiSC_SC_iiiii,"axG",@progbits,_ZN4vllm25paged_attention_v1_kernelIfhLi112ELi16ELi128ELNS_18Fp8KVCacheDataTypeE1ELb1EEEvPT_PKS2_PKT0_S8_ifPKiSA_iPKfiiiSC_SC_iiiii,comdat
	.protected	_ZN4vllm25paged_attention_v1_kernelIfhLi112ELi16ELi128ELNS_18Fp8KVCacheDataTypeE1ELb1EEEvPT_PKS2_PKT0_S8_ifPKiSA_iPKfiiiSC_SC_iiiii ; -- Begin function _ZN4vllm25paged_attention_v1_kernelIfhLi112ELi16ELi128ELNS_18Fp8KVCacheDataTypeE1ELb1EEEvPT_PKS2_PKT0_S8_ifPKiSA_iPKfiiiSC_SC_iiiii
	.globl	_ZN4vllm25paged_attention_v1_kernelIfhLi112ELi16ELi128ELNS_18Fp8KVCacheDataTypeE1ELb1EEEvPT_PKS2_PKT0_S8_ifPKiSA_iPKfiiiSC_SC_iiiii
	.p2align	8
	.type	_ZN4vllm25paged_attention_v1_kernelIfhLi112ELi16ELi128ELNS_18Fp8KVCacheDataTypeE1ELb1EEEvPT_PKS2_PKT0_S8_ifPKiSA_iPKfiiiSC_SC_iiiii,@function
_ZN4vllm25paged_attention_v1_kernelIfhLi112ELi16ELi128ELNS_18Fp8KVCacheDataTypeE1ELb1EEEvPT_PKS2_PKT0_S8_ifPKiSA_iPKfiiiSC_SC_iiiii: ; @_ZN4vllm25paged_attention_v1_kernelIfhLi112ELi16ELi128ELNS_18Fp8KVCacheDataTypeE1ELb1EEEvPT_PKS2_PKT0_S8_ifPKiSA_iPKfiiiSC_SC_iiiii
; %bb.0:
	s_mov_b64 s[58:59], s[2:3]
	s_mov_b64 s[56:57], s[0:1]
	s_add_u32 s56, s56, s9
	s_load_dword s9, s[4:5], 0x80
	s_load_dwordx2 s[0:1], s[4:5], 0x30
	s_load_dwordx2 s[36:37], s[4:5], 0x20
	s_addc_u32 s57, s57, 0
	s_mov_b32 s10, s7
	s_ashr_i32 s11, s7, 31
	s_lshl_b64 s[2:3], s[10:11], 2
	s_waitcnt lgkmcnt(0)
	s_add_u32 s0, s0, s2
	s_addc_u32 s1, s1, s3
	s_abs_i32 s2, s36
	v_mov_b32_e32 v13, v0
	v_cvt_f32_u32_e32 v0, s2
	s_sub_i32 s11, 0, s2
	s_abs_i32 s7, s9
	s_xor_b32 s3, s9, s36
	v_rcp_iflag_f32_e32 v0, v0
	s_ashr_i32 s3, s3, 31
	s_mov_b32 s48, 0
	v_mul_f32_e32 v0, 0x4f7ffffe, v0
	v_cvt_u32_f32_e32 v0, v0
	v_readfirstlane_b32 s12, v0
	s_mul_i32 s11, s11, s12
	s_mul_hi_u32 s11, s12, s11
	s_add_i32 s12, s12, s11
	s_mul_hi_u32 s11, s7, s12
	s_mul_i32 s12, s11, s2
	s_sub_i32 s7, s7, s12
	s_add_i32 s12, s11, 1
	s_sub_i32 s13, s7, s2
	s_cmp_ge_u32 s7, s2
	s_cselect_b32 s11, s12, s11
	s_cselect_b32 s7, s13, s7
	s_add_i32 s12, s11, 1
	s_cmp_ge_u32 s7, s2
	s_cselect_b32 s2, s12, s11
	s_xor_b32 s2, s2, s3
	s_sub_i32 s14, s2, s3
	s_abs_i32 s11, s14
	v_cvt_f32_u32_e32 v0, s11
	s_load_dwordx2 s[2:3], s[4:5], 0x40
	s_sub_i32 s7, 0, s11
	s_abs_i32 s12, s6
	v_rcp_iflag_f32_e32 v0, v0
	v_mul_f32_e32 v0, 0x4f7ffffe, v0
	v_cvt_u32_f32_e32 v0, v0
	v_readfirstlane_b32 s13, v0
	s_mul_i32 s7, s7, s13
	s_mul_hi_u32 s7, s13, s7
	s_add_i32 s13, s13, s7
	s_waitcnt lgkmcnt(0)
	s_cmp_eq_u64 s[2:3], 0
	s_mul_hi_u32 s13, s12, s13
	s_cbranch_scc1 .LBB184_2
; %bb.1:
	s_ashr_i32 s7, s6, 31
	s_lshl_b64 s[16:17], s[6:7], 2
	s_add_u32 s2, s2, s16
	s_addc_u32 s3, s3, s17
	s_load_dword s48, s[2:3], 0x0
.LBB184_2:
	s_load_dword s33, s[0:1], 0x0
	s_load_dwordx4 s[16:19], s[4:5], 0x48
	v_lshrrev_b32_e32 v0, 2, v13
	s_movk_i32 s2, 0x70
	s_ashr_i32 s3, s6, 31
	s_ashr_i32 s7, s14, 31
	v_and_b32_e32 v1, 3, v13
	s_mul_i32 s24, s6, 0x70
	v_cmp_gt_u32_e32 vcc, s2, v13
	v_lshlrev_b32_e32 v15, 2, v13
	buffer_store_dword v0, off, s[56:59], 0 offset:84 ; 4-byte Folded Spill
	v_lshlrev_b32_e32 v0, 2, v0
	buffer_store_dword v1, off, s[56:59], 0 offset:76 ; 4-byte Folded Spill
	buffer_store_dword v0, off, s[56:59], 0 offset:80 ; 4-byte Folded Spill
	s_and_saveexec_b64 s[0:1], vcc
	s_cbranch_execz .LBB184_4
; %bb.3:
	s_load_dwordx2 s[14:15], s[4:5], 0x8
	s_waitcnt lgkmcnt(0)
	s_mul_i32 s20, s16, s10
	s_ashr_i32 s21, s20, 31
	s_lshl_b64 s[20:21], s[20:21], 2
	v_lshrrev_b32_e32 v1, 2, v13
	s_add_u32 s16, s14, s20
	s_addc_u32 s19, s15, s21
	s_ashr_i32 s25, s24, 31
	s_lshl_b64 s[14:15], s[24:25], 2
	s_add_u32 s14, s16, s14
	s_addc_u32 s15, s19, s15
	global_load_dword v0, v15, s[14:15]
	v_lshlrev_b32_e32 v1, 2, v1
	v_and_b32_e32 v2, 3, v13
	v_mad_u32_u24 v1, v2, s2, v1
	s_waitcnt vmcnt(0)
	ds_write_b32 v1, v0
.LBB184_4:
	s_or_b64 exec, exec, s[0:1]
	s_mul_i32 s1, s13, s11
	s_sub_i32 s1, s12, s1
	s_xor_b32 s0, s3, s7
	s_add_i32 s3, s13, 1
	s_sub_i32 s7, s1, s11
	s_load_dwordx4 s[20:23], s[4:5], 0x68
	s_load_dword s2, s[4:5], 0x78
	s_cmp_ge_u32 s1, s11
	s_cselect_b32 s3, s3, s13
	s_cselect_b32 s1, s7, s1
	s_add_i32 s7, s3, 1
	s_cmp_ge_u32 s1, s11
	s_cselect_b32 s1, s7, s3
	s_waitcnt lgkmcnt(0)
	s_abs_i32 s25, s23
	v_cvt_f32_u32_e32 v0, s25
	s_xor_b32 s1, s1, s0
	s_sub_i32 s47, s1, s0
	s_sub_i32 s0, 0, s25
	v_rcp_iflag_f32_e32 v0, v0
	s_add_i32 s11, s33, -1
	s_abs_i32 s3, s11
	v_mul_f32_e32 v0, 0x4f7ffffe, v0
	v_cvt_u32_f32_e32 v0, v0
	s_waitcnt vmcnt(0)
	s_barrier
	v_readfirstlane_b32 s46, v0
	s_mul_i32 s0, s0, s46
	s_mul_hi_u32 s0, s46, s0
	s_add_i32 s46, s46, s0
	s_cmp_lt_i32 s2, 0
	s_mul_hi_u32 s7, s3, s46
	s_cbranch_scc0 .LBB184_6
; %bb.5:
	s_mul_i32 s0, s20, s36
	s_add_i32 s0, s47, s0
	s_mul_i32 s0, s0, s2
	s_sub_i32 s36, 1, s0
	s_mov_b64 s[0:1], 0
	s_branch .LBB184_7
.LBB184_6:
	s_mov_b64 s[0:1], -1
                                        ; implicit-def: $sgpr36
.LBB184_7:
	s_load_dwordx2 s[28:29], s[4:5], 0x28
	s_ashr_i32 s16, s11, 31
	s_andn2_b64 vcc, exec, s[0:1]
	s_ashr_i32 s23, s23, 31
	s_cbranch_vccnz .LBB184_9
; %bb.8:
	s_mul_i32 s0, s9, s20
	s_add_i32 s0, s0, s6
	s_mul_i32 s0, s0, s2
	s_add_i32 s36, s0, 1
.LBB184_9:
	s_load_dword s0, s[4:5], 0x38
	s_load_dwordx2 s[26:27], s[4:5], 0x0
	s_load_dwordx2 s[34:35], s[4:5], 0x18
	s_load_dword s11, s[4:5], 0x88
	s_load_dwordx4 s[12:15], s[4:5], 0x58
	s_mul_i32 s1, s7, s25
	s_waitcnt lgkmcnt(0)
	s_mul_i32 s30, s0, s10
	s_sub_i32 s1, s3, s1
	s_ashr_i32 s31, s30, 31
	s_xor_b32 s0, s16, s23
	s_add_i32 s2, s7, 1
	s_sub_i32 s3, s1, s25
	s_cmp_ge_u32 s1, s25
	s_cselect_b32 s2, s2, s7
	s_cselect_b32 s1, s3, s1
	s_add_i32 s3, s2, 1
	s_cmp_ge_u32 s1, s25
	s_cselect_b32 s1, s3, s2
	s_xor_b32 s1, s1, s0
	s_sub_i32 s16, s1, s0
	s_add_i32 s0, s33, 15
	s_ashr_i32 s1, s0, 31
	s_lshr_b32 s1, s1, 28
	s_add_i32 s0, s0, s1
	s_ashr_i32 s20, s0, 4
	v_lshrrev_b32_e32 v39, 6, v13
	v_cmp_gt_i32_e64 s[0:1], s20, v39
	v_mov_b32_e32 v58, 0xff7fffff
	s_mul_i32 s47, s47, s18
	v_lshrrev_b32_e32 v16, 4, v13
	v_lshlrev_b32_e32 v40, 4, v39
	v_mbcnt_lo_u32_b32 v5, -1, 0
	s_mov_b64 s[18:19], exec
	s_and_b64 s[2:3], s[18:19], s[0:1]
	buffer_store_dword v13, off, s[56:59], 0 offset:72 ; 4-byte Folded Spill
	s_mov_b64 exec, s[2:3]
	s_cbranch_execz .LBB184_189
; %bb.10:
	s_load_dwordx2 s[2:3], s[4:5], 0x10
	s_sub_i32 s49, s16, s21
	s_ashr_i32 s4, s47, 31
	v_bfe_u32 v59, v13, 2, 4
	v_lshlrev_b32_e32 v1, 4, v59
	s_waitcnt lgkmcnt(0)
	s_add_u32 s5, s2, s47
	s_addc_u32 s4, s3, s4
	s_abs_i32 s50, s22
	v_cvt_f32_u32_e32 v0, s50
	v_mov_b32_e32 v2, s4
	s_sub_i32 s4, 0, s50
	v_and_b32_e32 v4, 3, v13
	v_rcp_iflag_f32_e32 v0, v0
	v_cmp_eq_u32_e32 vcc, 0, v4
	v_mul_u32_u24_e32 v60, 0x70, v4
	s_mov_b32 s51, s17
	v_mul_f32_e32 v0, 0x4f7ffffe, v0
	v_cvt_u32_f32_e32 v0, v0
	v_cmp_neq_f32_e64 s[2:3], s48, 0
	v_lshlrev_b32_e32 v48, 4, v39
	s_mov_b64 s[38:39], 0
	v_mul_lo_u32 v3, s4, v0
	v_add_co_u32_e64 v1, s[4:5], s5, v1
	v_addc_co_u32_e64 v2, s[4:5], 0, v2, s[4:5]
	v_mul_hi_u32 v3, v0, v3
	v_add_co_u32_e64 v61, s[4:5], v1, v4
	v_addc_co_u32_e64 v62, s[4:5], 0, v2, s[4:5]
	s_lshl_b64 s[4:5], s[30:31], 2
	s_add_u32 s4, s28, s4
	v_add_u32_e32 v4, v0, v3
	v_and_b32_e32 v0, 60, v16
	s_addc_u32 s5, s29, s5
	v_mov_b32_e32 v1, s5
	v_add_co_u32_e64 v31, s[4:5], s4, v0
	v_subrev_u32_e32 v0, s33, v59
	v_add_u32_e32 v0, 1, v0
	buffer_store_dword v0, off, s[56:59], 0 offset:68 ; 4-byte Folded Spill
	v_lshlrev_b32_e32 v0, 2, v59
	v_lshl_or_b32 v0, v39, 6, v0
	v_addc_co_u32_e64 v32, s[4:5], 0, v1, s[4:5]
	v_add_u32_e32 v50, 0x1d0, v0
	s_movk_i32 s52, 0x80
	s_movk_i32 s53, 0x7f
	v_mbcnt_hi_u32_b32 v0, -1, v5
	v_mov_b32_e32 v58, 0xff7fffff
	v_mov_b32_e32 v53, v39
	buffer_store_dword v15, off, s[56:59], 0 offset:88 ; 4-byte Folded Spill
	buffer_store_dword v16, off, s[56:59], 0 offset:92 ; 4-byte Folded Spill
	;; [unrolled: 1-line block ×3, first 2 shown]
	s_branch .LBB184_13
.LBB184_11:                             ;   in Loop: Header=BB184_13 Depth=1
	s_or_b64 exec, exec, s[40:41]
.LBB184_12:                             ;   in Loop: Header=BB184_13 Depth=1
	s_or_b64 exec, exec, s[6:7]
	v_add_co_u32_e64 v31, s[4:5], 8, v31
	v_add_u32_e32 v53, 2, v53
	v_addc_co_u32_e64 v32, s[4:5], 0, v32, s[4:5]
	v_cmp_le_i32_e64 s[4:5], s20, v53
	v_add_u32_e32 v48, 32, v48
	s_or_b64 s[38:39], s[4:5], s[38:39]
	v_add_u32_e32 v50, 0x80, v50
	s_andn2_b64 exec, exec, s[38:39]
	s_cbranch_execz .LBB184_188
.LBB184_13:                             ; =>This Inner Loop Header: Depth=1
	v_mul_hi_u32 v0, v48, s46
	s_waitcnt lgkmcnt(0)
	v_mul_lo_u32 v1, v0, s25
	v_add_u32_e32 v2, 1, v0
	v_sub_u32_e32 v1, v48, v1
	v_cmp_le_u32_e64 s[4:5], s25, v1
	v_cndmask_b32_e64 v0, v0, v2, s[4:5]
	v_subrev_u32_e32 v2, s25, v1
	v_cndmask_b32_e64 v1, v1, v2, s[4:5]
	v_add_u32_e32 v2, 1, v0
	v_cmp_le_u32_e64 s[4:5], s25, v1
	v_cndmask_b32_e64 v0, v0, v2, s[4:5]
	v_xor_b32_e32 v0, s23, v0
	v_subrev_u32_e32 v0, s23, v0
	v_add_u32_e32 v1, s36, v0
	v_sub_u32_e32 v2, 0, v1
	v_max_i32_e32 v2, v1, v2
	v_mul_hi_u32 v3, v2, v4
	v_ashrrev_i32_e32 v1, 31, v1
	v_cmp_ge_i32_e64 s[6:7], s49, v0
	v_mul_lo_u32 v3, v3, s50
	v_sub_u32_e32 v2, v2, v3
	v_subrev_u32_e32 v3, s50, v2
	v_cmp_le_u32_e64 s[4:5], s50, v2
	v_cndmask_b32_e64 v2, v2, v3, s[4:5]
	v_subrev_u32_e32 v3, s50, v2
	v_cmp_le_u32_e64 s[4:5], s50, v2
	v_cndmask_b32_e64 v2, v2, v3, s[4:5]
	v_xor_b32_e32 v2, v2, v1
	v_sub_u32_e32 v1, v2, v1
	v_cmp_ne_u32_e64 s[4:5], 0, v1
	s_and_b64 s[4:5], s[4:5], s[6:7]
	s_and_saveexec_b64 s[6:7], s[4:5]
	s_xor_b64 s[4:5], exec, s[6:7]
	s_cbranch_execz .LBB184_17
; %bb.14:                               ;   in Loop: Header=BB184_13 Depth=1
	s_and_saveexec_b64 s[6:7], vcc
; %bb.15:                               ;   in Loop: Header=BB184_13 Depth=1
	v_mov_b32_e32 v0, 0xff7fffff
	ds_write_b32 v50, v0
; %bb.16:                               ;   in Loop: Header=BB184_13 Depth=1
	s_or_b64 exec, exec, s[6:7]
.LBB184_17:                             ;   in Loop: Header=BB184_13 Depth=1
	s_andn2_saveexec_b64 s[6:7], s[4:5]
	s_cbranch_execz .LBB184_12
; %bb.18:                               ;   in Loop: Header=BB184_13 Depth=1
	global_load_dword v0, v[31:32], off
	ds_read_b128 v[5:8], v60
	v_mov_b32_e32 v2, 0
	v_mov_b32_e32 v3, 0
	s_waitcnt vmcnt(0)
	v_mad_i64_i32 v[33:34], s[4:5], v0, s51, v[61:62]
	global_load_ubyte v0, v[33:34], off
	s_waitcnt lgkmcnt(0)
	buffer_store_dword v5, off, s[56:59], 0 offset:48 ; 4-byte Folded Spill
	s_nop 0
	buffer_store_dword v6, off, s[56:59], 0 offset:52 ; 4-byte Folded Spill
	buffer_store_dword v7, off, s[56:59], 0 offset:56 ; 4-byte Folded Spill
	;; [unrolled: 1-line block ×3, first 2 shown]
	ds_read_b128 v[17:20], v60 offset:16
	s_load_dword s54, s[12:13], 0x0
	ds_read_b128 v[21:24], v60 offset:32
	ds_read_b128 v[13:16], v60 offset:48
	;; [unrolled: 1-line block ×5, first 2 shown]
	s_waitcnt lgkmcnt(0)
	buffer_store_dword v35, off, s[56:59], 0 offset:20 ; 4-byte Folded Spill
	s_nop 0
	buffer_store_dword v36, off, s[56:59], 0 offset:24 ; 4-byte Folded Spill
	buffer_store_dword v37, off, s[56:59], 0 offset:28 ; 4-byte Folded Spill
	;; [unrolled: 1-line block ×3, first 2 shown]
	s_waitcnt vmcnt(8)
	v_cmp_ne_u16_e64 s[4:5], 0, v0
	s_and_saveexec_b64 s[40:41], s[4:5]
	s_cbranch_execz .LBB184_24
; %bb.19:                               ;   in Loop: Header=BB184_13 Depth=1
	v_cmp_ne_u16_e64 s[4:5], s52, v0
	v_bfrev_b32_e32 v3, 1
	s_and_saveexec_b64 s[42:43], s[4:5]
	s_cbranch_execz .LBB184_23
; %bb.20:                               ;   in Loop: Header=BB184_13 Depth=1
	v_and_b32_e32 v35, 0xffff, v0
	v_and_b32_e32 v29, 0x7f, v35
	v_cmp_ne_u32_e64 s[4:5], s53, v29
	v_mov_b32_e32 v3, 0x7f800001
	s_and_saveexec_b64 s[44:45], s[4:5]
	s_cbranch_execz .LBB184_22
; %bb.21:                               ;   in Loop: Header=BB184_13 Depth=1
	v_and_b32_e32 v30, 7, v35
	v_ffbh_u32_e32 v36, v30
	v_min_u32_e32 v38, 32, v36
	v_subrev_u32_e32 v36, 28, v38
	v_lshlrev_b64 v[35:36], v36, v[35:36]
	v_lshrrev_b32_e32 v37, 3, v29
	v_sub_u32_e32 v36, 29, v38
	v_and_b32_e32 v35, 7, v35
	v_cmp_gt_u32_e64 s[4:5], 8, v29
	v_cndmask_b32_e64 v29, v37, v36, s[4:5]
	v_cndmask_b32_e64 v30, v30, v35, s[4:5]
	v_lshlrev_b32_e32 v0, 24, v0
	v_bfrev_b32_e32 v1, 60
	v_lshlrev_b32_e32 v30, 20, v30
	v_and_b32_e32 v0, 0x80000000, v0
	v_lshl_add_u32 v29, v29, 23, v1
	v_or3_b32 v3, v0, v29, v30
.LBB184_22:                             ;   in Loop: Header=BB184_13 Depth=1
	s_or_b64 exec, exec, s[44:45]
.LBB184_23:                             ;   in Loop: Header=BB184_13 Depth=1
	s_or_b64 exec, exec, s[42:43]
.LBB184_24:                             ;   in Loop: Header=BB184_13 Depth=1
	s_or_b64 exec, exec, s[40:41]
	global_load_ubyte v0, v[33:34], off offset:4
	s_waitcnt vmcnt(0)
	v_cmp_ne_u16_e64 s[4:5], 0, v0
	s_and_saveexec_b64 s[40:41], s[4:5]
	s_cbranch_execz .LBB184_30
; %bb.25:                               ;   in Loop: Header=BB184_13 Depth=1
	v_cmp_ne_u16_e64 s[4:5], s52, v0
	v_bfrev_b32_e32 v2, 1
	s_and_saveexec_b64 s[42:43], s[4:5]
	s_cbranch_execz .LBB184_29
; %bb.26:                               ;   in Loop: Header=BB184_13 Depth=1
	v_and_b32_e32 v35, 0xffff, v0
	v_and_b32_e32 v29, 0x7f, v35
	v_cmp_ne_u32_e64 s[4:5], s53, v29
	v_mov_b32_e32 v2, 0x7f800001
	s_and_saveexec_b64 s[44:45], s[4:5]
	s_cbranch_execz .LBB184_28
; %bb.27:                               ;   in Loop: Header=BB184_13 Depth=1
	v_and_b32_e32 v30, 7, v35
	v_ffbh_u32_e32 v36, v30
	v_min_u32_e32 v38, 32, v36
	v_subrev_u32_e32 v36, 28, v38
	v_lshlrev_b64 v[35:36], v36, v[35:36]
	v_lshrrev_b32_e32 v37, 3, v29
	v_sub_u32_e32 v36, 29, v38
	v_and_b32_e32 v35, 7, v35
	v_cmp_gt_u32_e64 s[4:5], 8, v29
	v_cndmask_b32_e64 v29, v37, v36, s[4:5]
	v_cndmask_b32_e64 v30, v30, v35, s[4:5]
	v_lshlrev_b32_e32 v0, 24, v0
	v_bfrev_b32_e32 v1, 60
	v_lshlrev_b32_e32 v30, 20, v30
	v_and_b32_e32 v0, 0x80000000, v0
	v_lshl_add_u32 v29, v29, 23, v1
	v_or3_b32 v2, v0, v29, v30
.LBB184_28:                             ;   in Loop: Header=BB184_13 Depth=1
	s_or_b64 exec, exec, s[44:45]
.LBB184_29:                             ;   in Loop: Header=BB184_13 Depth=1
	s_or_b64 exec, exec, s[42:43]
.LBB184_30:                             ;   in Loop: Header=BB184_13 Depth=1
	s_or_b64 exec, exec, s[40:41]
	global_load_ubyte v0, v[33:34], off offset:8
	v_mov_b32_e32 v42, 0
	v_mov_b32_e32 v63, 0
	s_waitcnt vmcnt(0)
	v_cmp_ne_u16_e64 s[4:5], 0, v0
	s_and_saveexec_b64 s[40:41], s[4:5]
	s_cbranch_execz .LBB184_36
; %bb.31:                               ;   in Loop: Header=BB184_13 Depth=1
	v_cmp_ne_u16_e64 s[4:5], s52, v0
	v_bfrev_b32_e32 v63, 1
	s_and_saveexec_b64 s[42:43], s[4:5]
	s_cbranch_execz .LBB184_35
; %bb.32:                               ;   in Loop: Header=BB184_13 Depth=1
	v_and_b32_e32 v35, 0xffff, v0
	v_and_b32_e32 v29, 0x7f, v35
	v_cmp_ne_u32_e64 s[4:5], s53, v29
	v_mov_b32_e32 v63, 0x7f800001
	s_and_saveexec_b64 s[44:45], s[4:5]
	s_cbranch_execz .LBB184_34
; %bb.33:                               ;   in Loop: Header=BB184_13 Depth=1
	v_and_b32_e32 v36, 7, v35
	v_lshrrev_b32_e32 v37, 3, v29
	v_cmp_gt_u32_e64 s[4:5], 8, v29
	v_ffbh_u32_e32 v29, v36
	v_min_u32_e32 v38, 32, v29
	v_subrev_u32_e32 v29, 28, v38
	v_lshlrev_b64 v[29:30], v29, v[35:36]
	v_sub_u32_e32 v30, 29, v38
	v_and_b32_e32 v29, 7, v29
	v_cndmask_b32_e64 v30, v37, v30, s[4:5]
	v_cndmask_b32_e64 v29, v36, v29, s[4:5]
	v_lshlrev_b32_e32 v0, 24, v0
	v_bfrev_b32_e32 v1, 60
	v_lshlrev_b32_e32 v29, 20, v29
	v_and_b32_e32 v0, 0x80000000, v0
	v_lshl_add_u32 v30, v30, 23, v1
	v_or3_b32 v63, v0, v30, v29
.LBB184_34:                             ;   in Loop: Header=BB184_13 Depth=1
	s_or_b64 exec, exec, s[44:45]
.LBB184_35:                             ;   in Loop: Header=BB184_13 Depth=1
	s_or_b64 exec, exec, s[42:43]
.LBB184_36:                             ;   in Loop: Header=BB184_13 Depth=1
	s_or_b64 exec, exec, s[40:41]
	global_load_ubyte v0, v[33:34], off offset:12
	s_waitcnt vmcnt(0)
	v_cmp_ne_u16_e64 s[4:5], 0, v0
	s_and_saveexec_b64 s[40:41], s[4:5]
	s_cbranch_execz .LBB184_42
; %bb.37:                               ;   in Loop: Header=BB184_13 Depth=1
	v_cmp_ne_u16_e64 s[4:5], s52, v0
	v_bfrev_b32_e32 v42, 1
	s_and_saveexec_b64 s[42:43], s[4:5]
	s_cbranch_execz .LBB184_41
; %bb.38:                               ;   in Loop: Header=BB184_13 Depth=1
	v_and_b32_e32 v35, 0xffff, v0
	v_and_b32_e32 v29, 0x7f, v35
	v_cmp_ne_u32_e64 s[4:5], s53, v29
	v_mov_b32_e32 v42, 0x7f800001
	s_and_saveexec_b64 s[44:45], s[4:5]
	s_cbranch_execz .LBB184_40
; %bb.39:                               ;   in Loop: Header=BB184_13 Depth=1
	v_and_b32_e32 v36, 7, v35
	v_lshrrev_b32_e32 v37, 3, v29
	v_cmp_gt_u32_e64 s[4:5], 8, v29
	v_ffbh_u32_e32 v29, v36
	v_min_u32_e32 v38, 32, v29
	v_subrev_u32_e32 v29, 28, v38
	v_lshlrev_b64 v[29:30], v29, v[35:36]
	v_sub_u32_e32 v30, 29, v38
	v_and_b32_e32 v29, 7, v29
	v_cndmask_b32_e64 v30, v37, v30, s[4:5]
	v_cndmask_b32_e64 v29, v36, v29, s[4:5]
	v_lshlrev_b32_e32 v0, 24, v0
	v_bfrev_b32_e32 v1, 60
	v_lshlrev_b32_e32 v29, 20, v29
	v_and_b32_e32 v0, 0x80000000, v0
	v_lshl_add_u32 v30, v30, 23, v1
	v_or3_b32 v42, v0, v30, v29
.LBB184_40:                             ;   in Loop: Header=BB184_13 Depth=1
	s_or_b64 exec, exec, s[44:45]
.LBB184_41:                             ;   in Loop: Header=BB184_13 Depth=1
	s_or_b64 exec, exec, s[42:43]
.LBB184_42:                             ;   in Loop: Header=BB184_13 Depth=1
	s_or_b64 exec, exec, s[40:41]
	global_load_ubyte v0, v[33:34], off offset:256
	v_mov_b32_e32 v57, 0
	v_mov_b32_e32 v41, 0
	s_waitcnt vmcnt(0)
	v_cmp_ne_u16_e64 s[4:5], 0, v0
	s_and_saveexec_b64 s[40:41], s[4:5]
	s_cbranch_execz .LBB184_48
; %bb.43:                               ;   in Loop: Header=BB184_13 Depth=1
	v_cmp_ne_u16_e64 s[4:5], s52, v0
	v_bfrev_b32_e32 v41, 1
	s_and_saveexec_b64 s[42:43], s[4:5]
	s_cbranch_execz .LBB184_47
; %bb.44:                               ;   in Loop: Header=BB184_13 Depth=1
	v_and_b32_e32 v35, 0xffff, v0
	v_and_b32_e32 v29, 0x7f, v35
	v_cmp_ne_u32_e64 s[4:5], s53, v29
	v_mov_b32_e32 v41, 0x7f800001
	s_and_saveexec_b64 s[44:45], s[4:5]
	s_cbranch_execz .LBB184_46
; %bb.45:                               ;   in Loop: Header=BB184_13 Depth=1
	v_and_b32_e32 v36, 7, v35
	v_lshrrev_b32_e32 v37, 3, v29
	v_cmp_gt_u32_e64 s[4:5], 8, v29
	v_ffbh_u32_e32 v29, v36
	v_min_u32_e32 v38, 32, v29
	v_subrev_u32_e32 v29, 28, v38
	v_lshlrev_b64 v[29:30], v29, v[35:36]
	v_sub_u32_e32 v30, 29, v38
	v_and_b32_e32 v29, 7, v29
	v_cndmask_b32_e64 v30, v37, v30, s[4:5]
	v_cndmask_b32_e64 v29, v36, v29, s[4:5]
	v_lshlrev_b32_e32 v0, 24, v0
	v_bfrev_b32_e32 v1, 60
	v_lshlrev_b32_e32 v29, 20, v29
	v_and_b32_e32 v0, 0x80000000, v0
	v_lshl_add_u32 v30, v30, 23, v1
	v_or3_b32 v41, v0, v30, v29
.LBB184_46:                             ;   in Loop: Header=BB184_13 Depth=1
	s_or_b64 exec, exec, s[44:45]
.LBB184_47:                             ;   in Loop: Header=BB184_13 Depth=1
	s_or_b64 exec, exec, s[42:43]
.LBB184_48:                             ;   in Loop: Header=BB184_13 Depth=1
	s_or_b64 exec, exec, s[40:41]
	global_load_ubyte v0, v[33:34], off offset:260
	s_waitcnt vmcnt(0)
	v_cmp_ne_u16_e64 s[4:5], 0, v0
	s_and_saveexec_b64 s[40:41], s[4:5]
	s_cbranch_execz .LBB184_54
; %bb.49:                               ;   in Loop: Header=BB184_13 Depth=1
	v_cmp_ne_u16_e64 s[4:5], s52, v0
	v_bfrev_b32_e32 v57, 1
	s_and_saveexec_b64 s[42:43], s[4:5]
	s_cbranch_execz .LBB184_53
; %bb.50:                               ;   in Loop: Header=BB184_13 Depth=1
	v_and_b32_e32 v35, 0xffff, v0
	v_and_b32_e32 v29, 0x7f, v35
	v_cmp_ne_u32_e64 s[4:5], s53, v29
	v_mov_b32_e32 v57, 0x7f800001
	s_and_saveexec_b64 s[44:45], s[4:5]
	s_cbranch_execz .LBB184_52
; %bb.51:                               ;   in Loop: Header=BB184_13 Depth=1
	v_and_b32_e32 v36, 7, v35
	v_lshrrev_b32_e32 v37, 3, v29
	v_cmp_gt_u32_e64 s[4:5], 8, v29
	v_ffbh_u32_e32 v29, v36
	v_min_u32_e32 v38, 32, v29
	v_subrev_u32_e32 v29, 28, v38
	v_lshlrev_b64 v[29:30], v29, v[35:36]
	v_sub_u32_e32 v30, 29, v38
	v_and_b32_e32 v29, 7, v29
	v_cndmask_b32_e64 v30, v37, v30, s[4:5]
	v_cndmask_b32_e64 v29, v36, v29, s[4:5]
	v_lshlrev_b32_e32 v0, 24, v0
	v_bfrev_b32_e32 v1, 60
	v_lshlrev_b32_e32 v29, 20, v29
	v_and_b32_e32 v0, 0x80000000, v0
	v_lshl_add_u32 v30, v30, 23, v1
	v_or3_b32 v57, v0, v30, v29
.LBB184_52:                             ;   in Loop: Header=BB184_13 Depth=1
	s_or_b64 exec, exec, s[44:45]
.LBB184_53:                             ;   in Loop: Header=BB184_13 Depth=1
	s_or_b64 exec, exec, s[42:43]
.LBB184_54:                             ;   in Loop: Header=BB184_13 Depth=1
	s_or_b64 exec, exec, s[40:41]
	global_load_ubyte v0, v[33:34], off offset:264
	v_mov_b32_e32 v43, 0
	v_mov_b32_e32 v1, 0
	buffer_store_dword v1, off, s[56:59], 0 ; 4-byte Folded Spill
	s_waitcnt vmcnt(1)
	v_cmp_ne_u16_e64 s[4:5], 0, v0
	s_and_saveexec_b64 s[40:41], s[4:5]
	s_cbranch_execz .LBB184_60
; %bb.55:                               ;   in Loop: Header=BB184_13 Depth=1
	v_cmp_ne_u16_e64 s[4:5], s52, v0
	v_bfrev_b32_e32 v1, 1
	buffer_store_dword v1, off, s[56:59], 0 ; 4-byte Folded Spill
	s_and_saveexec_b64 s[42:43], s[4:5]
	s_cbranch_execz .LBB184_59
; %bb.56:                               ;   in Loop: Header=BB184_13 Depth=1
	v_and_b32_e32 v35, 0xffff, v0
	v_and_b32_e32 v29, 0x7f, v35
	v_cmp_ne_u32_e64 s[4:5], s53, v29
	v_mov_b32_e32 v1, 0x7f800001
	buffer_store_dword v1, off, s[56:59], 0 ; 4-byte Folded Spill
	s_and_saveexec_b64 s[44:45], s[4:5]
	s_cbranch_execz .LBB184_58
; %bb.57:                               ;   in Loop: Header=BB184_13 Depth=1
	v_and_b32_e32 v36, 7, v35
	v_lshrrev_b32_e32 v37, 3, v29
	v_cmp_gt_u32_e64 s[4:5], 8, v29
	v_ffbh_u32_e32 v29, v36
	v_min_u32_e32 v38, 32, v29
	v_subrev_u32_e32 v29, 28, v38
	v_lshlrev_b64 v[29:30], v29, v[35:36]
	v_sub_u32_e32 v30, 29, v38
	v_and_b32_e32 v29, 7, v29
	v_cndmask_b32_e64 v30, v37, v30, s[4:5]
	v_cndmask_b32_e64 v29, v36, v29, s[4:5]
	v_lshlrev_b32_e32 v0, 24, v0
	v_bfrev_b32_e32 v1, 60
	v_lshlrev_b32_e32 v29, 20, v29
	v_and_b32_e32 v0, 0x80000000, v0
	v_lshl_add_u32 v30, v30, 23, v1
	v_or3_b32 v0, v0, v30, v29
	buffer_store_dword v0, off, s[56:59], 0 ; 4-byte Folded Spill
.LBB184_58:                             ;   in Loop: Header=BB184_13 Depth=1
	s_or_b64 exec, exec, s[44:45]
.LBB184_59:                             ;   in Loop: Header=BB184_13 Depth=1
	s_or_b64 exec, exec, s[42:43]
.LBB184_60:                             ;   in Loop: Header=BB184_13 Depth=1
	s_or_b64 exec, exec, s[40:41]
	global_load_ubyte v0, v[33:34], off offset:268
	s_waitcnt vmcnt(0)
	v_cmp_ne_u16_e64 s[4:5], 0, v0
	s_and_saveexec_b64 s[40:41], s[4:5]
	s_cbranch_execz .LBB184_66
; %bb.61:                               ;   in Loop: Header=BB184_13 Depth=1
	v_cmp_ne_u16_e64 s[4:5], s52, v0
	v_bfrev_b32_e32 v43, 1
	s_and_saveexec_b64 s[42:43], s[4:5]
	s_cbranch_execz .LBB184_65
; %bb.62:                               ;   in Loop: Header=BB184_13 Depth=1
	v_and_b32_e32 v35, 0xffff, v0
	v_and_b32_e32 v29, 0x7f, v35
	v_cmp_ne_u32_e64 s[4:5], s53, v29
	v_mov_b32_e32 v43, 0x7f800001
	s_and_saveexec_b64 s[44:45], s[4:5]
	s_cbranch_execz .LBB184_64
; %bb.63:                               ;   in Loop: Header=BB184_13 Depth=1
	v_and_b32_e32 v36, 7, v35
	v_lshrrev_b32_e32 v37, 3, v29
	v_cmp_gt_u32_e64 s[4:5], 8, v29
	v_ffbh_u32_e32 v29, v36
	v_min_u32_e32 v38, 32, v29
	v_subrev_u32_e32 v29, 28, v38
	v_lshlrev_b64 v[29:30], v29, v[35:36]
	v_sub_u32_e32 v30, 29, v38
	v_and_b32_e32 v29, 7, v29
	v_cndmask_b32_e64 v30, v37, v30, s[4:5]
	v_cndmask_b32_e64 v29, v36, v29, s[4:5]
	v_lshlrev_b32_e32 v0, 24, v0
	v_bfrev_b32_e32 v1, 60
	v_lshlrev_b32_e32 v29, 20, v29
	v_and_b32_e32 v0, 0x80000000, v0
	v_lshl_add_u32 v30, v30, 23, v1
	v_or3_b32 v43, v0, v30, v29
.LBB184_64:                             ;   in Loop: Header=BB184_13 Depth=1
	s_or_b64 exec, exec, s[44:45]
.LBB184_65:                             ;   in Loop: Header=BB184_13 Depth=1
	s_or_b64 exec, exec, s[42:43]
.LBB184_66:                             ;   in Loop: Header=BB184_13 Depth=1
	s_or_b64 exec, exec, s[40:41]
	global_load_ubyte v0, v[33:34], off offset:512
	v_mov_b32_e32 v1, 0
	buffer_store_dword v1, off, s[56:59], 0 offset:8 ; 4-byte Folded Spill
	v_mov_b32_e32 v1, 0
	buffer_store_dword v1, off, s[56:59], 0 offset:12 ; 4-byte Folded Spill
	s_waitcnt vmcnt(2)
	v_cmp_ne_u16_e64 s[4:5], 0, v0
	s_and_saveexec_b64 s[40:41], s[4:5]
	s_cbranch_execz .LBB184_72
; %bb.67:                               ;   in Loop: Header=BB184_13 Depth=1
	v_cmp_ne_u16_e64 s[4:5], s52, v0
	v_bfrev_b32_e32 v1, 1
	buffer_store_dword v1, off, s[56:59], 0 offset:12 ; 4-byte Folded Spill
	s_and_saveexec_b64 s[42:43], s[4:5]
	s_cbranch_execz .LBB184_71
; %bb.68:                               ;   in Loop: Header=BB184_13 Depth=1
	v_and_b32_e32 v35, 0xffff, v0
	v_and_b32_e32 v29, 0x7f, v35
	v_cmp_ne_u32_e64 s[4:5], s53, v29
	v_mov_b32_e32 v1, 0x7f800001
	buffer_store_dword v1, off, s[56:59], 0 offset:12 ; 4-byte Folded Spill
	s_and_saveexec_b64 s[44:45], s[4:5]
	s_cbranch_execz .LBB184_70
; %bb.69:                               ;   in Loop: Header=BB184_13 Depth=1
	v_and_b32_e32 v36, 7, v35
	v_lshrrev_b32_e32 v37, 3, v29
	v_cmp_gt_u32_e64 s[4:5], 8, v29
	v_ffbh_u32_e32 v29, v36
	v_min_u32_e32 v38, 32, v29
	v_subrev_u32_e32 v29, 28, v38
	v_lshlrev_b64 v[29:30], v29, v[35:36]
	v_sub_u32_e32 v30, 29, v38
	v_and_b32_e32 v29, 7, v29
	v_cndmask_b32_e64 v30, v37, v30, s[4:5]
	v_cndmask_b32_e64 v29, v36, v29, s[4:5]
	v_lshlrev_b32_e32 v0, 24, v0
	v_bfrev_b32_e32 v1, 60
	v_lshlrev_b32_e32 v29, 20, v29
	v_and_b32_e32 v0, 0x80000000, v0
	v_lshl_add_u32 v30, v30, 23, v1
	v_or3_b32 v0, v0, v30, v29
	buffer_store_dword v0, off, s[56:59], 0 offset:12 ; 4-byte Folded Spill
.LBB184_70:                             ;   in Loop: Header=BB184_13 Depth=1
	s_or_b64 exec, exec, s[44:45]
.LBB184_71:                             ;   in Loop: Header=BB184_13 Depth=1
	s_or_b64 exec, exec, s[42:43]
.LBB184_72:                             ;   in Loop: Header=BB184_13 Depth=1
	s_or_b64 exec, exec, s[40:41]
	global_load_ubyte v0, v[33:34], off offset:516
	s_waitcnt vmcnt(0)
	v_cmp_ne_u16_e64 s[4:5], 0, v0
	s_and_saveexec_b64 s[40:41], s[4:5]
	s_cbranch_execz .LBB184_78
; %bb.73:                               ;   in Loop: Header=BB184_13 Depth=1
	v_cmp_ne_u16_e64 s[4:5], s52, v0
	v_bfrev_b32_e32 v1, 1
	buffer_store_dword v1, off, s[56:59], 0 offset:8 ; 4-byte Folded Spill
	s_and_saveexec_b64 s[42:43], s[4:5]
	s_cbranch_execz .LBB184_77
; %bb.74:                               ;   in Loop: Header=BB184_13 Depth=1
	v_and_b32_e32 v35, 0xffff, v0
	v_and_b32_e32 v29, 0x7f, v35
	v_cmp_ne_u32_e64 s[4:5], s53, v29
	v_mov_b32_e32 v1, 0x7f800001
	buffer_store_dword v1, off, s[56:59], 0 offset:8 ; 4-byte Folded Spill
	s_and_saveexec_b64 s[44:45], s[4:5]
	s_cbranch_execz .LBB184_76
; %bb.75:                               ;   in Loop: Header=BB184_13 Depth=1
	v_and_b32_e32 v36, 7, v35
	v_lshrrev_b32_e32 v37, 3, v29
	v_cmp_gt_u32_e64 s[4:5], 8, v29
	v_ffbh_u32_e32 v29, v36
	v_min_u32_e32 v38, 32, v29
	v_subrev_u32_e32 v29, 28, v38
	v_lshlrev_b64 v[29:30], v29, v[35:36]
	v_sub_u32_e32 v30, 29, v38
	v_and_b32_e32 v29, 7, v29
	v_cndmask_b32_e64 v30, v37, v30, s[4:5]
	v_cndmask_b32_e64 v29, v36, v29, s[4:5]
	v_lshlrev_b32_e32 v0, 24, v0
	v_bfrev_b32_e32 v1, 60
	v_lshlrev_b32_e32 v29, 20, v29
	v_and_b32_e32 v0, 0x80000000, v0
	v_lshl_add_u32 v30, v30, 23, v1
	v_or3_b32 v0, v0, v30, v29
	buffer_store_dword v0, off, s[56:59], 0 offset:8 ; 4-byte Folded Spill
.LBB184_76:                             ;   in Loop: Header=BB184_13 Depth=1
	s_or_b64 exec, exec, s[44:45]
.LBB184_77:                             ;   in Loop: Header=BB184_13 Depth=1
	s_or_b64 exec, exec, s[42:43]
.LBB184_78:                             ;   in Loop: Header=BB184_13 Depth=1
	s_or_b64 exec, exec, s[40:41]
	global_load_ubyte v0, v[33:34], off offset:520
	v_mov_b32_e32 v37, 0
	v_mov_b32_e32 v1, 0
	buffer_store_dword v1, off, s[56:59], 0 offset:16 ; 4-byte Folded Spill
	s_waitcnt vmcnt(1)
	v_cmp_ne_u16_e64 s[4:5], 0, v0
	s_and_saveexec_b64 s[40:41], s[4:5]
	s_cbranch_execz .LBB184_84
; %bb.79:                               ;   in Loop: Header=BB184_13 Depth=1
	v_cmp_ne_u16_e64 s[4:5], s52, v0
	v_bfrev_b32_e32 v1, 1
	buffer_store_dword v1, off, s[56:59], 0 offset:16 ; 4-byte Folded Spill
	s_and_saveexec_b64 s[42:43], s[4:5]
	s_cbranch_execz .LBB184_83
; %bb.80:                               ;   in Loop: Header=BB184_13 Depth=1
	v_and_b32_e32 v35, 0xffff, v0
	v_and_b32_e32 v29, 0x7f, v35
	v_cmp_ne_u32_e64 s[4:5], s53, v29
	v_mov_b32_e32 v1, 0x7f800001
	buffer_store_dword v1, off, s[56:59], 0 offset:16 ; 4-byte Folded Spill
	s_and_saveexec_b64 s[44:45], s[4:5]
	s_cbranch_execz .LBB184_82
; %bb.81:                               ;   in Loop: Header=BB184_13 Depth=1
	v_and_b32_e32 v36, 7, v35
	v_lshrrev_b32_e32 v37, 3, v29
	v_cmp_gt_u32_e64 s[4:5], 8, v29
	v_ffbh_u32_e32 v29, v36
	v_min_u32_e32 v38, 32, v29
	v_subrev_u32_e32 v29, 28, v38
	v_lshlrev_b64 v[29:30], v29, v[35:36]
	v_sub_u32_e32 v30, 29, v38
	v_and_b32_e32 v29, 7, v29
	v_cndmask_b32_e64 v30, v37, v30, s[4:5]
	v_cndmask_b32_e64 v29, v36, v29, s[4:5]
	v_lshlrev_b32_e32 v0, 24, v0
	v_bfrev_b32_e32 v1, 60
	v_lshlrev_b32_e32 v29, 20, v29
	v_and_b32_e32 v0, 0x80000000, v0
	v_lshl_add_u32 v30, v30, 23, v1
	v_mov_b32_e32 v37, 0
	v_or3_b32 v0, v0, v30, v29
	buffer_store_dword v0, off, s[56:59], 0 offset:16 ; 4-byte Folded Spill
.LBB184_82:                             ;   in Loop: Header=BB184_13 Depth=1
	s_or_b64 exec, exec, s[44:45]
.LBB184_83:                             ;   in Loop: Header=BB184_13 Depth=1
	s_or_b64 exec, exec, s[42:43]
.LBB184_84:                             ;   in Loop: Header=BB184_13 Depth=1
	s_or_b64 exec, exec, s[40:41]
	global_load_ubyte v0, v[33:34], off offset:524
	s_waitcnt vmcnt(0)
	v_cmp_ne_u16_e64 s[4:5], 0, v0
	s_and_saveexec_b64 s[40:41], s[4:5]
	s_cbranch_execz .LBB184_90
; %bb.85:                               ;   in Loop: Header=BB184_13 Depth=1
	v_cmp_ne_u16_e64 s[4:5], s52, v0
	v_bfrev_b32_e32 v37, 1
	s_and_saveexec_b64 s[42:43], s[4:5]
	s_cbranch_execz .LBB184_89
; %bb.86:                               ;   in Loop: Header=BB184_13 Depth=1
	v_and_b32_e32 v35, 0xffff, v0
	v_and_b32_e32 v29, 0x7f, v35
	v_cmp_ne_u32_e64 s[4:5], s53, v29
	v_mov_b32_e32 v37, 0x7f800001
	s_and_saveexec_b64 s[44:45], s[4:5]
	s_cbranch_execz .LBB184_88
; %bb.87:                               ;   in Loop: Header=BB184_13 Depth=1
	v_and_b32_e32 v36, 7, v35
	v_lshrrev_b32_e32 v37, 3, v29
	v_cmp_gt_u32_e64 s[4:5], 8, v29
	v_ffbh_u32_e32 v29, v36
	v_min_u32_e32 v38, 32, v29
	v_subrev_u32_e32 v29, 28, v38
	v_lshlrev_b64 v[29:30], v29, v[35:36]
	v_sub_u32_e32 v30, 29, v38
	v_and_b32_e32 v29, 7, v29
	v_cndmask_b32_e64 v30, v37, v30, s[4:5]
	v_cndmask_b32_e64 v29, v36, v29, s[4:5]
	v_lshlrev_b32_e32 v0, 24, v0
	v_bfrev_b32_e32 v1, 60
	v_lshlrev_b32_e32 v29, 20, v29
	v_and_b32_e32 v0, 0x80000000, v0
	v_lshl_add_u32 v30, v30, 23, v1
	v_or3_b32 v37, v0, v30, v29
.LBB184_88:                             ;   in Loop: Header=BB184_13 Depth=1
	s_or_b64 exec, exec, s[44:45]
.LBB184_89:                             ;   in Loop: Header=BB184_13 Depth=1
	s_or_b64 exec, exec, s[42:43]
.LBB184_90:                             ;   in Loop: Header=BB184_13 Depth=1
	s_or_b64 exec, exec, s[40:41]
	global_load_ubyte v0, v[33:34], off offset:768
	v_mov_b32_e32 v49, 0
	s_waitcnt vmcnt(0)
	v_cmp_ne_u16_e64 s[4:5], 0, v0
	s_mov_b64 s[40:41], exec
	s_and_b64 s[4:5], s[40:41], s[4:5]
	buffer_store_dword v41, off, s[56:59], 0 offset:36 ; 4-byte Folded Spill
	buffer_store_dword v43, off, s[56:59], 0 offset:40 ; 4-byte Folded Spill
	s_mov_b64 exec, s[4:5]
	s_cbranch_execz .LBB184_96
; %bb.91:                               ;   in Loop: Header=BB184_13 Depth=1
	v_cmp_ne_u16_e64 s[4:5], s52, v0
	v_bfrev_b32_e32 v49, 1
	s_and_saveexec_b64 s[42:43], s[4:5]
	s_cbranch_execz .LBB184_95
; %bb.92:                               ;   in Loop: Header=BB184_13 Depth=1
	v_and_b32_e32 v35, 0xffff, v0
	v_and_b32_e32 v29, 0x7f, v35
	v_cmp_ne_u32_e64 s[4:5], s53, v29
	v_mov_b32_e32 v49, 0x7f800001
	s_and_saveexec_b64 s[44:45], s[4:5]
	s_cbranch_execz .LBB184_94
; %bb.93:                               ;   in Loop: Header=BB184_13 Depth=1
	v_and_b32_e32 v36, 7, v35
	v_lshrrev_b32_e32 v38, 3, v29
	v_cmp_gt_u32_e64 s[4:5], 8, v29
	v_ffbh_u32_e32 v29, v36
	v_min_u32_e32 v43, 32, v29
	v_subrev_u32_e32 v29, 28, v43
	v_lshlrev_b64 v[29:30], v29, v[35:36]
	v_sub_u32_e32 v30, 29, v43
	v_and_b32_e32 v29, 7, v29
	v_cndmask_b32_e64 v30, v38, v30, s[4:5]
	v_cndmask_b32_e64 v29, v36, v29, s[4:5]
	v_lshlrev_b32_e32 v0, 24, v0
	v_bfrev_b32_e32 v1, 60
	v_lshlrev_b32_e32 v29, 20, v29
	v_and_b32_e32 v0, 0x80000000, v0
	v_lshl_add_u32 v30, v30, 23, v1
	v_or3_b32 v49, v0, v30, v29
.LBB184_94:                             ;   in Loop: Header=BB184_13 Depth=1
	s_or_b64 exec, exec, s[44:45]
.LBB184_95:                             ;   in Loop: Header=BB184_13 Depth=1
	s_or_b64 exec, exec, s[42:43]
.LBB184_96:                             ;   in Loop: Header=BB184_13 Depth=1
	s_or_b64 exec, exec, s[40:41]
	global_load_ubyte v0, v[33:34], off offset:772
	s_waitcnt vmcnt(0)
	v_cmp_ne_u16_e64 s[4:5], 0, v0
	s_mov_b64 s[40:41], exec
	s_and_b64 s[4:5], s[40:41], s[4:5]
	buffer_store_dword v37, off, s[56:59], 0 offset:44 ; 4-byte Folded Spill
	v_mov_b32_e32 v37, 0
	s_mov_b64 exec, s[4:5]
	s_cbranch_execz .LBB184_102
; %bb.97:                               ;   in Loop: Header=BB184_13 Depth=1
	v_cmp_ne_u16_e64 s[4:5], s52, v0
	v_bfrev_b32_e32 v37, 1
	s_and_saveexec_b64 s[42:43], s[4:5]
	s_cbranch_execz .LBB184_101
; %bb.98:                               ;   in Loop: Header=BB184_13 Depth=1
	v_and_b32_e32 v35, 0xffff, v0
	v_and_b32_e32 v29, 0x7f, v35
	v_cmp_ne_u32_e64 s[4:5], s53, v29
	v_mov_b32_e32 v37, 0x7f800001
	s_and_saveexec_b64 s[44:45], s[4:5]
	s_cbranch_execz .LBB184_100
; %bb.99:                               ;   in Loop: Header=BB184_13 Depth=1
	v_and_b32_e32 v36, 7, v35
	v_lshrrev_b32_e32 v37, 3, v29
	v_cmp_gt_u32_e64 s[4:5], 8, v29
	v_ffbh_u32_e32 v29, v36
	v_min_u32_e32 v38, 32, v29
	v_subrev_u32_e32 v29, 28, v38
	v_lshlrev_b64 v[29:30], v29, v[35:36]
	v_sub_u32_e32 v30, 29, v38
	v_and_b32_e32 v29, 7, v29
	v_cndmask_b32_e64 v30, v37, v30, s[4:5]
	v_cndmask_b32_e64 v29, v36, v29, s[4:5]
	v_lshlrev_b32_e32 v0, 24, v0
	v_bfrev_b32_e32 v1, 60
	v_lshlrev_b32_e32 v29, 20, v29
	v_and_b32_e32 v0, 0x80000000, v0
	v_lshl_add_u32 v30, v30, 23, v1
	v_or3_b32 v37, v0, v30, v29
.LBB184_100:                            ;   in Loop: Header=BB184_13 Depth=1
	s_or_b64 exec, exec, s[44:45]
.LBB184_101:                            ;   in Loop: Header=BB184_13 Depth=1
	s_or_b64 exec, exec, s[42:43]
.LBB184_102:                            ;   in Loop: Header=BB184_13 Depth=1
	s_or_b64 exec, exec, s[40:41]
	global_load_ubyte v0, v[33:34], off offset:776
	v_mov_b32_e32 v38, 0
	v_mov_b32_e32 v36, 0
	s_waitcnt vmcnt(0)
	v_cmp_ne_u16_e64 s[4:5], 0, v0
	s_and_saveexec_b64 s[40:41], s[4:5]
	s_cbranch_execz .LBB184_108
; %bb.103:                              ;   in Loop: Header=BB184_13 Depth=1
	v_cmp_ne_u16_e64 s[4:5], s52, v0
	v_bfrev_b32_e32 v36, 1
	s_and_saveexec_b64 s[42:43], s[4:5]
	s_cbranch_execz .LBB184_107
; %bb.104:                              ;   in Loop: Header=BB184_13 Depth=1
	v_and_b32_e32 v35, 0xffff, v0
	v_and_b32_e32 v29, 0x7f, v35
	v_cmp_ne_u32_e64 s[4:5], s53, v29
	v_mov_b32_e32 v36, 0x7f800001
	s_and_saveexec_b64 s[44:45], s[4:5]
	s_cbranch_execz .LBB184_106
; %bb.105:                              ;   in Loop: Header=BB184_13 Depth=1
	v_and_b32_e32 v36, 7, v35
	v_lshrrev_b32_e32 v44, 3, v29
	v_cmp_gt_u32_e64 s[4:5], 8, v29
	v_ffbh_u32_e32 v29, v36
	v_min_u32_e32 v45, 32, v29
	v_subrev_u32_e32 v29, 28, v45
	v_lshlrev_b64 v[29:30], v29, v[35:36]
	v_sub_u32_e32 v30, 29, v45
	v_and_b32_e32 v29, 7, v29
	v_cndmask_b32_e64 v30, v44, v30, s[4:5]
	v_cndmask_b32_e64 v29, v36, v29, s[4:5]
	v_lshlrev_b32_e32 v0, 24, v0
	v_bfrev_b32_e32 v1, 60
	v_lshlrev_b32_e32 v29, 20, v29
	v_and_b32_e32 v0, 0x80000000, v0
	v_lshl_add_u32 v30, v30, 23, v1
	v_or3_b32 v36, v0, v30, v29
.LBB184_106:                            ;   in Loop: Header=BB184_13 Depth=1
	s_or_b64 exec, exec, s[44:45]
.LBB184_107:                            ;   in Loop: Header=BB184_13 Depth=1
	s_or_b64 exec, exec, s[42:43]
.LBB184_108:                            ;   in Loop: Header=BB184_13 Depth=1
	s_or_b64 exec, exec, s[40:41]
	global_load_ubyte v0, v[33:34], off offset:780
	s_waitcnt vmcnt(0)
	v_cmp_ne_u16_e64 s[4:5], 0, v0
	s_and_saveexec_b64 s[40:41], s[4:5]
	s_cbranch_execz .LBB184_114
; %bb.109:                              ;   in Loop: Header=BB184_13 Depth=1
	v_cmp_ne_u16_e64 s[4:5], s52, v0
	v_bfrev_b32_e32 v38, 1
	s_and_saveexec_b64 s[42:43], s[4:5]
	s_cbranch_execz .LBB184_113
; %bb.110:                              ;   in Loop: Header=BB184_13 Depth=1
	v_and_b32_e32 v35, 0xffff, v0
	v_and_b32_e32 v29, 0x7f, v35
	v_cmp_ne_u32_e64 s[4:5], s53, v29
	v_mov_b32_e32 v38, 0x7f800001
	s_and_saveexec_b64 s[44:45], s[4:5]
	s_cbranch_execz .LBB184_112
; %bb.111:                              ;   in Loop: Header=BB184_13 Depth=1
	v_and_b32_e32 v38, 7, v35
	v_lshrrev_b32_e32 v44, 3, v29
	v_cmp_gt_u32_e64 s[4:5], 8, v29
	v_ffbh_u32_e32 v29, v38
	v_min_u32_e32 v45, 32, v29
	v_subrev_u32_e32 v29, 28, v45
	v_lshlrev_b64 v[29:30], v29, v[35:36]
	v_sub_u32_e32 v30, 29, v45
	v_and_b32_e32 v29, 7, v29
	v_cndmask_b32_e64 v30, v44, v30, s[4:5]
	v_cndmask_b32_e64 v29, v38, v29, s[4:5]
	v_lshlrev_b32_e32 v0, 24, v0
	v_bfrev_b32_e32 v1, 60
	v_lshlrev_b32_e32 v29, 20, v29
	v_and_b32_e32 v0, 0x80000000, v0
	v_lshl_add_u32 v30, v30, 23, v1
	v_or3_b32 v38, v0, v30, v29
.LBB184_112:                            ;   in Loop: Header=BB184_13 Depth=1
	s_or_b64 exec, exec, s[44:45]
.LBB184_113:                            ;   in Loop: Header=BB184_13 Depth=1
	s_or_b64 exec, exec, s[42:43]
.LBB184_114:                            ;   in Loop: Header=BB184_13 Depth=1
	s_or_b64 exec, exec, s[40:41]
	global_load_ubyte v0, v[33:34], off offset:1024
	v_mov_b32_e32 v43, 0
	v_mov_b32_e32 v41, 0
	s_waitcnt vmcnt(0)
	v_cmp_ne_u16_e64 s[4:5], 0, v0
	s_and_saveexec_b64 s[40:41], s[4:5]
	s_cbranch_execz .LBB184_120
; %bb.115:                              ;   in Loop: Header=BB184_13 Depth=1
	v_cmp_ne_u16_e64 s[4:5], s52, v0
	v_bfrev_b32_e32 v41, 1
	s_and_saveexec_b64 s[42:43], s[4:5]
	s_cbranch_execz .LBB184_119
; %bb.116:                              ;   in Loop: Header=BB184_13 Depth=1
	v_and_b32_e32 v35, 0xffff, v0
	v_and_b32_e32 v29, 0x7f, v35
	v_cmp_ne_u32_e64 s[4:5], s53, v29
	v_mov_b32_e32 v41, 0x7f800001
	s_and_saveexec_b64 s[44:45], s[4:5]
	s_cbranch_execz .LBB184_118
; %bb.117:                              ;   in Loop: Header=BB184_13 Depth=1
	v_and_b32_e32 v45, 7, v35
	v_lshrrev_b32_e32 v46, 3, v29
	v_cmp_gt_u32_e64 s[4:5], 8, v29
	v_ffbh_u32_e32 v29, v45
	v_min_u32_e32 v47, 32, v29
	v_subrev_u32_e32 v29, 28, v47
	v_lshlrev_b64 v[29:30], v29, v[35:36]
	v_sub_u32_e32 v30, 29, v47
	v_and_b32_e32 v29, 7, v29
	v_cndmask_b32_e64 v30, v46, v30, s[4:5]
	v_cndmask_b32_e64 v29, v45, v29, s[4:5]
	v_lshlrev_b32_e32 v0, 24, v0
	v_bfrev_b32_e32 v1, 60
	v_lshlrev_b32_e32 v29, 20, v29
	v_and_b32_e32 v0, 0x80000000, v0
	v_lshl_add_u32 v30, v30, 23, v1
	v_or3_b32 v41, v0, v30, v29
.LBB184_118:                            ;   in Loop: Header=BB184_13 Depth=1
	s_or_b64 exec, exec, s[44:45]
.LBB184_119:                            ;   in Loop: Header=BB184_13 Depth=1
	s_or_b64 exec, exec, s[42:43]
.LBB184_120:                            ;   in Loop: Header=BB184_13 Depth=1
	s_or_b64 exec, exec, s[40:41]
	global_load_ubyte v0, v[33:34], off offset:1028
	s_waitcnt vmcnt(0)
	v_cmp_ne_u16_e64 s[4:5], 0, v0
	s_and_saveexec_b64 s[40:41], s[4:5]
	s_cbranch_execz .LBB184_126
; %bb.121:                              ;   in Loop: Header=BB184_13 Depth=1
	v_cmp_ne_u16_e64 s[4:5], s52, v0
	v_bfrev_b32_e32 v43, 1
	s_and_saveexec_b64 s[42:43], s[4:5]
	s_cbranch_execz .LBB184_125
; %bb.122:                              ;   in Loop: Header=BB184_13 Depth=1
	v_and_b32_e32 v35, 0xffff, v0
	v_and_b32_e32 v29, 0x7f, v35
	v_cmp_ne_u32_e64 s[4:5], s53, v29
	v_mov_b32_e32 v43, 0x7f800001
	s_and_saveexec_b64 s[44:45], s[4:5]
	s_cbranch_execz .LBB184_124
; %bb.123:                              ;   in Loop: Header=BB184_13 Depth=1
	v_and_b32_e32 v44, 7, v35
	v_lshrrev_b32_e32 v45, 3, v29
	v_cmp_gt_u32_e64 s[4:5], 8, v29
	v_ffbh_u32_e32 v29, v44
	v_min_u32_e32 v46, 32, v29
	v_subrev_u32_e32 v29, 28, v46
	v_lshlrev_b64 v[29:30], v29, v[35:36]
	v_sub_u32_e32 v30, 29, v46
	v_and_b32_e32 v29, 7, v29
	v_cndmask_b32_e64 v30, v45, v30, s[4:5]
	v_cndmask_b32_e64 v29, v44, v29, s[4:5]
	v_lshlrev_b32_e32 v0, 24, v0
	v_bfrev_b32_e32 v1, 60
	v_lshlrev_b32_e32 v29, 20, v29
	v_and_b32_e32 v0, 0x80000000, v0
	v_lshl_add_u32 v30, v30, 23, v1
	v_or3_b32 v43, v0, v30, v29
.LBB184_124:                            ;   in Loop: Header=BB184_13 Depth=1
	s_or_b64 exec, exec, s[44:45]
.LBB184_125:                            ;   in Loop: Header=BB184_13 Depth=1
	s_or_b64 exec, exec, s[42:43]
.LBB184_126:                            ;   in Loop: Header=BB184_13 Depth=1
	s_or_b64 exec, exec, s[40:41]
	global_load_ubyte v0, v[33:34], off offset:1032
	v_mov_b32_e32 v30, 0
	v_mov_b32_e32 v51, 0
	s_waitcnt vmcnt(0)
	v_cmp_ne_u16_e64 s[4:5], 0, v0
	s_and_saveexec_b64 s[40:41], s[4:5]
	s_cbranch_execz .LBB184_132
; %bb.127:                              ;   in Loop: Header=BB184_13 Depth=1
	v_cmp_ne_u16_e64 s[4:5], s52, v0
	v_bfrev_b32_e32 v51, 1
	s_and_saveexec_b64 s[42:43], s[4:5]
	s_cbranch_execz .LBB184_131
; %bb.128:                              ;   in Loop: Header=BB184_13 Depth=1
	v_and_b32_e32 v35, 0xffff, v0
	v_and_b32_e32 v45, 0x7f, v35
	v_cmp_ne_u32_e64 s[4:5], s53, v45
	v_mov_b32_e32 v51, 0x7f800001
	s_and_saveexec_b64 s[44:45], s[4:5]
	s_cbranch_execz .LBB184_130
; %bb.129:                              ;   in Loop: Header=BB184_13 Depth=1
	v_and_b32_e32 v30, 7, v35
	v_lshrrev_b32_e32 v47, 3, v45
	v_cmp_gt_u32_e64 s[4:5], 8, v45
	v_ffbh_u32_e32 v45, v30
	v_min_u32_e32 v51, 32, v45
	v_subrev_u32_e32 v45, 28, v51
	v_lshlrev_b64 v[45:46], v45, v[35:36]
	v_sub_u32_e32 v35, 29, v51
	v_and_b32_e32 v45, 7, v45
	v_cndmask_b32_e64 v35, v47, v35, s[4:5]
	v_cndmask_b32_e64 v30, v30, v45, s[4:5]
	v_lshlrev_b32_e32 v0, 24, v0
	v_bfrev_b32_e32 v1, 60
	v_lshlrev_b32_e32 v30, 20, v30
	v_and_b32_e32 v0, 0x80000000, v0
	v_lshl_add_u32 v35, v35, 23, v1
	v_or3_b32 v51, v0, v35, v30
	v_mov_b32_e32 v30, 0
.LBB184_130:                            ;   in Loop: Header=BB184_13 Depth=1
	s_or_b64 exec, exec, s[44:45]
.LBB184_131:                            ;   in Loop: Header=BB184_13 Depth=1
	s_or_b64 exec, exec, s[42:43]
.LBB184_132:                            ;   in Loop: Header=BB184_13 Depth=1
	s_or_b64 exec, exec, s[40:41]
	global_load_ubyte v0, v[33:34], off offset:1036
	s_waitcnt vmcnt(0)
	v_cmp_ne_u16_e64 s[4:5], 0, v0
	s_and_saveexec_b64 s[40:41], s[4:5]
	s_cbranch_execz .LBB184_138
; %bb.133:                              ;   in Loop: Header=BB184_13 Depth=1
	v_cmp_ne_u16_e64 s[4:5], s52, v0
	v_bfrev_b32_e32 v30, 1
	s_and_saveexec_b64 s[42:43], s[4:5]
	s_cbranch_execz .LBB184_137
; %bb.134:                              ;   in Loop: Header=BB184_13 Depth=1
	v_and_b32_e32 v35, 0xffff, v0
	v_and_b32_e32 v45, 0x7f, v35
	v_cmp_ne_u32_e64 s[4:5], s53, v45
	v_mov_b32_e32 v30, 0x7f800001
	s_and_saveexec_b64 s[44:45], s[4:5]
	s_cbranch_execz .LBB184_136
; %bb.135:                              ;   in Loop: Header=BB184_13 Depth=1
	v_and_b32_e32 v29, 7, v35
	v_lshrrev_b32_e32 v47, 3, v45
	v_cmp_gt_u32_e64 s[4:5], 8, v45
	v_ffbh_u32_e32 v45, v29
	v_mov_b32_e32 v1, v51
	v_min_u32_e32 v51, 32, v45
	v_subrev_u32_e32 v45, 28, v51
	v_lshlrev_b64 v[45:46], v45, v[35:36]
	v_sub_u32_e32 v35, 29, v51
	v_and_b32_e32 v45, 7, v45
	v_mov_b32_e32 v51, v1
	v_cndmask_b32_e64 v35, v47, v35, s[4:5]
	v_cndmask_b32_e64 v29, v29, v45, s[4:5]
	v_lshlrev_b32_e32 v0, 24, v0
	v_bfrev_b32_e32 v1, 60
	v_lshlrev_b32_e32 v29, 20, v29
	v_and_b32_e32 v0, 0x80000000, v0
	v_lshl_add_u32 v35, v35, 23, v1
	v_or3_b32 v30, v0, v35, v29
.LBB184_136:                            ;   in Loop: Header=BB184_13 Depth=1
	s_or_b64 exec, exec, s[44:45]
.LBB184_137:                            ;   in Loop: Header=BB184_13 Depth=1
	s_or_b64 exec, exec, s[42:43]
.LBB184_138:                            ;   in Loop: Header=BB184_13 Depth=1
	s_or_b64 exec, exec, s[40:41]
	global_load_ubyte v45, v[33:34], off offset:1280
	v_mov_b32_e32 v29, 0
	v_mov_b32_e32 v0, 0
	s_waitcnt vmcnt(0)
	v_cmp_ne_u16_e64 s[4:5], 0, v45
	s_and_saveexec_b64 s[40:41], s[4:5]
	s_cbranch_execz .LBB184_144
; %bb.139:                              ;   in Loop: Header=BB184_13 Depth=1
	v_cmp_ne_u16_e64 s[4:5], s52, v45
	v_bfrev_b32_e32 v0, 1
	s_and_saveexec_b64 s[42:43], s[4:5]
	s_cbranch_execz .LBB184_143
; %bb.140:                              ;   in Loop: Header=BB184_13 Depth=1
	v_and_b32_e32 v35, 0xffff, v45
	v_and_b32_e32 v46, 0x7f, v35
	v_cmp_ne_u32_e64 s[4:5], s53, v46
	v_mov_b32_e32 v0, 0x7f800001
	s_and_saveexec_b64 s[44:45], s[4:5]
	s_cbranch_execz .LBB184_142
; %bb.141:                              ;   in Loop: Header=BB184_13 Depth=1
	v_and_b32_e32 v0, 7, v35
	v_lshrrev_b32_e32 v52, 3, v46
	v_cmp_gt_u32_e64 s[4:5], 8, v46
	v_ffbh_u32_e32 v46, v0
	v_min_u32_e32 v54, 32, v46
	v_subrev_u32_e32 v46, 28, v54
	v_lshlrev_b64 v[46:47], v46, v[35:36]
	v_sub_u32_e32 v35, 29, v54
	v_and_b32_e32 v46, 7, v46
	v_cndmask_b32_e64 v35, v52, v35, s[4:5]
	v_cndmask_b32_e64 v0, v0, v46, s[4:5]
	v_lshlrev_b32_e32 v45, 24, v45
	v_bfrev_b32_e32 v1, 60
	v_lshlrev_b32_e32 v0, 20, v0
	v_and_b32_e32 v45, 0x80000000, v45
	v_lshl_add_u32 v35, v35, 23, v1
	v_or3_b32 v0, v45, v35, v0
.LBB184_142:                            ;   in Loop: Header=BB184_13 Depth=1
	s_or_b64 exec, exec, s[44:45]
.LBB184_143:                            ;   in Loop: Header=BB184_13 Depth=1
	s_or_b64 exec, exec, s[42:43]
.LBB184_144:                            ;   in Loop: Header=BB184_13 Depth=1
	s_or_b64 exec, exec, s[40:41]
	global_load_ubyte v45, v[33:34], off offset:1284
	s_waitcnt vmcnt(0)
	v_cmp_ne_u16_e64 s[4:5], 0, v45
	s_and_saveexec_b64 s[40:41], s[4:5]
	s_cbranch_execz .LBB184_150
; %bb.145:                              ;   in Loop: Header=BB184_13 Depth=1
	v_cmp_ne_u16_e64 s[4:5], s52, v45
	v_bfrev_b32_e32 v29, 1
	s_and_saveexec_b64 s[42:43], s[4:5]
	s_cbranch_execz .LBB184_149
; %bb.146:                              ;   in Loop: Header=BB184_13 Depth=1
	v_and_b32_e32 v35, 0xffff, v45
	v_and_b32_e32 v46, 0x7f, v35
	v_cmp_ne_u32_e64 s[4:5], s53, v46
	v_mov_b32_e32 v29, 0x7f800001
	s_and_saveexec_b64 s[44:45], s[4:5]
	s_cbranch_execz .LBB184_148
; %bb.147:                              ;   in Loop: Header=BB184_13 Depth=1
	v_mov_b32_e32 v1, v51
	v_and_b32_e32 v51, 7, v35
	v_lshrrev_b32_e32 v52, 3, v46
	v_cmp_gt_u32_e64 s[4:5], 8, v46
	v_ffbh_u32_e32 v46, v51
	v_min_u32_e32 v54, 32, v46
	v_subrev_u32_e32 v46, 28, v54
	v_lshlrev_b64 v[46:47], v46, v[35:36]
	v_sub_u32_e32 v35, 29, v54
	v_and_b32_e32 v46, 7, v46
	v_cndmask_b32_e64 v35, v52, v35, s[4:5]
	v_cndmask_b32_e64 v46, v51, v46, s[4:5]
	v_mov_b32_e32 v51, v1
	v_lshlrev_b32_e32 v45, 24, v45
	v_bfrev_b32_e32 v1, 60
	v_lshlrev_b32_e32 v46, 20, v46
	v_and_b32_e32 v45, 0x80000000, v45
	v_lshl_add_u32 v35, v35, 23, v1
	v_or3_b32 v29, v45, v35, v46
.LBB184_148:                            ;   in Loop: Header=BB184_13 Depth=1
	s_or_b64 exec, exec, s[44:45]
.LBB184_149:                            ;   in Loop: Header=BB184_13 Depth=1
	s_or_b64 exec, exec, s[42:43]
.LBB184_150:                            ;   in Loop: Header=BB184_13 Depth=1
	s_or_b64 exec, exec, s[40:41]
	global_load_ubyte v45, v[33:34], off offset:1288
	v_mov_b32_e32 v46, 0
	v_mov_b32_e32 v47, 0
	s_waitcnt vmcnt(0)
	v_cmp_ne_u16_e64 s[4:5], 0, v45
	s_and_saveexec_b64 s[40:41], s[4:5]
	s_cbranch_execz .LBB184_156
; %bb.151:                              ;   in Loop: Header=BB184_13 Depth=1
	v_cmp_ne_u16_e64 s[4:5], s52, v45
	v_bfrev_b32_e32 v47, 1
	s_and_saveexec_b64 s[42:43], s[4:5]
	s_cbranch_execz .LBB184_155
; %bb.152:                              ;   in Loop: Header=BB184_13 Depth=1
	v_and_b32_e32 v35, 0xffff, v45
	v_and_b32_e32 v52, 0x7f, v35
	v_cmp_ne_u32_e64 s[4:5], s53, v52
	v_mov_b32_e32 v47, 0x7f800001
	s_and_saveexec_b64 s[44:45], s[4:5]
	s_cbranch_execz .LBB184_154
; %bb.153:                              ;   in Loop: Header=BB184_13 Depth=1
	v_and_b32_e32 v47, 7, v35
	v_lshrrev_b32_e32 v56, 3, v52
	v_cmp_gt_u32_e64 s[4:5], 8, v52
	v_ffbh_u32_e32 v52, v47
	v_min_u32_e32 v52, 32, v52
	v_subrev_u32_e32 v54, 28, v52
	v_lshlrev_b64 v[54:55], v54, v[35:36]
	v_sub_u32_e32 v35, 29, v52
	v_and_b32_e32 v52, 7, v54
	v_cndmask_b32_e64 v35, v56, v35, s[4:5]
	v_cndmask_b32_e64 v47, v47, v52, s[4:5]
	v_lshlrev_b32_e32 v45, 24, v45
	v_bfrev_b32_e32 v1, 60
	v_lshlrev_b32_e32 v47, 20, v47
	v_and_b32_e32 v45, 0x80000000, v45
	v_lshl_add_u32 v35, v35, 23, v1
	v_or3_b32 v47, v45, v35, v47
.LBB184_154:                            ;   in Loop: Header=BB184_13 Depth=1
	s_or_b64 exec, exec, s[44:45]
.LBB184_155:                            ;   in Loop: Header=BB184_13 Depth=1
	s_or_b64 exec, exec, s[42:43]
.LBB184_156:                            ;   in Loop: Header=BB184_13 Depth=1
	s_or_b64 exec, exec, s[40:41]
	global_load_ubyte v45, v[33:34], off offset:1292
	s_waitcnt vmcnt(0)
	v_cmp_ne_u16_e64 s[4:5], 0, v45
	s_and_saveexec_b64 s[40:41], s[4:5]
	s_cbranch_execz .LBB184_162
; %bb.157:                              ;   in Loop: Header=BB184_13 Depth=1
	v_cmp_ne_u16_e64 s[4:5], s52, v45
	v_bfrev_b32_e32 v46, 1
	s_and_saveexec_b64 s[42:43], s[4:5]
	s_cbranch_execz .LBB184_161
; %bb.158:                              ;   in Loop: Header=BB184_13 Depth=1
	v_and_b32_e32 v35, 0xffff, v45
	v_and_b32_e32 v52, 0x7f, v35
	v_cmp_ne_u32_e64 s[4:5], s53, v52
	v_mov_b32_e32 v46, 0x7f800001
	s_and_saveexec_b64 s[44:45], s[4:5]
	s_cbranch_execz .LBB184_160
; %bb.159:                              ;   in Loop: Header=BB184_13 Depth=1
	v_and_b32_e32 v46, 7, v35
	v_lshrrev_b32_e32 v56, 3, v52
	v_cmp_gt_u32_e64 s[4:5], 8, v52
	v_ffbh_u32_e32 v52, v46
	v_min_u32_e32 v52, 32, v52
	v_subrev_u32_e32 v54, 28, v52
	v_lshlrev_b64 v[54:55], v54, v[35:36]
	v_sub_u32_e32 v35, 29, v52
	v_and_b32_e32 v52, 7, v54
	v_cndmask_b32_e64 v35, v56, v35, s[4:5]
	v_cndmask_b32_e64 v46, v46, v52, s[4:5]
	v_lshlrev_b32_e32 v45, 24, v45
	v_bfrev_b32_e32 v1, 60
	v_lshlrev_b32_e32 v46, 20, v46
	v_and_b32_e32 v45, 0x80000000, v45
	v_lshl_add_u32 v35, v35, 23, v1
	v_or3_b32 v46, v45, v35, v46
.LBB184_160:                            ;   in Loop: Header=BB184_13 Depth=1
	s_or_b64 exec, exec, s[44:45]
.LBB184_161:                            ;   in Loop: Header=BB184_13 Depth=1
	s_or_b64 exec, exec, s[42:43]
.LBB184_162:                            ;   in Loop: Header=BB184_13 Depth=1
	s_or_b64 exec, exec, s[40:41]
	global_load_ubyte v45, v[33:34], off offset:1536
	v_mov_b32_e32 v52, 0
	v_mov_b32_e32 v54, 0
	s_waitcnt vmcnt(0)
	v_cmp_ne_u16_e64 s[4:5], 0, v45
	s_and_saveexec_b64 s[40:41], s[4:5]
	s_cbranch_execz .LBB184_168
; %bb.163:                              ;   in Loop: Header=BB184_13 Depth=1
	v_cmp_ne_u16_e64 s[4:5], s52, v45
	v_bfrev_b32_e32 v54, 1
	s_and_saveexec_b64 s[42:43], s[4:5]
	s_cbranch_execz .LBB184_167
; %bb.164:                              ;   in Loop: Header=BB184_13 Depth=1
	v_and_b32_e32 v35, 0xffff, v45
	v_and_b32_e32 v55, 0x7f, v35
	v_cmp_ne_u32_e64 s[4:5], s53, v55
	v_mov_b32_e32 v54, 0x7f800001
	s_and_saveexec_b64 s[44:45], s[4:5]
	s_cbranch_execz .LBB184_166
; %bb.165:                              ;   in Loop: Header=BB184_13 Depth=1
	v_and_b32_e32 v56, 7, v35
	v_ffbh_u32_e32 v54, v56
	v_mov_b32_e32 v25, v41
	v_mov_b32_e32 v41, v58
	v_min_u32_e32 v58, 32, v54
	v_subrev_u32_e32 v54, 28, v58
	v_mov_b32_e32 v1, v57
	v_lshrrev_b32_e32 v57, 3, v55
	v_cmp_gt_u32_e64 s[4:5], 8, v55
	v_lshlrev_b64 v[54:55], v54, v[35:36]
	v_sub_u32_e32 v35, 29, v58
	v_and_b32_e32 v54, 7, v54
	v_cndmask_b32_e64 v35, v57, v35, s[4:5]
	v_mov_b32_e32 v57, v1
	v_cndmask_b32_e64 v54, v56, v54, s[4:5]
	v_lshlrev_b32_e32 v45, 24, v45
	v_bfrev_b32_e32 v1, 60
	v_lshlrev_b32_e32 v54, 20, v54
	v_and_b32_e32 v45, 0x80000000, v45
	v_lshl_add_u32 v35, v35, 23, v1
	v_mov_b32_e32 v58, v41
	v_mov_b32_e32 v41, v25
	v_or3_b32 v54, v45, v35, v54
.LBB184_166:                            ;   in Loop: Header=BB184_13 Depth=1
	s_or_b64 exec, exec, s[44:45]
.LBB184_167:                            ;   in Loop: Header=BB184_13 Depth=1
	s_or_b64 exec, exec, s[42:43]
.LBB184_168:                            ;   in Loop: Header=BB184_13 Depth=1
	s_or_b64 exec, exec, s[40:41]
	global_load_ubyte v45, v[33:34], off offset:1540
	s_waitcnt vmcnt(0)
	v_cmp_ne_u16_e64 s[4:5], 0, v45
	s_and_saveexec_b64 s[40:41], s[4:5]
	s_cbranch_execz .LBB184_174
; %bb.169:                              ;   in Loop: Header=BB184_13 Depth=1
	v_cmp_ne_u16_e64 s[4:5], s52, v45
	v_bfrev_b32_e32 v52, 1
	s_and_saveexec_b64 s[42:43], s[4:5]
	s_cbranch_execz .LBB184_173
; %bb.170:                              ;   in Loop: Header=BB184_13 Depth=1
	v_and_b32_e32 v35, 0xffff, v45
	v_and_b32_e32 v55, 0x7f, v35
	v_cmp_ne_u32_e64 s[4:5], s53, v55
	v_mov_b32_e32 v52, 0x7f800001
	s_and_saveexec_b64 s[44:45], s[4:5]
	s_cbranch_execz .LBB184_172
; %bb.171:                              ;   in Loop: Header=BB184_13 Depth=1
	v_and_b32_e32 v52, 7, v35
	v_mov_b32_e32 v1, v57
	v_lshrrev_b32_e32 v57, 3, v55
	v_cmp_gt_u32_e64 s[4:5], 8, v55
	v_ffbh_u32_e32 v55, v52
	v_mov_b32_e32 v25, v41
	v_mov_b32_e32 v41, v58
	v_min_u32_e32 v58, 32, v55
	v_subrev_u32_e32 v55, 28, v58
	v_lshlrev_b64 v[55:56], v55, v[35:36]
	v_sub_u32_e32 v35, 29, v58
	v_and_b32_e32 v55, 7, v55
	v_cndmask_b32_e64 v35, v57, v35, s[4:5]
	v_mov_b32_e32 v57, v1
	v_cndmask_b32_e64 v52, v52, v55, s[4:5]
	v_lshlrev_b32_e32 v45, 24, v45
	v_bfrev_b32_e32 v1, 60
	v_lshlrev_b32_e32 v52, 20, v52
	v_and_b32_e32 v45, 0x80000000, v45
	v_lshl_add_u32 v35, v35, 23, v1
	v_mov_b32_e32 v58, v41
	v_mov_b32_e32 v41, v25
	v_or3_b32 v52, v45, v35, v52
.LBB184_172:                            ;   in Loop: Header=BB184_13 Depth=1
	s_or_b64 exec, exec, s[44:45]
.LBB184_173:                            ;   in Loop: Header=BB184_13 Depth=1
	s_or_b64 exec, exec, s[42:43]
.LBB184_174:                            ;   in Loop: Header=BB184_13 Depth=1
	s_or_b64 exec, exec, s[40:41]
	global_load_ubyte v56, v[33:34], off offset:1544
	v_mov_b32_e32 v55, 0
	v_mov_b32_e32 v45, 0
	s_waitcnt vmcnt(0)
	v_cmp_ne_u16_e64 s[4:5], 0, v56
	s_and_saveexec_b64 s[40:41], s[4:5]
	s_cbranch_execz .LBB184_180
; %bb.175:                              ;   in Loop: Header=BB184_13 Depth=1
	v_cmp_ne_u16_e64 s[4:5], s52, v56
	v_bfrev_b32_e32 v45, 1
	s_and_saveexec_b64 s[42:43], s[4:5]
	s_cbranch_execz .LBB184_179
; %bb.176:                              ;   in Loop: Header=BB184_13 Depth=1
	v_and_b32_e32 v35, 0xffff, v56
	v_mov_b32_e32 v44, v57
	v_and_b32_e32 v57, 0x7f, v35
	v_cmp_ne_u32_e64 s[4:5], s53, v57
	v_mov_b32_e32 v45, 0x7f800001
	s_and_saveexec_b64 s[44:45], s[4:5]
	s_cbranch_execz .LBB184_178
; %bb.177:                              ;   in Loop: Header=BB184_13 Depth=1
	v_mov_b32_e32 v25, v24
	v_mov_b32_e32 v24, v23
	;; [unrolled: 1-line block ×17, first 2 shown]
	v_and_b32_e32 v45, 7, v35
	v_mov_b32_e32 v27, v40
	v_mov_b32_e32 v40, v49
	;; [unrolled: 1-line block ×15, first 2 shown]
	v_lshrrev_b32_e32 v59, 3, v57
	v_cmp_gt_u32_e64 s[4:5], 8, v57
	v_ffbh_u32_e32 v57, v45
	v_mov_b32_e32 v62, v60
	v_min_u32_e32 v60, 32, v57
	v_subrev_u32_e32 v57, 28, v60
	v_mov_b32_e32 v1, v4
	v_mov_b32_e32 v26, v63
	;; [unrolled: 1-line block ×3, first 2 shown]
	v_lshlrev_b64 v[3:4], v57, v[35:36]
	v_sub_u32_e32 v35, 29, v60
	v_mov_b32_e32 v60, v62
	v_cndmask_b32_e64 v35, v59, v35, s[4:5]
	v_mov_b32_e32 v59, v61
	v_mov_b32_e32 v62, v42
	;; [unrolled: 1-line block ×9, first 2 shown]
	v_and_b32_e32 v57, 7, v3
	v_mov_b32_e32 v10, v11
	v_mov_b32_e32 v11, v12
	v_mov_b32_e32 v12, v13
	v_mov_b32_e32 v13, v14
	v_mov_b32_e32 v4, v1
	v_mov_b32_e32 v14, v15
	v_mov_b32_e32 v15, v16
	v_mov_b32_e32 v16, v17
	v_mov_b32_e32 v17, v18
	v_cndmask_b32_e64 v45, v45, v57, s[4:5]
	v_lshlrev_b32_e32 v56, 24, v56
	v_bfrev_b32_e32 v1, 60
	v_mov_b32_e32 v18, v19
	v_mov_b32_e32 v19, v20
	;; [unrolled: 1-line block ×4, first 2 shown]
	v_lshlrev_b32_e32 v45, 20, v45
	v_and_b32_e32 v56, 0x80000000, v56
	v_lshl_add_u32 v35, v35, 23, v1
	v_mov_b32_e32 v3, v63
	v_mov_b32_e32 v63, v26
	;; [unrolled: 1-line block ×13, first 2 shown]
	v_or3_b32 v45, v56, v35, v45
.LBB184_178:                            ;   in Loop: Header=BB184_13 Depth=1
	s_or_b64 exec, exec, s[44:45]
	v_mov_b32_e32 v57, v44
.LBB184_179:                            ;   in Loop: Header=BB184_13 Depth=1
	s_or_b64 exec, exec, s[42:43]
.LBB184_180:                            ;   in Loop: Header=BB184_13 Depth=1
	s_or_b64 exec, exec, s[40:41]
	global_load_ubyte v34, v[33:34], off offset:1548
	s_waitcnt vmcnt(0)
	v_cmp_ne_u16_e64 s[4:5], 0, v34
	s_and_saveexec_b64 s[40:41], s[4:5]
	s_cbranch_execz .LBB184_186
; %bb.181:                              ;   in Loop: Header=BB184_13 Depth=1
	v_cmp_ne_u16_e64 s[4:5], s52, v34
	v_bfrev_b32_e32 v55, 1
	s_and_saveexec_b64 s[42:43], s[4:5]
	s_cbranch_execz .LBB184_185
; %bb.182:                              ;   in Loop: Header=BB184_13 Depth=1
	v_and_b32_e32 v33, 0xffff, v34
	v_and_b32_e32 v35, 0x7f, v33
	v_cmp_ne_u32_e64 s[4:5], s53, v35
	v_mov_b32_e32 v55, 0x7f800001
	s_and_saveexec_b64 s[44:45], s[4:5]
	s_cbranch_execz .LBB184_184
; %bb.183:                              ;   in Loop: Header=BB184_13 Depth=1
	v_mov_b32_e32 v1, v57
	v_and_b32_e32 v57, 7, v33
	v_mov_b32_e32 v25, v41
	v_mov_b32_e32 v41, v58
	v_lshrrev_b32_e32 v58, 3, v35
	v_cmp_gt_u32_e64 s[4:5], 8, v35
	v_ffbh_u32_e32 v35, v57
	v_min_u32_e32 v35, 32, v35
	v_subrev_u32_e32 v55, 28, v35
	v_lshlrev_b64 v[55:56], v55, v[33:34]
	v_sub_u32_e32 v33, 29, v35
	v_and_b32_e32 v35, 7, v55
	v_cndmask_b32_e64 v33, v58, v33, s[4:5]
	v_cndmask_b32_e64 v35, v57, v35, s[4:5]
	v_mov_b32_e32 v57, v1
	v_lshlrev_b32_e32 v34, 24, v34
	v_bfrev_b32_e32 v1, 60
	v_lshlrev_b32_e32 v35, 20, v35
	v_and_b32_e32 v34, 0x80000000, v34
	v_lshl_add_u32 v33, v33, 23, v1
	v_mov_b32_e32 v58, v41
	v_mov_b32_e32 v41, v25
	v_or3_b32 v55, v34, v33, v35
.LBB184_184:                            ;   in Loop: Header=BB184_13 Depth=1
	s_or_b64 exec, exec, s[44:45]
.LBB184_185:                            ;   in Loop: Header=BB184_13 Depth=1
	s_or_b64 exec, exec, s[42:43]
.LBB184_186:                            ;   in Loop: Header=BB184_13 Depth=1
	s_or_b64 exec, exec, s[40:41]
	buffer_load_dword v25, off, s[56:59], 0 offset:48 ; 4-byte Folded Reload
	buffer_load_dword v26, off, s[56:59], 0 offset:52 ; 4-byte Folded Reload
	;; [unrolled: 1-line block ×5, first 2 shown]
	v_mul_f32_e32 v33, s54, v2
	v_mul_f32_e32 v34, s54, v3
	;; [unrolled: 1-line block ×12, first 2 shown]
	buffer_load_dword v2, off, s[56:59], 0 offset:64 ; 4-byte Folded Reload
	s_waitcnt vmcnt(4)
	v_mul_f32_e32 v26, v26, v33
	v_fmac_f32_e32 v26, v25, v34
	v_mul_f32_e32 v25, s54, v63
	s_waitcnt vmcnt(3)
	v_fmac_f32_e32 v26, v27, v25
	v_mul_f32_e32 v25, s54, v42
	s_waitcnt vmcnt(1)
	v_mul_f32_e32 v42, s54, v1
	buffer_load_dword v1, off, s[56:59], 0 offset:16 ; 4-byte Folded Reload
	v_fmac_f32_e32 v26, v28, v25
	v_mul_f32_e32 v25, s54, v45
	v_mul_f32_e32 v45, s54, v41
	;; [unrolled: 1-line block ×7, first 2 shown]
	s_waitcnt vmcnt(1)
	v_and_b32_e32 v56, 64, v2
	v_xor_b32_e32 v57, 2, v2
	v_add_u32_e32 v56, 64, v56
	v_cmp_lt_i32_e64 s[4:5], v57, v56
	v_cndmask_b32_e64 v57, v2, v57, s[4:5]
	v_lshlrev_b32_e32 v57, 2, v57
	s_waitcnt vmcnt(0)
	v_mul_f32_e32 v41, s54, v1
	buffer_load_dword v1, off, s[56:59], 0 offset:8 ; 4-byte Folded Reload
	s_waitcnt vmcnt(0)
	v_mul_f32_e32 v46, s54, v1
	buffer_load_dword v1, off, s[56:59], 0 offset:12 ; 4-byte Folded Reload
	;; [unrolled: 3-line block ×3, first 2 shown]
	s_waitcnt vmcnt(0)
	v_mul_f32_e32 v49, s54, v1
	buffer_load_dword v1, off, s[56:59], 0  ; 4-byte Folded Reload
	s_waitcnt vmcnt(0)
	v_mul_f32_e32 v51, s54, v1
	buffer_load_dword v1, off, s[56:59], 0 offset:36 ; 4-byte Folded Reload
	s_waitcnt vmcnt(0)
	v_mul_f32_e32 v54, s54, v1
	v_fmac_f32_e32 v26, v17, v54
	v_fmac_f32_e32 v26, v18, v52
	;; [unrolled: 1-line block ×20, first 2 shown]
	buffer_load_dword v5, off, s[56:59], 0 offset:20 ; 4-byte Folded Reload
	buffer_load_dword v6, off, s[56:59], 0 offset:24 ; 4-byte Folded Reload
	;; [unrolled: 1-line block ×4, first 2 shown]
	v_xor_b32_e32 v1, 1, v2
	v_cmp_lt_i32_e64 s[4:5], v1, v56
	v_cndmask_b32_e64 v1, v2, v1, s[4:5]
	v_lshlrev_b32_e32 v1, 2, v1
	s_waitcnt vmcnt(3)
	v_fmac_f32_e32 v26, v5, v28
	s_waitcnt vmcnt(2)
	v_fmac_f32_e32 v26, v6, v27
	s_waitcnt vmcnt(1)
	v_fmac_f32_e32 v26, v7, v25
	s_waitcnt vmcnt(0)
	v_fmac_f32_e32 v26, v8, v55
	ds_bpermute_b32 v0, v57, v26
	s_waitcnt lgkmcnt(0)
	v_add_f32_e32 v0, v26, v0
	ds_bpermute_b32 v1, v1, v0
	s_and_saveexec_b64 s[40:41], vcc
	s_cbranch_execz .LBB184_11
; %bb.187:                              ;   in Loop: Header=BB184_13 Depth=1
	buffer_load_dword v2, off, s[56:59], 0 offset:68 ; 4-byte Folded Reload
	s_waitcnt lgkmcnt(0)
	v_add_f32_e32 v0, v0, v1
	v_add_u32_e32 v3, v59, v48
	v_cmp_gt_i32_e64 s[4:5], s33, v3
	s_waitcnt vmcnt(0)
	v_add_u32_e32 v2, v2, v48
	v_cvt_f32_i32_e32 v2, v2
	v_mul_f32_e32 v1, s48, v2
	v_cndmask_b32_e64 v1, 0, v1, s[2:3]
	v_fmac_f32_e32 v1, s37, v0
	v_cndmask_b32_e64 v0, 0, v1, s[4:5]
	ds_write_b32 v50, v0
	v_max_f32_e32 v0, v58, v58
	v_max_f32_e32 v0, v0, v1
	v_cndmask_b32_e64 v58, v58, v0, s[4:5]
	s_branch .LBB184_11
.LBB184_188:
	s_or_b64 exec, exec, s[38:39]
	buffer_load_dword v13, off, s[56:59], 0 offset:72 ; 4-byte Folded Reload
	buffer_load_dword v15, off, s[56:59], 0 offset:88 ; 4-byte Folded Reload
	buffer_load_dword v16, off, s[56:59], 0 offset:92 ; 4-byte Folded Reload
	v_mbcnt_lo_u32_b32 v5, -1, 0
.LBB184_189:
	s_or_b64 exec, exec, s[18:19]
	v_mbcnt_hi_u32_b32 v0, -1, v5
	v_and_b32_e32 v8, 64, v0
	s_waitcnt lgkmcnt(0)
	v_add_u32_e32 v1, 64, v8
	v_xor_b32_e32 v2, 32, v0
	v_cmp_lt_i32_e32 vcc, v2, v1
	v_cndmask_b32_e32 v2, v0, v2, vcc
	v_lshlrev_b32_e32 v2, 2, v2
	ds_bpermute_b32 v3, v2, v58
	v_xor_b32_e32 v5, 16, v0
	v_max_f32_e32 v4, v58, v58
	v_cmp_lt_i32_e32 vcc, v5, v1
	v_xor_b32_e32 v6, 8, v0
	s_waitcnt lgkmcnt(0)
	v_max_f32_e32 v3, v3, v3
	v_max_f32_e32 v4, v4, v3
	v_cndmask_b32_e32 v3, v0, v5, vcc
	v_lshlrev_b32_e32 v3, 2, v3
	ds_bpermute_b32 v5, v3, v4
	v_cmp_lt_i32_e32 vcc, v6, v1
	v_xor_b32_e32 v7, 4, v0
	s_waitcnt vmcnt(2)
	v_and_b32_e32 v14, 63, v13
	s_waitcnt lgkmcnt(0)
	v_max_f32_e32 v5, v5, v5
	v_max_f32_e32 v4, v4, v5
	v_cndmask_b32_e32 v5, v0, v6, vcc
	v_lshlrev_b32_e32 v6, 2, v5
	ds_bpermute_b32 v5, v6, v4
	v_cmp_lt_i32_e32 vcc, v7, v1
	s_waitcnt lgkmcnt(0)
	v_max_f32_e32 v5, v5, v5
	v_max_f32_e32 v5, v4, v5
	v_cndmask_b32_e32 v4, v0, v7, vcc
	v_lshlrev_b32_e32 v7, 2, v4
	ds_bpermute_b32 v9, v7, v5
	v_cmp_eq_u32_e32 vcc, 0, v14
	v_lshlrev_b32_e32 v4, 2, v39
	s_and_saveexec_b64 s[2:3], vcc
	s_cbranch_execz .LBB184_191
; %bb.190:
	s_waitcnt lgkmcnt(0)
	v_max_f32_e32 v9, v9, v9
	v_max_f32_e32 v5, v5, v5
	;; [unrolled: 1-line block ×3, first 2 shown]
	ds_write_b32 v4, v5 offset:448
.LBB184_191:
	s_or_b64 exec, exec, s[2:3]
	v_cmp_gt_u32_e64 s[2:3], 2, v14
	s_waitcnt lgkmcnt(0)
	v_mov_b32_e32 v9, 0xff7fffff
	v_lshlrev_b32_e32 v5, 2, v14
	s_waitcnt vmcnt(0)
	s_barrier
	s_and_saveexec_b64 s[4:5], s[2:3]
; %bb.192:
	ds_read_b32 v9, v5 offset:448
; %bb.193:
	s_or_b64 exec, exec, s[4:5]
	v_xor_b32_e32 v10, 1, v0
	v_cmp_lt_i32_e64 s[4:5], v10, v1
	v_cndmask_b32_e64 v10, v0, v10, s[4:5]
	v_lshlrev_b32_e32 v25, 2, v10
	s_waitcnt lgkmcnt(0)
	ds_bpermute_b32 v10, v25, v9
	v_max_f32_e32 v9, v9, v9
	v_lshlrev_b32_e32 v8, 2, v8
	s_lshl_b32 s4, s20, 4
	s_min_i32 s37, s4, s33
	s_waitcnt lgkmcnt(0)
	v_max_f32_e32 v10, v10, v10
	v_max_f32_e32 v9, v9, v10
	ds_bpermute_b32 v9, v8, v9
	v_cmp_gt_i32_e64 s[4:5], s37, v13
	v_mov_b32_e32 v8, 0
	s_and_saveexec_b64 s[12:13], s[4:5]
	s_cbranch_execz .LBB184_197
; %bb.194:
	v_mov_b32_e32 v8, 0x1d0
	v_lshl_add_u32 v10, v13, 2, v8
	v_mov_b32_e32 v8, 0
	s_mov_b64 s[18:19], 0
	v_mov_b32_e32 v11, v13
.LBB184_195:                            ; =>This Inner Loop Header: Depth=1
	ds_read_b32 v12, v10
	v_add_u32_e32 v11, 0x80, v11
	v_cmp_le_i32_e64 s[6:7], s37, v11
	s_or_b64 s[18:19], s[6:7], s[18:19]
	s_waitcnt lgkmcnt(0)
	v_sub_f32_e32 v12, v12, v9
	v_mul_f32_e32 v12, 0x3fb8aa3b, v12
	v_exp_f32_e32 v12, v12
	ds_write_b32 v10, v12
	v_add_f32_e32 v8, v8, v12
	v_add_u32_e32 v10, 0x200, v10
	s_andn2_b64 exec, exec, s[18:19]
	s_cbranch_execnz .LBB184_195
; %bb.196:
	s_or_b64 exec, exec, s[18:19]
.LBB184_197:
	s_or_b64 exec, exec, s[12:13]
	ds_bpermute_b32 v2, v2, v8
	s_waitcnt lgkmcnt(0)
	v_add_f32_e32 v2, v8, v2
	ds_bpermute_b32 v3, v3, v2
	s_waitcnt lgkmcnt(0)
	v_add_f32_e32 v2, v2, v3
	ds_bpermute_b32 v3, v6, v2
	v_xor_b32_e32 v6, 2, v0
	v_cmp_lt_i32_e64 s[6:7], v6, v1
	v_cndmask_b32_e64 v1, v0, v6, s[6:7]
	v_lshlrev_b32_e32 v8, 2, v1
	s_waitcnt lgkmcnt(0)
	v_add_f32_e32 v2, v2, v3
	ds_bpermute_b32 v3, v7, v2
	s_waitcnt lgkmcnt(0)
	v_add_f32_e32 v2, v2, v3
	ds_bpermute_b32 v1, v8, v2
	;; [unrolled: 3-line block ×3, first 2 shown]
	s_waitcnt lgkmcnt(0)
	v_add_f32_e32 v1, v1, v2
	s_and_saveexec_b64 s[6:7], vcc
; %bb.198:
	ds_write_b32 v4, v1 offset:456
; %bb.199:
	s_or_b64 exec, exec, s[6:7]
	s_waitcnt lgkmcnt(0)
	s_barrier
	s_and_saveexec_b64 s[6:7], s[2:3]
; %bb.200:
	ds_read_b32 v1, v5 offset:456
; %bb.201:
	s_or_b64 exec, exec, s[6:7]
	s_waitcnt lgkmcnt(0)
	ds_bpermute_b32 v2, v25, v1
	v_lshlrev_b32_e32 v0, 2, v0
	v_and_b32_e32 v0, 0x100, v0
	s_waitcnt lgkmcnt(0)
	v_add_f32_e32 v1, v1, v2
	ds_bpermute_b32 v0, v0, v1
	s_and_saveexec_b64 s[2:3], s[4:5]
	s_cbranch_execz .LBB184_204
; %bb.202:
	s_waitcnt lgkmcnt(0)
	v_add_f32_e32 v1, 0x358637bd, v0
	v_div_scale_f32 v0, s[4:5], v1, v1, 1.0
	v_div_scale_f32 v2, vcc, 1.0, v1, 1.0
	s_mov_b64 s[4:5], 0
	v_rcp_f32_e32 v3, v0
	v_fma_f32 v4, -v0, v3, 1.0
	v_fmac_f32_e32 v3, v4, v3
	v_mul_f32_e32 v4, v2, v3
	v_fma_f32 v5, -v0, v4, v2
	v_fmac_f32_e32 v4, v5, v3
	v_fma_f32 v0, -v0, v4, v2
	v_div_fmas_f32 v2, v0, v3, v4
	v_mov_b32_e32 v0, 0x1d0
	v_lshl_add_u32 v0, v13, 2, v0
	v_div_fixup_f32 v1, v2, v1, 1.0
	v_mov_b32_e32 v2, v13
.LBB184_203:                            ; =>This Inner Loop Header: Depth=1
	ds_read_b32 v3, v0
	v_add_u32_e32 v2, 0x80, v2
	v_cmp_le_i32_e32 vcc, s37, v2
	s_or_b64 s[4:5], vcc, s[4:5]
	s_waitcnt lgkmcnt(0)
	v_mul_f32_e32 v3, v1, v3
	ds_write_b32 v0, v3
	v_add_u32_e32 v0, 0x200, v0
	s_andn2_b64 exec, exec, s[4:5]
	s_cbranch_execnz .LBB184_203
.LBB184_204:
	s_or_b64 exec, exec, s[2:3]
	v_mov_b32_e32 v34, 0
	v_mov_b32_e32 v33, 0
	;; [unrolled: 1-line block ×7, first 2 shown]
	s_waitcnt lgkmcnt(0)
	s_barrier
	s_and_saveexec_b64 s[2:3], s[0:1]
	s_cbranch_execz .LBB184_392
; %bb.205:
	s_sub_i32 s21, s16, s21
	s_ashr_i32 s0, s47, 31
	s_add_u32 s4, s34, s47
	s_addc_u32 s5, s35, s0
	s_abs_i32 s22, s22
	v_cvt_f32_u32_e32 v0, s22
	s_sub_i32 s0, 0, s22
	v_and_b32_e32 v1, 0xfc, v15
	s_add_i32 s35, s20, -1
	v_rcp_iflag_f32_e32 v0, v0
	v_mov_b32_e32 v4, s5
	v_add_co_u32_e32 v6, vcc, s4, v1
	v_mul_f32_e32 v0, 0x4f7ffffe, v0
	v_cvt_u32_f32_e32 v0, v0
	v_and_b32_e32 v2, 60, v16
	v_addc_co_u32_e32 v7, vcc, 0, v4, vcc
	v_mul_lo_u32 v3, s0, v0
	s_lshl_b64 s[0:1], s[30:31], 2
	s_add_u32 s0, s28, s0
	s_addc_u32 s1, s29, s1
	v_mul_hi_u32 v3, v0, v3
	buffer_store_dword v8, off, s[56:59], 0 offset:12 ; 4-byte Folded Spill
	buffer_store_dword v14, off, s[56:59], 0 offset:8 ; 4-byte Folded Spill
	buffer_store_dword v6, off, s[56:59], 0 ; 4-byte Folded Spill
	s_nop 0
	buffer_store_dword v7, off, s[56:59], 0 offset:4 ; 4-byte Folded Spill
	v_add_co_u32_e32 v9, vcc, s0, v2
	v_add_u32_e32 v35, v0, v3
	v_mov_b32_e32 v0, s1
	v_addc_co_u32_e32 v10, vcc, 0, v0, vcc
	buffer_load_dword v0, off, s[56:59], 0 offset:76 ; 4-byte Folded Reload
	v_mov_b32_e32 v5, 0
	v_and_b32_e32 v31, 12, v15
	s_mov_b32 s34, s17
	s_mov_b64 s[4:5], 0
	s_movk_i32 s28, 0x80
	s_movk_i32 s29, 0x7f
	s_brev_b32 s30, 1
	s_mov_b32 s31, 0xffffff
	v_bfrev_b32_e32 v42, 60
	v_bfrev_b32_e32 v6, 1
	v_mov_b32_e32 v12, 0x7f800001
	v_mov_b32_e32 v26, 7
	v_mov_b32_e32 v27, v5
	v_mov_b32_e32 v28, v5
	v_mov_b32_e32 v29, v5
	v_mov_b32_e32 v30, v5
	v_mov_b32_e32 v32, v5
	v_mov_b32_e32 v33, v5
	v_mov_b32_e32 v34, v5
	s_waitcnt vmcnt(0)
	v_lshlrev_b32_e32 v0, 4, v0
	v_lshl_or_b32 v0, v39, 6, v0
	v_add_u32_e32 v41, 0x1d0, v0
	s_branch .LBB184_208
.LBB184_206:                            ;   in Loop: Header=BB184_208 Depth=1
	s_or_b64 exec, exec, s[0:1]
	v_mul_f32_e32 v7, v1, v43
	v_fmac_f32_e32 v7, v2, v0
	v_mul_f32_e32 v0, v1, v44
	v_fmac_f32_e32 v0, v2, v36
	v_fmac_f32_e32 v0, v3, v24
	v_fmac_f32_e32 v0, v4, v38
	v_add_f32_e32 v29, v29, v0
	v_mul_f32_e32 v0, v1, v63
	v_fmac_f32_e32 v0, v2, v37
	v_fmac_f32_e32 v0, v3, v62
	v_fmac_f32_e32 v0, v4, v61
	v_add_f32_e32 v30, v30, v0
	;; [unrolled: 5-line block ×5, first 2 shown]
	v_mul_f32_e32 v0, v1, v15
	v_fmac_f32_e32 v0, v2, v11
	v_fmac_f32_e32 v7, v3, v23
	;; [unrolled: 1-line block ×5, first 2 shown]
	v_add_f32_e32 v28, v28, v7
	v_add_f32_e32 v27, v27, v0
.LBB184_207:                            ;   in Loop: Header=BB184_208 Depth=1
	s_or_b64 exec, exec, s[6:7]
	v_add_co_u32_e32 v9, vcc, 8, v9
	v_add_u32_e32 v39, 2, v39
	v_addc_co_u32_e32 v10, vcc, 0, v10, vcc
	v_cmp_le_i32_e32 vcc, s20, v39
	v_add_u32_e32 v40, 32, v40
	s_or_b64 s[4:5], vcc, s[4:5]
	v_add_u32_e32 v41, 0x80, v41
	s_andn2_b64 exec, exec, s[4:5]
	s_cbranch_execz .LBB184_391
.LBB184_208:                            ; =>This Inner Loop Header: Depth=1
	v_mul_hi_u32 v0, v40, s46
	v_mul_lo_u32 v1, v0, s25
	v_add_u32_e32 v2, 1, v0
	v_sub_u32_e32 v1, v40, v1
	v_cmp_le_u32_e32 vcc, s25, v1
	v_cndmask_b32_e32 v0, v0, v2, vcc
	v_subrev_u32_e32 v2, s25, v1
	v_cndmask_b32_e32 v1, v1, v2, vcc
	v_add_u32_e32 v2, 1, v0
	v_cmp_le_u32_e32 vcc, s25, v1
	v_cndmask_b32_e32 v0, v0, v2, vcc
	v_xor_b32_e32 v0, s23, v0
	v_subrev_u32_e32 v0, s23, v0
	v_add_u32_e32 v1, s36, v0
	v_sub_u32_e32 v2, 0, v1
	v_max_i32_e32 v2, v1, v2
	v_mul_hi_u32 v3, v2, v35
	v_ashrrev_i32_e32 v1, 31, v1
	v_cmp_lt_i32_e64 s[0:1], s21, v0
	v_mul_lo_u32 v3, v3, s22
	v_sub_u32_e32 v2, v2, v3
	v_subrev_u32_e32 v3, s22, v2
	v_cmp_le_u32_e32 vcc, s22, v2
	v_cndmask_b32_e32 v2, v2, v3, vcc
	v_subrev_u32_e32 v3, s22, v2
	v_cmp_le_u32_e32 vcc, s22, v2
	v_cndmask_b32_e32 v2, v2, v3, vcc
	v_xor_b32_e32 v2, v2, v1
	v_sub_u32_e32 v1, v2, v1
	v_cmp_eq_u32_e32 vcc, 0, v1
	s_or_b64 s[0:1], vcc, s[0:1]
	s_and_saveexec_b64 s[6:7], s[0:1]
	s_cbranch_execz .LBB184_207
; %bb.209:                              ;   in Loop: Header=BB184_208 Depth=1
	global_load_dword v0, v[9:10], off
	buffer_load_dword v1, off, s[56:59], 0  ; 4-byte Folded Reload
	buffer_load_dword v2, off, s[56:59], 0 offset:4 ; 4-byte Folded Reload
	s_load_dword s37, s[14:15], 0x0
	v_mov_b32_e32 v18, 0
	v_mov_b32_e32 v16, 0
	;; [unrolled: 1-line block ×4, first 2 shown]
	s_waitcnt vmcnt(0)
	v_mad_i64_i32 v[13:14], s[0:1], v0, s34, v[1:2]
	ds_read_b128 v[1:4], v41
	global_load_dword v15, v[13:14], off
	s_waitcnt vmcnt(0)
	v_cmp_ne_u16_sdwa s[12:13], v15, v5 src0_sel:BYTE_0 src1_sel:DWORD
	s_and_saveexec_b64 s[0:1], s[12:13]
	s_cbranch_execz .LBB184_215
; %bb.210:                              ;   in Loop: Header=BB184_208 Depth=1
	v_bfrev_b32_e32 v16, 1
	v_mov_b32_e32 v17, 0
	v_cmp_ne_u16_sdwa s[16:17], v15, s28 src0_sel:BYTE_0 src1_sel:DWORD
	s_and_saveexec_b64 s[12:13], s[16:17]
	s_cbranch_execz .LBB184_214
; %bb.211:                              ;   in Loop: Header=BB184_208 Depth=1
	v_and_b32_e32 v0, 0x7f, v15
	v_mov_b32_e32 v16, 0x7f800001
	v_mov_b32_e32 v17, 0
	v_cmp_ne_u32_e32 vcc, s29, v0
	s_and_saveexec_b64 s[16:17], vcc
	s_cbranch_execz .LBB184_213
; %bb.212:                              ;   in Loop: Header=BB184_208 Depth=1
	v_and_b32_e32 v7, 7, v15
	v_ffbh_u32_e32 v11, v7
	v_min_u32_e32 v11, 32, v11
	v_subrev_u32_e32 v16, 28, v11
	v_lshlrev_b64 v[16:17], v16, v[15:16]
	v_lshrrev_b32_e32 v8, 3, v0
	v_sub_u32_e32 v11, 29, v11
	v_and_b32_e32 v16, 7, v16
	v_cmp_gt_u32_e32 vcc, 8, v0
	v_cndmask_b32_e32 v0, v8, v11, vcc
	v_cndmask_b32_e32 v7, v7, v16, vcc
	v_lshlrev_b32_e32 v7, 20, v7
	v_and_b32_sdwa v8, sext(v15), s30 dst_sel:DWORD dst_unused:UNUSED_PAD src0_sel:BYTE_0 src1_sel:DWORD
	v_lshl_add_u32 v0, v0, 23, v42
	v_or3_b32 v16, v8, v0, v7
	v_mov_b32_e32 v17, v5
.LBB184_213:                            ;   in Loop: Header=BB184_208 Depth=1
	s_or_b64 exec, exec, s[16:17]
.LBB184_214:                            ;   in Loop: Header=BB184_208 Depth=1
	s_or_b64 exec, exec, s[12:13]
.LBB184_215:                            ;   in Loop: Header=BB184_208 Depth=1
	s_or_b64 exec, exec, s[0:1]
	v_cmp_ne_u16_sdwa s[12:13], v15, v5 src0_sel:BYTE_1 src1_sel:DWORD
	s_and_saveexec_b64 s[0:1], s[12:13]
	s_cbranch_execz .LBB184_221
; %bb.216:                              ;   in Loop: Header=BB184_208 Depth=1
	v_mov_b32_e32 v19, v6
	v_cmp_ne_u16_sdwa s[16:17], v15, s28 src0_sel:BYTE_1 src1_sel:DWORD
	v_mov_b32_e32 v18, v5
	s_and_saveexec_b64 s[12:13], s[16:17]
	s_cbranch_execz .LBB184_220
; %bb.217:                              ;   in Loop: Header=BB184_208 Depth=1
	v_and_b32_sdwa v0, v15, s29 dst_sel:DWORD dst_unused:UNUSED_PAD src0_sel:BYTE_1 src1_sel:DWORD
	v_mov_b32_e32 v11, v5
	v_mov_b32_e32 v19, v12
	v_cmp_ne_u32_e32 vcc, s29, v0
	v_mov_b32_e32 v18, v11
	s_and_saveexec_b64 s[16:17], vcc
	s_cbranch_execz .LBB184_219
; %bb.218:                              ;   in Loop: Header=BB184_208 Depth=1
	v_and_b32_sdwa v18, v15, v26 dst_sel:DWORD dst_unused:UNUSED_PAD src0_sel:BYTE_1 src1_sel:DWORD
	v_ffbh_u32_e32 v8, v18
	v_min_u32_e32 v8, 32, v8
	v_mov_b32_e32 v19, v5
	v_subrev_u32_e32 v11, 28, v8
	v_lshlrev_b64 v[19:20], v11, v[18:19]
	v_lshrrev_b32_e32 v7, 3, v0
	v_sub_u32_e32 v8, 29, v8
	v_cmp_gt_u32_e32 vcc, 8, v0
	v_and_b32_e32 v11, 7, v19
	v_cndmask_b32_e32 v0, v7, v8, vcc
	v_cndmask_b32_e32 v7, v18, v11, vcc
	v_lshlrev_b32_e32 v8, 16, v15
	v_lshl_add_u32 v0, v0, 23, v42
	v_and_or_b32 v0, v8, s30, v0
	v_lshlrev_b32_e32 v7, 20, v7
	v_or_b32_e32 v19, v0, v7
	v_mov_b32_e32 v18, v5
.LBB184_219:                            ;   in Loop: Header=BB184_208 Depth=1
	s_or_b64 exec, exec, s[16:17]
.LBB184_220:                            ;   in Loop: Header=BB184_208 Depth=1
	s_or_b64 exec, exec, s[12:13]
.LBB184_221:                            ;   in Loop: Header=BB184_208 Depth=1
	s_or_b64 exec, exec, s[0:1]
	v_lshrrev_b32_e32 v11, 16, v15
	v_mov_b32_e32 v22, 0
	v_mov_b32_e32 v20, 0
	;; [unrolled: 1-line block ×4, first 2 shown]
	v_cmp_ne_u16_sdwa s[12:13], v11, v5 src0_sel:BYTE_0 src1_sel:DWORD
	s_and_saveexec_b64 s[0:1], s[12:13]
	s_cbranch_execz .LBB184_227
; %bb.222:                              ;   in Loop: Header=BB184_208 Depth=1
	v_bfrev_b32_e32 v20, 1
	v_mov_b32_e32 v21, 0
	v_cmp_ne_u16_sdwa s[16:17], v11, s28 src0_sel:BYTE_0 src1_sel:DWORD
	s_and_saveexec_b64 s[12:13], s[16:17]
	s_cbranch_execz .LBB184_226
; %bb.223:                              ;   in Loop: Header=BB184_208 Depth=1
	v_bfe_u32 v0, v15, 16, 7
	v_mov_b32_e32 v20, 0x7f800001
	v_mov_b32_e32 v21, 0
	v_cmp_ne_u32_e32 vcc, s29, v0
	s_and_saveexec_b64 s[16:17], vcc
	s_cbranch_execz .LBB184_225
; %bb.224:                              ;   in Loop: Header=BB184_208 Depth=1
	v_and_b32_e32 v7, 7, v11
	v_ffbh_u32_e32 v20, v7
	v_min_u32_e32 v24, 32, v20
	v_subrev_u32_e32 v20, 28, v24
	v_lshlrev_b64 v[20:21], v20, v[11:12]
	v_lshrrev_b32_e32 v8, 3, v0
	v_sub_u32_e32 v21, 29, v24
	v_and_b32_e32 v20, 7, v20
	v_cmp_gt_u32_e32 vcc, 8, v0
	v_cndmask_b32_e32 v0, v8, v21, vcc
	v_cndmask_b32_e32 v7, v7, v20, vcc
	v_lshlrev_b32_e32 v7, 20, v7
	v_and_b32_sdwa v8, sext(v11), s30 dst_sel:DWORD dst_unused:UNUSED_PAD src0_sel:BYTE_0 src1_sel:DWORD
	v_lshl_add_u32 v0, v0, 23, v42
	v_or3_b32 v20, v8, v0, v7
	v_mov_b32_e32 v21, v5
.LBB184_225:                            ;   in Loop: Header=BB184_208 Depth=1
	s_or_b64 exec, exec, s[16:17]
.LBB184_226:                            ;   in Loop: Header=BB184_208 Depth=1
	s_or_b64 exec, exec, s[12:13]
.LBB184_227:                            ;   in Loop: Header=BB184_208 Depth=1
	s_or_b64 exec, exec, s[0:1]
	v_cmp_lt_u32_e32 vcc, s31, v15
	s_and_saveexec_b64 s[0:1], vcc
	s_cbranch_execz .LBB184_233
; %bb.228:                              ;   in Loop: Header=BB184_208 Depth=1
	v_mov_b32_e32 v23, v6
	v_cmp_ne_u32_sdwa s[16:17], v15, s28 src0_sel:BYTE_3 src1_sel:DWORD
	v_mov_b32_e32 v22, v5
	s_and_saveexec_b64 s[12:13], s[16:17]
	s_cbranch_execz .LBB184_232
; %bb.229:                              ;   in Loop: Header=BB184_208 Depth=1
	v_bfe_u32 v0, v15, 24, 7
	v_mov_b32_e32 v11, v5
	v_mov_b32_e32 v23, v12
	v_cmp_ne_u32_e32 vcc, s29, v0
	v_mov_b32_e32 v22, v11
	s_and_saveexec_b64 s[16:17], vcc
	s_cbranch_execz .LBB184_231
; %bb.230:                              ;   in Loop: Header=BB184_208 Depth=1
	v_and_b32_sdwa v22, v15, v26 dst_sel:DWORD dst_unused:UNUSED_PAD src0_sel:BYTE_3 src1_sel:DWORD
	v_ffbh_u32_e32 v8, v22
	v_min_u32_e32 v8, 32, v8
	v_mov_b32_e32 v23, v5
	v_subrev_u32_e32 v11, 28, v8
	v_lshlrev_b64 v[23:24], v11, v[22:23]
	v_lshrrev_b32_e32 v7, 3, v0
	v_sub_u32_e32 v8, 29, v8
	v_cmp_gt_u32_e32 vcc, 8, v0
	v_and_b32_e32 v11, 7, v23
	v_cndmask_b32_e32 v0, v7, v8, vcc
	v_mov_b32_e32 v8, 24
	v_cndmask_b32_e32 v7, v22, v11, vcc
	v_lshlrev_b32_sdwa v8, v8, v15 dst_sel:DWORD dst_unused:UNUSED_PAD src0_sel:DWORD src1_sel:BYTE_3
	v_lshl_add_u32 v0, v0, 23, v42
	v_and_or_b32 v0, v8, s30, v0
	v_lshlrev_b32_e32 v7, 20, v7
	v_or_b32_e32 v23, v0, v7
	v_mov_b32_e32 v22, v5
.LBB184_231:                            ;   in Loop: Header=BB184_208 Depth=1
	s_or_b64 exec, exec, s[16:17]
.LBB184_232:                            ;   in Loop: Header=BB184_208 Depth=1
	s_or_b64 exec, exec, s[12:13]
.LBB184_233:                            ;   in Loop: Header=BB184_208 Depth=1
	s_or_b64 exec, exec, s[0:1]
	v_or_b32_e32 v0, v19, v17
	v_or_b32_e32 v7, v18, v16
	v_add_u32_e32 v49, v31, v40
	s_waitcnt lgkmcnt(0)
	v_mul_f32_e32 v45, s37, v0
	v_mul_f32_e32 v48, s37, v7
	v_or_b32_e32 v0, v23, v21
	v_or_b32_e32 v7, v22, v20
	v_cmp_eq_u32_e32 vcc, s35, v39
	v_mul_f32_e32 v47, s37, v7
	v_mul_f32_e32 v46, s37, v0
	v_add_u32_e32 v52, 1, v49
	v_add_u32_e32 v51, 2, v49
	;; [unrolled: 1-line block ×3, first 2 shown]
	s_and_saveexec_b64 s[12:13], vcc
; %bb.234:                              ;   in Loop: Header=BB184_208 Depth=1
	v_cmp_gt_i32_e64 s[0:1], s33, v49
	v_cndmask_b32_e64 v48, 0, v48, s[0:1]
	v_cmp_gt_i32_e64 s[0:1], s33, v52
	v_cndmask_b32_e64 v45, 0, v45, s[0:1]
	;; [unrolled: 2-line block ×4, first 2 shown]
; %bb.235:                              ;   in Loop: Header=BB184_208 Depth=1
	s_or_b64 exec, exec, s[12:13]
	global_load_dword v15, v[13:14], off offset:256
	v_mov_b32_e32 v18, 0
	v_mov_b32_e32 v16, 0
	;; [unrolled: 1-line block ×4, first 2 shown]
	s_waitcnt vmcnt(0)
	v_cmp_ne_u16_sdwa s[0:1], v15, v5 src0_sel:BYTE_0 src1_sel:DWORD
	s_and_saveexec_b64 s[12:13], s[0:1]
	s_cbranch_execz .LBB184_241
; %bb.236:                              ;   in Loop: Header=BB184_208 Depth=1
	v_bfrev_b32_e32 v16, 1
	v_mov_b32_e32 v17, 0
	v_cmp_ne_u16_sdwa s[0:1], v15, s28 src0_sel:BYTE_0 src1_sel:DWORD
	s_and_saveexec_b64 s[16:17], s[0:1]
	s_cbranch_execz .LBB184_240
; %bb.237:                              ;   in Loop: Header=BB184_208 Depth=1
	v_and_b32_e32 v0, 0x7f, v15
	v_mov_b32_e32 v16, 0x7f800001
	v_mov_b32_e32 v17, 0
	v_cmp_ne_u32_e64 s[0:1], s29, v0
	s_and_saveexec_b64 s[18:19], s[0:1]
	s_cbranch_execz .LBB184_239
; %bb.238:                              ;   in Loop: Header=BB184_208 Depth=1
	v_and_b32_e32 v7, 7, v15
	v_ffbh_u32_e32 v11, v7
	v_min_u32_e32 v11, 32, v11
	v_subrev_u32_e32 v16, 28, v11
	v_lshlrev_b64 v[16:17], v16, v[15:16]
	v_lshrrev_b32_e32 v8, 3, v0
	v_sub_u32_e32 v11, 29, v11
	v_and_b32_e32 v16, 7, v16
	v_cmp_gt_u32_e64 s[0:1], 8, v0
	v_cndmask_b32_e64 v0, v8, v11, s[0:1]
	v_cndmask_b32_e64 v7, v7, v16, s[0:1]
	v_lshlrev_b32_e32 v7, 20, v7
	v_and_b32_sdwa v8, sext(v15), s30 dst_sel:DWORD dst_unused:UNUSED_PAD src0_sel:BYTE_0 src1_sel:DWORD
	v_lshl_add_u32 v0, v0, 23, v42
	v_or3_b32 v16, v8, v0, v7
	v_mov_b32_e32 v17, v5
.LBB184_239:                            ;   in Loop: Header=BB184_208 Depth=1
	s_or_b64 exec, exec, s[18:19]
.LBB184_240:                            ;   in Loop: Header=BB184_208 Depth=1
	s_or_b64 exec, exec, s[16:17]
.LBB184_241:                            ;   in Loop: Header=BB184_208 Depth=1
	s_or_b64 exec, exec, s[12:13]
	v_cmp_ne_u16_sdwa s[0:1], v15, v5 src0_sel:BYTE_1 src1_sel:DWORD
	s_and_saveexec_b64 s[12:13], s[0:1]
	s_cbranch_execz .LBB184_247
; %bb.242:                              ;   in Loop: Header=BB184_208 Depth=1
	v_mov_b32_e32 v19, v6
	v_cmp_ne_u16_sdwa s[0:1], v15, s28 src0_sel:BYTE_1 src1_sel:DWORD
	v_mov_b32_e32 v18, v5
	s_and_saveexec_b64 s[16:17], s[0:1]
	s_cbranch_execz .LBB184_246
; %bb.243:                              ;   in Loop: Header=BB184_208 Depth=1
	v_and_b32_sdwa v0, v15, s29 dst_sel:DWORD dst_unused:UNUSED_PAD src0_sel:BYTE_1 src1_sel:DWORD
	v_mov_b32_e32 v11, v5
	v_mov_b32_e32 v19, v12
	v_cmp_ne_u32_e64 s[0:1], s29, v0
	v_mov_b32_e32 v18, v11
	s_and_saveexec_b64 s[18:19], s[0:1]
	s_cbranch_execz .LBB184_245
; %bb.244:                              ;   in Loop: Header=BB184_208 Depth=1
	v_and_b32_sdwa v18, v15, v26 dst_sel:DWORD dst_unused:UNUSED_PAD src0_sel:BYTE_1 src1_sel:DWORD
	v_ffbh_u32_e32 v8, v18
	v_min_u32_e32 v8, 32, v8
	v_mov_b32_e32 v19, v5
	v_subrev_u32_e32 v11, 28, v8
	v_lshlrev_b64 v[19:20], v11, v[18:19]
	v_lshrrev_b32_e32 v7, 3, v0
	v_sub_u32_e32 v8, 29, v8
	v_cmp_gt_u32_e64 s[0:1], 8, v0
	v_and_b32_e32 v11, 7, v19
	v_cndmask_b32_e64 v0, v7, v8, s[0:1]
	v_cndmask_b32_e64 v7, v18, v11, s[0:1]
	v_lshlrev_b32_e32 v8, 16, v15
	v_lshl_add_u32 v0, v0, 23, v42
	v_and_or_b32 v0, v8, s30, v0
	v_lshlrev_b32_e32 v7, 20, v7
	v_or_b32_e32 v19, v0, v7
	v_mov_b32_e32 v18, v5
.LBB184_245:                            ;   in Loop: Header=BB184_208 Depth=1
	s_or_b64 exec, exec, s[18:19]
.LBB184_246:                            ;   in Loop: Header=BB184_208 Depth=1
	s_or_b64 exec, exec, s[16:17]
.LBB184_247:                            ;   in Loop: Header=BB184_208 Depth=1
	s_or_b64 exec, exec, s[12:13]
	v_lshrrev_b32_e32 v11, 16, v15
	v_mov_b32_e32 v22, 0
	v_mov_b32_e32 v20, 0
	;; [unrolled: 1-line block ×4, first 2 shown]
	v_cmp_ne_u16_sdwa s[0:1], v11, v5 src0_sel:BYTE_0 src1_sel:DWORD
	s_and_saveexec_b64 s[12:13], s[0:1]
	s_cbranch_execz .LBB184_253
; %bb.248:                              ;   in Loop: Header=BB184_208 Depth=1
	v_bfrev_b32_e32 v20, 1
	v_mov_b32_e32 v21, 0
	v_cmp_ne_u16_sdwa s[0:1], v11, s28 src0_sel:BYTE_0 src1_sel:DWORD
	s_and_saveexec_b64 s[16:17], s[0:1]
	s_cbranch_execz .LBB184_252
; %bb.249:                              ;   in Loop: Header=BB184_208 Depth=1
	v_bfe_u32 v0, v15, 16, 7
	v_mov_b32_e32 v20, 0x7f800001
	v_mov_b32_e32 v21, 0
	v_cmp_ne_u32_e64 s[0:1], s29, v0
	s_and_saveexec_b64 s[18:19], s[0:1]
	s_cbranch_execz .LBB184_251
; %bb.250:                              ;   in Loop: Header=BB184_208 Depth=1
	v_and_b32_e32 v7, 7, v11
	v_ffbh_u32_e32 v20, v7
	v_min_u32_e32 v24, 32, v20
	v_subrev_u32_e32 v20, 28, v24
	v_lshlrev_b64 v[20:21], v20, v[11:12]
	v_lshrrev_b32_e32 v8, 3, v0
	v_sub_u32_e32 v21, 29, v24
	v_and_b32_e32 v20, 7, v20
	v_cmp_gt_u32_e64 s[0:1], 8, v0
	v_cndmask_b32_e64 v0, v8, v21, s[0:1]
	v_cndmask_b32_e64 v7, v7, v20, s[0:1]
	v_lshlrev_b32_e32 v7, 20, v7
	v_and_b32_sdwa v8, sext(v11), s30 dst_sel:DWORD dst_unused:UNUSED_PAD src0_sel:BYTE_0 src1_sel:DWORD
	v_lshl_add_u32 v0, v0, 23, v42
	v_or3_b32 v20, v8, v0, v7
	v_mov_b32_e32 v21, v5
.LBB184_251:                            ;   in Loop: Header=BB184_208 Depth=1
	s_or_b64 exec, exec, s[18:19]
.LBB184_252:                            ;   in Loop: Header=BB184_208 Depth=1
	s_or_b64 exec, exec, s[16:17]
.LBB184_253:                            ;   in Loop: Header=BB184_208 Depth=1
	s_or_b64 exec, exec, s[12:13]
	v_cmp_lt_u32_e64 s[0:1], s31, v15
	s_and_saveexec_b64 s[12:13], s[0:1]
	s_cbranch_execz .LBB184_259
; %bb.254:                              ;   in Loop: Header=BB184_208 Depth=1
	v_mov_b32_e32 v23, v6
	v_cmp_ne_u32_sdwa s[0:1], v15, s28 src0_sel:BYTE_3 src1_sel:DWORD
	v_mov_b32_e32 v22, v5
	s_and_saveexec_b64 s[16:17], s[0:1]
	s_cbranch_execz .LBB184_258
; %bb.255:                              ;   in Loop: Header=BB184_208 Depth=1
	v_bfe_u32 v0, v15, 24, 7
	v_mov_b32_e32 v11, v5
	v_mov_b32_e32 v23, v12
	v_cmp_ne_u32_e64 s[0:1], s29, v0
	v_mov_b32_e32 v22, v11
	s_and_saveexec_b64 s[18:19], s[0:1]
	s_cbranch_execz .LBB184_257
; %bb.256:                              ;   in Loop: Header=BB184_208 Depth=1
	v_and_b32_sdwa v22, v15, v26 dst_sel:DWORD dst_unused:UNUSED_PAD src0_sel:BYTE_3 src1_sel:DWORD
	v_ffbh_u32_e32 v8, v22
	v_min_u32_e32 v8, 32, v8
	v_mov_b32_e32 v23, v5
	v_subrev_u32_e32 v11, 28, v8
	v_lshlrev_b64 v[23:24], v11, v[22:23]
	v_lshrrev_b32_e32 v7, 3, v0
	v_sub_u32_e32 v8, 29, v8
	v_cmp_gt_u32_e64 s[0:1], 8, v0
	v_and_b32_e32 v11, 7, v23
	v_cndmask_b32_e64 v0, v7, v8, s[0:1]
	v_mov_b32_e32 v8, 24
	v_cndmask_b32_e64 v7, v22, v11, s[0:1]
	v_lshlrev_b32_sdwa v8, v8, v15 dst_sel:DWORD dst_unused:UNUSED_PAD src0_sel:DWORD src1_sel:BYTE_3
	v_lshl_add_u32 v0, v0, 23, v42
	v_and_or_b32 v0, v8, s30, v0
	v_lshlrev_b32_e32 v7, 20, v7
	v_or_b32_e32 v23, v0, v7
	v_mov_b32_e32 v22, v5
.LBB184_257:                            ;   in Loop: Header=BB184_208 Depth=1
	s_or_b64 exec, exec, s[18:19]
.LBB184_258:                            ;   in Loop: Header=BB184_208 Depth=1
	s_or_b64 exec, exec, s[16:17]
.LBB184_259:                            ;   in Loop: Header=BB184_208 Depth=1
	s_or_b64 exec, exec, s[12:13]
	s_mov_b32 s38, s37
	v_or_b32_e32 v0, v19, v17
	v_or_b32_e32 v7, v18, v16
	v_mul_f32_e32 v53, s38, v0
	v_mul_f32_e32 v56, s37, v7
	v_or_b32_e32 v0, v23, v21
	v_or_b32_e32 v7, v22, v20
	v_mul_f32_e32 v55, s37, v7
	v_mul_f32_e32 v54, s38, v0
	s_and_saveexec_b64 s[12:13], vcc
; %bb.260:                              ;   in Loop: Header=BB184_208 Depth=1
	v_cmp_gt_i32_e64 s[0:1], s33, v49
	v_cndmask_b32_e64 v56, 0, v56, s[0:1]
	v_cmp_gt_i32_e64 s[0:1], s33, v52
	v_cndmask_b32_e64 v53, 0, v53, s[0:1]
	;; [unrolled: 2-line block ×4, first 2 shown]
; %bb.261:                              ;   in Loop: Header=BB184_208 Depth=1
	s_or_b64 exec, exec, s[12:13]
	global_load_dword v15, v[13:14], off offset:512
	v_mov_b32_e32 v18, 0
	v_mov_b32_e32 v16, 0
	;; [unrolled: 1-line block ×4, first 2 shown]
	s_waitcnt vmcnt(0)
	v_cmp_ne_u16_sdwa s[0:1], v15, v5 src0_sel:BYTE_0 src1_sel:DWORD
	s_and_saveexec_b64 s[12:13], s[0:1]
	s_cbranch_execz .LBB184_267
; %bb.262:                              ;   in Loop: Header=BB184_208 Depth=1
	v_bfrev_b32_e32 v16, 1
	v_mov_b32_e32 v17, 0
	v_cmp_ne_u16_sdwa s[0:1], v15, s28 src0_sel:BYTE_0 src1_sel:DWORD
	s_and_saveexec_b64 s[16:17], s[0:1]
	s_cbranch_execz .LBB184_266
; %bb.263:                              ;   in Loop: Header=BB184_208 Depth=1
	v_and_b32_e32 v0, 0x7f, v15
	v_mov_b32_e32 v16, 0x7f800001
	v_mov_b32_e32 v17, 0
	v_cmp_ne_u32_e64 s[0:1], s29, v0
	s_and_saveexec_b64 s[18:19], s[0:1]
	s_cbranch_execz .LBB184_265
; %bb.264:                              ;   in Loop: Header=BB184_208 Depth=1
	v_and_b32_e32 v7, 7, v15
	v_ffbh_u32_e32 v11, v7
	v_min_u32_e32 v11, 32, v11
	v_subrev_u32_e32 v16, 28, v11
	v_lshlrev_b64 v[16:17], v16, v[15:16]
	v_lshrrev_b32_e32 v8, 3, v0
	v_sub_u32_e32 v11, 29, v11
	v_and_b32_e32 v16, 7, v16
	v_cmp_gt_u32_e64 s[0:1], 8, v0
	v_cndmask_b32_e64 v0, v8, v11, s[0:1]
	v_cndmask_b32_e64 v7, v7, v16, s[0:1]
	v_lshlrev_b32_e32 v7, 20, v7
	v_and_b32_sdwa v8, sext(v15), s30 dst_sel:DWORD dst_unused:UNUSED_PAD src0_sel:BYTE_0 src1_sel:DWORD
	v_lshl_add_u32 v0, v0, 23, v42
	v_or3_b32 v16, v8, v0, v7
	v_mov_b32_e32 v17, v5
.LBB184_265:                            ;   in Loop: Header=BB184_208 Depth=1
	s_or_b64 exec, exec, s[18:19]
.LBB184_266:                            ;   in Loop: Header=BB184_208 Depth=1
	s_or_b64 exec, exec, s[16:17]
.LBB184_267:                            ;   in Loop: Header=BB184_208 Depth=1
	s_or_b64 exec, exec, s[12:13]
	v_cmp_ne_u16_sdwa s[0:1], v15, v5 src0_sel:BYTE_1 src1_sel:DWORD
	s_and_saveexec_b64 s[12:13], s[0:1]
	s_cbranch_execz .LBB184_273
; %bb.268:                              ;   in Loop: Header=BB184_208 Depth=1
	v_mov_b32_e32 v19, v6
	v_cmp_ne_u16_sdwa s[0:1], v15, s28 src0_sel:BYTE_1 src1_sel:DWORD
	v_mov_b32_e32 v18, v5
	s_and_saveexec_b64 s[16:17], s[0:1]
	s_cbranch_execz .LBB184_272
; %bb.269:                              ;   in Loop: Header=BB184_208 Depth=1
	v_and_b32_sdwa v0, v15, s29 dst_sel:DWORD dst_unused:UNUSED_PAD src0_sel:BYTE_1 src1_sel:DWORD
	v_mov_b32_e32 v11, v5
	v_mov_b32_e32 v19, v12
	v_cmp_ne_u32_e64 s[0:1], s29, v0
	v_mov_b32_e32 v18, v11
	s_and_saveexec_b64 s[18:19], s[0:1]
	s_cbranch_execz .LBB184_271
; %bb.270:                              ;   in Loop: Header=BB184_208 Depth=1
	v_and_b32_sdwa v18, v15, v26 dst_sel:DWORD dst_unused:UNUSED_PAD src0_sel:BYTE_1 src1_sel:DWORD
	v_ffbh_u32_e32 v8, v18
	v_min_u32_e32 v8, 32, v8
	v_mov_b32_e32 v19, v5
	v_subrev_u32_e32 v11, 28, v8
	v_lshlrev_b64 v[19:20], v11, v[18:19]
	v_lshrrev_b32_e32 v7, 3, v0
	v_sub_u32_e32 v8, 29, v8
	v_cmp_gt_u32_e64 s[0:1], 8, v0
	v_and_b32_e32 v11, 7, v19
	v_cndmask_b32_e64 v0, v7, v8, s[0:1]
	v_cndmask_b32_e64 v7, v18, v11, s[0:1]
	v_lshlrev_b32_e32 v8, 16, v15
	v_lshl_add_u32 v0, v0, 23, v42
	v_and_or_b32 v0, v8, s30, v0
	v_lshlrev_b32_e32 v7, 20, v7
	v_or_b32_e32 v19, v0, v7
	v_mov_b32_e32 v18, v5
.LBB184_271:                            ;   in Loop: Header=BB184_208 Depth=1
	s_or_b64 exec, exec, s[18:19]
.LBB184_272:                            ;   in Loop: Header=BB184_208 Depth=1
	s_or_b64 exec, exec, s[16:17]
.LBB184_273:                            ;   in Loop: Header=BB184_208 Depth=1
	s_or_b64 exec, exec, s[12:13]
	v_lshrrev_b32_e32 v11, 16, v15
	v_mov_b32_e32 v22, 0
	v_mov_b32_e32 v20, 0
	;; [unrolled: 1-line block ×4, first 2 shown]
	v_cmp_ne_u16_sdwa s[0:1], v11, v5 src0_sel:BYTE_0 src1_sel:DWORD
	s_and_saveexec_b64 s[12:13], s[0:1]
	s_cbranch_execz .LBB184_279
; %bb.274:                              ;   in Loop: Header=BB184_208 Depth=1
	v_bfrev_b32_e32 v20, 1
	v_mov_b32_e32 v21, 0
	v_cmp_ne_u16_sdwa s[0:1], v11, s28 src0_sel:BYTE_0 src1_sel:DWORD
	s_and_saveexec_b64 s[16:17], s[0:1]
	s_cbranch_execz .LBB184_278
; %bb.275:                              ;   in Loop: Header=BB184_208 Depth=1
	v_bfe_u32 v0, v15, 16, 7
	v_mov_b32_e32 v20, 0x7f800001
	v_mov_b32_e32 v21, 0
	v_cmp_ne_u32_e64 s[0:1], s29, v0
	s_and_saveexec_b64 s[18:19], s[0:1]
	s_cbranch_execz .LBB184_277
; %bb.276:                              ;   in Loop: Header=BB184_208 Depth=1
	v_and_b32_e32 v7, 7, v11
	v_ffbh_u32_e32 v20, v7
	v_min_u32_e32 v24, 32, v20
	v_subrev_u32_e32 v20, 28, v24
	v_lshlrev_b64 v[20:21], v20, v[11:12]
	v_lshrrev_b32_e32 v8, 3, v0
	v_sub_u32_e32 v21, 29, v24
	v_and_b32_e32 v20, 7, v20
	v_cmp_gt_u32_e64 s[0:1], 8, v0
	v_cndmask_b32_e64 v0, v8, v21, s[0:1]
	v_cndmask_b32_e64 v7, v7, v20, s[0:1]
	v_lshlrev_b32_e32 v7, 20, v7
	v_and_b32_sdwa v8, sext(v11), s30 dst_sel:DWORD dst_unused:UNUSED_PAD src0_sel:BYTE_0 src1_sel:DWORD
	v_lshl_add_u32 v0, v0, 23, v42
	v_or3_b32 v20, v8, v0, v7
	v_mov_b32_e32 v21, v5
.LBB184_277:                            ;   in Loop: Header=BB184_208 Depth=1
	s_or_b64 exec, exec, s[18:19]
.LBB184_278:                            ;   in Loop: Header=BB184_208 Depth=1
	s_or_b64 exec, exec, s[16:17]
.LBB184_279:                            ;   in Loop: Header=BB184_208 Depth=1
	s_or_b64 exec, exec, s[12:13]
	v_cmp_lt_u32_e64 s[0:1], s31, v15
	s_and_saveexec_b64 s[12:13], s[0:1]
	s_cbranch_execz .LBB184_285
; %bb.280:                              ;   in Loop: Header=BB184_208 Depth=1
	v_mov_b32_e32 v23, v6
	v_cmp_ne_u32_sdwa s[0:1], v15, s28 src0_sel:BYTE_3 src1_sel:DWORD
	v_mov_b32_e32 v22, v5
	s_and_saveexec_b64 s[16:17], s[0:1]
	s_cbranch_execz .LBB184_284
; %bb.281:                              ;   in Loop: Header=BB184_208 Depth=1
	v_bfe_u32 v0, v15, 24, 7
	v_mov_b32_e32 v11, v5
	v_mov_b32_e32 v23, v12
	v_cmp_ne_u32_e64 s[0:1], s29, v0
	v_mov_b32_e32 v22, v11
	s_and_saveexec_b64 s[18:19], s[0:1]
	s_cbranch_execz .LBB184_283
; %bb.282:                              ;   in Loop: Header=BB184_208 Depth=1
	v_and_b32_sdwa v22, v15, v26 dst_sel:DWORD dst_unused:UNUSED_PAD src0_sel:BYTE_3 src1_sel:DWORD
	v_ffbh_u32_e32 v8, v22
	v_min_u32_e32 v8, 32, v8
	v_mov_b32_e32 v23, v5
	v_subrev_u32_e32 v11, 28, v8
	v_lshlrev_b64 v[23:24], v11, v[22:23]
	v_lshrrev_b32_e32 v7, 3, v0
	v_sub_u32_e32 v8, 29, v8
	v_cmp_gt_u32_e64 s[0:1], 8, v0
	v_and_b32_e32 v11, 7, v23
	v_cndmask_b32_e64 v0, v7, v8, s[0:1]
	v_mov_b32_e32 v8, 24
	v_cndmask_b32_e64 v7, v22, v11, s[0:1]
	v_lshlrev_b32_sdwa v8, v8, v15 dst_sel:DWORD dst_unused:UNUSED_PAD src0_sel:DWORD src1_sel:BYTE_3
	v_lshl_add_u32 v0, v0, 23, v42
	v_and_or_b32 v0, v8, s30, v0
	v_lshlrev_b32_e32 v7, 20, v7
	v_or_b32_e32 v23, v0, v7
	v_mov_b32_e32 v22, v5
.LBB184_283:                            ;   in Loop: Header=BB184_208 Depth=1
	s_or_b64 exec, exec, s[18:19]
.LBB184_284:                            ;   in Loop: Header=BB184_208 Depth=1
	s_or_b64 exec, exec, s[16:17]
.LBB184_285:                            ;   in Loop: Header=BB184_208 Depth=1
	s_or_b64 exec, exec, s[12:13]
	v_or_b32_e32 v0, v19, v17
	v_or_b32_e32 v7, v18, v16
	v_mul_f32_e32 v57, s38, v0
	v_mul_f32_e32 v60, s37, v7
	v_or_b32_e32 v0, v23, v21
	v_or_b32_e32 v7, v22, v20
	v_mul_f32_e32 v59, s37, v7
	v_mul_f32_e32 v58, s38, v0
	s_and_saveexec_b64 s[12:13], vcc
; %bb.286:                              ;   in Loop: Header=BB184_208 Depth=1
	v_cmp_gt_i32_e64 s[0:1], s33, v49
	v_cndmask_b32_e64 v60, 0, v60, s[0:1]
	v_cmp_gt_i32_e64 s[0:1], s33, v52
	v_cndmask_b32_e64 v57, 0, v57, s[0:1]
	;; [unrolled: 2-line block ×4, first 2 shown]
; %bb.287:                              ;   in Loop: Header=BB184_208 Depth=1
	s_or_b64 exec, exec, s[12:13]
	global_load_dword v15, v[13:14], off offset:768
	v_mov_b32_e32 v18, 0
	v_mov_b32_e32 v16, 0
	;; [unrolled: 1-line block ×4, first 2 shown]
	s_waitcnt vmcnt(0)
	v_cmp_ne_u16_sdwa s[0:1], v15, v5 src0_sel:BYTE_0 src1_sel:DWORD
	s_and_saveexec_b64 s[12:13], s[0:1]
	s_cbranch_execz .LBB184_293
; %bb.288:                              ;   in Loop: Header=BB184_208 Depth=1
	v_bfrev_b32_e32 v16, 1
	v_mov_b32_e32 v17, 0
	v_cmp_ne_u16_sdwa s[0:1], v15, s28 src0_sel:BYTE_0 src1_sel:DWORD
	s_and_saveexec_b64 s[16:17], s[0:1]
	s_cbranch_execz .LBB184_292
; %bb.289:                              ;   in Loop: Header=BB184_208 Depth=1
	v_and_b32_e32 v0, 0x7f, v15
	v_mov_b32_e32 v16, 0x7f800001
	v_mov_b32_e32 v17, 0
	v_cmp_ne_u32_e64 s[0:1], s29, v0
	s_and_saveexec_b64 s[18:19], s[0:1]
	s_cbranch_execz .LBB184_291
; %bb.290:                              ;   in Loop: Header=BB184_208 Depth=1
	v_and_b32_e32 v7, 7, v15
	v_ffbh_u32_e32 v11, v7
	v_min_u32_e32 v11, 32, v11
	v_subrev_u32_e32 v16, 28, v11
	v_lshlrev_b64 v[16:17], v16, v[15:16]
	v_lshrrev_b32_e32 v8, 3, v0
	v_sub_u32_e32 v11, 29, v11
	v_and_b32_e32 v16, 7, v16
	v_cmp_gt_u32_e64 s[0:1], 8, v0
	v_cndmask_b32_e64 v0, v8, v11, s[0:1]
	v_cndmask_b32_e64 v7, v7, v16, s[0:1]
	v_lshlrev_b32_e32 v7, 20, v7
	v_and_b32_sdwa v8, sext(v15), s30 dst_sel:DWORD dst_unused:UNUSED_PAD src0_sel:BYTE_0 src1_sel:DWORD
	v_lshl_add_u32 v0, v0, 23, v42
	v_or3_b32 v16, v8, v0, v7
	v_mov_b32_e32 v17, v5
.LBB184_291:                            ;   in Loop: Header=BB184_208 Depth=1
	s_or_b64 exec, exec, s[18:19]
.LBB184_292:                            ;   in Loop: Header=BB184_208 Depth=1
	s_or_b64 exec, exec, s[16:17]
.LBB184_293:                            ;   in Loop: Header=BB184_208 Depth=1
	s_or_b64 exec, exec, s[12:13]
	v_cmp_ne_u16_sdwa s[0:1], v15, v5 src0_sel:BYTE_1 src1_sel:DWORD
	s_and_saveexec_b64 s[12:13], s[0:1]
	s_cbranch_execz .LBB184_299
; %bb.294:                              ;   in Loop: Header=BB184_208 Depth=1
	v_mov_b32_e32 v19, v6
	v_cmp_ne_u16_sdwa s[0:1], v15, s28 src0_sel:BYTE_1 src1_sel:DWORD
	v_mov_b32_e32 v18, v5
	s_and_saveexec_b64 s[16:17], s[0:1]
	s_cbranch_execz .LBB184_298
; %bb.295:                              ;   in Loop: Header=BB184_208 Depth=1
	v_and_b32_sdwa v0, v15, s29 dst_sel:DWORD dst_unused:UNUSED_PAD src0_sel:BYTE_1 src1_sel:DWORD
	v_mov_b32_e32 v11, v5
	v_mov_b32_e32 v19, v12
	v_cmp_ne_u32_e64 s[0:1], s29, v0
	v_mov_b32_e32 v18, v11
	s_and_saveexec_b64 s[18:19], s[0:1]
	s_cbranch_execz .LBB184_297
; %bb.296:                              ;   in Loop: Header=BB184_208 Depth=1
	v_and_b32_sdwa v18, v15, v26 dst_sel:DWORD dst_unused:UNUSED_PAD src0_sel:BYTE_1 src1_sel:DWORD
	v_ffbh_u32_e32 v8, v18
	v_min_u32_e32 v8, 32, v8
	v_mov_b32_e32 v19, v5
	v_subrev_u32_e32 v11, 28, v8
	v_lshlrev_b64 v[19:20], v11, v[18:19]
	v_lshrrev_b32_e32 v7, 3, v0
	v_sub_u32_e32 v8, 29, v8
	v_cmp_gt_u32_e64 s[0:1], 8, v0
	v_and_b32_e32 v11, 7, v19
	v_cndmask_b32_e64 v0, v7, v8, s[0:1]
	v_cndmask_b32_e64 v7, v18, v11, s[0:1]
	v_lshlrev_b32_e32 v8, 16, v15
	v_lshl_add_u32 v0, v0, 23, v42
	v_and_or_b32 v0, v8, s30, v0
	v_lshlrev_b32_e32 v7, 20, v7
	v_or_b32_e32 v19, v0, v7
	v_mov_b32_e32 v18, v5
.LBB184_297:                            ;   in Loop: Header=BB184_208 Depth=1
	s_or_b64 exec, exec, s[18:19]
.LBB184_298:                            ;   in Loop: Header=BB184_208 Depth=1
	s_or_b64 exec, exec, s[16:17]
.LBB184_299:                            ;   in Loop: Header=BB184_208 Depth=1
	s_or_b64 exec, exec, s[12:13]
	v_lshrrev_b32_e32 v11, 16, v15
	v_mov_b32_e32 v22, 0
	v_mov_b32_e32 v20, 0
	;; [unrolled: 1-line block ×4, first 2 shown]
	v_cmp_ne_u16_sdwa s[0:1], v11, v5 src0_sel:BYTE_0 src1_sel:DWORD
	s_and_saveexec_b64 s[12:13], s[0:1]
	s_cbranch_execz .LBB184_305
; %bb.300:                              ;   in Loop: Header=BB184_208 Depth=1
	v_bfrev_b32_e32 v20, 1
	v_mov_b32_e32 v21, 0
	v_cmp_ne_u16_sdwa s[0:1], v11, s28 src0_sel:BYTE_0 src1_sel:DWORD
	s_and_saveexec_b64 s[16:17], s[0:1]
	s_cbranch_execz .LBB184_304
; %bb.301:                              ;   in Loop: Header=BB184_208 Depth=1
	v_bfe_u32 v0, v15, 16, 7
	v_mov_b32_e32 v20, 0x7f800001
	v_mov_b32_e32 v21, 0
	v_cmp_ne_u32_e64 s[0:1], s29, v0
	s_and_saveexec_b64 s[18:19], s[0:1]
	s_cbranch_execz .LBB184_303
; %bb.302:                              ;   in Loop: Header=BB184_208 Depth=1
	v_and_b32_e32 v7, 7, v11
	v_lshrrev_b32_e32 v8, 3, v0
	v_cmp_gt_u32_e64 s[0:1], 8, v0
	v_ffbh_u32_e32 v0, v7
	v_min_u32_e32 v0, 32, v0
	v_subrev_u32_e32 v20, 28, v0
	v_lshlrev_b64 v[20:21], v20, v[11:12]
	v_sub_u32_e32 v0, 29, v0
	v_and_b32_e32 v20, 7, v20
	v_cndmask_b32_e64 v0, v8, v0, s[0:1]
	v_cndmask_b32_e64 v7, v7, v20, s[0:1]
	v_lshlrev_b32_e32 v7, 20, v7
	v_and_b32_sdwa v8, sext(v11), s30 dst_sel:DWORD dst_unused:UNUSED_PAD src0_sel:BYTE_0 src1_sel:DWORD
	v_lshl_add_u32 v0, v0, 23, v42
	v_or3_b32 v20, v8, v0, v7
	v_mov_b32_e32 v21, v5
.LBB184_303:                            ;   in Loop: Header=BB184_208 Depth=1
	s_or_b64 exec, exec, s[18:19]
.LBB184_304:                            ;   in Loop: Header=BB184_208 Depth=1
	s_or_b64 exec, exec, s[16:17]
.LBB184_305:                            ;   in Loop: Header=BB184_208 Depth=1
	s_or_b64 exec, exec, s[12:13]
	v_cmp_lt_u32_e64 s[0:1], s31, v15
	s_and_saveexec_b64 s[12:13], s[0:1]
	s_cbranch_execz .LBB184_311
; %bb.306:                              ;   in Loop: Header=BB184_208 Depth=1
	v_mov_b32_e32 v23, v6
	v_cmp_ne_u32_sdwa s[0:1], v15, s28 src0_sel:BYTE_3 src1_sel:DWORD
	v_mov_b32_e32 v22, v5
	s_and_saveexec_b64 s[16:17], s[0:1]
	s_cbranch_execz .LBB184_310
; %bb.307:                              ;   in Loop: Header=BB184_208 Depth=1
	v_bfe_u32 v0, v15, 24, 7
	v_mov_b32_e32 v11, v5
	v_mov_b32_e32 v23, v12
	v_cmp_ne_u32_e64 s[0:1], s29, v0
	v_mov_b32_e32 v22, v11
	s_and_saveexec_b64 s[18:19], s[0:1]
	s_cbranch_execz .LBB184_309
; %bb.308:                              ;   in Loop: Header=BB184_208 Depth=1
	v_and_b32_sdwa v22, v15, v26 dst_sel:DWORD dst_unused:UNUSED_PAD src0_sel:BYTE_3 src1_sel:DWORD
	v_lshrrev_b32_e32 v7, 3, v0
	v_cmp_gt_u32_e64 s[0:1], 8, v0
	v_ffbh_u32_e32 v0, v22
	v_min_u32_e32 v0, 32, v0
	v_mov_b32_e32 v23, v5
	v_subrev_u32_e32 v8, 28, v0
	v_lshlrev_b64 v[23:24], v8, v[22:23]
	v_sub_u32_e32 v0, 29, v0
	v_and_b32_e32 v8, 7, v23
	v_cndmask_b32_e64 v0, v7, v0, s[0:1]
	v_cndmask_b32_e64 v7, v22, v8, s[0:1]
	v_mov_b32_e32 v8, 24
	v_lshlrev_b32_sdwa v8, v8, v15 dst_sel:DWORD dst_unused:UNUSED_PAD src0_sel:DWORD src1_sel:BYTE_3
	v_lshl_add_u32 v0, v0, 23, v42
	v_and_or_b32 v0, v8, s30, v0
	v_lshlrev_b32_e32 v7, 20, v7
	v_or_b32_e32 v23, v0, v7
	v_mov_b32_e32 v22, v5
.LBB184_309:                            ;   in Loop: Header=BB184_208 Depth=1
	s_or_b64 exec, exec, s[18:19]
.LBB184_310:                            ;   in Loop: Header=BB184_208 Depth=1
	s_or_b64 exec, exec, s[16:17]
.LBB184_311:                            ;   in Loop: Header=BB184_208 Depth=1
	s_or_b64 exec, exec, s[12:13]
	v_or_b32_e32 v0, v19, v17
	v_or_b32_e32 v7, v18, v16
	v_mul_f32_e32 v37, s38, v0
	v_mul_f32_e32 v63, s37, v7
	v_or_b32_e32 v0, v23, v21
	v_or_b32_e32 v7, v22, v20
	v_mul_f32_e32 v62, s37, v7
	v_mul_f32_e32 v61, s38, v0
	s_and_saveexec_b64 s[12:13], vcc
; %bb.312:                              ;   in Loop: Header=BB184_208 Depth=1
	v_cmp_gt_i32_e64 s[0:1], s33, v49
	v_cndmask_b32_e64 v63, 0, v63, s[0:1]
	v_cmp_gt_i32_e64 s[0:1], s33, v52
	v_cndmask_b32_e64 v37, 0, v37, s[0:1]
	v_cmp_gt_i32_e64 s[0:1], s33, v51
	v_cndmask_b32_e64 v62, 0, v62, s[0:1]
	v_cmp_gt_i32_e64 s[0:1], s33, v50
	v_cndmask_b32_e64 v61, 0, v61, s[0:1]
; %bb.313:                              ;   in Loop: Header=BB184_208 Depth=1
	s_or_b64 exec, exec, s[12:13]
	global_load_dword v15, v[13:14], off offset:1024
	v_mov_b32_e32 v18, 0
	v_mov_b32_e32 v16, 0
	;; [unrolled: 1-line block ×4, first 2 shown]
	s_waitcnt vmcnt(0)
	v_cmp_ne_u16_sdwa s[0:1], v15, v5 src0_sel:BYTE_0 src1_sel:DWORD
	s_and_saveexec_b64 s[12:13], s[0:1]
	s_cbranch_execz .LBB184_319
; %bb.314:                              ;   in Loop: Header=BB184_208 Depth=1
	v_bfrev_b32_e32 v16, 1
	v_mov_b32_e32 v17, 0
	v_cmp_ne_u16_sdwa s[0:1], v15, s28 src0_sel:BYTE_0 src1_sel:DWORD
	s_and_saveexec_b64 s[16:17], s[0:1]
	s_cbranch_execz .LBB184_318
; %bb.315:                              ;   in Loop: Header=BB184_208 Depth=1
	v_and_b32_e32 v0, 0x7f, v15
	v_mov_b32_e32 v16, 0x7f800001
	v_mov_b32_e32 v17, 0
	v_cmp_ne_u32_e64 s[0:1], s29, v0
	s_and_saveexec_b64 s[18:19], s[0:1]
	s_cbranch_execz .LBB184_317
; %bb.316:                              ;   in Loop: Header=BB184_208 Depth=1
	v_and_b32_e32 v7, 7, v15
	v_lshrrev_b32_e32 v8, 3, v0
	v_cmp_gt_u32_e64 s[0:1], 8, v0
	v_ffbh_u32_e32 v0, v7
	v_min_u32_e32 v0, 32, v0
	v_subrev_u32_e32 v11, 28, v0
	v_lshlrev_b64 v[16:17], v11, v[15:16]
	v_sub_u32_e32 v0, 29, v0
	v_and_b32_e32 v11, 7, v16
	v_cndmask_b32_e64 v0, v8, v0, s[0:1]
	v_cndmask_b32_e64 v7, v7, v11, s[0:1]
	v_lshlrev_b32_e32 v7, 20, v7
	v_and_b32_sdwa v8, sext(v15), s30 dst_sel:DWORD dst_unused:UNUSED_PAD src0_sel:BYTE_0 src1_sel:DWORD
	v_lshl_add_u32 v0, v0, 23, v42
	v_or3_b32 v16, v8, v0, v7
	v_mov_b32_e32 v17, v5
.LBB184_317:                            ;   in Loop: Header=BB184_208 Depth=1
	s_or_b64 exec, exec, s[18:19]
.LBB184_318:                            ;   in Loop: Header=BB184_208 Depth=1
	s_or_b64 exec, exec, s[16:17]
.LBB184_319:                            ;   in Loop: Header=BB184_208 Depth=1
	s_or_b64 exec, exec, s[12:13]
	v_cmp_ne_u16_sdwa s[0:1], v15, v5 src0_sel:BYTE_1 src1_sel:DWORD
	s_and_saveexec_b64 s[12:13], s[0:1]
	s_cbranch_execz .LBB184_325
; %bb.320:                              ;   in Loop: Header=BB184_208 Depth=1
	v_mov_b32_e32 v19, v6
	v_cmp_ne_u16_sdwa s[0:1], v15, s28 src0_sel:BYTE_1 src1_sel:DWORD
	v_mov_b32_e32 v18, v5
	s_and_saveexec_b64 s[16:17], s[0:1]
	s_cbranch_execz .LBB184_324
; %bb.321:                              ;   in Loop: Header=BB184_208 Depth=1
	v_and_b32_sdwa v0, v15, s29 dst_sel:DWORD dst_unused:UNUSED_PAD src0_sel:BYTE_1 src1_sel:DWORD
	v_mov_b32_e32 v11, v5
	v_mov_b32_e32 v19, v12
	v_cmp_ne_u32_e64 s[0:1], s29, v0
	v_mov_b32_e32 v18, v11
	s_and_saveexec_b64 s[18:19], s[0:1]
	s_cbranch_execz .LBB184_323
; %bb.322:                              ;   in Loop: Header=BB184_208 Depth=1
	v_and_b32_sdwa v18, v15, v26 dst_sel:DWORD dst_unused:UNUSED_PAD src0_sel:BYTE_1 src1_sel:DWORD
	v_lshrrev_b32_e32 v7, 3, v0
	v_cmp_gt_u32_e64 s[0:1], 8, v0
	v_ffbh_u32_e32 v0, v18
	v_min_u32_e32 v0, 32, v0
	v_mov_b32_e32 v19, v5
	v_subrev_u32_e32 v8, 28, v0
	v_lshlrev_b64 v[19:20], v8, v[18:19]
	v_sub_u32_e32 v0, 29, v0
	v_and_b32_e32 v8, 7, v19
	v_cndmask_b32_e64 v0, v7, v0, s[0:1]
	v_cndmask_b32_e64 v7, v18, v8, s[0:1]
	v_lshlrev_b32_e32 v8, 16, v15
	v_lshl_add_u32 v0, v0, 23, v42
	v_and_or_b32 v0, v8, s30, v0
	v_lshlrev_b32_e32 v7, 20, v7
	v_or_b32_e32 v19, v0, v7
	v_mov_b32_e32 v18, v5
.LBB184_323:                            ;   in Loop: Header=BB184_208 Depth=1
	s_or_b64 exec, exec, s[18:19]
.LBB184_324:                            ;   in Loop: Header=BB184_208 Depth=1
	s_or_b64 exec, exec, s[16:17]
.LBB184_325:                            ;   in Loop: Header=BB184_208 Depth=1
	s_or_b64 exec, exec, s[12:13]
	v_lshrrev_b32_e32 v11, 16, v15
	v_mov_b32_e32 v22, 0
	v_mov_b32_e32 v20, 0
	;; [unrolled: 1-line block ×4, first 2 shown]
	v_cmp_ne_u16_sdwa s[0:1], v11, v5 src0_sel:BYTE_0 src1_sel:DWORD
	s_and_saveexec_b64 s[12:13], s[0:1]
	s_cbranch_execz .LBB184_331
; %bb.326:                              ;   in Loop: Header=BB184_208 Depth=1
	v_bfrev_b32_e32 v20, 1
	v_mov_b32_e32 v21, 0
	v_cmp_ne_u16_sdwa s[0:1], v11, s28 src0_sel:BYTE_0 src1_sel:DWORD
	s_and_saveexec_b64 s[16:17], s[0:1]
	s_cbranch_execz .LBB184_330
; %bb.327:                              ;   in Loop: Header=BB184_208 Depth=1
	v_bfe_u32 v0, v15, 16, 7
	v_mov_b32_e32 v20, 0x7f800001
	v_mov_b32_e32 v21, 0
	v_cmp_ne_u32_e64 s[0:1], s29, v0
	s_and_saveexec_b64 s[18:19], s[0:1]
	s_cbranch_execz .LBB184_329
; %bb.328:                              ;   in Loop: Header=BB184_208 Depth=1
	v_and_b32_e32 v7, 7, v11
	v_lshrrev_b32_e32 v8, 3, v0
	v_cmp_gt_u32_e64 s[0:1], 8, v0
	v_ffbh_u32_e32 v0, v7
	v_min_u32_e32 v0, 32, v0
	v_subrev_u32_e32 v20, 28, v0
	v_lshlrev_b64 v[20:21], v20, v[11:12]
	v_sub_u32_e32 v0, 29, v0
	v_and_b32_e32 v20, 7, v20
	v_cndmask_b32_e64 v0, v8, v0, s[0:1]
	v_cndmask_b32_e64 v7, v7, v20, s[0:1]
	v_lshlrev_b32_e32 v7, 20, v7
	v_and_b32_sdwa v8, sext(v11), s30 dst_sel:DWORD dst_unused:UNUSED_PAD src0_sel:BYTE_0 src1_sel:DWORD
	v_lshl_add_u32 v0, v0, 23, v42
	v_or3_b32 v20, v8, v0, v7
	v_mov_b32_e32 v21, v5
.LBB184_329:                            ;   in Loop: Header=BB184_208 Depth=1
	s_or_b64 exec, exec, s[18:19]
.LBB184_330:                            ;   in Loop: Header=BB184_208 Depth=1
	s_or_b64 exec, exec, s[16:17]
.LBB184_331:                            ;   in Loop: Header=BB184_208 Depth=1
	s_or_b64 exec, exec, s[12:13]
	v_cmp_lt_u32_e64 s[0:1], s31, v15
	s_and_saveexec_b64 s[12:13], s[0:1]
	s_cbranch_execz .LBB184_337
; %bb.332:                              ;   in Loop: Header=BB184_208 Depth=1
	v_mov_b32_e32 v23, v6
	v_cmp_ne_u32_sdwa s[0:1], v15, s28 src0_sel:BYTE_3 src1_sel:DWORD
	v_mov_b32_e32 v22, v5
	s_and_saveexec_b64 s[16:17], s[0:1]
	s_cbranch_execz .LBB184_336
; %bb.333:                              ;   in Loop: Header=BB184_208 Depth=1
	v_bfe_u32 v0, v15, 24, 7
	v_mov_b32_e32 v11, v5
	v_mov_b32_e32 v23, v12
	v_cmp_ne_u32_e64 s[0:1], s29, v0
	v_mov_b32_e32 v22, v11
	s_and_saveexec_b64 s[18:19], s[0:1]
	s_cbranch_execz .LBB184_335
; %bb.334:                              ;   in Loop: Header=BB184_208 Depth=1
	v_and_b32_sdwa v22, v15, v26 dst_sel:DWORD dst_unused:UNUSED_PAD src0_sel:BYTE_3 src1_sel:DWORD
	v_lshrrev_b32_e32 v7, 3, v0
	v_cmp_gt_u32_e64 s[0:1], 8, v0
	v_ffbh_u32_e32 v0, v22
	v_min_u32_e32 v0, 32, v0
	v_mov_b32_e32 v23, v5
	v_subrev_u32_e32 v8, 28, v0
	v_lshlrev_b64 v[23:24], v8, v[22:23]
	v_sub_u32_e32 v0, 29, v0
	v_and_b32_e32 v8, 7, v23
	v_cndmask_b32_e64 v0, v7, v0, s[0:1]
	v_cndmask_b32_e64 v7, v22, v8, s[0:1]
	v_mov_b32_e32 v8, 24
	v_lshlrev_b32_sdwa v8, v8, v15 dst_sel:DWORD dst_unused:UNUSED_PAD src0_sel:DWORD src1_sel:BYTE_3
	v_lshl_add_u32 v0, v0, 23, v42
	v_and_or_b32 v0, v8, s30, v0
	v_lshlrev_b32_e32 v7, 20, v7
	v_or_b32_e32 v23, v0, v7
	v_mov_b32_e32 v22, v5
.LBB184_335:                            ;   in Loop: Header=BB184_208 Depth=1
	s_or_b64 exec, exec, s[18:19]
.LBB184_336:                            ;   in Loop: Header=BB184_208 Depth=1
	s_or_b64 exec, exec, s[16:17]
.LBB184_337:                            ;   in Loop: Header=BB184_208 Depth=1
	s_or_b64 exec, exec, s[12:13]
	v_or_b32_e32 v0, v19, v17
	v_or_b32_e32 v7, v18, v16
	v_mul_f32_e32 v36, s38, v0
	v_mul_f32_e32 v44, s37, v7
	v_or_b32_e32 v0, v23, v21
	v_or_b32_e32 v7, v22, v20
	v_mul_f32_e32 v24, s37, v7
	v_mul_f32_e32 v38, s38, v0
	s_and_saveexec_b64 s[12:13], vcc
; %bb.338:                              ;   in Loop: Header=BB184_208 Depth=1
	v_cmp_gt_i32_e64 s[0:1], s33, v49
	v_cndmask_b32_e64 v44, 0, v44, s[0:1]
	v_cmp_gt_i32_e64 s[0:1], s33, v52
	v_cndmask_b32_e64 v36, 0, v36, s[0:1]
	;; [unrolled: 2-line block ×4, first 2 shown]
; %bb.339:                              ;   in Loop: Header=BB184_208 Depth=1
	s_or_b64 exec, exec, s[12:13]
	global_load_dword v15, v[13:14], off offset:1280
	v_mov_b32_e32 v18, 0
	v_mov_b32_e32 v16, 0
	;; [unrolled: 1-line block ×4, first 2 shown]
	s_waitcnt vmcnt(0)
	v_cmp_ne_u16_sdwa s[0:1], v15, v5 src0_sel:BYTE_0 src1_sel:DWORD
	s_and_saveexec_b64 s[12:13], s[0:1]
	s_cbranch_execz .LBB184_345
; %bb.340:                              ;   in Loop: Header=BB184_208 Depth=1
	v_bfrev_b32_e32 v16, 1
	v_mov_b32_e32 v17, 0
	v_cmp_ne_u16_sdwa s[0:1], v15, s28 src0_sel:BYTE_0 src1_sel:DWORD
	s_and_saveexec_b64 s[16:17], s[0:1]
	s_cbranch_execz .LBB184_344
; %bb.341:                              ;   in Loop: Header=BB184_208 Depth=1
	v_and_b32_e32 v0, 0x7f, v15
	v_mov_b32_e32 v16, 0x7f800001
	v_mov_b32_e32 v17, 0
	v_cmp_ne_u32_e64 s[0:1], s29, v0
	s_and_saveexec_b64 s[18:19], s[0:1]
	s_cbranch_execz .LBB184_343
; %bb.342:                              ;   in Loop: Header=BB184_208 Depth=1
	v_and_b32_e32 v7, 7, v15
	v_lshrrev_b32_e32 v8, 3, v0
	v_cmp_gt_u32_e64 s[0:1], 8, v0
	v_ffbh_u32_e32 v0, v7
	v_min_u32_e32 v0, 32, v0
	v_subrev_u32_e32 v11, 28, v0
	v_lshlrev_b64 v[16:17], v11, v[15:16]
	v_sub_u32_e32 v0, 29, v0
	v_and_b32_e32 v11, 7, v16
	v_cndmask_b32_e64 v0, v8, v0, s[0:1]
	v_cndmask_b32_e64 v7, v7, v11, s[0:1]
	v_lshlrev_b32_e32 v7, 20, v7
	v_and_b32_sdwa v8, sext(v15), s30 dst_sel:DWORD dst_unused:UNUSED_PAD src0_sel:BYTE_0 src1_sel:DWORD
	v_lshl_add_u32 v0, v0, 23, v42
	v_or3_b32 v16, v8, v0, v7
	v_mov_b32_e32 v17, v5
.LBB184_343:                            ;   in Loop: Header=BB184_208 Depth=1
	s_or_b64 exec, exec, s[18:19]
.LBB184_344:                            ;   in Loop: Header=BB184_208 Depth=1
	s_or_b64 exec, exec, s[16:17]
.LBB184_345:                            ;   in Loop: Header=BB184_208 Depth=1
	s_or_b64 exec, exec, s[12:13]
	v_cmp_ne_u16_sdwa s[0:1], v15, v5 src0_sel:BYTE_1 src1_sel:DWORD
	s_and_saveexec_b64 s[12:13], s[0:1]
	s_cbranch_execz .LBB184_351
; %bb.346:                              ;   in Loop: Header=BB184_208 Depth=1
	v_mov_b32_e32 v19, v6
	v_cmp_ne_u16_sdwa s[0:1], v15, s28 src0_sel:BYTE_1 src1_sel:DWORD
	v_mov_b32_e32 v18, v5
	s_and_saveexec_b64 s[16:17], s[0:1]
	s_cbranch_execz .LBB184_350
; %bb.347:                              ;   in Loop: Header=BB184_208 Depth=1
	v_and_b32_sdwa v0, v15, s29 dst_sel:DWORD dst_unused:UNUSED_PAD src0_sel:BYTE_1 src1_sel:DWORD
	v_mov_b32_e32 v11, v5
	v_mov_b32_e32 v19, v12
	v_cmp_ne_u32_e64 s[0:1], s29, v0
	v_mov_b32_e32 v18, v11
	s_and_saveexec_b64 s[18:19], s[0:1]
	s_cbranch_execz .LBB184_349
; %bb.348:                              ;   in Loop: Header=BB184_208 Depth=1
	v_and_b32_sdwa v18, v15, v26 dst_sel:DWORD dst_unused:UNUSED_PAD src0_sel:BYTE_1 src1_sel:DWORD
	v_lshrrev_b32_e32 v7, 3, v0
	v_cmp_gt_u32_e64 s[0:1], 8, v0
	v_ffbh_u32_e32 v0, v18
	v_min_u32_e32 v0, 32, v0
	v_mov_b32_e32 v19, v5
	v_subrev_u32_e32 v8, 28, v0
	v_lshlrev_b64 v[19:20], v8, v[18:19]
	v_sub_u32_e32 v0, 29, v0
	v_and_b32_e32 v8, 7, v19
	v_cndmask_b32_e64 v0, v7, v0, s[0:1]
	v_cndmask_b32_e64 v7, v18, v8, s[0:1]
	v_lshlrev_b32_e32 v8, 16, v15
	v_lshl_add_u32 v0, v0, 23, v42
	v_and_or_b32 v0, v8, s30, v0
	v_lshlrev_b32_e32 v7, 20, v7
	v_or_b32_e32 v19, v0, v7
	v_mov_b32_e32 v18, v5
.LBB184_349:                            ;   in Loop: Header=BB184_208 Depth=1
	s_or_b64 exec, exec, s[18:19]
.LBB184_350:                            ;   in Loop: Header=BB184_208 Depth=1
	s_or_b64 exec, exec, s[16:17]
.LBB184_351:                            ;   in Loop: Header=BB184_208 Depth=1
	s_or_b64 exec, exec, s[12:13]
	v_lshrrev_b32_e32 v11, 16, v15
	v_mov_b32_e32 v22, 0
	v_mov_b32_e32 v20, 0
	;; [unrolled: 1-line block ×4, first 2 shown]
	v_cmp_ne_u16_sdwa s[0:1], v11, v5 src0_sel:BYTE_0 src1_sel:DWORD
	s_and_saveexec_b64 s[12:13], s[0:1]
	s_cbranch_execz .LBB184_357
; %bb.352:                              ;   in Loop: Header=BB184_208 Depth=1
	v_bfrev_b32_e32 v20, 1
	v_mov_b32_e32 v21, 0
	v_cmp_ne_u16_sdwa s[0:1], v11, s28 src0_sel:BYTE_0 src1_sel:DWORD
	s_and_saveexec_b64 s[16:17], s[0:1]
	s_cbranch_execz .LBB184_356
; %bb.353:                              ;   in Loop: Header=BB184_208 Depth=1
	v_bfe_u32 v0, v15, 16, 7
	v_mov_b32_e32 v20, 0x7f800001
	v_mov_b32_e32 v21, 0
	v_cmp_ne_u32_e64 s[0:1], s29, v0
	s_and_saveexec_b64 s[18:19], s[0:1]
	s_cbranch_execz .LBB184_355
; %bb.354:                              ;   in Loop: Header=BB184_208 Depth=1
	v_and_b32_e32 v7, 7, v11
	v_lshrrev_b32_e32 v8, 3, v0
	v_cmp_gt_u32_e64 s[0:1], 8, v0
	v_ffbh_u32_e32 v0, v7
	v_min_u32_e32 v0, 32, v0
	v_subrev_u32_e32 v20, 28, v0
	v_lshlrev_b64 v[20:21], v20, v[11:12]
	v_sub_u32_e32 v0, 29, v0
	v_and_b32_e32 v20, 7, v20
	v_cndmask_b32_e64 v0, v8, v0, s[0:1]
	v_cndmask_b32_e64 v7, v7, v20, s[0:1]
	v_lshlrev_b32_e32 v7, 20, v7
	v_and_b32_sdwa v8, sext(v11), s30 dst_sel:DWORD dst_unused:UNUSED_PAD src0_sel:BYTE_0 src1_sel:DWORD
	v_lshl_add_u32 v0, v0, 23, v42
	v_or3_b32 v20, v8, v0, v7
	v_mov_b32_e32 v21, v5
.LBB184_355:                            ;   in Loop: Header=BB184_208 Depth=1
	s_or_b64 exec, exec, s[18:19]
.LBB184_356:                            ;   in Loop: Header=BB184_208 Depth=1
	s_or_b64 exec, exec, s[16:17]
.LBB184_357:                            ;   in Loop: Header=BB184_208 Depth=1
	s_or_b64 exec, exec, s[12:13]
	v_cmp_lt_u32_e64 s[0:1], s31, v15
	s_and_saveexec_b64 s[12:13], s[0:1]
	s_cbranch_execz .LBB184_363
; %bb.358:                              ;   in Loop: Header=BB184_208 Depth=1
	v_mov_b32_e32 v23, v6
	v_cmp_ne_u32_sdwa s[0:1], v15, s28 src0_sel:BYTE_3 src1_sel:DWORD
	v_mov_b32_e32 v22, v5
	s_and_saveexec_b64 s[16:17], s[0:1]
	s_cbranch_execz .LBB184_362
; %bb.359:                              ;   in Loop: Header=BB184_208 Depth=1
	v_bfe_u32 v0, v15, 24, 7
	v_mov_b32_e32 v11, v5
	v_mov_b32_e32 v23, v12
	v_cmp_ne_u32_e64 s[0:1], s29, v0
	v_mov_b32_e32 v22, v11
	s_and_saveexec_b64 s[18:19], s[0:1]
	s_cbranch_execz .LBB184_361
; %bb.360:                              ;   in Loop: Header=BB184_208 Depth=1
	v_and_b32_sdwa v22, v15, v26 dst_sel:DWORD dst_unused:UNUSED_PAD src0_sel:BYTE_3 src1_sel:DWORD
	v_lshrrev_b32_e32 v11, 3, v0
	v_cmp_gt_u32_e64 s[0:1], 8, v0
	v_ffbh_u32_e32 v0, v22
	v_min_u32_e32 v0, 32, v0
	v_mov_b32_e32 v23, v5
	v_subrev_u32_e32 v7, 28, v0
	v_lshlrev_b64 v[7:8], v7, v[22:23]
	v_sub_u32_e32 v0, 29, v0
	v_and_b32_e32 v7, 7, v7
	v_cndmask_b32_e64 v0, v11, v0, s[0:1]
	v_mov_b32_e32 v8, 24
	v_cndmask_b32_e64 v7, v22, v7, s[0:1]
	v_lshlrev_b32_sdwa v8, v8, v15 dst_sel:DWORD dst_unused:UNUSED_PAD src0_sel:DWORD src1_sel:BYTE_3
	v_lshl_add_u32 v0, v0, 23, v42
	v_and_or_b32 v0, v8, s30, v0
	v_lshlrev_b32_e32 v7, 20, v7
	v_or_b32_e32 v23, v0, v7
	v_mov_b32_e32 v22, v5
.LBB184_361:                            ;   in Loop: Header=BB184_208 Depth=1
	s_or_b64 exec, exec, s[18:19]
.LBB184_362:                            ;   in Loop: Header=BB184_208 Depth=1
	s_or_b64 exec, exec, s[16:17]
.LBB184_363:                            ;   in Loop: Header=BB184_208 Depth=1
	s_or_b64 exec, exec, s[12:13]
	v_or_b32_e32 v7, v18, v16
	v_or_b32_e32 v0, v19, v17
	v_mul_f32_e32 v43, s37, v7
	v_or_b32_e32 v7, v23, v21
	v_or_b32_e32 v8, v22, v20
	v_mul_f32_e32 v0, s38, v0
	v_mul_f32_e32 v23, s37, v8
	;; [unrolled: 1-line block ×3, first 2 shown]
	s_and_saveexec_b64 s[12:13], vcc
; %bb.364:                              ;   in Loop: Header=BB184_208 Depth=1
	v_cmp_gt_i32_e64 s[0:1], s33, v49
	v_cndmask_b32_e64 v43, 0, v43, s[0:1]
	v_cmp_gt_i32_e64 s[0:1], s33, v52
	v_cndmask_b32_e64 v0, 0, v0, s[0:1]
	;; [unrolled: 2-line block ×4, first 2 shown]
; %bb.365:                              ;   in Loop: Header=BB184_208 Depth=1
	s_or_b64 exec, exec, s[12:13]
	global_load_dword v13, v[13:14], off offset:1536
	v_mov_b32_e32 v16, 0
	v_mov_b32_e32 v14, 0
	;; [unrolled: 1-line block ×4, first 2 shown]
	s_waitcnt vmcnt(0)
	v_cmp_ne_u16_sdwa s[0:1], v13, v5 src0_sel:BYTE_0 src1_sel:DWORD
	s_and_saveexec_b64 s[12:13], s[0:1]
	s_cbranch_execz .LBB184_371
; %bb.366:                              ;   in Loop: Header=BB184_208 Depth=1
	v_bfrev_b32_e32 v14, 1
	v_mov_b32_e32 v15, 0
	v_cmp_ne_u16_sdwa s[0:1], v13, s28 src0_sel:BYTE_0 src1_sel:DWORD
	s_and_saveexec_b64 s[16:17], s[0:1]
	s_cbranch_execz .LBB184_370
; %bb.367:                              ;   in Loop: Header=BB184_208 Depth=1
	v_and_b32_e32 v11, 0x7f, v13
	v_mov_b32_e32 v14, 0x7f800001
	v_mov_b32_e32 v15, 0
	v_cmp_ne_u32_e64 s[0:1], s29, v11
	s_and_saveexec_b64 s[18:19], s[0:1]
	s_cbranch_execz .LBB184_369
; %bb.368:                              ;   in Loop: Header=BB184_208 Depth=1
	v_and_b32_e32 v14, 7, v13
	v_ffbh_u32_e32 v7, v14
	v_lshrrev_b32_e32 v15, 3, v11
	v_cmp_gt_u32_e64 s[0:1], 8, v11
	v_min_u32_e32 v11, 32, v7
	v_subrev_u32_e32 v7, 28, v11
	v_lshlrev_b64 v[7:8], v7, v[13:14]
	v_sub_u32_e32 v8, 29, v11
	v_and_b32_e32 v7, 7, v7
	v_cndmask_b32_e64 v8, v15, v8, s[0:1]
	v_cndmask_b32_e64 v7, v14, v7, s[0:1]
	v_lshlrev_b32_e32 v7, 20, v7
	v_and_b32_sdwa v11, sext(v13), s30 dst_sel:DWORD dst_unused:UNUSED_PAD src0_sel:BYTE_0 src1_sel:DWORD
	v_lshl_add_u32 v8, v8, 23, v42
	v_or3_b32 v14, v11, v8, v7
	v_mov_b32_e32 v15, v5
.LBB184_369:                            ;   in Loop: Header=BB184_208 Depth=1
	s_or_b64 exec, exec, s[18:19]
.LBB184_370:                            ;   in Loop: Header=BB184_208 Depth=1
	s_or_b64 exec, exec, s[16:17]
.LBB184_371:                            ;   in Loop: Header=BB184_208 Depth=1
	s_or_b64 exec, exec, s[12:13]
	v_cmp_ne_u16_sdwa s[0:1], v13, v5 src0_sel:BYTE_1 src1_sel:DWORD
	s_and_saveexec_b64 s[12:13], s[0:1]
	s_cbranch_execz .LBB184_377
; %bb.372:                              ;   in Loop: Header=BB184_208 Depth=1
	v_mov_b32_e32 v17, v6
	v_cmp_ne_u16_sdwa s[0:1], v13, s28 src0_sel:BYTE_1 src1_sel:DWORD
	v_mov_b32_e32 v16, v5
	s_and_saveexec_b64 s[16:17], s[0:1]
	s_cbranch_execz .LBB184_376
; %bb.373:                              ;   in Loop: Header=BB184_208 Depth=1
	v_and_b32_sdwa v18, v13, s29 dst_sel:DWORD dst_unused:UNUSED_PAD src0_sel:BYTE_1 src1_sel:DWORD
	v_mov_b32_e32 v11, v5
	v_mov_b32_e32 v17, v12
	v_cmp_ne_u32_e64 s[0:1], s29, v18
	v_mov_b32_e32 v16, v11
	s_and_saveexec_b64 s[18:19], s[0:1]
	s_cbranch_execz .LBB184_375
; %bb.374:                              ;   in Loop: Header=BB184_208 Depth=1
	v_and_b32_sdwa v7, v13, v26 dst_sel:DWORD dst_unused:UNUSED_PAD src0_sel:BYTE_1 src1_sel:DWORD
	v_ffbh_u32_e32 v16, v7
	v_lshrrev_b32_e32 v11, 3, v18
	v_cmp_gt_u32_e64 s[0:1], 8, v18
	v_min_u32_e32 v18, 32, v16
	v_mov_b32_e32 v8, v5
	v_subrev_u32_e32 v16, 28, v18
	v_lshlrev_b64 v[16:17], v16, v[7:8]
	v_sub_u32_e32 v8, 29, v18
	v_and_b32_e32 v16, 7, v16
	v_cndmask_b32_e64 v8, v11, v8, s[0:1]
	v_cndmask_b32_e64 v7, v7, v16, s[0:1]
	v_lshlrev_b32_e32 v11, 16, v13
	v_lshl_add_u32 v8, v8, 23, v42
	v_and_or_b32 v8, v11, s30, v8
	v_lshlrev_b32_e32 v7, 20, v7
	v_or_b32_e32 v17, v8, v7
	v_mov_b32_e32 v16, v5
.LBB184_375:                            ;   in Loop: Header=BB184_208 Depth=1
	s_or_b64 exec, exec, s[18:19]
.LBB184_376:                            ;   in Loop: Header=BB184_208 Depth=1
	s_or_b64 exec, exec, s[16:17]
.LBB184_377:                            ;   in Loop: Header=BB184_208 Depth=1
	s_or_b64 exec, exec, s[12:13]
	v_lshrrev_b32_e32 v11, 16, v13
	v_mov_b32_e32 v20, 0
	v_mov_b32_e32 v18, 0
	;; [unrolled: 1-line block ×4, first 2 shown]
	v_cmp_ne_u16_sdwa s[0:1], v11, v5 src0_sel:BYTE_0 src1_sel:DWORD
	s_and_saveexec_b64 s[12:13], s[0:1]
	s_cbranch_execz .LBB184_383
; %bb.378:                              ;   in Loop: Header=BB184_208 Depth=1
	v_bfrev_b32_e32 v18, 1
	v_mov_b32_e32 v19, 0
	v_cmp_ne_u16_sdwa s[0:1], v11, s28 src0_sel:BYTE_0 src1_sel:DWORD
	s_and_saveexec_b64 s[16:17], s[0:1]
	s_cbranch_execz .LBB184_382
; %bb.379:                              ;   in Loop: Header=BB184_208 Depth=1
	v_bfe_u32 v26, v13, 16, 7
	v_mov_b32_e32 v18, 0x7f800001
	v_mov_b32_e32 v19, 0
	v_cmp_ne_u32_e64 s[0:1], s29, v26
	s_and_saveexec_b64 s[18:19], s[0:1]
	s_cbranch_execz .LBB184_381
; %bb.380:                              ;   in Loop: Header=BB184_208 Depth=1
	v_and_b32_e32 v18, 7, v11
	v_ffbh_u32_e32 v7, v18
	v_lshrrev_b32_e32 v19, 3, v26
	v_cmp_gt_u32_e64 s[0:1], 8, v26
	v_min_u32_e32 v26, 32, v7
	v_subrev_u32_e32 v7, 28, v26
	v_lshlrev_b64 v[7:8], v7, v[11:12]
	v_sub_u32_e32 v8, 29, v26
	v_and_b32_e32 v7, 7, v7
	v_cndmask_b32_e64 v8, v19, v8, s[0:1]
	v_cndmask_b32_e64 v7, v18, v7, s[0:1]
	v_lshlrev_b32_e32 v7, 20, v7
	v_and_b32_sdwa v11, sext(v11), s30 dst_sel:DWORD dst_unused:UNUSED_PAD src0_sel:BYTE_0 src1_sel:DWORD
	v_lshl_add_u32 v8, v8, 23, v42
	v_or3_b32 v18, v11, v8, v7
	v_mov_b32_e32 v19, v5
.LBB184_381:                            ;   in Loop: Header=BB184_208 Depth=1
	s_or_b64 exec, exec, s[18:19]
	v_mov_b32_e32 v26, 7
.LBB184_382:                            ;   in Loop: Header=BB184_208 Depth=1
	s_or_b64 exec, exec, s[16:17]
.LBB184_383:                            ;   in Loop: Header=BB184_208 Depth=1
	s_or_b64 exec, exec, s[12:13]
	v_cmp_lt_u32_e64 s[0:1], s31, v13
	s_and_saveexec_b64 s[12:13], s[0:1]
	s_cbranch_execz .LBB184_389
; %bb.384:                              ;   in Loop: Header=BB184_208 Depth=1
	v_mov_b32_e32 v21, v6
	v_cmp_ne_u32_sdwa s[0:1], v13, s28 src0_sel:BYTE_3 src1_sel:DWORD
	v_mov_b32_e32 v20, v5
	s_and_saveexec_b64 s[16:17], s[0:1]
	s_cbranch_execz .LBB184_388
; %bb.385:                              ;   in Loop: Header=BB184_208 Depth=1
	v_bfe_u32 v26, v13, 24, 7
	v_mov_b32_e32 v11, v5
	v_mov_b32_e32 v21, v12
	;; [unrolled: 1-line block ×3, first 2 shown]
	v_cmp_ne_u32_e64 s[0:1], s29, v26
	v_mov_b32_e32 v20, v11
	s_and_saveexec_b64 s[18:19], s[0:1]
	s_cbranch_execz .LBB184_387
; %bb.386:                              ;   in Loop: Header=BB184_208 Depth=1
	v_and_b32_sdwa v7, v13, v7 dst_sel:DWORD dst_unused:UNUSED_PAD src0_sel:BYTE_3 src1_sel:DWORD
	v_ffbh_u32_e32 v20, v7
	v_lshrrev_b32_e32 v11, 3, v26
	v_cmp_gt_u32_e64 s[0:1], 8, v26
	v_min_u32_e32 v26, 32, v20
	v_mov_b32_e32 v8, v5
	v_subrev_u32_e32 v20, 28, v26
	v_lshlrev_b64 v[20:21], v20, v[7:8]
	v_sub_u32_e32 v8, 29, v26
	v_and_b32_e32 v20, 7, v20
	v_cndmask_b32_e64 v8, v11, v8, s[0:1]
	v_mov_b32_e32 v11, 24
	v_cndmask_b32_e64 v7, v7, v20, s[0:1]
	v_lshlrev_b32_sdwa v11, v11, v13 dst_sel:DWORD dst_unused:UNUSED_PAD src0_sel:DWORD src1_sel:BYTE_3
	v_lshl_add_u32 v8, v8, 23, v42
	v_and_or_b32 v8, v11, s30, v8
	v_lshlrev_b32_e32 v7, 20, v7
	v_or_b32_e32 v21, v8, v7
	v_mov_b32_e32 v20, v5
.LBB184_387:                            ;   in Loop: Header=BB184_208 Depth=1
	s_or_b64 exec, exec, s[18:19]
	v_mov_b32_e32 v26, 7
.LBB184_388:                            ;   in Loop: Header=BB184_208 Depth=1
	s_or_b64 exec, exec, s[16:17]
.LBB184_389:                            ;   in Loop: Header=BB184_208 Depth=1
	s_or_b64 exec, exec, s[12:13]
	v_or_b32_e32 v7, v17, v15
	v_or_b32_e32 v8, v16, v14
	v_mul_f32_e32 v11, s38, v7
	v_mul_f32_e32 v15, s37, v8
	v_or_b32_e32 v7, v21, v19
	v_or_b32_e32 v8, v20, v18
	v_mul_f32_e32 v14, s37, v8
	v_mul_f32_e32 v13, s38, v7
	s_and_saveexec_b64 s[0:1], vcc
	s_cbranch_execz .LBB184_206
; %bb.390:                              ;   in Loop: Header=BB184_208 Depth=1
	v_cmp_gt_i32_e32 vcc, s33, v49
	v_cndmask_b32_e32 v15, 0, v15, vcc
	v_cmp_gt_i32_e32 vcc, s33, v52
	v_cndmask_b32_e32 v11, 0, v11, vcc
	;; [unrolled: 2-line block ×4, first 2 shown]
	s_branch .LBB184_206
.LBB184_391:
	s_or_b64 exec, exec, s[4:5]
	buffer_load_dword v13, off, s[56:59], 0 offset:72 ; 4-byte Folded Reload
	buffer_load_dword v14, off, s[56:59], 0 offset:8 ; 4-byte Folded Reload
	;; [unrolled: 1-line block ×3, first 2 shown]
.LBB184_392:
	s_or_b64 exec, exec, s[2:3]
	s_waitcnt vmcnt(0)
	ds_bpermute_b32 v0, v8, v34
	ds_bpermute_b32 v1, v8, v33
	;; [unrolled: 1-line block ×4, first 2 shown]
	s_waitcnt lgkmcnt(0)
	v_add_f32_e32 v0, v34, v0
	v_add_f32_e32 v1, v33, v1
	ds_bpermute_b32 v3, v25, v0
	ds_bpermute_b32 v4, v25, v1
	v_add_f32_e32 v2, v32, v2
	ds_bpermute_b32 v6, v25, v2
	s_waitcnt lgkmcnt(0)
	s_barrier
	v_add_f32_e32 v0, v0, v3
	v_add_f32_e32 v1, v1, v4
	ds_bpermute_b32 v3, v8, v29
	v_add_f32_e32 v4, v30, v5
	ds_bpermute_b32 v5, v8, v28
	ds_bpermute_b32 v8, v8, v27
	;; [unrolled: 1-line block ×3, first 2 shown]
	s_waitcnt lgkmcnt(3)
	v_add_f32_e32 v9, v29, v3
	ds_bpermute_b32 v10, v25, v9
	s_waitcnt lgkmcnt(3)
	v_add_f32_e32 v5, v28, v5
	s_waitcnt lgkmcnt(2)
	v_add_f32_e32 v8, v27, v8
	ds_bpermute_b32 v11, v25, v5
	ds_bpermute_b32 v12, v25, v8
	s_waitcnt lgkmcnt(3)
	v_add_f32_e32 v3, v4, v7
	v_and_b32_e32 v7, 0x3c3, v13
	v_add_f32_e32 v2, v2, v6
	s_waitcnt lgkmcnt(2)
	v_add_f32_e32 v4, v9, v10
	s_waitcnt lgkmcnt(1)
	;; [unrolled: 2-line block ×3, first 2 shown]
	v_add_f32_e32 v6, v8, v12
	v_cmp_eq_u32_e32 vcc, 64, v7
	s_and_saveexec_b64 s[0:1], vcc
	s_cbranch_execz .LBB184_394
; %bb.393:
	v_add_u32_e32 v8, 0x1d0, v14
	ds_write2_b32 v8, v0, v1 offset1:16
	ds_write2_b32 v8, v2, v3 offset0:32 offset1:48
	ds_write2_b32 v8, v4, v5 offset0:64 offset1:80
	ds_write_b32 v8, v6 offset:384
.LBB184_394:
	s_or_b64 exec, exec, s[0:1]
	v_cmp_gt_u32_e32 vcc, 64, v13
	s_waitcnt lgkmcnt(0)
	s_barrier
	s_and_saveexec_b64 s[0:1], vcc
	s_cbranch_execz .LBB184_404
; %bb.395:
	buffer_load_dword v8, off, s[56:59], 0 offset:76 ; 4-byte Folded Reload
	buffer_load_dword v9, off, s[56:59], 0 offset:84 ; 4-byte Folded Reload
	s_waitcnt vmcnt(1)
	v_cmp_eq_u32_e32 vcc, 0, v8
	v_mov_b32_e32 v8, 0x1d0
	s_waitcnt vmcnt(0)
	v_lshl_add_u32 v8, v9, 2, v8
	s_and_saveexec_b64 s[2:3], vcc
	s_cbranch_execnz .LBB184_407
; %bb.396:
	s_or_b64 exec, exec, s[2:3]
	s_and_saveexec_b64 s[2:3], vcc
	s_cbranch_execnz .LBB184_408
.LBB184_397:
	s_or_b64 exec, exec, s[2:3]
	s_and_saveexec_b64 s[2:3], vcc
	s_cbranch_execnz .LBB184_409
.LBB184_398:
	s_or_b64 exec, exec, s[2:3]
	s_and_saveexec_b64 s[2:3], vcc
	s_cbranch_execnz .LBB184_410
.LBB184_399:
	s_or_b64 exec, exec, s[2:3]
	s_and_saveexec_b64 s[2:3], vcc
	s_cbranch_execnz .LBB184_411
.LBB184_400:
	s_or_b64 exec, exec, s[2:3]
	s_and_saveexec_b64 s[2:3], vcc
	s_cbranch_execnz .LBB184_412
.LBB184_401:
	s_or_b64 exec, exec, s[2:3]
	s_and_saveexec_b64 s[2:3], vcc
	s_cbranch_execz .LBB184_403
.LBB184_402:
	ds_read_b32 v8, v8 offset:384
	s_waitcnt lgkmcnt(0)
	v_add_f32_e32 v6, v6, v8
.LBB184_403:
	s_or_b64 exec, exec, s[2:3]
.LBB184_404:
	s_or_b64 exec, exec, s[0:1]
	v_cmp_eq_u32_e32 vcc, 0, v7
	s_barrier
	s_and_saveexec_b64 s[0:1], vcc
	s_cbranch_execz .LBB184_406
; %bb.405:
	buffer_load_dword v7, off, s[56:59], 0 offset:80 ; 4-byte Folded Reload
	s_mul_i32 s0, s10, s11
	s_mul_i32 s0, s0, s9
	s_mulk_i32 s0, 0x70
	s_ashr_i32 s1, s0, 31
	s_lshl_b64 s[0:1], s[0:1], 2
	s_add_u32 s2, s26, s0
	s_mul_i32 s0, s11, s24
	s_addc_u32 s3, s27, s1
	s_ashr_i32 s1, s0, 31
	s_lshl_b64 s[0:1], s[0:1], 2
	s_add_u32 s2, s2, s0
	s_mul_i32 s0, s8, 0x70
	s_addc_u32 s3, s3, s1
	s_ashr_i32 s1, s0, 31
	s_lshl_b64 s[0:1], s[0:1], 2
	s_add_u32 s0, s2, s0
	s_addc_u32 s1, s3, s1
	s_waitcnt vmcnt(0)
	global_store_dword v7, v0, s[0:1]
	global_store_dword v7, v1, s[0:1] offset:64
	global_store_dword v7, v2, s[0:1] offset:128
	;; [unrolled: 1-line block ×6, first 2 shown]
.LBB184_406:
	s_endpgm
.LBB184_407:
	ds_read_b32 v9, v8
	s_waitcnt lgkmcnt(0)
	v_add_f32_e32 v0, v0, v9
	s_or_b64 exec, exec, s[2:3]
	s_and_saveexec_b64 s[2:3], vcc
	s_cbranch_execz .LBB184_397
.LBB184_408:
	ds_read_b32 v9, v8 offset:64
	s_waitcnt lgkmcnt(0)
	v_add_f32_e32 v1, v1, v9
	s_or_b64 exec, exec, s[2:3]
	s_and_saveexec_b64 s[2:3], vcc
	s_cbranch_execz .LBB184_398
.LBB184_409:
	ds_read_b32 v9, v8 offset:128
	s_waitcnt lgkmcnt(0)
	v_add_f32_e32 v2, v2, v9
	s_or_b64 exec, exec, s[2:3]
	s_and_saveexec_b64 s[2:3], vcc
	s_cbranch_execz .LBB184_399
.LBB184_410:
	ds_read_b32 v9, v8 offset:192
	s_waitcnt lgkmcnt(0)
	v_add_f32_e32 v3, v3, v9
	s_or_b64 exec, exec, s[2:3]
	s_and_saveexec_b64 s[2:3], vcc
	s_cbranch_execz .LBB184_400
.LBB184_411:
	ds_read_b32 v9, v8 offset:256
	s_waitcnt lgkmcnt(0)
	v_add_f32_e32 v4, v4, v9
	s_or_b64 exec, exec, s[2:3]
	s_and_saveexec_b64 s[2:3], vcc
	s_cbranch_execz .LBB184_401
.LBB184_412:
	ds_read_b32 v9, v8 offset:320
	s_waitcnt lgkmcnt(0)
	v_add_f32_e32 v5, v5, v9
	s_or_b64 exec, exec, s[2:3]
	s_and_saveexec_b64 s[2:3], vcc
	s_cbranch_execnz .LBB184_402
	s_branch .LBB184_403
	.section	.rodata,"a",@progbits
	.p2align	6, 0x0
	.amdhsa_kernel _ZN4vllm25paged_attention_v1_kernelIfhLi112ELi16ELi128ELNS_18Fp8KVCacheDataTypeE1ELb1EEEvPT_PKS2_PKT0_S8_ifPKiSA_iPKfiiiSC_SC_iiiii
		.amdhsa_group_segment_fixed_size 464
		.amdhsa_private_segment_fixed_size 100
		.amdhsa_kernarg_size 384
		.amdhsa_user_sgpr_count 6
		.amdhsa_user_sgpr_private_segment_buffer 1
		.amdhsa_user_sgpr_dispatch_ptr 0
		.amdhsa_user_sgpr_queue_ptr 0
		.amdhsa_user_sgpr_kernarg_segment_ptr 1
		.amdhsa_user_sgpr_dispatch_id 0
		.amdhsa_user_sgpr_flat_scratch_init 0
		.amdhsa_user_sgpr_private_segment_size 0
		.amdhsa_uses_dynamic_stack 0
		.amdhsa_system_sgpr_private_segment_wavefront_offset 1
		.amdhsa_system_sgpr_workgroup_id_x 1
		.amdhsa_system_sgpr_workgroup_id_y 1
		.amdhsa_system_sgpr_workgroup_id_z 1
		.amdhsa_system_sgpr_workgroup_info 0
		.amdhsa_system_vgpr_workitem_id 0
		.amdhsa_next_free_vgpr 64
		.amdhsa_next_free_sgpr 60
		.amdhsa_reserve_vcc 1
		.amdhsa_reserve_flat_scratch 0
		.amdhsa_float_round_mode_32 0
		.amdhsa_float_round_mode_16_64 0
		.amdhsa_float_denorm_mode_32 3
		.amdhsa_float_denorm_mode_16_64 3
		.amdhsa_dx10_clamp 1
		.amdhsa_ieee_mode 1
		.amdhsa_fp16_overflow 0
		.amdhsa_exception_fp_ieee_invalid_op 0
		.amdhsa_exception_fp_denorm_src 0
		.amdhsa_exception_fp_ieee_div_zero 0
		.amdhsa_exception_fp_ieee_overflow 0
		.amdhsa_exception_fp_ieee_underflow 0
		.amdhsa_exception_fp_ieee_inexact 0
		.amdhsa_exception_int_div_zero 0
	.end_amdhsa_kernel
	.section	.text._ZN4vllm25paged_attention_v1_kernelIfhLi112ELi16ELi128ELNS_18Fp8KVCacheDataTypeE1ELb1EEEvPT_PKS2_PKT0_S8_ifPKiSA_iPKfiiiSC_SC_iiiii,"axG",@progbits,_ZN4vllm25paged_attention_v1_kernelIfhLi112ELi16ELi128ELNS_18Fp8KVCacheDataTypeE1ELb1EEEvPT_PKS2_PKT0_S8_ifPKiSA_iPKfiiiSC_SC_iiiii,comdat
.Lfunc_end184:
	.size	_ZN4vllm25paged_attention_v1_kernelIfhLi112ELi16ELi128ELNS_18Fp8KVCacheDataTypeE1ELb1EEEvPT_PKS2_PKT0_S8_ifPKiSA_iPKfiiiSC_SC_iiiii, .Lfunc_end184-_ZN4vllm25paged_attention_v1_kernelIfhLi112ELi16ELi128ELNS_18Fp8KVCacheDataTypeE1ELb1EEEvPT_PKS2_PKT0_S8_ifPKiSA_iPKfiiiSC_SC_iiiii
                                        ; -- End function
	.set _ZN4vllm25paged_attention_v1_kernelIfhLi112ELi16ELi128ELNS_18Fp8KVCacheDataTypeE1ELb1EEEvPT_PKS2_PKT0_S8_ifPKiSA_iPKfiiiSC_SC_iiiii.num_vgpr, 64
	.set _ZN4vllm25paged_attention_v1_kernelIfhLi112ELi16ELi128ELNS_18Fp8KVCacheDataTypeE1ELb1EEEvPT_PKS2_PKT0_S8_ifPKiSA_iPKfiiiSC_SC_iiiii.num_agpr, 0
	.set _ZN4vllm25paged_attention_v1_kernelIfhLi112ELi16ELi128ELNS_18Fp8KVCacheDataTypeE1ELb1EEEvPT_PKS2_PKT0_S8_ifPKiSA_iPKfiiiSC_SC_iiiii.numbered_sgpr, 60
	.set _ZN4vllm25paged_attention_v1_kernelIfhLi112ELi16ELi128ELNS_18Fp8KVCacheDataTypeE1ELb1EEEvPT_PKS2_PKT0_S8_ifPKiSA_iPKfiiiSC_SC_iiiii.num_named_barrier, 0
	.set _ZN4vllm25paged_attention_v1_kernelIfhLi112ELi16ELi128ELNS_18Fp8KVCacheDataTypeE1ELb1EEEvPT_PKS2_PKT0_S8_ifPKiSA_iPKfiiiSC_SC_iiiii.private_seg_size, 100
	.set _ZN4vllm25paged_attention_v1_kernelIfhLi112ELi16ELi128ELNS_18Fp8KVCacheDataTypeE1ELb1EEEvPT_PKS2_PKT0_S8_ifPKiSA_iPKfiiiSC_SC_iiiii.uses_vcc, 1
	.set _ZN4vllm25paged_attention_v1_kernelIfhLi112ELi16ELi128ELNS_18Fp8KVCacheDataTypeE1ELb1EEEvPT_PKS2_PKT0_S8_ifPKiSA_iPKfiiiSC_SC_iiiii.uses_flat_scratch, 0
	.set _ZN4vllm25paged_attention_v1_kernelIfhLi112ELi16ELi128ELNS_18Fp8KVCacheDataTypeE1ELb1EEEvPT_PKS2_PKT0_S8_ifPKiSA_iPKfiiiSC_SC_iiiii.has_dyn_sized_stack, 0
	.set _ZN4vllm25paged_attention_v1_kernelIfhLi112ELi16ELi128ELNS_18Fp8KVCacheDataTypeE1ELb1EEEvPT_PKS2_PKT0_S8_ifPKiSA_iPKfiiiSC_SC_iiiii.has_recursion, 0
	.set _ZN4vllm25paged_attention_v1_kernelIfhLi112ELi16ELi128ELNS_18Fp8KVCacheDataTypeE1ELb1EEEvPT_PKS2_PKT0_S8_ifPKiSA_iPKfiiiSC_SC_iiiii.has_indirect_call, 0
	.section	.AMDGPU.csdata,"",@progbits
; Kernel info:
; codeLenInByte = 16956
; TotalNumSgprs: 64
; NumVgprs: 64
; ScratchSize: 100
; MemoryBound: 0
; FloatMode: 240
; IeeeMode: 1
; LDSByteSize: 464 bytes/workgroup (compile time only)
; SGPRBlocks: 7
; VGPRBlocks: 15
; NumSGPRsForWavesPerEU: 64
; NumVGPRsForWavesPerEU: 64
; Occupancy: 4
; WaveLimiterHint : 1
; COMPUTE_PGM_RSRC2:SCRATCH_EN: 1
; COMPUTE_PGM_RSRC2:USER_SGPR: 6
; COMPUTE_PGM_RSRC2:TRAP_HANDLER: 0
; COMPUTE_PGM_RSRC2:TGID_X_EN: 1
; COMPUTE_PGM_RSRC2:TGID_Y_EN: 1
; COMPUTE_PGM_RSRC2:TGID_Z_EN: 1
; COMPUTE_PGM_RSRC2:TIDIG_COMP_CNT: 0
	.section	.text._ZN4vllm25paged_attention_v1_kernelIfhLi120ELi16ELi128ELNS_18Fp8KVCacheDataTypeE1ELb1EEEvPT_PKS2_PKT0_S8_ifPKiSA_iPKfiiiSC_SC_iiiii,"axG",@progbits,_ZN4vllm25paged_attention_v1_kernelIfhLi120ELi16ELi128ELNS_18Fp8KVCacheDataTypeE1ELb1EEEvPT_PKS2_PKT0_S8_ifPKiSA_iPKfiiiSC_SC_iiiii,comdat
	.protected	_ZN4vllm25paged_attention_v1_kernelIfhLi120ELi16ELi128ELNS_18Fp8KVCacheDataTypeE1ELb1EEEvPT_PKS2_PKT0_S8_ifPKiSA_iPKfiiiSC_SC_iiiii ; -- Begin function _ZN4vllm25paged_attention_v1_kernelIfhLi120ELi16ELi128ELNS_18Fp8KVCacheDataTypeE1ELb1EEEvPT_PKS2_PKT0_S8_ifPKiSA_iPKfiiiSC_SC_iiiii
	.globl	_ZN4vllm25paged_attention_v1_kernelIfhLi120ELi16ELi128ELNS_18Fp8KVCacheDataTypeE1ELb1EEEvPT_PKS2_PKT0_S8_ifPKiSA_iPKfiiiSC_SC_iiiii
	.p2align	8
	.type	_ZN4vllm25paged_attention_v1_kernelIfhLi120ELi16ELi128ELNS_18Fp8KVCacheDataTypeE1ELb1EEEvPT_PKS2_PKT0_S8_ifPKiSA_iPKfiiiSC_SC_iiiii,@function
_ZN4vllm25paged_attention_v1_kernelIfhLi120ELi16ELi128ELNS_18Fp8KVCacheDataTypeE1ELb1EEEvPT_PKS2_PKT0_S8_ifPKiSA_iPKfiiiSC_SC_iiiii: ; @_ZN4vllm25paged_attention_v1_kernelIfhLi120ELi16ELi128ELNS_18Fp8KVCacheDataTypeE1ELb1EEEvPT_PKS2_PKT0_S8_ifPKiSA_iPKfiiiSC_SC_iiiii
; %bb.0:
	s_mov_b64 s[58:59], s[2:3]
	s_mov_b64 s[56:57], s[0:1]
	s_add_u32 s56, s56, s9
	s_load_dword s9, s[4:5], 0x80
	s_load_dwordx2 s[0:1], s[4:5], 0x30
	s_load_dwordx2 s[36:37], s[4:5], 0x20
	s_addc_u32 s57, s57, 0
	s_mov_b32 s10, s7
	s_ashr_i32 s11, s7, 31
	s_lshl_b64 s[2:3], s[10:11], 2
	s_waitcnt lgkmcnt(0)
	s_add_u32 s0, s0, s2
	s_addc_u32 s1, s1, s3
	s_abs_i32 s2, s36
	v_mov_b32_e32 v17, v0
	v_cvt_f32_u32_e32 v0, s2
	s_sub_i32 s11, 0, s2
	s_abs_i32 s7, s9
	s_xor_b32 s3, s9, s36
	v_rcp_iflag_f32_e32 v0, v0
	s_ashr_i32 s3, s3, 31
	s_mov_b32 s49, 0
	v_mul_f32_e32 v0, 0x4f7ffffe, v0
	v_cvt_u32_f32_e32 v0, v0
	v_readfirstlane_b32 s12, v0
	s_mul_i32 s11, s11, s12
	s_mul_hi_u32 s11, s12, s11
	s_add_i32 s12, s12, s11
	s_mul_hi_u32 s11, s7, s12
	s_mul_i32 s12, s11, s2
	s_sub_i32 s7, s7, s12
	s_add_i32 s12, s11, 1
	s_sub_i32 s13, s7, s2
	s_cmp_ge_u32 s7, s2
	s_cselect_b32 s11, s12, s11
	s_cselect_b32 s7, s13, s7
	s_add_i32 s12, s11, 1
	s_cmp_ge_u32 s7, s2
	s_cselect_b32 s2, s12, s11
	s_xor_b32 s2, s2, s3
	s_sub_i32 s14, s2, s3
	s_abs_i32 s11, s14
	v_cvt_f32_u32_e32 v0, s11
	s_load_dwordx2 s[2:3], s[4:5], 0x40
	s_sub_i32 s7, 0, s11
	s_abs_i32 s12, s6
	v_rcp_iflag_f32_e32 v0, v0
	v_mul_f32_e32 v0, 0x4f7ffffe, v0
	v_cvt_u32_f32_e32 v0, v0
	v_readfirstlane_b32 s13, v0
	s_mul_i32 s7, s7, s13
	s_mul_hi_u32 s7, s13, s7
	s_add_i32 s13, s13, s7
	s_waitcnt lgkmcnt(0)
	s_cmp_eq_u64 s[2:3], 0
	s_mul_hi_u32 s13, s12, s13
	s_cbranch_scc1 .LBB185_2
; %bb.1:
	s_ashr_i32 s7, s6, 31
	s_lshl_b64 s[16:17], s[6:7], 2
	s_add_u32 s2, s2, s16
	s_addc_u32 s3, s3, s17
	s_load_dword s49, s[2:3], 0x0
.LBB185_2:
	s_load_dword s33, s[0:1], 0x0
	s_load_dwordx4 s[16:19], s[4:5], 0x48
	v_lshrrev_b32_e32 v16, 2, v17
	s_movk_i32 s3, 0x78
	s_ashr_i32 s2, s6, 31
	s_ashr_i32 s7, s14, 31
	v_and_b32_e32 v18, 3, v17
	s_mul_i32 s24, s6, 0x78
	v_cmp_gt_u32_e32 vcc, s3, v17
	v_lshlrev_b32_e32 v19, 2, v17
	v_lshlrev_b32_e32 v15, 2, v16
	s_and_saveexec_b64 s[0:1], vcc
	s_cbranch_execz .LBB185_4
; %bb.3:
	s_load_dwordx2 s[14:15], s[4:5], 0x8
	s_waitcnt lgkmcnt(0)
	s_mul_i32 s20, s16, s10
	s_ashr_i32 s21, s20, 31
	s_lshl_b64 s[20:21], s[20:21], 2
	v_mad_u32_u24 v1, v18, s3, v15
	s_add_u32 s16, s14, s20
	s_addc_u32 s19, s15, s21
	s_ashr_i32 s25, s24, 31
	s_lshl_b64 s[14:15], s[24:25], 2
	s_add_u32 s14, s16, s14
	s_addc_u32 s15, s19, s15
	global_load_dword v0, v19, s[14:15]
	s_waitcnt vmcnt(0)
	ds_write_b32 v1, v0
.LBB185_4:
	s_or_b64 exec, exec, s[0:1]
	s_mul_i32 s1, s13, s11
	s_sub_i32 s1, s12, s1
	s_xor_b32 s0, s2, s7
	s_add_i32 s2, s13, 1
	s_sub_i32 s7, s1, s11
	s_load_dwordx4 s[20:23], s[4:5], 0x68
	s_load_dword s3, s[4:5], 0x78
	s_cmp_ge_u32 s1, s11
	s_cselect_b32 s2, s2, s13
	s_cselect_b32 s1, s7, s1
	s_add_i32 s7, s2, 1
	s_cmp_ge_u32 s1, s11
	s_cselect_b32 s1, s7, s2
	s_waitcnt lgkmcnt(0)
	s_abs_i32 s25, s23
	v_cvt_f32_u32_e32 v0, s25
	s_xor_b32 s1, s1, s0
	s_sub_i32 s2, s1, s0
	s_sub_i32 s0, 0, s25
	v_rcp_iflag_f32_e32 v0, v0
	s_add_i32 s11, s33, -1
	s_abs_i32 s7, s11
	v_mul_f32_e32 v0, 0x4f7ffffe, v0
	v_cvt_u32_f32_e32 v0, v0
	s_barrier
	v_readfirstlane_b32 s46, v0
	s_mul_i32 s0, s0, s46
	s_mul_hi_u32 s0, s46, s0
	s_add_i32 s46, s46, s0
	s_cmp_lt_i32 s3, 0
	s_mul_hi_u32 s16, s7, s46
	s_cbranch_scc0 .LBB185_6
; %bb.5:
	s_mul_i32 s0, s20, s36
	s_add_i32 s0, s2, s0
	s_mul_i32 s0, s0, s3
	s_sub_i32 s36, 1, s0
	s_mov_b64 s[0:1], 0
	s_branch .LBB185_7
.LBB185_6:
	s_mov_b64 s[0:1], -1
                                        ; implicit-def: $sgpr36
.LBB185_7:
	s_load_dwordx2 s[28:29], s[4:5], 0x28
	s_ashr_i32 s19, s11, 31
	s_andn2_b64 vcc, exec, s[0:1]
	s_ashr_i32 s47, s23, 31
	s_cbranch_vccnz .LBB185_9
; %bb.8:
	s_mul_i32 s0, s9, s20
	s_add_i32 s0, s0, s6
	s_mul_i32 s0, s0, s3
	s_add_i32 s36, s0, 1
.LBB185_9:
	s_load_dword s0, s[4:5], 0x38
	s_load_dwordx2 s[26:27], s[4:5], 0x0
	s_load_dwordx2 s[34:35], s[4:5], 0x18
	s_load_dword s11, s[4:5], 0x88
	s_load_dwordx4 s[12:15], s[4:5], 0x58
	s_mul_i32 s1, s16, s25
	s_waitcnt lgkmcnt(0)
	s_mul_i32 s30, s0, s10
	s_sub_i32 s1, s7, s1
	s_ashr_i32 s31, s30, 31
	s_xor_b32 s0, s19, s47
	s_add_i32 s3, s16, 1
	s_sub_i32 s6, s1, s25
	s_cmp_ge_u32 s1, s25
	s_cselect_b32 s3, s3, s16
	s_cselect_b32 s1, s6, s1
	s_add_i32 s6, s3, 1
	s_cmp_ge_u32 s1, s25
	s_cselect_b32 s1, s6, s3
	s_xor_b32 s1, s1, s0
	s_sub_i32 s16, s1, s0
	s_add_i32 s0, s33, 15
	s_ashr_i32 s1, s0, 31
	s_lshr_b32 s1, s1, 28
	s_add_i32 s0, s0, s1
	s_ashr_i32 s48, s0, 4
	v_lshrrev_b32_e32 v41, 6, v17
	v_cmp_le_i32_e64 s[0:1], s48, v41
	v_mov_b32_e32 v62, 0xff7fffff
	s_mul_i32 s20, s2, s18
	v_lshrrev_b32_e32 v21, 4, v17
	v_lshlrev_b32_e32 v42, 4, v41
	v_mbcnt_lo_u32_b32 v4, -1, 0
	v_cmp_gt_i32_e32 vcc, s48, v41
	s_mov_b64 s[18:19], exec
	s_and_b64 s[2:3], s[18:19], vcc
	buffer_store_dword v17, off, s[56:59], 0 offset:108 ; 4-byte Folded Spill
	buffer_store_dword v18, off, s[56:59], 0 offset:112 ; 4-byte Folded Spill
	s_mov_b64 exec, s[2:3]
	s_cbranch_execz .LBB185_201
; %bb.10:
	s_load_dwordx2 s[2:3], s[4:5], 0x10
	s_sub_i32 s23, s16, s21
	s_ashr_i32 s4, s20, 31
	v_bfe_u32 v6, v17, 2, 4
	v_lshlrev_b32_e32 v1, 4, v6
	s_waitcnt lgkmcnt(0)
	s_add_u32 s5, s2, s20
	s_addc_u32 s4, s3, s4
	s_abs_i32 s50, s22
	v_cvt_f32_u32_e32 v0, s50
	v_mov_b32_e32 v2, s4
	s_sub_i32 s4, 0, s50
	buffer_store_dword v19, off, s[56:59], 0 offset:116 ; 4-byte Folded Spill
	v_rcp_iflag_f32_e32 v0, v0
	v_mul_u32_u24_e32 v5, 0x78, v18
	v_cmp_eq_u32_e32 vcc, 0, v18
	s_mov_b32 s51, s17
	v_mul_f32_e32 v0, 0x4f7ffffe, v0
	v_cvt_u32_f32_e32 v0, v0
	v_cmp_neq_f32_e64 s[2:3], s49, 0
	v_lshlrev_b32_e32 v50, 4, v41
	s_mov_b64 s[38:39], 0
	v_mul_lo_u32 v3, s4, v0
	v_add_co_u32_e64 v1, s[4:5], s5, v1
	v_addc_co_u32_e64 v2, s[4:5], 0, v2, s[4:5]
	v_mul_hi_u32 v3, v0, v3
	v_add_co_u32_e64 v1, s[4:5], v1, v18
	v_addc_co_u32_e64 v2, s[4:5], 0, v2, s[4:5]
	s_lshl_b64 s[4:5], s[30:31], 2
	v_add_u32_e32 v0, v0, v3
	s_add_u32 s4, s28, s4
	buffer_store_dword v1, off, s[56:59], 0 offset:88 ; 4-byte Folded Spill
	s_nop 0
	buffer_store_dword v2, off, s[56:59], 0 offset:92 ; 4-byte Folded Spill
	buffer_store_dword v0, off, s[56:59], 0 offset:12 ; 4-byte Folded Spill
	;; [unrolled: 1-line block ×3, first 2 shown]
	v_and_b32_e32 v0, 60, v21
	s_addc_u32 s5, s29, s5
	v_mov_b32_e32 v1, s5
	v_add_co_u32_e64 v31, s[4:5], s4, v0
	v_subrev_u32_e32 v0, s33, v6
	v_add_u32_e32 v0, 1, v0
	buffer_store_dword v0, off, s[56:59], 0 offset:100 ; 4-byte Folded Spill
	buffer_store_dword v6, off, s[56:59], 0 offset:104 ; 4-byte Folded Spill
	v_lshlrev_b32_e32 v0, 2, v6
	v_lshl_or_b32 v0, v41, 6, v0
	v_addc_co_u32_e64 v32, s[4:5], 0, v1, s[4:5]
	v_add_u32_e32 v52, 0x1f0, v0
	s_movk_i32 s52, 0x80
	s_movk_i32 s53, 0x7f
	v_mbcnt_hi_u32_b32 v0, -1, v4
	v_mov_b32_e32 v4, v5
	v_mov_b32_e32 v62, 0xff7fffff
	;; [unrolled: 1-line block ×3, first 2 shown]
	buffer_store_dword v0, off, s[56:59], 0 offset:96 ; 4-byte Folded Spill
	s_branch .LBB185_13
.LBB185_11:                             ;   in Loop: Header=BB185_13 Depth=1
	s_or_b64 exec, exec, s[40:41]
.LBB185_12:                             ;   in Loop: Header=BB185_13 Depth=1
	s_or_b64 exec, exec, s[6:7]
	v_add_co_u32_e64 v31, s[4:5], 8, v31
	v_add_u32_e32 v55, 2, v55
	v_addc_co_u32_e64 v32, s[4:5], 0, v32, s[4:5]
	v_cmp_le_i32_e64 s[4:5], s48, v55
	v_add_u32_e32 v50, 32, v50
	s_or_b64 s[38:39], s[4:5], s[38:39]
	v_add_u32_e32 v52, 0x80, v52
	s_andn2_b64 exec, exec, s[38:39]
	s_cbranch_execz .LBB185_200
.LBB185_13:                             ; =>This Inner Loop Header: Depth=1
	buffer_load_dword v3, off, s[56:59], 0 offset:12 ; 4-byte Folded Reload
	v_mul_hi_u32 v0, v50, s46
	s_waitcnt lgkmcnt(0)
	v_mul_lo_u32 v1, v0, s25
	v_add_u32_e32 v2, 1, v0
	v_sub_u32_e32 v1, v50, v1
	v_cmp_le_u32_e64 s[4:5], s25, v1
	v_cndmask_b32_e64 v0, v0, v2, s[4:5]
	v_subrev_u32_e32 v2, s25, v1
	v_cndmask_b32_e64 v1, v1, v2, s[4:5]
	v_add_u32_e32 v2, 1, v0
	v_cmp_le_u32_e64 s[4:5], s25, v1
	v_cndmask_b32_e64 v0, v0, v2, s[4:5]
	v_xor_b32_e32 v0, s47, v0
	v_subrev_u32_e32 v0, s47, v0
	v_add_u32_e32 v1, s36, v0
	v_sub_u32_e32 v2, 0, v1
	v_max_i32_e32 v2, v1, v2
	v_ashrrev_i32_e32 v1, 31, v1
	v_cmp_ge_i32_e64 s[6:7], s23, v0
	s_waitcnt vmcnt(0)
	v_mul_hi_u32 v3, v2, v3
	v_mul_lo_u32 v3, v3, s50
	v_sub_u32_e32 v2, v2, v3
	v_subrev_u32_e32 v3, s50, v2
	v_cmp_le_u32_e64 s[4:5], s50, v2
	v_cndmask_b32_e64 v2, v2, v3, s[4:5]
	v_subrev_u32_e32 v3, s50, v2
	v_cmp_le_u32_e64 s[4:5], s50, v2
	v_cndmask_b32_e64 v2, v2, v3, s[4:5]
	v_xor_b32_e32 v2, v2, v1
	v_sub_u32_e32 v1, v2, v1
	v_cmp_ne_u32_e64 s[4:5], 0, v1
	s_and_b64 s[4:5], s[4:5], s[6:7]
	s_and_saveexec_b64 s[6:7], s[4:5]
	s_xor_b64 s[4:5], exec, s[6:7]
	s_cbranch_execz .LBB185_17
; %bb.14:                               ;   in Loop: Header=BB185_13 Depth=1
	s_and_saveexec_b64 s[6:7], vcc
; %bb.15:                               ;   in Loop: Header=BB185_13 Depth=1
	v_mov_b32_e32 v0, 0xff7fffff
	ds_write_b32 v52, v0
; %bb.16:                               ;   in Loop: Header=BB185_13 Depth=1
	s_or_b64 exec, exec, s[6:7]
.LBB185_17:                             ;   in Loop: Header=BB185_13 Depth=1
	s_andn2_saveexec_b64 s[6:7], s[4:5]
	s_cbranch_execz .LBB185_12
; %bb.18:                               ;   in Loop: Header=BB185_13 Depth=1
	global_load_dword v0, v[31:32], off
	buffer_load_dword v1, off, s[56:59], 0 offset:88 ; 4-byte Folded Reload
	buffer_load_dword v2, off, s[56:59], 0 offset:92 ; 4-byte Folded Reload
	ds_read2_b64 v[5:8], v4 offset1:1
	s_waitcnt vmcnt(0)
	v_mad_i64_i32 v[35:36], s[4:5], v0, s51, v[1:2]
	global_load_ubyte v0, v[35:36], off
	s_waitcnt lgkmcnt(0)
	buffer_store_dword v5, off, s[56:59], 0 offset:40 ; 4-byte Folded Spill
	s_nop 0
	buffer_store_dword v6, off, s[56:59], 0 offset:44 ; 4-byte Folded Spill
	buffer_store_dword v7, off, s[56:59], 0 offset:48 ; 4-byte Folded Spill
	;; [unrolled: 1-line block ×3, first 2 shown]
	ds_read2_b64 v[17:20], v4 offset0:2 offset1:3
	ds_read2_b64 v[5:8], v4 offset0:12 offset1:13
	s_waitcnt lgkmcnt(0)
	buffer_store_dword v5, off, s[56:59], 0 offset:24 ; 4-byte Folded Spill
	s_nop 0
	buffer_store_dword v6, off, s[56:59], 0 offset:28 ; 4-byte Folded Spill
	buffer_store_dword v7, off, s[56:59], 0 offset:32 ; 4-byte Folded Spill
	;; [unrolled: 1-line block ×3, first 2 shown]
	ds_read_b64 v[1:2], v4 offset:112
	s_waitcnt lgkmcnt(0)
	buffer_store_dword v1, off, s[56:59], 0 offset:16 ; 4-byte Folded Spill
	s_nop 0
	buffer_store_dword v2, off, s[56:59], 0 offset:20 ; 4-byte Folded Spill
	s_load_dword s54, s[12:13], 0x0
	ds_read2_b64 v[21:24], v4 offset0:4 offset1:5
	ds_read2_b64 v[13:16], v4 offset0:6 offset1:7
	;; [unrolled: 1-line block ×3, first 2 shown]
	v_mov_b32_e32 v1, 0
	s_waitcnt lgkmcnt(0)
	buffer_store_dword v5, off, s[56:59], 0 offset:72 ; 4-byte Folded Spill
	s_nop 0
	buffer_store_dword v6, off, s[56:59], 0 offset:76 ; 4-byte Folded Spill
	buffer_store_dword v7, off, s[56:59], 0 offset:80 ; 4-byte Folded Spill
	;; [unrolled: 1-line block ×3, first 2 shown]
	ds_read2_b64 v[5:8], v4 offset0:10 offset1:11
	s_waitcnt lgkmcnt(0)
	buffer_store_dword v5, off, s[56:59], 0 offset:56 ; 4-byte Folded Spill
	s_nop 0
	buffer_store_dword v6, off, s[56:59], 0 offset:60 ; 4-byte Folded Spill
	buffer_store_dword v7, off, s[56:59], 0 offset:64 ; 4-byte Folded Spill
	;; [unrolled: 1-line block ×4, first 2 shown]
	v_mov_b32_e32 v1, 0
	buffer_store_dword v1, off, s[56:59], 0 ; 4-byte Folded Spill
	s_waitcnt vmcnt(20)
	v_cmp_ne_u16_e64 s[4:5], 0, v0
	s_and_saveexec_b64 s[40:41], s[4:5]
	s_cbranch_execz .LBB185_24
; %bb.19:                               ;   in Loop: Header=BB185_13 Depth=1
	v_cmp_ne_u16_e64 s[4:5], s52, v0
	v_bfrev_b32_e32 v1, 1
	buffer_store_dword v1, off, s[56:59], 0 ; 4-byte Folded Spill
	s_and_saveexec_b64 s[42:43], s[4:5]
	s_cbranch_execz .LBB185_23
; %bb.20:                               ;   in Loop: Header=BB185_13 Depth=1
	v_and_b32_e32 v37, 0xffff, v0
	v_and_b32_e32 v29, 0x7f, v37
	v_cmp_ne_u32_e64 s[4:5], s53, v29
	v_mov_b32_e32 v1, 0x7f800001
	buffer_store_dword v1, off, s[56:59], 0 ; 4-byte Folded Spill
	s_and_saveexec_b64 s[44:45], s[4:5]
	s_cbranch_execz .LBB185_22
; %bb.21:                               ;   in Loop: Header=BB185_13 Depth=1
	v_and_b32_e32 v33, 7, v37
	v_lshrrev_b32_e32 v34, 3, v29
	v_cmp_gt_u32_e64 s[4:5], 8, v29
	v_ffbh_u32_e32 v29, v33
	v_min_u32_e32 v38, 32, v29
	v_subrev_u32_e32 v29, 28, v38
	v_lshlrev_b64 v[29:30], v29, v[37:38]
	v_sub_u32_e32 v30, 29, v38
	v_and_b32_e32 v29, 7, v29
	v_cndmask_b32_e64 v30, v34, v30, s[4:5]
	v_cndmask_b32_e64 v29, v33, v29, s[4:5]
	v_lshlrev_b32_e32 v0, 24, v0
	v_bfrev_b32_e32 v1, 60
	v_lshlrev_b32_e32 v29, 20, v29
	v_and_b32_e32 v0, 0x80000000, v0
	v_lshl_add_u32 v30, v30, 23, v1
	v_or3_b32 v0, v0, v30, v29
	buffer_store_dword v0, off, s[56:59], 0 ; 4-byte Folded Spill
.LBB185_22:                             ;   in Loop: Header=BB185_13 Depth=1
	s_or_b64 exec, exec, s[44:45]
.LBB185_23:                             ;   in Loop: Header=BB185_13 Depth=1
	s_or_b64 exec, exec, s[42:43]
.LBB185_24:                             ;   in Loop: Header=BB185_13 Depth=1
	s_or_b64 exec, exec, s[40:41]
	global_load_ubyte v0, v[35:36], off offset:4
	s_waitcnt vmcnt(0)
	v_cmp_ne_u16_e64 s[4:5], 0, v0
	s_and_saveexec_b64 s[40:41], s[4:5]
	s_cbranch_execz .LBB185_30
; %bb.25:                               ;   in Loop: Header=BB185_13 Depth=1
	v_cmp_ne_u16_e64 s[4:5], s52, v0
	v_bfrev_b32_e32 v1, 1
	buffer_store_dword v1, off, s[56:59], 0 offset:4 ; 4-byte Folded Spill
	s_and_saveexec_b64 s[42:43], s[4:5]
	s_cbranch_execz .LBB185_29
; %bb.26:                               ;   in Loop: Header=BB185_13 Depth=1
	v_and_b32_e32 v37, 0xffff, v0
	v_and_b32_e32 v29, 0x7f, v37
	v_cmp_ne_u32_e64 s[4:5], s53, v29
	v_mov_b32_e32 v1, 0x7f800001
	buffer_store_dword v1, off, s[56:59], 0 offset:4 ; 4-byte Folded Spill
	s_and_saveexec_b64 s[44:45], s[4:5]
	s_cbranch_execz .LBB185_28
; %bb.27:                               ;   in Loop: Header=BB185_13 Depth=1
	v_and_b32_e32 v33, 7, v37
	v_lshrrev_b32_e32 v34, 3, v29
	v_cmp_gt_u32_e64 s[4:5], 8, v29
	v_ffbh_u32_e32 v29, v33
	v_min_u32_e32 v38, 32, v29
	v_subrev_u32_e32 v29, 28, v38
	v_lshlrev_b64 v[29:30], v29, v[37:38]
	v_sub_u32_e32 v30, 29, v38
	v_and_b32_e32 v29, 7, v29
	v_cndmask_b32_e64 v30, v34, v30, s[4:5]
	v_cndmask_b32_e64 v29, v33, v29, s[4:5]
	v_lshlrev_b32_e32 v0, 24, v0
	v_bfrev_b32_e32 v1, 60
	v_lshlrev_b32_e32 v29, 20, v29
	v_and_b32_e32 v0, 0x80000000, v0
	v_lshl_add_u32 v30, v30, 23, v1
	v_or3_b32 v0, v0, v30, v29
	buffer_store_dword v0, off, s[56:59], 0 offset:4 ; 4-byte Folded Spill
.LBB185_28:                             ;   in Loop: Header=BB185_13 Depth=1
	s_or_b64 exec, exec, s[44:45]
.LBB185_29:                             ;   in Loop: Header=BB185_13 Depth=1
	s_or_b64 exec, exec, s[42:43]
.LBB185_30:                             ;   in Loop: Header=BB185_13 Depth=1
	s_or_b64 exec, exec, s[40:41]
	global_load_ubyte v0, v[35:36], off offset:8
	v_mov_b32_e32 v1, 0
	v_mov_b32_e32 v3, 0
	buffer_store_dword v1, off, s[56:59], 0 offset:8 ; 4-byte Folded Spill
	s_waitcnt vmcnt(1)
	v_cmp_ne_u16_e64 s[4:5], 0, v0
	s_and_saveexec_b64 s[40:41], s[4:5]
	s_cbranch_execz .LBB185_36
; %bb.31:                               ;   in Loop: Header=BB185_13 Depth=1
	v_cmp_ne_u16_e64 s[4:5], s52, v0
	v_bfrev_b32_e32 v3, 1
	s_and_saveexec_b64 s[42:43], s[4:5]
	s_cbranch_execz .LBB185_35
; %bb.32:                               ;   in Loop: Header=BB185_13 Depth=1
	v_and_b32_e32 v37, 0xffff, v0
	v_and_b32_e32 v29, 0x7f, v37
	v_cmp_ne_u32_e64 s[4:5], s53, v29
	v_mov_b32_e32 v3, 0x7f800001
	s_and_saveexec_b64 s[44:45], s[4:5]
	s_cbranch_execz .LBB185_34
; %bb.33:                               ;   in Loop: Header=BB185_13 Depth=1
	v_and_b32_e32 v33, 7, v37
	v_lshrrev_b32_e32 v34, 3, v29
	v_cmp_gt_u32_e64 s[4:5], 8, v29
	v_ffbh_u32_e32 v29, v33
	v_min_u32_e32 v38, 32, v29
	v_subrev_u32_e32 v29, 28, v38
	v_lshlrev_b64 v[29:30], v29, v[37:38]
	v_sub_u32_e32 v30, 29, v38
	v_and_b32_e32 v29, 7, v29
	v_cndmask_b32_e64 v30, v34, v30, s[4:5]
	v_cndmask_b32_e64 v29, v33, v29, s[4:5]
	v_lshlrev_b32_e32 v0, 24, v0
	v_bfrev_b32_e32 v1, 60
	v_lshlrev_b32_e32 v29, 20, v29
	v_and_b32_e32 v0, 0x80000000, v0
	v_lshl_add_u32 v30, v30, 23, v1
	v_or3_b32 v3, v0, v30, v29
.LBB185_34:                             ;   in Loop: Header=BB185_13 Depth=1
	s_or_b64 exec, exec, s[44:45]
.LBB185_35:                             ;   in Loop: Header=BB185_13 Depth=1
	s_or_b64 exec, exec, s[42:43]
.LBB185_36:                             ;   in Loop: Header=BB185_13 Depth=1
	s_or_b64 exec, exec, s[40:41]
	global_load_ubyte v0, v[35:36], off offset:12
	s_waitcnt vmcnt(0)
	v_cmp_ne_u16_e64 s[4:5], 0, v0
	s_and_saveexec_b64 s[40:41], s[4:5]
	s_cbranch_execz .LBB185_42
; %bb.37:                               ;   in Loop: Header=BB185_13 Depth=1
	v_cmp_ne_u16_e64 s[4:5], s52, v0
	v_bfrev_b32_e32 v1, 1
	buffer_store_dword v1, off, s[56:59], 0 offset:8 ; 4-byte Folded Spill
	s_and_saveexec_b64 s[42:43], s[4:5]
	s_cbranch_execz .LBB185_41
; %bb.38:                               ;   in Loop: Header=BB185_13 Depth=1
	v_and_b32_e32 v37, 0xffff, v0
	v_and_b32_e32 v29, 0x7f, v37
	v_cmp_ne_u32_e64 s[4:5], s53, v29
	v_mov_b32_e32 v1, 0x7f800001
	buffer_store_dword v1, off, s[56:59], 0 offset:8 ; 4-byte Folded Spill
	s_and_saveexec_b64 s[44:45], s[4:5]
	s_cbranch_execz .LBB185_40
; %bb.39:                               ;   in Loop: Header=BB185_13 Depth=1
	v_and_b32_e32 v33, 7, v37
	v_lshrrev_b32_e32 v34, 3, v29
	v_cmp_gt_u32_e64 s[4:5], 8, v29
	v_ffbh_u32_e32 v29, v33
	v_min_u32_e32 v38, 32, v29
	v_subrev_u32_e32 v29, 28, v38
	v_lshlrev_b64 v[29:30], v29, v[37:38]
	v_sub_u32_e32 v30, 29, v38
	v_and_b32_e32 v29, 7, v29
	v_cndmask_b32_e64 v30, v34, v30, s[4:5]
	v_cndmask_b32_e64 v29, v33, v29, s[4:5]
	v_lshlrev_b32_e32 v0, 24, v0
	v_bfrev_b32_e32 v1, 60
	v_lshlrev_b32_e32 v29, 20, v29
	v_and_b32_e32 v0, 0x80000000, v0
	v_lshl_add_u32 v30, v30, 23, v1
	v_or3_b32 v0, v0, v30, v29
	buffer_store_dword v0, off, s[56:59], 0 offset:8 ; 4-byte Folded Spill
.LBB185_40:                             ;   in Loop: Header=BB185_13 Depth=1
	s_or_b64 exec, exec, s[44:45]
.LBB185_41:                             ;   in Loop: Header=BB185_13 Depth=1
	s_or_b64 exec, exec, s[42:43]
.LBB185_42:                             ;   in Loop: Header=BB185_13 Depth=1
	s_or_b64 exec, exec, s[40:41]
	global_load_ubyte v0, v[35:36], off offset:256
	v_mov_b32_e32 v43, 0
	v_mov_b32_e32 v63, 0
	s_waitcnt vmcnt(0)
	v_cmp_ne_u16_e64 s[4:5], 0, v0
	s_and_saveexec_b64 s[40:41], s[4:5]
	s_cbranch_execz .LBB185_48
; %bb.43:                               ;   in Loop: Header=BB185_13 Depth=1
	v_cmp_ne_u16_e64 s[4:5], s52, v0
	v_bfrev_b32_e32 v63, 1
	s_and_saveexec_b64 s[42:43], s[4:5]
	s_cbranch_execz .LBB185_47
; %bb.44:                               ;   in Loop: Header=BB185_13 Depth=1
	v_and_b32_e32 v37, 0xffff, v0
	v_and_b32_e32 v29, 0x7f, v37
	v_cmp_ne_u32_e64 s[4:5], s53, v29
	v_mov_b32_e32 v63, 0x7f800001
	s_and_saveexec_b64 s[44:45], s[4:5]
	s_cbranch_execz .LBB185_46
; %bb.45:                               ;   in Loop: Header=BB185_13 Depth=1
	v_and_b32_e32 v33, 7, v37
	v_lshrrev_b32_e32 v34, 3, v29
	v_cmp_gt_u32_e64 s[4:5], 8, v29
	v_ffbh_u32_e32 v29, v33
	v_min_u32_e32 v38, 32, v29
	v_subrev_u32_e32 v29, 28, v38
	v_lshlrev_b64 v[29:30], v29, v[37:38]
	v_sub_u32_e32 v30, 29, v38
	v_and_b32_e32 v29, 7, v29
	v_cndmask_b32_e64 v30, v34, v30, s[4:5]
	v_cndmask_b32_e64 v29, v33, v29, s[4:5]
	v_lshlrev_b32_e32 v0, 24, v0
	v_bfrev_b32_e32 v1, 60
	v_lshlrev_b32_e32 v29, 20, v29
	v_and_b32_e32 v0, 0x80000000, v0
	v_lshl_add_u32 v30, v30, 23, v1
	v_or3_b32 v63, v0, v30, v29
.LBB185_46:                             ;   in Loop: Header=BB185_13 Depth=1
	s_or_b64 exec, exec, s[44:45]
.LBB185_47:                             ;   in Loop: Header=BB185_13 Depth=1
	s_or_b64 exec, exec, s[42:43]
.LBB185_48:                             ;   in Loop: Header=BB185_13 Depth=1
	s_or_b64 exec, exec, s[40:41]
	global_load_ubyte v0, v[35:36], off offset:260
	s_waitcnt vmcnt(0)
	v_cmp_ne_u16_e64 s[4:5], 0, v0
	s_and_saveexec_b64 s[40:41], s[4:5]
	s_cbranch_execz .LBB185_54
; %bb.49:                               ;   in Loop: Header=BB185_13 Depth=1
	v_cmp_ne_u16_e64 s[4:5], s52, v0
	v_bfrev_b32_e32 v43, 1
	s_and_saveexec_b64 s[42:43], s[4:5]
	s_cbranch_execz .LBB185_53
; %bb.50:                               ;   in Loop: Header=BB185_13 Depth=1
	v_and_b32_e32 v37, 0xffff, v0
	v_and_b32_e32 v29, 0x7f, v37
	v_cmp_ne_u32_e64 s[4:5], s53, v29
	v_mov_b32_e32 v43, 0x7f800001
	s_and_saveexec_b64 s[44:45], s[4:5]
	s_cbranch_execz .LBB185_52
; %bb.51:                               ;   in Loop: Header=BB185_13 Depth=1
	v_and_b32_e32 v33, 7, v37
	v_lshrrev_b32_e32 v34, 3, v29
	v_cmp_gt_u32_e64 s[4:5], 8, v29
	v_ffbh_u32_e32 v29, v33
	v_min_u32_e32 v38, 32, v29
	v_subrev_u32_e32 v29, 28, v38
	v_lshlrev_b64 v[29:30], v29, v[37:38]
	v_sub_u32_e32 v30, 29, v38
	v_and_b32_e32 v29, 7, v29
	v_cndmask_b32_e64 v30, v34, v30, s[4:5]
	v_cndmask_b32_e64 v29, v33, v29, s[4:5]
	v_lshlrev_b32_e32 v0, 24, v0
	v_bfrev_b32_e32 v1, 60
	v_lshlrev_b32_e32 v29, 20, v29
	v_and_b32_e32 v0, 0x80000000, v0
	v_lshl_add_u32 v30, v30, 23, v1
	v_or3_b32 v43, v0, v30, v29
.LBB185_52:                             ;   in Loop: Header=BB185_13 Depth=1
	s_or_b64 exec, exec, s[44:45]
.LBB185_53:                             ;   in Loop: Header=BB185_13 Depth=1
	s_or_b64 exec, exec, s[42:43]
.LBB185_54:                             ;   in Loop: Header=BB185_13 Depth=1
	s_or_b64 exec, exec, s[40:41]
	global_load_ubyte v0, v[35:36], off offset:264
	v_mov_b32_e32 v27, 0
	v_mov_b32_e32 v8, 0
	s_waitcnt vmcnt(0)
	v_cmp_ne_u16_e64 s[4:5], 0, v0
	s_and_saveexec_b64 s[40:41], s[4:5]
	s_cbranch_execz .LBB185_60
; %bb.55:                               ;   in Loop: Header=BB185_13 Depth=1
	v_cmp_ne_u16_e64 s[4:5], s52, v0
	v_bfrev_b32_e32 v8, 1
	s_and_saveexec_b64 s[42:43], s[4:5]
	s_cbranch_execz .LBB185_59
; %bb.56:                               ;   in Loop: Header=BB185_13 Depth=1
	v_and_b32_e32 v37, 0xffff, v0
	v_and_b32_e32 v29, 0x7f, v37
	v_cmp_ne_u32_e64 s[4:5], s53, v29
	v_mov_b32_e32 v8, 0x7f800001
	s_and_saveexec_b64 s[44:45], s[4:5]
	s_cbranch_execz .LBB185_58
; %bb.57:                               ;   in Loop: Header=BB185_13 Depth=1
	v_and_b32_e32 v33, 7, v37
	v_lshrrev_b32_e32 v34, 3, v29
	v_cmp_gt_u32_e64 s[4:5], 8, v29
	v_ffbh_u32_e32 v29, v33
	v_min_u32_e32 v38, 32, v29
	v_subrev_u32_e32 v29, 28, v38
	v_lshlrev_b64 v[29:30], v29, v[37:38]
	v_sub_u32_e32 v30, 29, v38
	v_and_b32_e32 v29, 7, v29
	v_cndmask_b32_e64 v30, v34, v30, s[4:5]
	v_cndmask_b32_e64 v29, v33, v29, s[4:5]
	v_lshlrev_b32_e32 v0, 24, v0
	v_bfrev_b32_e32 v1, 60
	v_lshlrev_b32_e32 v29, 20, v29
	v_and_b32_e32 v0, 0x80000000, v0
	v_lshl_add_u32 v30, v30, 23, v1
	v_or3_b32 v8, v0, v30, v29
.LBB185_58:                             ;   in Loop: Header=BB185_13 Depth=1
	s_or_b64 exec, exec, s[44:45]
.LBB185_59:                             ;   in Loop: Header=BB185_13 Depth=1
	s_or_b64 exec, exec, s[42:43]
.LBB185_60:                             ;   in Loop: Header=BB185_13 Depth=1
	s_or_b64 exec, exec, s[40:41]
	global_load_ubyte v0, v[35:36], off offset:268
	s_waitcnt vmcnt(0)
	v_cmp_ne_u16_e64 s[4:5], 0, v0
	s_and_saveexec_b64 s[40:41], s[4:5]
	s_cbranch_execz .LBB185_66
; %bb.61:                               ;   in Loop: Header=BB185_13 Depth=1
	v_cmp_ne_u16_e64 s[4:5], s52, v0
	v_bfrev_b32_e32 v27, 1
	s_and_saveexec_b64 s[42:43], s[4:5]
	s_cbranch_execz .LBB185_65
; %bb.62:                               ;   in Loop: Header=BB185_13 Depth=1
	v_and_b32_e32 v37, 0xffff, v0
	v_and_b32_e32 v29, 0x7f, v37
	v_cmp_ne_u32_e64 s[4:5], s53, v29
	v_mov_b32_e32 v27, 0x7f800001
	s_and_saveexec_b64 s[44:45], s[4:5]
	s_cbranch_execz .LBB185_64
; %bb.63:                               ;   in Loop: Header=BB185_13 Depth=1
	v_and_b32_e32 v33, 7, v37
	v_lshrrev_b32_e32 v34, 3, v29
	v_cmp_gt_u32_e64 s[4:5], 8, v29
	v_ffbh_u32_e32 v29, v33
	v_min_u32_e32 v38, 32, v29
	v_subrev_u32_e32 v29, 28, v38
	v_lshlrev_b64 v[29:30], v29, v[37:38]
	v_sub_u32_e32 v30, 29, v38
	v_and_b32_e32 v29, 7, v29
	v_cndmask_b32_e64 v30, v34, v30, s[4:5]
	v_cndmask_b32_e64 v29, v33, v29, s[4:5]
	v_lshlrev_b32_e32 v0, 24, v0
	v_bfrev_b32_e32 v1, 60
	v_lshlrev_b32_e32 v29, 20, v29
	v_and_b32_e32 v0, 0x80000000, v0
	v_lshl_add_u32 v30, v30, 23, v1
	v_or3_b32 v27, v0, v30, v29
.LBB185_64:                             ;   in Loop: Header=BB185_13 Depth=1
	s_or_b64 exec, exec, s[44:45]
.LBB185_65:                             ;   in Loop: Header=BB185_13 Depth=1
	s_or_b64 exec, exec, s[42:43]
.LBB185_66:                             ;   in Loop: Header=BB185_13 Depth=1
	s_or_b64 exec, exec, s[40:41]
	global_load_ubyte v0, v[35:36], off offset:512
	v_mov_b32_e32 v28, 0
	v_mov_b32_e32 v10, 0
	s_waitcnt vmcnt(0)
	v_cmp_ne_u16_e64 s[4:5], 0, v0
	s_and_saveexec_b64 s[40:41], s[4:5]
	s_cbranch_execz .LBB185_72
; %bb.67:                               ;   in Loop: Header=BB185_13 Depth=1
	v_cmp_ne_u16_e64 s[4:5], s52, v0
	v_bfrev_b32_e32 v10, 1
	s_and_saveexec_b64 s[42:43], s[4:5]
	s_cbranch_execz .LBB185_71
; %bb.68:                               ;   in Loop: Header=BB185_13 Depth=1
	v_and_b32_e32 v37, 0xffff, v0
	v_and_b32_e32 v29, 0x7f, v37
	v_cmp_ne_u32_e64 s[4:5], s53, v29
	v_mov_b32_e32 v10, 0x7f800001
	s_and_saveexec_b64 s[44:45], s[4:5]
	s_cbranch_execz .LBB185_70
; %bb.69:                               ;   in Loop: Header=BB185_13 Depth=1
	v_and_b32_e32 v33, 7, v37
	v_lshrrev_b32_e32 v34, 3, v29
	v_cmp_gt_u32_e64 s[4:5], 8, v29
	v_ffbh_u32_e32 v29, v33
	v_min_u32_e32 v38, 32, v29
	v_subrev_u32_e32 v29, 28, v38
	v_lshlrev_b64 v[29:30], v29, v[37:38]
	v_sub_u32_e32 v30, 29, v38
	v_and_b32_e32 v29, 7, v29
	v_cndmask_b32_e64 v30, v34, v30, s[4:5]
	v_cndmask_b32_e64 v29, v33, v29, s[4:5]
	v_lshlrev_b32_e32 v0, 24, v0
	v_bfrev_b32_e32 v1, 60
	v_lshlrev_b32_e32 v29, 20, v29
	v_and_b32_e32 v0, 0x80000000, v0
	v_lshl_add_u32 v30, v30, 23, v1
	v_or3_b32 v10, v0, v30, v29
.LBB185_70:                             ;   in Loop: Header=BB185_13 Depth=1
	s_or_b64 exec, exec, s[44:45]
.LBB185_71:                             ;   in Loop: Header=BB185_13 Depth=1
	s_or_b64 exec, exec, s[42:43]
.LBB185_72:                             ;   in Loop: Header=BB185_13 Depth=1
	s_or_b64 exec, exec, s[40:41]
	global_load_ubyte v0, v[35:36], off offset:516
	s_waitcnt vmcnt(0)
	v_cmp_ne_u16_e64 s[4:5], 0, v0
	s_and_saveexec_b64 s[40:41], s[4:5]
	s_cbranch_execz .LBB185_78
; %bb.73:                               ;   in Loop: Header=BB185_13 Depth=1
	v_cmp_ne_u16_e64 s[4:5], s52, v0
	v_bfrev_b32_e32 v28, 1
	s_and_saveexec_b64 s[42:43], s[4:5]
	s_cbranch_execz .LBB185_77
; %bb.74:                               ;   in Loop: Header=BB185_13 Depth=1
	v_and_b32_e32 v37, 0xffff, v0
	v_and_b32_e32 v29, 0x7f, v37
	v_cmp_ne_u32_e64 s[4:5], s53, v29
	v_mov_b32_e32 v28, 0x7f800001
	s_and_saveexec_b64 s[44:45], s[4:5]
	s_cbranch_execz .LBB185_76
; %bb.75:                               ;   in Loop: Header=BB185_13 Depth=1
	v_and_b32_e32 v33, 7, v37
	v_lshrrev_b32_e32 v34, 3, v29
	v_cmp_gt_u32_e64 s[4:5], 8, v29
	v_ffbh_u32_e32 v29, v33
	v_min_u32_e32 v38, 32, v29
	v_subrev_u32_e32 v29, 28, v38
	v_lshlrev_b64 v[29:30], v29, v[37:38]
	v_sub_u32_e32 v30, 29, v38
	v_and_b32_e32 v29, 7, v29
	v_cndmask_b32_e64 v30, v34, v30, s[4:5]
	v_cndmask_b32_e64 v29, v33, v29, s[4:5]
	v_lshlrev_b32_e32 v0, 24, v0
	v_bfrev_b32_e32 v1, 60
	v_lshlrev_b32_e32 v29, 20, v29
	v_and_b32_e32 v0, 0x80000000, v0
	v_lshl_add_u32 v30, v30, 23, v1
	v_or3_b32 v28, v0, v30, v29
.LBB185_76:                             ;   in Loop: Header=BB185_13 Depth=1
	s_or_b64 exec, exec, s[44:45]
.LBB185_77:                             ;   in Loop: Header=BB185_13 Depth=1
	s_or_b64 exec, exec, s[42:43]
.LBB185_78:                             ;   in Loop: Header=BB185_13 Depth=1
	s_or_b64 exec, exec, s[40:41]
	global_load_ubyte v0, v[35:36], off offset:520
	v_mov_b32_e32 v11, 0
	v_mov_b32_e32 v12, 0
	s_waitcnt vmcnt(0)
	v_cmp_ne_u16_e64 s[4:5], 0, v0
	s_and_saveexec_b64 s[40:41], s[4:5]
	s_cbranch_execz .LBB185_84
; %bb.79:                               ;   in Loop: Header=BB185_13 Depth=1
	v_cmp_ne_u16_e64 s[4:5], s52, v0
	v_bfrev_b32_e32 v12, 1
	s_and_saveexec_b64 s[42:43], s[4:5]
	s_cbranch_execz .LBB185_83
; %bb.80:                               ;   in Loop: Header=BB185_13 Depth=1
	v_and_b32_e32 v37, 0xffff, v0
	v_and_b32_e32 v29, 0x7f, v37
	v_cmp_ne_u32_e64 s[4:5], s53, v29
	v_mov_b32_e32 v12, 0x7f800001
	s_and_saveexec_b64 s[44:45], s[4:5]
	s_cbranch_execz .LBB185_82
; %bb.81:                               ;   in Loop: Header=BB185_13 Depth=1
	v_and_b32_e32 v33, 7, v37
	v_lshrrev_b32_e32 v34, 3, v29
	v_cmp_gt_u32_e64 s[4:5], 8, v29
	v_ffbh_u32_e32 v29, v33
	v_min_u32_e32 v39, 32, v29
	v_subrev_u32_e32 v29, 28, v39
	v_lshlrev_b64 v[29:30], v29, v[37:38]
	v_sub_u32_e32 v30, 29, v39
	v_and_b32_e32 v29, 7, v29
	v_cndmask_b32_e64 v30, v34, v30, s[4:5]
	v_cndmask_b32_e64 v29, v33, v29, s[4:5]
	v_lshlrev_b32_e32 v0, 24, v0
	v_bfrev_b32_e32 v1, 60
	v_lshlrev_b32_e32 v29, 20, v29
	v_and_b32_e32 v0, 0x80000000, v0
	v_lshl_add_u32 v30, v30, 23, v1
	v_or3_b32 v12, v0, v30, v29
.LBB185_82:                             ;   in Loop: Header=BB185_13 Depth=1
	s_or_b64 exec, exec, s[44:45]
.LBB185_83:                             ;   in Loop: Header=BB185_13 Depth=1
	s_or_b64 exec, exec, s[42:43]
.LBB185_84:                             ;   in Loop: Header=BB185_13 Depth=1
	s_or_b64 exec, exec, s[40:41]
	global_load_ubyte v0, v[35:36], off offset:524
	s_waitcnt vmcnt(0)
	v_cmp_ne_u16_e64 s[4:5], 0, v0
	s_and_saveexec_b64 s[40:41], s[4:5]
	s_cbranch_execz .LBB185_90
; %bb.85:                               ;   in Loop: Header=BB185_13 Depth=1
	v_cmp_ne_u16_e64 s[4:5], s52, v0
	v_bfrev_b32_e32 v11, 1
	s_and_saveexec_b64 s[42:43], s[4:5]
	s_cbranch_execz .LBB185_89
; %bb.86:                               ;   in Loop: Header=BB185_13 Depth=1
	v_and_b32_e32 v37, 0xffff, v0
	v_and_b32_e32 v29, 0x7f, v37
	v_cmp_ne_u32_e64 s[4:5], s53, v29
	v_mov_b32_e32 v11, 0x7f800001
	s_and_saveexec_b64 s[44:45], s[4:5]
	s_cbranch_execz .LBB185_88
; %bb.87:                               ;   in Loop: Header=BB185_13 Depth=1
	v_and_b32_e32 v33, 7, v37
	v_lshrrev_b32_e32 v34, 3, v29
	v_cmp_gt_u32_e64 s[4:5], 8, v29
	v_ffbh_u32_e32 v29, v33
	v_min_u32_e32 v38, 32, v29
	v_subrev_u32_e32 v29, 28, v38
	v_lshlrev_b64 v[29:30], v29, v[37:38]
	v_sub_u32_e32 v30, 29, v38
	v_and_b32_e32 v29, 7, v29
	v_cndmask_b32_e64 v30, v34, v30, s[4:5]
	v_cndmask_b32_e64 v29, v33, v29, s[4:5]
	v_lshlrev_b32_e32 v0, 24, v0
	v_bfrev_b32_e32 v1, 60
	v_lshlrev_b32_e32 v29, 20, v29
	v_and_b32_e32 v0, 0x80000000, v0
	v_lshl_add_u32 v30, v30, 23, v1
	v_or3_b32 v11, v0, v30, v29
.LBB185_88:                             ;   in Loop: Header=BB185_13 Depth=1
	s_or_b64 exec, exec, s[44:45]
.LBB185_89:                             ;   in Loop: Header=BB185_13 Depth=1
	s_or_b64 exec, exec, s[42:43]
.LBB185_90:                             ;   in Loop: Header=BB185_13 Depth=1
	s_or_b64 exec, exec, s[40:41]
	global_load_ubyte v0, v[35:36], off offset:768
	v_mov_b32_e32 v38, 0
	v_mov_b32_e32 v46, 0
	s_waitcnt vmcnt(0)
	v_cmp_ne_u16_e64 s[4:5], 0, v0
	s_and_saveexec_b64 s[40:41], s[4:5]
	s_cbranch_execz .LBB185_96
; %bb.91:                               ;   in Loop: Header=BB185_13 Depth=1
	v_cmp_ne_u16_e64 s[4:5], s52, v0
	v_bfrev_b32_e32 v46, 1
	s_and_saveexec_b64 s[42:43], s[4:5]
	s_cbranch_execz .LBB185_95
; %bb.92:                               ;   in Loop: Header=BB185_13 Depth=1
	v_and_b32_e32 v37, 0xffff, v0
	v_and_b32_e32 v29, 0x7f, v37
	v_cmp_ne_u32_e64 s[4:5], s53, v29
	v_mov_b32_e32 v46, 0x7f800001
	s_and_saveexec_b64 s[44:45], s[4:5]
	s_cbranch_execz .LBB185_94
; %bb.93:                               ;   in Loop: Header=BB185_13 Depth=1
	v_and_b32_e32 v33, 7, v37
	v_lshrrev_b32_e32 v34, 3, v29
	v_cmp_gt_u32_e64 s[4:5], 8, v29
	v_ffbh_u32_e32 v29, v33
	v_min_u32_e32 v39, 32, v29
	v_subrev_u32_e32 v29, 28, v39
	v_lshlrev_b64 v[29:30], v29, v[37:38]
	v_sub_u32_e32 v30, 29, v39
	v_and_b32_e32 v29, 7, v29
	v_cndmask_b32_e64 v30, v34, v30, s[4:5]
	v_cndmask_b32_e64 v29, v33, v29, s[4:5]
	v_lshlrev_b32_e32 v0, 24, v0
	v_bfrev_b32_e32 v1, 60
	v_lshlrev_b32_e32 v29, 20, v29
	v_and_b32_e32 v0, 0x80000000, v0
	v_lshl_add_u32 v30, v30, 23, v1
	v_or3_b32 v46, v0, v30, v29
.LBB185_94:                             ;   in Loop: Header=BB185_13 Depth=1
	s_or_b64 exec, exec, s[44:45]
.LBB185_95:                             ;   in Loop: Header=BB185_13 Depth=1
	s_or_b64 exec, exec, s[42:43]
.LBB185_96:                             ;   in Loop: Header=BB185_13 Depth=1
	s_or_b64 exec, exec, s[40:41]
	global_load_ubyte v0, v[35:36], off offset:772
	s_waitcnt vmcnt(0)
	v_cmp_ne_u16_e64 s[4:5], 0, v0
	s_and_saveexec_b64 s[40:41], s[4:5]
	s_cbranch_execz .LBB185_102
; %bb.97:                               ;   in Loop: Header=BB185_13 Depth=1
	v_cmp_ne_u16_e64 s[4:5], s52, v0
	v_bfrev_b32_e32 v38, 1
	s_and_saveexec_b64 s[42:43], s[4:5]
	s_cbranch_execz .LBB185_101
; %bb.98:                               ;   in Loop: Header=BB185_13 Depth=1
	v_and_b32_e32 v37, 0xffff, v0
	v_and_b32_e32 v29, 0x7f, v37
	v_cmp_ne_u32_e64 s[4:5], s53, v29
	v_mov_b32_e32 v38, 0x7f800001
	s_and_saveexec_b64 s[44:45], s[4:5]
	s_cbranch_execz .LBB185_100
; %bb.99:                               ;   in Loop: Header=BB185_13 Depth=1
	v_and_b32_e32 v33, 7, v37
	v_lshrrev_b32_e32 v34, 3, v29
	v_cmp_gt_u32_e64 s[4:5], 8, v29
	v_ffbh_u32_e32 v29, v33
	v_min_u32_e32 v39, 32, v29
	v_subrev_u32_e32 v29, 28, v39
	v_lshlrev_b64 v[29:30], v29, v[37:38]
	v_sub_u32_e32 v30, 29, v39
	v_and_b32_e32 v29, 7, v29
	v_cndmask_b32_e64 v30, v34, v30, s[4:5]
	v_cndmask_b32_e64 v29, v33, v29, s[4:5]
	v_lshlrev_b32_e32 v0, 24, v0
	v_bfrev_b32_e32 v1, 60
	v_lshlrev_b32_e32 v29, 20, v29
	v_and_b32_e32 v0, 0x80000000, v0
	v_lshl_add_u32 v30, v30, 23, v1
	v_or3_b32 v38, v0, v30, v29
.LBB185_100:                            ;   in Loop: Header=BB185_13 Depth=1
	s_or_b64 exec, exec, s[44:45]
.LBB185_101:                            ;   in Loop: Header=BB185_13 Depth=1
	s_or_b64 exec, exec, s[42:43]
.LBB185_102:                            ;   in Loop: Header=BB185_13 Depth=1
	s_or_b64 exec, exec, s[40:41]
	global_load_ubyte v0, v[35:36], off offset:776
	v_mov_b32_e32 v39, 0
	v_mov_b32_e32 v51, 0
	s_waitcnt vmcnt(0)
	v_cmp_ne_u16_e64 s[4:5], 0, v0
	s_and_saveexec_b64 s[40:41], s[4:5]
	s_cbranch_execz .LBB185_108
; %bb.103:                              ;   in Loop: Header=BB185_13 Depth=1
	v_cmp_ne_u16_e64 s[4:5], s52, v0
	v_bfrev_b32_e32 v51, 1
	s_and_saveexec_b64 s[42:43], s[4:5]
	s_cbranch_execz .LBB185_107
; %bb.104:                              ;   in Loop: Header=BB185_13 Depth=1
	v_and_b32_e32 v37, 0xffff, v0
	v_and_b32_e32 v29, 0x7f, v37
	v_cmp_ne_u32_e64 s[4:5], s53, v29
	v_mov_b32_e32 v51, 0x7f800001
	s_and_saveexec_b64 s[44:45], s[4:5]
	s_cbranch_execz .LBB185_106
; %bb.105:                              ;   in Loop: Header=BB185_13 Depth=1
	v_and_b32_e32 v33, 7, v37
	v_lshrrev_b32_e32 v34, 3, v29
	v_cmp_gt_u32_e64 s[4:5], 8, v29
	v_ffbh_u32_e32 v29, v33
	v_min_u32_e32 v47, 32, v29
	v_subrev_u32_e32 v29, 28, v47
	v_lshlrev_b64 v[29:30], v29, v[37:38]
	v_sub_u32_e32 v30, 29, v47
	v_and_b32_e32 v29, 7, v29
	v_cndmask_b32_e64 v30, v34, v30, s[4:5]
	v_cndmask_b32_e64 v29, v33, v29, s[4:5]
	v_lshlrev_b32_e32 v0, 24, v0
	v_bfrev_b32_e32 v1, 60
	v_lshlrev_b32_e32 v29, 20, v29
	v_and_b32_e32 v0, 0x80000000, v0
	v_lshl_add_u32 v30, v30, 23, v1
	v_or3_b32 v51, v0, v30, v29
.LBB185_106:                            ;   in Loop: Header=BB185_13 Depth=1
	s_or_b64 exec, exec, s[44:45]
.LBB185_107:                            ;   in Loop: Header=BB185_13 Depth=1
	s_or_b64 exec, exec, s[42:43]
.LBB185_108:                            ;   in Loop: Header=BB185_13 Depth=1
	s_or_b64 exec, exec, s[40:41]
	global_load_ubyte v0, v[35:36], off offset:780
	s_waitcnt vmcnt(0)
	v_cmp_ne_u16_e64 s[4:5], 0, v0
	s_and_saveexec_b64 s[40:41], s[4:5]
	s_cbranch_execz .LBB185_114
; %bb.109:                              ;   in Loop: Header=BB185_13 Depth=1
	v_cmp_ne_u16_e64 s[4:5], s52, v0
	v_bfrev_b32_e32 v39, 1
	s_and_saveexec_b64 s[42:43], s[4:5]
	s_cbranch_execz .LBB185_113
; %bb.110:                              ;   in Loop: Header=BB185_13 Depth=1
	v_and_b32_e32 v37, 0xffff, v0
	v_and_b32_e32 v29, 0x7f, v37
	v_cmp_ne_u32_e64 s[4:5], s53, v29
	v_mov_b32_e32 v39, 0x7f800001
	s_and_saveexec_b64 s[44:45], s[4:5]
	s_cbranch_execz .LBB185_112
; %bb.111:                              ;   in Loop: Header=BB185_13 Depth=1
	v_and_b32_e32 v33, 7, v37
	v_lshrrev_b32_e32 v34, 3, v29
	v_cmp_gt_u32_e64 s[4:5], 8, v29
	v_ffbh_u32_e32 v29, v33
	v_min_u32_e32 v39, 32, v29
	v_subrev_u32_e32 v29, 28, v39
	v_lshlrev_b64 v[29:30], v29, v[37:38]
	v_sub_u32_e32 v30, 29, v39
	v_and_b32_e32 v29, 7, v29
	v_cndmask_b32_e64 v30, v34, v30, s[4:5]
	v_cndmask_b32_e64 v29, v33, v29, s[4:5]
	v_lshlrev_b32_e32 v0, 24, v0
	v_bfrev_b32_e32 v1, 60
	v_lshlrev_b32_e32 v29, 20, v29
	v_and_b32_e32 v0, 0x80000000, v0
	v_lshl_add_u32 v30, v30, 23, v1
	v_or3_b32 v39, v0, v30, v29
.LBB185_112:                            ;   in Loop: Header=BB185_13 Depth=1
	s_or_b64 exec, exec, s[44:45]
.LBB185_113:                            ;   in Loop: Header=BB185_13 Depth=1
	s_or_b64 exec, exec, s[42:43]
.LBB185_114:                            ;   in Loop: Header=BB185_13 Depth=1
	s_or_b64 exec, exec, s[40:41]
	global_load_ubyte v0, v[35:36], off offset:1024
	v_mov_b32_e32 v29, 0
	v_mov_b32_e32 v30, 0
	s_waitcnt vmcnt(0)
	v_cmp_ne_u16_e64 s[4:5], 0, v0
	s_and_saveexec_b64 s[40:41], s[4:5]
	s_cbranch_execz .LBB185_120
; %bb.115:                              ;   in Loop: Header=BB185_13 Depth=1
	v_cmp_ne_u16_e64 s[4:5], s52, v0
	v_bfrev_b32_e32 v30, 1
	s_and_saveexec_b64 s[42:43], s[4:5]
	s_cbranch_execz .LBB185_119
; %bb.116:                              ;   in Loop: Header=BB185_13 Depth=1
	v_and_b32_e32 v37, 0xffff, v0
	v_and_b32_e32 v33, 0x7f, v37
	v_cmp_ne_u32_e64 s[4:5], s53, v33
	v_mov_b32_e32 v30, 0x7f800001
	s_and_saveexec_b64 s[44:45], s[4:5]
	s_cbranch_execz .LBB185_118
; %bb.117:                              ;   in Loop: Header=BB185_13 Depth=1
	v_and_b32_e32 v30, 7, v37
	v_lshrrev_b32_e32 v47, 3, v33
	v_cmp_gt_u32_e64 s[4:5], 8, v33
	v_ffbh_u32_e32 v33, v30
	v_min_u32_e32 v48, 32, v33
	v_subrev_u32_e32 v33, 28, v48
	v_lshlrev_b64 v[33:34], v33, v[37:38]
	v_sub_u32_e32 v34, 29, v48
	v_and_b32_e32 v33, 7, v33
	v_cndmask_b32_e64 v34, v47, v34, s[4:5]
	v_cndmask_b32_e64 v30, v30, v33, s[4:5]
	v_lshlrev_b32_e32 v0, 24, v0
	v_bfrev_b32_e32 v1, 60
	v_lshlrev_b32_e32 v30, 20, v30
	v_and_b32_e32 v0, 0x80000000, v0
	v_lshl_add_u32 v33, v34, 23, v1
	v_or3_b32 v30, v0, v33, v30
.LBB185_118:                            ;   in Loop: Header=BB185_13 Depth=1
	s_or_b64 exec, exec, s[44:45]
.LBB185_119:                            ;   in Loop: Header=BB185_13 Depth=1
	s_or_b64 exec, exec, s[42:43]
.LBB185_120:                            ;   in Loop: Header=BB185_13 Depth=1
	s_or_b64 exec, exec, s[40:41]
	global_load_ubyte v0, v[35:36], off offset:1028
	s_waitcnt vmcnt(0)
	v_cmp_ne_u16_e64 s[4:5], 0, v0
	s_and_saveexec_b64 s[40:41], s[4:5]
	s_cbranch_execz .LBB185_126
; %bb.121:                              ;   in Loop: Header=BB185_13 Depth=1
	v_cmp_ne_u16_e64 s[4:5], s52, v0
	v_bfrev_b32_e32 v29, 1
	s_and_saveexec_b64 s[42:43], s[4:5]
	s_cbranch_execz .LBB185_125
; %bb.122:                              ;   in Loop: Header=BB185_13 Depth=1
	v_and_b32_e32 v37, 0xffff, v0
	v_and_b32_e32 v33, 0x7f, v37
	v_cmp_ne_u32_e64 s[4:5], s53, v33
	v_mov_b32_e32 v29, 0x7f800001
	s_and_saveexec_b64 s[44:45], s[4:5]
	s_cbranch_execz .LBB185_124
; %bb.123:                              ;   in Loop: Header=BB185_13 Depth=1
	v_and_b32_e32 v29, 7, v37
	v_lshrrev_b32_e32 v47, 3, v33
	v_cmp_gt_u32_e64 s[4:5], 8, v33
	v_ffbh_u32_e32 v33, v29
	v_min_u32_e32 v48, 32, v33
	v_subrev_u32_e32 v33, 28, v48
	v_lshlrev_b64 v[33:34], v33, v[37:38]
	v_sub_u32_e32 v34, 29, v48
	v_and_b32_e32 v33, 7, v33
	v_cndmask_b32_e64 v34, v47, v34, s[4:5]
	v_cndmask_b32_e64 v29, v29, v33, s[4:5]
	v_lshlrev_b32_e32 v0, 24, v0
	v_bfrev_b32_e32 v1, 60
	v_lshlrev_b32_e32 v29, 20, v29
	v_and_b32_e32 v0, 0x80000000, v0
	v_lshl_add_u32 v33, v34, 23, v1
	v_or3_b32 v29, v0, v33, v29
.LBB185_124:                            ;   in Loop: Header=BB185_13 Depth=1
	s_or_b64 exec, exec, s[44:45]
.LBB185_125:                            ;   in Loop: Header=BB185_13 Depth=1
	s_or_b64 exec, exec, s[42:43]
.LBB185_126:                            ;   in Loop: Header=BB185_13 Depth=1
	s_or_b64 exec, exec, s[40:41]
	global_load_ubyte v33, v[35:36], off offset:1032
	v_mov_b32_e32 v53, 0
	v_mov_b32_e32 v0, 0
	s_waitcnt vmcnt(0)
	v_cmp_ne_u16_e64 s[4:5], 0, v33
	s_and_saveexec_b64 s[40:41], s[4:5]
	s_cbranch_execz .LBB185_132
; %bb.127:                              ;   in Loop: Header=BB185_13 Depth=1
	v_cmp_ne_u16_e64 s[4:5], s52, v33
	v_bfrev_b32_e32 v0, 1
	s_and_saveexec_b64 s[42:43], s[4:5]
	s_cbranch_execz .LBB185_131
; %bb.128:                              ;   in Loop: Header=BB185_13 Depth=1
	v_and_b32_e32 v37, 0xffff, v33
	v_and_b32_e32 v34, 0x7f, v37
	v_cmp_ne_u32_e64 s[4:5], s53, v34
	v_mov_b32_e32 v0, 0x7f800001
	s_and_saveexec_b64 s[44:45], s[4:5]
	s_cbranch_execz .LBB185_130
; %bb.129:                              ;   in Loop: Header=BB185_13 Depth=1
	v_and_b32_e32 v0, 7, v37
	v_lshrrev_b32_e32 v49, 3, v34
	v_cmp_gt_u32_e64 s[4:5], 8, v34
	v_ffbh_u32_e32 v34, v0
	v_min_u32_e32 v34, 32, v34
	v_subrev_u32_e32 v47, 28, v34
	v_lshlrev_b64 v[47:48], v47, v[37:38]
	v_sub_u32_e32 v34, 29, v34
	v_and_b32_e32 v37, 7, v47
	v_cndmask_b32_e64 v34, v49, v34, s[4:5]
	v_cndmask_b32_e64 v0, v0, v37, s[4:5]
	v_lshlrev_b32_e32 v33, 24, v33
	v_bfrev_b32_e32 v1, 60
	v_lshlrev_b32_e32 v0, 20, v0
	v_and_b32_e32 v33, 0x80000000, v33
	v_lshl_add_u32 v34, v34, 23, v1
	v_or3_b32 v0, v33, v34, v0
.LBB185_130:                            ;   in Loop: Header=BB185_13 Depth=1
	s_or_b64 exec, exec, s[44:45]
.LBB185_131:                            ;   in Loop: Header=BB185_13 Depth=1
	s_or_b64 exec, exec, s[42:43]
.LBB185_132:                            ;   in Loop: Header=BB185_13 Depth=1
	s_or_b64 exec, exec, s[40:41]
	global_load_ubyte v33, v[35:36], off offset:1036
	s_waitcnt vmcnt(0)
	v_cmp_ne_u16_e64 s[4:5], 0, v33
	s_and_saveexec_b64 s[40:41], s[4:5]
	s_cbranch_execz .LBB185_138
; %bb.133:                              ;   in Loop: Header=BB185_13 Depth=1
	v_cmp_ne_u16_e64 s[4:5], s52, v33
	v_bfrev_b32_e32 v53, 1
	s_and_saveexec_b64 s[42:43], s[4:5]
	s_cbranch_execz .LBB185_137
; %bb.134:                              ;   in Loop: Header=BB185_13 Depth=1
	v_and_b32_e32 v37, 0xffff, v33
	v_and_b32_e32 v34, 0x7f, v37
	v_cmp_ne_u32_e64 s[4:5], s53, v34
	v_mov_b32_e32 v53, 0x7f800001
	s_and_saveexec_b64 s[44:45], s[4:5]
	s_cbranch_execz .LBB185_136
; %bb.135:                              ;   in Loop: Header=BB185_13 Depth=1
	v_and_b32_e32 v49, 7, v37
	v_lshrrev_b32_e32 v53, 3, v34
	v_cmp_gt_u32_e64 s[4:5], 8, v34
	v_ffbh_u32_e32 v34, v49
	v_min_u32_e32 v34, 32, v34
	v_subrev_u32_e32 v47, 28, v34
	v_lshlrev_b64 v[47:48], v47, v[37:38]
	v_sub_u32_e32 v34, 29, v34
	v_and_b32_e32 v37, 7, v47
	v_cndmask_b32_e64 v34, v53, v34, s[4:5]
	v_cndmask_b32_e64 v37, v49, v37, s[4:5]
	v_lshlrev_b32_e32 v33, 24, v33
	v_bfrev_b32_e32 v1, 60
	v_lshlrev_b32_e32 v37, 20, v37
	v_and_b32_e32 v33, 0x80000000, v33
	v_lshl_add_u32 v34, v34, 23, v1
	v_or3_b32 v53, v33, v34, v37
.LBB185_136:                            ;   in Loop: Header=BB185_13 Depth=1
	s_or_b64 exec, exec, s[44:45]
.LBB185_137:                            ;   in Loop: Header=BB185_13 Depth=1
	s_or_b64 exec, exec, s[42:43]
.LBB185_138:                            ;   in Loop: Header=BB185_13 Depth=1
	s_or_b64 exec, exec, s[40:41]
	global_load_ubyte v33, v[35:36], off offset:1280
	v_mov_b32_e32 v48, 0
	v_mov_b32_e32 v49, 0
	s_waitcnt vmcnt(0)
	v_cmp_ne_u16_e64 s[4:5], 0, v33
	s_and_saveexec_b64 s[40:41], s[4:5]
	s_cbranch_execz .LBB185_144
; %bb.139:                              ;   in Loop: Header=BB185_13 Depth=1
	v_cmp_ne_u16_e64 s[4:5], s52, v33
	v_bfrev_b32_e32 v49, 1
	s_and_saveexec_b64 s[42:43], s[4:5]
	s_cbranch_execz .LBB185_143
; %bb.140:                              ;   in Loop: Header=BB185_13 Depth=1
	v_and_b32_e32 v37, 0xffff, v33
	v_and_b32_e32 v34, 0x7f, v37
	v_cmp_ne_u32_e64 s[4:5], s53, v34
	v_mov_b32_e32 v49, 0x7f800001
	s_and_saveexec_b64 s[44:45], s[4:5]
	s_cbranch_execz .LBB185_142
; %bb.141:                              ;   in Loop: Header=BB185_13 Depth=1
	v_and_b32_e32 v47, 7, v37
	v_lshrrev_b32_e32 v49, 3, v34
	v_cmp_gt_u32_e64 s[4:5], 8, v34
	v_ffbh_u32_e32 v34, v47
	v_min_u32_e32 v34, 32, v34
	v_subrev_u32_e32 v54, 28, v34
	v_lshlrev_b64 v[56:57], v54, v[37:38]
	v_sub_u32_e32 v34, 29, v34
	v_and_b32_e32 v37, 7, v56
	v_cndmask_b32_e64 v34, v49, v34, s[4:5]
	v_cndmask_b32_e64 v37, v47, v37, s[4:5]
	v_lshlrev_b32_e32 v33, 24, v33
	v_bfrev_b32_e32 v1, 60
	v_lshlrev_b32_e32 v37, 20, v37
	v_and_b32_e32 v33, 0x80000000, v33
	v_lshl_add_u32 v34, v34, 23, v1
	v_or3_b32 v49, v33, v34, v37
.LBB185_142:                            ;   in Loop: Header=BB185_13 Depth=1
	s_or_b64 exec, exec, s[44:45]
.LBB185_143:                            ;   in Loop: Header=BB185_13 Depth=1
	s_or_b64 exec, exec, s[42:43]
.LBB185_144:                            ;   in Loop: Header=BB185_13 Depth=1
	s_or_b64 exec, exec, s[40:41]
	global_load_ubyte v33, v[35:36], off offset:1284
	s_waitcnt vmcnt(0)
	v_cmp_ne_u16_e64 s[4:5], 0, v33
	s_and_saveexec_b64 s[40:41], s[4:5]
	s_cbranch_execz .LBB185_150
; %bb.145:                              ;   in Loop: Header=BB185_13 Depth=1
	v_cmp_ne_u16_e64 s[4:5], s52, v33
	v_bfrev_b32_e32 v48, 1
	s_and_saveexec_b64 s[42:43], s[4:5]
	s_cbranch_execz .LBB185_149
; %bb.146:                              ;   in Loop: Header=BB185_13 Depth=1
	v_and_b32_e32 v37, 0xffff, v33
	v_and_b32_e32 v34, 0x7f, v37
	v_cmp_ne_u32_e64 s[4:5], s53, v34
	v_mov_b32_e32 v48, 0x7f800001
	s_and_saveexec_b64 s[44:45], s[4:5]
	s_cbranch_execz .LBB185_148
; %bb.147:                              ;   in Loop: Header=BB185_13 Depth=1
	v_and_b32_e32 v54, 7, v37
	v_lshrrev_b32_e32 v56, 3, v34
	v_cmp_gt_u32_e64 s[4:5], 8, v34
	v_ffbh_u32_e32 v34, v54
	v_min_u32_e32 v34, 32, v34
	v_subrev_u32_e32 v47, 28, v34
	v_lshlrev_b64 v[47:48], v47, v[37:38]
	v_sub_u32_e32 v34, 29, v34
	v_and_b32_e32 v37, 7, v47
	v_cndmask_b32_e64 v34, v56, v34, s[4:5]
	v_cndmask_b32_e64 v37, v54, v37, s[4:5]
	v_lshlrev_b32_e32 v33, 24, v33
	v_bfrev_b32_e32 v1, 60
	v_lshlrev_b32_e32 v37, 20, v37
	v_and_b32_e32 v33, 0x80000000, v33
	v_lshl_add_u32 v34, v34, 23, v1
	v_or3_b32 v48, v33, v34, v37
.LBB185_148:                            ;   in Loop: Header=BB185_13 Depth=1
	s_or_b64 exec, exec, s[44:45]
.LBB185_149:                            ;   in Loop: Header=BB185_13 Depth=1
	s_or_b64 exec, exec, s[42:43]
.LBB185_150:                            ;   in Loop: Header=BB185_13 Depth=1
	s_or_b64 exec, exec, s[40:41]
	global_load_ubyte v34, v[35:36], off offset:1288
	v_mov_b32_e32 v54, 0
	v_mov_b32_e32 v33, 0
	s_waitcnt vmcnt(0)
	v_cmp_ne_u16_e64 s[4:5], 0, v34
	s_and_saveexec_b64 s[40:41], s[4:5]
	s_cbranch_execz .LBB185_156
; %bb.151:                              ;   in Loop: Header=BB185_13 Depth=1
	v_cmp_ne_u16_e64 s[4:5], s52, v34
	v_bfrev_b32_e32 v33, 1
	s_and_saveexec_b64 s[42:43], s[4:5]
	s_cbranch_execz .LBB185_155
; %bb.152:                              ;   in Loop: Header=BB185_13 Depth=1
	v_and_b32_e32 v37, 0xffff, v34
	v_and_b32_e32 v56, 0x7f, v37
	v_cmp_ne_u32_e64 s[4:5], s53, v56
	v_mov_b32_e32 v33, 0x7f800001
	s_and_saveexec_b64 s[44:45], s[4:5]
	s_cbranch_execz .LBB185_154
; %bb.153:                              ;   in Loop: Header=BB185_13 Depth=1
	v_and_b32_e32 v33, 7, v37
	v_lshrrev_b32_e32 v47, 3, v56
	v_cmp_gt_u32_e64 s[4:5], 8, v56
	v_ffbh_u32_e32 v56, v33
	v_min_u32_e32 v58, 32, v56
	v_subrev_u32_e32 v56, 28, v58
	v_lshlrev_b64 v[56:57], v56, v[37:38]
	v_sub_u32_e32 v37, 29, v58
	v_and_b32_e32 v56, 7, v56
	v_cndmask_b32_e64 v37, v47, v37, s[4:5]
	v_cndmask_b32_e64 v33, v33, v56, s[4:5]
	v_lshlrev_b32_e32 v34, 24, v34
	v_bfrev_b32_e32 v1, 60
	v_lshlrev_b32_e32 v33, 20, v33
	v_and_b32_e32 v34, 0x80000000, v34
	v_lshl_add_u32 v37, v37, 23, v1
	v_or3_b32 v33, v34, v37, v33
.LBB185_154:                            ;   in Loop: Header=BB185_13 Depth=1
	s_or_b64 exec, exec, s[44:45]
.LBB185_155:                            ;   in Loop: Header=BB185_13 Depth=1
	s_or_b64 exec, exec, s[42:43]
.LBB185_156:                            ;   in Loop: Header=BB185_13 Depth=1
	s_or_b64 exec, exec, s[40:41]
	global_load_ubyte v34, v[35:36], off offset:1292
	s_waitcnt vmcnt(0)
	v_cmp_ne_u16_e64 s[4:5], 0, v34
	s_and_saveexec_b64 s[40:41], s[4:5]
	s_cbranch_execz .LBB185_162
; %bb.157:                              ;   in Loop: Header=BB185_13 Depth=1
	v_cmp_ne_u16_e64 s[4:5], s52, v34
	v_bfrev_b32_e32 v54, 1
	s_and_saveexec_b64 s[42:43], s[4:5]
	s_cbranch_execz .LBB185_161
; %bb.158:                              ;   in Loop: Header=BB185_13 Depth=1
	v_and_b32_e32 v37, 0xffff, v34
	v_and_b32_e32 v56, 0x7f, v37
	v_cmp_ne_u32_e64 s[4:5], s53, v56
	v_mov_b32_e32 v54, 0x7f800001
	s_and_saveexec_b64 s[44:45], s[4:5]
	s_cbranch_execz .LBB185_160
; %bb.159:                              ;   in Loop: Header=BB185_13 Depth=1
	v_and_b32_e32 v47, 7, v37
	v_lshrrev_b32_e32 v54, 3, v56
	v_cmp_gt_u32_e64 s[4:5], 8, v56
	v_ffbh_u32_e32 v56, v47
	v_min_u32_e32 v58, 32, v56
	v_subrev_u32_e32 v56, 28, v58
	v_lshlrev_b64 v[56:57], v56, v[37:38]
	v_sub_u32_e32 v37, 29, v58
	v_and_b32_e32 v56, 7, v56
	v_cndmask_b32_e64 v37, v54, v37, s[4:5]
	v_cndmask_b32_e64 v47, v47, v56, s[4:5]
	v_lshlrev_b32_e32 v34, 24, v34
	v_bfrev_b32_e32 v1, 60
	v_lshlrev_b32_e32 v47, 20, v47
	v_and_b32_e32 v34, 0x80000000, v34
	v_lshl_add_u32 v37, v37, 23, v1
	v_or3_b32 v54, v34, v37, v47
.LBB185_160:                            ;   in Loop: Header=BB185_13 Depth=1
	s_or_b64 exec, exec, s[44:45]
.LBB185_161:                            ;   in Loop: Header=BB185_13 Depth=1
	s_or_b64 exec, exec, s[42:43]
.LBB185_162:                            ;   in Loop: Header=BB185_13 Depth=1
	s_or_b64 exec, exec, s[40:41]
	global_load_ubyte v57, v[35:36], off offset:1536
	v_mov_b32_e32 v34, 0
	v_mov_b32_e32 v56, 0
	s_waitcnt vmcnt(0)
	v_cmp_ne_u16_e64 s[4:5], 0, v57
	s_and_saveexec_b64 s[40:41], s[4:5]
	s_cbranch_execz .LBB185_168
; %bb.163:                              ;   in Loop: Header=BB185_13 Depth=1
	v_cmp_ne_u16_e64 s[4:5], s52, v57
	v_bfrev_b32_e32 v56, 1
	s_and_saveexec_b64 s[42:43], s[4:5]
	s_cbranch_execz .LBB185_167
; %bb.164:                              ;   in Loop: Header=BB185_13 Depth=1
	v_and_b32_e32 v37, 0xffff, v57
	v_and_b32_e32 v58, 0x7f, v37
	v_cmp_ne_u32_e64 s[4:5], s53, v58
	v_mov_b32_e32 v56, 0x7f800001
	s_and_saveexec_b64 s[44:45], s[4:5]
	s_cbranch_execz .LBB185_166
; %bb.165:                              ;   in Loop: Header=BB185_13 Depth=1
	v_and_b32_e32 v47, 7, v37
	v_lshrrev_b32_e32 v56, 3, v58
	v_cmp_gt_u32_e64 s[4:5], 8, v58
	v_ffbh_u32_e32 v58, v47
	v_min_u32_e32 v60, 32, v58
	v_subrev_u32_e32 v58, 28, v60
	v_lshlrev_b64 v[58:59], v58, v[37:38]
	v_sub_u32_e32 v37, 29, v60
	v_and_b32_e32 v58, 7, v58
	v_cndmask_b32_e64 v37, v56, v37, s[4:5]
	v_cndmask_b32_e64 v47, v47, v58, s[4:5]
	v_lshlrev_b32_e32 v56, 24, v57
	v_bfrev_b32_e32 v1, 60
	v_lshlrev_b32_e32 v47, 20, v47
	v_and_b32_e32 v56, 0x80000000, v56
	v_lshl_add_u32 v37, v37, 23, v1
	v_or3_b32 v56, v56, v37, v47
.LBB185_166:                            ;   in Loop: Header=BB185_13 Depth=1
	s_or_b64 exec, exec, s[44:45]
.LBB185_167:                            ;   in Loop: Header=BB185_13 Depth=1
	s_or_b64 exec, exec, s[42:43]
.LBB185_168:                            ;   in Loop: Header=BB185_13 Depth=1
	s_or_b64 exec, exec, s[40:41]
	global_load_ubyte v57, v[35:36], off offset:1540
	s_waitcnt vmcnt(0)
	v_cmp_ne_u16_e64 s[4:5], 0, v57
	s_and_saveexec_b64 s[40:41], s[4:5]
	s_cbranch_execz .LBB185_174
; %bb.169:                              ;   in Loop: Header=BB185_13 Depth=1
	v_cmp_ne_u16_e64 s[4:5], s52, v57
	v_bfrev_b32_e32 v34, 1
	s_and_saveexec_b64 s[42:43], s[4:5]
	s_cbranch_execz .LBB185_173
; %bb.170:                              ;   in Loop: Header=BB185_13 Depth=1
	v_and_b32_e32 v37, 0xffff, v57
	v_and_b32_e32 v58, 0x7f, v37
	v_cmp_ne_u32_e64 s[4:5], s53, v58
	v_mov_b32_e32 v34, 0x7f800001
	s_and_saveexec_b64 s[44:45], s[4:5]
	s_cbranch_execz .LBB185_172
; %bb.171:                              ;   in Loop: Header=BB185_13 Depth=1
	v_and_b32_e32 v34, 7, v37
	v_lshrrev_b32_e32 v47, 3, v58
	v_cmp_gt_u32_e64 s[4:5], 8, v58
	v_ffbh_u32_e32 v58, v34
	v_min_u32_e32 v60, 32, v58
	v_subrev_u32_e32 v58, 28, v60
	v_lshlrev_b64 v[58:59], v58, v[37:38]
	v_sub_u32_e32 v37, 29, v60
	v_and_b32_e32 v58, 7, v58
	v_cndmask_b32_e64 v37, v47, v37, s[4:5]
	v_cndmask_b32_e64 v34, v34, v58, s[4:5]
	v_lshlrev_b32_e32 v47, 24, v57
	v_bfrev_b32_e32 v1, 60
	v_lshlrev_b32_e32 v34, 20, v34
	v_and_b32_e32 v47, 0x80000000, v47
	v_lshl_add_u32 v37, v37, 23, v1
	v_or3_b32 v34, v47, v37, v34
.LBB185_172:                            ;   in Loop: Header=BB185_13 Depth=1
	s_or_b64 exec, exec, s[44:45]
.LBB185_173:                            ;   in Loop: Header=BB185_13 Depth=1
	s_or_b64 exec, exec, s[42:43]
.LBB185_174:                            ;   in Loop: Header=BB185_13 Depth=1
	s_or_b64 exec, exec, s[40:41]
	global_load_ubyte v59, v[35:36], off offset:1544
	v_mov_b32_e32 v57, 0
	v_mov_b32_e32 v58, 0
	s_waitcnt vmcnt(0)
	v_cmp_ne_u16_e64 s[4:5], 0, v59
	s_and_saveexec_b64 s[40:41], s[4:5]
	s_cbranch_execz .LBB185_180
; %bb.175:                              ;   in Loop: Header=BB185_13 Depth=1
	v_cmp_ne_u16_e64 s[4:5], s52, v59
	v_bfrev_b32_e32 v58, 1
	s_and_saveexec_b64 s[42:43], s[4:5]
	s_cbranch_execz .LBB185_179
; %bb.176:                              ;   in Loop: Header=BB185_13 Depth=1
	v_and_b32_e32 v37, 0xffff, v59
	v_and_b32_e32 v60, 0x7f, v37
	v_cmp_ne_u32_e64 s[4:5], s53, v60
	v_mov_b32_e32 v58, 0x7f800001
	s_and_saveexec_b64 s[44:45], s[4:5]
	s_cbranch_execz .LBB185_178
; %bb.177:                              ;   in Loop: Header=BB185_13 Depth=1
	v_and_b32_e32 v47, 7, v37
	v_lshrrev_b32_e32 v58, 3, v60
	v_cmp_gt_u32_e64 s[4:5], 8, v60
	v_ffbh_u32_e32 v60, v47
	v_mov_b32_e32 v1, v62
	v_min_u32_e32 v62, 32, v60
	v_subrev_u32_e32 v60, 28, v62
	v_lshlrev_b64 v[60:61], v60, v[37:38]
	v_sub_u32_e32 v37, 29, v62
	v_and_b32_e32 v60, 7, v60
	v_mov_b32_e32 v62, v1
	v_cndmask_b32_e64 v37, v58, v37, s[4:5]
	v_cndmask_b32_e64 v47, v47, v60, s[4:5]
	v_lshlrev_b32_e32 v58, 24, v59
	v_bfrev_b32_e32 v1, 60
	v_lshlrev_b32_e32 v47, 20, v47
	v_and_b32_e32 v58, 0x80000000, v58
	v_lshl_add_u32 v37, v37, 23, v1
	v_or3_b32 v58, v58, v37, v47
.LBB185_178:                            ;   in Loop: Header=BB185_13 Depth=1
	s_or_b64 exec, exec, s[44:45]
.LBB185_179:                            ;   in Loop: Header=BB185_13 Depth=1
	s_or_b64 exec, exec, s[42:43]
.LBB185_180:                            ;   in Loop: Header=BB185_13 Depth=1
	s_or_b64 exec, exec, s[40:41]
	global_load_ubyte v59, v[35:36], off offset:1548
	s_waitcnt vmcnt(0)
	v_cmp_ne_u16_e64 s[4:5], 0, v59
	s_and_saveexec_b64 s[40:41], s[4:5]
	s_cbranch_execz .LBB185_186
; %bb.181:                              ;   in Loop: Header=BB185_13 Depth=1
	v_cmp_ne_u16_e64 s[4:5], s52, v59
	v_bfrev_b32_e32 v57, 1
	s_and_saveexec_b64 s[42:43], s[4:5]
	s_cbranch_execz .LBB185_185
; %bb.182:                              ;   in Loop: Header=BB185_13 Depth=1
	v_and_b32_e32 v37, 0xffff, v59
	v_and_b32_e32 v60, 0x7f, v37
	v_cmp_ne_u32_e64 s[4:5], s53, v60
	v_mov_b32_e32 v57, 0x7f800001
	s_and_saveexec_b64 s[44:45], s[4:5]
	s_cbranch_execz .LBB185_184
; %bb.183:                              ;   in Loop: Header=BB185_13 Depth=1
	v_and_b32_e32 v47, 7, v37
	v_lshrrev_b32_e32 v57, 3, v60
	v_cmp_gt_u32_e64 s[4:5], 8, v60
	v_ffbh_u32_e32 v60, v47
	v_mov_b32_e32 v1, v62
	v_min_u32_e32 v62, 32, v60
	v_subrev_u32_e32 v60, 28, v62
	v_lshlrev_b64 v[60:61], v60, v[37:38]
	v_sub_u32_e32 v37, 29, v62
	v_and_b32_e32 v60, 7, v60
	v_mov_b32_e32 v62, v1
	v_cndmask_b32_e64 v37, v57, v37, s[4:5]
	v_cndmask_b32_e64 v47, v47, v60, s[4:5]
	v_lshlrev_b32_e32 v57, 24, v59
	v_bfrev_b32_e32 v1, 60
	v_lshlrev_b32_e32 v47, 20, v47
	v_and_b32_e32 v57, 0x80000000, v57
	v_lshl_add_u32 v37, v37, 23, v1
	v_or3_b32 v57, v57, v37, v47
.LBB185_184:                            ;   in Loop: Header=BB185_13 Depth=1
	s_or_b64 exec, exec, s[44:45]
.LBB185_185:                            ;   in Loop: Header=BB185_13 Depth=1
	s_or_b64 exec, exec, s[42:43]
.LBB185_186:                            ;   in Loop: Header=BB185_13 Depth=1
	s_or_b64 exec, exec, s[40:41]
	global_load_ubyte v61, v[35:36], off offset:1792
	v_mov_b32_e32 v59, 0
	v_mov_b32_e32 v60, 0
	s_waitcnt vmcnt(0)
	v_cmp_ne_u16_e64 s[4:5], 0, v61
	s_and_saveexec_b64 s[40:41], s[4:5]
	s_cbranch_execz .LBB185_192
; %bb.187:                              ;   in Loop: Header=BB185_13 Depth=1
	v_cmp_ne_u16_e64 s[4:5], s52, v61
	v_bfrev_b32_e32 v60, 1
	s_and_saveexec_b64 s[42:43], s[4:5]
	s_cbranch_execz .LBB185_191
; %bb.188:                              ;   in Loop: Header=BB185_13 Depth=1
	v_and_b32_e32 v37, 0xffff, v61
	v_and_b32_e32 v47, 0x7f, v37
	v_cmp_ne_u32_e64 s[4:5], s53, v47
	v_mov_b32_e32 v60, 0x7f800001
	s_and_saveexec_b64 s[44:45], s[4:5]
	s_cbranch_execz .LBB185_190
; %bb.189:                              ;   in Loop: Header=BB185_13 Depth=1
	v_and_b32_e32 v60, 7, v37
	v_mov_b32_e32 v1, v43
	v_mov_b32_e32 v26, v46
	;; [unrolled: 1-line block ×3, first 2 shown]
	v_lshrrev_b32_e32 v40, 3, v47
	v_cmp_gt_u32_e64 s[4:5], 8, v47
	v_ffbh_u32_e32 v47, v60
	v_mov_b32_e32 v45, v23
	v_mov_b32_e32 v44, v22
	;; [unrolled: 1-line block ×4, first 2 shown]
	v_min_u32_e32 v47, 32, v47
	v_mov_b32_e32 v21, v19
	v_mov_b32_e32 v20, v18
	;; [unrolled: 1-line block ×6, first 2 shown]
	v_subrev_u32_e32 v62, 28, v47
	v_mov_b32_e32 v17, v15
	v_mov_b32_e32 v16, v14
	;; [unrolled: 1-line block ×3, first 2 shown]
	v_lshlrev_b64 v[5:6], v62, v[37:38]
	v_mov_b32_e32 v13, v15
	v_mov_b32_e32 v14, v16
	;; [unrolled: 1-line block ×5, first 2 shown]
	v_sub_u32_e32 v37, 29, v47
	v_and_b32_e32 v47, 7, v5
	v_mov_b32_e32 v18, v20
	v_mov_b32_e32 v19, v21
	;; [unrolled: 1-line block ×8, first 2 shown]
	v_cndmask_b32_e64 v37, v40, v37, s[4:5]
	v_cndmask_b32_e64 v40, v60, v47, s[4:5]
	v_lshlrev_b32_e32 v47, 24, v61
	v_bfrev_b32_e32 v1, 60
	v_lshlrev_b32_e32 v40, 20, v40
	v_and_b32_e32 v47, 0x80000000, v47
	v_lshl_add_u32 v37, v37, 23, v1
	v_mov_b32_e32 v62, v3
	v_mov_b32_e32 v46, v26
	v_or3_b32 v60, v47, v37, v40
	v_mov_b32_e32 v3, v2
.LBB185_190:                            ;   in Loop: Header=BB185_13 Depth=1
	s_or_b64 exec, exec, s[44:45]
.LBB185_191:                            ;   in Loop: Header=BB185_13 Depth=1
	s_or_b64 exec, exec, s[42:43]
.LBB185_192:                            ;   in Loop: Header=BB185_13 Depth=1
	s_or_b64 exec, exec, s[40:41]
	global_load_ubyte v36, v[35:36], off offset:1796
	v_mov_b32_e32 v9, v8
	v_mov_b32_e32 v2, v43
	s_waitcnt vmcnt(0)
	v_cmp_ne_u16_e64 s[4:5], 0, v36
	s_and_saveexec_b64 s[40:41], s[4:5]
	s_cbranch_execz .LBB185_198
; %bb.193:                              ;   in Loop: Header=BB185_13 Depth=1
	v_cmp_ne_u16_e64 s[4:5], s52, v36
	v_bfrev_b32_e32 v59, 1
	s_and_saveexec_b64 s[42:43], s[4:5]
	s_cbranch_execz .LBB185_197
; %bb.194:                              ;   in Loop: Header=BB185_13 Depth=1
	v_and_b32_e32 v35, 0xffff, v36
	v_and_b32_e32 v37, 0x7f, v35
	v_cmp_ne_u32_e64 s[4:5], s53, v37
	v_mov_b32_e32 v59, 0x7f800001
	s_and_saveexec_b64 s[44:45], s[4:5]
	s_cbranch_execz .LBB185_196
; %bb.195:                              ;   in Loop: Header=BB185_13 Depth=1
	v_and_b32_e32 v40, 7, v35
	v_lshrrev_b32_e32 v47, 3, v37
	v_cmp_gt_u32_e64 s[4:5], 8, v37
	v_ffbh_u32_e32 v37, v40
	v_min_u32_e32 v37, 32, v37
	v_subrev_u32_e32 v59, 28, v37
	v_mov_b32_e32 v1, v62
	v_lshlrev_b64 v[61:62], v59, v[35:36]
	v_sub_u32_e32 v35, 29, v37
	v_and_b32_e32 v37, 7, v61
	v_mov_b32_e32 v62, v1
	v_cndmask_b32_e64 v35, v47, v35, s[4:5]
	v_cndmask_b32_e64 v37, v40, v37, s[4:5]
	v_lshlrev_b32_e32 v36, 24, v36
	v_bfrev_b32_e32 v1, 60
	v_lshlrev_b32_e32 v37, 20, v37
	v_and_b32_e32 v36, 0x80000000, v36
	v_lshl_add_u32 v35, v35, 23, v1
	v_or3_b32 v59, v36, v35, v37
.LBB185_196:                            ;   in Loop: Header=BB185_13 Depth=1
	s_or_b64 exec, exec, s[44:45]
.LBB185_197:                            ;   in Loop: Header=BB185_13 Depth=1
	s_or_b64 exec, exec, s[42:43]
.LBB185_198:                            ;   in Loop: Header=BB185_13 Depth=1
	s_or_b64 exec, exec, s[40:41]
	buffer_load_dword v1, off, s[56:59], 0 offset:4 ; 4-byte Folded Reload
	v_mul_f32_e32 v61, s54, v3
	v_mul_f32_e32 v25, s54, v60
	v_mul_f32_e32 v37, s54, v56
	v_mul_f32_e32 v56, s54, v9
	v_mul_f32_e32 v40, s54, v53
	v_mul_f32_e32 v53, s54, v27
	v_mul_f32_e32 v45, s54, v10
	v_mul_f32_e32 v47, s54, v51
	v_mul_f32_e32 v51, s54, v28
	v_mul_f32_e32 v43, s54, v12
	v_mul_f32_e32 v44, s54, v38
	v_mul_f32_e32 v38, s54, v11
	v_mul_f32_e32 v46, s54, v46
	v_mul_f32_e32 v39, s54, v39
	v_mul_f32_e32 v30, s54, v30
	v_mul_f32_e32 v29, s54, v29
	v_mul_f32_e32 v0, s54, v0
	v_mul_f32_e32 v49, s54, v49
	v_mul_f32_e32 v48, s54, v48
	v_mul_f32_e32 v33, s54, v33
	v_mul_f32_e32 v54, s54, v54
	v_mul_f32_e32 v34, s54, v34
	v_mul_f32_e32 v59, s54, v59
	s_waitcnt vmcnt(0)
	v_mul_f32_e32 v35, s54, v1
	buffer_load_dword v1, off, s[56:59], 0  ; 4-byte Folded Reload
	buffer_load_dword v5, off, s[56:59], 0 offset:40 ; 4-byte Folded Reload
	buffer_load_dword v6, off, s[56:59], 0 offset:44 ; 4-byte Folded Reload
	;; [unrolled: 1-line block ×4, first 2 shown]
	s_waitcnt vmcnt(2)
	v_mul_f32_e32 v26, v6, v35
	v_mul_f32_e32 v36, s54, v1
	buffer_load_dword v1, off, s[56:59], 0 offset:8 ; 4-byte Folded Reload
	v_fmac_f32_e32 v26, v5, v36
	v_mul_f32_e32 v35, s54, v57
	v_mul_f32_e32 v57, s54, v2
	s_waitcnt vmcnt(2)
	v_fmac_f32_e32 v26, v7, v61
	buffer_load_dword v2, off, s[56:59], 0 offset:96 ; 4-byte Folded Reload
	v_mul_f32_e32 v36, s54, v58
	v_mul_f32_e32 v58, s54, v63
	s_waitcnt vmcnt(1)
	v_mul_f32_e32 v60, s54, v1
	v_fmac_f32_e32 v26, v8, v60
	buffer_load_dword v5, off, s[56:59], 0 offset:72 ; 4-byte Folded Reload
	buffer_load_dword v6, off, s[56:59], 0 offset:76 ; 4-byte Folded Reload
	;; [unrolled: 1-line block ×4, first 2 shown]
	v_fmac_f32_e32 v26, v17, v58
	v_fmac_f32_e32 v26, v18, v57
	;; [unrolled: 1-line block ×12, first 2 shown]
	s_waitcnt vmcnt(4)
	v_and_b32_e32 v27, 64, v2
	v_add_u32_e32 v27, 64, v27
	v_xor_b32_e32 v28, 2, v2
	v_cmp_lt_i32_e64 s[4:5], v28, v27
	v_cndmask_b32_e64 v28, v2, v28, s[4:5]
	v_lshlrev_b32_e32 v28, 2, v28
	s_waitcnt vmcnt(3)
	v_fmac_f32_e32 v26, v5, v30
	s_waitcnt vmcnt(2)
	v_fmac_f32_e32 v26, v6, v29
	;; [unrolled: 2-line block ×4, first 2 shown]
	buffer_load_dword v5, off, s[56:59], 0 offset:56 ; 4-byte Folded Reload
	buffer_load_dword v6, off, s[56:59], 0 offset:60 ; 4-byte Folded Reload
	;; [unrolled: 1-line block ×4, first 2 shown]
	s_waitcnt vmcnt(3)
	v_fmac_f32_e32 v26, v5, v49
	s_waitcnt vmcnt(2)
	v_fmac_f32_e32 v26, v6, v48
	;; [unrolled: 2-line block ×4, first 2 shown]
	buffer_load_dword v5, off, s[56:59], 0 offset:24 ; 4-byte Folded Reload
	buffer_load_dword v6, off, s[56:59], 0 offset:28 ; 4-byte Folded Reload
	;; [unrolled: 1-line block ×6, first 2 shown]
	s_waitcnt vmcnt(5)
	v_fmac_f32_e32 v26, v5, v37
	s_waitcnt vmcnt(4)
	v_fmac_f32_e32 v26, v6, v34
	;; [unrolled: 2-line block ×6, first 2 shown]
	ds_bpermute_b32 v0, v28, v26
	v_xor_b32_e32 v1, 1, v2
	v_cmp_lt_i32_e64 s[4:5], v1, v27
	v_cndmask_b32_e64 v1, v2, v1, s[4:5]
	v_lshlrev_b32_e32 v1, 2, v1
	s_waitcnt lgkmcnt(0)
	v_add_f32_e32 v0, v26, v0
	ds_bpermute_b32 v1, v1, v0
	s_and_saveexec_b64 s[40:41], vcc
	s_cbranch_execz .LBB185_11
; %bb.199:                              ;   in Loop: Header=BB185_13 Depth=1
	buffer_load_dword v2, off, s[56:59], 0 offset:100 ; 4-byte Folded Reload
	buffer_load_dword v3, off, s[56:59], 0 offset:104 ; 4-byte Folded Reload
	s_waitcnt lgkmcnt(0)
	v_add_f32_e32 v0, v0, v1
	s_waitcnt vmcnt(1)
	v_add_u32_e32 v2, v2, v50
	v_cvt_f32_i32_e32 v2, v2
	s_waitcnt vmcnt(0)
	v_add_u32_e32 v3, v3, v50
	v_cmp_gt_i32_e64 s[4:5], s33, v3
	v_mul_f32_e32 v1, s49, v2
	v_cndmask_b32_e64 v1, 0, v1, s[2:3]
	v_fmac_f32_e32 v1, s37, v0
	v_cndmask_b32_e64 v0, 0, v1, s[4:5]
	ds_write_b32 v52, v0
	v_max_f32_e32 v0, v62, v62
	v_max_f32_e32 v0, v0, v1
	v_cndmask_b32_e64 v62, v62, v0, s[4:5]
	s_branch .LBB185_11
.LBB185_200:
	s_or_b64 exec, exec, s[38:39]
	buffer_load_dword v17, off, s[56:59], 0 offset:108 ; 4-byte Folded Reload
	buffer_load_dword v18, off, s[56:59], 0 offset:112 ; 4-byte Folded Reload
	;; [unrolled: 1-line block ×4, first 2 shown]
	v_mbcnt_lo_u32_b32 v4, -1, 0
	s_waitcnt vmcnt(3)
	v_lshrrev_b32_e32 v16, 2, v17
	v_lshlrev_b32_e32 v15, 2, v16
.LBB185_201:
	s_or_b64 exec, exec, s[18:19]
	s_waitcnt lgkmcnt(0)
	v_mbcnt_hi_u32_b32 v1, -1, v4
	v_and_b32_e32 v9, 64, v1
	v_add_u32_e32 v2, 64, v9
	v_xor_b32_e32 v0, 32, v1
	v_cmp_lt_i32_e32 vcc, v0, v2
	v_cndmask_b32_e32 v0, v1, v0, vcc
	v_lshlrev_b32_e32 v3, 2, v0
	ds_bpermute_b32 v0, v3, v62
	v_xor_b32_e32 v5, 16, v1
	v_max_f32_e32 v4, v62, v62
	v_cmp_lt_i32_e32 vcc, v5, v2
	v_xor_b32_e32 v6, 8, v1
	s_waitcnt lgkmcnt(0)
	v_max_f32_e32 v0, v0, v0
	v_max_f32_e32 v0, v4, v0
	v_cndmask_b32_e32 v4, v1, v5, vcc
	v_lshlrev_b32_e32 v4, 2, v4
	ds_bpermute_b32 v5, v4, v0
	v_cmp_lt_i32_e32 vcc, v6, v2
	v_xor_b32_e32 v8, 4, v1
	s_waitcnt lgkmcnt(0)
	v_max_f32_e32 v5, v5, v5
	v_max_f32_e32 v0, v0, v5
	v_cndmask_b32_e32 v5, v1, v6, vcc
	v_lshlrev_b32_e32 v7, 2, v5
	ds_bpermute_b32 v5, v7, v0
	v_cmp_lt_i32_e32 vcc, v8, v2
	s_waitcnt lgkmcnt(0)
	v_max_f32_e32 v5, v5, v5
	v_max_f32_e32 v6, v0, v5
	v_cndmask_b32_e32 v0, v1, v8, vcc
	v_lshlrev_b32_e32 v8, 2, v0
	ds_bpermute_b32 v10, v8, v6
	v_and_b32_e32 v0, 63, v17
	v_cmp_eq_u32_e32 vcc, 0, v0
	v_lshlrev_b32_e32 v5, 2, v41
	s_and_saveexec_b64 s[2:3], vcc
	s_cbranch_execz .LBB185_203
; %bb.202:
	s_waitcnt lgkmcnt(0)
	v_max_f32_e32 v10, v10, v10
	v_max_f32_e32 v6, v6, v6
	;; [unrolled: 1-line block ×3, first 2 shown]
	ds_write_b32 v5, v6 offset:480
.LBB185_203:
	s_or_b64 exec, exec, s[2:3]
	v_cmp_gt_u32_e64 s[2:3], 2, v0
	s_waitcnt lgkmcnt(0)
	v_mov_b32_e32 v10, 0xff7fffff
	v_lshlrev_b32_e32 v6, 2, v0
	s_waitcnt vmcnt(0)
	s_barrier
	s_and_saveexec_b64 s[4:5], s[2:3]
; %bb.204:
	ds_read_b32 v10, v6 offset:480
; %bb.205:
	s_or_b64 exec, exec, s[4:5]
	v_xor_b32_e32 v11, 1, v1
	v_cmp_lt_i32_e64 s[4:5], v11, v2
	v_cndmask_b32_e64 v11, v1, v11, s[4:5]
	v_lshlrev_b32_e32 v14, 2, v11
	s_waitcnt lgkmcnt(0)
	ds_bpermute_b32 v11, v14, v10
	v_max_f32_e32 v10, v10, v10
	v_lshlrev_b32_e32 v9, 2, v9
	s_lshl_b32 s4, s48, 4
	s_min_i32 s23, s4, s33
	s_waitcnt lgkmcnt(0)
	v_max_f32_e32 v11, v11, v11
	v_max_f32_e32 v10, v10, v11
	ds_bpermute_b32 v10, v9, v10
	v_cmp_gt_i32_e64 s[4:5], s23, v17
	v_mov_b32_e32 v9, 0
	s_and_saveexec_b64 s[12:13], s[4:5]
	s_cbranch_execz .LBB185_209
; %bb.206:
	v_mov_b32_e32 v9, 0x1f0
	v_lshl_add_u32 v11, v17, 2, v9
	v_mov_b32_e32 v9, 0
	s_mov_b64 s[18:19], 0
	v_mov_b32_e32 v12, v17
.LBB185_207:                            ; =>This Inner Loop Header: Depth=1
	ds_read_b32 v13, v11
	v_add_u32_e32 v12, 0x80, v12
	v_cmp_le_i32_e64 s[6:7], s23, v12
	s_or_b64 s[18:19], s[6:7], s[18:19]
	s_waitcnt lgkmcnt(0)
	v_sub_f32_e32 v13, v13, v10
	v_mul_f32_e32 v13, 0x3fb8aa3b, v13
	v_exp_f32_e32 v13, v13
	ds_write_b32 v11, v13
	v_add_f32_e32 v9, v9, v13
	v_add_u32_e32 v11, 0x200, v11
	s_andn2_b64 exec, exec, s[18:19]
	s_cbranch_execnz .LBB185_207
; %bb.208:
	s_or_b64 exec, exec, s[18:19]
.LBB185_209:
	s_or_b64 exec, exec, s[12:13]
	ds_bpermute_b32 v3, v3, v9
	s_waitcnt lgkmcnt(0)
	v_add_f32_e32 v3, v9, v3
	ds_bpermute_b32 v4, v4, v3
	s_waitcnt lgkmcnt(0)
	v_add_f32_e32 v3, v3, v4
	ds_bpermute_b32 v4, v7, v3
	v_xor_b32_e32 v7, 2, v1
	v_cmp_lt_i32_e64 s[6:7], v7, v2
	v_cndmask_b32_e64 v2, v1, v7, s[6:7]
	v_lshlrev_b32_e32 v9, 2, v2
	s_waitcnt lgkmcnt(0)
	v_add_f32_e32 v3, v3, v4
	ds_bpermute_b32 v4, v8, v3
	s_waitcnt lgkmcnt(0)
	v_add_f32_e32 v3, v3, v4
	ds_bpermute_b32 v2, v9, v3
	s_waitcnt lgkmcnt(0)
	v_add_f32_e32 v2, v3, v2
	ds_bpermute_b32 v3, v14, v2
	s_waitcnt lgkmcnt(0)
	v_add_f32_e32 v2, v2, v3
	s_and_saveexec_b64 s[6:7], vcc
; %bb.210:
	ds_write_b32 v5, v2 offset:488
; %bb.211:
	s_or_b64 exec, exec, s[6:7]
	s_waitcnt lgkmcnt(0)
	s_barrier
	s_and_saveexec_b64 s[6:7], s[2:3]
; %bb.212:
	ds_read_b32 v2, v6 offset:488
; %bb.213:
	s_or_b64 exec, exec, s[6:7]
	s_waitcnt lgkmcnt(0)
	ds_bpermute_b32 v3, v14, v2
	v_lshlrev_b32_e32 v1, 2, v1
	v_and_b32_e32 v1, 0x100, v1
	s_waitcnt lgkmcnt(0)
	v_add_f32_e32 v2, v2, v3
	ds_bpermute_b32 v1, v1, v2
	s_and_saveexec_b64 s[2:3], s[4:5]
	s_cbranch_execz .LBB185_216
; %bb.214:
	s_waitcnt lgkmcnt(0)
	v_add_f32_e32 v2, 0x358637bd, v1
	v_div_scale_f32 v1, s[4:5], v2, v2, 1.0
	v_div_scale_f32 v3, vcc, 1.0, v2, 1.0
	s_mov_b64 s[4:5], 0
	v_rcp_f32_e32 v4, v1
	v_fma_f32 v5, -v1, v4, 1.0
	v_fmac_f32_e32 v4, v5, v4
	v_mul_f32_e32 v5, v3, v4
	v_fma_f32 v6, -v1, v5, v3
	v_fmac_f32_e32 v5, v6, v4
	v_fma_f32 v1, -v1, v5, v3
	v_div_fmas_f32 v3, v1, v4, v5
	v_mov_b32_e32 v1, 0x1f0
	v_lshl_add_u32 v1, v17, 2, v1
	v_div_fixup_f32 v2, v3, v2, 1.0
	v_mov_b32_e32 v3, v17
.LBB185_215:                            ; =>This Inner Loop Header: Depth=1
	ds_read_b32 v4, v1
	v_add_u32_e32 v3, 0x80, v3
	v_cmp_le_i32_e32 vcc, s23, v3
	s_or_b64 s[4:5], vcc, s[4:5]
	s_waitcnt lgkmcnt(0)
	v_mul_f32_e32 v4, v2, v4
	ds_write_b32 v1, v4
	v_add_u32_e32 v1, 0x200, v1
	s_andn2_b64 exec, exec, s[4:5]
	s_cbranch_execnz .LBB185_215
.LBB185_216:
	s_or_b64 exec, exec, s[2:3]
	v_lshrrev_b32_e32 v28, 2, v0
	s_waitcnt lgkmcnt(0)
	s_barrier
	s_and_saveexec_b64 s[2:3], s[0:1]
	s_xor_b64 s[0:1], exec, s[2:3]
; %bb.217:
	v_lshrrev_b32_e32 v28, 2, v0
                                        ; implicit-def: $vgpr42
                                        ; implicit-def: $vgpr41
                                        ; implicit-def: $vgpr19
                                        ; implicit-def: $vgpr21
; %bb.218:
	s_or_saveexec_b64 s[4:5], s[0:1]
	v_mov_b32_e32 v35, 0
	v_mov_b32_e32 v34, 0
	;; [unrolled: 1-line block ×8, first 2 shown]
	s_xor_b64 exec, exec, s[4:5]
	s_cbranch_execz .LBB185_434
; %bb.219:
	s_sub_i32 s37, s16, s21
	s_ashr_i32 s0, s20, 31
	s_add_u32 s6, s34, s20
	s_addc_u32 s7, s35, s0
	s_abs_i32 s34, s22
	v_cvt_f32_u32_e32 v0, s34
	s_sub_i32 s1, 0, s34
	v_and_b32_e32 v32, 12, v19
	v_or_b32_e32 v1, 0x70, v28
	v_rcp_iflag_f32_e32 v0, v0
	s_movk_i32 s0, 0x78
	v_cmp_gt_u32_e32 vcc, s0, v1
	v_lshl_or_b32 v1, v1, 4, v32
	v_mul_f32_e32 v0, 0x4f7ffffe, v0
	v_cvt_u32_f32_e32 v0, v0
	buffer_store_dword v9, off, s[56:59], 0 offset:16 ; 4-byte Folded Spill
	buffer_store_dword v14, off, s[56:59], 0 offset:12 ; 4-byte Folded Spill
	;; [unrolled: 1-line block ×3, first 2 shown]
	s_add_i32 s38, s48, -1
	v_mul_lo_u32 v3, s1, v0
	s_lshl_b64 s[0:1], s[30:31], 2
	s_add_u32 s0, s28, s0
	v_and_b32_e32 v2, 60, v21
	v_mul_hi_u32 v1, v0, v3
	s_addc_u32 s1, s29, s1
	v_mov_b32_e32 v5, 0
	s_mov_b32 s35, s17
	v_add_u32_e32 v37, v0, v1
	v_mov_b32_e32 v0, s1
	v_add_co_u32_e64 v7, s[0:1], s0, v2
	v_addc_co_u32_e64 v8, s[0:1], 0, v0, s[0:1]
	v_lshlrev_b32_e32 v0, 4, v18
	v_lshl_or_b32 v0, v41, 6, v0
	v_add_u32_e32 v43, 0x1f0, v0
	s_mov_b64 s[12:13], 0
	s_movk_i32 s30, 0x80
	s_movk_i32 s31, 0x7f
	s_brev_b32 s39, 1
	s_mov_b32 s40, 0xffffff
	v_bfrev_b32_e32 v44, 60
	v_bfrev_b32_e32 v6, 1
	v_mov_b32_e32 v10, 0x7f800001
	v_mov_b32_e32 v0, v5
	v_mov_b32_e32 v24, v5
	v_mov_b32_e32 v29, v5
	v_mov_b32_e32 v30, v5
	v_mov_b32_e32 v31, v5
	v_mov_b32_e32 v33, v5
	v_mov_b32_e32 v34, v5
	v_mov_b32_e32 v35, v5
	buffer_store_dword v0, off, s[56:59], 0 ; 4-byte Folded Spill
	buffer_store_dword v28, off, s[56:59], 0 offset:8 ; 4-byte Folded Spill
	s_branch .LBB185_223
.LBB185_220:                            ;   in Loop: Header=BB185_223 Depth=1
	s_or_b64 exec, exec, s[2:3]
	v_mul_f32_e32 v13, v1, v13
	v_fmac_f32_e32 v13, v2, v9
	buffer_load_dword v9, off, s[56:59], 0  ; 4-byte Folded Reload
	v_fmac_f32_e32 v13, v3, v12
	v_fmac_f32_e32 v13, v4, v11
	s_waitcnt vmcnt(0)
	v_add_f32_e32 v9, v9, v13
	buffer_store_dword v9, off, s[56:59], 0 ; 4-byte Folded Spill
.LBB185_221:                            ;   in Loop: Header=BB185_223 Depth=1
	s_or_b64 exec, exec, s[18:19]
	v_mul_f32_e32 v9, v1, v25
	v_fmac_f32_e32 v9, v2, v45
	v_fmac_f32_e32 v9, v3, v21
	v_fmac_f32_e32 v9, v4, v20
	v_add_f32_e32 v24, v24, v9
	v_mul_f32_e32 v9, v1, v36
	v_fmac_f32_e32 v9, v2, v0
	v_mul_f32_e32 v0, v1, v46
	v_fmac_f32_e32 v0, v2, v38
	v_fmac_f32_e32 v0, v3, v63
	v_fmac_f32_e32 v0, v4, v39
	v_add_f32_e32 v30, v30, v0
	v_mul_f32_e32 v0, v1, v62
	v_fmac_f32_e32 v0, v2, v40
	v_fmac_f32_e32 v0, v3, v61
	v_fmac_f32_e32 v0, v4, v60
	v_add_f32_e32 v31, v31, v0
	;; [unrolled: 5-line block ×4, first 2 shown]
	v_mul_f32_e32 v0, v1, v50
	v_fmac_f32_e32 v0, v2, v47
	v_fmac_f32_e32 v9, v3, v23
	;; [unrolled: 1-line block ×5, first 2 shown]
	v_add_f32_e32 v29, v29, v9
	v_add_f32_e32 v35, v35, v0
.LBB185_222:                            ;   in Loop: Header=BB185_223 Depth=1
	s_or_b64 exec, exec, s[16:17]
	v_add_co_u32_e64 v7, s[0:1], 8, v7
	v_add_u32_e32 v41, 2, v41
	v_addc_co_u32_e64 v8, s[0:1], 0, v8, s[0:1]
	v_cmp_le_i32_e64 s[0:1], s48, v41
	v_add_u32_e32 v42, 32, v42
	s_or_b64 s[12:13], s[0:1], s[12:13]
	v_add_u32_e32 v43, 0x80, v43
	s_andn2_b64 exec, exec, s[12:13]
	s_cbranch_execz .LBB185_433
.LBB185_223:                            ; =>This Inner Loop Header: Depth=1
	v_mul_hi_u32 v0, v42, s46
	v_mul_lo_u32 v1, v0, s25
	v_add_u32_e32 v2, 1, v0
	v_sub_u32_e32 v1, v42, v1
	v_cmp_le_u32_e64 s[0:1], s25, v1
	v_cndmask_b32_e64 v0, v0, v2, s[0:1]
	v_subrev_u32_e32 v2, s25, v1
	v_cndmask_b32_e64 v1, v1, v2, s[0:1]
	v_add_u32_e32 v2, 1, v0
	v_cmp_le_u32_e64 s[0:1], s25, v1
	v_cndmask_b32_e64 v0, v0, v2, s[0:1]
	v_xor_b32_e32 v0, s47, v0
	v_subrev_u32_e32 v0, s47, v0
	v_add_u32_e32 v1, s36, v0
	v_sub_u32_e32 v2, 0, v1
	v_max_i32_e32 v2, v1, v2
	v_mul_hi_u32 v3, v2, v37
	v_ashrrev_i32_e32 v1, 31, v1
	v_cmp_lt_i32_e64 s[2:3], s37, v0
	v_mul_lo_u32 v3, v3, s34
	v_sub_u32_e32 v2, v2, v3
	v_subrev_u32_e32 v3, s34, v2
	v_cmp_le_u32_e64 s[0:1], s34, v2
	v_cndmask_b32_e64 v2, v2, v3, s[0:1]
	v_subrev_u32_e32 v3, s34, v2
	v_cmp_le_u32_e64 s[0:1], s34, v2
	v_cndmask_b32_e64 v2, v2, v3, s[0:1]
	v_xor_b32_e32 v2, v2, v1
	v_sub_u32_e32 v1, v2, v1
	v_cmp_eq_u32_e64 s[0:1], 0, v1
	s_or_b64 s[0:1], s[0:1], s[2:3]
	s_and_saveexec_b64 s[16:17], s[0:1]
	s_cbranch_execz .LBB185_222
; %bb.224:                              ;   in Loop: Header=BB185_223 Depth=1
	global_load_dword v2, v[7:8], off
	v_mov_b32_e32 v0, s6
	v_mov_b32_e32 v1, s7
	s_load_dword s41, s[14:15], 0x0
	v_mov_b32_e32 v18, 0
	v_mov_b32_e32 v16, 0
	;; [unrolled: 1-line block ×4, first 2 shown]
	s_waitcnt vmcnt(0)
	v_mad_i64_i32 v[11:12], s[0:1], v2, s35, v[0:1]
	v_lshl_or_b32 v0, v28, 4, v32
	ds_read_b128 v[1:4], v43
	v_add_co_u32_e64 v13, s[0:1], v11, v0
	v_addc_co_u32_e64 v14, s[0:1], 0, v12, s[0:1]
	global_load_dword v15, v[13:14], off
	s_waitcnt vmcnt(0)
	v_cmp_ne_u16_sdwa s[0:1], v15, v5 src0_sel:BYTE_0 src1_sel:DWORD
	s_and_saveexec_b64 s[2:3], s[0:1]
	s_cbranch_execz .LBB185_230
; %bb.225:                              ;   in Loop: Header=BB185_223 Depth=1
	v_bfrev_b32_e32 v16, 1
	v_mov_b32_e32 v17, 0
	v_cmp_ne_u16_sdwa s[0:1], v15, s30 src0_sel:BYTE_0 src1_sel:DWORD
	s_and_saveexec_b64 s[18:19], s[0:1]
	s_cbranch_execz .LBB185_229
; %bb.226:                              ;   in Loop: Header=BB185_223 Depth=1
	v_and_b32_e32 v0, 0x7f, v15
	v_mov_b32_e32 v16, 0x7f800001
	v_mov_b32_e32 v17, 0
	v_cmp_ne_u32_e64 s[0:1], s31, v0
	s_and_saveexec_b64 s[20:21], s[0:1]
	s_cbranch_execz .LBB185_228
; %bb.227:                              ;   in Loop: Header=BB185_223 Depth=1
	v_and_b32_e32 v9, 7, v15
	v_ffbh_u32_e32 v16, v9
	v_min_u32_e32 v21, 32, v16
	v_subrev_u32_e32 v16, 28, v21
	v_lshlrev_b64 v[16:17], v16, v[15:16]
	v_lshrrev_b32_e32 v20, 3, v0
	v_sub_u32_e32 v17, 29, v21
	v_and_b32_e32 v16, 7, v16
	v_cmp_gt_u32_e64 s[0:1], 8, v0
	v_cndmask_b32_e64 v0, v20, v17, s[0:1]
	v_cndmask_b32_e64 v9, v9, v16, s[0:1]
	v_lshlrev_b32_e32 v9, 20, v9
	v_and_b32_sdwa v16, sext(v15), s39 dst_sel:DWORD dst_unused:UNUSED_PAD src0_sel:BYTE_0 src1_sel:DWORD
	v_lshl_add_u32 v0, v0, 23, v44
	v_or3_b32 v16, v16, v0, v9
	v_mov_b32_e32 v17, v5
.LBB185_228:                            ;   in Loop: Header=BB185_223 Depth=1
	s_or_b64 exec, exec, s[20:21]
.LBB185_229:                            ;   in Loop: Header=BB185_223 Depth=1
	s_or_b64 exec, exec, s[18:19]
.LBB185_230:                            ;   in Loop: Header=BB185_223 Depth=1
	s_or_b64 exec, exec, s[2:3]
	v_cmp_ne_u16_sdwa s[0:1], v15, v5 src0_sel:BYTE_1 src1_sel:DWORD
	s_and_saveexec_b64 s[2:3], s[0:1]
	s_cbranch_execz .LBB185_236
; %bb.231:                              ;   in Loop: Header=BB185_223 Depth=1
	v_mov_b32_e32 v19, v6
	v_cmp_ne_u16_sdwa s[0:1], v15, s30 src0_sel:BYTE_1 src1_sel:DWORD
	v_mov_b32_e32 v18, v5
	s_and_saveexec_b64 s[18:19], s[0:1]
	s_cbranch_execz .LBB185_235
; %bb.232:                              ;   in Loop: Header=BB185_223 Depth=1
	v_and_b32_sdwa v0, v15, s31 dst_sel:DWORD dst_unused:UNUSED_PAD src0_sel:BYTE_1 src1_sel:DWORD
	v_mov_b32_e32 v9, v5
	v_mov_b32_e32 v19, v10
	v_cmp_ne_u32_e64 s[0:1], s31, v0
	v_mov_b32_e32 v18, v9
	s_and_saveexec_b64 s[20:21], s[0:1]
	s_cbranch_execz .LBB185_234
; %bb.233:                              ;   in Loop: Header=BB185_223 Depth=1
	v_mov_b32_e32 v9, 7
	v_and_b32_sdwa v18, v15, v9 dst_sel:DWORD dst_unused:UNUSED_PAD src0_sel:BYTE_1 src1_sel:DWORD
	v_ffbh_u32_e32 v20, v18
	v_min_u32_e32 v21, 32, v20
	v_mov_b32_e32 v19, v5
	v_subrev_u32_e32 v20, 28, v21
	v_lshlrev_b64 v[19:20], v20, v[18:19]
	v_lshrrev_b32_e32 v9, 3, v0
	v_sub_u32_e32 v20, 29, v21
	v_cmp_gt_u32_e64 s[0:1], 8, v0
	v_and_b32_e32 v19, 7, v19
	v_cndmask_b32_e64 v0, v9, v20, s[0:1]
	v_cndmask_b32_e64 v9, v18, v19, s[0:1]
	v_lshlrev_b32_e32 v18, 16, v15
	v_lshl_add_u32 v0, v0, 23, v44
	v_and_or_b32 v0, v18, s39, v0
	v_lshlrev_b32_e32 v9, 20, v9
	v_or_b32_e32 v19, v0, v9
	v_mov_b32_e32 v18, v5
.LBB185_234:                            ;   in Loop: Header=BB185_223 Depth=1
	s_or_b64 exec, exec, s[20:21]
.LBB185_235:                            ;   in Loop: Header=BB185_223 Depth=1
	s_or_b64 exec, exec, s[18:19]
.LBB185_236:                            ;   in Loop: Header=BB185_223 Depth=1
	s_or_b64 exec, exec, s[2:3]
	v_lshrrev_b32_e32 v9, 16, v15
	v_mov_b32_e32 v22, 0
	v_mov_b32_e32 v20, 0
	;; [unrolled: 1-line block ×4, first 2 shown]
	v_cmp_ne_u16_sdwa s[0:1], v9, v5 src0_sel:BYTE_0 src1_sel:DWORD
	s_and_saveexec_b64 s[2:3], s[0:1]
	s_cbranch_execz .LBB185_242
; %bb.237:                              ;   in Loop: Header=BB185_223 Depth=1
	v_bfrev_b32_e32 v20, 1
	v_mov_b32_e32 v21, 0
	v_cmp_ne_u16_sdwa s[0:1], v9, s30 src0_sel:BYTE_0 src1_sel:DWORD
	s_and_saveexec_b64 s[18:19], s[0:1]
	s_cbranch_execz .LBB185_241
; %bb.238:                              ;   in Loop: Header=BB185_223 Depth=1
	v_bfe_u32 v0, v15, 16, 7
	v_mov_b32_e32 v20, 0x7f800001
	v_mov_b32_e32 v21, 0
	v_cmp_ne_u32_e64 s[0:1], s31, v0
	s_and_saveexec_b64 s[20:21], s[0:1]
	s_cbranch_execz .LBB185_240
; %bb.239:                              ;   in Loop: Header=BB185_223 Depth=1
	v_and_b32_e32 v25, 7, v9
	v_ffbh_u32_e32 v20, v25
	v_min_u32_e32 v27, 32, v20
	v_subrev_u32_e32 v20, 28, v27
	v_lshlrev_b64 v[20:21], v20, v[9:10]
	v_lshrrev_b32_e32 v26, 3, v0
	v_sub_u32_e32 v21, 29, v27
	v_and_b32_e32 v20, 7, v20
	v_cmp_gt_u32_e64 s[0:1], 8, v0
	v_cndmask_b32_e64 v0, v26, v21, s[0:1]
	v_cndmask_b32_e64 v20, v25, v20, s[0:1]
	v_lshlrev_b32_e32 v20, 20, v20
	v_and_b32_sdwa v9, sext(v9), s39 dst_sel:DWORD dst_unused:UNUSED_PAD src0_sel:BYTE_0 src1_sel:DWORD
	v_lshl_add_u32 v0, v0, 23, v44
	v_or3_b32 v20, v9, v0, v20
	v_mov_b32_e32 v21, v5
.LBB185_240:                            ;   in Loop: Header=BB185_223 Depth=1
	s_or_b64 exec, exec, s[20:21]
.LBB185_241:                            ;   in Loop: Header=BB185_223 Depth=1
	s_or_b64 exec, exec, s[18:19]
.LBB185_242:                            ;   in Loop: Header=BB185_223 Depth=1
	s_or_b64 exec, exec, s[2:3]
	v_cmp_lt_u32_e64 s[0:1], s40, v15
	s_and_saveexec_b64 s[2:3], s[0:1]
	s_cbranch_execz .LBB185_248
; %bb.243:                              ;   in Loop: Header=BB185_223 Depth=1
	v_mov_b32_e32 v23, v6
	v_cmp_ne_u32_sdwa s[0:1], v15, s30 src0_sel:BYTE_3 src1_sel:DWORD
	v_mov_b32_e32 v22, v5
	s_and_saveexec_b64 s[18:19], s[0:1]
	s_cbranch_execz .LBB185_247
; %bb.244:                              ;   in Loop: Header=BB185_223 Depth=1
	v_bfe_u32 v0, v15, 24, 7
	v_mov_b32_e32 v9, v5
	v_mov_b32_e32 v23, v10
	v_cmp_ne_u32_e64 s[0:1], s31, v0
	v_mov_b32_e32 v22, v9
	s_and_saveexec_b64 s[20:21], s[0:1]
	s_cbranch_execz .LBB185_246
; %bb.245:                              ;   in Loop: Header=BB185_223 Depth=1
	v_mov_b32_e32 v9, 7
	v_and_b32_sdwa v22, v15, v9 dst_sel:DWORD dst_unused:UNUSED_PAD src0_sel:BYTE_3 src1_sel:DWORD
	v_ffbh_u32_e32 v25, v22
	v_min_u32_e32 v27, 32, v25
	v_mov_b32_e32 v23, v5
	v_subrev_u32_e32 v25, 28, v27
	v_lshlrev_b64 v[25:26], v25, v[22:23]
	v_lshrrev_b32_e32 v9, 3, v0
	v_sub_u32_e32 v23, 29, v27
	v_and_b32_e32 v25, 7, v25
	v_cmp_gt_u32_e64 s[0:1], 8, v0
	v_cndmask_b32_e64 v0, v9, v23, s[0:1]
	v_cndmask_b32_e64 v9, v22, v25, s[0:1]
	v_mov_b32_e32 v22, 24
	v_lshlrev_b32_sdwa v15, v22, v15 dst_sel:DWORD dst_unused:UNUSED_PAD src0_sel:DWORD src1_sel:BYTE_3
	v_lshl_add_u32 v0, v0, 23, v44
	v_and_or_b32 v0, v15, s39, v0
	v_lshlrev_b32_e32 v9, 20, v9
	v_or_b32_e32 v23, v0, v9
	v_mov_b32_e32 v22, v5
.LBB185_246:                            ;   in Loop: Header=BB185_223 Depth=1
	s_or_b64 exec, exec, s[20:21]
.LBB185_247:                            ;   in Loop: Header=BB185_223 Depth=1
	s_or_b64 exec, exec, s[18:19]
.LBB185_248:                            ;   in Loop: Header=BB185_223 Depth=1
	s_or_b64 exec, exec, s[2:3]
	v_or_b32_e32 v0, v19, v17
	v_or_b32_e32 v9, v18, v16
	s_waitcnt lgkmcnt(0)
	v_mul_f32_e32 v47, s41, v0
	v_mul_f32_e32 v50, s41, v9
	v_or_b32_e32 v0, v23, v21
	v_or_b32_e32 v9, v22, v20
	v_add_u32_e32 v51, v32, v42
	v_cmp_eq_u32_e64 s[0:1], s38, v41
	v_mul_f32_e32 v49, s41, v9
	v_mul_f32_e32 v48, s41, v0
	s_and_saveexec_b64 s[18:19], s[0:1]
	s_cbranch_execz .LBB185_250
; %bb.249:                              ;   in Loop: Header=BB185_223 Depth=1
	v_cmp_gt_i32_e64 s[2:3], s33, v51
	v_add_u32_e32 v0, 1, v51
	v_cndmask_b32_e64 v50, 0, v50, s[2:3]
	v_cmp_gt_i32_e64 s[2:3], s33, v0
	v_add_u32_e32 v0, 2, v51
	v_cndmask_b32_e64 v47, 0, v47, s[2:3]
	;; [unrolled: 3-line block ×3, first 2 shown]
	v_cmp_gt_i32_e64 s[2:3], s33, v0
	v_cndmask_b32_e64 v48, 0, v48, s[2:3]
.LBB185_250:                            ;   in Loop: Header=BB185_223 Depth=1
	s_or_b64 exec, exec, s[18:19]
	global_load_dword v15, v[13:14], off offset:256
	v_mov_b32_e32 v18, 0
	v_mov_b32_e32 v16, 0
	;; [unrolled: 1-line block ×4, first 2 shown]
	s_waitcnt vmcnt(0)
	v_cmp_ne_u16_sdwa s[2:3], v15, v5 src0_sel:BYTE_0 src1_sel:DWORD
	s_and_saveexec_b64 s[18:19], s[2:3]
	s_cbranch_execz .LBB185_256
; %bb.251:                              ;   in Loop: Header=BB185_223 Depth=1
	v_bfrev_b32_e32 v16, 1
	v_mov_b32_e32 v17, 0
	v_cmp_ne_u16_sdwa s[2:3], v15, s30 src0_sel:BYTE_0 src1_sel:DWORD
	s_and_saveexec_b64 s[20:21], s[2:3]
	s_cbranch_execz .LBB185_255
; %bb.252:                              ;   in Loop: Header=BB185_223 Depth=1
	v_and_b32_e32 v0, 0x7f, v15
	v_mov_b32_e32 v16, 0x7f800001
	v_mov_b32_e32 v17, 0
	v_cmp_ne_u32_e64 s[2:3], s31, v0
	s_and_saveexec_b64 s[22:23], s[2:3]
	s_cbranch_execz .LBB185_254
; %bb.253:                              ;   in Loop: Header=BB185_223 Depth=1
	v_and_b32_e32 v9, 7, v15
	v_ffbh_u32_e32 v16, v9
	v_min_u32_e32 v21, 32, v16
	v_subrev_u32_e32 v16, 28, v21
	v_lshlrev_b64 v[16:17], v16, v[15:16]
	v_lshrrev_b32_e32 v20, 3, v0
	v_sub_u32_e32 v17, 29, v21
	v_and_b32_e32 v16, 7, v16
	v_cmp_gt_u32_e64 s[2:3], 8, v0
	v_cndmask_b32_e64 v0, v20, v17, s[2:3]
	v_cndmask_b32_e64 v9, v9, v16, s[2:3]
	v_lshlrev_b32_e32 v9, 20, v9
	v_and_b32_sdwa v16, sext(v15), s39 dst_sel:DWORD dst_unused:UNUSED_PAD src0_sel:BYTE_0 src1_sel:DWORD
	v_lshl_add_u32 v0, v0, 23, v44
	v_or3_b32 v16, v16, v0, v9
	v_mov_b32_e32 v17, v5
.LBB185_254:                            ;   in Loop: Header=BB185_223 Depth=1
	s_or_b64 exec, exec, s[22:23]
.LBB185_255:                            ;   in Loop: Header=BB185_223 Depth=1
	s_or_b64 exec, exec, s[20:21]
.LBB185_256:                            ;   in Loop: Header=BB185_223 Depth=1
	s_or_b64 exec, exec, s[18:19]
	v_cmp_ne_u16_sdwa s[2:3], v15, v5 src0_sel:BYTE_1 src1_sel:DWORD
	s_and_saveexec_b64 s[18:19], s[2:3]
	s_cbranch_execz .LBB185_262
; %bb.257:                              ;   in Loop: Header=BB185_223 Depth=1
	v_mov_b32_e32 v19, v6
	v_cmp_ne_u16_sdwa s[2:3], v15, s30 src0_sel:BYTE_1 src1_sel:DWORD
	v_mov_b32_e32 v18, v5
	s_and_saveexec_b64 s[20:21], s[2:3]
	s_cbranch_execz .LBB185_261
; %bb.258:                              ;   in Loop: Header=BB185_223 Depth=1
	v_and_b32_sdwa v0, v15, s31 dst_sel:DWORD dst_unused:UNUSED_PAD src0_sel:BYTE_1 src1_sel:DWORD
	v_mov_b32_e32 v9, v5
	v_mov_b32_e32 v19, v10
	v_cmp_ne_u32_e64 s[2:3], s31, v0
	v_mov_b32_e32 v18, v9
	s_and_saveexec_b64 s[22:23], s[2:3]
	s_cbranch_execz .LBB185_260
; %bb.259:                              ;   in Loop: Header=BB185_223 Depth=1
	v_mov_b32_e32 v9, 7
	v_and_b32_sdwa v18, v15, v9 dst_sel:DWORD dst_unused:UNUSED_PAD src0_sel:BYTE_1 src1_sel:DWORD
	v_ffbh_u32_e32 v20, v18
	v_min_u32_e32 v21, 32, v20
	v_mov_b32_e32 v19, v5
	v_subrev_u32_e32 v20, 28, v21
	v_lshlrev_b64 v[19:20], v20, v[18:19]
	v_lshrrev_b32_e32 v9, 3, v0
	v_sub_u32_e32 v20, 29, v21
	v_cmp_gt_u32_e64 s[2:3], 8, v0
	v_and_b32_e32 v19, 7, v19
	v_cndmask_b32_e64 v0, v9, v20, s[2:3]
	v_cndmask_b32_e64 v9, v18, v19, s[2:3]
	v_lshlrev_b32_e32 v18, 16, v15
	v_lshl_add_u32 v0, v0, 23, v44
	v_and_or_b32 v0, v18, s39, v0
	v_lshlrev_b32_e32 v9, 20, v9
	v_or_b32_e32 v19, v0, v9
	v_mov_b32_e32 v18, v5
.LBB185_260:                            ;   in Loop: Header=BB185_223 Depth=1
	s_or_b64 exec, exec, s[22:23]
.LBB185_261:                            ;   in Loop: Header=BB185_223 Depth=1
	s_or_b64 exec, exec, s[20:21]
.LBB185_262:                            ;   in Loop: Header=BB185_223 Depth=1
	s_or_b64 exec, exec, s[18:19]
	v_lshrrev_b32_e32 v9, 16, v15
	v_mov_b32_e32 v22, 0
	v_mov_b32_e32 v20, 0
	v_mov_b32_e32 v23, 0
	v_mov_b32_e32 v21, 0
	v_cmp_ne_u16_sdwa s[2:3], v9, v5 src0_sel:BYTE_0 src1_sel:DWORD
	s_and_saveexec_b64 s[18:19], s[2:3]
	s_cbranch_execz .LBB185_268
; %bb.263:                              ;   in Loop: Header=BB185_223 Depth=1
	v_bfrev_b32_e32 v20, 1
	v_mov_b32_e32 v21, 0
	v_cmp_ne_u16_sdwa s[2:3], v9, s30 src0_sel:BYTE_0 src1_sel:DWORD
	s_and_saveexec_b64 s[20:21], s[2:3]
	s_cbranch_execz .LBB185_267
; %bb.264:                              ;   in Loop: Header=BB185_223 Depth=1
	v_bfe_u32 v0, v15, 16, 7
	v_mov_b32_e32 v20, 0x7f800001
	v_mov_b32_e32 v21, 0
	v_cmp_ne_u32_e64 s[2:3], s31, v0
	s_and_saveexec_b64 s[22:23], s[2:3]
	s_cbranch_execz .LBB185_266
; %bb.265:                              ;   in Loop: Header=BB185_223 Depth=1
	v_and_b32_e32 v25, 7, v9
	v_ffbh_u32_e32 v20, v25
	v_min_u32_e32 v27, 32, v20
	v_subrev_u32_e32 v20, 28, v27
	v_lshlrev_b64 v[20:21], v20, v[9:10]
	v_lshrrev_b32_e32 v26, 3, v0
	v_sub_u32_e32 v21, 29, v27
	v_and_b32_e32 v20, 7, v20
	v_cmp_gt_u32_e64 s[2:3], 8, v0
	v_cndmask_b32_e64 v0, v26, v21, s[2:3]
	v_cndmask_b32_e64 v20, v25, v20, s[2:3]
	v_lshlrev_b32_e32 v20, 20, v20
	v_and_b32_sdwa v9, sext(v9), s39 dst_sel:DWORD dst_unused:UNUSED_PAD src0_sel:BYTE_0 src1_sel:DWORD
	v_lshl_add_u32 v0, v0, 23, v44
	v_or3_b32 v20, v9, v0, v20
	v_mov_b32_e32 v21, v5
.LBB185_266:                            ;   in Loop: Header=BB185_223 Depth=1
	s_or_b64 exec, exec, s[22:23]
.LBB185_267:                            ;   in Loop: Header=BB185_223 Depth=1
	s_or_b64 exec, exec, s[20:21]
.LBB185_268:                            ;   in Loop: Header=BB185_223 Depth=1
	s_or_b64 exec, exec, s[18:19]
	v_cmp_lt_u32_e64 s[2:3], s40, v15
	s_and_saveexec_b64 s[18:19], s[2:3]
	s_cbranch_execz .LBB185_274
; %bb.269:                              ;   in Loop: Header=BB185_223 Depth=1
	v_mov_b32_e32 v23, v6
	v_cmp_ne_u32_sdwa s[2:3], v15, s30 src0_sel:BYTE_3 src1_sel:DWORD
	v_mov_b32_e32 v22, v5
	s_and_saveexec_b64 s[20:21], s[2:3]
	s_cbranch_execz .LBB185_273
; %bb.270:                              ;   in Loop: Header=BB185_223 Depth=1
	v_bfe_u32 v0, v15, 24, 7
	v_mov_b32_e32 v9, v5
	v_mov_b32_e32 v23, v10
	v_cmp_ne_u32_e64 s[2:3], s31, v0
	v_mov_b32_e32 v22, v9
	s_and_saveexec_b64 s[22:23], s[2:3]
	s_cbranch_execz .LBB185_272
; %bb.271:                              ;   in Loop: Header=BB185_223 Depth=1
	v_mov_b32_e32 v9, 7
	v_and_b32_sdwa v22, v15, v9 dst_sel:DWORD dst_unused:UNUSED_PAD src0_sel:BYTE_3 src1_sel:DWORD
	v_ffbh_u32_e32 v25, v22
	v_min_u32_e32 v27, 32, v25
	v_mov_b32_e32 v23, v5
	v_subrev_u32_e32 v25, 28, v27
	v_lshlrev_b64 v[25:26], v25, v[22:23]
	v_lshrrev_b32_e32 v9, 3, v0
	v_sub_u32_e32 v23, 29, v27
	v_and_b32_e32 v25, 7, v25
	v_cmp_gt_u32_e64 s[2:3], 8, v0
	v_cndmask_b32_e64 v0, v9, v23, s[2:3]
	v_cndmask_b32_e64 v9, v22, v25, s[2:3]
	v_mov_b32_e32 v22, 24
	v_lshlrev_b32_sdwa v15, v22, v15 dst_sel:DWORD dst_unused:UNUSED_PAD src0_sel:DWORD src1_sel:BYTE_3
	v_lshl_add_u32 v0, v0, 23, v44
	v_and_or_b32 v0, v15, s39, v0
	v_lshlrev_b32_e32 v9, 20, v9
	v_or_b32_e32 v23, v0, v9
	v_mov_b32_e32 v22, v5
.LBB185_272:                            ;   in Loop: Header=BB185_223 Depth=1
	s_or_b64 exec, exec, s[22:23]
.LBB185_273:                            ;   in Loop: Header=BB185_223 Depth=1
	s_or_b64 exec, exec, s[20:21]
.LBB185_274:                            ;   in Loop: Header=BB185_223 Depth=1
	s_or_b64 exec, exec, s[18:19]
	s_mov_b32 s42, s41
	v_or_b32_e32 v0, v19, v17
	v_or_b32_e32 v9, v18, v16
	v_mul_f32_e32 v52, s42, v0
	v_mul_f32_e32 v55, s41, v9
	v_or_b32_e32 v0, v23, v21
	v_or_b32_e32 v9, v22, v20
	v_mul_f32_e32 v54, s41, v9
	v_mul_f32_e32 v53, s42, v0
	s_and_saveexec_b64 s[18:19], s[0:1]
	s_cbranch_execz .LBB185_276
; %bb.275:                              ;   in Loop: Header=BB185_223 Depth=1
	v_cmp_gt_i32_e64 s[2:3], s33, v51
	v_add_u32_e32 v0, 1, v51
	v_cndmask_b32_e64 v55, 0, v55, s[2:3]
	v_cmp_gt_i32_e64 s[2:3], s33, v0
	v_add_u32_e32 v0, 2, v51
	v_cndmask_b32_e64 v52, 0, v52, s[2:3]
	v_cmp_gt_i32_e64 s[2:3], s33, v0
	v_add_u32_e32 v0, 3, v51
	v_cndmask_b32_e64 v54, 0, v54, s[2:3]
	v_cmp_gt_i32_e64 s[2:3], s33, v0
	v_cndmask_b32_e64 v53, 0, v53, s[2:3]
.LBB185_276:                            ;   in Loop: Header=BB185_223 Depth=1
	s_or_b64 exec, exec, s[18:19]
	global_load_dword v15, v[13:14], off offset:512
	v_mov_b32_e32 v18, 0
	v_mov_b32_e32 v16, 0
	;; [unrolled: 1-line block ×4, first 2 shown]
	s_waitcnt vmcnt(0)
	v_cmp_ne_u16_sdwa s[2:3], v15, v5 src0_sel:BYTE_0 src1_sel:DWORD
	s_and_saveexec_b64 s[18:19], s[2:3]
	s_cbranch_execz .LBB185_282
; %bb.277:                              ;   in Loop: Header=BB185_223 Depth=1
	v_bfrev_b32_e32 v16, 1
	v_mov_b32_e32 v17, 0
	v_cmp_ne_u16_sdwa s[2:3], v15, s30 src0_sel:BYTE_0 src1_sel:DWORD
	s_and_saveexec_b64 s[20:21], s[2:3]
	s_cbranch_execz .LBB185_281
; %bb.278:                              ;   in Loop: Header=BB185_223 Depth=1
	v_and_b32_e32 v0, 0x7f, v15
	v_mov_b32_e32 v16, 0x7f800001
	v_mov_b32_e32 v17, 0
	v_cmp_ne_u32_e64 s[2:3], s31, v0
	s_and_saveexec_b64 s[22:23], s[2:3]
	s_cbranch_execz .LBB185_280
; %bb.279:                              ;   in Loop: Header=BB185_223 Depth=1
	v_and_b32_e32 v9, 7, v15
	v_ffbh_u32_e32 v16, v9
	v_min_u32_e32 v21, 32, v16
	v_subrev_u32_e32 v16, 28, v21
	v_lshlrev_b64 v[16:17], v16, v[15:16]
	v_lshrrev_b32_e32 v20, 3, v0
	v_sub_u32_e32 v17, 29, v21
	v_and_b32_e32 v16, 7, v16
	v_cmp_gt_u32_e64 s[2:3], 8, v0
	v_cndmask_b32_e64 v0, v20, v17, s[2:3]
	v_cndmask_b32_e64 v9, v9, v16, s[2:3]
	v_lshlrev_b32_e32 v9, 20, v9
	v_and_b32_sdwa v16, sext(v15), s39 dst_sel:DWORD dst_unused:UNUSED_PAD src0_sel:BYTE_0 src1_sel:DWORD
	v_lshl_add_u32 v0, v0, 23, v44
	v_or3_b32 v16, v16, v0, v9
	v_mov_b32_e32 v17, v5
.LBB185_280:                            ;   in Loop: Header=BB185_223 Depth=1
	s_or_b64 exec, exec, s[22:23]
.LBB185_281:                            ;   in Loop: Header=BB185_223 Depth=1
	s_or_b64 exec, exec, s[20:21]
.LBB185_282:                            ;   in Loop: Header=BB185_223 Depth=1
	s_or_b64 exec, exec, s[18:19]
	v_cmp_ne_u16_sdwa s[2:3], v15, v5 src0_sel:BYTE_1 src1_sel:DWORD
	s_and_saveexec_b64 s[18:19], s[2:3]
	s_cbranch_execz .LBB185_288
; %bb.283:                              ;   in Loop: Header=BB185_223 Depth=1
	v_mov_b32_e32 v19, v6
	v_cmp_ne_u16_sdwa s[2:3], v15, s30 src0_sel:BYTE_1 src1_sel:DWORD
	v_mov_b32_e32 v18, v5
	s_and_saveexec_b64 s[20:21], s[2:3]
	s_cbranch_execz .LBB185_287
; %bb.284:                              ;   in Loop: Header=BB185_223 Depth=1
	v_and_b32_sdwa v0, v15, s31 dst_sel:DWORD dst_unused:UNUSED_PAD src0_sel:BYTE_1 src1_sel:DWORD
	v_mov_b32_e32 v9, v5
	v_mov_b32_e32 v19, v10
	v_cmp_ne_u32_e64 s[2:3], s31, v0
	v_mov_b32_e32 v18, v9
	s_and_saveexec_b64 s[22:23], s[2:3]
	s_cbranch_execz .LBB185_286
; %bb.285:                              ;   in Loop: Header=BB185_223 Depth=1
	v_mov_b32_e32 v9, 7
	v_and_b32_sdwa v18, v15, v9 dst_sel:DWORD dst_unused:UNUSED_PAD src0_sel:BYTE_1 src1_sel:DWORD
	v_ffbh_u32_e32 v20, v18
	v_min_u32_e32 v21, 32, v20
	v_mov_b32_e32 v19, v5
	v_subrev_u32_e32 v20, 28, v21
	v_lshlrev_b64 v[19:20], v20, v[18:19]
	v_lshrrev_b32_e32 v9, 3, v0
	v_sub_u32_e32 v20, 29, v21
	v_cmp_gt_u32_e64 s[2:3], 8, v0
	v_and_b32_e32 v19, 7, v19
	v_cndmask_b32_e64 v0, v9, v20, s[2:3]
	v_cndmask_b32_e64 v9, v18, v19, s[2:3]
	v_lshlrev_b32_e32 v18, 16, v15
	v_lshl_add_u32 v0, v0, 23, v44
	v_and_or_b32 v0, v18, s39, v0
	v_lshlrev_b32_e32 v9, 20, v9
	v_or_b32_e32 v19, v0, v9
	v_mov_b32_e32 v18, v5
.LBB185_286:                            ;   in Loop: Header=BB185_223 Depth=1
	s_or_b64 exec, exec, s[22:23]
.LBB185_287:                            ;   in Loop: Header=BB185_223 Depth=1
	s_or_b64 exec, exec, s[20:21]
.LBB185_288:                            ;   in Loop: Header=BB185_223 Depth=1
	s_or_b64 exec, exec, s[18:19]
	v_lshrrev_b32_e32 v9, 16, v15
	v_mov_b32_e32 v22, 0
	v_mov_b32_e32 v20, 0
	v_mov_b32_e32 v23, 0
	v_mov_b32_e32 v21, 0
	v_cmp_ne_u16_sdwa s[2:3], v9, v5 src0_sel:BYTE_0 src1_sel:DWORD
	s_and_saveexec_b64 s[18:19], s[2:3]
	s_cbranch_execz .LBB185_294
; %bb.289:                              ;   in Loop: Header=BB185_223 Depth=1
	v_bfrev_b32_e32 v20, 1
	v_mov_b32_e32 v21, 0
	v_cmp_ne_u16_sdwa s[2:3], v9, s30 src0_sel:BYTE_0 src1_sel:DWORD
	s_and_saveexec_b64 s[20:21], s[2:3]
	s_cbranch_execz .LBB185_293
; %bb.290:                              ;   in Loop: Header=BB185_223 Depth=1
	v_bfe_u32 v0, v15, 16, 7
	v_mov_b32_e32 v20, 0x7f800001
	v_mov_b32_e32 v21, 0
	v_cmp_ne_u32_e64 s[2:3], s31, v0
	s_and_saveexec_b64 s[22:23], s[2:3]
	s_cbranch_execz .LBB185_292
; %bb.291:                              ;   in Loop: Header=BB185_223 Depth=1
	v_and_b32_e32 v25, 7, v9
	v_ffbh_u32_e32 v20, v25
	v_min_u32_e32 v27, 32, v20
	v_subrev_u32_e32 v20, 28, v27
	v_lshlrev_b64 v[20:21], v20, v[9:10]
	v_lshrrev_b32_e32 v26, 3, v0
	v_sub_u32_e32 v21, 29, v27
	v_and_b32_e32 v20, 7, v20
	v_cmp_gt_u32_e64 s[2:3], 8, v0
	v_cndmask_b32_e64 v0, v26, v21, s[2:3]
	v_cndmask_b32_e64 v20, v25, v20, s[2:3]
	v_lshlrev_b32_e32 v20, 20, v20
	v_and_b32_sdwa v9, sext(v9), s39 dst_sel:DWORD dst_unused:UNUSED_PAD src0_sel:BYTE_0 src1_sel:DWORD
	v_lshl_add_u32 v0, v0, 23, v44
	v_or3_b32 v20, v9, v0, v20
	v_mov_b32_e32 v21, v5
.LBB185_292:                            ;   in Loop: Header=BB185_223 Depth=1
	s_or_b64 exec, exec, s[22:23]
.LBB185_293:                            ;   in Loop: Header=BB185_223 Depth=1
	s_or_b64 exec, exec, s[20:21]
.LBB185_294:                            ;   in Loop: Header=BB185_223 Depth=1
	s_or_b64 exec, exec, s[18:19]
	v_cmp_lt_u32_e64 s[2:3], s40, v15
	s_and_saveexec_b64 s[18:19], s[2:3]
	s_cbranch_execz .LBB185_300
; %bb.295:                              ;   in Loop: Header=BB185_223 Depth=1
	v_mov_b32_e32 v23, v6
	v_cmp_ne_u32_sdwa s[2:3], v15, s30 src0_sel:BYTE_3 src1_sel:DWORD
	v_mov_b32_e32 v22, v5
	s_and_saveexec_b64 s[20:21], s[2:3]
	s_cbranch_execz .LBB185_299
; %bb.296:                              ;   in Loop: Header=BB185_223 Depth=1
	v_bfe_u32 v0, v15, 24, 7
	v_mov_b32_e32 v9, v5
	v_mov_b32_e32 v23, v10
	v_cmp_ne_u32_e64 s[2:3], s31, v0
	v_mov_b32_e32 v22, v9
	s_and_saveexec_b64 s[22:23], s[2:3]
	s_cbranch_execz .LBB185_298
; %bb.297:                              ;   in Loop: Header=BB185_223 Depth=1
	v_mov_b32_e32 v9, 7
	v_and_b32_sdwa v22, v15, v9 dst_sel:DWORD dst_unused:UNUSED_PAD src0_sel:BYTE_3 src1_sel:DWORD
	v_ffbh_u32_e32 v25, v22
	v_min_u32_e32 v27, 32, v25
	v_mov_b32_e32 v23, v5
	v_subrev_u32_e32 v25, 28, v27
	v_lshlrev_b64 v[25:26], v25, v[22:23]
	v_lshrrev_b32_e32 v9, 3, v0
	v_sub_u32_e32 v23, 29, v27
	v_and_b32_e32 v25, 7, v25
	v_cmp_gt_u32_e64 s[2:3], 8, v0
	v_cndmask_b32_e64 v0, v9, v23, s[2:3]
	v_cndmask_b32_e64 v9, v22, v25, s[2:3]
	v_mov_b32_e32 v22, 24
	v_lshlrev_b32_sdwa v15, v22, v15 dst_sel:DWORD dst_unused:UNUSED_PAD src0_sel:DWORD src1_sel:BYTE_3
	v_lshl_add_u32 v0, v0, 23, v44
	v_and_or_b32 v0, v15, s39, v0
	v_lshlrev_b32_e32 v9, 20, v9
	v_or_b32_e32 v23, v0, v9
	v_mov_b32_e32 v22, v5
.LBB185_298:                            ;   in Loop: Header=BB185_223 Depth=1
	s_or_b64 exec, exec, s[22:23]
.LBB185_299:                            ;   in Loop: Header=BB185_223 Depth=1
	s_or_b64 exec, exec, s[20:21]
.LBB185_300:                            ;   in Loop: Header=BB185_223 Depth=1
	s_or_b64 exec, exec, s[18:19]
	v_or_b32_e32 v0, v19, v17
	v_or_b32_e32 v9, v18, v16
	v_mul_f32_e32 v56, s42, v0
	v_mul_f32_e32 v59, s41, v9
	v_or_b32_e32 v0, v23, v21
	v_or_b32_e32 v9, v22, v20
	v_mul_f32_e32 v58, s41, v9
	v_mul_f32_e32 v57, s42, v0
	s_and_saveexec_b64 s[18:19], s[0:1]
	s_cbranch_execz .LBB185_302
; %bb.301:                              ;   in Loop: Header=BB185_223 Depth=1
	v_cmp_gt_i32_e64 s[2:3], s33, v51
	v_add_u32_e32 v0, 1, v51
	v_cndmask_b32_e64 v59, 0, v59, s[2:3]
	v_cmp_gt_i32_e64 s[2:3], s33, v0
	v_add_u32_e32 v0, 2, v51
	v_cndmask_b32_e64 v56, 0, v56, s[2:3]
	v_cmp_gt_i32_e64 s[2:3], s33, v0
	v_add_u32_e32 v0, 3, v51
	v_cndmask_b32_e64 v58, 0, v58, s[2:3]
	v_cmp_gt_i32_e64 s[2:3], s33, v0
	v_cndmask_b32_e64 v57, 0, v57, s[2:3]
.LBB185_302:                            ;   in Loop: Header=BB185_223 Depth=1
	s_or_b64 exec, exec, s[18:19]
	global_load_dword v15, v[13:14], off offset:768
	v_mov_b32_e32 v18, 0
	v_mov_b32_e32 v16, 0
	;; [unrolled: 1-line block ×4, first 2 shown]
	s_waitcnt vmcnt(0)
	v_cmp_ne_u16_sdwa s[2:3], v15, v5 src0_sel:BYTE_0 src1_sel:DWORD
	s_and_saveexec_b64 s[18:19], s[2:3]
	s_cbranch_execz .LBB185_308
; %bb.303:                              ;   in Loop: Header=BB185_223 Depth=1
	v_bfrev_b32_e32 v16, 1
	v_mov_b32_e32 v17, 0
	v_cmp_ne_u16_sdwa s[2:3], v15, s30 src0_sel:BYTE_0 src1_sel:DWORD
	s_and_saveexec_b64 s[20:21], s[2:3]
	s_cbranch_execz .LBB185_307
; %bb.304:                              ;   in Loop: Header=BB185_223 Depth=1
	v_and_b32_e32 v0, 0x7f, v15
	v_mov_b32_e32 v16, 0x7f800001
	v_mov_b32_e32 v17, 0
	v_cmp_ne_u32_e64 s[2:3], s31, v0
	s_and_saveexec_b64 s[22:23], s[2:3]
	s_cbranch_execz .LBB185_306
; %bb.305:                              ;   in Loop: Header=BB185_223 Depth=1
	v_and_b32_e32 v9, 7, v15
	v_ffbh_u32_e32 v16, v9
	v_min_u32_e32 v21, 32, v16
	v_subrev_u32_e32 v16, 28, v21
	v_lshlrev_b64 v[16:17], v16, v[15:16]
	v_lshrrev_b32_e32 v20, 3, v0
	v_sub_u32_e32 v17, 29, v21
	v_and_b32_e32 v16, 7, v16
	v_cmp_gt_u32_e64 s[2:3], 8, v0
	v_cndmask_b32_e64 v0, v20, v17, s[2:3]
	v_cndmask_b32_e64 v9, v9, v16, s[2:3]
	v_lshlrev_b32_e32 v9, 20, v9
	v_and_b32_sdwa v16, sext(v15), s39 dst_sel:DWORD dst_unused:UNUSED_PAD src0_sel:BYTE_0 src1_sel:DWORD
	v_lshl_add_u32 v0, v0, 23, v44
	v_or3_b32 v16, v16, v0, v9
	v_mov_b32_e32 v17, v5
.LBB185_306:                            ;   in Loop: Header=BB185_223 Depth=1
	s_or_b64 exec, exec, s[22:23]
.LBB185_307:                            ;   in Loop: Header=BB185_223 Depth=1
	s_or_b64 exec, exec, s[20:21]
.LBB185_308:                            ;   in Loop: Header=BB185_223 Depth=1
	s_or_b64 exec, exec, s[18:19]
	v_cmp_ne_u16_sdwa s[2:3], v15, v5 src0_sel:BYTE_1 src1_sel:DWORD
	s_and_saveexec_b64 s[18:19], s[2:3]
	s_cbranch_execz .LBB185_314
; %bb.309:                              ;   in Loop: Header=BB185_223 Depth=1
	v_mov_b32_e32 v19, v6
	v_cmp_ne_u16_sdwa s[2:3], v15, s30 src0_sel:BYTE_1 src1_sel:DWORD
	v_mov_b32_e32 v18, v5
	s_and_saveexec_b64 s[20:21], s[2:3]
	s_cbranch_execz .LBB185_313
; %bb.310:                              ;   in Loop: Header=BB185_223 Depth=1
	v_and_b32_sdwa v0, v15, s31 dst_sel:DWORD dst_unused:UNUSED_PAD src0_sel:BYTE_1 src1_sel:DWORD
	v_mov_b32_e32 v9, v5
	v_mov_b32_e32 v19, v10
	v_cmp_ne_u32_e64 s[2:3], s31, v0
	v_mov_b32_e32 v18, v9
	s_and_saveexec_b64 s[22:23], s[2:3]
	s_cbranch_execz .LBB185_312
; %bb.311:                              ;   in Loop: Header=BB185_223 Depth=1
	v_mov_b32_e32 v9, 7
	v_and_b32_sdwa v18, v15, v9 dst_sel:DWORD dst_unused:UNUSED_PAD src0_sel:BYTE_1 src1_sel:DWORD
	v_ffbh_u32_e32 v20, v18
	v_min_u32_e32 v21, 32, v20
	v_mov_b32_e32 v19, v5
	v_subrev_u32_e32 v20, 28, v21
	v_lshlrev_b64 v[19:20], v20, v[18:19]
	v_lshrrev_b32_e32 v9, 3, v0
	v_sub_u32_e32 v20, 29, v21
	v_cmp_gt_u32_e64 s[2:3], 8, v0
	v_and_b32_e32 v19, 7, v19
	v_cndmask_b32_e64 v0, v9, v20, s[2:3]
	v_cndmask_b32_e64 v9, v18, v19, s[2:3]
	v_lshlrev_b32_e32 v18, 16, v15
	v_lshl_add_u32 v0, v0, 23, v44
	v_and_or_b32 v0, v18, s39, v0
	v_lshlrev_b32_e32 v9, 20, v9
	v_or_b32_e32 v19, v0, v9
	v_mov_b32_e32 v18, v5
.LBB185_312:                            ;   in Loop: Header=BB185_223 Depth=1
	s_or_b64 exec, exec, s[22:23]
.LBB185_313:                            ;   in Loop: Header=BB185_223 Depth=1
	s_or_b64 exec, exec, s[20:21]
.LBB185_314:                            ;   in Loop: Header=BB185_223 Depth=1
	s_or_b64 exec, exec, s[18:19]
	v_lshrrev_b32_e32 v9, 16, v15
	v_mov_b32_e32 v22, 0
	v_mov_b32_e32 v20, 0
	;; [unrolled: 1-line block ×4, first 2 shown]
	v_cmp_ne_u16_sdwa s[2:3], v9, v5 src0_sel:BYTE_0 src1_sel:DWORD
	s_and_saveexec_b64 s[18:19], s[2:3]
	s_cbranch_execz .LBB185_320
; %bb.315:                              ;   in Loop: Header=BB185_223 Depth=1
	v_bfrev_b32_e32 v20, 1
	v_mov_b32_e32 v21, 0
	v_cmp_ne_u16_sdwa s[2:3], v9, s30 src0_sel:BYTE_0 src1_sel:DWORD
	s_and_saveexec_b64 s[20:21], s[2:3]
	s_cbranch_execz .LBB185_319
; %bb.316:                              ;   in Loop: Header=BB185_223 Depth=1
	v_bfe_u32 v0, v15, 16, 7
	v_mov_b32_e32 v20, 0x7f800001
	v_mov_b32_e32 v21, 0
	v_cmp_ne_u32_e64 s[2:3], s31, v0
	s_and_saveexec_b64 s[22:23], s[2:3]
	s_cbranch_execz .LBB185_318
; %bb.317:                              ;   in Loop: Header=BB185_223 Depth=1
	v_and_b32_e32 v25, 7, v9
	v_lshrrev_b32_e32 v26, 3, v0
	v_cmp_gt_u32_e64 s[2:3], 8, v0
	v_ffbh_u32_e32 v0, v25
	v_min_u32_e32 v0, 32, v0
	v_subrev_u32_e32 v20, 28, v0
	v_lshlrev_b64 v[20:21], v20, v[9:10]
	v_sub_u32_e32 v0, 29, v0
	v_and_b32_e32 v20, 7, v20
	v_cndmask_b32_e64 v0, v26, v0, s[2:3]
	v_cndmask_b32_e64 v20, v25, v20, s[2:3]
	v_lshlrev_b32_e32 v20, 20, v20
	v_and_b32_sdwa v9, sext(v9), s39 dst_sel:DWORD dst_unused:UNUSED_PAD src0_sel:BYTE_0 src1_sel:DWORD
	v_lshl_add_u32 v0, v0, 23, v44
	v_or3_b32 v20, v9, v0, v20
	v_mov_b32_e32 v21, v5
.LBB185_318:                            ;   in Loop: Header=BB185_223 Depth=1
	s_or_b64 exec, exec, s[22:23]
.LBB185_319:                            ;   in Loop: Header=BB185_223 Depth=1
	s_or_b64 exec, exec, s[20:21]
.LBB185_320:                            ;   in Loop: Header=BB185_223 Depth=1
	s_or_b64 exec, exec, s[18:19]
	v_cmp_lt_u32_e64 s[2:3], s40, v15
	s_and_saveexec_b64 s[18:19], s[2:3]
	s_cbranch_execz .LBB185_326
; %bb.321:                              ;   in Loop: Header=BB185_223 Depth=1
	v_mov_b32_e32 v23, v6
	v_cmp_ne_u32_sdwa s[2:3], v15, s30 src0_sel:BYTE_3 src1_sel:DWORD
	v_mov_b32_e32 v22, v5
	s_and_saveexec_b64 s[20:21], s[2:3]
	s_cbranch_execz .LBB185_325
; %bb.322:                              ;   in Loop: Header=BB185_223 Depth=1
	v_bfe_u32 v0, v15, 24, 7
	v_mov_b32_e32 v9, v5
	v_mov_b32_e32 v23, v10
	v_cmp_ne_u32_e64 s[2:3], s31, v0
	v_mov_b32_e32 v22, v9
	s_and_saveexec_b64 s[22:23], s[2:3]
	s_cbranch_execz .LBB185_324
; %bb.323:                              ;   in Loop: Header=BB185_223 Depth=1
	v_mov_b32_e32 v9, 7
	v_and_b32_sdwa v22, v15, v9 dst_sel:DWORD dst_unused:UNUSED_PAD src0_sel:BYTE_3 src1_sel:DWORD
	v_lshrrev_b32_e32 v9, 3, v0
	v_cmp_gt_u32_e64 s[2:3], 8, v0
	v_ffbh_u32_e32 v0, v22
	v_min_u32_e32 v0, 32, v0
	v_mov_b32_e32 v23, v5
	v_subrev_u32_e32 v25, 28, v0
	v_lshlrev_b64 v[25:26], v25, v[22:23]
	v_sub_u32_e32 v0, 29, v0
	v_and_b32_e32 v23, 7, v25
	v_cndmask_b32_e64 v0, v9, v0, s[2:3]
	v_cndmask_b32_e64 v9, v22, v23, s[2:3]
	v_mov_b32_e32 v22, 24
	v_lshlrev_b32_sdwa v15, v22, v15 dst_sel:DWORD dst_unused:UNUSED_PAD src0_sel:DWORD src1_sel:BYTE_3
	v_lshl_add_u32 v0, v0, 23, v44
	v_and_or_b32 v0, v15, s39, v0
	v_lshlrev_b32_e32 v9, 20, v9
	v_or_b32_e32 v23, v0, v9
	v_mov_b32_e32 v22, v5
.LBB185_324:                            ;   in Loop: Header=BB185_223 Depth=1
	s_or_b64 exec, exec, s[22:23]
.LBB185_325:                            ;   in Loop: Header=BB185_223 Depth=1
	s_or_b64 exec, exec, s[20:21]
.LBB185_326:                            ;   in Loop: Header=BB185_223 Depth=1
	s_or_b64 exec, exec, s[18:19]
	v_or_b32_e32 v0, v19, v17
	v_or_b32_e32 v9, v18, v16
	v_mul_f32_e32 v40, s42, v0
	v_mul_f32_e32 v62, s41, v9
	v_or_b32_e32 v0, v23, v21
	v_or_b32_e32 v9, v22, v20
	v_mul_f32_e32 v61, s41, v9
	v_mul_f32_e32 v60, s42, v0
	s_and_saveexec_b64 s[18:19], s[0:1]
	s_cbranch_execz .LBB185_328
; %bb.327:                              ;   in Loop: Header=BB185_223 Depth=1
	v_cmp_gt_i32_e64 s[2:3], s33, v51
	v_add_u32_e32 v0, 1, v51
	v_cndmask_b32_e64 v62, 0, v62, s[2:3]
	v_cmp_gt_i32_e64 s[2:3], s33, v0
	v_add_u32_e32 v0, 2, v51
	v_cndmask_b32_e64 v40, 0, v40, s[2:3]
	;; [unrolled: 3-line block ×3, first 2 shown]
	v_cmp_gt_i32_e64 s[2:3], s33, v0
	v_cndmask_b32_e64 v60, 0, v60, s[2:3]
.LBB185_328:                            ;   in Loop: Header=BB185_223 Depth=1
	s_or_b64 exec, exec, s[18:19]
	global_load_dword v15, v[13:14], off offset:1024
	v_mov_b32_e32 v18, 0
	v_mov_b32_e32 v16, 0
	;; [unrolled: 1-line block ×4, first 2 shown]
	s_waitcnt vmcnt(0)
	v_cmp_ne_u16_sdwa s[2:3], v15, v5 src0_sel:BYTE_0 src1_sel:DWORD
	s_and_saveexec_b64 s[18:19], s[2:3]
	s_cbranch_execz .LBB185_334
; %bb.329:                              ;   in Loop: Header=BB185_223 Depth=1
	v_bfrev_b32_e32 v16, 1
	v_mov_b32_e32 v17, 0
	v_cmp_ne_u16_sdwa s[2:3], v15, s30 src0_sel:BYTE_0 src1_sel:DWORD
	s_and_saveexec_b64 s[20:21], s[2:3]
	s_cbranch_execz .LBB185_333
; %bb.330:                              ;   in Loop: Header=BB185_223 Depth=1
	v_and_b32_e32 v0, 0x7f, v15
	v_mov_b32_e32 v16, 0x7f800001
	v_mov_b32_e32 v17, 0
	v_cmp_ne_u32_e64 s[2:3], s31, v0
	s_and_saveexec_b64 s[22:23], s[2:3]
	s_cbranch_execz .LBB185_332
; %bb.331:                              ;   in Loop: Header=BB185_223 Depth=1
	v_and_b32_e32 v9, 7, v15
	v_lshrrev_b32_e32 v20, 3, v0
	v_cmp_gt_u32_e64 s[2:3], 8, v0
	v_ffbh_u32_e32 v0, v9
	v_min_u32_e32 v0, 32, v0
	v_subrev_u32_e32 v16, 28, v0
	v_lshlrev_b64 v[16:17], v16, v[15:16]
	v_sub_u32_e32 v0, 29, v0
	v_and_b32_e32 v16, 7, v16
	v_cndmask_b32_e64 v0, v20, v0, s[2:3]
	v_cndmask_b32_e64 v9, v9, v16, s[2:3]
	v_lshlrev_b32_e32 v9, 20, v9
	v_and_b32_sdwa v16, sext(v15), s39 dst_sel:DWORD dst_unused:UNUSED_PAD src0_sel:BYTE_0 src1_sel:DWORD
	v_lshl_add_u32 v0, v0, 23, v44
	v_or3_b32 v16, v16, v0, v9
	v_mov_b32_e32 v17, v5
.LBB185_332:                            ;   in Loop: Header=BB185_223 Depth=1
	s_or_b64 exec, exec, s[22:23]
.LBB185_333:                            ;   in Loop: Header=BB185_223 Depth=1
	s_or_b64 exec, exec, s[20:21]
.LBB185_334:                            ;   in Loop: Header=BB185_223 Depth=1
	s_or_b64 exec, exec, s[18:19]
	v_cmp_ne_u16_sdwa s[2:3], v15, v5 src0_sel:BYTE_1 src1_sel:DWORD
	s_and_saveexec_b64 s[18:19], s[2:3]
	s_cbranch_execz .LBB185_340
; %bb.335:                              ;   in Loop: Header=BB185_223 Depth=1
	v_mov_b32_e32 v19, v6
	v_cmp_ne_u16_sdwa s[2:3], v15, s30 src0_sel:BYTE_1 src1_sel:DWORD
	v_mov_b32_e32 v18, v5
	s_and_saveexec_b64 s[20:21], s[2:3]
	s_cbranch_execz .LBB185_339
; %bb.336:                              ;   in Loop: Header=BB185_223 Depth=1
	v_and_b32_sdwa v0, v15, s31 dst_sel:DWORD dst_unused:UNUSED_PAD src0_sel:BYTE_1 src1_sel:DWORD
	v_mov_b32_e32 v9, v5
	v_mov_b32_e32 v19, v10
	v_cmp_ne_u32_e64 s[2:3], s31, v0
	v_mov_b32_e32 v18, v9
	s_and_saveexec_b64 s[22:23], s[2:3]
	s_cbranch_execz .LBB185_338
; %bb.337:                              ;   in Loop: Header=BB185_223 Depth=1
	v_mov_b32_e32 v9, 7
	v_and_b32_sdwa v18, v15, v9 dst_sel:DWORD dst_unused:UNUSED_PAD src0_sel:BYTE_1 src1_sel:DWORD
	v_lshrrev_b32_e32 v9, 3, v0
	v_cmp_gt_u32_e64 s[2:3], 8, v0
	v_ffbh_u32_e32 v0, v18
	v_min_u32_e32 v0, 32, v0
	v_mov_b32_e32 v19, v5
	v_subrev_u32_e32 v20, 28, v0
	v_lshlrev_b64 v[19:20], v20, v[18:19]
	v_sub_u32_e32 v0, 29, v0
	v_and_b32_e32 v19, 7, v19
	v_cndmask_b32_e64 v0, v9, v0, s[2:3]
	v_cndmask_b32_e64 v9, v18, v19, s[2:3]
	v_lshlrev_b32_e32 v18, 16, v15
	v_lshl_add_u32 v0, v0, 23, v44
	v_and_or_b32 v0, v18, s39, v0
	v_lshlrev_b32_e32 v9, 20, v9
	v_or_b32_e32 v19, v0, v9
	v_mov_b32_e32 v18, v5
.LBB185_338:                            ;   in Loop: Header=BB185_223 Depth=1
	s_or_b64 exec, exec, s[22:23]
.LBB185_339:                            ;   in Loop: Header=BB185_223 Depth=1
	s_or_b64 exec, exec, s[20:21]
.LBB185_340:                            ;   in Loop: Header=BB185_223 Depth=1
	s_or_b64 exec, exec, s[18:19]
	v_lshrrev_b32_e32 v9, 16, v15
	v_mov_b32_e32 v22, 0
	v_mov_b32_e32 v20, 0
	;; [unrolled: 1-line block ×4, first 2 shown]
	v_cmp_ne_u16_sdwa s[2:3], v9, v5 src0_sel:BYTE_0 src1_sel:DWORD
	s_and_saveexec_b64 s[18:19], s[2:3]
	s_cbranch_execz .LBB185_346
; %bb.341:                              ;   in Loop: Header=BB185_223 Depth=1
	v_bfrev_b32_e32 v20, 1
	v_mov_b32_e32 v21, 0
	v_cmp_ne_u16_sdwa s[2:3], v9, s30 src0_sel:BYTE_0 src1_sel:DWORD
	s_and_saveexec_b64 s[20:21], s[2:3]
	s_cbranch_execz .LBB185_345
; %bb.342:                              ;   in Loop: Header=BB185_223 Depth=1
	v_bfe_u32 v0, v15, 16, 7
	v_mov_b32_e32 v20, 0x7f800001
	v_mov_b32_e32 v21, 0
	v_cmp_ne_u32_e64 s[2:3], s31, v0
	s_and_saveexec_b64 s[22:23], s[2:3]
	s_cbranch_execz .LBB185_344
; %bb.343:                              ;   in Loop: Header=BB185_223 Depth=1
	v_and_b32_e32 v25, 7, v9
	v_lshrrev_b32_e32 v26, 3, v0
	v_cmp_gt_u32_e64 s[2:3], 8, v0
	v_ffbh_u32_e32 v0, v25
	v_min_u32_e32 v0, 32, v0
	v_subrev_u32_e32 v20, 28, v0
	v_lshlrev_b64 v[20:21], v20, v[9:10]
	v_sub_u32_e32 v0, 29, v0
	v_and_b32_e32 v20, 7, v20
	v_cndmask_b32_e64 v0, v26, v0, s[2:3]
	v_cndmask_b32_e64 v20, v25, v20, s[2:3]
	v_lshlrev_b32_e32 v20, 20, v20
	v_and_b32_sdwa v9, sext(v9), s39 dst_sel:DWORD dst_unused:UNUSED_PAD src0_sel:BYTE_0 src1_sel:DWORD
	v_lshl_add_u32 v0, v0, 23, v44
	v_or3_b32 v20, v9, v0, v20
	v_mov_b32_e32 v21, v5
.LBB185_344:                            ;   in Loop: Header=BB185_223 Depth=1
	s_or_b64 exec, exec, s[22:23]
.LBB185_345:                            ;   in Loop: Header=BB185_223 Depth=1
	s_or_b64 exec, exec, s[20:21]
.LBB185_346:                            ;   in Loop: Header=BB185_223 Depth=1
	s_or_b64 exec, exec, s[18:19]
	v_cmp_lt_u32_e64 s[2:3], s40, v15
	s_and_saveexec_b64 s[18:19], s[2:3]
	s_cbranch_execz .LBB185_352
; %bb.347:                              ;   in Loop: Header=BB185_223 Depth=1
	v_mov_b32_e32 v23, v6
	v_cmp_ne_u32_sdwa s[2:3], v15, s30 src0_sel:BYTE_3 src1_sel:DWORD
	v_mov_b32_e32 v22, v5
	s_and_saveexec_b64 s[20:21], s[2:3]
	s_cbranch_execz .LBB185_351
; %bb.348:                              ;   in Loop: Header=BB185_223 Depth=1
	v_bfe_u32 v0, v15, 24, 7
	v_mov_b32_e32 v9, v5
	v_mov_b32_e32 v23, v10
	v_cmp_ne_u32_e64 s[2:3], s31, v0
	v_mov_b32_e32 v22, v9
	s_and_saveexec_b64 s[22:23], s[2:3]
	s_cbranch_execz .LBB185_350
; %bb.349:                              ;   in Loop: Header=BB185_223 Depth=1
	v_mov_b32_e32 v9, 7
	v_and_b32_sdwa v22, v15, v9 dst_sel:DWORD dst_unused:UNUSED_PAD src0_sel:BYTE_3 src1_sel:DWORD
	v_lshrrev_b32_e32 v9, 3, v0
	v_cmp_gt_u32_e64 s[2:3], 8, v0
	v_ffbh_u32_e32 v0, v22
	v_min_u32_e32 v0, 32, v0
	v_mov_b32_e32 v23, v5
	v_subrev_u32_e32 v25, 28, v0
	v_lshlrev_b64 v[25:26], v25, v[22:23]
	v_sub_u32_e32 v0, 29, v0
	v_and_b32_e32 v23, 7, v25
	v_cndmask_b32_e64 v0, v9, v0, s[2:3]
	v_cndmask_b32_e64 v9, v22, v23, s[2:3]
	v_mov_b32_e32 v22, 24
	v_lshlrev_b32_sdwa v15, v22, v15 dst_sel:DWORD dst_unused:UNUSED_PAD src0_sel:DWORD src1_sel:BYTE_3
	v_lshl_add_u32 v0, v0, 23, v44
	v_and_or_b32 v0, v15, s39, v0
	v_lshlrev_b32_e32 v9, 20, v9
	v_or_b32_e32 v23, v0, v9
	v_mov_b32_e32 v22, v5
.LBB185_350:                            ;   in Loop: Header=BB185_223 Depth=1
	s_or_b64 exec, exec, s[22:23]
.LBB185_351:                            ;   in Loop: Header=BB185_223 Depth=1
	s_or_b64 exec, exec, s[20:21]
.LBB185_352:                            ;   in Loop: Header=BB185_223 Depth=1
	s_or_b64 exec, exec, s[18:19]
	v_or_b32_e32 v0, v19, v17
	v_or_b32_e32 v9, v18, v16
	v_mul_f32_e32 v38, s42, v0
	v_mul_f32_e32 v46, s41, v9
	v_or_b32_e32 v0, v23, v21
	v_or_b32_e32 v9, v22, v20
	v_mul_f32_e32 v63, s41, v9
	v_mul_f32_e32 v39, s42, v0
	s_and_saveexec_b64 s[18:19], s[0:1]
	s_cbranch_execz .LBB185_354
; %bb.353:                              ;   in Loop: Header=BB185_223 Depth=1
	v_cmp_gt_i32_e64 s[2:3], s33, v51
	v_add_u32_e32 v0, 1, v51
	v_cndmask_b32_e64 v46, 0, v46, s[2:3]
	v_cmp_gt_i32_e64 s[2:3], s33, v0
	v_add_u32_e32 v0, 2, v51
	v_cndmask_b32_e64 v38, 0, v38, s[2:3]
	;; [unrolled: 3-line block ×3, first 2 shown]
	v_cmp_gt_i32_e64 s[2:3], s33, v0
	v_cndmask_b32_e64 v39, 0, v39, s[2:3]
.LBB185_354:                            ;   in Loop: Header=BB185_223 Depth=1
	s_or_b64 exec, exec, s[18:19]
	global_load_dword v15, v[13:14], off offset:1280
	v_mov_b32_e32 v18, 0
	v_mov_b32_e32 v16, 0
	;; [unrolled: 1-line block ×4, first 2 shown]
	s_waitcnt vmcnt(0)
	v_cmp_ne_u16_sdwa s[2:3], v15, v5 src0_sel:BYTE_0 src1_sel:DWORD
	s_and_saveexec_b64 s[18:19], s[2:3]
	s_cbranch_execz .LBB185_360
; %bb.355:                              ;   in Loop: Header=BB185_223 Depth=1
	v_bfrev_b32_e32 v16, 1
	v_mov_b32_e32 v17, 0
	v_cmp_ne_u16_sdwa s[2:3], v15, s30 src0_sel:BYTE_0 src1_sel:DWORD
	s_and_saveexec_b64 s[20:21], s[2:3]
	s_cbranch_execz .LBB185_359
; %bb.356:                              ;   in Loop: Header=BB185_223 Depth=1
	v_and_b32_e32 v0, 0x7f, v15
	v_mov_b32_e32 v16, 0x7f800001
	v_mov_b32_e32 v17, 0
	v_cmp_ne_u32_e64 s[2:3], s31, v0
	s_and_saveexec_b64 s[22:23], s[2:3]
	s_cbranch_execz .LBB185_358
; %bb.357:                              ;   in Loop: Header=BB185_223 Depth=1
	v_and_b32_e32 v9, 7, v15
	v_lshrrev_b32_e32 v20, 3, v0
	v_cmp_gt_u32_e64 s[2:3], 8, v0
	v_ffbh_u32_e32 v0, v9
	v_min_u32_e32 v0, 32, v0
	v_subrev_u32_e32 v16, 28, v0
	v_lshlrev_b64 v[16:17], v16, v[15:16]
	v_sub_u32_e32 v0, 29, v0
	v_and_b32_e32 v16, 7, v16
	v_cndmask_b32_e64 v0, v20, v0, s[2:3]
	v_cndmask_b32_e64 v9, v9, v16, s[2:3]
	v_lshlrev_b32_e32 v9, 20, v9
	v_and_b32_sdwa v16, sext(v15), s39 dst_sel:DWORD dst_unused:UNUSED_PAD src0_sel:BYTE_0 src1_sel:DWORD
	v_lshl_add_u32 v0, v0, 23, v44
	v_or3_b32 v16, v16, v0, v9
	v_mov_b32_e32 v17, v5
.LBB185_358:                            ;   in Loop: Header=BB185_223 Depth=1
	s_or_b64 exec, exec, s[22:23]
.LBB185_359:                            ;   in Loop: Header=BB185_223 Depth=1
	s_or_b64 exec, exec, s[20:21]
.LBB185_360:                            ;   in Loop: Header=BB185_223 Depth=1
	s_or_b64 exec, exec, s[18:19]
	v_cmp_ne_u16_sdwa s[2:3], v15, v5 src0_sel:BYTE_1 src1_sel:DWORD
	s_and_saveexec_b64 s[18:19], s[2:3]
	s_cbranch_execz .LBB185_366
; %bb.361:                              ;   in Loop: Header=BB185_223 Depth=1
	v_mov_b32_e32 v19, v6
	v_cmp_ne_u16_sdwa s[2:3], v15, s30 src0_sel:BYTE_1 src1_sel:DWORD
	v_mov_b32_e32 v18, v5
	s_and_saveexec_b64 s[20:21], s[2:3]
	s_cbranch_execz .LBB185_365
; %bb.362:                              ;   in Loop: Header=BB185_223 Depth=1
	v_and_b32_sdwa v0, v15, s31 dst_sel:DWORD dst_unused:UNUSED_PAD src0_sel:BYTE_1 src1_sel:DWORD
	v_mov_b32_e32 v9, v5
	v_mov_b32_e32 v19, v10
	v_cmp_ne_u32_e64 s[2:3], s31, v0
	v_mov_b32_e32 v18, v9
	s_and_saveexec_b64 s[22:23], s[2:3]
	s_cbranch_execz .LBB185_364
; %bb.363:                              ;   in Loop: Header=BB185_223 Depth=1
	v_mov_b32_e32 v9, 7
	v_and_b32_sdwa v18, v15, v9 dst_sel:DWORD dst_unused:UNUSED_PAD src0_sel:BYTE_1 src1_sel:DWORD
	v_lshrrev_b32_e32 v9, 3, v0
	v_cmp_gt_u32_e64 s[2:3], 8, v0
	v_ffbh_u32_e32 v0, v18
	v_min_u32_e32 v0, 32, v0
	v_mov_b32_e32 v19, v5
	v_subrev_u32_e32 v20, 28, v0
	v_lshlrev_b64 v[19:20], v20, v[18:19]
	v_sub_u32_e32 v0, 29, v0
	v_and_b32_e32 v19, 7, v19
	v_cndmask_b32_e64 v0, v9, v0, s[2:3]
	v_cndmask_b32_e64 v9, v18, v19, s[2:3]
	v_lshlrev_b32_e32 v18, 16, v15
	v_lshl_add_u32 v0, v0, 23, v44
	v_and_or_b32 v0, v18, s39, v0
	v_lshlrev_b32_e32 v9, 20, v9
	v_or_b32_e32 v19, v0, v9
	v_mov_b32_e32 v18, v5
.LBB185_364:                            ;   in Loop: Header=BB185_223 Depth=1
	s_or_b64 exec, exec, s[22:23]
.LBB185_365:                            ;   in Loop: Header=BB185_223 Depth=1
	s_or_b64 exec, exec, s[20:21]
.LBB185_366:                            ;   in Loop: Header=BB185_223 Depth=1
	s_or_b64 exec, exec, s[18:19]
	v_lshrrev_b32_e32 v9, 16, v15
	v_mov_b32_e32 v22, 0
	v_mov_b32_e32 v20, 0
	;; [unrolled: 1-line block ×4, first 2 shown]
	v_cmp_ne_u16_sdwa s[2:3], v9, v5 src0_sel:BYTE_0 src1_sel:DWORD
	s_and_saveexec_b64 s[18:19], s[2:3]
	s_cbranch_execz .LBB185_372
; %bb.367:                              ;   in Loop: Header=BB185_223 Depth=1
	v_bfrev_b32_e32 v20, 1
	v_mov_b32_e32 v21, 0
	v_cmp_ne_u16_sdwa s[2:3], v9, s30 src0_sel:BYTE_0 src1_sel:DWORD
	s_and_saveexec_b64 s[20:21], s[2:3]
	s_cbranch_execz .LBB185_371
; %bb.368:                              ;   in Loop: Header=BB185_223 Depth=1
	v_bfe_u32 v0, v15, 16, 7
	v_mov_b32_e32 v20, 0x7f800001
	v_mov_b32_e32 v21, 0
	v_cmp_ne_u32_e64 s[2:3], s31, v0
	s_and_saveexec_b64 s[22:23], s[2:3]
	s_cbranch_execz .LBB185_370
; %bb.369:                              ;   in Loop: Header=BB185_223 Depth=1
	v_and_b32_e32 v25, 7, v9
	v_lshrrev_b32_e32 v26, 3, v0
	v_cmp_gt_u32_e64 s[2:3], 8, v0
	v_ffbh_u32_e32 v0, v25
	v_min_u32_e32 v0, 32, v0
	v_subrev_u32_e32 v20, 28, v0
	v_lshlrev_b64 v[20:21], v20, v[9:10]
	v_sub_u32_e32 v0, 29, v0
	v_and_b32_e32 v20, 7, v20
	v_cndmask_b32_e64 v0, v26, v0, s[2:3]
	v_cndmask_b32_e64 v20, v25, v20, s[2:3]
	v_lshlrev_b32_e32 v20, 20, v20
	v_and_b32_sdwa v9, sext(v9), s39 dst_sel:DWORD dst_unused:UNUSED_PAD src0_sel:BYTE_0 src1_sel:DWORD
	v_lshl_add_u32 v0, v0, 23, v44
	v_or3_b32 v20, v9, v0, v20
	v_mov_b32_e32 v21, v5
.LBB185_370:                            ;   in Loop: Header=BB185_223 Depth=1
	s_or_b64 exec, exec, s[22:23]
.LBB185_371:                            ;   in Loop: Header=BB185_223 Depth=1
	s_or_b64 exec, exec, s[20:21]
.LBB185_372:                            ;   in Loop: Header=BB185_223 Depth=1
	s_or_b64 exec, exec, s[18:19]
	v_cmp_lt_u32_e64 s[2:3], s40, v15
	s_and_saveexec_b64 s[18:19], s[2:3]
	s_cbranch_execz .LBB185_378
; %bb.373:                              ;   in Loop: Header=BB185_223 Depth=1
	v_mov_b32_e32 v23, v6
	v_cmp_ne_u32_sdwa s[2:3], v15, s30 src0_sel:BYTE_3 src1_sel:DWORD
	v_mov_b32_e32 v22, v5
	s_and_saveexec_b64 s[20:21], s[2:3]
	s_cbranch_execz .LBB185_377
; %bb.374:                              ;   in Loop: Header=BB185_223 Depth=1
	v_bfe_u32 v0, v15, 24, 7
	v_mov_b32_e32 v9, v5
	v_mov_b32_e32 v23, v10
	v_cmp_ne_u32_e64 s[2:3], s31, v0
	v_mov_b32_e32 v22, v9
	s_and_saveexec_b64 s[22:23], s[2:3]
	s_cbranch_execz .LBB185_376
; %bb.375:                              ;   in Loop: Header=BB185_223 Depth=1
	v_mov_b32_e32 v9, 7
	v_and_b32_sdwa v22, v15, v9 dst_sel:DWORD dst_unused:UNUSED_PAD src0_sel:BYTE_3 src1_sel:DWORD
	v_lshrrev_b32_e32 v9, 3, v0
	v_cmp_gt_u32_e64 s[2:3], 8, v0
	v_ffbh_u32_e32 v0, v22
	v_min_u32_e32 v0, 32, v0
	v_mov_b32_e32 v23, v5
	v_subrev_u32_e32 v25, 28, v0
	v_lshlrev_b64 v[25:26], v25, v[22:23]
	v_sub_u32_e32 v0, 29, v0
	v_and_b32_e32 v23, 7, v25
	v_cndmask_b32_e64 v0, v9, v0, s[2:3]
	v_cndmask_b32_e64 v9, v22, v23, s[2:3]
	v_mov_b32_e32 v22, 24
	v_lshlrev_b32_sdwa v15, v22, v15 dst_sel:DWORD dst_unused:UNUSED_PAD src0_sel:DWORD src1_sel:BYTE_3
	v_lshl_add_u32 v0, v0, 23, v44
	v_and_or_b32 v0, v15, s39, v0
	v_lshlrev_b32_e32 v9, 20, v9
	v_or_b32_e32 v23, v0, v9
	v_mov_b32_e32 v22, v5
.LBB185_376:                            ;   in Loop: Header=BB185_223 Depth=1
	s_or_b64 exec, exec, s[22:23]
.LBB185_377:                            ;   in Loop: Header=BB185_223 Depth=1
	s_or_b64 exec, exec, s[20:21]
.LBB185_378:                            ;   in Loop: Header=BB185_223 Depth=1
	s_or_b64 exec, exec, s[18:19]
	v_or_b32_e32 v9, v18, v16
	v_or_b32_e32 v0, v19, v17
	v_mul_f32_e32 v36, s41, v9
	v_or_b32_e32 v9, v23, v21
	v_or_b32_e32 v15, v22, v20
	v_mul_f32_e32 v0, s42, v0
	v_mul_f32_e32 v23, s41, v15
	;; [unrolled: 1-line block ×3, first 2 shown]
	s_and_saveexec_b64 s[18:19], s[0:1]
	s_cbranch_execz .LBB185_380
; %bb.379:                              ;   in Loop: Header=BB185_223 Depth=1
	v_cmp_gt_i32_e64 s[2:3], s33, v51
	v_add_u32_e32 v9, 1, v51
	v_cndmask_b32_e64 v36, 0, v36, s[2:3]
	v_cmp_gt_i32_e64 s[2:3], s33, v9
	v_add_u32_e32 v9, 2, v51
	v_cndmask_b32_e64 v0, 0, v0, s[2:3]
	v_cmp_gt_i32_e64 s[2:3], s33, v9
	v_add_u32_e32 v9, 3, v51
	v_cndmask_b32_e64 v23, 0, v23, s[2:3]
	v_cmp_gt_i32_e64 s[2:3], s33, v9
	v_cndmask_b32_e64 v22, 0, v22, s[2:3]
.LBB185_380:                            ;   in Loop: Header=BB185_223 Depth=1
	s_or_b64 exec, exec, s[18:19]
	global_load_dword v13, v[13:14], off offset:1536
	v_mov_b32_e32 v16, 0
	v_mov_b32_e32 v14, 0
	;; [unrolled: 1-line block ×4, first 2 shown]
	s_waitcnt vmcnt(0)
	v_cmp_ne_u16_sdwa s[2:3], v13, v5 src0_sel:BYTE_0 src1_sel:DWORD
	s_and_saveexec_b64 s[18:19], s[2:3]
	s_cbranch_execz .LBB185_386
; %bb.381:                              ;   in Loop: Header=BB185_223 Depth=1
	v_bfrev_b32_e32 v14, 1
	v_mov_b32_e32 v15, 0
	v_cmp_ne_u16_sdwa s[2:3], v13, s30 src0_sel:BYTE_0 src1_sel:DWORD
	s_and_saveexec_b64 s[20:21], s[2:3]
	s_cbranch_execz .LBB185_385
; %bb.382:                              ;   in Loop: Header=BB185_223 Depth=1
	v_and_b32_e32 v9, 0x7f, v13
	v_mov_b32_e32 v14, 0x7f800001
	v_mov_b32_e32 v15, 0
	v_cmp_ne_u32_e64 s[2:3], s31, v9
	s_and_saveexec_b64 s[22:23], s[2:3]
	s_cbranch_execz .LBB185_384
; %bb.383:                              ;   in Loop: Header=BB185_223 Depth=1
	v_and_b32_e32 v18, 7, v13
	v_lshrrev_b32_e32 v19, 3, v9
	v_cmp_gt_u32_e64 s[2:3], 8, v9
	v_ffbh_u32_e32 v9, v18
	v_min_u32_e32 v9, 32, v9
	v_subrev_u32_e32 v14, 28, v9
	v_lshlrev_b64 v[14:15], v14, v[13:14]
	v_sub_u32_e32 v9, 29, v9
	v_and_b32_e32 v14, 7, v14
	v_cndmask_b32_e64 v9, v19, v9, s[2:3]
	v_cndmask_b32_e64 v14, v18, v14, s[2:3]
	v_lshlrev_b32_e32 v14, 20, v14
	v_and_b32_sdwa v15, sext(v13), s39 dst_sel:DWORD dst_unused:UNUSED_PAD src0_sel:BYTE_0 src1_sel:DWORD
	v_lshl_add_u32 v9, v9, 23, v44
	v_or3_b32 v14, v15, v9, v14
	v_mov_b32_e32 v15, v5
.LBB185_384:                            ;   in Loop: Header=BB185_223 Depth=1
	s_or_b64 exec, exec, s[22:23]
.LBB185_385:                            ;   in Loop: Header=BB185_223 Depth=1
	s_or_b64 exec, exec, s[20:21]
.LBB185_386:                            ;   in Loop: Header=BB185_223 Depth=1
	s_or_b64 exec, exec, s[18:19]
	v_cmp_ne_u16_sdwa s[2:3], v13, v5 src0_sel:BYTE_1 src1_sel:DWORD
	s_and_saveexec_b64 s[18:19], s[2:3]
	s_cbranch_execz .LBB185_392
; %bb.387:                              ;   in Loop: Header=BB185_223 Depth=1
	v_mov_b32_e32 v17, v6
	v_cmp_ne_u16_sdwa s[2:3], v13, s30 src0_sel:BYTE_1 src1_sel:DWORD
	v_mov_b32_e32 v16, v5
	s_and_saveexec_b64 s[20:21], s[2:3]
	s_cbranch_execz .LBB185_391
; %bb.388:                              ;   in Loop: Header=BB185_223 Depth=1
	v_and_b32_sdwa v18, v13, s31 dst_sel:DWORD dst_unused:UNUSED_PAD src0_sel:BYTE_1 src1_sel:DWORD
	v_mov_b32_e32 v9, v5
	v_mov_b32_e32 v17, v10
	v_cmp_ne_u32_e64 s[2:3], s31, v18
	v_mov_b32_e32 v16, v9
	s_and_saveexec_b64 s[22:23], s[2:3]
	s_cbranch_execz .LBB185_390
; %bb.389:                              ;   in Loop: Header=BB185_223 Depth=1
	v_mov_b32_e32 v9, 7
	v_and_b32_sdwa v16, v13, v9 dst_sel:DWORD dst_unused:UNUSED_PAD src0_sel:BYTE_1 src1_sel:DWORD
	v_lshrrev_b32_e32 v9, 3, v18
	v_cmp_gt_u32_e64 s[2:3], 8, v18
	v_ffbh_u32_e32 v18, v16
	v_min_u32_e32 v19, 32, v18
	v_mov_b32_e32 v17, v5
	v_subrev_u32_e32 v18, 28, v19
	v_lshlrev_b64 v[17:18], v18, v[16:17]
	v_sub_u32_e32 v18, 29, v19
	v_and_b32_e32 v17, 7, v17
	v_cndmask_b32_e64 v9, v9, v18, s[2:3]
	v_cndmask_b32_e64 v16, v16, v17, s[2:3]
	v_lshlrev_b32_e32 v17, 16, v13
	v_lshl_add_u32 v9, v9, 23, v44
	v_and_or_b32 v9, v17, s39, v9
	v_lshlrev_b32_e32 v16, 20, v16
	v_or_b32_e32 v17, v9, v16
	v_mov_b32_e32 v16, v5
.LBB185_390:                            ;   in Loop: Header=BB185_223 Depth=1
	s_or_b64 exec, exec, s[22:23]
.LBB185_391:                            ;   in Loop: Header=BB185_223 Depth=1
	s_or_b64 exec, exec, s[20:21]
.LBB185_392:                            ;   in Loop: Header=BB185_223 Depth=1
	s_or_b64 exec, exec, s[18:19]
	v_lshrrev_b32_e32 v9, 16, v13
	v_mov_b32_e32 v20, 0
	v_mov_b32_e32 v18, 0
	;; [unrolled: 1-line block ×4, first 2 shown]
	v_cmp_ne_u16_sdwa s[2:3], v9, v5 src0_sel:BYTE_0 src1_sel:DWORD
	s_and_saveexec_b64 s[18:19], s[2:3]
	s_cbranch_execz .LBB185_398
; %bb.393:                              ;   in Loop: Header=BB185_223 Depth=1
	v_bfrev_b32_e32 v18, 1
	v_mov_b32_e32 v19, 0
	v_cmp_ne_u16_sdwa s[2:3], v9, s30 src0_sel:BYTE_0 src1_sel:DWORD
	s_and_saveexec_b64 s[20:21], s[2:3]
	s_cbranch_execz .LBB185_397
; %bb.394:                              ;   in Loop: Header=BB185_223 Depth=1
	v_bfe_u32 v25, v13, 16, 7
	v_mov_b32_e32 v18, 0x7f800001
	v_mov_b32_e32 v19, 0
	v_cmp_ne_u32_e64 s[2:3], s31, v25
	s_and_saveexec_b64 s[22:23], s[2:3]
	s_cbranch_execz .LBB185_396
; %bb.395:                              ;   in Loop: Header=BB185_223 Depth=1
	v_and_b32_e32 v26, 7, v9
	v_ffbh_u32_e32 v18, v26
	v_lshrrev_b32_e32 v27, 3, v25
	v_cmp_gt_u32_e64 s[2:3], 8, v25
	v_min_u32_e32 v25, 32, v18
	v_subrev_u32_e32 v18, 28, v25
	v_lshlrev_b64 v[18:19], v18, v[9:10]
	v_sub_u32_e32 v19, 29, v25
	v_and_b32_e32 v18, 7, v18
	v_cndmask_b32_e64 v19, v27, v19, s[2:3]
	v_cndmask_b32_e64 v18, v26, v18, s[2:3]
	v_lshlrev_b32_e32 v18, 20, v18
	v_and_b32_sdwa v9, sext(v9), s39 dst_sel:DWORD dst_unused:UNUSED_PAD src0_sel:BYTE_0 src1_sel:DWORD
	v_lshl_add_u32 v19, v19, 23, v44
	v_or3_b32 v18, v9, v19, v18
	v_mov_b32_e32 v19, v5
.LBB185_396:                            ;   in Loop: Header=BB185_223 Depth=1
	s_or_b64 exec, exec, s[22:23]
.LBB185_397:                            ;   in Loop: Header=BB185_223 Depth=1
	s_or_b64 exec, exec, s[20:21]
.LBB185_398:                            ;   in Loop: Header=BB185_223 Depth=1
	s_or_b64 exec, exec, s[18:19]
	v_cmp_lt_u32_e64 s[2:3], s40, v13
	s_and_saveexec_b64 s[18:19], s[2:3]
	s_cbranch_execz .LBB185_404
; %bb.399:                              ;   in Loop: Header=BB185_223 Depth=1
	v_mov_b32_e32 v21, v6
	v_cmp_ne_u32_sdwa s[2:3], v13, s30 src0_sel:BYTE_3 src1_sel:DWORD
	v_mov_b32_e32 v20, v5
	s_and_saveexec_b64 s[20:21], s[2:3]
	s_cbranch_execz .LBB185_403
; %bb.400:                              ;   in Loop: Header=BB185_223 Depth=1
	v_bfe_u32 v25, v13, 24, 7
	v_mov_b32_e32 v9, v5
	v_mov_b32_e32 v21, v10
	v_cmp_ne_u32_e64 s[2:3], s31, v25
	v_mov_b32_e32 v20, v9
	s_and_saveexec_b64 s[22:23], s[2:3]
	s_cbranch_execz .LBB185_402
; %bb.401:                              ;   in Loop: Header=BB185_223 Depth=1
	v_mov_b32_e32 v9, 7
	v_and_b32_sdwa v20, v13, v9 dst_sel:DWORD dst_unused:UNUSED_PAD src0_sel:BYTE_3 src1_sel:DWORD
	v_lshrrev_b32_e32 v9, 3, v25
	v_cmp_gt_u32_e64 s[2:3], 8, v25
	v_ffbh_u32_e32 v25, v20
	v_min_u32_e32 v27, 32, v25
	v_mov_b32_e32 v21, v5
	v_subrev_u32_e32 v25, 28, v27
	v_lshlrev_b64 v[25:26], v25, v[20:21]
	v_sub_u32_e32 v21, 29, v27
	v_and_b32_e32 v25, 7, v25
	v_cndmask_b32_e64 v9, v9, v21, s[2:3]
	v_mov_b32_e32 v21, 24
	v_cndmask_b32_e64 v20, v20, v25, s[2:3]
	v_lshlrev_b32_sdwa v13, v21, v13 dst_sel:DWORD dst_unused:UNUSED_PAD src0_sel:DWORD src1_sel:BYTE_3
	v_lshl_add_u32 v9, v9, 23, v44
	v_and_or_b32 v9, v13, s39, v9
	v_lshlrev_b32_e32 v13, 20, v20
	v_or_b32_e32 v21, v9, v13
	v_mov_b32_e32 v20, v5
.LBB185_402:                            ;   in Loop: Header=BB185_223 Depth=1
	s_or_b64 exec, exec, s[22:23]
.LBB185_403:                            ;   in Loop: Header=BB185_223 Depth=1
	s_or_b64 exec, exec, s[20:21]
.LBB185_404:                            ;   in Loop: Header=BB185_223 Depth=1
	s_or_b64 exec, exec, s[18:19]
	v_or_b32_e32 v9, v17, v15
	v_or_b32_e32 v13, v16, v14
	v_mul_f32_e32 v45, s42, v9
	v_mul_f32_e32 v25, s41, v13
	v_or_b32_e32 v9, v21, v19
	v_or_b32_e32 v13, v20, v18
	v_mul_f32_e32 v21, s41, v13
	v_mul_f32_e32 v20, s42, v9
	s_and_saveexec_b64 s[18:19], s[0:1]
	s_cbranch_execz .LBB185_406
; %bb.405:                              ;   in Loop: Header=BB185_223 Depth=1
	v_cmp_gt_i32_e64 s[2:3], s33, v51
	v_add_u32_e32 v9, 1, v51
	v_cndmask_b32_e64 v25, 0, v25, s[2:3]
	v_cmp_gt_i32_e64 s[2:3], s33, v9
	v_add_u32_e32 v9, 2, v51
	v_cndmask_b32_e64 v45, 0, v45, s[2:3]
	v_cmp_gt_i32_e64 s[2:3], s33, v9
	v_add_u32_e32 v9, 3, v51
	v_cndmask_b32_e64 v21, 0, v21, s[2:3]
	v_cmp_gt_i32_e64 s[2:3], s33, v9
	v_cndmask_b32_e64 v20, 0, v20, s[2:3]
.LBB185_406:                            ;   in Loop: Header=BB185_223 Depth=1
	s_or_b64 exec, exec, s[18:19]
	s_and_saveexec_b64 s[18:19], vcc
	s_cbranch_execz .LBB185_221
; %bb.407:                              ;   in Loop: Header=BB185_223 Depth=1
	buffer_load_dword v9, off, s[56:59], 0 offset:4 ; 4-byte Folded Reload
	v_mov_b32_e32 v14, 0
	v_mov_b32_e32 v15, 0
	s_waitcnt vmcnt(0)
	v_add_co_u32_e64 v11, s[2:3], v11, v9
	v_addc_co_u32_e64 v12, s[2:3], 0, v12, s[2:3]
	global_load_dword v11, v[11:12], off
	v_mov_b32_e32 v12, 0
	v_mov_b32_e32 v13, 0
	s_waitcnt vmcnt(0)
	v_cmp_ne_u16_sdwa s[2:3], v11, v5 src0_sel:BYTE_0 src1_sel:DWORD
	s_and_saveexec_b64 s[20:21], s[2:3]
	s_cbranch_execz .LBB185_413
; %bb.408:                              ;   in Loop: Header=BB185_223 Depth=1
	v_bfrev_b32_e32 v12, 1
	v_mov_b32_e32 v13, 0
	v_cmp_ne_u16_sdwa s[2:3], v11, s30 src0_sel:BYTE_0 src1_sel:DWORD
	s_and_saveexec_b64 s[22:23], s[2:3]
	s_cbranch_execz .LBB185_412
; %bb.409:                              ;   in Loop: Header=BB185_223 Depth=1
	v_and_b32_e32 v9, 0x7f, v11
	v_mov_b32_e32 v12, 0x7f800001
	v_mov_b32_e32 v13, 0
	v_cmp_ne_u32_e64 s[2:3], s31, v9
	s_and_saveexec_b64 s[28:29], s[2:3]
	s_cbranch_execz .LBB185_411
; %bb.410:                              ;   in Loop: Header=BB185_223 Depth=1
	v_and_b32_e32 v16, 7, v11
	v_lshrrev_b32_e32 v17, 3, v9
	v_cmp_gt_u32_e64 s[2:3], 8, v9
	v_ffbh_u32_e32 v9, v16
	v_min_u32_e32 v9, 32, v9
	v_subrev_u32_e32 v12, 28, v9
	v_lshlrev_b64 v[12:13], v12, v[11:12]
	v_sub_u32_e32 v9, 29, v9
	v_and_b32_e32 v12, 7, v12
	v_cndmask_b32_e64 v9, v17, v9, s[2:3]
	v_cndmask_b32_e64 v12, v16, v12, s[2:3]
	v_lshlrev_b32_e32 v12, 20, v12
	v_and_b32_sdwa v13, sext(v11), s39 dst_sel:DWORD dst_unused:UNUSED_PAD src0_sel:BYTE_0 src1_sel:DWORD
	v_lshl_add_u32 v9, v9, 23, v44
	v_or3_b32 v12, v13, v9, v12
	v_mov_b32_e32 v13, v5
.LBB185_411:                            ;   in Loop: Header=BB185_223 Depth=1
	s_or_b64 exec, exec, s[28:29]
.LBB185_412:                            ;   in Loop: Header=BB185_223 Depth=1
	s_or_b64 exec, exec, s[22:23]
.LBB185_413:                            ;   in Loop: Header=BB185_223 Depth=1
	s_or_b64 exec, exec, s[20:21]
	v_cmp_ne_u16_sdwa s[2:3], v11, v5 src0_sel:BYTE_1 src1_sel:DWORD
	s_and_saveexec_b64 s[20:21], s[2:3]
	s_cbranch_execz .LBB185_419
; %bb.414:                              ;   in Loop: Header=BB185_223 Depth=1
	v_mov_b32_e32 v15, v6
	v_cmp_ne_u16_sdwa s[2:3], v11, s30 src0_sel:BYTE_1 src1_sel:DWORD
	v_mov_b32_e32 v14, v5
	s_and_saveexec_b64 s[22:23], s[2:3]
	s_cbranch_execz .LBB185_418
; %bb.415:                              ;   in Loop: Header=BB185_223 Depth=1
	v_and_b32_sdwa v16, v11, s31 dst_sel:DWORD dst_unused:UNUSED_PAD src0_sel:BYTE_1 src1_sel:DWORD
	v_mov_b32_e32 v9, v5
	v_mov_b32_e32 v15, v10
	v_cmp_ne_u32_e64 s[2:3], s31, v16
	v_mov_b32_e32 v14, v9
	s_and_saveexec_b64 s[28:29], s[2:3]
	s_cbranch_execz .LBB185_417
; %bb.416:                              ;   in Loop: Header=BB185_223 Depth=1
	v_mov_b32_e32 v9, 7
	v_and_b32_sdwa v14, v11, v9 dst_sel:DWORD dst_unused:UNUSED_PAD src0_sel:BYTE_1 src1_sel:DWORD
	v_lshrrev_b32_e32 v9, 3, v16
	v_cmp_gt_u32_e64 s[2:3], 8, v16
	v_ffbh_u32_e32 v16, v14
	v_min_u32_e32 v17, 32, v16
	v_mov_b32_e32 v15, v5
	v_subrev_u32_e32 v16, 28, v17
	v_lshlrev_b64 v[15:16], v16, v[14:15]
	v_sub_u32_e32 v16, 29, v17
	v_and_b32_e32 v15, 7, v15
	v_cndmask_b32_e64 v9, v9, v16, s[2:3]
	v_cndmask_b32_e64 v14, v14, v15, s[2:3]
	v_lshlrev_b32_e32 v15, 16, v11
	v_lshl_add_u32 v9, v9, 23, v44
	v_and_or_b32 v9, v15, s39, v9
	v_lshlrev_b32_e32 v14, 20, v14
	v_or_b32_e32 v15, v9, v14
	v_mov_b32_e32 v14, v5
.LBB185_417:                            ;   in Loop: Header=BB185_223 Depth=1
	s_or_b64 exec, exec, s[28:29]
.LBB185_418:                            ;   in Loop: Header=BB185_223 Depth=1
	s_or_b64 exec, exec, s[22:23]
.LBB185_419:                            ;   in Loop: Header=BB185_223 Depth=1
	s_or_b64 exec, exec, s[20:21]
	v_lshrrev_b32_e32 v9, 16, v11
	v_mov_b32_e32 v18, 0
	v_mov_b32_e32 v16, 0
	v_mov_b32_e32 v19, 0
	v_mov_b32_e32 v17, 0
	v_cmp_ne_u16_sdwa s[2:3], v9, v5 src0_sel:BYTE_0 src1_sel:DWORD
	s_and_saveexec_b64 s[20:21], s[2:3]
	s_cbranch_execz .LBB185_425
; %bb.420:                              ;   in Loop: Header=BB185_223 Depth=1
	v_bfrev_b32_e32 v16, 1
	v_mov_b32_e32 v17, 0
	v_cmp_ne_u16_sdwa s[2:3], v9, s30 src0_sel:BYTE_0 src1_sel:DWORD
	s_and_saveexec_b64 s[22:23], s[2:3]
	s_cbranch_execz .LBB185_424
; %bb.421:                              ;   in Loop: Header=BB185_223 Depth=1
	v_bfe_u32 v26, v11, 16, 7
	v_mov_b32_e32 v16, 0x7f800001
	v_mov_b32_e32 v17, 0
	v_cmp_ne_u32_e64 s[2:3], s31, v26
	s_and_saveexec_b64 s[28:29], s[2:3]
	s_cbranch_execz .LBB185_423
; %bb.422:                              ;   in Loop: Header=BB185_223 Depth=1
	v_and_b32_e32 v27, 7, v9
	v_ffbh_u32_e32 v16, v27
	v_lshrrev_b32_e32 v28, 3, v26
	v_cmp_gt_u32_e64 s[2:3], 8, v26
	v_min_u32_e32 v26, 32, v16
	v_subrev_u32_e32 v16, 28, v26
	v_lshlrev_b64 v[16:17], v16, v[9:10]
	v_sub_u32_e32 v17, 29, v26
	v_cndmask_b32_e64 v17, v28, v17, s[2:3]
	buffer_load_dword v28, off, s[56:59], 0 offset:8 ; 4-byte Folded Reload
	v_and_b32_e32 v16, 7, v16
	v_cndmask_b32_e64 v16, v27, v16, s[2:3]
	v_lshlrev_b32_e32 v16, 20, v16
	v_and_b32_sdwa v9, sext(v9), s39 dst_sel:DWORD dst_unused:UNUSED_PAD src0_sel:BYTE_0 src1_sel:DWORD
	v_lshl_add_u32 v17, v17, 23, v44
	v_or3_b32 v16, v9, v17, v16
	v_mov_b32_e32 v17, v5
.LBB185_423:                            ;   in Loop: Header=BB185_223 Depth=1
	s_or_b64 exec, exec, s[28:29]
.LBB185_424:                            ;   in Loop: Header=BB185_223 Depth=1
	s_or_b64 exec, exec, s[22:23]
.LBB185_425:                            ;   in Loop: Header=BB185_223 Depth=1
	s_or_b64 exec, exec, s[20:21]
	v_cmp_lt_u32_e64 s[2:3], s40, v11
	s_and_saveexec_b64 s[20:21], s[2:3]
	s_cbranch_execz .LBB185_431
; %bb.426:                              ;   in Loop: Header=BB185_223 Depth=1
	v_mov_b32_e32 v19, v6
	v_cmp_ne_u32_sdwa s[2:3], v11, s30 src0_sel:BYTE_3 src1_sel:DWORD
	v_mov_b32_e32 v18, v5
	s_and_saveexec_b64 s[22:23], s[2:3]
	s_cbranch_execz .LBB185_430
; %bb.427:                              ;   in Loop: Header=BB185_223 Depth=1
	v_bfe_u32 v26, v11, 24, 7
	v_mov_b32_e32 v9, v5
	v_mov_b32_e32 v19, v10
	v_cmp_ne_u32_e64 s[2:3], s31, v26
	v_mov_b32_e32 v18, v9
	s_and_saveexec_b64 s[28:29], s[2:3]
	s_cbranch_execz .LBB185_429
; %bb.428:                              ;   in Loop: Header=BB185_223 Depth=1
	v_mov_b32_e32 v9, 7
	v_and_b32_sdwa v18, v11, v9 dst_sel:DWORD dst_unused:UNUSED_PAD src0_sel:BYTE_3 src1_sel:DWORD
	v_lshrrev_b32_e32 v9, 3, v26
	v_cmp_gt_u32_e64 s[2:3], 8, v26
	v_ffbh_u32_e32 v26, v18
	s_waitcnt vmcnt(0)
	v_min_u32_e32 v28, 32, v26
	v_mov_b32_e32 v19, v5
	v_subrev_u32_e32 v26, 28, v28
	v_lshlrev_b64 v[26:27], v26, v[18:19]
	v_sub_u32_e32 v19, 29, v28
	buffer_load_dword v28, off, s[56:59], 0 offset:8 ; 4-byte Folded Reload
	v_and_b32_e32 v26, 7, v26
	v_cndmask_b32_e64 v9, v9, v19, s[2:3]
	v_mov_b32_e32 v19, 24
	v_cndmask_b32_e64 v18, v18, v26, s[2:3]
	v_lshlrev_b32_sdwa v11, v19, v11 dst_sel:DWORD dst_unused:UNUSED_PAD src0_sel:DWORD src1_sel:BYTE_3
	v_lshl_add_u32 v9, v9, 23, v44
	v_and_or_b32 v9, v11, s39, v9
	v_lshlrev_b32_e32 v11, 20, v18
	v_or_b32_e32 v19, v9, v11
	v_mov_b32_e32 v18, v5
.LBB185_429:                            ;   in Loop: Header=BB185_223 Depth=1
	s_or_b64 exec, exec, s[28:29]
.LBB185_430:                            ;   in Loop: Header=BB185_223 Depth=1
	s_or_b64 exec, exec, s[22:23]
.LBB185_431:                            ;   in Loop: Header=BB185_223 Depth=1
	s_or_b64 exec, exec, s[20:21]
	v_or_b32_e32 v11, v14, v12
	v_or_b32_e32 v9, v15, v13
	v_mul_f32_e32 v13, s41, v11
	v_or_b32_e32 v11, v19, v17
	v_or_b32_e32 v12, v18, v16
	v_mul_f32_e32 v9, s42, v9
	v_mul_f32_e32 v12, s41, v12
	v_mul_f32_e32 v11, s42, v11
	s_and_saveexec_b64 s[2:3], s[0:1]
	s_cbranch_execz .LBB185_220
; %bb.432:                              ;   in Loop: Header=BB185_223 Depth=1
	v_cmp_gt_i32_e64 s[0:1], s33, v51
	v_add_u32_e32 v14, 1, v51
	v_cndmask_b32_e64 v13, 0, v13, s[0:1]
	v_cmp_gt_i32_e64 s[0:1], s33, v14
	v_add_u32_e32 v14, 2, v51
	v_cndmask_b32_e64 v9, 0, v9, s[0:1]
	;; [unrolled: 3-line block ×3, first 2 shown]
	v_cmp_gt_i32_e64 s[0:1], s33, v14
	v_cndmask_b32_e64 v11, 0, v11, s[0:1]
	s_branch .LBB185_220
.LBB185_433:
	s_or_b64 exec, exec, s[12:13]
	buffer_load_dword v17, off, s[56:59], 0 offset:108 ; 4-byte Folded Reload
	buffer_load_dword v18, off, s[56:59], 0 offset:112 ; 4-byte Folded Reload
	;; [unrolled: 1-line block ×4, first 2 shown]
	buffer_load_dword v20, off, s[56:59], 0 ; 4-byte Folded Reload
	s_waitcnt vmcnt(4)
	v_lshrrev_b32_e32 v16, 2, v17
	v_lshlrev_b32_e32 v15, 2, v16
.LBB185_434:
	s_or_b64 exec, exec, s[4:5]
	s_waitcnt vmcnt(1)
	ds_bpermute_b32 v0, v9, v35
	ds_bpermute_b32 v1, v9, v34
	;; [unrolled: 1-line block ×4, first 2 shown]
	v_cmp_eq_u32_e32 vcc, 0, v18
	s_waitcnt lgkmcnt(3)
	v_add_f32_e32 v0, v35, v0
	s_waitcnt lgkmcnt(2)
	v_add_f32_e32 v1, v34, v1
	ds_bpermute_b32 v3, v14, v0
	s_waitcnt lgkmcnt(2)
	v_add_f32_e32 v2, v33, v2
	ds_bpermute_b32 v4, v14, v1
	ds_bpermute_b32 v6, v14, v2
	s_waitcnt lgkmcnt(0)
	v_add_f32_e32 v7, v0, v3
	ds_bpermute_b32 v0, v9, v30
	v_add_f32_e32 v5, v1, v4
	v_add_f32_e32 v4, v2, v6
	ds_bpermute_b32 v3, v9, v29
	ds_bpermute_b32 v6, v9, v24
	s_waitcnt vmcnt(0)
	ds_bpermute_b32 v9, v9, v20
	s_waitcnt lgkmcnt(3)
	v_add_f32_e32 v0, v30, v0
	v_add_f32_e32 v1, v31, v8
	ds_bpermute_b32 v8, v14, v0
	s_waitcnt lgkmcnt(3)
	v_add_f32_e32 v10, v29, v3
	s_waitcnt lgkmcnt(2)
	v_add_f32_e32 v12, v24, v6
	;; [unrolled: 2-line block ×3, first 2 shown]
	ds_bpermute_b32 v2, v14, v1
	ds_bpermute_b32 v11, v14, v10
	;; [unrolled: 1-line block ×4, first 2 shown]
	s_waitcnt lgkmcnt(4)
	v_add_f32_e32 v3, v0, v8
	v_and_b32_e32 v8, 0x3c0, v17
	s_waitcnt lgkmcnt(3)
	v_add_f32_e32 v6, v1, v2
	s_waitcnt lgkmcnt(2)
	v_add_f32_e32 v2, v10, v11
	;; [unrolled: 2-line block ×4, first 2 shown]
	v_cmp_eq_u32_e64 s[0:1], 64, v8
	s_barrier
	s_and_saveexec_b64 s[2:3], s[0:1]
	s_cbranch_execz .LBB185_439
; %bb.435:
	s_and_saveexec_b64 s[0:1], vcc
	s_cbranch_execz .LBB185_437
; %bb.436:
	v_mov_b32_e32 v8, 0x1f0
	v_lshl_add_u32 v8, v28, 2, v8
	ds_write2_b32 v8, v7, v5 offset1:16
	ds_write2_b32 v8, v4, v6 offset0:32 offset1:48
	ds_write2_b32 v8, v3, v2 offset0:64 offset1:80
	ds_write_b32 v8, v1 offset:384
.LBB185_437:
	s_or_b64 exec, exec, s[0:1]
	v_or_b32_e32 v8, 0x70, v28
	s_movk_i32 s0, 0x78
	v_cmp_gt_u32_e64 s[0:1], s0, v8
	s_and_b64 s[0:1], vcc, s[0:1]
	s_and_b64 exec, exec, s[0:1]
; %bb.438:
	v_mov_b32_e32 v8, 0x1f0
	v_lshl_add_u32 v8, v28, 2, v8
	ds_write_b32 v8, v0 offset:448
.LBB185_439:
	s_or_b64 exec, exec, s[2:3]
	v_cmp_gt_u32_e64 s[0:1], 64, v17
	s_waitcnt lgkmcnt(0)
	s_barrier
	s_and_saveexec_b64 s[4:5], s[0:1]
	s_cbranch_execz .LBB185_457
; %bb.440:
	s_and_saveexec_b64 s[2:3], vcc
	s_cbranch_execz .LBB185_442
; %bb.441:
	v_mov_b32_e32 v8, 0x1f0
	v_lshl_add_u32 v8, v16, 2, v8
	ds_read_b32 v8, v8
	s_waitcnt lgkmcnt(0)
	v_add_f32_e32 v7, v7, v8
.LBB185_442:
	s_or_b64 exec, exec, s[2:3]
	v_or_b32_e32 v8, 16, v16
	s_movk_i32 s6, 0x78
	v_cmp_gt_u32_e64 s[2:3], s6, v8
	s_and_b64 s[12:13], vcc, s[2:3]
	s_and_saveexec_b64 s[2:3], s[12:13]
	s_cbranch_execz .LBB185_444
; %bb.443:
	v_mov_b32_e32 v8, 0x1f0
	v_lshl_add_u32 v8, v16, 2, v8
	ds_read_b32 v8, v8 offset:64
	s_waitcnt lgkmcnt(0)
	v_add_f32_e32 v5, v5, v8
.LBB185_444:
	s_or_b64 exec, exec, s[2:3]
	v_or_b32_e32 v8, 32, v16
	v_cmp_gt_u32_e64 s[2:3], s6, v8
	s_and_b64 s[6:7], vcc, s[2:3]
	s_and_saveexec_b64 s[2:3], s[6:7]
	s_cbranch_execz .LBB185_446
; %bb.445:
	v_mov_b32_e32 v8, 0x1f0
	v_lshl_add_u32 v8, v16, 2, v8
	ds_read_b32 v8, v8 offset:128
	s_waitcnt lgkmcnt(0)
	v_add_f32_e32 v4, v4, v8
.LBB185_446:
	s_or_b64 exec, exec, s[2:3]
	v_or_b32_e32 v8, 48, v16
	s_movk_i32 s6, 0x78
	v_cmp_gt_u32_e64 s[2:3], s6, v8
	s_and_b64 s[12:13], vcc, s[2:3]
	s_and_saveexec_b64 s[2:3], s[12:13]
	s_cbranch_execz .LBB185_448
; %bb.447:
	v_mov_b32_e32 v8, 0x1f0
	v_lshl_add_u32 v8, v16, 2, v8
	ds_read_b32 v8, v8 offset:192
	s_waitcnt lgkmcnt(0)
	v_add_f32_e32 v6, v6, v8
.LBB185_448:
	s_or_b64 exec, exec, s[2:3]
	v_or_b32_e32 v8, 64, v16
	v_cmp_gt_u32_e64 s[2:3], s6, v8
	s_and_b64 s[6:7], vcc, s[2:3]
	s_and_saveexec_b64 s[2:3], s[6:7]
	s_cbranch_execz .LBB185_450
; %bb.449:
	v_mov_b32_e32 v8, 0x1f0
	v_lshl_add_u32 v8, v16, 2, v8
	ds_read_b32 v8, v8 offset:256
	s_waitcnt lgkmcnt(0)
	v_add_f32_e32 v3, v3, v8
.LBB185_450:
	;; [unrolled: 27-line block ×3, first 2 shown]
	s_or_b64 exec, exec, s[2:3]
	v_or_b32_e32 v8, 0x70, v16
	s_movk_i32 s2, 0x78
	v_cmp_gt_u32_e64 s[2:3], s2, v8
	s_and_b64 s[6:7], vcc, s[2:3]
	s_and_saveexec_b64 s[2:3], s[6:7]
	s_cbranch_execz .LBB185_456
; %bb.455:
	v_mov_b32_e32 v8, 0x1f0
	v_lshl_add_u32 v8, v16, 2, v8
	ds_read_b32 v8, v8 offset:448
	s_waitcnt lgkmcnt(0)
	v_add_f32_e32 v0, v0, v8
.LBB185_456:
	s_or_b64 exec, exec, s[2:3]
.LBB185_457:
	s_or_b64 exec, exec, s[4:5]
	s_barrier
	s_and_saveexec_b64 s[2:3], s[0:1]
	s_cbranch_execz .LBB185_474
; %bb.458:
	s_mul_i32 s0, s10, s11
	s_mul_i32 s0, s0, s9
	s_mulk_i32 s0, 0x78
	s_ashr_i32 s1, s0, 31
	s_lshl_b64 s[0:1], s[0:1], 2
	s_add_u32 s2, s26, s0
	s_mul_i32 s0, s11, s24
	s_addc_u32 s3, s27, s1
	s_ashr_i32 s1, s0, 31
	s_lshl_b64 s[0:1], s[0:1], 2
	s_add_u32 s2, s2, s0
	s_mul_i32 s0, s8, 0x78
	s_addc_u32 s3, s3, s1
	s_ashr_i32 s1, s0, 31
	s_lshl_b64 s[0:1], s[0:1], 2
	s_add_u32 s2, s2, s0
	s_movk_i32 s4, 0x78
	s_addc_u32 s3, s3, s1
	s_and_saveexec_b64 s[0:1], vcc
	s_cbranch_execz .LBB185_460
; %bb.459:
	global_store_dword v15, v7, s[2:3]
.LBB185_460:
	s_or_b64 exec, exec, s[0:1]
	v_or_b32_e32 v7, 16, v16
	v_cmp_gt_u32_e64 s[0:1], s4, v7
	s_and_b64 s[4:5], vcc, s[0:1]
	s_and_saveexec_b64 s[0:1], s[4:5]
	s_cbranch_execz .LBB185_462
; %bb.461:
	global_store_dword v15, v5, s[2:3] offset:64
.LBB185_462:
	s_or_b64 exec, exec, s[0:1]
	v_or_b32_e32 v5, 32, v16
	s_movk_i32 s4, 0x78
	v_cmp_gt_u32_e64 s[0:1], s4, v5
	s_and_b64 s[6:7], vcc, s[0:1]
	s_and_saveexec_b64 s[0:1], s[6:7]
	s_cbranch_execz .LBB185_464
; %bb.463:
	global_store_dword v15, v4, s[2:3] offset:128
.LBB185_464:
	s_or_b64 exec, exec, s[0:1]
	v_or_b32_e32 v4, 48, v16
	v_cmp_gt_u32_e64 s[0:1], s4, v4
	s_and_b64 s[4:5], vcc, s[0:1]
	s_and_saveexec_b64 s[0:1], s[4:5]
	s_cbranch_execz .LBB185_466
; %bb.465:
	global_store_dword v15, v6, s[2:3] offset:192
.LBB185_466:
	s_or_b64 exec, exec, s[0:1]
	v_or_b32_e32 v4, 64, v16
	s_movk_i32 s4, 0x78
	v_cmp_gt_u32_e64 s[0:1], s4, v4
	s_and_b64 s[6:7], vcc, s[0:1]
	s_and_saveexec_b64 s[0:1], s[6:7]
	s_cbranch_execz .LBB185_468
; %bb.467:
	global_store_dword v15, v3, s[2:3] offset:256
.LBB185_468:
	s_or_b64 exec, exec, s[0:1]
	v_or_b32_e32 v3, 0x50, v16
	v_cmp_gt_u32_e64 s[0:1], s4, v3
	s_and_b64 s[4:5], vcc, s[0:1]
	s_and_saveexec_b64 s[0:1], s[4:5]
	s_cbranch_execz .LBB185_470
; %bb.469:
	global_store_dword v15, v2, s[2:3] offset:320
.LBB185_470:
	s_or_b64 exec, exec, s[0:1]
	v_or_b32_e32 v2, 0x60, v16
	s_movk_i32 s4, 0x78
	v_cmp_gt_u32_e64 s[0:1], s4, v2
	s_and_b64 s[6:7], vcc, s[0:1]
	s_and_saveexec_b64 s[0:1], s[6:7]
	s_cbranch_execz .LBB185_472
; %bb.471:
	global_store_dword v15, v1, s[2:3] offset:384
.LBB185_472:
	s_or_b64 exec, exec, s[0:1]
	v_or_b32_e32 v1, 0x70, v16
	v_cmp_gt_u32_e64 s[0:1], s4, v1
	s_and_b64 s[0:1], vcc, s[0:1]
	s_and_b64 exec, exec, s[0:1]
	s_cbranch_execz .LBB185_474
; %bb.473:
	global_store_dword v15, v0, s[2:3] offset:448
.LBB185_474:
	s_endpgm
	.section	.rodata,"a",@progbits
	.p2align	6, 0x0
	.amdhsa_kernel _ZN4vllm25paged_attention_v1_kernelIfhLi120ELi16ELi128ELNS_18Fp8KVCacheDataTypeE1ELb1EEEvPT_PKS2_PKT0_S8_ifPKiSA_iPKfiiiSC_SC_iiiii
		.amdhsa_group_segment_fixed_size 496
		.amdhsa_private_segment_fixed_size 128
		.amdhsa_kernarg_size 384
		.amdhsa_user_sgpr_count 6
		.amdhsa_user_sgpr_private_segment_buffer 1
		.amdhsa_user_sgpr_dispatch_ptr 0
		.amdhsa_user_sgpr_queue_ptr 0
		.amdhsa_user_sgpr_kernarg_segment_ptr 1
		.amdhsa_user_sgpr_dispatch_id 0
		.amdhsa_user_sgpr_flat_scratch_init 0
		.amdhsa_user_sgpr_private_segment_size 0
		.amdhsa_uses_dynamic_stack 0
		.amdhsa_system_sgpr_private_segment_wavefront_offset 1
		.amdhsa_system_sgpr_workgroup_id_x 1
		.amdhsa_system_sgpr_workgroup_id_y 1
		.amdhsa_system_sgpr_workgroup_id_z 1
		.amdhsa_system_sgpr_workgroup_info 0
		.amdhsa_system_vgpr_workitem_id 0
		.amdhsa_next_free_vgpr 64
		.amdhsa_next_free_sgpr 60
		.amdhsa_reserve_vcc 1
		.amdhsa_reserve_flat_scratch 0
		.amdhsa_float_round_mode_32 0
		.amdhsa_float_round_mode_16_64 0
		.amdhsa_float_denorm_mode_32 3
		.amdhsa_float_denorm_mode_16_64 3
		.amdhsa_dx10_clamp 1
		.amdhsa_ieee_mode 1
		.amdhsa_fp16_overflow 0
		.amdhsa_exception_fp_ieee_invalid_op 0
		.amdhsa_exception_fp_denorm_src 0
		.amdhsa_exception_fp_ieee_div_zero 0
		.amdhsa_exception_fp_ieee_overflow 0
		.amdhsa_exception_fp_ieee_underflow 0
		.amdhsa_exception_fp_ieee_inexact 0
		.amdhsa_exception_int_div_zero 0
	.end_amdhsa_kernel
	.section	.text._ZN4vllm25paged_attention_v1_kernelIfhLi120ELi16ELi128ELNS_18Fp8KVCacheDataTypeE1ELb1EEEvPT_PKS2_PKT0_S8_ifPKiSA_iPKfiiiSC_SC_iiiii,"axG",@progbits,_ZN4vllm25paged_attention_v1_kernelIfhLi120ELi16ELi128ELNS_18Fp8KVCacheDataTypeE1ELb1EEEvPT_PKS2_PKT0_S8_ifPKiSA_iPKfiiiSC_SC_iiiii,comdat
.Lfunc_end185:
	.size	_ZN4vllm25paged_attention_v1_kernelIfhLi120ELi16ELi128ELNS_18Fp8KVCacheDataTypeE1ELb1EEEvPT_PKS2_PKT0_S8_ifPKiSA_iPKfiiiSC_SC_iiiii, .Lfunc_end185-_ZN4vllm25paged_attention_v1_kernelIfhLi120ELi16ELi128ELNS_18Fp8KVCacheDataTypeE1ELb1EEEvPT_PKS2_PKT0_S8_ifPKiSA_iPKfiiiSC_SC_iiiii
                                        ; -- End function
	.set _ZN4vllm25paged_attention_v1_kernelIfhLi120ELi16ELi128ELNS_18Fp8KVCacheDataTypeE1ELb1EEEvPT_PKS2_PKT0_S8_ifPKiSA_iPKfiiiSC_SC_iiiii.num_vgpr, 64
	.set _ZN4vllm25paged_attention_v1_kernelIfhLi120ELi16ELi128ELNS_18Fp8KVCacheDataTypeE1ELb1EEEvPT_PKS2_PKT0_S8_ifPKiSA_iPKfiiiSC_SC_iiiii.num_agpr, 0
	.set _ZN4vllm25paged_attention_v1_kernelIfhLi120ELi16ELi128ELNS_18Fp8KVCacheDataTypeE1ELb1EEEvPT_PKS2_PKT0_S8_ifPKiSA_iPKfiiiSC_SC_iiiii.numbered_sgpr, 60
	.set _ZN4vllm25paged_attention_v1_kernelIfhLi120ELi16ELi128ELNS_18Fp8KVCacheDataTypeE1ELb1EEEvPT_PKS2_PKT0_S8_ifPKiSA_iPKfiiiSC_SC_iiiii.num_named_barrier, 0
	.set _ZN4vllm25paged_attention_v1_kernelIfhLi120ELi16ELi128ELNS_18Fp8KVCacheDataTypeE1ELb1EEEvPT_PKS2_PKT0_S8_ifPKiSA_iPKfiiiSC_SC_iiiii.private_seg_size, 128
	.set _ZN4vllm25paged_attention_v1_kernelIfhLi120ELi16ELi128ELNS_18Fp8KVCacheDataTypeE1ELb1EEEvPT_PKS2_PKT0_S8_ifPKiSA_iPKfiiiSC_SC_iiiii.uses_vcc, 1
	.set _ZN4vllm25paged_attention_v1_kernelIfhLi120ELi16ELi128ELNS_18Fp8KVCacheDataTypeE1ELb1EEEvPT_PKS2_PKT0_S8_ifPKiSA_iPKfiiiSC_SC_iiiii.uses_flat_scratch, 0
	.set _ZN4vllm25paged_attention_v1_kernelIfhLi120ELi16ELi128ELNS_18Fp8KVCacheDataTypeE1ELb1EEEvPT_PKS2_PKT0_S8_ifPKiSA_iPKfiiiSC_SC_iiiii.has_dyn_sized_stack, 0
	.set _ZN4vllm25paged_attention_v1_kernelIfhLi120ELi16ELi128ELNS_18Fp8KVCacheDataTypeE1ELb1EEEvPT_PKS2_PKT0_S8_ifPKiSA_iPKfiiiSC_SC_iiiii.has_recursion, 0
	.set _ZN4vllm25paged_attention_v1_kernelIfhLi120ELi16ELi128ELNS_18Fp8KVCacheDataTypeE1ELb1EEEvPT_PKS2_PKT0_S8_ifPKiSA_iPKfiiiSC_SC_iiiii.has_indirect_call, 0
	.section	.AMDGPU.csdata,"",@progbits
; Kernel info:
; codeLenInByte = 19228
; TotalNumSgprs: 64
; NumVgprs: 64
; ScratchSize: 128
; MemoryBound: 0
; FloatMode: 240
; IeeeMode: 1
; LDSByteSize: 496 bytes/workgroup (compile time only)
; SGPRBlocks: 7
; VGPRBlocks: 15
; NumSGPRsForWavesPerEU: 64
; NumVGPRsForWavesPerEU: 64
; Occupancy: 4
; WaveLimiterHint : 1
; COMPUTE_PGM_RSRC2:SCRATCH_EN: 1
; COMPUTE_PGM_RSRC2:USER_SGPR: 6
; COMPUTE_PGM_RSRC2:TRAP_HANDLER: 0
; COMPUTE_PGM_RSRC2:TGID_X_EN: 1
; COMPUTE_PGM_RSRC2:TGID_Y_EN: 1
; COMPUTE_PGM_RSRC2:TGID_Z_EN: 1
; COMPUTE_PGM_RSRC2:TIDIG_COMP_CNT: 0
	.section	.text._ZN4vllm25paged_attention_v1_kernelIfhLi128ELi16ELi128ELNS_18Fp8KVCacheDataTypeE1ELb1EEEvPT_PKS2_PKT0_S8_ifPKiSA_iPKfiiiSC_SC_iiiii,"axG",@progbits,_ZN4vllm25paged_attention_v1_kernelIfhLi128ELi16ELi128ELNS_18Fp8KVCacheDataTypeE1ELb1EEEvPT_PKS2_PKT0_S8_ifPKiSA_iPKfiiiSC_SC_iiiii,comdat
	.protected	_ZN4vllm25paged_attention_v1_kernelIfhLi128ELi16ELi128ELNS_18Fp8KVCacheDataTypeE1ELb1EEEvPT_PKS2_PKT0_S8_ifPKiSA_iPKfiiiSC_SC_iiiii ; -- Begin function _ZN4vllm25paged_attention_v1_kernelIfhLi128ELi16ELi128ELNS_18Fp8KVCacheDataTypeE1ELb1EEEvPT_PKS2_PKT0_S8_ifPKiSA_iPKfiiiSC_SC_iiiii
	.globl	_ZN4vllm25paged_attention_v1_kernelIfhLi128ELi16ELi128ELNS_18Fp8KVCacheDataTypeE1ELb1EEEvPT_PKS2_PKT0_S8_ifPKiSA_iPKfiiiSC_SC_iiiii
	.p2align	8
	.type	_ZN4vllm25paged_attention_v1_kernelIfhLi128ELi16ELi128ELNS_18Fp8KVCacheDataTypeE1ELb1EEEvPT_PKS2_PKT0_S8_ifPKiSA_iPKfiiiSC_SC_iiiii,@function
_ZN4vllm25paged_attention_v1_kernelIfhLi128ELi16ELi128ELNS_18Fp8KVCacheDataTypeE1ELb1EEEvPT_PKS2_PKT0_S8_ifPKiSA_iPKfiiiSC_SC_iiiii: ; @_ZN4vllm25paged_attention_v1_kernelIfhLi128ELi16ELi128ELNS_18Fp8KVCacheDataTypeE1ELb1EEEvPT_PKS2_PKT0_S8_ifPKiSA_iPKfiiiSC_SC_iiiii
; %bb.0:
	s_mov_b64 s[58:59], s[2:3]
	s_mov_b64 s[56:57], s[0:1]
	s_add_u32 s56, s56, s9
	s_load_dword s9, s[4:5], 0x80
	s_load_dwordx2 s[0:1], s[4:5], 0x30
	s_load_dwordx2 s[36:37], s[4:5], 0x20
	s_addc_u32 s57, s57, 0
	s_mov_b32 s10, s7
	s_ashr_i32 s11, s7, 31
	s_lshl_b64 s[2:3], s[10:11], 2
	s_waitcnt lgkmcnt(0)
	s_add_u32 s0, s0, s2
	s_addc_u32 s1, s1, s3
	s_abs_i32 s2, s36
	v_mov_b32_e32 v13, v0
	v_cvt_f32_u32_e32 v0, s2
	s_sub_i32 s11, 0, s2
	s_abs_i32 s7, s9
	s_xor_b32 s3, s9, s36
	v_rcp_iflag_f32_e32 v0, v0
	s_ashr_i32 s3, s3, 31
	s_mov_b32 s48, 0
	v_mul_f32_e32 v0, 0x4f7ffffe, v0
	v_cvt_u32_f32_e32 v0, v0
	v_readfirstlane_b32 s12, v0
	s_mul_i32 s11, s11, s12
	s_mul_hi_u32 s11, s12, s11
	s_add_i32 s12, s12, s11
	s_mul_hi_u32 s11, s7, s12
	s_mul_i32 s12, s11, s2
	s_sub_i32 s7, s7, s12
	s_add_i32 s12, s11, 1
	s_sub_i32 s13, s7, s2
	s_cmp_ge_u32 s7, s2
	s_cselect_b32 s11, s12, s11
	s_cselect_b32 s7, s13, s7
	s_add_i32 s12, s11, 1
	s_cmp_ge_u32 s7, s2
	s_cselect_b32 s2, s12, s11
	s_xor_b32 s2, s2, s3
	s_sub_i32 s14, s2, s3
	s_abs_i32 s11, s14
	v_cvt_f32_u32_e32 v0, s11
	s_load_dwordx2 s[2:3], s[4:5], 0x40
	s_sub_i32 s7, 0, s11
	s_abs_i32 s12, s6
	v_rcp_iflag_f32_e32 v0, v0
	v_mul_f32_e32 v0, 0x4f7ffffe, v0
	v_cvt_u32_f32_e32 v0, v0
	v_readfirstlane_b32 s13, v0
	s_mul_i32 s7, s7, s13
	s_mul_hi_u32 s7, s13, s7
	s_add_i32 s13, s13, s7
	s_waitcnt lgkmcnt(0)
	s_cmp_eq_u64 s[2:3], 0
	s_mul_hi_u32 s13, s12, s13
	s_cbranch_scc1 .LBB186_2
; %bb.1:
	s_ashr_i32 s7, s6, 31
	s_lshl_b64 s[16:17], s[6:7], 2
	s_add_u32 s2, s2, s16
	s_addc_u32 s3, s3, s17
	s_load_dword s48, s[2:3], 0x0
.LBB186_2:
	s_load_dword s33, s[0:1], 0x0
	s_load_dwordx4 s[16:19], s[4:5], 0x48
	v_lshrrev_b32_e32 v0, 2, v13
	s_movk_i32 s0, 0x80
	s_ashr_i32 s3, s6, 31
	s_ashr_i32 s7, s14, 31
	v_and_b32_e32 v1, 3, v13
	s_lshl_b32 s24, s6, 7
	v_cmp_gt_u32_e32 vcc, s0, v13
	v_lshlrev_b32_e32 v14, 2, v13
	v_lshlrev_b32_e32 v2, 2, v0
	buffer_store_dword v1, off, s[56:59], 0 offset:100 ; 4-byte Folded Spill
	buffer_store_dword v0, off, s[56:59], 0 offset:104 ; 4-byte Folded Spill
	s_and_saveexec_b64 s[0:1], vcc
	s_cbranch_execz .LBB186_4
; %bb.3:
	s_load_dwordx2 s[14:15], s[4:5], 0x8
	s_waitcnt lgkmcnt(0)
	s_mul_i32 s20, s16, s10
	s_ashr_i32 s21, s20, 31
	s_lshl_b64 s[20:21], s[20:21], 2
	v_and_b32_e32 v1, 3, v13
	s_add_u32 s2, s14, s20
	s_addc_u32 s16, s15, s21
	s_ashr_i32 s25, s24, 31
	s_lshl_b64 s[14:15], s[24:25], 2
	s_add_u32 s14, s2, s14
	s_addc_u32 s15, s16, s15
	global_load_dword v0, v14, s[14:15]
	v_lshl_add_u32 v1, v1, 7, v2
	s_waitcnt vmcnt(0)
	ds_write_b32 v1, v0
.LBB186_4:
	s_or_b64 exec, exec, s[0:1]
	s_mul_i32 s1, s13, s11
	s_sub_i32 s1, s12, s1
	s_xor_b32 s0, s3, s7
	s_add_i32 s3, s13, 1
	s_sub_i32 s7, s1, s11
	s_load_dwordx4 s[20:23], s[4:5], 0x68
	s_load_dword s2, s[4:5], 0x78
	s_cmp_ge_u32 s1, s11
	s_cselect_b32 s3, s3, s13
	s_cselect_b32 s1, s7, s1
	s_add_i32 s7, s3, 1
	s_cmp_ge_u32 s1, s11
	s_cselect_b32 s1, s7, s3
	s_waitcnt lgkmcnt(0)
	s_abs_i32 s25, s23
	v_cvt_f32_u32_e32 v0, s25
	s_xor_b32 s1, s1, s0
	s_sub_i32 s47, s1, s0
	s_sub_i32 s0, 0, s25
	v_rcp_iflag_f32_e32 v0, v0
	s_add_i32 s11, s33, -1
	s_abs_i32 s3, s11
	v_mul_f32_e32 v0, 0x4f7ffffe, v0
	v_cvt_u32_f32_e32 v0, v0
	s_waitcnt vmcnt(0)
	s_barrier
	v_readfirstlane_b32 s46, v0
	s_mul_i32 s0, s0, s46
	s_mul_hi_u32 s0, s46, s0
	s_add_i32 s46, s46, s0
	s_cmp_lt_i32 s2, 0
	s_mul_hi_u32 s7, s3, s46
	s_cbranch_scc0 .LBB186_6
; %bb.5:
	s_mul_i32 s0, s20, s36
	s_add_i32 s0, s47, s0
	s_mul_i32 s0, s0, s2
	s_sub_i32 s36, 1, s0
	s_mov_b64 s[0:1], 0
	s_branch .LBB186_7
.LBB186_6:
	s_mov_b64 s[0:1], -1
                                        ; implicit-def: $sgpr36
.LBB186_7:
	s_load_dwordx2 s[28:29], s[4:5], 0x28
	s_ashr_i32 s16, s11, 31
	s_andn2_b64 vcc, exec, s[0:1]
	s_ashr_i32 s23, s23, 31
	s_cbranch_vccnz .LBB186_9
; %bb.8:
	s_mul_i32 s0, s9, s20
	s_add_i32 s0, s0, s6
	s_mul_i32 s0, s0, s2
	s_add_i32 s36, s0, 1
.LBB186_9:
	s_load_dword s0, s[4:5], 0x38
	s_load_dwordx2 s[26:27], s[4:5], 0x0
	s_load_dwordx2 s[34:35], s[4:5], 0x18
	s_load_dword s11, s[4:5], 0x88
	s_load_dwordx4 s[12:15], s[4:5], 0x58
	s_mul_i32 s1, s7, s25
	s_waitcnt lgkmcnt(0)
	s_mul_i32 s30, s0, s10
	s_sub_i32 s1, s3, s1
	s_ashr_i32 s31, s30, 31
	s_xor_b32 s0, s16, s23
	s_add_i32 s2, s7, 1
	s_sub_i32 s3, s1, s25
	s_cmp_ge_u32 s1, s25
	s_cselect_b32 s2, s2, s7
	s_cselect_b32 s1, s3, s1
	s_add_i32 s3, s2, 1
	s_cmp_ge_u32 s1, s25
	s_cselect_b32 s1, s3, s2
	s_xor_b32 s1, s1, s0
	s_sub_i32 s16, s1, s0
	s_add_i32 s0, s33, 15
	s_ashr_i32 s1, s0, 31
	s_lshr_b32 s1, s1, 28
	s_add_i32 s0, s0, s1
	s_ashr_i32 s20, s0, 4
	v_lshrrev_b32_e32 v43, 6, v13
	v_cmp_gt_i32_e64 s[0:1], s20, v43
	v_mov_b32_e32 v4, 0xff7fffff
	s_mul_i32 s47, s47, s18
	v_lshrrev_b32_e32 v17, 4, v13
	v_lshlrev_b32_e32 v44, 4, v43
	v_mbcnt_lo_u32_b32 v6, -1, 0
	s_mov_b64 s[18:19], exec
	s_and_b64 s[2:3], s[18:19], s[0:1]
	buffer_store_dword v13, off, s[56:59], 0 offset:92 ; 4-byte Folded Spill
	buffer_store_dword v2, off, s[56:59], 0 offset:96 ; 4-byte Folded Spill
	s_mov_b64 exec, s[2:3]
	s_cbranch_execz .LBB186_213
; %bb.10:
	s_load_dwordx2 s[2:3], s[4:5], 0x10
	s_sub_i32 s49, s16, s21
	s_ashr_i32 s4, s47, 31
	v_and_b32_e32 v5, 3, v13
	v_bfe_u32 v7, v13, 2, 4
	s_waitcnt lgkmcnt(0)
	s_add_u32 s5, s2, s47
	s_addc_u32 s4, s3, s4
	s_abs_i32 s50, s22
	v_cvt_f32_u32_e32 v0, s50
	v_mov_b32_e32 v2, s4
	s_sub_i32 s4, 0, s50
	v_lshlrev_b32_e32 v1, 7, v5
	v_rcp_iflag_f32_e32 v0, v0
	buffer_store_dword v1, off, s[56:59], 0 offset:76 ; 4-byte Folded Spill
	v_lshlrev_b32_e32 v1, 4, v7
	buffer_store_dword v14, off, s[56:59], 0 offset:108 ; 4-byte Folded Spill
	v_mul_f32_e32 v0, 0x4f7ffffe, v0
	v_cvt_u32_f32_e32 v0, v0
	v_cmp_eq_u32_e32 vcc, 0, v5
	s_mov_b32 s51, s17
	v_cmp_neq_f32_e64 s[2:3], s48, 0
	v_mul_lo_u32 v3, s4, v0
	v_add_co_u32_e64 v1, s[4:5], s5, v1
	v_addc_co_u32_e64 v2, s[4:5], 0, v2, s[4:5]
	v_mul_hi_u32 v3, v0, v3
	v_add_co_u32_e64 v1, s[4:5], v1, v5
	v_addc_co_u32_e64 v2, s[4:5], 0, v2, s[4:5]
	s_lshl_b64 s[4:5], s[30:31], 2
	v_add_u32_e32 v0, v0, v3
	s_add_u32 s4, s28, s4
	buffer_store_dword v1, off, s[56:59], 0 offset:68 ; 4-byte Folded Spill
	s_nop 0
	buffer_store_dword v2, off, s[56:59], 0 offset:72 ; 4-byte Folded Spill
	buffer_store_dword v0, off, s[56:59], 0 offset:32 ; 4-byte Folded Spill
	;; [unrolled: 1-line block ×3, first 2 shown]
	v_and_b32_e32 v0, 60, v17
	s_addc_u32 s5, s29, s5
	v_mov_b32_e32 v1, s5
	v_add_co_u32_e64 v35, s[4:5], s4, v0
	v_subrev_u32_e32 v0, s33, v7
	v_add_u32_e32 v0, 1, v0
	buffer_store_dword v0, off, s[56:59], 0 offset:88 ; 4-byte Folded Spill
	buffer_store_dword v7, off, s[56:59], 0 offset:84 ; 4-byte Folded Spill
	v_lshlrev_b32_e32 v0, 2, v7
	v_lshl_or_b32 v0, v43, 6, v0
	v_addc_co_u32_e64 v36, s[4:5], 0, v1, s[4:5]
	v_lshlrev_b32_e32 v52, 4, v43
	v_add_u32_e32 v54, 0x210, v0
	s_mov_b64 s[38:39], 0
	s_movk_i32 s52, 0x80
	s_movk_i32 s53, 0x7f
	v_mbcnt_hi_u32_b32 v0, -1, v6
	v_mov_b32_e32 v4, 0xff7fffff
	v_mov_b32_e32 v57, v43
	buffer_store_dword v0, off, s[56:59], 0 offset:80 ; 4-byte Folded Spill
	s_branch .LBB186_13
.LBB186_11:                             ;   in Loop: Header=BB186_13 Depth=1
	s_or_b64 exec, exec, s[40:41]
.LBB186_12:                             ;   in Loop: Header=BB186_13 Depth=1
	s_or_b64 exec, exec, s[6:7]
	v_add_co_u32_e64 v35, s[4:5], 8, v35
	v_add_u32_e32 v57, 2, v57
	v_addc_co_u32_e64 v36, s[4:5], 0, v36, s[4:5]
	v_cmp_le_i32_e64 s[4:5], s20, v57
	v_add_u32_e32 v52, 32, v52
	s_or_b64 s[38:39], s[4:5], s[38:39]
	v_add_u32_e32 v54, 0x80, v54
	s_andn2_b64 exec, exec, s[38:39]
	s_cbranch_execz .LBB186_212
.LBB186_13:                             ; =>This Inner Loop Header: Depth=1
	buffer_load_dword v3, off, s[56:59], 0 offset:32 ; 4-byte Folded Reload
	v_mul_hi_u32 v0, v52, s46
	s_waitcnt lgkmcnt(0)
	v_mul_lo_u32 v1, v0, s25
	v_add_u32_e32 v2, 1, v0
	v_sub_u32_e32 v1, v52, v1
	v_cmp_le_u32_e64 s[4:5], s25, v1
	v_cndmask_b32_e64 v0, v0, v2, s[4:5]
	v_subrev_u32_e32 v2, s25, v1
	v_cndmask_b32_e64 v1, v1, v2, s[4:5]
	v_add_u32_e32 v2, 1, v0
	v_cmp_le_u32_e64 s[4:5], s25, v1
	v_cndmask_b32_e64 v0, v0, v2, s[4:5]
	v_xor_b32_e32 v0, s23, v0
	v_subrev_u32_e32 v0, s23, v0
	v_add_u32_e32 v1, s36, v0
	v_sub_u32_e32 v2, 0, v1
	v_max_i32_e32 v2, v1, v2
	v_ashrrev_i32_e32 v1, 31, v1
	v_cmp_ge_i32_e64 s[6:7], s49, v0
	s_waitcnt vmcnt(0)
	v_mul_hi_u32 v3, v2, v3
	v_mul_lo_u32 v3, v3, s50
	v_sub_u32_e32 v2, v2, v3
	v_subrev_u32_e32 v3, s50, v2
	v_cmp_le_u32_e64 s[4:5], s50, v2
	v_cndmask_b32_e64 v2, v2, v3, s[4:5]
	v_subrev_u32_e32 v3, s50, v2
	v_cmp_le_u32_e64 s[4:5], s50, v2
	v_cndmask_b32_e64 v2, v2, v3, s[4:5]
	v_xor_b32_e32 v2, v2, v1
	v_sub_u32_e32 v1, v2, v1
	v_cmp_ne_u32_e64 s[4:5], 0, v1
	s_and_b64 s[4:5], s[4:5], s[6:7]
	s_and_saveexec_b64 s[6:7], s[4:5]
	s_xor_b64 s[4:5], exec, s[6:7]
	s_cbranch_execz .LBB186_17
; %bb.14:                               ;   in Loop: Header=BB186_13 Depth=1
	s_and_saveexec_b64 s[6:7], vcc
; %bb.15:                               ;   in Loop: Header=BB186_13 Depth=1
	v_mov_b32_e32 v0, 0xff7fffff
	ds_write_b32 v54, v0
; %bb.16:                               ;   in Loop: Header=BB186_13 Depth=1
	s_or_b64 exec, exec, s[6:7]
.LBB186_17:                             ;   in Loop: Header=BB186_13 Depth=1
	s_andn2_saveexec_b64 s[6:7], s[4:5]
	s_cbranch_execz .LBB186_12
; %bb.18:                               ;   in Loop: Header=BB186_13 Depth=1
	global_load_dword v0, v[35:36], off
	buffer_load_dword v1, off, s[56:59], 0 offset:68 ; 4-byte Folded Reload
	buffer_load_dword v2, off, s[56:59], 0 offset:72 ; 4-byte Folded Reload
	v_mov_b32_e32 v3, 0
	v_mov_b32_e32 v53, 0
	s_waitcnt vmcnt(0)
	v_mad_i64_i32 v[37:38], s[4:5], v0, s51, v[1:2]
	buffer_load_dword v1, off, s[56:59], 0 offset:76 ; 4-byte Folded Reload
	global_load_ubyte v0, v[37:38], off
	s_waitcnt vmcnt(1)
	ds_read_b128 v[29:32], v1
	ds_read_b128 v[25:28], v1 offset:16
	s_load_dword s54, s[12:13], 0x0
	ds_read_b128 v[21:24], v1 offset:32
	ds_read_b128 v[17:20], v1 offset:48
	;; [unrolled: 1-line block ×5, first 2 shown]
	s_waitcnt lgkmcnt(0)
	buffer_store_dword v5, off, s[56:59], 0 offset:52 ; 4-byte Folded Spill
	s_nop 0
	buffer_store_dword v6, off, s[56:59], 0 offset:56 ; 4-byte Folded Spill
	buffer_store_dword v7, off, s[56:59], 0 offset:60 ; 4-byte Folded Spill
	;; [unrolled: 1-line block ×3, first 2 shown]
	ds_read_b128 v[5:8], v1 offset:112
	s_waitcnt vmcnt(4)
	v_cmp_ne_u16_e64 s[4:5], 0, v0
	s_waitcnt lgkmcnt(0)
	buffer_store_dword v5, off, s[56:59], 0 offset:36 ; 4-byte Folded Spill
	s_nop 0
	buffer_store_dword v6, off, s[56:59], 0 offset:40 ; 4-byte Folded Spill
	buffer_store_dword v7, off, s[56:59], 0 offset:44 ; 4-byte Folded Spill
	;; [unrolled: 1-line block ×3, first 2 shown]
	s_and_saveexec_b64 s[40:41], s[4:5]
	s_cbranch_execz .LBB186_24
; %bb.19:                               ;   in Loop: Header=BB186_13 Depth=1
	v_cmp_ne_u16_e64 s[4:5], s52, v0
	v_bfrev_b32_e32 v53, 1
	s_and_saveexec_b64 s[42:43], s[4:5]
	s_cbranch_execz .LBB186_23
; %bb.20:                               ;   in Loop: Header=BB186_13 Depth=1
	v_and_b32_e32 v39, 0xffff, v0
	v_and_b32_e32 v33, 0x7f, v39
	v_cmp_ne_u32_e64 s[4:5], s53, v33
	v_mov_b32_e32 v53, 0x7f800001
	s_and_saveexec_b64 s[44:45], s[4:5]
	s_cbranch_execz .LBB186_22
; %bb.21:                               ;   in Loop: Header=BB186_13 Depth=1
	v_and_b32_e32 v40, 7, v39
	v_lshrrev_b32_e32 v41, 3, v33
	v_cmp_gt_u32_e64 s[4:5], 8, v33
	v_ffbh_u32_e32 v33, v40
	v_min_u32_e32 v42, 32, v33
	v_subrev_u32_e32 v33, 28, v42
	v_lshlrev_b64 v[33:34], v33, v[39:40]
	v_sub_u32_e32 v34, 29, v42
	v_and_b32_e32 v33, 7, v33
	v_cndmask_b32_e64 v34, v41, v34, s[4:5]
	v_cndmask_b32_e64 v33, v40, v33, s[4:5]
	v_lshlrev_b32_e32 v0, 24, v0
	v_bfrev_b32_e32 v1, 60
	v_lshlrev_b32_e32 v33, 20, v33
	v_and_b32_e32 v0, 0x80000000, v0
	v_lshl_add_u32 v34, v34, 23, v1
	v_or3_b32 v53, v0, v34, v33
.LBB186_22:                             ;   in Loop: Header=BB186_13 Depth=1
	s_or_b64 exec, exec, s[44:45]
.LBB186_23:                             ;   in Loop: Header=BB186_13 Depth=1
	s_or_b64 exec, exec, s[42:43]
.LBB186_24:                             ;   in Loop: Header=BB186_13 Depth=1
	s_or_b64 exec, exec, s[40:41]
	global_load_ubyte v0, v[37:38], off offset:4
	s_waitcnt vmcnt(0)
	v_cmp_ne_u16_e64 s[4:5], 0, v0
	s_and_saveexec_b64 s[40:41], s[4:5]
	s_cbranch_execz .LBB186_30
; %bb.25:                               ;   in Loop: Header=BB186_13 Depth=1
	v_cmp_ne_u16_e64 s[4:5], s52, v0
	v_bfrev_b32_e32 v3, 1
	s_and_saveexec_b64 s[42:43], s[4:5]
	s_cbranch_execz .LBB186_29
; %bb.26:                               ;   in Loop: Header=BB186_13 Depth=1
	v_and_b32_e32 v39, 0xffff, v0
	v_and_b32_e32 v33, 0x7f, v39
	v_cmp_ne_u32_e64 s[4:5], s53, v33
	v_mov_b32_e32 v3, 0x7f800001
	s_and_saveexec_b64 s[44:45], s[4:5]
	s_cbranch_execz .LBB186_28
; %bb.27:                               ;   in Loop: Header=BB186_13 Depth=1
	v_and_b32_e32 v40, 7, v39
	v_lshrrev_b32_e32 v41, 3, v33
	v_cmp_gt_u32_e64 s[4:5], 8, v33
	v_ffbh_u32_e32 v33, v40
	v_min_u32_e32 v42, 32, v33
	v_subrev_u32_e32 v33, 28, v42
	v_lshlrev_b64 v[33:34], v33, v[39:40]
	v_sub_u32_e32 v34, 29, v42
	v_and_b32_e32 v33, 7, v33
	v_cndmask_b32_e64 v34, v41, v34, s[4:5]
	v_cndmask_b32_e64 v33, v40, v33, s[4:5]
	v_lshlrev_b32_e32 v0, 24, v0
	v_bfrev_b32_e32 v1, 60
	v_lshlrev_b32_e32 v33, 20, v33
	v_and_b32_e32 v0, 0x80000000, v0
	v_lshl_add_u32 v34, v34, 23, v1
	v_or3_b32 v3, v0, v34, v33
.LBB186_28:                             ;   in Loop: Header=BB186_13 Depth=1
	s_or_b64 exec, exec, s[44:45]
.LBB186_29:                             ;   in Loop: Header=BB186_13 Depth=1
	s_or_b64 exec, exec, s[42:43]
.LBB186_30:                             ;   in Loop: Header=BB186_13 Depth=1
	s_or_b64 exec, exec, s[40:41]
	global_load_ubyte v0, v[37:38], off offset:8
	v_mov_b32_e32 v5, 0
	v_mov_b32_e32 v6, 0
	s_waitcnt vmcnt(0)
	v_cmp_ne_u16_e64 s[4:5], 0, v0
	s_and_saveexec_b64 s[40:41], s[4:5]
	s_cbranch_execz .LBB186_36
; %bb.31:                               ;   in Loop: Header=BB186_13 Depth=1
	v_cmp_ne_u16_e64 s[4:5], s52, v0
	v_bfrev_b32_e32 v6, 1
	s_and_saveexec_b64 s[42:43], s[4:5]
	s_cbranch_execz .LBB186_35
; %bb.32:                               ;   in Loop: Header=BB186_13 Depth=1
	v_and_b32_e32 v39, 0xffff, v0
	v_and_b32_e32 v33, 0x7f, v39
	v_cmp_ne_u32_e64 s[4:5], s53, v33
	v_mov_b32_e32 v6, 0x7f800001
	s_and_saveexec_b64 s[44:45], s[4:5]
	s_cbranch_execz .LBB186_34
; %bb.33:                               ;   in Loop: Header=BB186_13 Depth=1
	v_and_b32_e32 v40, 7, v39
	v_lshrrev_b32_e32 v41, 3, v33
	v_cmp_gt_u32_e64 s[4:5], 8, v33
	v_ffbh_u32_e32 v33, v40
	v_min_u32_e32 v42, 32, v33
	v_subrev_u32_e32 v33, 28, v42
	v_lshlrev_b64 v[33:34], v33, v[39:40]
	v_sub_u32_e32 v34, 29, v42
	v_and_b32_e32 v33, 7, v33
	v_cndmask_b32_e64 v34, v41, v34, s[4:5]
	v_cndmask_b32_e64 v33, v40, v33, s[4:5]
	v_lshlrev_b32_e32 v0, 24, v0
	v_bfrev_b32_e32 v1, 60
	v_lshlrev_b32_e32 v33, 20, v33
	v_and_b32_e32 v0, 0x80000000, v0
	v_lshl_add_u32 v34, v34, 23, v1
	v_or3_b32 v6, v0, v34, v33
.LBB186_34:                             ;   in Loop: Header=BB186_13 Depth=1
	s_or_b64 exec, exec, s[44:45]
.LBB186_35:                             ;   in Loop: Header=BB186_13 Depth=1
	s_or_b64 exec, exec, s[42:43]
.LBB186_36:                             ;   in Loop: Header=BB186_13 Depth=1
	s_or_b64 exec, exec, s[40:41]
	global_load_ubyte v0, v[37:38], off offset:12
	s_waitcnt vmcnt(0)
	v_cmp_ne_u16_e64 s[4:5], 0, v0
	s_and_saveexec_b64 s[40:41], s[4:5]
	s_cbranch_execz .LBB186_42
; %bb.37:                               ;   in Loop: Header=BB186_13 Depth=1
	v_cmp_ne_u16_e64 s[4:5], s52, v0
	v_bfrev_b32_e32 v5, 1
	s_and_saveexec_b64 s[42:43], s[4:5]
	s_cbranch_execz .LBB186_41
; %bb.38:                               ;   in Loop: Header=BB186_13 Depth=1
	v_and_b32_e32 v39, 0xffff, v0
	v_and_b32_e32 v33, 0x7f, v39
	v_cmp_ne_u32_e64 s[4:5], s53, v33
	v_mov_b32_e32 v5, 0x7f800001
	s_and_saveexec_b64 s[44:45], s[4:5]
	s_cbranch_execz .LBB186_40
; %bb.39:                               ;   in Loop: Header=BB186_13 Depth=1
	v_and_b32_e32 v40, 7, v39
	v_lshrrev_b32_e32 v41, 3, v33
	v_cmp_gt_u32_e64 s[4:5], 8, v33
	v_ffbh_u32_e32 v33, v40
	v_min_u32_e32 v42, 32, v33
	v_subrev_u32_e32 v33, 28, v42
	v_lshlrev_b64 v[33:34], v33, v[39:40]
	v_sub_u32_e32 v34, 29, v42
	v_and_b32_e32 v33, 7, v33
	v_cndmask_b32_e64 v34, v41, v34, s[4:5]
	v_cndmask_b32_e64 v33, v40, v33, s[4:5]
	v_lshlrev_b32_e32 v0, 24, v0
	v_bfrev_b32_e32 v1, 60
	v_lshlrev_b32_e32 v33, 20, v33
	v_and_b32_e32 v0, 0x80000000, v0
	v_lshl_add_u32 v34, v34, 23, v1
	v_or3_b32 v5, v0, v34, v33
.LBB186_40:                             ;   in Loop: Header=BB186_13 Depth=1
	s_or_b64 exec, exec, s[44:45]
.LBB186_41:                             ;   in Loop: Header=BB186_13 Depth=1
	s_or_b64 exec, exec, s[42:43]
.LBB186_42:                             ;   in Loop: Header=BB186_13 Depth=1
	s_or_b64 exec, exec, s[40:41]
	global_load_ubyte v0, v[37:38], off offset:256
	v_mov_b32_e32 v8, 0
	v_mov_b32_e32 v7, 0
	s_waitcnt vmcnt(0)
	v_cmp_ne_u16_e64 s[4:5], 0, v0
	s_and_saveexec_b64 s[40:41], s[4:5]
	s_cbranch_execz .LBB186_48
; %bb.43:                               ;   in Loop: Header=BB186_13 Depth=1
	v_cmp_ne_u16_e64 s[4:5], s52, v0
	v_bfrev_b32_e32 v7, 1
	s_and_saveexec_b64 s[42:43], s[4:5]
	s_cbranch_execz .LBB186_47
; %bb.44:                               ;   in Loop: Header=BB186_13 Depth=1
	v_and_b32_e32 v39, 0xffff, v0
	v_and_b32_e32 v33, 0x7f, v39
	v_cmp_ne_u32_e64 s[4:5], s53, v33
	v_mov_b32_e32 v7, 0x7f800001
	s_and_saveexec_b64 s[44:45], s[4:5]
	s_cbranch_execz .LBB186_46
; %bb.45:                               ;   in Loop: Header=BB186_13 Depth=1
	v_and_b32_e32 v40, 7, v39
	v_lshrrev_b32_e32 v41, 3, v33
	v_cmp_gt_u32_e64 s[4:5], 8, v33
	v_ffbh_u32_e32 v33, v40
	v_min_u32_e32 v42, 32, v33
	v_subrev_u32_e32 v33, 28, v42
	v_lshlrev_b64 v[33:34], v33, v[39:40]
	v_sub_u32_e32 v34, 29, v42
	v_and_b32_e32 v33, 7, v33
	v_cndmask_b32_e64 v34, v41, v34, s[4:5]
	v_cndmask_b32_e64 v33, v40, v33, s[4:5]
	v_lshlrev_b32_e32 v0, 24, v0
	v_bfrev_b32_e32 v1, 60
	v_lshlrev_b32_e32 v33, 20, v33
	v_and_b32_e32 v0, 0x80000000, v0
	v_lshl_add_u32 v34, v34, 23, v1
	v_or3_b32 v7, v0, v34, v33
.LBB186_46:                             ;   in Loop: Header=BB186_13 Depth=1
	s_or_b64 exec, exec, s[44:45]
.LBB186_47:                             ;   in Loop: Header=BB186_13 Depth=1
	s_or_b64 exec, exec, s[42:43]
.LBB186_48:                             ;   in Loop: Header=BB186_13 Depth=1
	s_or_b64 exec, exec, s[40:41]
	global_load_ubyte v0, v[37:38], off offset:260
	s_waitcnt vmcnt(0)
	v_cmp_ne_u16_e64 s[4:5], 0, v0
	s_and_saveexec_b64 s[40:41], s[4:5]
	s_cbranch_execz .LBB186_54
; %bb.49:                               ;   in Loop: Header=BB186_13 Depth=1
	v_cmp_ne_u16_e64 s[4:5], s52, v0
	v_bfrev_b32_e32 v8, 1
	s_and_saveexec_b64 s[42:43], s[4:5]
	s_cbranch_execz .LBB186_53
; %bb.50:                               ;   in Loop: Header=BB186_13 Depth=1
	v_and_b32_e32 v39, 0xffff, v0
	v_and_b32_e32 v33, 0x7f, v39
	v_cmp_ne_u32_e64 s[4:5], s53, v33
	v_mov_b32_e32 v8, 0x7f800001
	s_and_saveexec_b64 s[44:45], s[4:5]
	s_cbranch_execz .LBB186_52
; %bb.51:                               ;   in Loop: Header=BB186_13 Depth=1
	v_and_b32_e32 v40, 7, v39
	v_lshrrev_b32_e32 v41, 3, v33
	v_cmp_gt_u32_e64 s[4:5], 8, v33
	v_ffbh_u32_e32 v33, v40
	v_min_u32_e32 v42, 32, v33
	v_subrev_u32_e32 v33, 28, v42
	v_lshlrev_b64 v[33:34], v33, v[39:40]
	v_sub_u32_e32 v34, 29, v42
	v_and_b32_e32 v33, 7, v33
	v_cndmask_b32_e64 v34, v41, v34, s[4:5]
	v_cndmask_b32_e64 v33, v40, v33, s[4:5]
	v_lshlrev_b32_e32 v0, 24, v0
	v_bfrev_b32_e32 v1, 60
	v_lshlrev_b32_e32 v33, 20, v33
	v_and_b32_e32 v0, 0x80000000, v0
	v_lshl_add_u32 v34, v34, 23, v1
	v_or3_b32 v8, v0, v34, v33
.LBB186_52:                             ;   in Loop: Header=BB186_13 Depth=1
	s_or_b64 exec, exec, s[44:45]
.LBB186_53:                             ;   in Loop: Header=BB186_13 Depth=1
	s_or_b64 exec, exec, s[42:43]
.LBB186_54:                             ;   in Loop: Header=BB186_13 Depth=1
	s_or_b64 exec, exec, s[40:41]
	global_load_ubyte v0, v[37:38], off offset:264
	v_mov_b32_e32 v2, 0
	v_mov_b32_e32 v1, 0
	buffer_store_dword v1, off, s[56:59], 0 ; 4-byte Folded Spill
	s_waitcnt vmcnt(1)
	v_cmp_ne_u16_e64 s[4:5], 0, v0
	s_and_saveexec_b64 s[40:41], s[4:5]
	s_cbranch_execz .LBB186_60
; %bb.55:                               ;   in Loop: Header=BB186_13 Depth=1
	v_cmp_ne_u16_e64 s[4:5], s52, v0
	v_bfrev_b32_e32 v1, 1
	buffer_store_dword v1, off, s[56:59], 0 ; 4-byte Folded Spill
	s_and_saveexec_b64 s[42:43], s[4:5]
	s_cbranch_execz .LBB186_59
; %bb.56:                               ;   in Loop: Header=BB186_13 Depth=1
	v_and_b32_e32 v39, 0xffff, v0
	v_and_b32_e32 v33, 0x7f, v39
	v_cmp_ne_u32_e64 s[4:5], s53, v33
	v_mov_b32_e32 v1, 0x7f800001
	buffer_store_dword v1, off, s[56:59], 0 ; 4-byte Folded Spill
	s_and_saveexec_b64 s[44:45], s[4:5]
	s_cbranch_execz .LBB186_58
; %bb.57:                               ;   in Loop: Header=BB186_13 Depth=1
	v_and_b32_e32 v40, 7, v39
	v_lshrrev_b32_e32 v41, 3, v33
	v_cmp_gt_u32_e64 s[4:5], 8, v33
	v_ffbh_u32_e32 v33, v40
	v_min_u32_e32 v42, 32, v33
	v_subrev_u32_e32 v33, 28, v42
	v_lshlrev_b64 v[33:34], v33, v[39:40]
	v_sub_u32_e32 v34, 29, v42
	v_and_b32_e32 v33, 7, v33
	v_cndmask_b32_e64 v34, v41, v34, s[4:5]
	v_cndmask_b32_e64 v33, v40, v33, s[4:5]
	v_lshlrev_b32_e32 v0, 24, v0
	v_bfrev_b32_e32 v1, 60
	v_lshlrev_b32_e32 v33, 20, v33
	v_and_b32_e32 v0, 0x80000000, v0
	v_lshl_add_u32 v34, v34, 23, v1
	v_or3_b32 v0, v0, v34, v33
	buffer_store_dword v0, off, s[56:59], 0 ; 4-byte Folded Spill
.LBB186_58:                             ;   in Loop: Header=BB186_13 Depth=1
	s_or_b64 exec, exec, s[44:45]
.LBB186_59:                             ;   in Loop: Header=BB186_13 Depth=1
	s_or_b64 exec, exec, s[42:43]
.LBB186_60:                             ;   in Loop: Header=BB186_13 Depth=1
	s_or_b64 exec, exec, s[40:41]
	global_load_ubyte v0, v[37:38], off offset:268
	s_waitcnt vmcnt(0)
	v_cmp_ne_u16_e64 s[4:5], 0, v0
	s_and_saveexec_b64 s[40:41], s[4:5]
	s_cbranch_execz .LBB186_66
; %bb.61:                               ;   in Loop: Header=BB186_13 Depth=1
	v_cmp_ne_u16_e64 s[4:5], s52, v0
	v_bfrev_b32_e32 v2, 1
	s_and_saveexec_b64 s[42:43], s[4:5]
	s_cbranch_execz .LBB186_65
; %bb.62:                               ;   in Loop: Header=BB186_13 Depth=1
	v_and_b32_e32 v39, 0xffff, v0
	v_and_b32_e32 v33, 0x7f, v39
	v_cmp_ne_u32_e64 s[4:5], s53, v33
	v_mov_b32_e32 v2, 0x7f800001
	s_and_saveexec_b64 s[44:45], s[4:5]
	s_cbranch_execz .LBB186_64
; %bb.63:                               ;   in Loop: Header=BB186_13 Depth=1
	v_and_b32_e32 v40, 7, v39
	v_lshrrev_b32_e32 v41, 3, v33
	v_cmp_gt_u32_e64 s[4:5], 8, v33
	v_ffbh_u32_e32 v33, v40
	v_min_u32_e32 v42, 32, v33
	v_subrev_u32_e32 v33, 28, v42
	v_lshlrev_b64 v[33:34], v33, v[39:40]
	v_sub_u32_e32 v34, 29, v42
	v_and_b32_e32 v33, 7, v33
	v_cndmask_b32_e64 v34, v41, v34, s[4:5]
	v_cndmask_b32_e64 v33, v40, v33, s[4:5]
	v_lshlrev_b32_e32 v0, 24, v0
	v_bfrev_b32_e32 v1, 60
	v_lshlrev_b32_e32 v33, 20, v33
	v_and_b32_e32 v0, 0x80000000, v0
	v_lshl_add_u32 v34, v34, 23, v1
	v_or3_b32 v2, v0, v34, v33
.LBB186_64:                             ;   in Loop: Header=BB186_13 Depth=1
	s_or_b64 exec, exec, s[44:45]
.LBB186_65:                             ;   in Loop: Header=BB186_13 Depth=1
	s_or_b64 exec, exec, s[42:43]
.LBB186_66:                             ;   in Loop: Header=BB186_13 Depth=1
	s_or_b64 exec, exec, s[40:41]
	global_load_ubyte v0, v[37:38], off offset:512
	v_mov_b32_e32 v1, 0
	buffer_store_dword v1, off, s[56:59], 0 offset:4 ; 4-byte Folded Spill
	v_mov_b32_e32 v1, 0
	buffer_store_dword v1, off, s[56:59], 0 offset:8 ; 4-byte Folded Spill
	s_waitcnt vmcnt(2)
	v_cmp_ne_u16_e64 s[4:5], 0, v0
	s_and_saveexec_b64 s[40:41], s[4:5]
	s_cbranch_execz .LBB186_72
; %bb.67:                               ;   in Loop: Header=BB186_13 Depth=1
	v_cmp_ne_u16_e64 s[4:5], s52, v0
	v_bfrev_b32_e32 v1, 1
	buffer_store_dword v1, off, s[56:59], 0 offset:8 ; 4-byte Folded Spill
	s_and_saveexec_b64 s[42:43], s[4:5]
	s_cbranch_execz .LBB186_71
; %bb.68:                               ;   in Loop: Header=BB186_13 Depth=1
	v_and_b32_e32 v39, 0xffff, v0
	v_and_b32_e32 v33, 0x7f, v39
	v_cmp_ne_u32_e64 s[4:5], s53, v33
	v_mov_b32_e32 v1, 0x7f800001
	buffer_store_dword v1, off, s[56:59], 0 offset:8 ; 4-byte Folded Spill
	s_and_saveexec_b64 s[44:45], s[4:5]
	s_cbranch_execz .LBB186_70
; %bb.69:                               ;   in Loop: Header=BB186_13 Depth=1
	v_and_b32_e32 v40, 7, v39
	v_lshrrev_b32_e32 v41, 3, v33
	v_cmp_gt_u32_e64 s[4:5], 8, v33
	v_ffbh_u32_e32 v33, v40
	v_min_u32_e32 v42, 32, v33
	v_subrev_u32_e32 v33, 28, v42
	v_lshlrev_b64 v[33:34], v33, v[39:40]
	v_sub_u32_e32 v34, 29, v42
	v_and_b32_e32 v33, 7, v33
	v_cndmask_b32_e64 v34, v41, v34, s[4:5]
	v_cndmask_b32_e64 v33, v40, v33, s[4:5]
	v_lshlrev_b32_e32 v0, 24, v0
	v_bfrev_b32_e32 v1, 60
	v_lshlrev_b32_e32 v33, 20, v33
	v_and_b32_e32 v0, 0x80000000, v0
	v_lshl_add_u32 v34, v34, 23, v1
	v_or3_b32 v0, v0, v34, v33
	buffer_store_dword v0, off, s[56:59], 0 offset:8 ; 4-byte Folded Spill
.LBB186_70:                             ;   in Loop: Header=BB186_13 Depth=1
	s_or_b64 exec, exec, s[44:45]
.LBB186_71:                             ;   in Loop: Header=BB186_13 Depth=1
	s_or_b64 exec, exec, s[42:43]
.LBB186_72:                             ;   in Loop: Header=BB186_13 Depth=1
	s_or_b64 exec, exec, s[40:41]
	global_load_ubyte v0, v[37:38], off offset:516
	s_waitcnt vmcnt(0)
	v_cmp_ne_u16_e64 s[4:5], 0, v0
	s_and_saveexec_b64 s[40:41], s[4:5]
	s_cbranch_execz .LBB186_78
; %bb.73:                               ;   in Loop: Header=BB186_13 Depth=1
	v_cmp_ne_u16_e64 s[4:5], s52, v0
	v_bfrev_b32_e32 v1, 1
	buffer_store_dword v1, off, s[56:59], 0 offset:4 ; 4-byte Folded Spill
	s_and_saveexec_b64 s[42:43], s[4:5]
	s_cbranch_execz .LBB186_77
; %bb.74:                               ;   in Loop: Header=BB186_13 Depth=1
	v_and_b32_e32 v39, 0xffff, v0
	v_and_b32_e32 v33, 0x7f, v39
	v_cmp_ne_u32_e64 s[4:5], s53, v33
	v_mov_b32_e32 v1, 0x7f800001
	buffer_store_dword v1, off, s[56:59], 0 offset:4 ; 4-byte Folded Spill
	s_and_saveexec_b64 s[44:45], s[4:5]
	s_cbranch_execz .LBB186_76
; %bb.75:                               ;   in Loop: Header=BB186_13 Depth=1
	v_and_b32_e32 v40, 7, v39
	v_lshrrev_b32_e32 v41, 3, v33
	v_cmp_gt_u32_e64 s[4:5], 8, v33
	v_ffbh_u32_e32 v33, v40
	v_min_u32_e32 v42, 32, v33
	v_subrev_u32_e32 v33, 28, v42
	v_lshlrev_b64 v[33:34], v33, v[39:40]
	v_sub_u32_e32 v34, 29, v42
	v_and_b32_e32 v33, 7, v33
	v_cndmask_b32_e64 v34, v41, v34, s[4:5]
	v_cndmask_b32_e64 v33, v40, v33, s[4:5]
	v_lshlrev_b32_e32 v0, 24, v0
	v_bfrev_b32_e32 v1, 60
	v_lshlrev_b32_e32 v33, 20, v33
	v_and_b32_e32 v0, 0x80000000, v0
	v_lshl_add_u32 v34, v34, 23, v1
	v_or3_b32 v0, v0, v34, v33
	buffer_store_dword v0, off, s[56:59], 0 offset:4 ; 4-byte Folded Spill
.LBB186_76:                             ;   in Loop: Header=BB186_13 Depth=1
	s_or_b64 exec, exec, s[44:45]
.LBB186_77:                             ;   in Loop: Header=BB186_13 Depth=1
	s_or_b64 exec, exec, s[42:43]
.LBB186_78:                             ;   in Loop: Header=BB186_13 Depth=1
	s_or_b64 exec, exec, s[40:41]
	global_load_ubyte v0, v[37:38], off offset:520
	v_mov_b32_e32 v1, 0
	buffer_store_dword v1, off, s[56:59], 0 offset:12 ; 4-byte Folded Spill
	v_mov_b32_e32 v1, 0
	buffer_store_dword v1, off, s[56:59], 0 offset:20 ; 4-byte Folded Spill
	s_waitcnt vmcnt(2)
	v_cmp_ne_u16_e64 s[4:5], 0, v0
	s_and_saveexec_b64 s[40:41], s[4:5]
	s_cbranch_execz .LBB186_84
; %bb.79:                               ;   in Loop: Header=BB186_13 Depth=1
	v_cmp_ne_u16_e64 s[4:5], s52, v0
	v_bfrev_b32_e32 v1, 1
	buffer_store_dword v1, off, s[56:59], 0 offset:20 ; 4-byte Folded Spill
	s_and_saveexec_b64 s[42:43], s[4:5]
	s_cbranch_execz .LBB186_83
; %bb.80:                               ;   in Loop: Header=BB186_13 Depth=1
	v_and_b32_e32 v39, 0xffff, v0
	v_and_b32_e32 v33, 0x7f, v39
	v_cmp_ne_u32_e64 s[4:5], s53, v33
	v_mov_b32_e32 v1, 0x7f800001
	buffer_store_dword v1, off, s[56:59], 0 offset:20 ; 4-byte Folded Spill
	s_and_saveexec_b64 s[44:45], s[4:5]
	s_cbranch_execz .LBB186_82
; %bb.81:                               ;   in Loop: Header=BB186_13 Depth=1
	v_and_b32_e32 v40, 7, v39
	v_lshrrev_b32_e32 v41, 3, v33
	v_cmp_gt_u32_e64 s[4:5], 8, v33
	v_ffbh_u32_e32 v33, v40
	v_min_u32_e32 v42, 32, v33
	v_subrev_u32_e32 v33, 28, v42
	v_lshlrev_b64 v[33:34], v33, v[39:40]
	v_sub_u32_e32 v34, 29, v42
	v_and_b32_e32 v33, 7, v33
	v_cndmask_b32_e64 v34, v41, v34, s[4:5]
	v_cndmask_b32_e64 v33, v40, v33, s[4:5]
	v_lshlrev_b32_e32 v0, 24, v0
	v_bfrev_b32_e32 v1, 60
	v_lshlrev_b32_e32 v33, 20, v33
	v_and_b32_e32 v0, 0x80000000, v0
	v_lshl_add_u32 v34, v34, 23, v1
	v_or3_b32 v0, v0, v34, v33
	buffer_store_dword v0, off, s[56:59], 0 offset:20 ; 4-byte Folded Spill
.LBB186_82:                             ;   in Loop: Header=BB186_13 Depth=1
	s_or_b64 exec, exec, s[44:45]
.LBB186_83:                             ;   in Loop: Header=BB186_13 Depth=1
	s_or_b64 exec, exec, s[42:43]
.LBB186_84:                             ;   in Loop: Header=BB186_13 Depth=1
	s_or_b64 exec, exec, s[40:41]
	global_load_ubyte v0, v[37:38], off offset:524
	s_waitcnt vmcnt(0)
	v_cmp_ne_u16_e64 s[4:5], 0, v0
	s_and_saveexec_b64 s[40:41], s[4:5]
	s_cbranch_execz .LBB186_90
; %bb.85:                               ;   in Loop: Header=BB186_13 Depth=1
	v_cmp_ne_u16_e64 s[4:5], s52, v0
	v_bfrev_b32_e32 v1, 1
	buffer_store_dword v1, off, s[56:59], 0 offset:12 ; 4-byte Folded Spill
	s_and_saveexec_b64 s[42:43], s[4:5]
	s_cbranch_execz .LBB186_89
; %bb.86:                               ;   in Loop: Header=BB186_13 Depth=1
	v_and_b32_e32 v39, 0xffff, v0
	v_and_b32_e32 v33, 0x7f, v39
	v_cmp_ne_u32_e64 s[4:5], s53, v33
	v_mov_b32_e32 v1, 0x7f800001
	buffer_store_dword v1, off, s[56:59], 0 offset:12 ; 4-byte Folded Spill
	s_and_saveexec_b64 s[44:45], s[4:5]
	s_cbranch_execz .LBB186_88
; %bb.87:                               ;   in Loop: Header=BB186_13 Depth=1
	v_and_b32_e32 v40, 7, v39
	v_lshrrev_b32_e32 v41, 3, v33
	v_cmp_gt_u32_e64 s[4:5], 8, v33
	v_ffbh_u32_e32 v33, v40
	v_min_u32_e32 v42, 32, v33
	v_subrev_u32_e32 v33, 28, v42
	v_lshlrev_b64 v[33:34], v33, v[39:40]
	v_sub_u32_e32 v34, 29, v42
	v_and_b32_e32 v33, 7, v33
	v_cndmask_b32_e64 v34, v41, v34, s[4:5]
	v_cndmask_b32_e64 v33, v40, v33, s[4:5]
	v_lshlrev_b32_e32 v0, 24, v0
	v_bfrev_b32_e32 v1, 60
	v_lshlrev_b32_e32 v33, 20, v33
	v_and_b32_e32 v0, 0x80000000, v0
	v_lshl_add_u32 v34, v34, 23, v1
	v_or3_b32 v0, v0, v34, v33
	buffer_store_dword v0, off, s[56:59], 0 offset:12 ; 4-byte Folded Spill
.LBB186_88:                             ;   in Loop: Header=BB186_13 Depth=1
	s_or_b64 exec, exec, s[44:45]
.LBB186_89:                             ;   in Loop: Header=BB186_13 Depth=1
	s_or_b64 exec, exec, s[42:43]
.LBB186_90:                             ;   in Loop: Header=BB186_13 Depth=1
	s_or_b64 exec, exec, s[40:41]
	global_load_ubyte v0, v[37:38], off offset:768
	v_mov_b32_e32 v1, 0
	buffer_store_dword v1, off, s[56:59], 0 offset:24 ; 4-byte Folded Spill
	v_mov_b32_e32 v1, 0
	buffer_store_dword v1, off, s[56:59], 0 offset:28 ; 4-byte Folded Spill
	s_waitcnt vmcnt(2)
	v_cmp_ne_u16_e64 s[4:5], 0, v0
	s_and_saveexec_b64 s[40:41], s[4:5]
	s_cbranch_execz .LBB186_96
; %bb.91:                               ;   in Loop: Header=BB186_13 Depth=1
	v_cmp_ne_u16_e64 s[4:5], s52, v0
	v_bfrev_b32_e32 v1, 1
	buffer_store_dword v1, off, s[56:59], 0 offset:28 ; 4-byte Folded Spill
	s_and_saveexec_b64 s[42:43], s[4:5]
	s_cbranch_execz .LBB186_95
; %bb.92:                               ;   in Loop: Header=BB186_13 Depth=1
	v_and_b32_e32 v39, 0xffff, v0
	v_and_b32_e32 v33, 0x7f, v39
	v_cmp_ne_u32_e64 s[4:5], s53, v33
	v_mov_b32_e32 v1, 0x7f800001
	buffer_store_dword v1, off, s[56:59], 0 offset:28 ; 4-byte Folded Spill
	s_and_saveexec_b64 s[44:45], s[4:5]
	s_cbranch_execz .LBB186_94
; %bb.93:                               ;   in Loop: Header=BB186_13 Depth=1
	v_and_b32_e32 v40, 7, v39
	v_lshrrev_b32_e32 v41, 3, v33
	v_cmp_gt_u32_e64 s[4:5], 8, v33
	v_ffbh_u32_e32 v33, v40
	v_min_u32_e32 v42, 32, v33
	v_subrev_u32_e32 v33, 28, v42
	v_lshlrev_b64 v[33:34], v33, v[39:40]
	v_sub_u32_e32 v34, 29, v42
	v_and_b32_e32 v33, 7, v33
	v_cndmask_b32_e64 v34, v41, v34, s[4:5]
	v_cndmask_b32_e64 v33, v40, v33, s[4:5]
	v_lshlrev_b32_e32 v0, 24, v0
	v_bfrev_b32_e32 v1, 60
	v_lshlrev_b32_e32 v33, 20, v33
	v_and_b32_e32 v0, 0x80000000, v0
	v_lshl_add_u32 v34, v34, 23, v1
	v_or3_b32 v0, v0, v34, v33
	buffer_store_dword v0, off, s[56:59], 0 offset:28 ; 4-byte Folded Spill
.LBB186_94:                             ;   in Loop: Header=BB186_13 Depth=1
	s_or_b64 exec, exec, s[44:45]
.LBB186_95:                             ;   in Loop: Header=BB186_13 Depth=1
	s_or_b64 exec, exec, s[42:43]
.LBB186_96:                             ;   in Loop: Header=BB186_13 Depth=1
	s_or_b64 exec, exec, s[40:41]
	global_load_ubyte v0, v[37:38], off offset:772
	s_waitcnt vmcnt(0)
	v_cmp_ne_u16_e64 s[4:5], 0, v0
	s_and_saveexec_b64 s[40:41], s[4:5]
	s_cbranch_execz .LBB186_102
; %bb.97:                               ;   in Loop: Header=BB186_13 Depth=1
	v_cmp_ne_u16_e64 s[4:5], s52, v0
	v_bfrev_b32_e32 v1, 1
	buffer_store_dword v1, off, s[56:59], 0 offset:24 ; 4-byte Folded Spill
	s_and_saveexec_b64 s[42:43], s[4:5]
	s_cbranch_execz .LBB186_101
; %bb.98:                               ;   in Loop: Header=BB186_13 Depth=1
	v_and_b32_e32 v39, 0xffff, v0
	v_and_b32_e32 v33, 0x7f, v39
	v_cmp_ne_u32_e64 s[4:5], s53, v33
	v_mov_b32_e32 v1, 0x7f800001
	buffer_store_dword v1, off, s[56:59], 0 offset:24 ; 4-byte Folded Spill
	s_and_saveexec_b64 s[44:45], s[4:5]
	s_cbranch_execz .LBB186_100
; %bb.99:                               ;   in Loop: Header=BB186_13 Depth=1
	v_and_b32_e32 v40, 7, v39
	v_lshrrev_b32_e32 v41, 3, v33
	v_cmp_gt_u32_e64 s[4:5], 8, v33
	v_ffbh_u32_e32 v33, v40
	v_min_u32_e32 v42, 32, v33
	v_subrev_u32_e32 v33, 28, v42
	v_lshlrev_b64 v[33:34], v33, v[39:40]
	v_sub_u32_e32 v34, 29, v42
	v_and_b32_e32 v33, 7, v33
	v_cndmask_b32_e64 v34, v41, v34, s[4:5]
	v_cndmask_b32_e64 v33, v40, v33, s[4:5]
	v_lshlrev_b32_e32 v0, 24, v0
	v_bfrev_b32_e32 v1, 60
	v_lshlrev_b32_e32 v33, 20, v33
	v_and_b32_e32 v0, 0x80000000, v0
	v_lshl_add_u32 v34, v34, 23, v1
	v_or3_b32 v0, v0, v34, v33
	buffer_store_dword v0, off, s[56:59], 0 offset:24 ; 4-byte Folded Spill
.LBB186_100:                            ;   in Loop: Header=BB186_13 Depth=1
	s_or_b64 exec, exec, s[44:45]
.LBB186_101:                            ;   in Loop: Header=BB186_13 Depth=1
	s_or_b64 exec, exec, s[42:43]
.LBB186_102:                            ;   in Loop: Header=BB186_13 Depth=1
	s_or_b64 exec, exec, s[40:41]
	global_load_ubyte v0, v[37:38], off offset:776
	v_mov_b32_e32 v33, 0
	v_mov_b32_e32 v34, 0
	s_waitcnt vmcnt(0)
	v_cmp_ne_u16_e64 s[4:5], 0, v0
	s_and_saveexec_b64 s[40:41], s[4:5]
	s_cbranch_execz .LBB186_108
; %bb.103:                              ;   in Loop: Header=BB186_13 Depth=1
	v_cmp_ne_u16_e64 s[4:5], s52, v0
	v_bfrev_b32_e32 v34, 1
	s_and_saveexec_b64 s[42:43], s[4:5]
	s_cbranch_execz .LBB186_107
; %bb.104:                              ;   in Loop: Header=BB186_13 Depth=1
	v_and_b32_e32 v39, 0xffff, v0
	v_and_b32_e32 v41, 0x7f, v39
	v_cmp_ne_u32_e64 s[4:5], s53, v41
	v_mov_b32_e32 v34, 0x7f800001
	s_and_saveexec_b64 s[44:45], s[4:5]
	s_cbranch_execz .LBB186_106
; %bb.105:                              ;   in Loop: Header=BB186_13 Depth=1
	v_and_b32_e32 v34, 7, v39
	v_ffbh_u32_e32 v40, v34
	v_lshrrev_b32_e32 v42, 3, v41
	v_cmp_gt_u32_e64 s[4:5], 8, v41
	v_min_u32_e32 v41, 32, v40
	v_subrev_u32_e32 v40, 28, v41
	v_lshlrev_b64 v[39:40], v40, v[39:40]
	v_sub_u32_e32 v40, 29, v41
	v_and_b32_e32 v39, 7, v39
	v_cndmask_b32_e64 v40, v42, v40, s[4:5]
	v_cndmask_b32_e64 v34, v34, v39, s[4:5]
	v_lshlrev_b32_e32 v0, 24, v0
	v_bfrev_b32_e32 v1, 60
	v_lshlrev_b32_e32 v34, 20, v34
	v_and_b32_e32 v0, 0x80000000, v0
	v_lshl_add_u32 v39, v40, 23, v1
	v_or3_b32 v34, v0, v39, v34
.LBB186_106:                            ;   in Loop: Header=BB186_13 Depth=1
	s_or_b64 exec, exec, s[44:45]
.LBB186_107:                            ;   in Loop: Header=BB186_13 Depth=1
	s_or_b64 exec, exec, s[42:43]
.LBB186_108:                            ;   in Loop: Header=BB186_13 Depth=1
	s_or_b64 exec, exec, s[40:41]
	global_load_ubyte v0, v[37:38], off offset:780
	s_waitcnt vmcnt(0)
	v_cmp_ne_u16_e64 s[4:5], 0, v0
	s_and_saveexec_b64 s[40:41], s[4:5]
	s_cbranch_execz .LBB186_114
; %bb.109:                              ;   in Loop: Header=BB186_13 Depth=1
	v_cmp_ne_u16_e64 s[4:5], s52, v0
	v_bfrev_b32_e32 v33, 1
	s_and_saveexec_b64 s[42:43], s[4:5]
	s_cbranch_execz .LBB186_113
; %bb.110:                              ;   in Loop: Header=BB186_13 Depth=1
	v_and_b32_e32 v39, 0xffff, v0
	v_and_b32_e32 v41, 0x7f, v39
	v_cmp_ne_u32_e64 s[4:5], s53, v41
	v_mov_b32_e32 v33, 0x7f800001
	s_and_saveexec_b64 s[44:45], s[4:5]
	s_cbranch_execz .LBB186_112
; %bb.111:                              ;   in Loop: Header=BB186_13 Depth=1
	v_and_b32_e32 v33, 7, v39
	v_ffbh_u32_e32 v40, v33
	v_lshrrev_b32_e32 v42, 3, v41
	v_cmp_gt_u32_e64 s[4:5], 8, v41
	v_min_u32_e32 v41, 32, v40
	v_subrev_u32_e32 v40, 28, v41
	v_lshlrev_b64 v[39:40], v40, v[39:40]
	v_sub_u32_e32 v40, 29, v41
	v_and_b32_e32 v39, 7, v39
	v_cndmask_b32_e64 v40, v42, v40, s[4:5]
	v_cndmask_b32_e64 v33, v33, v39, s[4:5]
	v_lshlrev_b32_e32 v0, 24, v0
	v_bfrev_b32_e32 v1, 60
	v_lshlrev_b32_e32 v33, 20, v33
	v_and_b32_e32 v0, 0x80000000, v0
	v_lshl_add_u32 v39, v40, 23, v1
	v_or3_b32 v33, v0, v39, v33
.LBB186_112:                            ;   in Loop: Header=BB186_13 Depth=1
	s_or_b64 exec, exec, s[44:45]
.LBB186_113:                            ;   in Loop: Header=BB186_13 Depth=1
	s_or_b64 exec, exec, s[42:43]
.LBB186_114:                            ;   in Loop: Header=BB186_13 Depth=1
	s_or_b64 exec, exec, s[40:41]
	global_load_ubyte v41, v[37:38], off offset:1024
	v_mov_b32_e32 v50, 0
	v_mov_b32_e32 v0, 0
	s_waitcnt vmcnt(0)
	v_cmp_ne_u16_e64 s[4:5], 0, v41
	s_and_saveexec_b64 s[40:41], s[4:5]
	s_cbranch_execz .LBB186_120
; %bb.115:                              ;   in Loop: Header=BB186_13 Depth=1
	v_cmp_ne_u16_e64 s[4:5], s52, v41
	v_bfrev_b32_e32 v0, 1
	s_and_saveexec_b64 s[42:43], s[4:5]
	s_cbranch_execz .LBB186_119
; %bb.116:                              ;   in Loop: Header=BB186_13 Depth=1
	v_and_b32_e32 v39, 0xffff, v41
	v_and_b32_e32 v42, 0x7f, v39
	v_cmp_ne_u32_e64 s[4:5], s53, v42
	v_mov_b32_e32 v0, 0x7f800001
	s_and_saveexec_b64 s[44:45], s[4:5]
	s_cbranch_execz .LBB186_118
; %bb.117:                              ;   in Loop: Header=BB186_13 Depth=1
	v_and_b32_e32 v0, 7, v39
	v_ffbh_u32_e32 v40, v0
	v_lshrrev_b32_e32 v45, 3, v42
	v_cmp_gt_u32_e64 s[4:5], 8, v42
	v_min_u32_e32 v42, 32, v40
	v_subrev_u32_e32 v40, 28, v42
	v_lshlrev_b64 v[39:40], v40, v[39:40]
	v_sub_u32_e32 v40, 29, v42
	v_and_b32_e32 v39, 7, v39
	v_cndmask_b32_e64 v40, v45, v40, s[4:5]
	v_cndmask_b32_e64 v0, v0, v39, s[4:5]
	v_lshlrev_b32_e32 v39, 24, v41
	v_bfrev_b32_e32 v1, 60
	v_lshlrev_b32_e32 v0, 20, v0
	v_and_b32_e32 v39, 0x80000000, v39
	v_lshl_add_u32 v40, v40, 23, v1
	v_or3_b32 v0, v39, v40, v0
.LBB186_118:                            ;   in Loop: Header=BB186_13 Depth=1
	s_or_b64 exec, exec, s[44:45]
.LBB186_119:                            ;   in Loop: Header=BB186_13 Depth=1
	s_or_b64 exec, exec, s[42:43]
.LBB186_120:                            ;   in Loop: Header=BB186_13 Depth=1
	s_or_b64 exec, exec, s[40:41]
	global_load_ubyte v41, v[37:38], off offset:1028
	s_waitcnt vmcnt(0)
	v_cmp_ne_u16_e64 s[4:5], 0, v41
	s_and_saveexec_b64 s[40:41], s[4:5]
	s_cbranch_execz .LBB186_126
; %bb.121:                              ;   in Loop: Header=BB186_13 Depth=1
	v_cmp_ne_u16_e64 s[4:5], s52, v41
	v_bfrev_b32_e32 v50, 1
	s_and_saveexec_b64 s[42:43], s[4:5]
	s_cbranch_execz .LBB186_125
; %bb.122:                              ;   in Loop: Header=BB186_13 Depth=1
	v_and_b32_e32 v39, 0xffff, v41
	v_and_b32_e32 v42, 0x7f, v39
	v_cmp_ne_u32_e64 s[4:5], s53, v42
	v_mov_b32_e32 v50, 0x7f800001
	s_and_saveexec_b64 s[44:45], s[4:5]
	s_cbranch_execz .LBB186_124
; %bb.123:                              ;   in Loop: Header=BB186_13 Depth=1
	v_and_b32_e32 v45, 7, v39
	v_ffbh_u32_e32 v40, v45
	v_lshrrev_b32_e32 v46, 3, v42
	v_cmp_gt_u32_e64 s[4:5], 8, v42
	v_min_u32_e32 v42, 32, v40
	v_subrev_u32_e32 v40, 28, v42
	v_lshlrev_b64 v[39:40], v40, v[39:40]
	v_sub_u32_e32 v40, 29, v42
	v_and_b32_e32 v39, 7, v39
	v_cndmask_b32_e64 v40, v46, v40, s[4:5]
	v_cndmask_b32_e64 v39, v45, v39, s[4:5]
	v_lshlrev_b32_e32 v41, 24, v41
	v_bfrev_b32_e32 v1, 60
	v_lshlrev_b32_e32 v39, 20, v39
	v_and_b32_e32 v41, 0x80000000, v41
	v_lshl_add_u32 v40, v40, 23, v1
	v_or3_b32 v50, v41, v40, v39
.LBB186_124:                            ;   in Loop: Header=BB186_13 Depth=1
	s_or_b64 exec, exec, s[44:45]
.LBB186_125:                            ;   in Loop: Header=BB186_13 Depth=1
	s_or_b64 exec, exec, s[42:43]
.LBB186_126:                            ;   in Loop: Header=BB186_13 Depth=1
	s_or_b64 exec, exec, s[40:41]
	global_load_ubyte v41, v[37:38], off offset:1032
	v_mov_b32_e32 v55, 0
	v_mov_b32_e32 v51, 0
	s_waitcnt vmcnt(0)
	v_cmp_ne_u16_e64 s[4:5], 0, v41
	s_and_saveexec_b64 s[40:41], s[4:5]
	s_cbranch_execz .LBB186_132
; %bb.127:                              ;   in Loop: Header=BB186_13 Depth=1
	v_cmp_ne_u16_e64 s[4:5], s52, v41
	v_bfrev_b32_e32 v51, 1
	s_and_saveexec_b64 s[42:43], s[4:5]
	s_cbranch_execz .LBB186_131
; %bb.128:                              ;   in Loop: Header=BB186_13 Depth=1
	v_and_b32_e32 v39, 0xffff, v41
	v_and_b32_e32 v42, 0x7f, v39
	v_cmp_ne_u32_e64 s[4:5], s53, v42
	v_mov_b32_e32 v51, 0x7f800001
	s_and_saveexec_b64 s[44:45], s[4:5]
	s_cbranch_execz .LBB186_130
; %bb.129:                              ;   in Loop: Header=BB186_13 Depth=1
	v_and_b32_e32 v45, 7, v39
	v_ffbh_u32_e32 v40, v45
	v_lshrrev_b32_e32 v46, 3, v42
	v_cmp_gt_u32_e64 s[4:5], 8, v42
	v_min_u32_e32 v42, 32, v40
	v_subrev_u32_e32 v40, 28, v42
	v_lshlrev_b64 v[39:40], v40, v[39:40]
	v_sub_u32_e32 v40, 29, v42
	v_and_b32_e32 v39, 7, v39
	v_cndmask_b32_e64 v40, v46, v40, s[4:5]
	v_cndmask_b32_e64 v39, v45, v39, s[4:5]
	v_lshlrev_b32_e32 v41, 24, v41
	v_bfrev_b32_e32 v1, 60
	v_lshlrev_b32_e32 v39, 20, v39
	v_and_b32_e32 v41, 0x80000000, v41
	v_lshl_add_u32 v40, v40, 23, v1
	v_or3_b32 v51, v41, v40, v39
.LBB186_130:                            ;   in Loop: Header=BB186_13 Depth=1
	s_or_b64 exec, exec, s[44:45]
.LBB186_131:                            ;   in Loop: Header=BB186_13 Depth=1
	s_or_b64 exec, exec, s[42:43]
.LBB186_132:                            ;   in Loop: Header=BB186_13 Depth=1
	s_or_b64 exec, exec, s[40:41]
	global_load_ubyte v41, v[37:38], off offset:1036
	s_waitcnt vmcnt(0)
	v_cmp_ne_u16_e64 s[4:5], 0, v41
	s_and_saveexec_b64 s[40:41], s[4:5]
	s_cbranch_execz .LBB186_138
; %bb.133:                              ;   in Loop: Header=BB186_13 Depth=1
	v_cmp_ne_u16_e64 s[4:5], s52, v41
	v_bfrev_b32_e32 v55, 1
	s_and_saveexec_b64 s[42:43], s[4:5]
	s_cbranch_execz .LBB186_137
; %bb.134:                              ;   in Loop: Header=BB186_13 Depth=1
	v_and_b32_e32 v39, 0xffff, v41
	v_and_b32_e32 v42, 0x7f, v39
	v_cmp_ne_u32_e64 s[4:5], s53, v42
	v_mov_b32_e32 v55, 0x7f800001
	s_and_saveexec_b64 s[44:45], s[4:5]
	s_cbranch_execz .LBB186_136
; %bb.135:                              ;   in Loop: Header=BB186_13 Depth=1
	v_and_b32_e32 v45, 7, v39
	v_ffbh_u32_e32 v40, v45
	v_lshrrev_b32_e32 v46, 3, v42
	v_cmp_gt_u32_e64 s[4:5], 8, v42
	v_min_u32_e32 v42, 32, v40
	v_subrev_u32_e32 v40, 28, v42
	v_lshlrev_b64 v[39:40], v40, v[39:40]
	v_sub_u32_e32 v40, 29, v42
	v_and_b32_e32 v39, 7, v39
	v_cndmask_b32_e64 v40, v46, v40, s[4:5]
	v_cndmask_b32_e64 v39, v45, v39, s[4:5]
	v_lshlrev_b32_e32 v41, 24, v41
	v_bfrev_b32_e32 v1, 60
	v_lshlrev_b32_e32 v39, 20, v39
	v_and_b32_e32 v41, 0x80000000, v41
	v_lshl_add_u32 v40, v40, 23, v1
	v_or3_b32 v55, v41, v40, v39
.LBB186_136:                            ;   in Loop: Header=BB186_13 Depth=1
	s_or_b64 exec, exec, s[44:45]
.LBB186_137:                            ;   in Loop: Header=BB186_13 Depth=1
	s_or_b64 exec, exec, s[42:43]
.LBB186_138:                            ;   in Loop: Header=BB186_13 Depth=1
	s_or_b64 exec, exec, s[40:41]
	global_load_ubyte v41, v[37:38], off offset:1280
	v_mov_b32_e32 v56, 0
	v_mov_b32_e32 v58, 0
	s_waitcnt vmcnt(0)
	v_cmp_ne_u16_e64 s[4:5], 0, v41
	s_and_saveexec_b64 s[40:41], s[4:5]
	s_cbranch_execz .LBB186_144
; %bb.139:                              ;   in Loop: Header=BB186_13 Depth=1
	v_cmp_ne_u16_e64 s[4:5], s52, v41
	v_bfrev_b32_e32 v58, 1
	s_and_saveexec_b64 s[42:43], s[4:5]
	s_cbranch_execz .LBB186_143
; %bb.140:                              ;   in Loop: Header=BB186_13 Depth=1
	v_and_b32_e32 v39, 0xffff, v41
	v_and_b32_e32 v42, 0x7f, v39
	v_cmp_ne_u32_e64 s[4:5], s53, v42
	v_mov_b32_e32 v58, 0x7f800001
	s_and_saveexec_b64 s[44:45], s[4:5]
	s_cbranch_execz .LBB186_142
; %bb.141:                              ;   in Loop: Header=BB186_13 Depth=1
	v_and_b32_e32 v45, 7, v39
	v_ffbh_u32_e32 v40, v45
	v_lshrrev_b32_e32 v46, 3, v42
	v_cmp_gt_u32_e64 s[4:5], 8, v42
	v_min_u32_e32 v42, 32, v40
	v_subrev_u32_e32 v40, 28, v42
	v_lshlrev_b64 v[39:40], v40, v[39:40]
	v_sub_u32_e32 v40, 29, v42
	v_and_b32_e32 v39, 7, v39
	v_cndmask_b32_e64 v40, v46, v40, s[4:5]
	v_cndmask_b32_e64 v39, v45, v39, s[4:5]
	v_lshlrev_b32_e32 v41, 24, v41
	v_bfrev_b32_e32 v1, 60
	v_lshlrev_b32_e32 v39, 20, v39
	v_and_b32_e32 v41, 0x80000000, v41
	v_lshl_add_u32 v40, v40, 23, v1
	v_or3_b32 v58, v41, v40, v39
.LBB186_142:                            ;   in Loop: Header=BB186_13 Depth=1
	s_or_b64 exec, exec, s[44:45]
.LBB186_143:                            ;   in Loop: Header=BB186_13 Depth=1
	s_or_b64 exec, exec, s[42:43]
.LBB186_144:                            ;   in Loop: Header=BB186_13 Depth=1
	s_or_b64 exec, exec, s[40:41]
	global_load_ubyte v41, v[37:38], off offset:1284
	s_waitcnt vmcnt(0)
	v_cmp_ne_u16_e64 s[4:5], 0, v41
	s_and_saveexec_b64 s[40:41], s[4:5]
	s_cbranch_execz .LBB186_150
; %bb.145:                              ;   in Loop: Header=BB186_13 Depth=1
	v_cmp_ne_u16_e64 s[4:5], s52, v41
	v_bfrev_b32_e32 v56, 1
	s_and_saveexec_b64 s[42:43], s[4:5]
	s_cbranch_execz .LBB186_149
; %bb.146:                              ;   in Loop: Header=BB186_13 Depth=1
	v_and_b32_e32 v39, 0xffff, v41
	v_and_b32_e32 v42, 0x7f, v39
	v_cmp_ne_u32_e64 s[4:5], s53, v42
	v_mov_b32_e32 v56, 0x7f800001
	s_and_saveexec_b64 s[44:45], s[4:5]
	s_cbranch_execz .LBB186_148
; %bb.147:                              ;   in Loop: Header=BB186_13 Depth=1
	v_and_b32_e32 v45, 7, v39
	v_ffbh_u32_e32 v40, v45
	v_lshrrev_b32_e32 v46, 3, v42
	v_cmp_gt_u32_e64 s[4:5], 8, v42
	v_min_u32_e32 v42, 32, v40
	v_subrev_u32_e32 v40, 28, v42
	v_lshlrev_b64 v[39:40], v40, v[39:40]
	v_sub_u32_e32 v40, 29, v42
	v_and_b32_e32 v39, 7, v39
	v_cndmask_b32_e64 v40, v46, v40, s[4:5]
	v_cndmask_b32_e64 v39, v45, v39, s[4:5]
	v_lshlrev_b32_e32 v41, 24, v41
	v_bfrev_b32_e32 v1, 60
	v_lshlrev_b32_e32 v39, 20, v39
	v_and_b32_e32 v41, 0x80000000, v41
	v_lshl_add_u32 v40, v40, 23, v1
	v_or3_b32 v56, v41, v40, v39
.LBB186_148:                            ;   in Loop: Header=BB186_13 Depth=1
	s_or_b64 exec, exec, s[44:45]
.LBB186_149:                            ;   in Loop: Header=BB186_13 Depth=1
	s_or_b64 exec, exec, s[42:43]
.LBB186_150:                            ;   in Loop: Header=BB186_13 Depth=1
	s_or_b64 exec, exec, s[40:41]
	global_load_ubyte v41, v[37:38], off offset:1288
	v_mov_b32_e32 v59, 0
	v_mov_b32_e32 v60, 0
	s_waitcnt vmcnt(0)
	v_cmp_ne_u16_e64 s[4:5], 0, v41
	s_and_saveexec_b64 s[40:41], s[4:5]
	s_cbranch_execz .LBB186_156
; %bb.151:                              ;   in Loop: Header=BB186_13 Depth=1
	v_cmp_ne_u16_e64 s[4:5], s52, v41
	v_bfrev_b32_e32 v60, 1
	s_and_saveexec_b64 s[42:43], s[4:5]
	s_cbranch_execz .LBB186_155
; %bb.152:                              ;   in Loop: Header=BB186_13 Depth=1
	v_and_b32_e32 v39, 0xffff, v41
	v_and_b32_e32 v42, 0x7f, v39
	v_cmp_ne_u32_e64 s[4:5], s53, v42
	v_mov_b32_e32 v60, 0x7f800001
	s_and_saveexec_b64 s[44:45], s[4:5]
	s_cbranch_execz .LBB186_154
; %bb.153:                              ;   in Loop: Header=BB186_13 Depth=1
	v_and_b32_e32 v45, 7, v39
	v_ffbh_u32_e32 v40, v45
	v_lshrrev_b32_e32 v46, 3, v42
	v_cmp_gt_u32_e64 s[4:5], 8, v42
	v_min_u32_e32 v42, 32, v40
	v_subrev_u32_e32 v40, 28, v42
	v_lshlrev_b64 v[39:40], v40, v[39:40]
	v_sub_u32_e32 v40, 29, v42
	v_and_b32_e32 v39, 7, v39
	v_cndmask_b32_e64 v40, v46, v40, s[4:5]
	v_cndmask_b32_e64 v39, v45, v39, s[4:5]
	v_lshlrev_b32_e32 v41, 24, v41
	v_bfrev_b32_e32 v1, 60
	v_lshlrev_b32_e32 v39, 20, v39
	v_and_b32_e32 v41, 0x80000000, v41
	v_lshl_add_u32 v40, v40, 23, v1
	v_or3_b32 v60, v41, v40, v39
.LBB186_154:                            ;   in Loop: Header=BB186_13 Depth=1
	s_or_b64 exec, exec, s[44:45]
.LBB186_155:                            ;   in Loop: Header=BB186_13 Depth=1
	s_or_b64 exec, exec, s[42:43]
.LBB186_156:                            ;   in Loop: Header=BB186_13 Depth=1
	s_or_b64 exec, exec, s[40:41]
	global_load_ubyte v41, v[37:38], off offset:1292
	s_waitcnt vmcnt(0)
	v_cmp_ne_u16_e64 s[4:5], 0, v41
	s_and_saveexec_b64 s[40:41], s[4:5]
	s_cbranch_execz .LBB186_162
; %bb.157:                              ;   in Loop: Header=BB186_13 Depth=1
	v_cmp_ne_u16_e64 s[4:5], s52, v41
	v_bfrev_b32_e32 v59, 1
	s_and_saveexec_b64 s[42:43], s[4:5]
	s_cbranch_execz .LBB186_161
; %bb.158:                              ;   in Loop: Header=BB186_13 Depth=1
	v_and_b32_e32 v39, 0xffff, v41
	v_and_b32_e32 v42, 0x7f, v39
	v_cmp_ne_u32_e64 s[4:5], s53, v42
	v_mov_b32_e32 v59, 0x7f800001
	s_and_saveexec_b64 s[44:45], s[4:5]
	s_cbranch_execz .LBB186_160
; %bb.159:                              ;   in Loop: Header=BB186_13 Depth=1
	v_and_b32_e32 v45, 7, v39
	v_ffbh_u32_e32 v40, v45
	v_lshrrev_b32_e32 v46, 3, v42
	v_cmp_gt_u32_e64 s[4:5], 8, v42
	v_min_u32_e32 v42, 32, v40
	v_subrev_u32_e32 v40, 28, v42
	v_lshlrev_b64 v[39:40], v40, v[39:40]
	v_sub_u32_e32 v40, 29, v42
	v_and_b32_e32 v39, 7, v39
	v_cndmask_b32_e64 v40, v46, v40, s[4:5]
	v_cndmask_b32_e64 v39, v45, v39, s[4:5]
	v_lshlrev_b32_e32 v41, 24, v41
	v_bfrev_b32_e32 v1, 60
	v_lshlrev_b32_e32 v39, 20, v39
	v_and_b32_e32 v41, 0x80000000, v41
	v_lshl_add_u32 v40, v40, 23, v1
	v_or3_b32 v59, v41, v40, v39
.LBB186_160:                            ;   in Loop: Header=BB186_13 Depth=1
	s_or_b64 exec, exec, s[44:45]
.LBB186_161:                            ;   in Loop: Header=BB186_13 Depth=1
	s_or_b64 exec, exec, s[42:43]
.LBB186_162:                            ;   in Loop: Header=BB186_13 Depth=1
	s_or_b64 exec, exec, s[40:41]
	global_load_ubyte v41, v[37:38], off offset:1536
	v_mov_b32_e32 v61, 0
	v_mov_b32_e32 v62, 0
	s_waitcnt vmcnt(0)
	v_cmp_ne_u16_e64 s[4:5], 0, v41
	s_and_saveexec_b64 s[40:41], s[4:5]
	s_cbranch_execz .LBB186_168
; %bb.163:                              ;   in Loop: Header=BB186_13 Depth=1
	v_cmp_ne_u16_e64 s[4:5], s52, v41
	v_bfrev_b32_e32 v62, 1
	s_and_saveexec_b64 s[42:43], s[4:5]
	s_cbranch_execz .LBB186_167
; %bb.164:                              ;   in Loop: Header=BB186_13 Depth=1
	v_and_b32_e32 v39, 0xffff, v41
	v_and_b32_e32 v42, 0x7f, v39
	v_cmp_ne_u32_e64 s[4:5], s53, v42
	v_mov_b32_e32 v62, 0x7f800001
	s_and_saveexec_b64 s[44:45], s[4:5]
	s_cbranch_execz .LBB186_166
; %bb.165:                              ;   in Loop: Header=BB186_13 Depth=1
	v_and_b32_e32 v45, 7, v39
	v_ffbh_u32_e32 v40, v45
	v_lshrrev_b32_e32 v46, 3, v42
	v_cmp_gt_u32_e64 s[4:5], 8, v42
	v_min_u32_e32 v42, 32, v40
	v_subrev_u32_e32 v40, 28, v42
	v_lshlrev_b64 v[39:40], v40, v[39:40]
	v_sub_u32_e32 v40, 29, v42
	v_and_b32_e32 v39, 7, v39
	v_cndmask_b32_e64 v40, v46, v40, s[4:5]
	v_cndmask_b32_e64 v39, v45, v39, s[4:5]
	v_lshlrev_b32_e32 v41, 24, v41
	v_bfrev_b32_e32 v1, 60
	v_lshlrev_b32_e32 v39, 20, v39
	v_and_b32_e32 v41, 0x80000000, v41
	v_lshl_add_u32 v40, v40, 23, v1
	v_or3_b32 v62, v41, v40, v39
.LBB186_166:                            ;   in Loop: Header=BB186_13 Depth=1
	s_or_b64 exec, exec, s[44:45]
.LBB186_167:                            ;   in Loop: Header=BB186_13 Depth=1
	s_or_b64 exec, exec, s[42:43]
.LBB186_168:                            ;   in Loop: Header=BB186_13 Depth=1
	s_or_b64 exec, exec, s[40:41]
	global_load_ubyte v41, v[37:38], off offset:1540
	s_waitcnt vmcnt(0)
	v_cmp_ne_u16_e64 s[4:5], 0, v41
	s_and_saveexec_b64 s[40:41], s[4:5]
	s_cbranch_execz .LBB186_174
; %bb.169:                              ;   in Loop: Header=BB186_13 Depth=1
	v_cmp_ne_u16_e64 s[4:5], s52, v41
	v_bfrev_b32_e32 v61, 1
	s_and_saveexec_b64 s[42:43], s[4:5]
	s_cbranch_execz .LBB186_173
; %bb.170:                              ;   in Loop: Header=BB186_13 Depth=1
	v_and_b32_e32 v39, 0xffff, v41
	v_and_b32_e32 v42, 0x7f, v39
	v_cmp_ne_u32_e64 s[4:5], s53, v42
	v_mov_b32_e32 v61, 0x7f800001
	s_and_saveexec_b64 s[44:45], s[4:5]
	s_cbranch_execz .LBB186_172
; %bb.171:                              ;   in Loop: Header=BB186_13 Depth=1
	v_and_b32_e32 v45, 7, v39
	v_ffbh_u32_e32 v40, v45
	v_lshrrev_b32_e32 v46, 3, v42
	v_cmp_gt_u32_e64 s[4:5], 8, v42
	v_min_u32_e32 v42, 32, v40
	v_subrev_u32_e32 v40, 28, v42
	v_lshlrev_b64 v[39:40], v40, v[39:40]
	v_sub_u32_e32 v40, 29, v42
	v_and_b32_e32 v39, 7, v39
	v_cndmask_b32_e64 v40, v46, v40, s[4:5]
	v_cndmask_b32_e64 v39, v45, v39, s[4:5]
	v_lshlrev_b32_e32 v41, 24, v41
	v_bfrev_b32_e32 v1, 60
	v_lshlrev_b32_e32 v39, 20, v39
	v_and_b32_e32 v41, 0x80000000, v41
	v_lshl_add_u32 v40, v40, 23, v1
	v_or3_b32 v61, v41, v40, v39
.LBB186_172:                            ;   in Loop: Header=BB186_13 Depth=1
	s_or_b64 exec, exec, s[44:45]
.LBB186_173:                            ;   in Loop: Header=BB186_13 Depth=1
	s_or_b64 exec, exec, s[42:43]
.LBB186_174:                            ;   in Loop: Header=BB186_13 Depth=1
	s_or_b64 exec, exec, s[40:41]
	global_load_ubyte v41, v[37:38], off offset:1544
	v_mov_b32_e32 v63, 0
	v_mov_b32_e32 v49, 0
	s_waitcnt vmcnt(0)
	v_cmp_ne_u16_e64 s[4:5], 0, v41
	s_and_saveexec_b64 s[40:41], s[4:5]
	s_cbranch_execz .LBB186_180
; %bb.175:                              ;   in Loop: Header=BB186_13 Depth=1
	v_cmp_ne_u16_e64 s[4:5], s52, v41
	v_bfrev_b32_e32 v49, 1
	s_and_saveexec_b64 s[42:43], s[4:5]
	s_cbranch_execz .LBB186_179
; %bb.176:                              ;   in Loop: Header=BB186_13 Depth=1
	v_and_b32_e32 v39, 0xffff, v41
	v_and_b32_e32 v42, 0x7f, v39
	v_cmp_ne_u32_e64 s[4:5], s53, v42
	v_mov_b32_e32 v49, 0x7f800001
	s_and_saveexec_b64 s[44:45], s[4:5]
	s_cbranch_execz .LBB186_178
; %bb.177:                              ;   in Loop: Header=BB186_13 Depth=1
	v_and_b32_e32 v45, 7, v39
	v_ffbh_u32_e32 v40, v45
	v_lshrrev_b32_e32 v46, 3, v42
	v_cmp_gt_u32_e64 s[4:5], 8, v42
	v_min_u32_e32 v42, 32, v40
	v_subrev_u32_e32 v40, 28, v42
	v_lshlrev_b64 v[39:40], v40, v[39:40]
	v_sub_u32_e32 v40, 29, v42
	v_and_b32_e32 v39, 7, v39
	v_cndmask_b32_e64 v40, v46, v40, s[4:5]
	v_cndmask_b32_e64 v39, v45, v39, s[4:5]
	v_lshlrev_b32_e32 v41, 24, v41
	v_bfrev_b32_e32 v1, 60
	v_lshlrev_b32_e32 v39, 20, v39
	v_and_b32_e32 v41, 0x80000000, v41
	v_lshl_add_u32 v40, v40, 23, v1
	v_or3_b32 v49, v41, v40, v39
.LBB186_178:                            ;   in Loop: Header=BB186_13 Depth=1
	s_or_b64 exec, exec, s[44:45]
.LBB186_179:                            ;   in Loop: Header=BB186_13 Depth=1
	s_or_b64 exec, exec, s[42:43]
.LBB186_180:                            ;   in Loop: Header=BB186_13 Depth=1
	s_or_b64 exec, exec, s[40:41]
	global_load_ubyte v41, v[37:38], off offset:1548
	s_waitcnt vmcnt(0)
	v_cmp_ne_u16_e64 s[4:5], 0, v41
	s_and_saveexec_b64 s[40:41], s[4:5]
	s_cbranch_execz .LBB186_186
; %bb.181:                              ;   in Loop: Header=BB186_13 Depth=1
	v_cmp_ne_u16_e64 s[4:5], s52, v41
	v_bfrev_b32_e32 v63, 1
	s_and_saveexec_b64 s[42:43], s[4:5]
	s_cbranch_execz .LBB186_185
; %bb.182:                              ;   in Loop: Header=BB186_13 Depth=1
	v_and_b32_e32 v39, 0xffff, v41
	v_and_b32_e32 v42, 0x7f, v39
	v_cmp_ne_u32_e64 s[4:5], s53, v42
	v_mov_b32_e32 v63, 0x7f800001
	s_and_saveexec_b64 s[44:45], s[4:5]
	s_cbranch_execz .LBB186_184
; %bb.183:                              ;   in Loop: Header=BB186_13 Depth=1
	v_and_b32_e32 v45, 7, v39
	v_ffbh_u32_e32 v40, v45
	v_lshrrev_b32_e32 v46, 3, v42
	v_cmp_gt_u32_e64 s[4:5], 8, v42
	v_min_u32_e32 v42, 32, v40
	v_subrev_u32_e32 v40, 28, v42
	v_lshlrev_b64 v[39:40], v40, v[39:40]
	v_sub_u32_e32 v40, 29, v42
	v_and_b32_e32 v39, 7, v39
	v_cndmask_b32_e64 v40, v46, v40, s[4:5]
	v_cndmask_b32_e64 v39, v45, v39, s[4:5]
	v_lshlrev_b32_e32 v41, 24, v41
	v_bfrev_b32_e32 v1, 60
	v_lshlrev_b32_e32 v39, 20, v39
	v_and_b32_e32 v41, 0x80000000, v41
	v_lshl_add_u32 v40, v40, 23, v1
	v_or3_b32 v63, v41, v40, v39
.LBB186_184:                            ;   in Loop: Header=BB186_13 Depth=1
	s_or_b64 exec, exec, s[44:45]
.LBB186_185:                            ;   in Loop: Header=BB186_13 Depth=1
	s_or_b64 exec, exec, s[42:43]
.LBB186_186:                            ;   in Loop: Header=BB186_13 Depth=1
	s_or_b64 exec, exec, s[40:41]
	global_load_ubyte v41, v[37:38], off offset:1792
	v_mov_b32_e32 v46, 0
	v_mov_b32_e32 v45, 0
	s_waitcnt vmcnt(0)
	v_cmp_ne_u16_e64 s[4:5], 0, v41
	s_and_saveexec_b64 s[40:41], s[4:5]
	s_cbranch_execz .LBB186_192
; %bb.187:                              ;   in Loop: Header=BB186_13 Depth=1
	v_cmp_ne_u16_e64 s[4:5], s52, v41
	v_bfrev_b32_e32 v45, 1
	s_and_saveexec_b64 s[42:43], s[4:5]
	s_cbranch_execz .LBB186_191
; %bb.188:                              ;   in Loop: Header=BB186_13 Depth=1
	v_and_b32_e32 v39, 0xffff, v41
	v_and_b32_e32 v42, 0x7f, v39
	v_cmp_ne_u32_e64 s[4:5], s53, v42
	v_mov_b32_e32 v45, 0x7f800001
	s_and_saveexec_b64 s[44:45], s[4:5]
	s_cbranch_execz .LBB186_190
; %bb.189:                              ;   in Loop: Header=BB186_13 Depth=1
	v_and_b32_e32 v45, 7, v39
	v_ffbh_u32_e32 v40, v45
	v_lshrrev_b32_e32 v47, 3, v42
	v_cmp_gt_u32_e64 s[4:5], 8, v42
	v_min_u32_e32 v42, 32, v40
	v_subrev_u32_e32 v40, 28, v42
	v_lshlrev_b64 v[39:40], v40, v[39:40]
	v_sub_u32_e32 v40, 29, v42
	v_and_b32_e32 v39, 7, v39
	v_cndmask_b32_e64 v40, v47, v40, s[4:5]
	v_cndmask_b32_e64 v39, v45, v39, s[4:5]
	v_lshlrev_b32_e32 v41, 24, v41
	v_bfrev_b32_e32 v1, 60
	v_lshlrev_b32_e32 v39, 20, v39
	v_and_b32_e32 v41, 0x80000000, v41
	v_lshl_add_u32 v40, v40, 23, v1
	v_or3_b32 v45, v41, v40, v39
.LBB186_190:                            ;   in Loop: Header=BB186_13 Depth=1
	s_or_b64 exec, exec, s[44:45]
.LBB186_191:                            ;   in Loop: Header=BB186_13 Depth=1
	s_or_b64 exec, exec, s[42:43]
.LBB186_192:                            ;   in Loop: Header=BB186_13 Depth=1
	s_or_b64 exec, exec, s[40:41]
	global_load_ubyte v41, v[37:38], off offset:1796
	s_waitcnt vmcnt(0)
	v_cmp_ne_u16_e64 s[4:5], 0, v41
	s_and_saveexec_b64 s[40:41], s[4:5]
	s_cbranch_execz .LBB186_198
; %bb.193:                              ;   in Loop: Header=BB186_13 Depth=1
	v_cmp_ne_u16_e64 s[4:5], s52, v41
	v_bfrev_b32_e32 v46, 1
	s_and_saveexec_b64 s[42:43], s[4:5]
	s_cbranch_execz .LBB186_197
; %bb.194:                              ;   in Loop: Header=BB186_13 Depth=1
	v_and_b32_e32 v39, 0xffff, v41
	v_and_b32_e32 v42, 0x7f, v39
	v_cmp_ne_u32_e64 s[4:5], s53, v42
	v_mov_b32_e32 v46, 0x7f800001
	s_and_saveexec_b64 s[44:45], s[4:5]
	s_cbranch_execz .LBB186_196
; %bb.195:                              ;   in Loop: Header=BB186_13 Depth=1
	v_and_b32_e32 v46, 7, v39
	v_ffbh_u32_e32 v40, v46
	v_lshrrev_b32_e32 v47, 3, v42
	v_cmp_gt_u32_e64 s[4:5], 8, v42
	v_min_u32_e32 v42, 32, v40
	v_subrev_u32_e32 v40, 28, v42
	v_lshlrev_b64 v[39:40], v40, v[39:40]
	v_sub_u32_e32 v40, 29, v42
	v_and_b32_e32 v39, 7, v39
	v_cndmask_b32_e64 v40, v47, v40, s[4:5]
	v_cndmask_b32_e64 v39, v46, v39, s[4:5]
	v_lshlrev_b32_e32 v41, 24, v41
	v_bfrev_b32_e32 v1, 60
	v_lshlrev_b32_e32 v39, 20, v39
	v_and_b32_e32 v41, 0x80000000, v41
	v_lshl_add_u32 v40, v40, 23, v1
	v_or3_b32 v46, v41, v40, v39
.LBB186_196:                            ;   in Loop: Header=BB186_13 Depth=1
	s_or_b64 exec, exec, s[44:45]
.LBB186_197:                            ;   in Loop: Header=BB186_13 Depth=1
	s_or_b64 exec, exec, s[42:43]
.LBB186_198:                            ;   in Loop: Header=BB186_13 Depth=1
	s_or_b64 exec, exec, s[40:41]
	global_load_ubyte v42, v[37:38], off offset:1800
	v_mov_b32_e32 v41, 0
	v_mov_b32_e32 v47, 0
	s_waitcnt vmcnt(0)
	v_cmp_ne_u16_e64 s[4:5], 0, v42
	s_and_saveexec_b64 s[40:41], s[4:5]
	s_cbranch_execz .LBB186_204
; %bb.199:                              ;   in Loop: Header=BB186_13 Depth=1
	v_cmp_ne_u16_e64 s[4:5], s52, v42
	v_bfrev_b32_e32 v47, 1
	s_and_saveexec_b64 s[42:43], s[4:5]
	s_cbranch_execz .LBB186_203
; %bb.200:                              ;   in Loop: Header=BB186_13 Depth=1
	v_and_b32_e32 v39, 0xffff, v42
	v_and_b32_e32 v40, 0x7f, v39
	v_cmp_ne_u32_e64 s[4:5], s53, v40
	v_mov_b32_e32 v47, 0x7f800001
	s_and_saveexec_b64 s[44:45], s[4:5]
	s_cbranch_execz .LBB186_202
; %bb.201:                              ;   in Loop: Header=BB186_13 Depth=1
	v_and_b32_e32 v47, 7, v39
	v_lshrrev_b32_e32 v48, 3, v40
	v_cmp_gt_u32_e64 s[4:5], 8, v40
	v_ffbh_u32_e32 v40, v47
	v_mov_b32_e32 v1, v2
	v_mov_b32_e32 v2, v53
	v_min_u32_e32 v53, 32, v40
	v_subrev_u32_e32 v40, 28, v53
	v_lshlrev_b64 v[39:40], v40, v[39:40]
	v_sub_u32_e32 v40, 29, v53
	v_and_b32_e32 v39, 7, v39
	v_mov_b32_e32 v53, v2
	v_cndmask_b32_e64 v40, v48, v40, s[4:5]
	v_mov_b32_e32 v2, v1
	v_cndmask_b32_e64 v39, v47, v39, s[4:5]
	v_lshlrev_b32_e32 v42, 24, v42
	v_bfrev_b32_e32 v1, 60
	v_lshlrev_b32_e32 v39, 20, v39
	v_and_b32_e32 v42, 0x80000000, v42
	v_lshl_add_u32 v40, v40, 23, v1
	v_or3_b32 v47, v42, v40, v39
.LBB186_202:                            ;   in Loop: Header=BB186_13 Depth=1
	s_or_b64 exec, exec, s[44:45]
.LBB186_203:                            ;   in Loop: Header=BB186_13 Depth=1
	s_or_b64 exec, exec, s[42:43]
.LBB186_204:                            ;   in Loop: Header=BB186_13 Depth=1
	s_or_b64 exec, exec, s[40:41]
	global_load_ubyte v38, v[37:38], off offset:1804
	s_waitcnt vmcnt(0)
	v_cmp_ne_u16_e64 s[4:5], 0, v38
	s_and_saveexec_b64 s[40:41], s[4:5]
	s_cbranch_execz .LBB186_210
; %bb.205:                              ;   in Loop: Header=BB186_13 Depth=1
	v_cmp_ne_u16_e64 s[4:5], s52, v38
	v_bfrev_b32_e32 v41, 1
	s_and_saveexec_b64 s[42:43], s[4:5]
	s_cbranch_execz .LBB186_209
; %bb.206:                              ;   in Loop: Header=BB186_13 Depth=1
	v_and_b32_e32 v37, 0xffff, v38
	v_and_b32_e32 v39, 0x7f, v37
	v_cmp_ne_u32_e64 s[4:5], s53, v39
	v_mov_b32_e32 v41, 0x7f800001
	s_and_saveexec_b64 s[44:45], s[4:5]
	s_cbranch_execz .LBB186_208
; %bb.207:                              ;   in Loop: Header=BB186_13 Depth=1
	v_and_b32_e32 v41, 7, v37
	v_lshrrev_b32_e32 v42, 3, v39
	v_cmp_gt_u32_e64 s[4:5], 8, v39
	v_ffbh_u32_e32 v39, v41
	v_min_u32_e32 v48, 32, v39
	v_subrev_u32_e32 v39, 28, v48
	v_lshlrev_b64 v[39:40], v39, v[37:38]
	v_sub_u32_e32 v37, 29, v48
	v_and_b32_e32 v39, 7, v39
	v_cndmask_b32_e64 v37, v42, v37, s[4:5]
	v_cndmask_b32_e64 v39, v41, v39, s[4:5]
	v_lshlrev_b32_e32 v38, 24, v38
	v_bfrev_b32_e32 v1, 60
	v_lshlrev_b32_e32 v39, 20, v39
	v_and_b32_e32 v38, 0x80000000, v38
	v_lshl_add_u32 v37, v37, 23, v1
	v_or3_b32 v41, v38, v37, v39
.LBB186_208:                            ;   in Loop: Header=BB186_13 Depth=1
	s_or_b64 exec, exec, s[44:45]
.LBB186_209:                            ;   in Loop: Header=BB186_13 Depth=1
	s_or_b64 exec, exec, s[42:43]
.LBB186_210:                            ;   in Loop: Header=BB186_13 Depth=1
	s_or_b64 exec, exec, s[40:41]
	buffer_load_dword v1, off, s[56:59], 0 offset:24 ; 4-byte Folded Reload
	v_mul_f32_e32 v37, s54, v3
	v_mul_f32_e32 v38, s54, v53
	;; [unrolled: 1-line block ×3, first 2 shown]
	v_fmac_f32_e32 v30, v29, v38
	v_mul_f32_e32 v38, s54, v49
	v_mul_f32_e32 v49, s54, v51
	;; [unrolled: 1-line block ×6, first 2 shown]
	v_fmac_f32_e32 v30, v31, v29
	v_mul_f32_e32 v31, s54, v46
	v_mul_f32_e32 v46, s54, v59
	;; [unrolled: 1-line block ×3, first 2 shown]
	v_fmac_f32_e32 v30, v32, v29
	v_mul_f32_e32 v37, s54, v63
	v_mul_f32_e32 v63, s54, v7
	v_mul_f32_e32 v32, s54, v45
	v_mul_f32_e32 v45, s54, v62
	v_mul_f32_e32 v62, s54, v8
	v_fmac_f32_e32 v30, v25, v63
	v_mul_f32_e32 v39, s54, v61
	v_fmac_f32_e32 v30, v26, v62
	v_mul_f32_e32 v29, s54, v47
	v_mul_f32_e32 v47, s54, v60
	;; [unrolled: 1-line block ×8, first 2 shown]
	buffer_load_dword v5, off, s[56:59], 0 offset:80 ; 4-byte Folded Reload
	s_waitcnt vmcnt(1)
	v_mul_f32_e32 v51, s54, v1
	buffer_load_dword v1, off, s[56:59], 0 offset:28 ; 4-byte Folded Reload
	s_waitcnt vmcnt(1)
	v_xor_b32_e32 v2, 2, v5
	s_waitcnt vmcnt(0)
	v_mul_f32_e32 v53, s54, v1
	buffer_load_dword v1, off, s[56:59], 0 offset:12 ; 4-byte Folded Reload
	s_waitcnt vmcnt(0)
	v_mul_f32_e32 v55, s54, v1
	buffer_load_dword v1, off, s[56:59], 0 offset:20 ; 4-byte Folded Reload
	;; [unrolled: 3-line block ×4, first 2 shown]
	s_waitcnt vmcnt(0)
	v_mul_f32_e32 v59, s54, v1
	buffer_load_dword v1, off, s[56:59], 0  ; 4-byte Folded Reload
	s_waitcnt vmcnt(0)
	v_mul_f32_e32 v61, s54, v1
	v_fmac_f32_e32 v30, v27, v61
	v_fmac_f32_e32 v30, v28, v60
	;; [unrolled: 1-line block ×15, first 2 shown]
	buffer_load_dword v6, off, s[56:59], 0 offset:52 ; 4-byte Folded Reload
	buffer_load_dword v7, off, s[56:59], 0 offset:56 ; 4-byte Folded Reload
	;; [unrolled: 1-line block ×4, first 2 shown]
	v_fmac_f32_e32 v30, v10, v40
	v_fmac_f32_e32 v30, v11, v47
	;; [unrolled: 1-line block ×3, first 2 shown]
	v_and_b32_e32 v1, 64, v5
	v_add_u32_e32 v1, 64, v1
	v_cmp_lt_i32_e64 s[4:5], v2, v1
	v_cndmask_b32_e64 v2, v5, v2, s[4:5]
	v_lshlrev_b32_e32 v2, 2, v2
	s_waitcnt vmcnt(3)
	v_fmac_f32_e32 v30, v6, v45
	s_waitcnt vmcnt(2)
	v_fmac_f32_e32 v30, v7, v39
	;; [unrolled: 2-line block ×4, first 2 shown]
	buffer_load_dword v6, off, s[56:59], 0 offset:36 ; 4-byte Folded Reload
	buffer_load_dword v7, off, s[56:59], 0 offset:40 ; 4-byte Folded Reload
	;; [unrolled: 1-line block ×4, first 2 shown]
	s_waitcnt vmcnt(3)
	v_fmac_f32_e32 v30, v6, v32
	s_waitcnt vmcnt(2)
	v_fmac_f32_e32 v30, v7, v31
	;; [unrolled: 2-line block ×4, first 2 shown]
	ds_bpermute_b32 v0, v2, v30
	v_xor_b32_e32 v2, 1, v5
	v_cmp_lt_i32_e64 s[4:5], v2, v1
	v_cndmask_b32_e64 v1, v5, v2, s[4:5]
	v_lshlrev_b32_e32 v1, 2, v1
	s_waitcnt lgkmcnt(0)
	v_add_f32_e32 v0, v30, v0
	ds_bpermute_b32 v1, v1, v0
	s_and_saveexec_b64 s[40:41], vcc
	s_cbranch_execz .LBB186_11
; %bb.211:                              ;   in Loop: Header=BB186_13 Depth=1
	buffer_load_dword v2, off, s[56:59], 0 offset:88 ; 4-byte Folded Reload
	buffer_load_dword v3, off, s[56:59], 0 offset:84 ; 4-byte Folded Reload
	s_waitcnt lgkmcnt(0)
	v_add_f32_e32 v0, v0, v1
	s_waitcnt vmcnt(1)
	v_add_u32_e32 v2, v2, v52
	v_cvt_f32_i32_e32 v2, v2
	s_waitcnt vmcnt(0)
	v_add_u32_e32 v3, v3, v52
	v_cmp_gt_i32_e64 s[4:5], s33, v3
	v_mul_f32_e32 v1, s48, v2
	v_cndmask_b32_e64 v1, 0, v1, s[2:3]
	v_fmac_f32_e32 v1, s37, v0
	v_cndmask_b32_e64 v0, 0, v1, s[4:5]
	ds_write_b32 v54, v0
	v_max_f32_e32 v0, v4, v4
	v_max_f32_e32 v0, v0, v1
	v_cndmask_b32_e64 v4, v4, v0, s[4:5]
	s_branch .LBB186_11
.LBB186_212:
	s_or_b64 exec, exec, s[38:39]
	buffer_load_dword v13, off, s[56:59], 0 offset:92 ; 4-byte Folded Reload
	buffer_load_dword v14, off, s[56:59], 0 offset:108 ; 4-byte Folded Reload
	;; [unrolled: 1-line block ×4, first 2 shown]
	v_mbcnt_lo_u32_b32 v6, -1, 0
.LBB186_213:
	s_or_b64 exec, exec, s[18:19]
	v_mbcnt_hi_u32_b32 v0, -1, v6
	v_and_b32_e32 v8, 64, v0
	s_waitcnt lgkmcnt(0)
	v_add_u32_e32 v1, 64, v8
	s_waitcnt vmcnt(0)
	v_xor_b32_e32 v2, 32, v0
	v_cmp_lt_i32_e32 vcc, v2, v1
	v_cndmask_b32_e32 v2, v0, v2, vcc
	v_lshlrev_b32_e32 v2, 2, v2
	ds_bpermute_b32 v3, v2, v4
	v_xor_b32_e32 v5, 16, v0
	v_max_f32_e32 v4, v4, v4
	v_cmp_lt_i32_e32 vcc, v5, v1
	v_xor_b32_e32 v6, 8, v0
	s_waitcnt lgkmcnt(0)
	v_max_f32_e32 v3, v3, v3
	v_max_f32_e32 v4, v4, v3
	v_cndmask_b32_e32 v3, v0, v5, vcc
	v_lshlrev_b32_e32 v3, 2, v3
	ds_bpermute_b32 v5, v3, v4
	v_cmp_lt_i32_e32 vcc, v6, v1
	v_xor_b32_e32 v7, 4, v0
	v_and_b32_e32 v15, 63, v13
	s_waitcnt lgkmcnt(0)
	v_max_f32_e32 v5, v5, v5
	v_max_f32_e32 v4, v4, v5
	v_cndmask_b32_e32 v5, v0, v6, vcc
	v_lshlrev_b32_e32 v6, 2, v5
	ds_bpermute_b32 v5, v6, v4
	v_cmp_lt_i32_e32 vcc, v7, v1
	s_waitcnt lgkmcnt(0)
	v_max_f32_e32 v5, v5, v5
	v_max_f32_e32 v5, v4, v5
	v_cndmask_b32_e32 v4, v0, v7, vcc
	v_lshlrev_b32_e32 v7, 2, v4
	ds_bpermute_b32 v9, v7, v5
	v_cmp_eq_u32_e32 vcc, 0, v15
	v_lshlrev_b32_e32 v4, 2, v43
	s_and_saveexec_b64 s[2:3], vcc
	s_cbranch_execz .LBB186_215
; %bb.214:
	s_waitcnt lgkmcnt(0)
	v_max_f32_e32 v9, v9, v9
	v_max_f32_e32 v5, v5, v5
	;; [unrolled: 1-line block ×3, first 2 shown]
	ds_write_b32 v4, v5 offset:512
.LBB186_215:
	s_or_b64 exec, exec, s[2:3]
	v_cmp_gt_u32_e64 s[2:3], 2, v15
	s_waitcnt lgkmcnt(0)
	v_mov_b32_e32 v9, 0xff7fffff
	v_lshlrev_b32_e32 v5, 2, v15
	s_barrier
	s_and_saveexec_b64 s[4:5], s[2:3]
; %bb.216:
	ds_read_b32 v9, v5 offset:512
; %bb.217:
	s_or_b64 exec, exec, s[4:5]
	v_xor_b32_e32 v10, 1, v0
	v_cmp_lt_i32_e64 s[4:5], v10, v1
	v_cndmask_b32_e64 v10, v0, v10, s[4:5]
	v_lshlrev_b32_e32 v16, 2, v10
	s_waitcnt lgkmcnt(0)
	ds_bpermute_b32 v10, v16, v9
	v_max_f32_e32 v9, v9, v9
	v_lshlrev_b32_e32 v8, 2, v8
	s_lshl_b32 s4, s20, 4
	s_min_i32 s37, s4, s33
	s_waitcnt lgkmcnt(0)
	v_max_f32_e32 v10, v10, v10
	v_max_f32_e32 v9, v9, v10
	ds_bpermute_b32 v9, v8, v9
	v_cmp_gt_i32_e64 s[4:5], s37, v13
	v_mov_b32_e32 v8, 0
	s_and_saveexec_b64 s[12:13], s[4:5]
	s_cbranch_execz .LBB186_221
; %bb.218:
	v_mov_b32_e32 v8, 0x210
	v_lshl_add_u32 v10, v13, 2, v8
	v_mov_b32_e32 v8, 0
	s_mov_b64 s[18:19], 0
	v_mov_b32_e32 v11, v13
.LBB186_219:                            ; =>This Inner Loop Header: Depth=1
	ds_read_b32 v12, v10
	v_add_u32_e32 v11, 0x80, v11
	v_cmp_le_i32_e64 s[6:7], s37, v11
	s_or_b64 s[18:19], s[6:7], s[18:19]
	s_waitcnt lgkmcnt(0)
	v_sub_f32_e32 v12, v12, v9
	v_mul_f32_e32 v12, 0x3fb8aa3b, v12
	v_exp_f32_e32 v12, v12
	ds_write_b32 v10, v12
	v_add_f32_e32 v8, v8, v12
	v_add_u32_e32 v10, 0x200, v10
	s_andn2_b64 exec, exec, s[18:19]
	s_cbranch_execnz .LBB186_219
; %bb.220:
	s_or_b64 exec, exec, s[18:19]
.LBB186_221:
	s_or_b64 exec, exec, s[12:13]
	ds_bpermute_b32 v2, v2, v8
	s_waitcnt lgkmcnt(0)
	v_add_f32_e32 v2, v8, v2
	ds_bpermute_b32 v3, v3, v2
	s_waitcnt lgkmcnt(0)
	v_add_f32_e32 v2, v2, v3
	ds_bpermute_b32 v3, v6, v2
	v_xor_b32_e32 v6, 2, v0
	v_cmp_lt_i32_e64 s[6:7], v6, v1
	v_cndmask_b32_e64 v1, v0, v6, s[6:7]
	v_lshlrev_b32_e32 v9, 2, v1
	s_waitcnt lgkmcnt(0)
	v_add_f32_e32 v2, v2, v3
	ds_bpermute_b32 v3, v7, v2
	s_waitcnt lgkmcnt(0)
	v_add_f32_e32 v2, v2, v3
	ds_bpermute_b32 v1, v9, v2
	;; [unrolled: 3-line block ×3, first 2 shown]
	s_waitcnt lgkmcnt(0)
	v_add_f32_e32 v1, v1, v2
	s_and_saveexec_b64 s[6:7], vcc
; %bb.222:
	ds_write_b32 v4, v1 offset:520
; %bb.223:
	s_or_b64 exec, exec, s[6:7]
	s_waitcnt lgkmcnt(0)
	s_barrier
	s_and_saveexec_b64 s[6:7], s[2:3]
; %bb.224:
	ds_read_b32 v1, v5 offset:520
; %bb.225:
	s_or_b64 exec, exec, s[6:7]
	s_waitcnt lgkmcnt(0)
	ds_bpermute_b32 v2, v16, v1
	v_lshlrev_b32_e32 v0, 2, v0
	v_and_b32_e32 v0, 0x100, v0
	s_waitcnt lgkmcnt(0)
	v_add_f32_e32 v1, v1, v2
	ds_bpermute_b32 v0, v0, v1
	s_and_saveexec_b64 s[2:3], s[4:5]
	s_cbranch_execz .LBB186_228
; %bb.226:
	s_waitcnt lgkmcnt(0)
	v_add_f32_e32 v1, 0x358637bd, v0
	v_div_scale_f32 v0, s[4:5], v1, v1, 1.0
	v_div_scale_f32 v2, vcc, 1.0, v1, 1.0
	s_mov_b64 s[4:5], 0
	v_rcp_f32_e32 v3, v0
	v_fma_f32 v4, -v0, v3, 1.0
	v_fmac_f32_e32 v3, v4, v3
	v_mul_f32_e32 v4, v2, v3
	v_fma_f32 v5, -v0, v4, v2
	v_fmac_f32_e32 v4, v5, v3
	v_fma_f32 v0, -v0, v4, v2
	v_div_fmas_f32 v2, v0, v3, v4
	v_mov_b32_e32 v0, 0x210
	v_lshl_add_u32 v0, v13, 2, v0
	v_div_fixup_f32 v1, v2, v1, 1.0
.LBB186_227:                            ; =>This Inner Loop Header: Depth=1
	ds_read_b32 v3, v0
	v_add_u32_e32 v13, 0x80, v13
	v_cmp_le_i32_e32 vcc, s37, v13
	s_or_b64 s[4:5], vcc, s[4:5]
	s_waitcnt lgkmcnt(0)
	v_mul_f32_e32 v3, v1, v3
	ds_write_b32 v0, v3
	v_add_u32_e32 v0, 0x200, v0
	s_andn2_b64 exec, exec, s[4:5]
	s_cbranch_execnz .LBB186_227
.LBB186_228:
	s_or_b64 exec, exec, s[2:3]
	v_mov_b32_e32 v35, 0
	v_mov_b32_e32 v34, 0
	;; [unrolled: 1-line block ×8, first 2 shown]
	s_waitcnt lgkmcnt(0)
	s_barrier
	s_and_saveexec_b64 s[2:3], s[0:1]
	s_cbranch_execz .LBB186_442
; %bb.229:
	s_sub_i32 s21, s16, s21
	s_ashr_i32 s0, s47, 31
	s_add_u32 s4, s34, s47
	s_addc_u32 s5, s35, s0
	s_abs_i32 s22, s22
	v_cvt_f32_u32_e32 v0, s22
	s_sub_i32 s0, 0, s22
	v_and_b32_e32 v1, 12, v14
	buffer_store_dword v9, off, s[56:59], 0 offset:32 ; 4-byte Folded Spill
	buffer_store_dword v16, off, s[56:59], 0 offset:28 ; 4-byte Folded Spill
	;; [unrolled: 1-line block ×3, first 2 shown]
	v_rcp_iflag_f32_e32 v0, v0
	buffer_store_dword v1, off, s[56:59], 0 offset:8 ; 4-byte Folded Spill
	v_and_b32_e32 v1, 0xfc, v14
	s_add_i32 s35, s20, -1
	v_mul_f32_e32 v0, 0x4f7ffffe, v0
	v_cvt_u32_f32_e32 v0, v0
	v_mov_b32_e32 v4, s5
	v_add_co_u32_e32 v6, vcc, s4, v1
	v_mul_lo_u32 v3, s0, v0
	s_lshl_b64 s[0:1], s[30:31], 2
	s_add_u32 s0, s28, s0
	v_and_b32_e32 v2, 60, v17
	v_mul_hi_u32 v3, v0, v3
	v_addc_co_u32_e32 v7, vcc, 0, v4, vcc
	s_addc_u32 s1, s29, s1
	buffer_store_dword v6, off, s[56:59], 0 offset:12 ; 4-byte Folded Spill
	s_nop 0
	buffer_store_dword v7, off, s[56:59], 0 offset:16 ; 4-byte Folded Spill
	v_add_u32_e32 v46, v0, v3
	v_mov_b32_e32 v0, s1
	v_add_co_u32_e32 v9, vcc, s0, v2
	v_addc_co_u32_e32 v10, vcc, 0, v0, vcc
	buffer_load_dword v0, off, s[56:59], 0 offset:100 ; 4-byte Folded Reload
	v_mov_b32_e32 v5, 0
	s_mov_b32 s34, s17
	s_mov_b64 s[4:5], 0
	s_movk_i32 s28, 0x80
	s_movk_i32 s29, 0x7f
	s_brev_b32 s30, 1
	s_mov_b32 s31, 0xffffff
	v_bfrev_b32_e32 v38, 60
	v_bfrev_b32_e32 v6, 1
	v_mov_b32_e32 v12, 0x7f800001
	v_mov_b32_e32 v47, 7
	;; [unrolled: 1-line block ×10, first 2 shown]
	buffer_store_dword v46, off, s[56:59], 0 offset:20 ; 4-byte Folded Spill
	s_waitcnt vmcnt(1)
	v_lshlrev_b32_e32 v0, 4, v0
	v_lshl_or_b32 v0, v43, 6, v0
	v_add_u32_e32 v37, 0x210, v0
	s_branch .LBB186_232
.LBB186_230:                            ;   in Loop: Header=BB186_232 Depth=1
	s_or_b64 exec, exec, s[0:1]
	v_mul_f32_e32 v7, v1, v7
	v_fmac_f32_e32 v7, v2, v39
	v_fmac_f32_e32 v7, v3, v26
	;; [unrolled: 1-line block ×3, first 2 shown]
	v_add_f32_e32 v29, v29, v7
	v_mul_f32_e32 v7, v1, v45
	v_fmac_f32_e32 v7, v2, v0
	v_fmac_f32_e32 v7, v3, v24
	;; [unrolled: 1-line block ×3, first 2 shown]
	v_add_f32_e32 v30, v30, v7
	buffer_load_dword v7, off, s[56:59], 0 offset:4 ; 4-byte Folded Reload
	v_mul_f32_e32 v0, v1, v62
	v_fmac_f32_e32 v0, v2, v40
	v_fmac_f32_e32 v0, v3, v61
	v_fmac_f32_e32 v0, v4, v42
	v_add_f32_e32 v31, v31, v0
	v_mul_f32_e32 v0, v1, v60
	v_fmac_f32_e32 v0, v2, v41
	v_fmac_f32_e32 v0, v3, v59
	v_fmac_f32_e32 v0, v4, v58
	v_add_f32_e32 v27, v27, v0
	;; [unrolled: 5-line block ×3, first 2 shown]
	v_mul_f32_e32 v0, v1, v49
	v_fmac_f32_e32 v0, v2, v48
	v_mul_f32_e32 v16, v1, v25
	v_fmac_f32_e32 v16, v2, v8
	v_fmac_f32_e32 v16, v3, v23
	;; [unrolled: 1-line block ×3, first 2 shown]
	v_add_f32_e32 v28, v28, v16
	s_waitcnt vmcnt(0)
	v_fmac_f32_e32 v0, v3, v7
	buffer_load_dword v7, off, s[56:59], 0  ; 4-byte Folded Reload
	s_waitcnt vmcnt(0)
	v_fmac_f32_e32 v0, v4, v7
	v_add_f32_e32 v35, v35, v0
	v_mul_f32_e32 v0, v1, v15
	v_fmac_f32_e32 v0, v2, v11
	v_fmac_f32_e32 v0, v3, v14
	v_fmac_f32_e32 v0, v4, v13
	v_add_f32_e32 v36, v36, v0
.LBB186_231:                            ;   in Loop: Header=BB186_232 Depth=1
	s_or_b64 exec, exec, s[6:7]
	v_add_co_u32_e32 v9, vcc, 8, v9
	v_add_u32_e32 v43, 2, v43
	v_addc_co_u32_e32 v10, vcc, 0, v10, vcc
	v_cmp_le_i32_e32 vcc, s20, v43
	v_add_u32_e32 v44, 32, v44
	s_or_b64 s[4:5], vcc, s[4:5]
	v_add_u32_e32 v37, 0x80, v37
	s_andn2_b64 exec, exec, s[4:5]
	s_cbranch_execz .LBB186_441
.LBB186_232:                            ; =>This Inner Loop Header: Depth=1
	v_mul_hi_u32 v0, v44, s46
	v_mul_lo_u32 v1, v0, s25
	v_add_u32_e32 v2, 1, v0
	v_sub_u32_e32 v1, v44, v1
	v_cmp_le_u32_e32 vcc, s25, v1
	v_cndmask_b32_e32 v0, v0, v2, vcc
	v_subrev_u32_e32 v2, s25, v1
	v_cndmask_b32_e32 v1, v1, v2, vcc
	v_add_u32_e32 v2, 1, v0
	v_cmp_le_u32_e32 vcc, s25, v1
	v_cndmask_b32_e32 v0, v0, v2, vcc
	v_xor_b32_e32 v0, s23, v0
	v_subrev_u32_e32 v0, s23, v0
	v_add_u32_e32 v1, s36, v0
	v_sub_u32_e32 v2, 0, v1
	v_max_i32_e32 v2, v1, v2
	v_mul_hi_u32 v3, v2, v46
	v_ashrrev_i32_e32 v1, 31, v1
	v_cmp_lt_i32_e64 s[0:1], s21, v0
	v_mul_lo_u32 v3, v3, s22
	v_sub_u32_e32 v2, v2, v3
	v_subrev_u32_e32 v3, s22, v2
	v_cmp_le_u32_e32 vcc, s22, v2
	v_cndmask_b32_e32 v2, v2, v3, vcc
	v_subrev_u32_e32 v3, s22, v2
	v_cmp_le_u32_e32 vcc, s22, v2
	v_cndmask_b32_e32 v2, v2, v3, vcc
	v_xor_b32_e32 v2, v2, v1
	v_sub_u32_e32 v1, v2, v1
	v_cmp_eq_u32_e32 vcc, 0, v1
	s_or_b64 s[0:1], vcc, s[0:1]
	s_and_saveexec_b64 s[6:7], s[0:1]
	s_cbranch_execz .LBB186_231
; %bb.233:                              ;   in Loop: Header=BB186_232 Depth=1
	global_load_dword v0, v[9:10], off
	buffer_load_dword v1, off, s[56:59], 0 offset:12 ; 4-byte Folded Reload
	buffer_load_dword v2, off, s[56:59], 0 offset:16 ; 4-byte Folded Reload
	s_load_dword s37, s[14:15], 0x0
	v_mov_b32_e32 v18, 0
	v_mov_b32_e32 v16, 0
	;; [unrolled: 1-line block ×4, first 2 shown]
	s_waitcnt vmcnt(0)
	v_mad_i64_i32 v[13:14], s[0:1], v0, s34, v[1:2]
	ds_read_b128 v[1:4], v37
	global_load_dword v15, v[13:14], off
	s_waitcnt vmcnt(0)
	v_cmp_ne_u16_sdwa s[12:13], v15, v5 src0_sel:BYTE_0 src1_sel:DWORD
	s_and_saveexec_b64 s[0:1], s[12:13]
	s_cbranch_execz .LBB186_239
; %bb.234:                              ;   in Loop: Header=BB186_232 Depth=1
	v_bfrev_b32_e32 v16, 1
	v_mov_b32_e32 v17, 0
	v_cmp_ne_u16_sdwa s[16:17], v15, s28 src0_sel:BYTE_0 src1_sel:DWORD
	s_and_saveexec_b64 s[12:13], s[16:17]
	s_cbranch_execz .LBB186_238
; %bb.235:                              ;   in Loop: Header=BB186_232 Depth=1
	v_and_b32_e32 v0, 0x7f, v15
	v_mov_b32_e32 v16, 0x7f800001
	v_mov_b32_e32 v17, 0
	v_cmp_ne_u32_e32 vcc, s29, v0
	s_and_saveexec_b64 s[16:17], vcc
	s_cbranch_execz .LBB186_237
; %bb.236:                              ;   in Loop: Header=BB186_232 Depth=1
	v_and_b32_e32 v11, 7, v15
	v_ffbh_u32_e32 v7, v11
	v_min_u32_e32 v17, 32, v7
	v_lshrrev_b32_e32 v16, 3, v0
	v_subrev_u32_e32 v7, 28, v17
	v_lshlrev_b64 v[7:8], v7, v[15:16]
	v_sub_u32_e32 v8, 29, v17
	v_and_b32_e32 v7, 7, v7
	v_cmp_gt_u32_e32 vcc, 8, v0
	v_cndmask_b32_e32 v0, v16, v8, vcc
	v_cndmask_b32_e32 v7, v11, v7, vcc
	v_lshlrev_b32_e32 v7, 20, v7
	v_and_b32_sdwa v8, sext(v15), s30 dst_sel:DWORD dst_unused:UNUSED_PAD src0_sel:BYTE_0 src1_sel:DWORD
	v_lshl_add_u32 v0, v0, 23, v38
	v_or3_b32 v16, v8, v0, v7
	v_mov_b32_e32 v17, v5
.LBB186_237:                            ;   in Loop: Header=BB186_232 Depth=1
	s_or_b64 exec, exec, s[16:17]
.LBB186_238:                            ;   in Loop: Header=BB186_232 Depth=1
	s_or_b64 exec, exec, s[12:13]
.LBB186_239:                            ;   in Loop: Header=BB186_232 Depth=1
	s_or_b64 exec, exec, s[0:1]
	v_cmp_ne_u16_sdwa s[12:13], v15, v5 src0_sel:BYTE_1 src1_sel:DWORD
	s_and_saveexec_b64 s[0:1], s[12:13]
	s_cbranch_execz .LBB186_245
; %bb.240:                              ;   in Loop: Header=BB186_232 Depth=1
	v_mov_b32_e32 v19, v6
	v_cmp_ne_u16_sdwa s[16:17], v15, s28 src0_sel:BYTE_1 src1_sel:DWORD
	v_mov_b32_e32 v18, v5
	s_and_saveexec_b64 s[12:13], s[16:17]
	s_cbranch_execz .LBB186_244
; %bb.241:                              ;   in Loop: Header=BB186_232 Depth=1
	v_and_b32_sdwa v0, v15, s29 dst_sel:DWORD dst_unused:UNUSED_PAD src0_sel:BYTE_1 src1_sel:DWORD
	v_mov_b32_e32 v11, v5
	v_mov_b32_e32 v19, v12
	v_cmp_ne_u32_e32 vcc, s29, v0
	v_mov_b32_e32 v18, v11
	s_and_saveexec_b64 s[16:17], vcc
	s_cbranch_execz .LBB186_243
; %bb.242:                              ;   in Loop: Header=BB186_232 Depth=1
	v_and_b32_sdwa v7, v15, v47 dst_sel:DWORD dst_unused:UNUSED_PAD src0_sel:BYTE_1 src1_sel:DWORD
	v_ffbh_u32_e32 v18, v7
	v_min_u32_e32 v20, 32, v18
	v_mov_b32_e32 v8, v5
	v_subrev_u32_e32 v18, 28, v20
	v_lshlrev_b64 v[18:19], v18, v[7:8]
	v_lshrrev_b32_e32 v11, 3, v0
	v_sub_u32_e32 v8, 29, v20
	v_cmp_gt_u32_e32 vcc, 8, v0
	v_and_b32_e32 v18, 7, v18
	v_cndmask_b32_e32 v0, v11, v8, vcc
	v_cndmask_b32_e32 v7, v7, v18, vcc
	v_lshlrev_b32_e32 v8, 16, v15
	v_lshl_add_u32 v0, v0, 23, v38
	v_and_or_b32 v0, v8, s30, v0
	v_lshlrev_b32_e32 v7, 20, v7
	v_or_b32_e32 v19, v0, v7
	v_mov_b32_e32 v18, v5
.LBB186_243:                            ;   in Loop: Header=BB186_232 Depth=1
	s_or_b64 exec, exec, s[16:17]
.LBB186_244:                            ;   in Loop: Header=BB186_232 Depth=1
	s_or_b64 exec, exec, s[12:13]
.LBB186_245:                            ;   in Loop: Header=BB186_232 Depth=1
	s_or_b64 exec, exec, s[0:1]
	v_lshrrev_b32_e32 v11, 16, v15
	v_mov_b32_e32 v22, 0
	v_mov_b32_e32 v20, 0
	;; [unrolled: 1-line block ×4, first 2 shown]
	v_cmp_ne_u16_sdwa s[12:13], v11, v5 src0_sel:BYTE_0 src1_sel:DWORD
	s_and_saveexec_b64 s[0:1], s[12:13]
	s_cbranch_execz .LBB186_251
; %bb.246:                              ;   in Loop: Header=BB186_232 Depth=1
	v_bfrev_b32_e32 v20, 1
	v_mov_b32_e32 v21, 0
	v_cmp_ne_u16_sdwa s[16:17], v11, s28 src0_sel:BYTE_0 src1_sel:DWORD
	s_and_saveexec_b64 s[12:13], s[16:17]
	s_cbranch_execz .LBB186_250
; %bb.247:                              ;   in Loop: Header=BB186_232 Depth=1
	v_bfe_u32 v0, v15, 16, 7
	v_mov_b32_e32 v20, 0x7f800001
	v_mov_b32_e32 v21, 0
	v_cmp_ne_u32_e32 vcc, s29, v0
	s_and_saveexec_b64 s[16:17], vcc
	s_cbranch_execz .LBB186_249
; %bb.248:                              ;   in Loop: Header=BB186_232 Depth=1
	v_and_b32_e32 v20, 7, v11
	v_ffbh_u32_e32 v7, v20
	v_min_u32_e32 v24, 32, v7
	v_subrev_u32_e32 v7, 28, v24
	v_lshlrev_b64 v[7:8], v7, v[11:12]
	v_lshrrev_b32_e32 v21, 3, v0
	v_sub_u32_e32 v8, 29, v24
	v_and_b32_e32 v7, 7, v7
	v_cmp_gt_u32_e32 vcc, 8, v0
	v_cndmask_b32_e32 v0, v21, v8, vcc
	v_cndmask_b32_e32 v7, v20, v7, vcc
	v_lshlrev_b32_e32 v7, 20, v7
	v_and_b32_sdwa v8, sext(v11), s30 dst_sel:DWORD dst_unused:UNUSED_PAD src0_sel:BYTE_0 src1_sel:DWORD
	v_lshl_add_u32 v0, v0, 23, v38
	v_or3_b32 v20, v8, v0, v7
	v_mov_b32_e32 v21, v5
.LBB186_249:                            ;   in Loop: Header=BB186_232 Depth=1
	s_or_b64 exec, exec, s[16:17]
.LBB186_250:                            ;   in Loop: Header=BB186_232 Depth=1
	s_or_b64 exec, exec, s[12:13]
.LBB186_251:                            ;   in Loop: Header=BB186_232 Depth=1
	s_or_b64 exec, exec, s[0:1]
	v_cmp_lt_u32_e32 vcc, s31, v15
	s_and_saveexec_b64 s[0:1], vcc
	s_cbranch_execz .LBB186_257
; %bb.252:                              ;   in Loop: Header=BB186_232 Depth=1
	v_mov_b32_e32 v23, v6
	v_cmp_ne_u32_sdwa s[16:17], v15, s28 src0_sel:BYTE_3 src1_sel:DWORD
	v_mov_b32_e32 v22, v5
	s_and_saveexec_b64 s[12:13], s[16:17]
	s_cbranch_execz .LBB186_256
; %bb.253:                              ;   in Loop: Header=BB186_232 Depth=1
	v_bfe_u32 v0, v15, 24, 7
	v_mov_b32_e32 v11, v5
	v_mov_b32_e32 v23, v12
	v_cmp_ne_u32_e32 vcc, s29, v0
	v_mov_b32_e32 v22, v11
	s_and_saveexec_b64 s[16:17], vcc
	s_cbranch_execz .LBB186_255
; %bb.254:                              ;   in Loop: Header=BB186_232 Depth=1
	v_and_b32_sdwa v7, v15, v47 dst_sel:DWORD dst_unused:UNUSED_PAD src0_sel:BYTE_3 src1_sel:DWORD
	v_ffbh_u32_e32 v22, v7
	v_min_u32_e32 v24, 32, v22
	v_mov_b32_e32 v8, v5
	v_subrev_u32_e32 v22, 28, v24
	v_lshlrev_b64 v[22:23], v22, v[7:8]
	v_lshrrev_b32_e32 v11, 3, v0
	v_sub_u32_e32 v8, 29, v24
	v_cmp_gt_u32_e32 vcc, 8, v0
	v_and_b32_e32 v22, 7, v22
	v_cndmask_b32_e32 v0, v11, v8, vcc
	v_mov_b32_e32 v8, 24
	v_cndmask_b32_e32 v7, v7, v22, vcc
	v_lshlrev_b32_sdwa v8, v8, v15 dst_sel:DWORD dst_unused:UNUSED_PAD src0_sel:DWORD src1_sel:BYTE_3
	v_lshl_add_u32 v0, v0, 23, v38
	v_and_or_b32 v0, v8, s30, v0
	v_lshlrev_b32_e32 v7, 20, v7
	v_or_b32_e32 v23, v0, v7
	v_mov_b32_e32 v22, v5
.LBB186_255:                            ;   in Loop: Header=BB186_232 Depth=1
	s_or_b64 exec, exec, s[16:17]
.LBB186_256:                            ;   in Loop: Header=BB186_232 Depth=1
	s_or_b64 exec, exec, s[12:13]
.LBB186_257:                            ;   in Loop: Header=BB186_232 Depth=1
	s_or_b64 exec, exec, s[0:1]
	buffer_load_dword v0, off, s[56:59], 0 offset:8 ; 4-byte Folded Reload
	v_or_b32_e32 v7, v18, v16
	s_waitcnt lgkmcnt(0)
	v_mul_f32_e32 v49, s37, v7
	v_or_b32_e32 v7, v22, v20
	v_cmp_eq_u32_e32 vcc, s35, v43
	v_mul_f32_e32 v7, s37, v7
	buffer_store_dword v7, off, s[56:59], 0 offset:4 ; 4-byte Folded Spill
	s_waitcnt vmcnt(1)
	v_add_u32_e32 v50, v0, v44
	v_or_b32_e32 v0, v19, v17
	v_mul_f32_e32 v48, s37, v0
	v_or_b32_e32 v0, v23, v21
	v_mul_f32_e32 v0, s37, v0
	v_add_u32_e32 v53, 1, v50
	v_add_u32_e32 v52, 2, v50
	;; [unrolled: 1-line block ×3, first 2 shown]
	buffer_store_dword v0, off, s[56:59], 0 ; 4-byte Folded Spill
	s_and_saveexec_b64 s[12:13], vcc
	s_cbranch_execz .LBB186_259
; %bb.258:                              ;   in Loop: Header=BB186_232 Depth=1
	buffer_load_dword v0, off, s[56:59], 0 offset:4 ; 4-byte Folded Reload
	v_cmp_gt_i32_e64 s[0:1], s33, v50
	v_cndmask_b32_e64 v49, 0, v49, s[0:1]
	v_cmp_gt_i32_e64 s[0:1], s33, v53
	v_cndmask_b32_e64 v48, 0, v48, s[0:1]
	v_cmp_gt_i32_e64 s[0:1], s33, v52
	s_waitcnt vmcnt(0)
	v_cndmask_b32_e64 v0, 0, v0, s[0:1]
	buffer_store_dword v0, off, s[56:59], 0 offset:4 ; 4-byte Folded Spill
	buffer_load_dword v0, off, s[56:59], 0  ; 4-byte Folded Reload
	v_cmp_gt_i32_e64 s[0:1], s33, v51
	s_waitcnt vmcnt(0)
	v_cndmask_b32_e64 v0, 0, v0, s[0:1]
	buffer_store_dword v0, off, s[56:59], 0 ; 4-byte Folded Spill
.LBB186_259:                            ;   in Loop: Header=BB186_232 Depth=1
	s_or_b64 exec, exec, s[12:13]
	global_load_dword v15, v[13:14], off offset:256
	v_mov_b32_e32 v18, 0
	v_mov_b32_e32 v16, 0
	;; [unrolled: 1-line block ×4, first 2 shown]
	s_waitcnt vmcnt(0)
	v_cmp_ne_u16_sdwa s[0:1], v15, v5 src0_sel:BYTE_0 src1_sel:DWORD
	s_and_saveexec_b64 s[12:13], s[0:1]
	s_cbranch_execz .LBB186_265
; %bb.260:                              ;   in Loop: Header=BB186_232 Depth=1
	v_bfrev_b32_e32 v16, 1
	v_mov_b32_e32 v17, 0
	v_cmp_ne_u16_sdwa s[0:1], v15, s28 src0_sel:BYTE_0 src1_sel:DWORD
	s_and_saveexec_b64 s[16:17], s[0:1]
	s_cbranch_execz .LBB186_264
; %bb.261:                              ;   in Loop: Header=BB186_232 Depth=1
	v_and_b32_e32 v0, 0x7f, v15
	v_mov_b32_e32 v16, 0x7f800001
	v_mov_b32_e32 v17, 0
	v_cmp_ne_u32_e64 s[0:1], s29, v0
	s_and_saveexec_b64 s[18:19], s[0:1]
	s_cbranch_execz .LBB186_263
; %bb.262:                              ;   in Loop: Header=BB186_232 Depth=1
	v_and_b32_e32 v11, 7, v15
	v_ffbh_u32_e32 v7, v11
	v_min_u32_e32 v17, 32, v7
	v_lshrrev_b32_e32 v16, 3, v0
	v_subrev_u32_e32 v7, 28, v17
	v_lshlrev_b64 v[7:8], v7, v[15:16]
	v_sub_u32_e32 v8, 29, v17
	v_and_b32_e32 v7, 7, v7
	v_cmp_gt_u32_e64 s[0:1], 8, v0
	v_cndmask_b32_e64 v0, v16, v8, s[0:1]
	v_cndmask_b32_e64 v7, v11, v7, s[0:1]
	v_lshlrev_b32_e32 v7, 20, v7
	v_and_b32_sdwa v8, sext(v15), s30 dst_sel:DWORD dst_unused:UNUSED_PAD src0_sel:BYTE_0 src1_sel:DWORD
	v_lshl_add_u32 v0, v0, 23, v38
	v_or3_b32 v16, v8, v0, v7
	v_mov_b32_e32 v17, v5
.LBB186_263:                            ;   in Loop: Header=BB186_232 Depth=1
	s_or_b64 exec, exec, s[18:19]
.LBB186_264:                            ;   in Loop: Header=BB186_232 Depth=1
	s_or_b64 exec, exec, s[16:17]
.LBB186_265:                            ;   in Loop: Header=BB186_232 Depth=1
	s_or_b64 exec, exec, s[12:13]
	v_cmp_ne_u16_sdwa s[0:1], v15, v5 src0_sel:BYTE_1 src1_sel:DWORD
	s_and_saveexec_b64 s[12:13], s[0:1]
	s_cbranch_execz .LBB186_271
; %bb.266:                              ;   in Loop: Header=BB186_232 Depth=1
	v_mov_b32_e32 v19, v6
	v_cmp_ne_u16_sdwa s[0:1], v15, s28 src0_sel:BYTE_1 src1_sel:DWORD
	v_mov_b32_e32 v18, v5
	s_and_saveexec_b64 s[16:17], s[0:1]
	s_cbranch_execz .LBB186_270
; %bb.267:                              ;   in Loop: Header=BB186_232 Depth=1
	v_and_b32_sdwa v0, v15, s29 dst_sel:DWORD dst_unused:UNUSED_PAD src0_sel:BYTE_1 src1_sel:DWORD
	v_mov_b32_e32 v11, v5
	v_mov_b32_e32 v19, v12
	v_cmp_ne_u32_e64 s[0:1], s29, v0
	v_mov_b32_e32 v18, v11
	s_and_saveexec_b64 s[18:19], s[0:1]
	s_cbranch_execz .LBB186_269
; %bb.268:                              ;   in Loop: Header=BB186_232 Depth=1
	v_and_b32_sdwa v7, v15, v47 dst_sel:DWORD dst_unused:UNUSED_PAD src0_sel:BYTE_1 src1_sel:DWORD
	v_ffbh_u32_e32 v18, v7
	v_min_u32_e32 v20, 32, v18
	v_mov_b32_e32 v8, v5
	v_subrev_u32_e32 v18, 28, v20
	v_lshlrev_b64 v[18:19], v18, v[7:8]
	v_lshrrev_b32_e32 v11, 3, v0
	v_sub_u32_e32 v8, 29, v20
	v_cmp_gt_u32_e64 s[0:1], 8, v0
	v_and_b32_e32 v18, 7, v18
	v_cndmask_b32_e64 v0, v11, v8, s[0:1]
	v_cndmask_b32_e64 v7, v7, v18, s[0:1]
	v_lshlrev_b32_e32 v8, 16, v15
	v_lshl_add_u32 v0, v0, 23, v38
	v_and_or_b32 v0, v8, s30, v0
	v_lshlrev_b32_e32 v7, 20, v7
	v_or_b32_e32 v19, v0, v7
	v_mov_b32_e32 v18, v5
.LBB186_269:                            ;   in Loop: Header=BB186_232 Depth=1
	s_or_b64 exec, exec, s[18:19]
.LBB186_270:                            ;   in Loop: Header=BB186_232 Depth=1
	s_or_b64 exec, exec, s[16:17]
.LBB186_271:                            ;   in Loop: Header=BB186_232 Depth=1
	s_or_b64 exec, exec, s[12:13]
	v_lshrrev_b32_e32 v11, 16, v15
	v_mov_b32_e32 v22, 0
	v_mov_b32_e32 v20, 0
	;; [unrolled: 1-line block ×4, first 2 shown]
	v_cmp_ne_u16_sdwa s[0:1], v11, v5 src0_sel:BYTE_0 src1_sel:DWORD
	s_and_saveexec_b64 s[12:13], s[0:1]
	s_cbranch_execz .LBB186_277
; %bb.272:                              ;   in Loop: Header=BB186_232 Depth=1
	v_bfrev_b32_e32 v20, 1
	v_mov_b32_e32 v21, 0
	v_cmp_ne_u16_sdwa s[0:1], v11, s28 src0_sel:BYTE_0 src1_sel:DWORD
	s_and_saveexec_b64 s[16:17], s[0:1]
	s_cbranch_execz .LBB186_276
; %bb.273:                              ;   in Loop: Header=BB186_232 Depth=1
	v_bfe_u32 v0, v15, 16, 7
	v_mov_b32_e32 v20, 0x7f800001
	v_mov_b32_e32 v21, 0
	v_cmp_ne_u32_e64 s[0:1], s29, v0
	s_and_saveexec_b64 s[18:19], s[0:1]
	s_cbranch_execz .LBB186_275
; %bb.274:                              ;   in Loop: Header=BB186_232 Depth=1
	v_and_b32_e32 v20, 7, v11
	v_ffbh_u32_e32 v7, v20
	v_min_u32_e32 v24, 32, v7
	v_subrev_u32_e32 v7, 28, v24
	v_lshlrev_b64 v[7:8], v7, v[11:12]
	v_lshrrev_b32_e32 v21, 3, v0
	v_sub_u32_e32 v8, 29, v24
	v_and_b32_e32 v7, 7, v7
	v_cmp_gt_u32_e64 s[0:1], 8, v0
	v_cndmask_b32_e64 v0, v21, v8, s[0:1]
	v_cndmask_b32_e64 v7, v20, v7, s[0:1]
	v_lshlrev_b32_e32 v7, 20, v7
	v_and_b32_sdwa v8, sext(v11), s30 dst_sel:DWORD dst_unused:UNUSED_PAD src0_sel:BYTE_0 src1_sel:DWORD
	v_lshl_add_u32 v0, v0, 23, v38
	v_or3_b32 v20, v8, v0, v7
	v_mov_b32_e32 v21, v5
.LBB186_275:                            ;   in Loop: Header=BB186_232 Depth=1
	s_or_b64 exec, exec, s[18:19]
.LBB186_276:                            ;   in Loop: Header=BB186_232 Depth=1
	s_or_b64 exec, exec, s[16:17]
.LBB186_277:                            ;   in Loop: Header=BB186_232 Depth=1
	s_or_b64 exec, exec, s[12:13]
	v_cmp_lt_u32_e64 s[0:1], s31, v15
	s_and_saveexec_b64 s[12:13], s[0:1]
	s_cbranch_execz .LBB186_283
; %bb.278:                              ;   in Loop: Header=BB186_232 Depth=1
	v_mov_b32_e32 v23, v6
	v_cmp_ne_u32_sdwa s[0:1], v15, s28 src0_sel:BYTE_3 src1_sel:DWORD
	v_mov_b32_e32 v22, v5
	s_and_saveexec_b64 s[16:17], s[0:1]
	s_cbranch_execz .LBB186_282
; %bb.279:                              ;   in Loop: Header=BB186_232 Depth=1
	v_bfe_u32 v0, v15, 24, 7
	v_mov_b32_e32 v11, v5
	v_mov_b32_e32 v23, v12
	v_cmp_ne_u32_e64 s[0:1], s29, v0
	v_mov_b32_e32 v22, v11
	s_and_saveexec_b64 s[18:19], s[0:1]
	s_cbranch_execz .LBB186_281
; %bb.280:                              ;   in Loop: Header=BB186_232 Depth=1
	v_and_b32_sdwa v7, v15, v47 dst_sel:DWORD dst_unused:UNUSED_PAD src0_sel:BYTE_3 src1_sel:DWORD
	v_ffbh_u32_e32 v22, v7
	v_min_u32_e32 v24, 32, v22
	v_mov_b32_e32 v8, v5
	v_subrev_u32_e32 v22, 28, v24
	v_lshlrev_b64 v[22:23], v22, v[7:8]
	v_lshrrev_b32_e32 v11, 3, v0
	v_sub_u32_e32 v8, 29, v24
	v_cmp_gt_u32_e64 s[0:1], 8, v0
	v_and_b32_e32 v22, 7, v22
	v_cndmask_b32_e64 v0, v11, v8, s[0:1]
	v_mov_b32_e32 v8, 24
	v_cndmask_b32_e64 v7, v7, v22, s[0:1]
	v_lshlrev_b32_sdwa v8, v8, v15 dst_sel:DWORD dst_unused:UNUSED_PAD src0_sel:DWORD src1_sel:BYTE_3
	v_lshl_add_u32 v0, v0, 23, v38
	v_and_or_b32 v0, v8, s30, v0
	v_lshlrev_b32_e32 v7, 20, v7
	v_or_b32_e32 v23, v0, v7
	v_mov_b32_e32 v22, v5
.LBB186_281:                            ;   in Loop: Header=BB186_232 Depth=1
	s_or_b64 exec, exec, s[18:19]
.LBB186_282:                            ;   in Loop: Header=BB186_232 Depth=1
	s_or_b64 exec, exec, s[16:17]
.LBB186_283:                            ;   in Loop: Header=BB186_232 Depth=1
	s_or_b64 exec, exec, s[12:13]
	s_mov_b32 s38, s37
	v_or_b32_e32 v0, v19, v17
	v_or_b32_e32 v7, v18, v16
	v_mul_f32_e32 v54, s38, v0
	v_mul_f32_e32 v57, s37, v7
	v_or_b32_e32 v0, v23, v21
	v_or_b32_e32 v7, v22, v20
	v_mul_f32_e32 v56, s37, v7
	v_mul_f32_e32 v55, s38, v0
	s_and_saveexec_b64 s[12:13], vcc
; %bb.284:                              ;   in Loop: Header=BB186_232 Depth=1
	v_cmp_gt_i32_e64 s[0:1], s33, v50
	v_cndmask_b32_e64 v57, 0, v57, s[0:1]
	v_cmp_gt_i32_e64 s[0:1], s33, v53
	v_cndmask_b32_e64 v54, 0, v54, s[0:1]
	;; [unrolled: 2-line block ×4, first 2 shown]
; %bb.285:                              ;   in Loop: Header=BB186_232 Depth=1
	s_or_b64 exec, exec, s[12:13]
	global_load_dword v15, v[13:14], off offset:512
	v_mov_b32_e32 v18, 0
	v_mov_b32_e32 v16, 0
	;; [unrolled: 1-line block ×4, first 2 shown]
	s_waitcnt vmcnt(0)
	v_cmp_ne_u16_sdwa s[0:1], v15, v5 src0_sel:BYTE_0 src1_sel:DWORD
	s_and_saveexec_b64 s[12:13], s[0:1]
	s_cbranch_execz .LBB186_291
; %bb.286:                              ;   in Loop: Header=BB186_232 Depth=1
	v_bfrev_b32_e32 v16, 1
	v_mov_b32_e32 v17, 0
	v_cmp_ne_u16_sdwa s[0:1], v15, s28 src0_sel:BYTE_0 src1_sel:DWORD
	s_and_saveexec_b64 s[16:17], s[0:1]
	s_cbranch_execz .LBB186_290
; %bb.287:                              ;   in Loop: Header=BB186_232 Depth=1
	v_and_b32_e32 v0, 0x7f, v15
	v_mov_b32_e32 v16, 0x7f800001
	v_mov_b32_e32 v17, 0
	v_cmp_ne_u32_e64 s[0:1], s29, v0
	s_and_saveexec_b64 s[18:19], s[0:1]
	s_cbranch_execz .LBB186_289
; %bb.288:                              ;   in Loop: Header=BB186_232 Depth=1
	v_and_b32_e32 v11, 7, v15
	v_ffbh_u32_e32 v7, v11
	v_min_u32_e32 v17, 32, v7
	v_lshrrev_b32_e32 v16, 3, v0
	v_subrev_u32_e32 v7, 28, v17
	v_lshlrev_b64 v[7:8], v7, v[15:16]
	v_sub_u32_e32 v8, 29, v17
	v_and_b32_e32 v7, 7, v7
	v_cmp_gt_u32_e64 s[0:1], 8, v0
	v_cndmask_b32_e64 v0, v16, v8, s[0:1]
	v_cndmask_b32_e64 v7, v11, v7, s[0:1]
	v_lshlrev_b32_e32 v7, 20, v7
	v_and_b32_sdwa v8, sext(v15), s30 dst_sel:DWORD dst_unused:UNUSED_PAD src0_sel:BYTE_0 src1_sel:DWORD
	v_lshl_add_u32 v0, v0, 23, v38
	v_or3_b32 v16, v8, v0, v7
	v_mov_b32_e32 v17, v5
.LBB186_289:                            ;   in Loop: Header=BB186_232 Depth=1
	s_or_b64 exec, exec, s[18:19]
.LBB186_290:                            ;   in Loop: Header=BB186_232 Depth=1
	s_or_b64 exec, exec, s[16:17]
.LBB186_291:                            ;   in Loop: Header=BB186_232 Depth=1
	s_or_b64 exec, exec, s[12:13]
	v_cmp_ne_u16_sdwa s[0:1], v15, v5 src0_sel:BYTE_1 src1_sel:DWORD
	s_and_saveexec_b64 s[12:13], s[0:1]
	s_cbranch_execz .LBB186_297
; %bb.292:                              ;   in Loop: Header=BB186_232 Depth=1
	v_mov_b32_e32 v19, v6
	v_cmp_ne_u16_sdwa s[0:1], v15, s28 src0_sel:BYTE_1 src1_sel:DWORD
	v_mov_b32_e32 v18, v5
	s_and_saveexec_b64 s[16:17], s[0:1]
	s_cbranch_execz .LBB186_296
; %bb.293:                              ;   in Loop: Header=BB186_232 Depth=1
	v_and_b32_sdwa v0, v15, s29 dst_sel:DWORD dst_unused:UNUSED_PAD src0_sel:BYTE_1 src1_sel:DWORD
	v_mov_b32_e32 v11, v5
	v_mov_b32_e32 v19, v12
	v_cmp_ne_u32_e64 s[0:1], s29, v0
	v_mov_b32_e32 v18, v11
	s_and_saveexec_b64 s[18:19], s[0:1]
	s_cbranch_execz .LBB186_295
; %bb.294:                              ;   in Loop: Header=BB186_232 Depth=1
	v_and_b32_sdwa v7, v15, v47 dst_sel:DWORD dst_unused:UNUSED_PAD src0_sel:BYTE_1 src1_sel:DWORD
	v_ffbh_u32_e32 v18, v7
	v_min_u32_e32 v20, 32, v18
	v_mov_b32_e32 v8, v5
	v_subrev_u32_e32 v18, 28, v20
	v_lshlrev_b64 v[18:19], v18, v[7:8]
	v_lshrrev_b32_e32 v11, 3, v0
	v_sub_u32_e32 v8, 29, v20
	v_cmp_gt_u32_e64 s[0:1], 8, v0
	v_and_b32_e32 v18, 7, v18
	v_cndmask_b32_e64 v0, v11, v8, s[0:1]
	v_cndmask_b32_e64 v7, v7, v18, s[0:1]
	v_lshlrev_b32_e32 v8, 16, v15
	v_lshl_add_u32 v0, v0, 23, v38
	v_and_or_b32 v0, v8, s30, v0
	v_lshlrev_b32_e32 v7, 20, v7
	v_or_b32_e32 v19, v0, v7
	v_mov_b32_e32 v18, v5
.LBB186_295:                            ;   in Loop: Header=BB186_232 Depth=1
	s_or_b64 exec, exec, s[18:19]
.LBB186_296:                            ;   in Loop: Header=BB186_232 Depth=1
	s_or_b64 exec, exec, s[16:17]
.LBB186_297:                            ;   in Loop: Header=BB186_232 Depth=1
	s_or_b64 exec, exec, s[12:13]
	v_lshrrev_b32_e32 v11, 16, v15
	v_mov_b32_e32 v22, 0
	v_mov_b32_e32 v20, 0
	;; [unrolled: 1-line block ×4, first 2 shown]
	v_cmp_ne_u16_sdwa s[0:1], v11, v5 src0_sel:BYTE_0 src1_sel:DWORD
	s_and_saveexec_b64 s[12:13], s[0:1]
	s_cbranch_execz .LBB186_303
; %bb.298:                              ;   in Loop: Header=BB186_232 Depth=1
	v_bfrev_b32_e32 v20, 1
	v_mov_b32_e32 v21, 0
	v_cmp_ne_u16_sdwa s[0:1], v11, s28 src0_sel:BYTE_0 src1_sel:DWORD
	s_and_saveexec_b64 s[16:17], s[0:1]
	s_cbranch_execz .LBB186_302
; %bb.299:                              ;   in Loop: Header=BB186_232 Depth=1
	v_bfe_u32 v0, v15, 16, 7
	v_mov_b32_e32 v20, 0x7f800001
	v_mov_b32_e32 v21, 0
	v_cmp_ne_u32_e64 s[0:1], s29, v0
	s_and_saveexec_b64 s[18:19], s[0:1]
	s_cbranch_execz .LBB186_301
; %bb.300:                              ;   in Loop: Header=BB186_232 Depth=1
	v_and_b32_e32 v20, 7, v11
	v_ffbh_u32_e32 v7, v20
	v_min_u32_e32 v24, 32, v7
	v_subrev_u32_e32 v7, 28, v24
	v_lshlrev_b64 v[7:8], v7, v[11:12]
	v_lshrrev_b32_e32 v21, 3, v0
	v_sub_u32_e32 v8, 29, v24
	v_and_b32_e32 v7, 7, v7
	v_cmp_gt_u32_e64 s[0:1], 8, v0
	v_cndmask_b32_e64 v0, v21, v8, s[0:1]
	v_cndmask_b32_e64 v7, v20, v7, s[0:1]
	v_lshlrev_b32_e32 v7, 20, v7
	v_and_b32_sdwa v8, sext(v11), s30 dst_sel:DWORD dst_unused:UNUSED_PAD src0_sel:BYTE_0 src1_sel:DWORD
	v_lshl_add_u32 v0, v0, 23, v38
	v_or3_b32 v20, v8, v0, v7
	v_mov_b32_e32 v21, v5
.LBB186_301:                            ;   in Loop: Header=BB186_232 Depth=1
	s_or_b64 exec, exec, s[18:19]
.LBB186_302:                            ;   in Loop: Header=BB186_232 Depth=1
	s_or_b64 exec, exec, s[16:17]
.LBB186_303:                            ;   in Loop: Header=BB186_232 Depth=1
	s_or_b64 exec, exec, s[12:13]
	v_cmp_lt_u32_e64 s[0:1], s31, v15
	s_and_saveexec_b64 s[12:13], s[0:1]
	s_cbranch_execz .LBB186_309
; %bb.304:                              ;   in Loop: Header=BB186_232 Depth=1
	v_mov_b32_e32 v23, v6
	v_cmp_ne_u32_sdwa s[0:1], v15, s28 src0_sel:BYTE_3 src1_sel:DWORD
	v_mov_b32_e32 v22, v5
	s_and_saveexec_b64 s[16:17], s[0:1]
	s_cbranch_execz .LBB186_308
; %bb.305:                              ;   in Loop: Header=BB186_232 Depth=1
	v_bfe_u32 v0, v15, 24, 7
	v_mov_b32_e32 v11, v5
	v_mov_b32_e32 v23, v12
	v_cmp_ne_u32_e64 s[0:1], s29, v0
	v_mov_b32_e32 v22, v11
	s_and_saveexec_b64 s[18:19], s[0:1]
	s_cbranch_execz .LBB186_307
; %bb.306:                              ;   in Loop: Header=BB186_232 Depth=1
	v_and_b32_sdwa v7, v15, v47 dst_sel:DWORD dst_unused:UNUSED_PAD src0_sel:BYTE_3 src1_sel:DWORD
	v_ffbh_u32_e32 v22, v7
	v_min_u32_e32 v24, 32, v22
	v_mov_b32_e32 v8, v5
	v_subrev_u32_e32 v22, 28, v24
	v_lshlrev_b64 v[22:23], v22, v[7:8]
	v_lshrrev_b32_e32 v11, 3, v0
	v_sub_u32_e32 v8, 29, v24
	v_cmp_gt_u32_e64 s[0:1], 8, v0
	v_and_b32_e32 v22, 7, v22
	v_cndmask_b32_e64 v0, v11, v8, s[0:1]
	v_mov_b32_e32 v8, 24
	v_cndmask_b32_e64 v7, v7, v22, s[0:1]
	v_lshlrev_b32_sdwa v8, v8, v15 dst_sel:DWORD dst_unused:UNUSED_PAD src0_sel:DWORD src1_sel:BYTE_3
	v_lshl_add_u32 v0, v0, 23, v38
	v_and_or_b32 v0, v8, s30, v0
	v_lshlrev_b32_e32 v7, 20, v7
	v_or_b32_e32 v23, v0, v7
	v_mov_b32_e32 v22, v5
.LBB186_307:                            ;   in Loop: Header=BB186_232 Depth=1
	s_or_b64 exec, exec, s[18:19]
.LBB186_308:                            ;   in Loop: Header=BB186_232 Depth=1
	s_or_b64 exec, exec, s[16:17]
.LBB186_309:                            ;   in Loop: Header=BB186_232 Depth=1
	s_or_b64 exec, exec, s[12:13]
	v_or_b32_e32 v0, v19, v17
	v_or_b32_e32 v7, v18, v16
	v_mul_f32_e32 v41, s38, v0
	v_mul_f32_e32 v60, s37, v7
	v_or_b32_e32 v0, v23, v21
	v_or_b32_e32 v7, v22, v20
	v_mul_f32_e32 v59, s37, v7
	v_mul_f32_e32 v58, s38, v0
	s_and_saveexec_b64 s[12:13], vcc
; %bb.310:                              ;   in Loop: Header=BB186_232 Depth=1
	v_cmp_gt_i32_e64 s[0:1], s33, v50
	v_cndmask_b32_e64 v60, 0, v60, s[0:1]
	v_cmp_gt_i32_e64 s[0:1], s33, v53
	v_cndmask_b32_e64 v41, 0, v41, s[0:1]
	;; [unrolled: 2-line block ×4, first 2 shown]
; %bb.311:                              ;   in Loop: Header=BB186_232 Depth=1
	s_or_b64 exec, exec, s[12:13]
	global_load_dword v15, v[13:14], off offset:768
	v_mov_b32_e32 v18, 0
	v_mov_b32_e32 v16, 0
	;; [unrolled: 1-line block ×4, first 2 shown]
	s_waitcnt vmcnt(0)
	v_cmp_ne_u16_sdwa s[0:1], v15, v5 src0_sel:BYTE_0 src1_sel:DWORD
	s_and_saveexec_b64 s[12:13], s[0:1]
	s_cbranch_execz .LBB186_317
; %bb.312:                              ;   in Loop: Header=BB186_232 Depth=1
	v_bfrev_b32_e32 v16, 1
	v_mov_b32_e32 v17, 0
	v_cmp_ne_u16_sdwa s[0:1], v15, s28 src0_sel:BYTE_0 src1_sel:DWORD
	s_and_saveexec_b64 s[16:17], s[0:1]
	s_cbranch_execz .LBB186_316
; %bb.313:                              ;   in Loop: Header=BB186_232 Depth=1
	v_and_b32_e32 v0, 0x7f, v15
	v_mov_b32_e32 v16, 0x7f800001
	v_mov_b32_e32 v17, 0
	v_cmp_ne_u32_e64 s[0:1], s29, v0
	s_and_saveexec_b64 s[18:19], s[0:1]
	s_cbranch_execz .LBB186_315
; %bb.314:                              ;   in Loop: Header=BB186_232 Depth=1
	v_and_b32_e32 v11, 7, v15
	v_ffbh_u32_e32 v7, v11
	v_min_u32_e32 v17, 32, v7
	v_lshrrev_b32_e32 v16, 3, v0
	v_subrev_u32_e32 v7, 28, v17
	v_lshlrev_b64 v[7:8], v7, v[15:16]
	v_sub_u32_e32 v8, 29, v17
	v_and_b32_e32 v7, 7, v7
	v_cmp_gt_u32_e64 s[0:1], 8, v0
	v_cndmask_b32_e64 v0, v16, v8, s[0:1]
	v_cndmask_b32_e64 v7, v11, v7, s[0:1]
	v_lshlrev_b32_e32 v7, 20, v7
	v_and_b32_sdwa v8, sext(v15), s30 dst_sel:DWORD dst_unused:UNUSED_PAD src0_sel:BYTE_0 src1_sel:DWORD
	v_lshl_add_u32 v0, v0, 23, v38
	v_or3_b32 v16, v8, v0, v7
	v_mov_b32_e32 v17, v5
.LBB186_315:                            ;   in Loop: Header=BB186_232 Depth=1
	s_or_b64 exec, exec, s[18:19]
.LBB186_316:                            ;   in Loop: Header=BB186_232 Depth=1
	s_or_b64 exec, exec, s[16:17]
.LBB186_317:                            ;   in Loop: Header=BB186_232 Depth=1
	s_or_b64 exec, exec, s[12:13]
	v_cmp_ne_u16_sdwa s[0:1], v15, v5 src0_sel:BYTE_1 src1_sel:DWORD
	s_and_saveexec_b64 s[12:13], s[0:1]
	s_cbranch_execz .LBB186_323
; %bb.318:                              ;   in Loop: Header=BB186_232 Depth=1
	v_mov_b32_e32 v19, v6
	v_cmp_ne_u16_sdwa s[0:1], v15, s28 src0_sel:BYTE_1 src1_sel:DWORD
	v_mov_b32_e32 v18, v5
	s_and_saveexec_b64 s[16:17], s[0:1]
	s_cbranch_execz .LBB186_322
; %bb.319:                              ;   in Loop: Header=BB186_232 Depth=1
	v_and_b32_sdwa v0, v15, s29 dst_sel:DWORD dst_unused:UNUSED_PAD src0_sel:BYTE_1 src1_sel:DWORD
	v_mov_b32_e32 v11, v5
	v_mov_b32_e32 v19, v12
	v_cmp_ne_u32_e64 s[0:1], s29, v0
	v_mov_b32_e32 v18, v11
	s_and_saveexec_b64 s[18:19], s[0:1]
	s_cbranch_execz .LBB186_321
; %bb.320:                              ;   in Loop: Header=BB186_232 Depth=1
	v_and_b32_sdwa v7, v15, v47 dst_sel:DWORD dst_unused:UNUSED_PAD src0_sel:BYTE_1 src1_sel:DWORD
	v_ffbh_u32_e32 v18, v7
	v_min_u32_e32 v20, 32, v18
	v_mov_b32_e32 v8, v5
	v_subrev_u32_e32 v18, 28, v20
	v_lshlrev_b64 v[18:19], v18, v[7:8]
	v_lshrrev_b32_e32 v11, 3, v0
	v_sub_u32_e32 v8, 29, v20
	v_cmp_gt_u32_e64 s[0:1], 8, v0
	v_and_b32_e32 v18, 7, v18
	v_cndmask_b32_e64 v0, v11, v8, s[0:1]
	v_cndmask_b32_e64 v7, v7, v18, s[0:1]
	v_lshlrev_b32_e32 v8, 16, v15
	v_lshl_add_u32 v0, v0, 23, v38
	v_and_or_b32 v0, v8, s30, v0
	v_lshlrev_b32_e32 v7, 20, v7
	v_or_b32_e32 v19, v0, v7
	v_mov_b32_e32 v18, v5
.LBB186_321:                            ;   in Loop: Header=BB186_232 Depth=1
	s_or_b64 exec, exec, s[18:19]
.LBB186_322:                            ;   in Loop: Header=BB186_232 Depth=1
	s_or_b64 exec, exec, s[16:17]
.LBB186_323:                            ;   in Loop: Header=BB186_232 Depth=1
	s_or_b64 exec, exec, s[12:13]
	v_lshrrev_b32_e32 v11, 16, v15
	v_mov_b32_e32 v22, 0
	v_mov_b32_e32 v20, 0
	;; [unrolled: 1-line block ×4, first 2 shown]
	v_cmp_ne_u16_sdwa s[0:1], v11, v5 src0_sel:BYTE_0 src1_sel:DWORD
	s_and_saveexec_b64 s[12:13], s[0:1]
	s_cbranch_execz .LBB186_329
; %bb.324:                              ;   in Loop: Header=BB186_232 Depth=1
	v_bfrev_b32_e32 v20, 1
	v_mov_b32_e32 v21, 0
	v_cmp_ne_u16_sdwa s[0:1], v11, s28 src0_sel:BYTE_0 src1_sel:DWORD
	s_and_saveexec_b64 s[16:17], s[0:1]
	s_cbranch_execz .LBB186_328
; %bb.325:                              ;   in Loop: Header=BB186_232 Depth=1
	v_bfe_u32 v0, v15, 16, 7
	v_mov_b32_e32 v20, 0x7f800001
	v_mov_b32_e32 v21, 0
	v_cmp_ne_u32_e64 s[0:1], s29, v0
	s_and_saveexec_b64 s[18:19], s[0:1]
	s_cbranch_execz .LBB186_327
; %bb.326:                              ;   in Loop: Header=BB186_232 Depth=1
	v_and_b32_e32 v20, 7, v11
	v_lshrrev_b32_e32 v21, 3, v0
	v_cmp_gt_u32_e64 s[0:1], 8, v0
	v_ffbh_u32_e32 v0, v20
	v_min_u32_e32 v0, 32, v0
	v_subrev_u32_e32 v7, 28, v0
	v_lshlrev_b64 v[7:8], v7, v[11:12]
	v_sub_u32_e32 v0, 29, v0
	v_and_b32_e32 v7, 7, v7
	v_cndmask_b32_e64 v0, v21, v0, s[0:1]
	v_cndmask_b32_e64 v7, v20, v7, s[0:1]
	v_lshlrev_b32_e32 v7, 20, v7
	v_and_b32_sdwa v8, sext(v11), s30 dst_sel:DWORD dst_unused:UNUSED_PAD src0_sel:BYTE_0 src1_sel:DWORD
	v_lshl_add_u32 v0, v0, 23, v38
	v_or3_b32 v20, v8, v0, v7
	v_mov_b32_e32 v21, v5
.LBB186_327:                            ;   in Loop: Header=BB186_232 Depth=1
	s_or_b64 exec, exec, s[18:19]
.LBB186_328:                            ;   in Loop: Header=BB186_232 Depth=1
	s_or_b64 exec, exec, s[16:17]
.LBB186_329:                            ;   in Loop: Header=BB186_232 Depth=1
	s_or_b64 exec, exec, s[12:13]
	v_cmp_lt_u32_e64 s[0:1], s31, v15
	s_and_saveexec_b64 s[12:13], s[0:1]
	s_cbranch_execz .LBB186_335
; %bb.330:                              ;   in Loop: Header=BB186_232 Depth=1
	v_mov_b32_e32 v23, v6
	v_cmp_ne_u32_sdwa s[0:1], v15, s28 src0_sel:BYTE_3 src1_sel:DWORD
	v_mov_b32_e32 v22, v5
	s_and_saveexec_b64 s[16:17], s[0:1]
	s_cbranch_execz .LBB186_334
; %bb.331:                              ;   in Loop: Header=BB186_232 Depth=1
	v_bfe_u32 v0, v15, 24, 7
	v_mov_b32_e32 v11, v5
	v_mov_b32_e32 v23, v12
	v_cmp_ne_u32_e64 s[0:1], s29, v0
	v_mov_b32_e32 v22, v11
	s_and_saveexec_b64 s[18:19], s[0:1]
	s_cbranch_execz .LBB186_333
; %bb.332:                              ;   in Loop: Header=BB186_232 Depth=1
	v_and_b32_sdwa v7, v15, v47 dst_sel:DWORD dst_unused:UNUSED_PAD src0_sel:BYTE_3 src1_sel:DWORD
	v_lshrrev_b32_e32 v11, 3, v0
	v_cmp_gt_u32_e64 s[0:1], 8, v0
	v_ffbh_u32_e32 v0, v7
	v_min_u32_e32 v0, 32, v0
	v_mov_b32_e32 v8, v5
	v_subrev_u32_e32 v22, 28, v0
	v_lshlrev_b64 v[22:23], v22, v[7:8]
	v_sub_u32_e32 v0, 29, v0
	v_and_b32_e32 v8, 7, v22
	v_cndmask_b32_e64 v0, v11, v0, s[0:1]
	v_cndmask_b32_e64 v7, v7, v8, s[0:1]
	v_mov_b32_e32 v8, 24
	v_lshlrev_b32_sdwa v8, v8, v15 dst_sel:DWORD dst_unused:UNUSED_PAD src0_sel:DWORD src1_sel:BYTE_3
	v_lshl_add_u32 v0, v0, 23, v38
	v_and_or_b32 v0, v8, s30, v0
	v_lshlrev_b32_e32 v7, 20, v7
	v_or_b32_e32 v23, v0, v7
	v_mov_b32_e32 v22, v5
.LBB186_333:                            ;   in Loop: Header=BB186_232 Depth=1
	s_or_b64 exec, exec, s[18:19]
.LBB186_334:                            ;   in Loop: Header=BB186_232 Depth=1
	s_or_b64 exec, exec, s[16:17]
.LBB186_335:                            ;   in Loop: Header=BB186_232 Depth=1
	s_or_b64 exec, exec, s[12:13]
	v_or_b32_e32 v0, v19, v17
	v_or_b32_e32 v7, v18, v16
	v_mul_f32_e32 v40, s38, v0
	v_mul_f32_e32 v62, s37, v7
	v_or_b32_e32 v0, v23, v21
	v_or_b32_e32 v7, v22, v20
	v_mul_f32_e32 v61, s37, v7
	v_mul_f32_e32 v42, s38, v0
	s_and_saveexec_b64 s[12:13], vcc
; %bb.336:                              ;   in Loop: Header=BB186_232 Depth=1
	v_cmp_gt_i32_e64 s[0:1], s33, v50
	v_cndmask_b32_e64 v62, 0, v62, s[0:1]
	v_cmp_gt_i32_e64 s[0:1], s33, v53
	v_cndmask_b32_e64 v40, 0, v40, s[0:1]
	;; [unrolled: 2-line block ×4, first 2 shown]
; %bb.337:                              ;   in Loop: Header=BB186_232 Depth=1
	s_or_b64 exec, exec, s[12:13]
	global_load_dword v15, v[13:14], off offset:1024
	v_mov_b32_e32 v18, 0
	v_mov_b32_e32 v16, 0
	v_mov_b32_e32 v19, 0
	v_mov_b32_e32 v17, 0
	s_waitcnt vmcnt(0)
	v_cmp_ne_u16_sdwa s[0:1], v15, v5 src0_sel:BYTE_0 src1_sel:DWORD
	s_and_saveexec_b64 s[12:13], s[0:1]
	s_cbranch_execz .LBB186_343
; %bb.338:                              ;   in Loop: Header=BB186_232 Depth=1
	v_bfrev_b32_e32 v16, 1
	v_mov_b32_e32 v17, 0
	v_cmp_ne_u16_sdwa s[0:1], v15, s28 src0_sel:BYTE_0 src1_sel:DWORD
	s_and_saveexec_b64 s[16:17], s[0:1]
	s_cbranch_execz .LBB186_342
; %bb.339:                              ;   in Loop: Header=BB186_232 Depth=1
	v_and_b32_e32 v0, 0x7f, v15
	v_mov_b32_e32 v16, 0x7f800001
	v_mov_b32_e32 v17, 0
	v_cmp_ne_u32_e64 s[0:1], s29, v0
	s_and_saveexec_b64 s[18:19], s[0:1]
	s_cbranch_execz .LBB186_341
; %bb.340:                              ;   in Loop: Header=BB186_232 Depth=1
	v_and_b32_e32 v11, 7, v15
	v_lshrrev_b32_e32 v16, 3, v0
	v_cmp_gt_u32_e64 s[0:1], 8, v0
	v_ffbh_u32_e32 v0, v11
	v_min_u32_e32 v0, 32, v0
	v_subrev_u32_e32 v7, 28, v0
	v_lshlrev_b64 v[7:8], v7, v[15:16]
	v_sub_u32_e32 v0, 29, v0
	v_and_b32_e32 v7, 7, v7
	v_cndmask_b32_e64 v0, v16, v0, s[0:1]
	v_cndmask_b32_e64 v7, v11, v7, s[0:1]
	v_lshlrev_b32_e32 v7, 20, v7
	v_and_b32_sdwa v8, sext(v15), s30 dst_sel:DWORD dst_unused:UNUSED_PAD src0_sel:BYTE_0 src1_sel:DWORD
	v_lshl_add_u32 v0, v0, 23, v38
	v_or3_b32 v16, v8, v0, v7
	v_mov_b32_e32 v17, v5
.LBB186_341:                            ;   in Loop: Header=BB186_232 Depth=1
	s_or_b64 exec, exec, s[18:19]
.LBB186_342:                            ;   in Loop: Header=BB186_232 Depth=1
	s_or_b64 exec, exec, s[16:17]
.LBB186_343:                            ;   in Loop: Header=BB186_232 Depth=1
	s_or_b64 exec, exec, s[12:13]
	v_cmp_ne_u16_sdwa s[0:1], v15, v5 src0_sel:BYTE_1 src1_sel:DWORD
	s_and_saveexec_b64 s[12:13], s[0:1]
	s_cbranch_execz .LBB186_349
; %bb.344:                              ;   in Loop: Header=BB186_232 Depth=1
	v_mov_b32_e32 v19, v6
	v_cmp_ne_u16_sdwa s[0:1], v15, s28 src0_sel:BYTE_1 src1_sel:DWORD
	v_mov_b32_e32 v18, v5
	s_and_saveexec_b64 s[16:17], s[0:1]
	s_cbranch_execz .LBB186_348
; %bb.345:                              ;   in Loop: Header=BB186_232 Depth=1
	v_and_b32_sdwa v0, v15, s29 dst_sel:DWORD dst_unused:UNUSED_PAD src0_sel:BYTE_1 src1_sel:DWORD
	v_mov_b32_e32 v11, v5
	v_mov_b32_e32 v19, v12
	v_cmp_ne_u32_e64 s[0:1], s29, v0
	v_mov_b32_e32 v18, v11
	s_and_saveexec_b64 s[18:19], s[0:1]
	s_cbranch_execz .LBB186_347
; %bb.346:                              ;   in Loop: Header=BB186_232 Depth=1
	v_and_b32_sdwa v7, v15, v47 dst_sel:DWORD dst_unused:UNUSED_PAD src0_sel:BYTE_1 src1_sel:DWORD
	v_lshrrev_b32_e32 v11, 3, v0
	v_cmp_gt_u32_e64 s[0:1], 8, v0
	v_ffbh_u32_e32 v0, v7
	v_min_u32_e32 v0, 32, v0
	v_mov_b32_e32 v8, v5
	v_subrev_u32_e32 v18, 28, v0
	v_lshlrev_b64 v[18:19], v18, v[7:8]
	v_sub_u32_e32 v0, 29, v0
	v_and_b32_e32 v8, 7, v18
	v_cndmask_b32_e64 v0, v11, v0, s[0:1]
	v_cndmask_b32_e64 v7, v7, v8, s[0:1]
	v_lshlrev_b32_e32 v8, 16, v15
	v_lshl_add_u32 v0, v0, 23, v38
	v_and_or_b32 v0, v8, s30, v0
	v_lshlrev_b32_e32 v7, 20, v7
	v_or_b32_e32 v19, v0, v7
	v_mov_b32_e32 v18, v5
.LBB186_347:                            ;   in Loop: Header=BB186_232 Depth=1
	s_or_b64 exec, exec, s[18:19]
.LBB186_348:                            ;   in Loop: Header=BB186_232 Depth=1
	s_or_b64 exec, exec, s[16:17]
.LBB186_349:                            ;   in Loop: Header=BB186_232 Depth=1
	s_or_b64 exec, exec, s[12:13]
	v_lshrrev_b32_e32 v11, 16, v15
	v_mov_b32_e32 v22, 0
	v_mov_b32_e32 v20, 0
	;; [unrolled: 1-line block ×4, first 2 shown]
	v_cmp_ne_u16_sdwa s[0:1], v11, v5 src0_sel:BYTE_0 src1_sel:DWORD
	s_and_saveexec_b64 s[12:13], s[0:1]
	s_cbranch_execz .LBB186_355
; %bb.350:                              ;   in Loop: Header=BB186_232 Depth=1
	v_bfrev_b32_e32 v20, 1
	v_mov_b32_e32 v21, 0
	v_cmp_ne_u16_sdwa s[0:1], v11, s28 src0_sel:BYTE_0 src1_sel:DWORD
	s_and_saveexec_b64 s[16:17], s[0:1]
	s_cbranch_execz .LBB186_354
; %bb.351:                              ;   in Loop: Header=BB186_232 Depth=1
	v_bfe_u32 v0, v15, 16, 7
	v_mov_b32_e32 v20, 0x7f800001
	v_mov_b32_e32 v21, 0
	v_cmp_ne_u32_e64 s[0:1], s29, v0
	s_and_saveexec_b64 s[18:19], s[0:1]
	s_cbranch_execz .LBB186_353
; %bb.352:                              ;   in Loop: Header=BB186_232 Depth=1
	v_and_b32_e32 v20, 7, v11
	v_lshrrev_b32_e32 v21, 3, v0
	v_cmp_gt_u32_e64 s[0:1], 8, v0
	v_ffbh_u32_e32 v0, v20
	v_min_u32_e32 v0, 32, v0
	v_subrev_u32_e32 v7, 28, v0
	v_lshlrev_b64 v[7:8], v7, v[11:12]
	v_sub_u32_e32 v0, 29, v0
	v_and_b32_e32 v7, 7, v7
	v_cndmask_b32_e64 v0, v21, v0, s[0:1]
	v_cndmask_b32_e64 v7, v20, v7, s[0:1]
	v_lshlrev_b32_e32 v7, 20, v7
	v_and_b32_sdwa v8, sext(v11), s30 dst_sel:DWORD dst_unused:UNUSED_PAD src0_sel:BYTE_0 src1_sel:DWORD
	v_lshl_add_u32 v0, v0, 23, v38
	v_or3_b32 v20, v8, v0, v7
	v_mov_b32_e32 v21, v5
.LBB186_353:                            ;   in Loop: Header=BB186_232 Depth=1
	s_or_b64 exec, exec, s[18:19]
.LBB186_354:                            ;   in Loop: Header=BB186_232 Depth=1
	s_or_b64 exec, exec, s[16:17]
.LBB186_355:                            ;   in Loop: Header=BB186_232 Depth=1
	s_or_b64 exec, exec, s[12:13]
	v_cmp_lt_u32_e64 s[0:1], s31, v15
	s_and_saveexec_b64 s[12:13], s[0:1]
	s_cbranch_execz .LBB186_361
; %bb.356:                              ;   in Loop: Header=BB186_232 Depth=1
	v_mov_b32_e32 v23, v6
	v_cmp_ne_u32_sdwa s[0:1], v15, s28 src0_sel:BYTE_3 src1_sel:DWORD
	v_mov_b32_e32 v22, v5
	s_and_saveexec_b64 s[16:17], s[0:1]
	s_cbranch_execz .LBB186_360
; %bb.357:                              ;   in Loop: Header=BB186_232 Depth=1
	v_bfe_u32 v0, v15, 24, 7
	v_mov_b32_e32 v11, v5
	v_mov_b32_e32 v23, v12
	v_cmp_ne_u32_e64 s[0:1], s29, v0
	v_mov_b32_e32 v22, v11
	s_and_saveexec_b64 s[18:19], s[0:1]
	s_cbranch_execz .LBB186_359
; %bb.358:                              ;   in Loop: Header=BB186_232 Depth=1
	v_and_b32_sdwa v7, v15, v47 dst_sel:DWORD dst_unused:UNUSED_PAD src0_sel:BYTE_3 src1_sel:DWORD
	v_lshrrev_b32_e32 v11, 3, v0
	v_cmp_gt_u32_e64 s[0:1], 8, v0
	v_ffbh_u32_e32 v0, v7
	v_min_u32_e32 v0, 32, v0
	v_mov_b32_e32 v8, v5
	v_subrev_u32_e32 v22, 28, v0
	v_lshlrev_b64 v[22:23], v22, v[7:8]
	v_sub_u32_e32 v0, 29, v0
	v_and_b32_e32 v8, 7, v22
	v_cndmask_b32_e64 v0, v11, v0, s[0:1]
	v_cndmask_b32_e64 v7, v7, v8, s[0:1]
	v_mov_b32_e32 v8, 24
	v_lshlrev_b32_sdwa v8, v8, v15 dst_sel:DWORD dst_unused:UNUSED_PAD src0_sel:DWORD src1_sel:BYTE_3
	v_lshl_add_u32 v0, v0, 23, v38
	v_and_or_b32 v0, v8, s30, v0
	v_lshlrev_b32_e32 v7, 20, v7
	v_or_b32_e32 v23, v0, v7
	v_mov_b32_e32 v22, v5
.LBB186_359:                            ;   in Loop: Header=BB186_232 Depth=1
	s_or_b64 exec, exec, s[18:19]
.LBB186_360:                            ;   in Loop: Header=BB186_232 Depth=1
	s_or_b64 exec, exec, s[16:17]
.LBB186_361:                            ;   in Loop: Header=BB186_232 Depth=1
	s_or_b64 exec, exec, s[12:13]
	v_or_b32_e32 v7, v18, v16
	v_or_b32_e32 v0, v19, v17
	v_mul_f32_e32 v45, s37, v7
	v_or_b32_e32 v7, v23, v21
	v_or_b32_e32 v8, v22, v20
	v_mul_f32_e32 v0, s38, v0
	v_mul_f32_e32 v24, s37, v8
	;; [unrolled: 1-line block ×3, first 2 shown]
	s_and_saveexec_b64 s[12:13], vcc
; %bb.362:                              ;   in Loop: Header=BB186_232 Depth=1
	v_cmp_gt_i32_e64 s[0:1], s33, v50
	v_cndmask_b32_e64 v45, 0, v45, s[0:1]
	v_cmp_gt_i32_e64 s[0:1], s33, v53
	v_cndmask_b32_e64 v0, 0, v0, s[0:1]
	;; [unrolled: 2-line block ×4, first 2 shown]
; %bb.363:                              ;   in Loop: Header=BB186_232 Depth=1
	s_or_b64 exec, exec, s[12:13]
	global_load_dword v15, v[13:14], off offset:1280
	v_mov_b32_e32 v18, 0
	v_mov_b32_e32 v16, 0
	;; [unrolled: 1-line block ×4, first 2 shown]
	s_waitcnt vmcnt(0)
	v_cmp_ne_u16_sdwa s[0:1], v15, v5 src0_sel:BYTE_0 src1_sel:DWORD
	s_and_saveexec_b64 s[12:13], s[0:1]
	s_cbranch_execz .LBB186_369
; %bb.364:                              ;   in Loop: Header=BB186_232 Depth=1
	v_bfrev_b32_e32 v16, 1
	v_mov_b32_e32 v17, 0
	v_cmp_ne_u16_sdwa s[0:1], v15, s28 src0_sel:BYTE_0 src1_sel:DWORD
	s_and_saveexec_b64 s[16:17], s[0:1]
	s_cbranch_execz .LBB186_368
; %bb.365:                              ;   in Loop: Header=BB186_232 Depth=1
	v_and_b32_e32 v7, 0x7f, v15
	v_mov_b32_e32 v16, 0x7f800001
	v_mov_b32_e32 v17, 0
	v_cmp_ne_u32_e64 s[0:1], s29, v7
	s_and_saveexec_b64 s[18:19], s[0:1]
	s_cbranch_execz .LBB186_367
; %bb.366:                              ;   in Loop: Header=BB186_232 Depth=1
	v_and_b32_e32 v11, 7, v15
	v_lshrrev_b32_e32 v16, 3, v7
	v_cmp_gt_u32_e64 s[0:1], 8, v7
	v_ffbh_u32_e32 v7, v11
	v_min_u32_e32 v17, 32, v7
	v_subrev_u32_e32 v7, 28, v17
	v_lshlrev_b64 v[7:8], v7, v[15:16]
	v_sub_u32_e32 v8, 29, v17
	v_and_b32_e32 v7, 7, v7
	v_cndmask_b32_e64 v8, v16, v8, s[0:1]
	v_cndmask_b32_e64 v7, v11, v7, s[0:1]
	v_lshlrev_b32_e32 v7, 20, v7
	v_and_b32_sdwa v11, sext(v15), s30 dst_sel:DWORD dst_unused:UNUSED_PAD src0_sel:BYTE_0 src1_sel:DWORD
	v_lshl_add_u32 v8, v8, 23, v38
	v_or3_b32 v16, v11, v8, v7
	v_mov_b32_e32 v17, v5
.LBB186_367:                            ;   in Loop: Header=BB186_232 Depth=1
	s_or_b64 exec, exec, s[18:19]
.LBB186_368:                            ;   in Loop: Header=BB186_232 Depth=1
	s_or_b64 exec, exec, s[16:17]
.LBB186_369:                            ;   in Loop: Header=BB186_232 Depth=1
	s_or_b64 exec, exec, s[12:13]
	v_cmp_ne_u16_sdwa s[0:1], v15, v5 src0_sel:BYTE_1 src1_sel:DWORD
	s_and_saveexec_b64 s[12:13], s[0:1]
	s_cbranch_execz .LBB186_375
; %bb.370:                              ;   in Loop: Header=BB186_232 Depth=1
	v_mov_b32_e32 v19, v6
	v_cmp_ne_u16_sdwa s[0:1], v15, s28 src0_sel:BYTE_1 src1_sel:DWORD
	v_mov_b32_e32 v18, v5
	s_and_saveexec_b64 s[16:17], s[0:1]
	s_cbranch_execz .LBB186_374
; %bb.371:                              ;   in Loop: Header=BB186_232 Depth=1
	v_and_b32_sdwa v7, v15, s29 dst_sel:DWORD dst_unused:UNUSED_PAD src0_sel:BYTE_1 src1_sel:DWORD
	v_mov_b32_e32 v11, v5
	v_mov_b32_e32 v19, v12
	v_cmp_ne_u32_e64 s[0:1], s29, v7
	v_mov_b32_e32 v18, v11
	s_and_saveexec_b64 s[18:19], s[0:1]
	s_cbranch_execz .LBB186_373
; %bb.372:                              ;   in Loop: Header=BB186_232 Depth=1
	v_and_b32_sdwa v18, v15, v47 dst_sel:DWORD dst_unused:UNUSED_PAD src0_sel:BYTE_1 src1_sel:DWORD
	v_lshrrev_b32_e32 v11, 3, v7
	v_cmp_gt_u32_e64 s[0:1], 8, v7
	v_ffbh_u32_e32 v7, v18
	v_min_u32_e32 v20, 32, v7
	v_mov_b32_e32 v19, v5
	v_subrev_u32_e32 v7, 28, v20
	v_lshlrev_b64 v[7:8], v7, v[18:19]
	v_sub_u32_e32 v8, 29, v20
	v_and_b32_e32 v7, 7, v7
	v_cndmask_b32_e64 v8, v11, v8, s[0:1]
	v_cndmask_b32_e64 v7, v18, v7, s[0:1]
	v_lshlrev_b32_e32 v11, 16, v15
	v_lshl_add_u32 v8, v8, 23, v38
	v_and_or_b32 v8, v11, s30, v8
	v_lshlrev_b32_e32 v7, 20, v7
	v_or_b32_e32 v19, v8, v7
	v_mov_b32_e32 v18, v5
.LBB186_373:                            ;   in Loop: Header=BB186_232 Depth=1
	s_or_b64 exec, exec, s[18:19]
.LBB186_374:                            ;   in Loop: Header=BB186_232 Depth=1
	s_or_b64 exec, exec, s[16:17]
.LBB186_375:                            ;   in Loop: Header=BB186_232 Depth=1
	s_or_b64 exec, exec, s[12:13]
	v_lshrrev_b32_e32 v11, 16, v15
	v_mov_b32_e32 v22, 0
	v_mov_b32_e32 v20, 0
	;; [unrolled: 1-line block ×4, first 2 shown]
	v_cmp_ne_u16_sdwa s[0:1], v11, v5 src0_sel:BYTE_0 src1_sel:DWORD
	s_and_saveexec_b64 s[12:13], s[0:1]
	s_cbranch_execz .LBB186_381
; %bb.376:                              ;   in Loop: Header=BB186_232 Depth=1
	v_bfrev_b32_e32 v20, 1
	v_mov_b32_e32 v21, 0
	v_cmp_ne_u16_sdwa s[0:1], v11, s28 src0_sel:BYTE_0 src1_sel:DWORD
	s_and_saveexec_b64 s[16:17], s[0:1]
	s_cbranch_execz .LBB186_380
; %bb.377:                              ;   in Loop: Header=BB186_232 Depth=1
	v_bfe_u32 v7, v15, 16, 7
	v_mov_b32_e32 v20, 0x7f800001
	v_mov_b32_e32 v21, 0
	v_cmp_ne_u32_e64 s[0:1], s29, v7
	s_and_saveexec_b64 s[18:19], s[0:1]
	s_cbranch_execz .LBB186_379
; %bb.378:                              ;   in Loop: Header=BB186_232 Depth=1
	v_and_b32_e32 v20, 7, v11
	v_lshrrev_b32_e32 v21, 3, v7
	v_cmp_gt_u32_e64 s[0:1], 8, v7
	v_ffbh_u32_e32 v7, v20
	v_min_u32_e32 v25, 32, v7
	v_subrev_u32_e32 v7, 28, v25
	v_lshlrev_b64 v[7:8], v7, v[11:12]
	v_sub_u32_e32 v8, 29, v25
	v_and_b32_e32 v7, 7, v7
	v_cndmask_b32_e64 v8, v21, v8, s[0:1]
	v_cndmask_b32_e64 v7, v20, v7, s[0:1]
	v_lshlrev_b32_e32 v7, 20, v7
	v_and_b32_sdwa v11, sext(v11), s30 dst_sel:DWORD dst_unused:UNUSED_PAD src0_sel:BYTE_0 src1_sel:DWORD
	v_lshl_add_u32 v8, v8, 23, v38
	v_or3_b32 v20, v11, v8, v7
	v_mov_b32_e32 v21, v5
.LBB186_379:                            ;   in Loop: Header=BB186_232 Depth=1
	s_or_b64 exec, exec, s[18:19]
.LBB186_380:                            ;   in Loop: Header=BB186_232 Depth=1
	s_or_b64 exec, exec, s[16:17]
.LBB186_381:                            ;   in Loop: Header=BB186_232 Depth=1
	s_or_b64 exec, exec, s[12:13]
	v_cmp_lt_u32_e64 s[0:1], s31, v15
	s_and_saveexec_b64 s[12:13], s[0:1]
	s_cbranch_execz .LBB186_387
; %bb.382:                              ;   in Loop: Header=BB186_232 Depth=1
	v_mov_b32_e32 v23, v6
	v_cmp_ne_u32_sdwa s[0:1], v15, s28 src0_sel:BYTE_3 src1_sel:DWORD
	v_mov_b32_e32 v22, v5
	s_and_saveexec_b64 s[16:17], s[0:1]
	s_cbranch_execz .LBB186_386
; %bb.383:                              ;   in Loop: Header=BB186_232 Depth=1
	v_bfe_u32 v7, v15, 24, 7
	v_mov_b32_e32 v11, v5
	v_mov_b32_e32 v23, v12
	v_cmp_ne_u32_e64 s[0:1], s29, v7
	v_mov_b32_e32 v22, v11
	s_and_saveexec_b64 s[18:19], s[0:1]
	s_cbranch_execz .LBB186_385
; %bb.384:                              ;   in Loop: Header=BB186_232 Depth=1
	v_and_b32_sdwa v22, v15, v47 dst_sel:DWORD dst_unused:UNUSED_PAD src0_sel:BYTE_3 src1_sel:DWORD
	v_lshrrev_b32_e32 v11, 3, v7
	v_cmp_gt_u32_e64 s[0:1], 8, v7
	v_ffbh_u32_e32 v7, v22
	v_min_u32_e32 v25, 32, v7
	v_mov_b32_e32 v23, v5
	v_subrev_u32_e32 v7, 28, v25
	v_lshlrev_b64 v[7:8], v7, v[22:23]
	v_sub_u32_e32 v8, 29, v25
	v_and_b32_e32 v7, 7, v7
	v_cndmask_b32_e64 v8, v11, v8, s[0:1]
	v_mov_b32_e32 v11, 24
	v_cndmask_b32_e64 v7, v22, v7, s[0:1]
	v_lshlrev_b32_sdwa v11, v11, v15 dst_sel:DWORD dst_unused:UNUSED_PAD src0_sel:DWORD src1_sel:BYTE_3
	v_lshl_add_u32 v8, v8, 23, v38
	v_and_or_b32 v8, v11, s30, v8
	v_lshlrev_b32_e32 v7, 20, v7
	v_or_b32_e32 v23, v8, v7
	v_mov_b32_e32 v22, v5
.LBB186_385:                            ;   in Loop: Header=BB186_232 Depth=1
	s_or_b64 exec, exec, s[18:19]
.LBB186_386:                            ;   in Loop: Header=BB186_232 Depth=1
	s_or_b64 exec, exec, s[16:17]
.LBB186_387:                            ;   in Loop: Header=BB186_232 Depth=1
	s_or_b64 exec, exec, s[12:13]
	v_or_b32_e32 v7, v19, v17
	v_or_b32_e32 v8, v18, v16
	v_mul_f32_e32 v39, s38, v7
	v_mul_f32_e32 v7, s37, v8
	v_or_b32_e32 v8, v23, v21
	v_or_b32_e32 v11, v22, v20
	v_mul_f32_e32 v26, s37, v11
	v_mul_f32_e32 v32, s38, v8
	s_and_saveexec_b64 s[12:13], vcc
; %bb.388:                              ;   in Loop: Header=BB186_232 Depth=1
	v_cmp_gt_i32_e64 s[0:1], s33, v50
	v_cndmask_b32_e64 v7, 0, v7, s[0:1]
	v_cmp_gt_i32_e64 s[0:1], s33, v53
	v_cndmask_b32_e64 v39, 0, v39, s[0:1]
	;; [unrolled: 2-line block ×4, first 2 shown]
; %bb.389:                              ;   in Loop: Header=BB186_232 Depth=1
	s_or_b64 exec, exec, s[12:13]
	global_load_dword v15, v[13:14], off offset:1536
	v_mov_b32_e32 v18, 0
	v_mov_b32_e32 v16, 0
	v_mov_b32_e32 v19, 0
	v_mov_b32_e32 v17, 0
	s_waitcnt vmcnt(0)
	v_cmp_ne_u16_sdwa s[0:1], v15, v5 src0_sel:BYTE_0 src1_sel:DWORD
	s_and_saveexec_b64 s[12:13], s[0:1]
	s_cbranch_execz .LBB186_395
; %bb.390:                              ;   in Loop: Header=BB186_232 Depth=1
	v_bfrev_b32_e32 v16, 1
	v_mov_b32_e32 v17, 0
	v_cmp_ne_u16_sdwa s[0:1], v15, s28 src0_sel:BYTE_0 src1_sel:DWORD
	s_and_saveexec_b64 s[16:17], s[0:1]
	s_cbranch_execz .LBB186_394
; %bb.391:                              ;   in Loop: Header=BB186_232 Depth=1
	v_and_b32_e32 v8, 0x7f, v15
	v_mov_b32_e32 v16, 0x7f800001
	v_mov_b32_e32 v17, 0
	v_cmp_ne_u32_e64 s[0:1], s29, v8
	s_and_saveexec_b64 s[18:19], s[0:1]
	s_cbranch_execz .LBB186_393
; %bb.392:                              ;   in Loop: Header=BB186_232 Depth=1
	v_and_b32_e32 v11, 7, v15
	v_lshrrev_b32_e32 v20, 3, v8
	v_cmp_gt_u32_e64 s[0:1], 8, v8
	v_ffbh_u32_e32 v8, v11
	v_min_u32_e32 v8, 32, v8
	v_subrev_u32_e32 v16, 28, v8
	v_lshlrev_b64 v[16:17], v16, v[15:16]
	v_sub_u32_e32 v8, 29, v8
	v_and_b32_e32 v16, 7, v16
	v_cndmask_b32_e64 v8, v20, v8, s[0:1]
	v_cndmask_b32_e64 v11, v11, v16, s[0:1]
	v_lshlrev_b32_e32 v11, 20, v11
	v_and_b32_sdwa v16, sext(v15), s30 dst_sel:DWORD dst_unused:UNUSED_PAD src0_sel:BYTE_0 src1_sel:DWORD
	v_lshl_add_u32 v8, v8, 23, v38
	v_or3_b32 v16, v16, v8, v11
	v_mov_b32_e32 v17, v5
.LBB186_393:                            ;   in Loop: Header=BB186_232 Depth=1
	s_or_b64 exec, exec, s[18:19]
.LBB186_394:                            ;   in Loop: Header=BB186_232 Depth=1
	s_or_b64 exec, exec, s[16:17]
.LBB186_395:                            ;   in Loop: Header=BB186_232 Depth=1
	s_or_b64 exec, exec, s[12:13]
	v_cmp_ne_u16_sdwa s[0:1], v15, v5 src0_sel:BYTE_1 src1_sel:DWORD
	s_and_saveexec_b64 s[12:13], s[0:1]
	s_cbranch_execz .LBB186_401
; %bb.396:                              ;   in Loop: Header=BB186_232 Depth=1
	v_mov_b32_e32 v19, v6
	v_cmp_ne_u16_sdwa s[0:1], v15, s28 src0_sel:BYTE_1 src1_sel:DWORD
	v_mov_b32_e32 v18, v5
	s_and_saveexec_b64 s[16:17], s[0:1]
	s_cbranch_execz .LBB186_400
; %bb.397:                              ;   in Loop: Header=BB186_232 Depth=1
	v_and_b32_sdwa v8, v15, s29 dst_sel:DWORD dst_unused:UNUSED_PAD src0_sel:BYTE_1 src1_sel:DWORD
	v_mov_b32_e32 v11, v5
	v_mov_b32_e32 v19, v12
	v_cmp_ne_u32_e64 s[0:1], s29, v8
	v_mov_b32_e32 v18, v11
	s_and_saveexec_b64 s[18:19], s[0:1]
	s_cbranch_execz .LBB186_399
; %bb.398:                              ;   in Loop: Header=BB186_232 Depth=1
	v_and_b32_sdwa v18, v15, v47 dst_sel:DWORD dst_unused:UNUSED_PAD src0_sel:BYTE_1 src1_sel:DWORD
	v_lshrrev_b32_e32 v11, 3, v8
	v_cmp_gt_u32_e64 s[0:1], 8, v8
	v_ffbh_u32_e32 v8, v18
	v_min_u32_e32 v8, 32, v8
	v_mov_b32_e32 v19, v5
	v_subrev_u32_e32 v20, 28, v8
	v_lshlrev_b64 v[19:20], v20, v[18:19]
	v_sub_u32_e32 v8, 29, v8
	v_and_b32_e32 v19, 7, v19
	v_cndmask_b32_e64 v8, v11, v8, s[0:1]
	v_cndmask_b32_e64 v11, v18, v19, s[0:1]
	v_lshlrev_b32_e32 v18, 16, v15
	v_lshl_add_u32 v8, v8, 23, v38
	v_and_or_b32 v8, v18, s30, v8
	v_lshlrev_b32_e32 v11, 20, v11
	v_or_b32_e32 v19, v8, v11
	v_mov_b32_e32 v18, v5
.LBB186_399:                            ;   in Loop: Header=BB186_232 Depth=1
	s_or_b64 exec, exec, s[18:19]
.LBB186_400:                            ;   in Loop: Header=BB186_232 Depth=1
	s_or_b64 exec, exec, s[16:17]
.LBB186_401:                            ;   in Loop: Header=BB186_232 Depth=1
	s_or_b64 exec, exec, s[12:13]
	v_lshrrev_b32_e32 v11, 16, v15
	v_mov_b32_e32 v22, 0
	v_mov_b32_e32 v20, 0
	;; [unrolled: 1-line block ×4, first 2 shown]
	v_cmp_ne_u16_sdwa s[0:1], v11, v5 src0_sel:BYTE_0 src1_sel:DWORD
	s_and_saveexec_b64 s[12:13], s[0:1]
	s_cbranch_execz .LBB186_407
; %bb.402:                              ;   in Loop: Header=BB186_232 Depth=1
	v_bfrev_b32_e32 v20, 1
	v_mov_b32_e32 v21, 0
	v_cmp_ne_u16_sdwa s[0:1], v11, s28 src0_sel:BYTE_0 src1_sel:DWORD
	s_and_saveexec_b64 s[16:17], s[0:1]
	s_cbranch_execz .LBB186_406
; %bb.403:                              ;   in Loop: Header=BB186_232 Depth=1
	v_bfe_u32 v8, v15, 16, 7
	v_mov_b32_e32 v20, 0x7f800001
	v_mov_b32_e32 v21, 0
	v_cmp_ne_u32_e64 s[0:1], s29, v8
	s_and_saveexec_b64 s[18:19], s[0:1]
	s_cbranch_execz .LBB186_405
; %bb.404:                              ;   in Loop: Header=BB186_232 Depth=1
	v_and_b32_e32 v25, 7, v11
	v_mov_b32_e32 v38, v27
	v_lshrrev_b32_e32 v27, 3, v8
	v_cmp_gt_u32_e64 s[0:1], 8, v8
	v_ffbh_u32_e32 v8, v25
	v_min_u32_e32 v8, 32, v8
	v_subrev_u32_e32 v20, 28, v8
	v_lshlrev_b64 v[20:21], v20, v[11:12]
	v_sub_u32_e32 v8, 29, v8
	v_and_b32_e32 v20, 7, v20
	v_cndmask_b32_e64 v8, v27, v8, s[0:1]
	v_mov_b32_e32 v27, v38
	v_bfrev_b32_e32 v38, 60
	v_cndmask_b32_e64 v20, v25, v20, s[0:1]
	v_lshlrev_b32_e32 v20, 20, v20
	v_and_b32_sdwa v11, sext(v11), s30 dst_sel:DWORD dst_unused:UNUSED_PAD src0_sel:BYTE_0 src1_sel:DWORD
	v_lshl_add_u32 v8, v8, 23, v38
	v_or3_b32 v20, v11, v8, v20
	v_mov_b32_e32 v21, v5
.LBB186_405:                            ;   in Loop: Header=BB186_232 Depth=1
	s_or_b64 exec, exec, s[18:19]
.LBB186_406:                            ;   in Loop: Header=BB186_232 Depth=1
	s_or_b64 exec, exec, s[16:17]
.LBB186_407:                            ;   in Loop: Header=BB186_232 Depth=1
	s_or_b64 exec, exec, s[12:13]
	v_cmp_lt_u32_e64 s[0:1], s31, v15
	s_and_saveexec_b64 s[12:13], s[0:1]
	s_cbranch_execz .LBB186_413
; %bb.408:                              ;   in Loop: Header=BB186_232 Depth=1
	v_mov_b32_e32 v23, v6
	v_cmp_ne_u32_sdwa s[0:1], v15, s28 src0_sel:BYTE_3 src1_sel:DWORD
	v_mov_b32_e32 v22, v5
	s_and_saveexec_b64 s[16:17], s[0:1]
	s_cbranch_execz .LBB186_412
; %bb.409:                              ;   in Loop: Header=BB186_232 Depth=1
	v_bfe_u32 v8, v15, 24, 7
	v_mov_b32_e32 v11, v5
	v_mov_b32_e32 v23, v12
	v_cmp_ne_u32_e64 s[0:1], s29, v8
	v_mov_b32_e32 v22, v11
	s_and_saveexec_b64 s[18:19], s[0:1]
	s_cbranch_execz .LBB186_411
; %bb.410:                              ;   in Loop: Header=BB186_232 Depth=1
	v_and_b32_sdwa v22, v15, v47 dst_sel:DWORD dst_unused:UNUSED_PAD src0_sel:BYTE_3 src1_sel:DWORD
	v_lshrrev_b32_e32 v11, 3, v8
	v_cmp_gt_u32_e64 s[0:1], 8, v8
	v_ffbh_u32_e32 v8, v22
	v_min_u32_e32 v8, 32, v8
	v_mov_b32_e32 v23, v5
	v_subrev_u32_e32 v25, 28, v8
	v_mov_b32_e32 v33, v31
	v_mov_b32_e32 v31, v30
	;; [unrolled: 1-line block ×8, first 2 shown]
	v_lshlrev_b64 v[27:28], v25, v[22:23]
	v_sub_u32_e32 v8, 29, v8
	v_and_b32_e32 v23, 7, v27
	v_mov_b32_e32 v27, v34
	v_mov_b32_e32 v34, v35
	v_mov_b32_e32 v35, v38
	v_bfrev_b32_e32 v38, 60
	v_cndmask_b32_e64 v8, v11, v8, s[0:1]
	v_cndmask_b32_e64 v11, v22, v23, s[0:1]
	v_mov_b32_e32 v22, 24
	v_lshlrev_b32_sdwa v15, v22, v15 dst_sel:DWORD dst_unused:UNUSED_PAD src0_sel:DWORD src1_sel:BYTE_3
	v_lshl_add_u32 v8, v8, 23, v38
	v_and_or_b32 v8, v15, s30, v8
	v_lshlrev_b32_e32 v11, 20, v11
	v_mov_b32_e32 v28, v36
	v_mov_b32_e32 v36, v29
	v_mov_b32_e32 v29, v30
	v_mov_b32_e32 v30, v31
	v_mov_b32_e32 v31, v33
	v_or_b32_e32 v23, v8, v11
	v_mov_b32_e32 v22, v5
.LBB186_411:                            ;   in Loop: Header=BB186_232 Depth=1
	s_or_b64 exec, exec, s[18:19]
.LBB186_412:                            ;   in Loop: Header=BB186_232 Depth=1
	s_or_b64 exec, exec, s[16:17]
.LBB186_413:                            ;   in Loop: Header=BB186_232 Depth=1
	s_or_b64 exec, exec, s[12:13]
	v_or_b32_e32 v11, v18, v16
	v_or_b32_e32 v8, v19, v17
	v_mul_f32_e32 v25, s37, v11
	v_or_b32_e32 v11, v23, v21
	v_or_b32_e32 v15, v22, v20
	v_mul_f32_e32 v8, s38, v8
	v_mul_f32_e32 v23, s37, v15
	;; [unrolled: 1-line block ×3, first 2 shown]
	s_and_saveexec_b64 s[12:13], vcc
; %bb.414:                              ;   in Loop: Header=BB186_232 Depth=1
	v_cmp_gt_i32_e64 s[0:1], s33, v50
	v_cndmask_b32_e64 v25, 0, v25, s[0:1]
	v_cmp_gt_i32_e64 s[0:1], s33, v53
	v_cndmask_b32_e64 v8, 0, v8, s[0:1]
	;; [unrolled: 2-line block ×4, first 2 shown]
; %bb.415:                              ;   in Loop: Header=BB186_232 Depth=1
	s_or_b64 exec, exec, s[12:13]
	global_load_dword v13, v[13:14], off offset:1792
	v_mov_b32_e32 v16, 0
	v_mov_b32_e32 v14, 0
	v_mov_b32_e32 v17, 0
	v_mov_b32_e32 v15, 0
	s_waitcnt vmcnt(0)
	v_cmp_ne_u16_sdwa s[0:1], v13, v5 src0_sel:BYTE_0 src1_sel:DWORD
	s_and_saveexec_b64 s[12:13], s[0:1]
	s_cbranch_execz .LBB186_421
; %bb.416:                              ;   in Loop: Header=BB186_232 Depth=1
	v_bfrev_b32_e32 v14, 1
	v_mov_b32_e32 v15, 0
	v_cmp_ne_u16_sdwa s[0:1], v13, s28 src0_sel:BYTE_0 src1_sel:DWORD
	s_and_saveexec_b64 s[16:17], s[0:1]
	s_cbranch_execz .LBB186_420
; %bb.417:                              ;   in Loop: Header=BB186_232 Depth=1
	v_and_b32_e32 v11, 0x7f, v13
	v_mov_b32_e32 v14, 0x7f800001
	v_mov_b32_e32 v15, 0
	v_cmp_ne_u32_e64 s[0:1], s29, v11
	s_and_saveexec_b64 s[18:19], s[0:1]
	s_cbranch_execz .LBB186_419
; %bb.418:                              ;   in Loop: Header=BB186_232 Depth=1
	v_and_b32_e32 v18, 7, v13
	v_lshrrev_b32_e32 v19, 3, v11
	v_cmp_gt_u32_e64 s[0:1], 8, v11
	v_ffbh_u32_e32 v11, v18
	v_min_u32_e32 v11, 32, v11
	v_subrev_u32_e32 v14, 28, v11
	v_lshlrev_b64 v[14:15], v14, v[13:14]
	v_sub_u32_e32 v11, 29, v11
	v_and_b32_e32 v14, 7, v14
	v_cndmask_b32_e64 v11, v19, v11, s[0:1]
	v_cndmask_b32_e64 v14, v18, v14, s[0:1]
	v_lshlrev_b32_e32 v14, 20, v14
	v_and_b32_sdwa v15, sext(v13), s30 dst_sel:DWORD dst_unused:UNUSED_PAD src0_sel:BYTE_0 src1_sel:DWORD
	v_lshl_add_u32 v11, v11, 23, v38
	v_or3_b32 v14, v15, v11, v14
	v_mov_b32_e32 v15, v5
.LBB186_419:                            ;   in Loop: Header=BB186_232 Depth=1
	s_or_b64 exec, exec, s[18:19]
.LBB186_420:                            ;   in Loop: Header=BB186_232 Depth=1
	s_or_b64 exec, exec, s[16:17]
.LBB186_421:                            ;   in Loop: Header=BB186_232 Depth=1
	s_or_b64 exec, exec, s[12:13]
	v_cmp_ne_u16_sdwa s[0:1], v13, v5 src0_sel:BYTE_1 src1_sel:DWORD
	s_and_saveexec_b64 s[12:13], s[0:1]
	s_cbranch_execz .LBB186_427
; %bb.422:                              ;   in Loop: Header=BB186_232 Depth=1
	v_mov_b32_e32 v17, v6
	v_cmp_ne_u16_sdwa s[0:1], v13, s28 src0_sel:BYTE_1 src1_sel:DWORD
	v_mov_b32_e32 v16, v5
	s_and_saveexec_b64 s[16:17], s[0:1]
	s_cbranch_execz .LBB186_426
; %bb.423:                              ;   in Loop: Header=BB186_232 Depth=1
	v_and_b32_sdwa v18, v13, s29 dst_sel:DWORD dst_unused:UNUSED_PAD src0_sel:BYTE_1 src1_sel:DWORD
	v_mov_b32_e32 v11, v5
	v_mov_b32_e32 v17, v12
	v_cmp_ne_u32_e64 s[0:1], s29, v18
	v_mov_b32_e32 v16, v11
	s_and_saveexec_b64 s[18:19], s[0:1]
	s_cbranch_execz .LBB186_425
; %bb.424:                              ;   in Loop: Header=BB186_232 Depth=1
	v_and_b32_sdwa v16, v13, v47 dst_sel:DWORD dst_unused:UNUSED_PAD src0_sel:BYTE_1 src1_sel:DWORD
	v_lshrrev_b32_e32 v11, 3, v18
	v_cmp_gt_u32_e64 s[0:1], 8, v18
	v_ffbh_u32_e32 v18, v16
	v_min_u32_e32 v19, 32, v18
	v_mov_b32_e32 v17, v5
	v_subrev_u32_e32 v18, 28, v19
	v_lshlrev_b64 v[17:18], v18, v[16:17]
	v_sub_u32_e32 v18, 29, v19
	v_and_b32_e32 v17, 7, v17
	v_cndmask_b32_e64 v11, v11, v18, s[0:1]
	v_cndmask_b32_e64 v16, v16, v17, s[0:1]
	v_lshlrev_b32_e32 v17, 16, v13
	v_lshl_add_u32 v11, v11, 23, v38
	v_and_or_b32 v11, v17, s30, v11
	v_lshlrev_b32_e32 v16, 20, v16
	v_or_b32_e32 v17, v11, v16
	v_mov_b32_e32 v16, v5
.LBB186_425:                            ;   in Loop: Header=BB186_232 Depth=1
	s_or_b64 exec, exec, s[18:19]
.LBB186_426:                            ;   in Loop: Header=BB186_232 Depth=1
	s_or_b64 exec, exec, s[16:17]
.LBB186_427:                            ;   in Loop: Header=BB186_232 Depth=1
	s_or_b64 exec, exec, s[12:13]
	v_lshrrev_b32_e32 v11, 16, v13
	v_mov_b32_e32 v20, 0
	v_mov_b32_e32 v18, 0
	;; [unrolled: 1-line block ×4, first 2 shown]
	v_cmp_ne_u16_sdwa s[0:1], v11, v5 src0_sel:BYTE_0 src1_sel:DWORD
	s_and_saveexec_b64 s[12:13], s[0:1]
	s_cbranch_execz .LBB186_433
; %bb.428:                              ;   in Loop: Header=BB186_232 Depth=1
	v_bfrev_b32_e32 v18, 1
	v_mov_b32_e32 v19, 0
	v_cmp_ne_u16_sdwa s[0:1], v11, s28 src0_sel:BYTE_0 src1_sel:DWORD
	s_and_saveexec_b64 s[16:17], s[0:1]
	s_cbranch_execz .LBB186_432
; %bb.429:                              ;   in Loop: Header=BB186_232 Depth=1
	v_bfe_u32 v38, v13, 16, 7
	v_mov_b32_e32 v18, 0x7f800001
	v_bfrev_b32_e32 v47, 60
	v_mov_b32_e32 v19, 0
	v_cmp_ne_u32_e64 s[0:1], s29, v38
	s_and_saveexec_b64 s[18:19], s[0:1]
	s_cbranch_execz .LBB186_431
; %bb.430:                              ;   in Loop: Header=BB186_232 Depth=1
	v_and_b32_e32 v46, 7, v11
	v_ffbh_u32_e32 v18, v46
	v_mov_b32_e32 v33, v31
	v_mov_b32_e32 v31, v30
	;; [unrolled: 1-line block ×5, first 2 shown]
	v_lshrrev_b32_e32 v28, 3, v38
	v_cmp_gt_u32_e64 s[0:1], 8, v38
	v_min_u32_e32 v38, 32, v18
	v_subrev_u32_e32 v18, 28, v38
	v_lshlrev_b64 v[18:19], v18, v[11:12]
	v_sub_u32_e32 v19, 29, v38
	v_and_b32_e32 v18, 7, v18
	v_cndmask_b32_e64 v18, v46, v18, s[0:1]
	buffer_load_dword v46, off, s[56:59], 0 offset:20 ; 4-byte Folded Reload
	v_cndmask_b32_e64 v19, v28, v19, s[0:1]
	v_lshlrev_b32_e32 v18, 20, v18
	v_and_b32_sdwa v11, sext(v11), s30 dst_sel:DWORD dst_unused:UNUSED_PAD src0_sel:BYTE_0 src1_sel:DWORD
	v_lshl_add_u32 v19, v19, 23, v47
	v_mov_b32_e32 v28, v36
	v_mov_b32_e32 v36, v29
	;; [unrolled: 1-line block ×5, first 2 shown]
	v_or3_b32 v18, v11, v19, v18
	v_mov_b32_e32 v19, v5
.LBB186_431:                            ;   in Loop: Header=BB186_232 Depth=1
	s_or_b64 exec, exec, s[18:19]
	v_bfrev_b32_e32 v38, 60
	v_mov_b32_e32 v47, 7
.LBB186_432:                            ;   in Loop: Header=BB186_232 Depth=1
	s_or_b64 exec, exec, s[16:17]
.LBB186_433:                            ;   in Loop: Header=BB186_232 Depth=1
	s_or_b64 exec, exec, s[12:13]
	v_cmp_lt_u32_e64 s[0:1], s31, v13
	s_and_saveexec_b64 s[12:13], s[0:1]
	s_cbranch_execz .LBB186_439
; %bb.434:                              ;   in Loop: Header=BB186_232 Depth=1
	v_mov_b32_e32 v21, v6
	v_cmp_ne_u32_sdwa s[0:1], v13, s28 src0_sel:BYTE_3 src1_sel:DWORD
	v_mov_b32_e32 v20, v5
	s_and_saveexec_b64 s[16:17], s[0:1]
	s_cbranch_execz .LBB186_438
; %bb.435:                              ;   in Loop: Header=BB186_232 Depth=1
	v_bfe_u32 v38, v13, 24, 7
	v_mov_b32_e32 v11, v5
	v_mov_b32_e32 v21, v12
	;; [unrolled: 1-line block ×3, first 2 shown]
	v_bfrev_b32_e32 v47, 60
	v_cmp_ne_u32_e64 s[0:1], s29, v38
	v_mov_b32_e32 v20, v11
	s_and_saveexec_b64 s[18:19], s[0:1]
	s_cbranch_execz .LBB186_437
; %bb.436:                              ;   in Loop: Header=BB186_232 Depth=1
	v_and_b32_sdwa v20, v13, v33 dst_sel:DWORD dst_unused:UNUSED_PAD src0_sel:BYTE_3 src1_sel:DWORD
	s_waitcnt vmcnt(0)
	v_mov_b32_e32 v46, v35
	v_mov_b32_e32 v35, v34
	v_mov_b32_e32 v34, v27
	v_ffbh_u32_e32 v27, v20
	v_lshrrev_b32_e32 v11, 3, v38
	v_cmp_gt_u32_e64 s[0:1], 8, v38
	v_min_u32_e32 v38, 32, v27
	v_mov_b32_e32 v21, v5
	v_subrev_u32_e32 v27, 28, v38
	v_mov_b32_e32 v33, v31
	v_mov_b32_e32 v31, v30
	;; [unrolled: 1-line block ×5, first 2 shown]
	v_lshlrev_b64 v[27:28], v27, v[20:21]
	v_sub_u32_e32 v21, 29, v38
	v_and_b32_e32 v27, 7, v27
	v_cndmask_b32_e64 v20, v20, v27, s[0:1]
	v_mov_b32_e32 v27, v34
	v_mov_b32_e32 v34, v35
	;; [unrolled: 1-line block ×3, first 2 shown]
	buffer_load_dword v46, off, s[56:59], 0 offset:20 ; 4-byte Folded Reload
	v_cndmask_b32_e64 v11, v11, v21, s[0:1]
	v_mov_b32_e32 v21, 24
	v_lshlrev_b32_sdwa v13, v21, v13 dst_sel:DWORD dst_unused:UNUSED_PAD src0_sel:DWORD src1_sel:BYTE_3
	v_lshl_add_u32 v11, v11, 23, v47
	v_and_or_b32 v11, v13, s30, v11
	v_lshlrev_b32_e32 v13, 20, v20
	v_mov_b32_e32 v28, v36
	v_mov_b32_e32 v36, v29
	;; [unrolled: 1-line block ×5, first 2 shown]
	v_or_b32_e32 v21, v11, v13
	v_mov_b32_e32 v20, v5
.LBB186_437:                            ;   in Loop: Header=BB186_232 Depth=1
	s_or_b64 exec, exec, s[18:19]
	v_bfrev_b32_e32 v38, 60
	v_mov_b32_e32 v47, 7
.LBB186_438:                            ;   in Loop: Header=BB186_232 Depth=1
	s_or_b64 exec, exec, s[16:17]
.LBB186_439:                            ;   in Loop: Header=BB186_232 Depth=1
	s_or_b64 exec, exec, s[12:13]
	v_or_b32_e32 v13, v16, v14
	v_or_b32_e32 v11, v17, v15
	v_mul_f32_e32 v15, s37, v13
	v_or_b32_e32 v13, v21, v19
	v_or_b32_e32 v14, v20, v18
	v_mul_f32_e32 v11, s38, v11
	v_mul_f32_e32 v14, s37, v14
	;; [unrolled: 1-line block ×3, first 2 shown]
	s_and_saveexec_b64 s[0:1], vcc
	s_cbranch_execz .LBB186_230
; %bb.440:                              ;   in Loop: Header=BB186_232 Depth=1
	v_cmp_gt_i32_e32 vcc, s33, v50
	v_cndmask_b32_e32 v15, 0, v15, vcc
	v_cmp_gt_i32_e32 vcc, s33, v53
	v_cndmask_b32_e32 v11, 0, v11, vcc
	;; [unrolled: 2-line block ×4, first 2 shown]
	s_branch .LBB186_230
.LBB186_441:
	s_or_b64 exec, exec, s[4:5]
	buffer_load_dword v15, off, s[56:59], 0 offset:24 ; 4-byte Folded Reload
	buffer_load_dword v16, off, s[56:59], 0 offset:28 ; 4-byte Folded Reload
	;; [unrolled: 1-line block ×3, first 2 shown]
.LBB186_442:
	s_or_b64 exec, exec, s[2:3]
	s_waitcnt vmcnt(0)
	ds_bpermute_b32 v1, v9, v34
	ds_bpermute_b32 v0, v9, v35
	;; [unrolled: 1-line block ×4, first 2 shown]
	s_waitcnt lgkmcnt(0)
	v_add_f32_e32 v1, v34, v1
	v_add_f32_e32 v0, v35, v0
	ds_bpermute_b32 v4, v16, v1
	ds_bpermute_b32 v3, v16, v0
	v_add_f32_e32 v2, v27, v2
	ds_bpermute_b32 v5, v16, v2
	s_waitcnt lgkmcnt(0)
	s_barrier
	v_add_f32_e32 v1, v1, v4
	v_add_f32_e32 v4, v31, v6
	ds_bpermute_b32 v6, v9, v29
	v_add_f32_e32 v0, v0, v3
	ds_bpermute_b32 v3, v9, v30
	;; [unrolled: 2-line block ×3, first 2 shown]
	s_waitcnt lgkmcnt(2)
	v_add_f32_e32 v6, v29, v6
	ds_bpermute_b32 v10, v16, v6
	s_waitcnt lgkmcnt(2)
	v_add_f32_e32 v7, v30, v3
	ds_bpermute_b32 v3, v9, v28
	s_waitcnt lgkmcnt(0)
	ds_bpermute_b32 v9, v9, v36
	ds_bpermute_b32 v8, v16, v7
	v_add_f32_e32 v11, v28, v3
	v_add_f32_e32 v3, v4, v5
	;; [unrolled: 1-line block ×3, first 2 shown]
	buffer_load_dword v10, off, s[56:59], 0 offset:92 ; 4-byte Folded Reload
	s_waitcnt lgkmcnt(1)
	v_add_f32_e32 v9, v36, v9
	ds_bpermute_b32 v12, v16, v11
	ds_bpermute_b32 v13, v16, v9
	s_waitcnt lgkmcnt(2)
	v_add_f32_e32 v4, v7, v8
	s_waitcnt lgkmcnt(1)
	v_add_f32_e32 v6, v11, v12
	;; [unrolled: 2-line block ×3, first 2 shown]
	s_waitcnt vmcnt(0)
	v_and_b32_e32 v8, 0x3c3, v10
	v_cmp_eq_u32_e32 vcc, 64, v8
	s_and_saveexec_b64 s[0:1], vcc
	s_cbranch_execz .LBB186_444
; %bb.443:
	v_add_u32_e32 v9, 0x210, v15
	ds_write2_b32 v9, v0, v1 offset1:16
	ds_write2_b32 v9, v2, v3 offset0:32 offset1:48
	ds_write2_b32 v9, v4, v5 offset0:64 offset1:80
	;; [unrolled: 1-line block ×3, first 2 shown]
.LBB186_444:
	s_or_b64 exec, exec, s[0:1]
	v_cmp_gt_u32_e32 vcc, 64, v10
	s_waitcnt lgkmcnt(0)
	s_barrier
	s_and_saveexec_b64 s[0:1], vcc
	s_cbranch_execz .LBB186_455
; %bb.445:
	buffer_load_dword v9, off, s[56:59], 0 offset:100 ; 4-byte Folded Reload
	buffer_load_dword v10, off, s[56:59], 0 offset:104 ; 4-byte Folded Reload
	s_waitcnt vmcnt(1)
	v_cmp_eq_u32_e32 vcc, 0, v9
	v_mov_b32_e32 v9, 0x210
	s_waitcnt vmcnt(0)
	v_lshl_add_u32 v9, v10, 2, v9
	s_and_saveexec_b64 s[2:3], vcc
	s_cbranch_execnz .LBB186_458
; %bb.446:
	s_or_b64 exec, exec, s[2:3]
	s_and_saveexec_b64 s[2:3], vcc
	s_cbranch_execnz .LBB186_459
.LBB186_447:
	s_or_b64 exec, exec, s[2:3]
	s_and_saveexec_b64 s[2:3], vcc
	s_cbranch_execnz .LBB186_460
.LBB186_448:
	s_or_b64 exec, exec, s[2:3]
	s_and_saveexec_b64 s[2:3], vcc
	s_cbranch_execnz .LBB186_461
.LBB186_449:
	s_or_b64 exec, exec, s[2:3]
	s_and_saveexec_b64 s[2:3], vcc
	s_cbranch_execnz .LBB186_462
.LBB186_450:
	s_or_b64 exec, exec, s[2:3]
	s_and_saveexec_b64 s[2:3], vcc
	s_cbranch_execnz .LBB186_463
.LBB186_451:
	s_or_b64 exec, exec, s[2:3]
	s_and_saveexec_b64 s[2:3], vcc
	s_cbranch_execnz .LBB186_464
.LBB186_452:
	s_or_b64 exec, exec, s[2:3]
	s_and_saveexec_b64 s[2:3], vcc
	s_cbranch_execz .LBB186_454
.LBB186_453:
	ds_read_b32 v9, v9 offset:448
	s_waitcnt lgkmcnt(0)
	v_add_f32_e32 v7, v7, v9
.LBB186_454:
	s_or_b64 exec, exec, s[2:3]
.LBB186_455:
	s_or_b64 exec, exec, s[0:1]
	v_cmp_eq_u32_e32 vcc, 0, v8
	s_barrier
	s_and_saveexec_b64 s[0:1], vcc
	s_cbranch_execz .LBB186_457
; %bb.456:
	buffer_load_dword v8, off, s[56:59], 0 offset:96 ; 4-byte Folded Reload
	s_mul_i32 s0, s10, s11
	s_mul_i32 s0, s0, s9
	s_lshl_b32 s0, s0, 7
	s_ashr_i32 s1, s0, 31
	s_lshl_b64 s[0:1], s[0:1], 2
	s_add_u32 s2, s26, s0
	s_mul_i32 s0, s11, s24
	s_addc_u32 s3, s27, s1
	s_ashr_i32 s1, s0, 31
	s_lshl_b64 s[0:1], s[0:1], 2
	s_add_u32 s2, s2, s0
	s_addc_u32 s3, s3, s1
	s_lshl_b32 s0, s8, 7
	s_ashr_i32 s1, s0, 31
	s_lshl_b64 s[0:1], s[0:1], 2
	s_add_u32 s0, s2, s0
	s_addc_u32 s1, s3, s1
	s_waitcnt vmcnt(0)
	global_store_dword v8, v0, s[0:1]
	global_store_dword v8, v1, s[0:1] offset:64
	global_store_dword v8, v2, s[0:1] offset:128
	;; [unrolled: 1-line block ×7, first 2 shown]
.LBB186_457:
	s_endpgm
.LBB186_458:
	ds_read_b32 v10, v9
	s_waitcnt lgkmcnt(0)
	v_add_f32_e32 v0, v0, v10
	s_or_b64 exec, exec, s[2:3]
	s_and_saveexec_b64 s[2:3], vcc
	s_cbranch_execz .LBB186_447
.LBB186_459:
	ds_read_b32 v10, v9 offset:64
	s_waitcnt lgkmcnt(0)
	v_add_f32_e32 v1, v1, v10
	s_or_b64 exec, exec, s[2:3]
	s_and_saveexec_b64 s[2:3], vcc
	s_cbranch_execz .LBB186_448
.LBB186_460:
	ds_read_b32 v10, v9 offset:128
	s_waitcnt lgkmcnt(0)
	v_add_f32_e32 v2, v2, v10
	s_or_b64 exec, exec, s[2:3]
	s_and_saveexec_b64 s[2:3], vcc
	s_cbranch_execz .LBB186_449
.LBB186_461:
	ds_read_b32 v10, v9 offset:192
	s_waitcnt lgkmcnt(0)
	v_add_f32_e32 v3, v3, v10
	s_or_b64 exec, exec, s[2:3]
	s_and_saveexec_b64 s[2:3], vcc
	s_cbranch_execz .LBB186_450
.LBB186_462:
	ds_read_b32 v10, v9 offset:256
	s_waitcnt lgkmcnt(0)
	v_add_f32_e32 v4, v4, v10
	s_or_b64 exec, exec, s[2:3]
	s_and_saveexec_b64 s[2:3], vcc
	s_cbranch_execz .LBB186_451
.LBB186_463:
	ds_read_b32 v10, v9 offset:320
	s_waitcnt lgkmcnt(0)
	v_add_f32_e32 v5, v5, v10
	s_or_b64 exec, exec, s[2:3]
	s_and_saveexec_b64 s[2:3], vcc
	s_cbranch_execz .LBB186_452
.LBB186_464:
	ds_read_b32 v10, v9 offset:384
	s_waitcnt lgkmcnt(0)
	v_add_f32_e32 v6, v6, v10
	s_or_b64 exec, exec, s[2:3]
	s_and_saveexec_b64 s[2:3], vcc
	s_cbranch_execnz .LBB186_453
	s_branch .LBB186_454
	.section	.rodata,"a",@progbits
	.p2align	6, 0x0
	.amdhsa_kernel _ZN4vllm25paged_attention_v1_kernelIfhLi128ELi16ELi128ELNS_18Fp8KVCacheDataTypeE1ELb1EEEvPT_PKS2_PKT0_S8_ifPKiSA_iPKfiiiSC_SC_iiiii
		.amdhsa_group_segment_fixed_size 528
		.amdhsa_private_segment_fixed_size 120
		.amdhsa_kernarg_size 384
		.amdhsa_user_sgpr_count 6
		.amdhsa_user_sgpr_private_segment_buffer 1
		.amdhsa_user_sgpr_dispatch_ptr 0
		.amdhsa_user_sgpr_queue_ptr 0
		.amdhsa_user_sgpr_kernarg_segment_ptr 1
		.amdhsa_user_sgpr_dispatch_id 0
		.amdhsa_user_sgpr_flat_scratch_init 0
		.amdhsa_user_sgpr_private_segment_size 0
		.amdhsa_uses_dynamic_stack 0
		.amdhsa_system_sgpr_private_segment_wavefront_offset 1
		.amdhsa_system_sgpr_workgroup_id_x 1
		.amdhsa_system_sgpr_workgroup_id_y 1
		.amdhsa_system_sgpr_workgroup_id_z 1
		.amdhsa_system_sgpr_workgroup_info 0
		.amdhsa_system_vgpr_workitem_id 0
		.amdhsa_next_free_vgpr 64
		.amdhsa_next_free_sgpr 60
		.amdhsa_reserve_vcc 1
		.amdhsa_reserve_flat_scratch 0
		.amdhsa_float_round_mode_32 0
		.amdhsa_float_round_mode_16_64 0
		.amdhsa_float_denorm_mode_32 3
		.amdhsa_float_denorm_mode_16_64 3
		.amdhsa_dx10_clamp 1
		.amdhsa_ieee_mode 1
		.amdhsa_fp16_overflow 0
		.amdhsa_exception_fp_ieee_invalid_op 0
		.amdhsa_exception_fp_denorm_src 0
		.amdhsa_exception_fp_ieee_div_zero 0
		.amdhsa_exception_fp_ieee_overflow 0
		.amdhsa_exception_fp_ieee_underflow 0
		.amdhsa_exception_fp_ieee_inexact 0
		.amdhsa_exception_int_div_zero 0
	.end_amdhsa_kernel
	.section	.text._ZN4vllm25paged_attention_v1_kernelIfhLi128ELi16ELi128ELNS_18Fp8KVCacheDataTypeE1ELb1EEEvPT_PKS2_PKT0_S8_ifPKiSA_iPKfiiiSC_SC_iiiii,"axG",@progbits,_ZN4vllm25paged_attention_v1_kernelIfhLi128ELi16ELi128ELNS_18Fp8KVCacheDataTypeE1ELb1EEEvPT_PKS2_PKT0_S8_ifPKiSA_iPKfiiiSC_SC_iiiii,comdat
.Lfunc_end186:
	.size	_ZN4vllm25paged_attention_v1_kernelIfhLi128ELi16ELi128ELNS_18Fp8KVCacheDataTypeE1ELb1EEEvPT_PKS2_PKT0_S8_ifPKiSA_iPKfiiiSC_SC_iiiii, .Lfunc_end186-_ZN4vllm25paged_attention_v1_kernelIfhLi128ELi16ELi128ELNS_18Fp8KVCacheDataTypeE1ELb1EEEvPT_PKS2_PKT0_S8_ifPKiSA_iPKfiiiSC_SC_iiiii
                                        ; -- End function
	.set _ZN4vllm25paged_attention_v1_kernelIfhLi128ELi16ELi128ELNS_18Fp8KVCacheDataTypeE1ELb1EEEvPT_PKS2_PKT0_S8_ifPKiSA_iPKfiiiSC_SC_iiiii.num_vgpr, 64
	.set _ZN4vllm25paged_attention_v1_kernelIfhLi128ELi16ELi128ELNS_18Fp8KVCacheDataTypeE1ELb1EEEvPT_PKS2_PKT0_S8_ifPKiSA_iPKfiiiSC_SC_iiiii.num_agpr, 0
	.set _ZN4vllm25paged_attention_v1_kernelIfhLi128ELi16ELi128ELNS_18Fp8KVCacheDataTypeE1ELb1EEEvPT_PKS2_PKT0_S8_ifPKiSA_iPKfiiiSC_SC_iiiii.numbered_sgpr, 60
	.set _ZN4vllm25paged_attention_v1_kernelIfhLi128ELi16ELi128ELNS_18Fp8KVCacheDataTypeE1ELb1EEEvPT_PKS2_PKT0_S8_ifPKiSA_iPKfiiiSC_SC_iiiii.num_named_barrier, 0
	.set _ZN4vllm25paged_attention_v1_kernelIfhLi128ELi16ELi128ELNS_18Fp8KVCacheDataTypeE1ELb1EEEvPT_PKS2_PKT0_S8_ifPKiSA_iPKfiiiSC_SC_iiiii.private_seg_size, 120
	.set _ZN4vllm25paged_attention_v1_kernelIfhLi128ELi16ELi128ELNS_18Fp8KVCacheDataTypeE1ELb1EEEvPT_PKS2_PKT0_S8_ifPKiSA_iPKfiiiSC_SC_iiiii.uses_vcc, 1
	.set _ZN4vllm25paged_attention_v1_kernelIfhLi128ELi16ELi128ELNS_18Fp8KVCacheDataTypeE1ELb1EEEvPT_PKS2_PKT0_S8_ifPKiSA_iPKfiiiSC_SC_iiiii.uses_flat_scratch, 0
	.set _ZN4vllm25paged_attention_v1_kernelIfhLi128ELi16ELi128ELNS_18Fp8KVCacheDataTypeE1ELb1EEEvPT_PKS2_PKT0_S8_ifPKiSA_iPKfiiiSC_SC_iiiii.has_dyn_sized_stack, 0
	.set _ZN4vllm25paged_attention_v1_kernelIfhLi128ELi16ELi128ELNS_18Fp8KVCacheDataTypeE1ELb1EEEvPT_PKS2_PKT0_S8_ifPKiSA_iPKfiiiSC_SC_iiiii.has_recursion, 0
	.set _ZN4vllm25paged_attention_v1_kernelIfhLi128ELi16ELi128ELNS_18Fp8KVCacheDataTypeE1ELb1EEEvPT_PKS2_PKT0_S8_ifPKiSA_iPKfiiiSC_SC_iiiii.has_indirect_call, 0
	.section	.AMDGPU.csdata,"",@progbits
; Kernel info:
; codeLenInByte = 18908
; TotalNumSgprs: 64
; NumVgprs: 64
; ScratchSize: 120
; MemoryBound: 0
; FloatMode: 240
; IeeeMode: 1
; LDSByteSize: 528 bytes/workgroup (compile time only)
; SGPRBlocks: 7
; VGPRBlocks: 15
; NumSGPRsForWavesPerEU: 64
; NumVGPRsForWavesPerEU: 64
; Occupancy: 4
; WaveLimiterHint : 1
; COMPUTE_PGM_RSRC2:SCRATCH_EN: 1
; COMPUTE_PGM_RSRC2:USER_SGPR: 6
; COMPUTE_PGM_RSRC2:TRAP_HANDLER: 0
; COMPUTE_PGM_RSRC2:TGID_X_EN: 1
; COMPUTE_PGM_RSRC2:TGID_Y_EN: 1
; COMPUTE_PGM_RSRC2:TGID_Z_EN: 1
; COMPUTE_PGM_RSRC2:TIDIG_COMP_CNT: 0
	.section	.text._ZN4vllm25paged_attention_v1_kernelIfhLi192ELi16ELi128ELNS_18Fp8KVCacheDataTypeE1ELb1EEEvPT_PKS2_PKT0_S8_ifPKiSA_iPKfiiiSC_SC_iiiii,"axG",@progbits,_ZN4vllm25paged_attention_v1_kernelIfhLi192ELi16ELi128ELNS_18Fp8KVCacheDataTypeE1ELb1EEEvPT_PKS2_PKT0_S8_ifPKiSA_iPKfiiiSC_SC_iiiii,comdat
	.protected	_ZN4vllm25paged_attention_v1_kernelIfhLi192ELi16ELi128ELNS_18Fp8KVCacheDataTypeE1ELb1EEEvPT_PKS2_PKT0_S8_ifPKiSA_iPKfiiiSC_SC_iiiii ; -- Begin function _ZN4vllm25paged_attention_v1_kernelIfhLi192ELi16ELi128ELNS_18Fp8KVCacheDataTypeE1ELb1EEEvPT_PKS2_PKT0_S8_ifPKiSA_iPKfiiiSC_SC_iiiii
	.globl	_ZN4vllm25paged_attention_v1_kernelIfhLi192ELi16ELi128ELNS_18Fp8KVCacheDataTypeE1ELb1EEEvPT_PKS2_PKT0_S8_ifPKiSA_iPKfiiiSC_SC_iiiii
	.p2align	8
	.type	_ZN4vllm25paged_attention_v1_kernelIfhLi192ELi16ELi128ELNS_18Fp8KVCacheDataTypeE1ELb1EEEvPT_PKS2_PKT0_S8_ifPKiSA_iPKfiiiSC_SC_iiiii,@function
_ZN4vllm25paged_attention_v1_kernelIfhLi192ELi16ELi128ELNS_18Fp8KVCacheDataTypeE1ELb1EEEvPT_PKS2_PKT0_S8_ifPKiSA_iPKfiiiSC_SC_iiiii: ; @_ZN4vllm25paged_attention_v1_kernelIfhLi192ELi16ELi128ELNS_18Fp8KVCacheDataTypeE1ELb1EEEvPT_PKS2_PKT0_S8_ifPKiSA_iPKfiiiSC_SC_iiiii
; %bb.0:
	s_mov_b64 s[58:59], s[2:3]
	s_mov_b64 s[56:57], s[0:1]
	s_add_u32 s56, s56, s9
	s_load_dword s9, s[4:5], 0x80
	s_load_dwordx2 s[0:1], s[4:5], 0x30
	s_load_dwordx2 s[36:37], s[4:5], 0x20
	s_addc_u32 s57, s57, 0
	s_mov_b32 s10, s7
	s_ashr_i32 s11, s7, 31
	s_lshl_b64 s[2:3], s[10:11], 2
	s_waitcnt lgkmcnt(0)
	s_add_u32 s0, s0, s2
	s_addc_u32 s1, s1, s3
	s_abs_i32 s2, s36
	v_mov_b32_e32 v56, v0
	v_cvt_f32_u32_e32 v0, s2
	s_sub_i32 s11, 0, s2
	s_abs_i32 s7, s9
	s_xor_b32 s3, s9, s36
	v_rcp_iflag_f32_e32 v0, v0
	s_ashr_i32 s3, s3, 31
	s_mov_b32 s48, 0
	v_mul_f32_e32 v0, 0x4f7ffffe, v0
	v_cvt_u32_f32_e32 v0, v0
	v_readfirstlane_b32 s12, v0
	s_mul_i32 s11, s11, s12
	s_mul_hi_u32 s11, s12, s11
	s_add_i32 s12, s12, s11
	s_mul_hi_u32 s11, s7, s12
	s_mul_i32 s12, s11, s2
	s_sub_i32 s7, s7, s12
	s_add_i32 s12, s11, 1
	s_sub_i32 s13, s7, s2
	s_cmp_ge_u32 s7, s2
	s_cselect_b32 s11, s12, s11
	s_cselect_b32 s7, s13, s7
	s_add_i32 s12, s11, 1
	s_cmp_ge_u32 s7, s2
	s_cselect_b32 s2, s12, s11
	s_xor_b32 s2, s2, s3
	s_sub_i32 s11, s2, s3
	s_abs_i32 s12, s11
	v_cvt_f32_u32_e32 v0, s12
	s_load_dwordx2 s[2:3], s[4:5], 0x40
	s_sub_i32 s7, 0, s12
	s_abs_i32 s13, s6
	v_rcp_iflag_f32_e32 v0, v0
	v_mul_f32_e32 v0, 0x4f7ffffe, v0
	v_cvt_u32_f32_e32 v0, v0
	v_readfirstlane_b32 s14, v0
	s_mul_i32 s7, s7, s14
	s_mul_hi_u32 s7, s14, s7
	s_add_i32 s14, s14, s7
	s_waitcnt lgkmcnt(0)
	s_cmp_eq_u64 s[2:3], 0
	s_mul_hi_u32 s14, s13, s14
	s_cbranch_scc1 .LBB187_2
; %bb.1:
	s_ashr_i32 s7, s6, 31
	s_lshl_b64 s[16:17], s[6:7], 2
	s_add_u32 s2, s2, s16
	s_addc_u32 s3, s3, s17
	s_load_dword s48, s[2:3], 0x0
.LBB187_2:
	s_load_dword s33, s[0:1], 0x0
	s_ashr_i32 s15, s11, 31
	s_load_dword s11, s[4:5], 0x88
	s_load_dwordx4 s[16:19], s[4:5], 0x48
	v_lshrrev_b32_e32 v3, 2, v56
	s_waitcnt lgkmcnt(0)
	s_movk_i32 s19, 0xc0
	s_ashr_i32 s7, s6, 31
	v_and_b32_e32 v4, 3, v56
	s_mul_i32 s24, s6, 0xc0
	v_cmp_gt_u32_e32 vcc, s19, v56
	v_lshlrev_b32_e32 v14, 2, v56
	v_lshlrev_b32_e32 v0, 2, v3
	buffer_store_dword v0, off, s[56:59], 0 offset:232 ; 4-byte Folded Spill
	s_and_saveexec_b64 s[0:1], vcc
	s_cbranch_execz .LBB187_5
; %bb.3:
	s_load_dwordx2 s[2:3], s[4:5], 0x8
	s_mul_i32 s20, s16, s10
	s_ashr_i32 s21, s20, 31
	s_lshl_b64 s[20:21], s[20:21], 2
	v_lshlrev_b32_e32 v0, 2, v3
	s_waitcnt lgkmcnt(0)
	s_add_u32 s16, s2, s20
	s_addc_u32 s20, s3, s21
	s_ashr_i32 s25, s24, 31
	s_lshl_b64 s[2:3], s[24:25], 2
	s_add_u32 s2, s16, s2
	s_addc_u32 s3, s20, s3
	global_load_dword v1, v14, s[2:3]
	v_mad_u32_u24 v0, v4, s19, v0
	v_cmp_gt_u32_e32 vcc, 64, v56
	s_waitcnt vmcnt(0)
	ds_write_b32 v0, v1
	s_and_b64 exec, exec, vcc
	s_cbranch_execz .LBB187_5
; %bb.4:
	v_lshlrev_b32_e32 v1, 4, v3
	v_lshlrev_b32_e32 v2, 2, v4
	s_movk_i32 s16, 0x200
	v_or3_b32 v1, v1, v2, s16
	global_load_dword v1, v1, s[2:3]
	s_waitcnt vmcnt(0)
	ds_write_b32 v0, v1 offset:128
.LBB187_5:
	s_or_b64 exec, exec, s[0:1]
	s_mul_i32 s1, s14, s12
	s_sub_i32 s1, s13, s1
	s_xor_b32 s0, s7, s15
	s_add_i32 s3, s14, 1
	s_sub_i32 s7, s1, s12
	s_load_dwordx4 s[20:23], s[4:5], 0x68
	s_load_dword s2, s[4:5], 0x78
	s_cmp_ge_u32 s1, s12
	s_cselect_b32 s3, s3, s14
	s_cselect_b32 s1, s7, s1
	s_add_i32 s7, s3, 1
	s_cmp_ge_u32 s1, s12
	s_cselect_b32 s1, s7, s3
	s_waitcnt lgkmcnt(0)
	s_abs_i32 s25, s23
	v_cvt_f32_u32_e32 v0, s25
	s_xor_b32 s1, s1, s0
	s_sub_i32 s47, s1, s0
	s_sub_i32 s0, 0, s25
	v_rcp_iflag_f32_e32 v0, v0
	s_add_i32 s12, s33, -1
	s_abs_i32 s3, s12
	v_mul_f32_e32 v0, 0x4f7ffffe, v0
	v_cvt_u32_f32_e32 v0, v0
	s_waitcnt vmcnt(0)
	s_barrier
	v_readfirstlane_b32 s46, v0
	s_mul_i32 s0, s0, s46
	s_mul_hi_u32 s0, s46, s0
	s_add_i32 s46, s46, s0
	s_cmp_lt_i32 s2, 0
	s_mul_hi_u32 s7, s3, s46
	s_cbranch_scc0 .LBB187_7
; %bb.6:
	s_mul_i32 s0, s20, s36
	s_add_i32 s0, s47, s0
	s_mul_i32 s0, s0, s2
	s_sub_i32 s36, 1, s0
	s_mov_b64 s[0:1], 0
	s_branch .LBB187_8
.LBB187_7:
	s_mov_b64 s[0:1], -1
                                        ; implicit-def: $sgpr36
.LBB187_8:
	s_load_dwordx2 s[28:29], s[4:5], 0x28
	s_ashr_i32 s16, s12, 31
	s_andn2_b64 vcc, exec, s[0:1]
	s_ashr_i32 s23, s23, 31
	buffer_store_dword v4, off, s[56:59], 0 offset:224 ; 4-byte Folded Spill
	buffer_store_dword v3, off, s[56:59], 0 offset:228 ; 4-byte Folded Spill
	s_cbranch_vccnz .LBB187_10
; %bb.9:
	s_mul_i32 s0, s9, s20
	s_add_i32 s0, s0, s6
	s_mul_i32 s0, s0, s2
	s_add_i32 s36, s0, 1
.LBB187_10:
	s_load_dword s0, s[4:5], 0x38
	s_load_dwordx2 s[26:27], s[4:5], 0x0
	s_load_dwordx2 s[34:35], s[4:5], 0x18
	s_load_dwordx4 s[12:15], s[4:5], 0x58
	s_xor_b32 s1, s16, s23
	s_waitcnt lgkmcnt(0)
	s_mul_i32 s30, s0, s10
	s_mul_i32 s0, s7, s25
	s_sub_i32 s0, s3, s0
	s_ashr_i32 s31, s30, 31
	s_add_i32 s2, s7, 1
	s_sub_i32 s3, s0, s25
	s_cmp_ge_u32 s0, s25
	s_cselect_b32 s2, s2, s7
	s_cselect_b32 s0, s3, s0
	s_add_i32 s3, s2, 1
	s_cmp_ge_u32 s0, s25
	s_cselect_b32 s0, s3, s2
	s_xor_b32 s0, s0, s1
	s_sub_i32 s16, s0, s1
	s_add_i32 s0, s33, 15
	s_ashr_i32 s1, s0, 31
	s_lshr_b32 s1, s1, 28
	s_add_i32 s0, s0, s1
	s_ashr_i32 s20, s0, 4
	v_lshrrev_b32_e32 v0, 6, v56
	v_cmp_gt_i32_e64 s[0:1], s20, v0
	v_mov_b32_e32 v57, 0xff7fffff
	s_mul_i32 s47, s47, s18
	v_lshrrev_b32_e32 v15, 4, v56
	v_lshlrev_b32_e32 v60, 4, v0
	v_mbcnt_lo_u32_b32 v5, -1, 0
	buffer_store_dword v0, off, s[56:59], 0 ; 4-byte Folded Spill
	s_mov_b64 s[18:19], exec
	s_and_b64 s[2:3], s[18:19], s[0:1]
	buffer_store_dword v56, off, s[56:59], 0 offset:220 ; 4-byte Folded Spill
	s_mov_b64 exec, s[2:3]
	s_cbranch_execz .LBB187_310
; %bb.11:
	s_load_dwordx2 s[2:3], s[4:5], 0x10
	s_sub_i32 s49, s16, s21
	s_ashr_i32 s4, s47, 31
	v_bfe_u32 v6, v56, 2, 4
	v_lshlrev_b32_e32 v1, 4, v6
	s_waitcnt lgkmcnt(0)
	s_add_u32 s5, s2, s47
	s_addc_u32 s4, s3, s4
	s_abs_i32 s50, s22
	v_cvt_f32_u32_e32 v0, s50
	v_mov_b32_e32 v2, s4
	s_sub_i32 s4, 0, s50
	v_and_b32_e32 v4, 3, v56
	v_rcp_iflag_f32_e32 v0, v0
	buffer_store_dword v14, off, s[56:59], 0 offset:236 ; 4-byte Folded Spill
	v_cmp_eq_u32_e32 vcc, 0, v4
	s_mov_b32 s51, s17
	v_mul_f32_e32 v0, 0x4f7ffffe, v0
	v_cvt_u32_f32_e32 v0, v0
	v_mul_u32_u24_e32 v61, 0xc0, v4
	v_cmp_neq_f32_e64 s[2:3], s48, 0
	s_mov_b64 s[38:39], 0
	v_mul_lo_u32 v3, s4, v0
	v_add_co_u32_e64 v1, s[4:5], s5, v1
	v_addc_co_u32_e64 v2, s[4:5], 0, v2, s[4:5]
	v_mul_hi_u32 v3, v0, v3
	v_add_co_u32_e64 v1, s[4:5], v1, v4
	v_addc_co_u32_e64 v2, s[4:5], 0, v2, s[4:5]
	v_add_u32_e32 v0, v0, v3
	buffer_store_dword v1, off, s[56:59], 0 offset:200 ; 4-byte Folded Spill
	s_nop 0
	buffer_store_dword v2, off, s[56:59], 0 offset:204 ; 4-byte Folded Spill
	buffer_store_dword v0, off, s[56:59], 0 offset:80 ; 4-byte Folded Spill
	;; [unrolled: 1-line block ×3, first 2 shown]
	buffer_load_dword v50, off, s[56:59], 0 ; 4-byte Folded Reload
	s_lshl_b64 s[4:5], s[30:31], 2
	s_add_u32 s4, s28, s4
	v_and_b32_e32 v0, 60, v15
	s_addc_u32 s5, s29, s5
	v_mov_b32_e32 v1, s5
	v_add_co_u32_e64 v51, s[4:5], s4, v0
	v_subrev_u32_e32 v0, s33, v6
	v_add_u32_e32 v0, 1, v0
	buffer_store_dword v0, off, s[56:59], 0 offset:216 ; 4-byte Folded Spill
	buffer_store_dword v6, off, s[56:59], 0 offset:212 ; 4-byte Folded Spill
	v_lshlrev_b32_e32 v0, 2, v6
	v_addc_co_u32_e64 v52, s[4:5], 0, v1, s[4:5]
	s_movk_i32 s52, 0x80
	s_movk_i32 s53, 0x7f
	v_mov_b32_e32 v57, 0xff7fffff
	s_waitcnt vmcnt(2)
	v_lshl_or_b32 v0, v50, 6, v0
	v_lshlrev_b32_e32 v59, 4, v50
	v_add_u32_e32 v56, 0x310, v0
	v_mbcnt_hi_u32_b32 v0, -1, v5
	buffer_store_dword v0, off, s[56:59], 0 offset:208 ; 4-byte Folded Spill
	s_branch .LBB187_14
.LBB187_12:                             ;   in Loop: Header=BB187_14 Depth=1
	s_or_b64 exec, exec, s[40:41]
.LBB187_13:                             ;   in Loop: Header=BB187_14 Depth=1
	s_or_b64 exec, exec, s[6:7]
	v_add_co_u32_e64 v51, s[4:5], 8, v51
	v_add_u32_e32 v50, 2, v50
	v_addc_co_u32_e64 v52, s[4:5], 0, v52, s[4:5]
	v_cmp_le_i32_e64 s[4:5], s20, v50
	v_add_u32_e32 v59, 32, v59
	s_or_b64 s[38:39], s[4:5], s[38:39]
	v_add_u32_e32 v56, 0x80, v56
	s_andn2_b64 exec, exec, s[38:39]
	s_cbranch_execz .LBB187_309
.LBB187_14:                             ; =>This Inner Loop Header: Depth=1
	buffer_load_dword v3, off, s[56:59], 0 offset:80 ; 4-byte Folded Reload
	v_mul_hi_u32 v0, v59, s46
	s_waitcnt lgkmcnt(0)
	v_mul_lo_u32 v1, v0, s25
	v_add_u32_e32 v2, 1, v0
	v_sub_u32_e32 v1, v59, v1
	v_cmp_le_u32_e64 s[4:5], s25, v1
	v_cndmask_b32_e64 v0, v0, v2, s[4:5]
	v_subrev_u32_e32 v2, s25, v1
	v_cndmask_b32_e64 v1, v1, v2, s[4:5]
	v_add_u32_e32 v2, 1, v0
	v_cmp_le_u32_e64 s[4:5], s25, v1
	v_cndmask_b32_e64 v0, v0, v2, s[4:5]
	v_xor_b32_e32 v0, s23, v0
	v_subrev_u32_e32 v0, s23, v0
	v_add_u32_e32 v1, s36, v0
	v_sub_u32_e32 v2, 0, v1
	v_max_i32_e32 v2, v1, v2
	v_ashrrev_i32_e32 v1, 31, v1
	v_cmp_ge_i32_e64 s[6:7], s49, v0
	s_waitcnt vmcnt(0)
	v_mul_hi_u32 v3, v2, v3
	v_mul_lo_u32 v3, v3, s50
	v_sub_u32_e32 v2, v2, v3
	v_subrev_u32_e32 v3, s50, v2
	v_cmp_le_u32_e64 s[4:5], s50, v2
	v_cndmask_b32_e64 v2, v2, v3, s[4:5]
	v_subrev_u32_e32 v3, s50, v2
	v_cmp_le_u32_e64 s[4:5], s50, v2
	v_cndmask_b32_e64 v2, v2, v3, s[4:5]
	v_xor_b32_e32 v2, v2, v1
	v_sub_u32_e32 v1, v2, v1
	v_cmp_ne_u32_e64 s[4:5], 0, v1
	s_and_b64 s[4:5], s[4:5], s[6:7]
	s_and_saveexec_b64 s[6:7], s[4:5]
	s_xor_b64 s[4:5], exec, s[6:7]
	s_cbranch_execz .LBB187_18
; %bb.15:                               ;   in Loop: Header=BB187_14 Depth=1
	s_and_saveexec_b64 s[6:7], vcc
; %bb.16:                               ;   in Loop: Header=BB187_14 Depth=1
	v_mov_b32_e32 v0, 0xff7fffff
	ds_write_b32 v56, v0
; %bb.17:                               ;   in Loop: Header=BB187_14 Depth=1
	s_or_b64 exec, exec, s[6:7]
.LBB187_18:                             ;   in Loop: Header=BB187_14 Depth=1
	s_andn2_saveexec_b64 s[6:7], s[4:5]
	s_cbranch_execz .LBB187_13
; %bb.19:                               ;   in Loop: Header=BB187_14 Depth=1
	global_load_dword v0, v[51:52], off
	buffer_load_dword v1, off, s[56:59], 0 offset:200 ; 4-byte Folded Reload
	buffer_load_dword v2, off, s[56:59], 0 offset:204 ; 4-byte Folded Reload
	v_mov_b32_e32 v27, 0
	v_mov_b32_e32 v28, 0
	s_waitcnt vmcnt(0)
	v_mad_i64_i32 v[53:54], s[4:5], v0, s51, v[1:2]
	global_load_ubyte v0, v[53:54], off
	ds_read_b128 v[45:48], v61
	ds_read_b128 v[41:44], v61 offset:16
	ds_read_b128 v[37:40], v61 offset:32
	;; [unrolled: 1-line block ×3, first 2 shown]
	s_load_dword s54, s[12:13], 0x0
	ds_read_b128 v[29:32], v61 offset:64
	ds_read_b128 v[1:4], v61 offset:80
	s_waitcnt lgkmcnt(0)
	buffer_store_dword v1, off, s[56:59], 0 offset:180 ; 4-byte Folded Spill
	s_nop 0
	buffer_store_dword v2, off, s[56:59], 0 offset:184 ; 4-byte Folded Spill
	buffer_store_dword v3, off, s[56:59], 0 offset:188 ; 4-byte Folded Spill
	buffer_store_dword v4, off, s[56:59], 0 offset:192 ; 4-byte Folded Spill
	ds_read_b128 v[1:4], v61 offset:96
	s_waitcnt lgkmcnt(0)
	buffer_store_dword v1, off, s[56:59], 0 offset:164 ; 4-byte Folded Spill
	s_nop 0
	buffer_store_dword v2, off, s[56:59], 0 offset:168 ; 4-byte Folded Spill
	buffer_store_dword v3, off, s[56:59], 0 offset:172 ; 4-byte Folded Spill
	buffer_store_dword v4, off, s[56:59], 0 offset:176 ; 4-byte Folded Spill
	;; [unrolled: 7-line block ×7, first 2 shown]
	s_waitcnt vmcnt(28)
	v_cmp_ne_u16_e64 s[4:5], 0, v0
	s_and_saveexec_b64 s[40:41], s[4:5]
	s_cbranch_execz .LBB187_25
; %bb.20:                               ;   in Loop: Header=BB187_14 Depth=1
	v_cmp_ne_u16_e64 s[4:5], s52, v0
	v_bfrev_b32_e32 v28, 1
	s_and_saveexec_b64 s[42:43], s[4:5]
	s_cbranch_execz .LBB187_24
; %bb.21:                               ;   in Loop: Header=BB187_14 Depth=1
	v_and_b32_e32 v55, 0xffff, v0
	v_and_b32_e32 v1, 0x7f, v55
	v_cmp_ne_u32_e64 s[4:5], s53, v1
	v_mov_b32_e32 v28, 0x7f800001
	s_and_saveexec_b64 s[44:45], s[4:5]
	s_cbranch_execz .LBB187_23
; %bb.22:                               ;   in Loop: Header=BB187_14 Depth=1
	v_and_b32_e32 v3, 7, v55
	v_lshrrev_b32_e32 v4, 3, v1
	v_cmp_gt_u32_e64 s[4:5], 8, v1
	v_ffbh_u32_e32 v1, v3
	v_min_u32_e32 v5, 32, v1
	v_subrev_u32_e32 v1, 28, v5
	v_lshlrev_b64 v[1:2], v1, v[55:56]
	v_sub_u32_e32 v2, 29, v5
	v_and_b32_e32 v1, 7, v1
	v_cndmask_b32_e64 v2, v4, v2, s[4:5]
	v_cndmask_b32_e64 v1, v3, v1, s[4:5]
	v_lshlrev_b32_e32 v0, 24, v0
	v_bfrev_b32_e32 v3, 60
	v_lshlrev_b32_e32 v1, 20, v1
	v_and_b32_e32 v0, 0x80000000, v0
	v_lshl_add_u32 v2, v2, 23, v3
	v_or3_b32 v28, v0, v2, v1
.LBB187_23:                             ;   in Loop: Header=BB187_14 Depth=1
	s_or_b64 exec, exec, s[44:45]
.LBB187_24:                             ;   in Loop: Header=BB187_14 Depth=1
	s_or_b64 exec, exec, s[42:43]
.LBB187_25:                             ;   in Loop: Header=BB187_14 Depth=1
	s_or_b64 exec, exec, s[40:41]
	global_load_ubyte v0, v[53:54], off offset:4
	s_waitcnt vmcnt(0)
	v_cmp_ne_u16_e64 s[4:5], 0, v0
	s_and_saveexec_b64 s[40:41], s[4:5]
	s_cbranch_execz .LBB187_31
; %bb.26:                               ;   in Loop: Header=BB187_14 Depth=1
	v_cmp_ne_u16_e64 s[4:5], s52, v0
	v_bfrev_b32_e32 v27, 1
	s_and_saveexec_b64 s[42:43], s[4:5]
	s_cbranch_execz .LBB187_30
; %bb.27:                               ;   in Loop: Header=BB187_14 Depth=1
	v_and_b32_e32 v55, 0xffff, v0
	v_and_b32_e32 v1, 0x7f, v55
	v_cmp_ne_u32_e64 s[4:5], s53, v1
	v_mov_b32_e32 v27, 0x7f800001
	s_and_saveexec_b64 s[44:45], s[4:5]
	s_cbranch_execz .LBB187_29
; %bb.28:                               ;   in Loop: Header=BB187_14 Depth=1
	v_and_b32_e32 v3, 7, v55
	v_lshrrev_b32_e32 v4, 3, v1
	v_cmp_gt_u32_e64 s[4:5], 8, v1
	v_ffbh_u32_e32 v1, v3
	v_min_u32_e32 v5, 32, v1
	v_subrev_u32_e32 v1, 28, v5
	v_lshlrev_b64 v[1:2], v1, v[55:56]
	v_sub_u32_e32 v2, 29, v5
	v_and_b32_e32 v1, 7, v1
	v_cndmask_b32_e64 v2, v4, v2, s[4:5]
	v_cndmask_b32_e64 v1, v3, v1, s[4:5]
	v_lshlrev_b32_e32 v0, 24, v0
	v_bfrev_b32_e32 v3, 60
	v_lshlrev_b32_e32 v1, 20, v1
	v_and_b32_e32 v0, 0x80000000, v0
	v_lshl_add_u32 v2, v2, 23, v3
	v_or3_b32 v27, v0, v2, v1
.LBB187_29:                             ;   in Loop: Header=BB187_14 Depth=1
	s_or_b64 exec, exec, s[44:45]
.LBB187_30:                             ;   in Loop: Header=BB187_14 Depth=1
	s_or_b64 exec, exec, s[42:43]
.LBB187_31:                             ;   in Loop: Header=BB187_14 Depth=1
	s_or_b64 exec, exec, s[40:41]
	global_load_ubyte v0, v[53:54], off offset:8
	v_mov_b32_e32 v49, 0
	v_mov_b32_e32 v63, 0
	s_waitcnt vmcnt(0)
	v_cmp_ne_u16_e64 s[4:5], 0, v0
	s_and_saveexec_b64 s[40:41], s[4:5]
	s_cbranch_execz .LBB187_37
; %bb.32:                               ;   in Loop: Header=BB187_14 Depth=1
	v_cmp_ne_u16_e64 s[4:5], s52, v0
	v_bfrev_b32_e32 v63, 1
	s_and_saveexec_b64 s[42:43], s[4:5]
	s_cbranch_execz .LBB187_36
; %bb.33:                               ;   in Loop: Header=BB187_14 Depth=1
	v_and_b32_e32 v55, 0xffff, v0
	v_and_b32_e32 v1, 0x7f, v55
	v_cmp_ne_u32_e64 s[4:5], s53, v1
	v_mov_b32_e32 v63, 0x7f800001
	s_and_saveexec_b64 s[44:45], s[4:5]
	s_cbranch_execz .LBB187_35
; %bb.34:                               ;   in Loop: Header=BB187_14 Depth=1
	v_and_b32_e32 v3, 7, v55
	v_lshrrev_b32_e32 v4, 3, v1
	v_cmp_gt_u32_e64 s[4:5], 8, v1
	v_ffbh_u32_e32 v1, v3
	v_min_u32_e32 v5, 32, v1
	v_subrev_u32_e32 v1, 28, v5
	v_lshlrev_b64 v[1:2], v1, v[55:56]
	v_sub_u32_e32 v2, 29, v5
	v_and_b32_e32 v1, 7, v1
	v_cndmask_b32_e64 v2, v4, v2, s[4:5]
	v_cndmask_b32_e64 v1, v3, v1, s[4:5]
	v_lshlrev_b32_e32 v0, 24, v0
	v_bfrev_b32_e32 v3, 60
	v_lshlrev_b32_e32 v1, 20, v1
	v_and_b32_e32 v0, 0x80000000, v0
	v_lshl_add_u32 v2, v2, 23, v3
	v_or3_b32 v63, v0, v2, v1
.LBB187_35:                             ;   in Loop: Header=BB187_14 Depth=1
	s_or_b64 exec, exec, s[44:45]
.LBB187_36:                             ;   in Loop: Header=BB187_14 Depth=1
	s_or_b64 exec, exec, s[42:43]
.LBB187_37:                             ;   in Loop: Header=BB187_14 Depth=1
	s_or_b64 exec, exec, s[40:41]
	global_load_ubyte v0, v[53:54], off offset:12
	s_waitcnt vmcnt(0)
	v_cmp_ne_u16_e64 s[4:5], 0, v0
	s_and_saveexec_b64 s[40:41], s[4:5]
	s_cbranch_execz .LBB187_43
; %bb.38:                               ;   in Loop: Header=BB187_14 Depth=1
	v_cmp_ne_u16_e64 s[4:5], s52, v0
	v_bfrev_b32_e32 v49, 1
	s_and_saveexec_b64 s[42:43], s[4:5]
	s_cbranch_execz .LBB187_42
; %bb.39:                               ;   in Loop: Header=BB187_14 Depth=1
	v_and_b32_e32 v55, 0xffff, v0
	v_and_b32_e32 v1, 0x7f, v55
	v_cmp_ne_u32_e64 s[4:5], s53, v1
	v_mov_b32_e32 v49, 0x7f800001
	s_and_saveexec_b64 s[44:45], s[4:5]
	s_cbranch_execz .LBB187_41
; %bb.40:                               ;   in Loop: Header=BB187_14 Depth=1
	v_and_b32_e32 v3, 7, v55
	v_lshrrev_b32_e32 v4, 3, v1
	v_cmp_gt_u32_e64 s[4:5], 8, v1
	v_ffbh_u32_e32 v1, v3
	v_min_u32_e32 v5, 32, v1
	v_subrev_u32_e32 v1, 28, v5
	v_lshlrev_b64 v[1:2], v1, v[55:56]
	v_sub_u32_e32 v2, 29, v5
	v_and_b32_e32 v1, 7, v1
	v_cndmask_b32_e64 v2, v4, v2, s[4:5]
	v_cndmask_b32_e64 v1, v3, v1, s[4:5]
	v_lshlrev_b32_e32 v0, 24, v0
	v_bfrev_b32_e32 v3, 60
	v_lshlrev_b32_e32 v1, 20, v1
	v_and_b32_e32 v0, 0x80000000, v0
	v_lshl_add_u32 v2, v2, 23, v3
	v_or3_b32 v49, v0, v2, v1
.LBB187_41:                             ;   in Loop: Header=BB187_14 Depth=1
	s_or_b64 exec, exec, s[44:45]
.LBB187_42:                             ;   in Loop: Header=BB187_14 Depth=1
	s_or_b64 exec, exec, s[42:43]
.LBB187_43:                             ;   in Loop: Header=BB187_14 Depth=1
	s_or_b64 exec, exec, s[40:41]
	global_load_ubyte v0, v[53:54], off offset:256
	v_mov_b32_e32 v62, 0
	v_mov_b32_e32 v26, 0
	s_waitcnt vmcnt(0)
	v_cmp_ne_u16_e64 s[4:5], 0, v0
	s_and_saveexec_b64 s[40:41], s[4:5]
	s_cbranch_execz .LBB187_49
; %bb.44:                               ;   in Loop: Header=BB187_14 Depth=1
	v_cmp_ne_u16_e64 s[4:5], s52, v0
	v_bfrev_b32_e32 v26, 1
	s_and_saveexec_b64 s[42:43], s[4:5]
	s_cbranch_execz .LBB187_48
; %bb.45:                               ;   in Loop: Header=BB187_14 Depth=1
	v_and_b32_e32 v55, 0xffff, v0
	v_and_b32_e32 v1, 0x7f, v55
	v_cmp_ne_u32_e64 s[4:5], s53, v1
	v_mov_b32_e32 v26, 0x7f800001
	s_and_saveexec_b64 s[44:45], s[4:5]
	s_cbranch_execz .LBB187_47
; %bb.46:                               ;   in Loop: Header=BB187_14 Depth=1
	v_and_b32_e32 v3, 7, v55
	v_lshrrev_b32_e32 v4, 3, v1
	v_cmp_gt_u32_e64 s[4:5], 8, v1
	v_ffbh_u32_e32 v1, v3
	v_min_u32_e32 v5, 32, v1
	v_subrev_u32_e32 v1, 28, v5
	v_lshlrev_b64 v[1:2], v1, v[55:56]
	v_sub_u32_e32 v2, 29, v5
	v_and_b32_e32 v1, 7, v1
	v_cndmask_b32_e64 v2, v4, v2, s[4:5]
	v_cndmask_b32_e64 v1, v3, v1, s[4:5]
	v_lshlrev_b32_e32 v0, 24, v0
	v_bfrev_b32_e32 v3, 60
	v_lshlrev_b32_e32 v1, 20, v1
	v_and_b32_e32 v0, 0x80000000, v0
	v_lshl_add_u32 v2, v2, 23, v3
	v_or3_b32 v26, v0, v2, v1
.LBB187_47:                             ;   in Loop: Header=BB187_14 Depth=1
	s_or_b64 exec, exec, s[44:45]
.LBB187_48:                             ;   in Loop: Header=BB187_14 Depth=1
	s_or_b64 exec, exec, s[42:43]
.LBB187_49:                             ;   in Loop: Header=BB187_14 Depth=1
	s_or_b64 exec, exec, s[40:41]
	global_load_ubyte v0, v[53:54], off offset:260
	s_waitcnt vmcnt(0)
	v_cmp_ne_u16_e64 s[4:5], 0, v0
	s_and_saveexec_b64 s[40:41], s[4:5]
	s_cbranch_execz .LBB187_55
; %bb.50:                               ;   in Loop: Header=BB187_14 Depth=1
	v_cmp_ne_u16_e64 s[4:5], s52, v0
	v_bfrev_b32_e32 v62, 1
	s_and_saveexec_b64 s[42:43], s[4:5]
	s_cbranch_execz .LBB187_54
; %bb.51:                               ;   in Loop: Header=BB187_14 Depth=1
	v_and_b32_e32 v55, 0xffff, v0
	v_and_b32_e32 v1, 0x7f, v55
	v_cmp_ne_u32_e64 s[4:5], s53, v1
	v_mov_b32_e32 v62, 0x7f800001
	s_and_saveexec_b64 s[44:45], s[4:5]
	s_cbranch_execz .LBB187_53
; %bb.52:                               ;   in Loop: Header=BB187_14 Depth=1
	v_and_b32_e32 v3, 7, v55
	v_lshrrev_b32_e32 v4, 3, v1
	v_cmp_gt_u32_e64 s[4:5], 8, v1
	v_ffbh_u32_e32 v1, v3
	v_min_u32_e32 v5, 32, v1
	v_subrev_u32_e32 v1, 28, v5
	v_lshlrev_b64 v[1:2], v1, v[55:56]
	v_sub_u32_e32 v2, 29, v5
	v_and_b32_e32 v1, 7, v1
	v_cndmask_b32_e64 v2, v4, v2, s[4:5]
	v_cndmask_b32_e64 v1, v3, v1, s[4:5]
	v_lshlrev_b32_e32 v0, 24, v0
	v_bfrev_b32_e32 v3, 60
	v_lshlrev_b32_e32 v1, 20, v1
	v_and_b32_e32 v0, 0x80000000, v0
	v_lshl_add_u32 v2, v2, 23, v3
	v_or3_b32 v62, v0, v2, v1
.LBB187_53:                             ;   in Loop: Header=BB187_14 Depth=1
	s_or_b64 exec, exec, s[44:45]
.LBB187_54:                             ;   in Loop: Header=BB187_14 Depth=1
	s_or_b64 exec, exec, s[42:43]
.LBB187_55:                             ;   in Loop: Header=BB187_14 Depth=1
	s_or_b64 exec, exec, s[40:41]
	global_load_ubyte v0, v[53:54], off offset:264
	v_mov_b32_e32 v25, 0
	v_mov_b32_e32 v1, 0
	buffer_store_dword v1, off, s[56:59], 0 offset:4 ; 4-byte Folded Spill
	s_waitcnt vmcnt(1)
	v_cmp_ne_u16_e64 s[4:5], 0, v0
	s_and_saveexec_b64 s[40:41], s[4:5]
	s_cbranch_execz .LBB187_61
; %bb.56:                               ;   in Loop: Header=BB187_14 Depth=1
	v_cmp_ne_u16_e64 s[4:5], s52, v0
	v_bfrev_b32_e32 v1, 1
	buffer_store_dword v1, off, s[56:59], 0 offset:4 ; 4-byte Folded Spill
	s_and_saveexec_b64 s[42:43], s[4:5]
	s_cbranch_execz .LBB187_60
; %bb.57:                               ;   in Loop: Header=BB187_14 Depth=1
	v_and_b32_e32 v55, 0xffff, v0
	v_and_b32_e32 v1, 0x7f, v55
	v_cmp_ne_u32_e64 s[4:5], s53, v1
	v_mov_b32_e32 v2, 0x7f800001
	buffer_store_dword v2, off, s[56:59], 0 offset:4 ; 4-byte Folded Spill
	s_and_saveexec_b64 s[44:45], s[4:5]
	s_cbranch_execz .LBB187_59
; %bb.58:                               ;   in Loop: Header=BB187_14 Depth=1
	v_and_b32_e32 v3, 7, v55
	v_lshrrev_b32_e32 v4, 3, v1
	v_cmp_gt_u32_e64 s[4:5], 8, v1
	v_ffbh_u32_e32 v1, v3
	v_min_u32_e32 v5, 32, v1
	v_subrev_u32_e32 v1, 28, v5
	v_lshlrev_b64 v[1:2], v1, v[55:56]
	v_sub_u32_e32 v2, 29, v5
	v_and_b32_e32 v1, 7, v1
	v_cndmask_b32_e64 v2, v4, v2, s[4:5]
	v_cndmask_b32_e64 v1, v3, v1, s[4:5]
	v_lshlrev_b32_e32 v0, 24, v0
	v_bfrev_b32_e32 v3, 60
	v_lshlrev_b32_e32 v1, 20, v1
	v_and_b32_e32 v0, 0x80000000, v0
	v_lshl_add_u32 v2, v2, 23, v3
	v_or3_b32 v0, v0, v2, v1
	buffer_store_dword v0, off, s[56:59], 0 offset:4 ; 4-byte Folded Spill
.LBB187_59:                             ;   in Loop: Header=BB187_14 Depth=1
	s_or_b64 exec, exec, s[44:45]
.LBB187_60:                             ;   in Loop: Header=BB187_14 Depth=1
	s_or_b64 exec, exec, s[42:43]
.LBB187_61:                             ;   in Loop: Header=BB187_14 Depth=1
	s_or_b64 exec, exec, s[40:41]
	global_load_ubyte v0, v[53:54], off offset:268
	s_waitcnt vmcnt(0)
	v_cmp_ne_u16_e64 s[4:5], 0, v0
	s_and_saveexec_b64 s[40:41], s[4:5]
	s_cbranch_execz .LBB187_67
; %bb.62:                               ;   in Loop: Header=BB187_14 Depth=1
	v_cmp_ne_u16_e64 s[4:5], s52, v0
	v_bfrev_b32_e32 v25, 1
	s_and_saveexec_b64 s[42:43], s[4:5]
	s_cbranch_execz .LBB187_66
; %bb.63:                               ;   in Loop: Header=BB187_14 Depth=1
	v_and_b32_e32 v55, 0xffff, v0
	v_and_b32_e32 v1, 0x7f, v55
	v_cmp_ne_u32_e64 s[4:5], s53, v1
	v_mov_b32_e32 v25, 0x7f800001
	s_and_saveexec_b64 s[44:45], s[4:5]
	s_cbranch_execz .LBB187_65
; %bb.64:                               ;   in Loop: Header=BB187_14 Depth=1
	v_and_b32_e32 v3, 7, v55
	v_lshrrev_b32_e32 v4, 3, v1
	v_cmp_gt_u32_e64 s[4:5], 8, v1
	v_ffbh_u32_e32 v1, v3
	v_min_u32_e32 v5, 32, v1
	v_subrev_u32_e32 v1, 28, v5
	v_lshlrev_b64 v[1:2], v1, v[55:56]
	v_sub_u32_e32 v2, 29, v5
	v_and_b32_e32 v1, 7, v1
	v_cndmask_b32_e64 v2, v4, v2, s[4:5]
	v_cndmask_b32_e64 v1, v3, v1, s[4:5]
	v_lshlrev_b32_e32 v0, 24, v0
	v_bfrev_b32_e32 v3, 60
	v_lshlrev_b32_e32 v1, 20, v1
	v_and_b32_e32 v0, 0x80000000, v0
	v_lshl_add_u32 v2, v2, 23, v3
	v_or3_b32 v25, v0, v2, v1
.LBB187_65:                             ;   in Loop: Header=BB187_14 Depth=1
	s_or_b64 exec, exec, s[44:45]
.LBB187_66:                             ;   in Loop: Header=BB187_14 Depth=1
	s_or_b64 exec, exec, s[42:43]
.LBB187_67:                             ;   in Loop: Header=BB187_14 Depth=1
	s_or_b64 exec, exec, s[40:41]
	global_load_ubyte v0, v[53:54], off offset:512
	v_mov_b32_e32 v1, 0
	buffer_store_dword v1, off, s[56:59], 0 offset:8 ; 4-byte Folded Spill
	v_mov_b32_e32 v1, 0
	buffer_store_dword v1, off, s[56:59], 0 offset:12 ; 4-byte Folded Spill
	s_waitcnt vmcnt(2)
	v_cmp_ne_u16_e64 s[4:5], 0, v0
	s_and_saveexec_b64 s[40:41], s[4:5]
	s_cbranch_execz .LBB187_73
; %bb.68:                               ;   in Loop: Header=BB187_14 Depth=1
	v_cmp_ne_u16_e64 s[4:5], s52, v0
	v_bfrev_b32_e32 v1, 1
	buffer_store_dword v1, off, s[56:59], 0 offset:12 ; 4-byte Folded Spill
	s_and_saveexec_b64 s[42:43], s[4:5]
	s_cbranch_execz .LBB187_72
; %bb.69:                               ;   in Loop: Header=BB187_14 Depth=1
	v_and_b32_e32 v55, 0xffff, v0
	v_and_b32_e32 v1, 0x7f, v55
	v_cmp_ne_u32_e64 s[4:5], s53, v1
	v_mov_b32_e32 v2, 0x7f800001
	buffer_store_dword v2, off, s[56:59], 0 offset:12 ; 4-byte Folded Spill
	s_and_saveexec_b64 s[44:45], s[4:5]
	s_cbranch_execz .LBB187_71
; %bb.70:                               ;   in Loop: Header=BB187_14 Depth=1
	v_and_b32_e32 v3, 7, v55
	v_lshrrev_b32_e32 v4, 3, v1
	v_cmp_gt_u32_e64 s[4:5], 8, v1
	v_ffbh_u32_e32 v1, v3
	v_min_u32_e32 v5, 32, v1
	v_subrev_u32_e32 v1, 28, v5
	v_lshlrev_b64 v[1:2], v1, v[55:56]
	v_sub_u32_e32 v2, 29, v5
	v_and_b32_e32 v1, 7, v1
	v_cndmask_b32_e64 v2, v4, v2, s[4:5]
	v_cndmask_b32_e64 v1, v3, v1, s[4:5]
	v_lshlrev_b32_e32 v0, 24, v0
	v_bfrev_b32_e32 v3, 60
	v_lshlrev_b32_e32 v1, 20, v1
	v_and_b32_e32 v0, 0x80000000, v0
	v_lshl_add_u32 v2, v2, 23, v3
	v_or3_b32 v0, v0, v2, v1
	buffer_store_dword v0, off, s[56:59], 0 offset:12 ; 4-byte Folded Spill
.LBB187_71:                             ;   in Loop: Header=BB187_14 Depth=1
	s_or_b64 exec, exec, s[44:45]
.LBB187_72:                             ;   in Loop: Header=BB187_14 Depth=1
	s_or_b64 exec, exec, s[42:43]
.LBB187_73:                             ;   in Loop: Header=BB187_14 Depth=1
	s_or_b64 exec, exec, s[40:41]
	global_load_ubyte v0, v[53:54], off offset:516
	s_waitcnt vmcnt(0)
	v_cmp_ne_u16_e64 s[4:5], 0, v0
	s_and_saveexec_b64 s[40:41], s[4:5]
	s_cbranch_execz .LBB187_79
; %bb.74:                               ;   in Loop: Header=BB187_14 Depth=1
	v_cmp_ne_u16_e64 s[4:5], s52, v0
	v_bfrev_b32_e32 v1, 1
	buffer_store_dword v1, off, s[56:59], 0 offset:8 ; 4-byte Folded Spill
	s_and_saveexec_b64 s[42:43], s[4:5]
	s_cbranch_execz .LBB187_78
; %bb.75:                               ;   in Loop: Header=BB187_14 Depth=1
	v_and_b32_e32 v55, 0xffff, v0
	v_and_b32_e32 v1, 0x7f, v55
	v_cmp_ne_u32_e64 s[4:5], s53, v1
	v_mov_b32_e32 v2, 0x7f800001
	buffer_store_dword v2, off, s[56:59], 0 offset:8 ; 4-byte Folded Spill
	s_and_saveexec_b64 s[44:45], s[4:5]
	s_cbranch_execz .LBB187_77
; %bb.76:                               ;   in Loop: Header=BB187_14 Depth=1
	v_and_b32_e32 v3, 7, v55
	v_lshrrev_b32_e32 v4, 3, v1
	v_cmp_gt_u32_e64 s[4:5], 8, v1
	v_ffbh_u32_e32 v1, v3
	v_min_u32_e32 v5, 32, v1
	v_subrev_u32_e32 v1, 28, v5
	v_lshlrev_b64 v[1:2], v1, v[55:56]
	v_sub_u32_e32 v2, 29, v5
	v_and_b32_e32 v1, 7, v1
	v_cndmask_b32_e64 v2, v4, v2, s[4:5]
	v_cndmask_b32_e64 v1, v3, v1, s[4:5]
	v_lshlrev_b32_e32 v0, 24, v0
	v_bfrev_b32_e32 v3, 60
	v_lshlrev_b32_e32 v1, 20, v1
	v_and_b32_e32 v0, 0x80000000, v0
	v_lshl_add_u32 v2, v2, 23, v3
	v_or3_b32 v0, v0, v2, v1
	buffer_store_dword v0, off, s[56:59], 0 offset:8 ; 4-byte Folded Spill
.LBB187_77:                             ;   in Loop: Header=BB187_14 Depth=1
	s_or_b64 exec, exec, s[44:45]
.LBB187_78:                             ;   in Loop: Header=BB187_14 Depth=1
	s_or_b64 exec, exec, s[42:43]
.LBB187_79:                             ;   in Loop: Header=BB187_14 Depth=1
	s_or_b64 exec, exec, s[40:41]
	global_load_ubyte v0, v[53:54], off offset:520
	v_mov_b32_e32 v1, 0
	buffer_store_dword v1, off, s[56:59], 0 offset:16 ; 4-byte Folded Spill
	v_mov_b32_e32 v1, 0
	buffer_store_dword v1, off, s[56:59], 0 offset:20 ; 4-byte Folded Spill
	s_waitcnt vmcnt(2)
	v_cmp_ne_u16_e64 s[4:5], 0, v0
	s_and_saveexec_b64 s[40:41], s[4:5]
	s_cbranch_execz .LBB187_85
; %bb.80:                               ;   in Loop: Header=BB187_14 Depth=1
	v_cmp_ne_u16_e64 s[4:5], s52, v0
	v_bfrev_b32_e32 v1, 1
	buffer_store_dword v1, off, s[56:59], 0 offset:20 ; 4-byte Folded Spill
	s_and_saveexec_b64 s[42:43], s[4:5]
	s_cbranch_execz .LBB187_84
; %bb.81:                               ;   in Loop: Header=BB187_14 Depth=1
	v_and_b32_e32 v55, 0xffff, v0
	v_and_b32_e32 v1, 0x7f, v55
	v_cmp_ne_u32_e64 s[4:5], s53, v1
	v_mov_b32_e32 v2, 0x7f800001
	buffer_store_dword v2, off, s[56:59], 0 offset:20 ; 4-byte Folded Spill
	s_and_saveexec_b64 s[44:45], s[4:5]
	s_cbranch_execz .LBB187_83
; %bb.82:                               ;   in Loop: Header=BB187_14 Depth=1
	v_and_b32_e32 v3, 7, v55
	v_lshrrev_b32_e32 v4, 3, v1
	v_cmp_gt_u32_e64 s[4:5], 8, v1
	v_ffbh_u32_e32 v1, v3
	v_min_u32_e32 v5, 32, v1
	v_subrev_u32_e32 v1, 28, v5
	v_lshlrev_b64 v[1:2], v1, v[55:56]
	v_sub_u32_e32 v2, 29, v5
	v_and_b32_e32 v1, 7, v1
	v_cndmask_b32_e64 v2, v4, v2, s[4:5]
	v_cndmask_b32_e64 v1, v3, v1, s[4:5]
	v_lshlrev_b32_e32 v0, 24, v0
	v_bfrev_b32_e32 v3, 60
	v_lshlrev_b32_e32 v1, 20, v1
	v_and_b32_e32 v0, 0x80000000, v0
	v_lshl_add_u32 v2, v2, 23, v3
	v_or3_b32 v0, v0, v2, v1
	buffer_store_dword v0, off, s[56:59], 0 offset:20 ; 4-byte Folded Spill
.LBB187_83:                             ;   in Loop: Header=BB187_14 Depth=1
	s_or_b64 exec, exec, s[44:45]
.LBB187_84:                             ;   in Loop: Header=BB187_14 Depth=1
	s_or_b64 exec, exec, s[42:43]
.LBB187_85:                             ;   in Loop: Header=BB187_14 Depth=1
	s_or_b64 exec, exec, s[40:41]
	global_load_ubyte v0, v[53:54], off offset:524
	s_waitcnt vmcnt(0)
	v_cmp_ne_u16_e64 s[4:5], 0, v0
	s_and_saveexec_b64 s[40:41], s[4:5]
	s_cbranch_execz .LBB187_91
; %bb.86:                               ;   in Loop: Header=BB187_14 Depth=1
	v_cmp_ne_u16_e64 s[4:5], s52, v0
	v_bfrev_b32_e32 v1, 1
	buffer_store_dword v1, off, s[56:59], 0 offset:16 ; 4-byte Folded Spill
	s_and_saveexec_b64 s[42:43], s[4:5]
	s_cbranch_execz .LBB187_90
; %bb.87:                               ;   in Loop: Header=BB187_14 Depth=1
	v_and_b32_e32 v55, 0xffff, v0
	v_and_b32_e32 v1, 0x7f, v55
	v_cmp_ne_u32_e64 s[4:5], s53, v1
	v_mov_b32_e32 v2, 0x7f800001
	buffer_store_dword v2, off, s[56:59], 0 offset:16 ; 4-byte Folded Spill
	s_and_saveexec_b64 s[44:45], s[4:5]
	s_cbranch_execz .LBB187_89
; %bb.88:                               ;   in Loop: Header=BB187_14 Depth=1
	v_and_b32_e32 v3, 7, v55
	v_lshrrev_b32_e32 v4, 3, v1
	v_cmp_gt_u32_e64 s[4:5], 8, v1
	v_ffbh_u32_e32 v1, v3
	v_min_u32_e32 v5, 32, v1
	v_subrev_u32_e32 v1, 28, v5
	v_lshlrev_b64 v[1:2], v1, v[55:56]
	v_sub_u32_e32 v2, 29, v5
	v_and_b32_e32 v1, 7, v1
	v_cndmask_b32_e64 v2, v4, v2, s[4:5]
	v_cndmask_b32_e64 v1, v3, v1, s[4:5]
	v_lshlrev_b32_e32 v0, 24, v0
	v_bfrev_b32_e32 v3, 60
	v_lshlrev_b32_e32 v1, 20, v1
	v_and_b32_e32 v0, 0x80000000, v0
	v_lshl_add_u32 v2, v2, 23, v3
	v_or3_b32 v0, v0, v2, v1
	buffer_store_dword v0, off, s[56:59], 0 offset:16 ; 4-byte Folded Spill
.LBB187_89:                             ;   in Loop: Header=BB187_14 Depth=1
	s_or_b64 exec, exec, s[44:45]
.LBB187_90:                             ;   in Loop: Header=BB187_14 Depth=1
	s_or_b64 exec, exec, s[42:43]
.LBB187_91:                             ;   in Loop: Header=BB187_14 Depth=1
	s_or_b64 exec, exec, s[40:41]
	global_load_ubyte v0, v[53:54], off offset:768
	v_mov_b32_e32 v1, 0
	buffer_store_dword v1, off, s[56:59], 0 offset:24 ; 4-byte Folded Spill
	v_mov_b32_e32 v1, 0
	buffer_store_dword v1, off, s[56:59], 0 offset:28 ; 4-byte Folded Spill
	s_waitcnt vmcnt(2)
	v_cmp_ne_u16_e64 s[4:5], 0, v0
	s_and_saveexec_b64 s[40:41], s[4:5]
	s_cbranch_execz .LBB187_97
; %bb.92:                               ;   in Loop: Header=BB187_14 Depth=1
	v_cmp_ne_u16_e64 s[4:5], s52, v0
	v_bfrev_b32_e32 v1, 1
	buffer_store_dword v1, off, s[56:59], 0 offset:28 ; 4-byte Folded Spill
	s_and_saveexec_b64 s[42:43], s[4:5]
	s_cbranch_execz .LBB187_96
; %bb.93:                               ;   in Loop: Header=BB187_14 Depth=1
	v_and_b32_e32 v55, 0xffff, v0
	v_and_b32_e32 v1, 0x7f, v55
	v_cmp_ne_u32_e64 s[4:5], s53, v1
	v_mov_b32_e32 v2, 0x7f800001
	buffer_store_dword v2, off, s[56:59], 0 offset:28 ; 4-byte Folded Spill
	s_and_saveexec_b64 s[44:45], s[4:5]
	s_cbranch_execz .LBB187_95
; %bb.94:                               ;   in Loop: Header=BB187_14 Depth=1
	v_and_b32_e32 v3, 7, v55
	v_lshrrev_b32_e32 v4, 3, v1
	v_cmp_gt_u32_e64 s[4:5], 8, v1
	v_ffbh_u32_e32 v1, v3
	v_min_u32_e32 v5, 32, v1
	v_subrev_u32_e32 v1, 28, v5
	v_lshlrev_b64 v[1:2], v1, v[55:56]
	v_sub_u32_e32 v2, 29, v5
	v_and_b32_e32 v1, 7, v1
	v_cndmask_b32_e64 v2, v4, v2, s[4:5]
	v_cndmask_b32_e64 v1, v3, v1, s[4:5]
	v_lshlrev_b32_e32 v0, 24, v0
	v_bfrev_b32_e32 v3, 60
	v_lshlrev_b32_e32 v1, 20, v1
	v_and_b32_e32 v0, 0x80000000, v0
	v_lshl_add_u32 v2, v2, 23, v3
	v_or3_b32 v0, v0, v2, v1
	buffer_store_dword v0, off, s[56:59], 0 offset:28 ; 4-byte Folded Spill
.LBB187_95:                             ;   in Loop: Header=BB187_14 Depth=1
	s_or_b64 exec, exec, s[44:45]
.LBB187_96:                             ;   in Loop: Header=BB187_14 Depth=1
	s_or_b64 exec, exec, s[42:43]
.LBB187_97:                             ;   in Loop: Header=BB187_14 Depth=1
	s_or_b64 exec, exec, s[40:41]
	global_load_ubyte v0, v[53:54], off offset:772
	s_waitcnt vmcnt(0)
	v_cmp_ne_u16_e64 s[4:5], 0, v0
	s_and_saveexec_b64 s[40:41], s[4:5]
	s_cbranch_execz .LBB187_103
; %bb.98:                               ;   in Loop: Header=BB187_14 Depth=1
	v_cmp_ne_u16_e64 s[4:5], s52, v0
	v_bfrev_b32_e32 v1, 1
	buffer_store_dword v1, off, s[56:59], 0 offset:24 ; 4-byte Folded Spill
	s_and_saveexec_b64 s[42:43], s[4:5]
	s_cbranch_execz .LBB187_102
; %bb.99:                               ;   in Loop: Header=BB187_14 Depth=1
	v_and_b32_e32 v55, 0xffff, v0
	v_and_b32_e32 v1, 0x7f, v55
	v_cmp_ne_u32_e64 s[4:5], s53, v1
	v_mov_b32_e32 v2, 0x7f800001
	buffer_store_dword v2, off, s[56:59], 0 offset:24 ; 4-byte Folded Spill
	s_and_saveexec_b64 s[44:45], s[4:5]
	s_cbranch_execz .LBB187_101
; %bb.100:                              ;   in Loop: Header=BB187_14 Depth=1
	v_and_b32_e32 v3, 7, v55
	v_lshrrev_b32_e32 v4, 3, v1
	v_cmp_gt_u32_e64 s[4:5], 8, v1
	v_ffbh_u32_e32 v1, v3
	v_min_u32_e32 v5, 32, v1
	v_subrev_u32_e32 v1, 28, v5
	v_lshlrev_b64 v[1:2], v1, v[55:56]
	v_sub_u32_e32 v2, 29, v5
	v_and_b32_e32 v1, 7, v1
	v_cndmask_b32_e64 v2, v4, v2, s[4:5]
	v_cndmask_b32_e64 v1, v3, v1, s[4:5]
	v_lshlrev_b32_e32 v0, 24, v0
	v_bfrev_b32_e32 v3, 60
	v_lshlrev_b32_e32 v1, 20, v1
	v_and_b32_e32 v0, 0x80000000, v0
	v_lshl_add_u32 v2, v2, 23, v3
	v_or3_b32 v0, v0, v2, v1
	buffer_store_dword v0, off, s[56:59], 0 offset:24 ; 4-byte Folded Spill
.LBB187_101:                            ;   in Loop: Header=BB187_14 Depth=1
	s_or_b64 exec, exec, s[44:45]
.LBB187_102:                            ;   in Loop: Header=BB187_14 Depth=1
	s_or_b64 exec, exec, s[42:43]
.LBB187_103:                            ;   in Loop: Header=BB187_14 Depth=1
	s_or_b64 exec, exec, s[40:41]
	global_load_ubyte v0, v[53:54], off offset:776
	v_mov_b32_e32 v1, 0
	buffer_store_dword v1, off, s[56:59], 0 offset:32 ; 4-byte Folded Spill
	v_mov_b32_e32 v1, 0
	buffer_store_dword v1, off, s[56:59], 0 offset:36 ; 4-byte Folded Spill
	s_waitcnt vmcnt(2)
	v_cmp_ne_u16_e64 s[4:5], 0, v0
	s_and_saveexec_b64 s[40:41], s[4:5]
	s_cbranch_execz .LBB187_109
; %bb.104:                              ;   in Loop: Header=BB187_14 Depth=1
	v_cmp_ne_u16_e64 s[4:5], s52, v0
	v_bfrev_b32_e32 v1, 1
	buffer_store_dword v1, off, s[56:59], 0 offset:36 ; 4-byte Folded Spill
	s_and_saveexec_b64 s[42:43], s[4:5]
	s_cbranch_execz .LBB187_108
; %bb.105:                              ;   in Loop: Header=BB187_14 Depth=1
	v_and_b32_e32 v55, 0xffff, v0
	v_and_b32_e32 v1, 0x7f, v55
	v_cmp_ne_u32_e64 s[4:5], s53, v1
	v_mov_b32_e32 v2, 0x7f800001
	buffer_store_dword v2, off, s[56:59], 0 offset:36 ; 4-byte Folded Spill
	s_and_saveexec_b64 s[44:45], s[4:5]
	s_cbranch_execz .LBB187_107
; %bb.106:                              ;   in Loop: Header=BB187_14 Depth=1
	v_and_b32_e32 v3, 7, v55
	v_lshrrev_b32_e32 v4, 3, v1
	v_cmp_gt_u32_e64 s[4:5], 8, v1
	v_ffbh_u32_e32 v1, v3
	v_min_u32_e32 v5, 32, v1
	v_subrev_u32_e32 v1, 28, v5
	v_lshlrev_b64 v[1:2], v1, v[55:56]
	v_sub_u32_e32 v2, 29, v5
	v_and_b32_e32 v1, 7, v1
	v_cndmask_b32_e64 v2, v4, v2, s[4:5]
	v_cndmask_b32_e64 v1, v3, v1, s[4:5]
	v_lshlrev_b32_e32 v0, 24, v0
	v_bfrev_b32_e32 v3, 60
	v_lshlrev_b32_e32 v1, 20, v1
	v_and_b32_e32 v0, 0x80000000, v0
	v_lshl_add_u32 v2, v2, 23, v3
	v_or3_b32 v0, v0, v2, v1
	buffer_store_dword v0, off, s[56:59], 0 offset:36 ; 4-byte Folded Spill
.LBB187_107:                            ;   in Loop: Header=BB187_14 Depth=1
	s_or_b64 exec, exec, s[44:45]
.LBB187_108:                            ;   in Loop: Header=BB187_14 Depth=1
	s_or_b64 exec, exec, s[42:43]
.LBB187_109:                            ;   in Loop: Header=BB187_14 Depth=1
	s_or_b64 exec, exec, s[40:41]
	global_load_ubyte v0, v[53:54], off offset:780
	s_waitcnt vmcnt(0)
	v_cmp_ne_u16_e64 s[4:5], 0, v0
	s_and_saveexec_b64 s[40:41], s[4:5]
	s_cbranch_execz .LBB187_115
; %bb.110:                              ;   in Loop: Header=BB187_14 Depth=1
	v_cmp_ne_u16_e64 s[4:5], s52, v0
	v_bfrev_b32_e32 v1, 1
	buffer_store_dword v1, off, s[56:59], 0 offset:32 ; 4-byte Folded Spill
	s_and_saveexec_b64 s[42:43], s[4:5]
	s_cbranch_execz .LBB187_114
; %bb.111:                              ;   in Loop: Header=BB187_14 Depth=1
	v_and_b32_e32 v55, 0xffff, v0
	v_and_b32_e32 v1, 0x7f, v55
	v_cmp_ne_u32_e64 s[4:5], s53, v1
	v_mov_b32_e32 v2, 0x7f800001
	buffer_store_dword v2, off, s[56:59], 0 offset:32 ; 4-byte Folded Spill
	s_and_saveexec_b64 s[44:45], s[4:5]
	s_cbranch_execz .LBB187_113
; %bb.112:                              ;   in Loop: Header=BB187_14 Depth=1
	v_and_b32_e32 v3, 7, v55
	v_lshrrev_b32_e32 v4, 3, v1
	v_cmp_gt_u32_e64 s[4:5], 8, v1
	v_ffbh_u32_e32 v1, v3
	v_min_u32_e32 v5, 32, v1
	v_subrev_u32_e32 v1, 28, v5
	v_lshlrev_b64 v[1:2], v1, v[55:56]
	v_sub_u32_e32 v2, 29, v5
	v_and_b32_e32 v1, 7, v1
	v_cndmask_b32_e64 v2, v4, v2, s[4:5]
	v_cndmask_b32_e64 v1, v3, v1, s[4:5]
	v_lshlrev_b32_e32 v0, 24, v0
	v_bfrev_b32_e32 v3, 60
	v_lshlrev_b32_e32 v1, 20, v1
	v_and_b32_e32 v0, 0x80000000, v0
	v_lshl_add_u32 v2, v2, 23, v3
	v_or3_b32 v0, v0, v2, v1
	buffer_store_dword v0, off, s[56:59], 0 offset:32 ; 4-byte Folded Spill
.LBB187_113:                            ;   in Loop: Header=BB187_14 Depth=1
	s_or_b64 exec, exec, s[44:45]
.LBB187_114:                            ;   in Loop: Header=BB187_14 Depth=1
	s_or_b64 exec, exec, s[42:43]
.LBB187_115:                            ;   in Loop: Header=BB187_14 Depth=1
	s_or_b64 exec, exec, s[40:41]
	global_load_ubyte v0, v[53:54], off offset:1024
	v_mov_b32_e32 v1, 0
	buffer_store_dword v1, off, s[56:59], 0 offset:40 ; 4-byte Folded Spill
	v_mov_b32_e32 v1, 0
	buffer_store_dword v1, off, s[56:59], 0 offset:44 ; 4-byte Folded Spill
	s_waitcnt vmcnt(2)
	v_cmp_ne_u16_e64 s[4:5], 0, v0
	s_and_saveexec_b64 s[40:41], s[4:5]
	s_cbranch_execz .LBB187_121
; %bb.116:                              ;   in Loop: Header=BB187_14 Depth=1
	v_cmp_ne_u16_e64 s[4:5], s52, v0
	v_bfrev_b32_e32 v1, 1
	buffer_store_dword v1, off, s[56:59], 0 offset:44 ; 4-byte Folded Spill
	s_and_saveexec_b64 s[42:43], s[4:5]
	s_cbranch_execz .LBB187_120
; %bb.117:                              ;   in Loop: Header=BB187_14 Depth=1
	v_and_b32_e32 v55, 0xffff, v0
	v_and_b32_e32 v1, 0x7f, v55
	v_cmp_ne_u32_e64 s[4:5], s53, v1
	v_mov_b32_e32 v2, 0x7f800001
	buffer_store_dword v2, off, s[56:59], 0 offset:44 ; 4-byte Folded Spill
	s_and_saveexec_b64 s[44:45], s[4:5]
	s_cbranch_execz .LBB187_119
; %bb.118:                              ;   in Loop: Header=BB187_14 Depth=1
	v_and_b32_e32 v3, 7, v55
	v_lshrrev_b32_e32 v4, 3, v1
	v_cmp_gt_u32_e64 s[4:5], 8, v1
	v_ffbh_u32_e32 v1, v3
	v_min_u32_e32 v5, 32, v1
	v_subrev_u32_e32 v1, 28, v5
	v_lshlrev_b64 v[1:2], v1, v[55:56]
	v_sub_u32_e32 v2, 29, v5
	v_and_b32_e32 v1, 7, v1
	v_cndmask_b32_e64 v2, v4, v2, s[4:5]
	v_cndmask_b32_e64 v1, v3, v1, s[4:5]
	v_lshlrev_b32_e32 v0, 24, v0
	v_bfrev_b32_e32 v3, 60
	v_lshlrev_b32_e32 v1, 20, v1
	v_and_b32_e32 v0, 0x80000000, v0
	v_lshl_add_u32 v2, v2, 23, v3
	v_or3_b32 v0, v0, v2, v1
	buffer_store_dword v0, off, s[56:59], 0 offset:44 ; 4-byte Folded Spill
.LBB187_119:                            ;   in Loop: Header=BB187_14 Depth=1
	s_or_b64 exec, exec, s[44:45]
.LBB187_120:                            ;   in Loop: Header=BB187_14 Depth=1
	s_or_b64 exec, exec, s[42:43]
.LBB187_121:                            ;   in Loop: Header=BB187_14 Depth=1
	s_or_b64 exec, exec, s[40:41]
	global_load_ubyte v0, v[53:54], off offset:1028
	s_waitcnt vmcnt(0)
	v_cmp_ne_u16_e64 s[4:5], 0, v0
	s_and_saveexec_b64 s[40:41], s[4:5]
	s_cbranch_execz .LBB187_127
; %bb.122:                              ;   in Loop: Header=BB187_14 Depth=1
	v_cmp_ne_u16_e64 s[4:5], s52, v0
	v_bfrev_b32_e32 v1, 1
	buffer_store_dword v1, off, s[56:59], 0 offset:40 ; 4-byte Folded Spill
	s_and_saveexec_b64 s[42:43], s[4:5]
	s_cbranch_execz .LBB187_126
; %bb.123:                              ;   in Loop: Header=BB187_14 Depth=1
	v_and_b32_e32 v55, 0xffff, v0
	v_and_b32_e32 v1, 0x7f, v55
	v_cmp_ne_u32_e64 s[4:5], s53, v1
	v_mov_b32_e32 v2, 0x7f800001
	buffer_store_dword v2, off, s[56:59], 0 offset:40 ; 4-byte Folded Spill
	s_and_saveexec_b64 s[44:45], s[4:5]
	s_cbranch_execz .LBB187_125
; %bb.124:                              ;   in Loop: Header=BB187_14 Depth=1
	v_and_b32_e32 v3, 7, v55
	v_lshrrev_b32_e32 v4, 3, v1
	v_cmp_gt_u32_e64 s[4:5], 8, v1
	v_ffbh_u32_e32 v1, v3
	v_min_u32_e32 v5, 32, v1
	v_subrev_u32_e32 v1, 28, v5
	v_lshlrev_b64 v[1:2], v1, v[55:56]
	v_sub_u32_e32 v2, 29, v5
	v_and_b32_e32 v1, 7, v1
	v_cndmask_b32_e64 v2, v4, v2, s[4:5]
	v_cndmask_b32_e64 v1, v3, v1, s[4:5]
	v_lshlrev_b32_e32 v0, 24, v0
	v_bfrev_b32_e32 v3, 60
	v_lshlrev_b32_e32 v1, 20, v1
	v_and_b32_e32 v0, 0x80000000, v0
	v_lshl_add_u32 v2, v2, 23, v3
	v_or3_b32 v0, v0, v2, v1
	buffer_store_dword v0, off, s[56:59], 0 offset:40 ; 4-byte Folded Spill
.LBB187_125:                            ;   in Loop: Header=BB187_14 Depth=1
	s_or_b64 exec, exec, s[44:45]
.LBB187_126:                            ;   in Loop: Header=BB187_14 Depth=1
	s_or_b64 exec, exec, s[42:43]
.LBB187_127:                            ;   in Loop: Header=BB187_14 Depth=1
	s_or_b64 exec, exec, s[40:41]
	global_load_ubyte v0, v[53:54], off offset:1032
	v_mov_b32_e32 v2, 0
	v_mov_b32_e32 v1, 0
	buffer_store_dword v1, off, s[56:59], 0 offset:48 ; 4-byte Folded Spill
	s_waitcnt vmcnt(1)
	v_cmp_ne_u16_e64 s[4:5], 0, v0
	s_and_saveexec_b64 s[40:41], s[4:5]
	s_cbranch_execz .LBB187_133
; %bb.128:                              ;   in Loop: Header=BB187_14 Depth=1
	v_cmp_ne_u16_e64 s[4:5], s52, v0
	v_bfrev_b32_e32 v1, 1
	buffer_store_dword v1, off, s[56:59], 0 offset:48 ; 4-byte Folded Spill
	s_and_saveexec_b64 s[42:43], s[4:5]
	s_cbranch_execz .LBB187_132
; %bb.129:                              ;   in Loop: Header=BB187_14 Depth=1
	v_and_b32_e32 v55, 0xffff, v0
	v_and_b32_e32 v1, 0x7f, v55
	v_cmp_ne_u32_e64 s[4:5], s53, v1
	v_mov_b32_e32 v3, 0x7f800001
	buffer_store_dword v3, off, s[56:59], 0 offset:48 ; 4-byte Folded Spill
	s_and_saveexec_b64 s[44:45], s[4:5]
	s_cbranch_execz .LBB187_131
; %bb.130:                              ;   in Loop: Header=BB187_14 Depth=1
	v_and_b32_e32 v3, 7, v55
	v_lshrrev_b32_e32 v4, 3, v1
	v_cmp_gt_u32_e64 s[4:5], 8, v1
	v_ffbh_u32_e32 v1, v3
	v_min_u32_e32 v5, 32, v1
	v_subrev_u32_e32 v1, 28, v5
	v_lshlrev_b64 v[1:2], v1, v[55:56]
	v_sub_u32_e32 v2, 29, v5
	v_and_b32_e32 v1, 7, v1
	v_cndmask_b32_e64 v2, v4, v2, s[4:5]
	v_cndmask_b32_e64 v1, v3, v1, s[4:5]
	v_lshlrev_b32_e32 v0, 24, v0
	v_bfrev_b32_e32 v3, 60
	v_lshlrev_b32_e32 v1, 20, v1
	v_and_b32_e32 v0, 0x80000000, v0
	v_lshl_add_u32 v2, v2, 23, v3
	v_or3_b32 v0, v0, v2, v1
	v_mov_b32_e32 v2, 0
	buffer_store_dword v0, off, s[56:59], 0 offset:48 ; 4-byte Folded Spill
.LBB187_131:                            ;   in Loop: Header=BB187_14 Depth=1
	s_or_b64 exec, exec, s[44:45]
.LBB187_132:                            ;   in Loop: Header=BB187_14 Depth=1
	s_or_b64 exec, exec, s[42:43]
.LBB187_133:                            ;   in Loop: Header=BB187_14 Depth=1
	s_or_b64 exec, exec, s[40:41]
	global_load_ubyte v0, v[53:54], off offset:1036
	s_waitcnt vmcnt(0)
	v_cmp_ne_u16_e64 s[4:5], 0, v0
	s_and_saveexec_b64 s[40:41], s[4:5]
	s_cbranch_execz .LBB187_139
; %bb.134:                              ;   in Loop: Header=BB187_14 Depth=1
	v_cmp_ne_u16_e64 s[4:5], s52, v0
	v_bfrev_b32_e32 v2, 1
	s_and_saveexec_b64 s[42:43], s[4:5]
	s_cbranch_execz .LBB187_138
; %bb.135:                              ;   in Loop: Header=BB187_14 Depth=1
	v_and_b32_e32 v55, 0xffff, v0
	v_and_b32_e32 v1, 0x7f, v55
	v_cmp_ne_u32_e64 s[4:5], s53, v1
	v_mov_b32_e32 v2, 0x7f800001
	s_and_saveexec_b64 s[44:45], s[4:5]
	s_cbranch_execz .LBB187_137
; %bb.136:                              ;   in Loop: Header=BB187_14 Depth=1
	v_and_b32_e32 v3, 7, v55
	v_lshrrev_b32_e32 v4, 3, v1
	v_cmp_gt_u32_e64 s[4:5], 8, v1
	v_ffbh_u32_e32 v1, v3
	v_min_u32_e32 v5, 32, v1
	v_subrev_u32_e32 v1, 28, v5
	v_lshlrev_b64 v[1:2], v1, v[55:56]
	v_sub_u32_e32 v2, 29, v5
	v_and_b32_e32 v1, 7, v1
	v_cndmask_b32_e64 v2, v4, v2, s[4:5]
	v_cndmask_b32_e64 v1, v3, v1, s[4:5]
	v_lshlrev_b32_e32 v0, 24, v0
	v_bfrev_b32_e32 v3, 60
	v_lshlrev_b32_e32 v1, 20, v1
	v_and_b32_e32 v0, 0x80000000, v0
	v_lshl_add_u32 v2, v2, 23, v3
	v_or3_b32 v2, v0, v2, v1
.LBB187_137:                            ;   in Loop: Header=BB187_14 Depth=1
	s_or_b64 exec, exec, s[44:45]
.LBB187_138:                            ;   in Loop: Header=BB187_14 Depth=1
	s_or_b64 exec, exec, s[42:43]
.LBB187_139:                            ;   in Loop: Header=BB187_14 Depth=1
	s_or_b64 exec, exec, s[40:41]
	global_load_ubyte v0, v[53:54], off offset:1280
	v_mov_b32_e32 v1, 0
	buffer_store_dword v1, off, s[56:59], 0 offset:56 ; 4-byte Folded Spill
	v_mov_b32_e32 v1, 0
	buffer_store_dword v1, off, s[56:59], 0 offset:52 ; 4-byte Folded Spill
	s_waitcnt vmcnt(2)
	v_cmp_ne_u16_e64 s[4:5], 0, v0
	s_mov_b64 s[40:41], exec
	s_and_b64 s[4:5], s[40:41], s[4:5]
	buffer_store_dword v2, off, s[56:59], 0 offset:76 ; 4-byte Folded Spill
	s_mov_b64 exec, s[4:5]
	s_cbranch_execz .LBB187_145
; %bb.140:                              ;   in Loop: Header=BB187_14 Depth=1
	v_cmp_ne_u16_e64 s[4:5], s52, v0
	v_bfrev_b32_e32 v1, 1
	buffer_store_dword v1, off, s[56:59], 0 offset:52 ; 4-byte Folded Spill
	s_and_saveexec_b64 s[42:43], s[4:5]
	s_cbranch_execz .LBB187_144
; %bb.141:                              ;   in Loop: Header=BB187_14 Depth=1
	v_and_b32_e32 v55, 0xffff, v0
	v_and_b32_e32 v1, 0x7f, v55
	v_cmp_ne_u32_e64 s[4:5], s53, v1
	v_mov_b32_e32 v3, 0x7f800001
	buffer_store_dword v3, off, s[56:59], 0 offset:52 ; 4-byte Folded Spill
	s_and_saveexec_b64 s[44:45], s[4:5]
	s_cbranch_execz .LBB187_143
; %bb.142:                              ;   in Loop: Header=BB187_14 Depth=1
	v_and_b32_e32 v3, 7, v55
	v_lshrrev_b32_e32 v4, 3, v1
	v_cmp_gt_u32_e64 s[4:5], 8, v1
	v_ffbh_u32_e32 v1, v3
	v_min_u32_e32 v5, 32, v1
	v_subrev_u32_e32 v1, 28, v5
	v_lshlrev_b64 v[1:2], v1, v[55:56]
	v_sub_u32_e32 v2, 29, v5
	v_and_b32_e32 v1, 7, v1
	v_cndmask_b32_e64 v2, v4, v2, s[4:5]
	v_cndmask_b32_e64 v1, v3, v1, s[4:5]
	v_lshlrev_b32_e32 v0, 24, v0
	v_bfrev_b32_e32 v3, 60
	v_lshlrev_b32_e32 v1, 20, v1
	v_and_b32_e32 v0, 0x80000000, v0
	v_lshl_add_u32 v2, v2, 23, v3
	v_or3_b32 v0, v0, v2, v1
	buffer_load_dword v2, off, s[56:59], 0 offset:76 ; 4-byte Folded Reload
	s_nop 0
	buffer_store_dword v0, off, s[56:59], 0 offset:52 ; 4-byte Folded Spill
.LBB187_143:                            ;   in Loop: Header=BB187_14 Depth=1
	s_or_b64 exec, exec, s[44:45]
.LBB187_144:                            ;   in Loop: Header=BB187_14 Depth=1
	s_or_b64 exec, exec, s[42:43]
.LBB187_145:                            ;   in Loop: Header=BB187_14 Depth=1
	s_or_b64 exec, exec, s[40:41]
	global_load_ubyte v0, v[53:54], off offset:1284
	s_waitcnt vmcnt(0)
	v_cmp_ne_u16_e64 s[4:5], 0, v0
	s_and_saveexec_b64 s[40:41], s[4:5]
	s_cbranch_execz .LBB187_151
; %bb.146:                              ;   in Loop: Header=BB187_14 Depth=1
	v_cmp_ne_u16_e64 s[4:5], s52, v0
	v_bfrev_b32_e32 v1, 1
	buffer_store_dword v1, off, s[56:59], 0 offset:56 ; 4-byte Folded Spill
	s_and_saveexec_b64 s[42:43], s[4:5]
	s_cbranch_execz .LBB187_150
; %bb.147:                              ;   in Loop: Header=BB187_14 Depth=1
	v_and_b32_e32 v55, 0xffff, v0
	v_and_b32_e32 v1, 0x7f, v55
	v_cmp_ne_u32_e64 s[4:5], s53, v1
	v_mov_b32_e32 v3, 0x7f800001
	buffer_store_dword v3, off, s[56:59], 0 offset:56 ; 4-byte Folded Spill
	s_and_saveexec_b64 s[44:45], s[4:5]
	s_cbranch_execz .LBB187_149
; %bb.148:                              ;   in Loop: Header=BB187_14 Depth=1
	v_and_b32_e32 v3, 7, v55
	v_lshrrev_b32_e32 v4, 3, v1
	v_cmp_gt_u32_e64 s[4:5], 8, v1
	v_ffbh_u32_e32 v1, v3
	v_min_u32_e32 v5, 32, v1
	v_subrev_u32_e32 v1, 28, v5
	v_lshlrev_b64 v[1:2], v1, v[55:56]
	v_sub_u32_e32 v2, 29, v5
	v_and_b32_e32 v1, 7, v1
	v_cndmask_b32_e64 v2, v4, v2, s[4:5]
	v_cndmask_b32_e64 v1, v3, v1, s[4:5]
	v_lshlrev_b32_e32 v0, 24, v0
	v_bfrev_b32_e32 v3, 60
	v_lshlrev_b32_e32 v1, 20, v1
	v_and_b32_e32 v0, 0x80000000, v0
	v_lshl_add_u32 v2, v2, 23, v3
	v_or3_b32 v0, v0, v2, v1
	buffer_load_dword v2, off, s[56:59], 0 offset:76 ; 4-byte Folded Reload
	s_nop 0
	buffer_store_dword v0, off, s[56:59], 0 offset:56 ; 4-byte Folded Spill
.LBB187_149:                            ;   in Loop: Header=BB187_14 Depth=1
	s_or_b64 exec, exec, s[44:45]
.LBB187_150:                            ;   in Loop: Header=BB187_14 Depth=1
	s_or_b64 exec, exec, s[42:43]
.LBB187_151:                            ;   in Loop: Header=BB187_14 Depth=1
	s_or_b64 exec, exec, s[40:41]
	global_load_ubyte v0, v[53:54], off offset:1288
	v_mov_b32_e32 v1, 0
	buffer_store_dword v1, off, s[56:59], 0 offset:60 ; 4-byte Folded Spill
	v_mov_b32_e32 v1, 0
	buffer_store_dword v1, off, s[56:59], 0 offset:64 ; 4-byte Folded Spill
	s_waitcnt vmcnt(2)
	v_cmp_ne_u16_e64 s[4:5], 0, v0
	s_and_saveexec_b64 s[40:41], s[4:5]
	s_cbranch_execz .LBB187_157
; %bb.152:                              ;   in Loop: Header=BB187_14 Depth=1
	v_cmp_ne_u16_e64 s[4:5], s52, v0
	v_bfrev_b32_e32 v1, 1
	buffer_store_dword v1, off, s[56:59], 0 offset:64 ; 4-byte Folded Spill
	s_and_saveexec_b64 s[42:43], s[4:5]
	s_cbranch_execz .LBB187_156
; %bb.153:                              ;   in Loop: Header=BB187_14 Depth=1
	v_and_b32_e32 v55, 0xffff, v0
	v_and_b32_e32 v1, 0x7f, v55
	v_cmp_ne_u32_e64 s[4:5], s53, v1
	v_mov_b32_e32 v3, 0x7f800001
	buffer_store_dword v3, off, s[56:59], 0 offset:64 ; 4-byte Folded Spill
	s_and_saveexec_b64 s[44:45], s[4:5]
	s_cbranch_execz .LBB187_155
; %bb.154:                              ;   in Loop: Header=BB187_14 Depth=1
	v_and_b32_e32 v3, 7, v55
	v_lshrrev_b32_e32 v4, 3, v1
	v_cmp_gt_u32_e64 s[4:5], 8, v1
	v_ffbh_u32_e32 v1, v3
	v_min_u32_e32 v5, 32, v1
	v_subrev_u32_e32 v1, 28, v5
	v_lshlrev_b64 v[1:2], v1, v[55:56]
	v_sub_u32_e32 v2, 29, v5
	v_and_b32_e32 v1, 7, v1
	v_cndmask_b32_e64 v2, v4, v2, s[4:5]
	v_cndmask_b32_e64 v1, v3, v1, s[4:5]
	v_lshlrev_b32_e32 v0, 24, v0
	v_bfrev_b32_e32 v3, 60
	v_lshlrev_b32_e32 v1, 20, v1
	v_and_b32_e32 v0, 0x80000000, v0
	v_lshl_add_u32 v2, v2, 23, v3
	v_or3_b32 v0, v0, v2, v1
	buffer_load_dword v2, off, s[56:59], 0 offset:76 ; 4-byte Folded Reload
	s_nop 0
	buffer_store_dword v0, off, s[56:59], 0 offset:64 ; 4-byte Folded Spill
.LBB187_155:                            ;   in Loop: Header=BB187_14 Depth=1
	s_or_b64 exec, exec, s[44:45]
.LBB187_156:                            ;   in Loop: Header=BB187_14 Depth=1
	s_or_b64 exec, exec, s[42:43]
.LBB187_157:                            ;   in Loop: Header=BB187_14 Depth=1
	s_or_b64 exec, exec, s[40:41]
	global_load_ubyte v0, v[53:54], off offset:1292
	s_waitcnt vmcnt(0)
	v_cmp_ne_u16_e64 s[4:5], 0, v0
	s_and_saveexec_b64 s[40:41], s[4:5]
	s_cbranch_execz .LBB187_163
; %bb.158:                              ;   in Loop: Header=BB187_14 Depth=1
	v_cmp_ne_u16_e64 s[4:5], s52, v0
	v_bfrev_b32_e32 v1, 1
	buffer_store_dword v1, off, s[56:59], 0 offset:60 ; 4-byte Folded Spill
	s_and_saveexec_b64 s[42:43], s[4:5]
	s_cbranch_execz .LBB187_162
; %bb.159:                              ;   in Loop: Header=BB187_14 Depth=1
	v_and_b32_e32 v55, 0xffff, v0
	v_and_b32_e32 v1, 0x7f, v55
	v_cmp_ne_u32_e64 s[4:5], s53, v1
	v_mov_b32_e32 v3, 0x7f800001
	buffer_store_dword v3, off, s[56:59], 0 offset:60 ; 4-byte Folded Spill
	s_and_saveexec_b64 s[44:45], s[4:5]
	s_cbranch_execz .LBB187_161
; %bb.160:                              ;   in Loop: Header=BB187_14 Depth=1
	v_and_b32_e32 v3, 7, v55
	v_lshrrev_b32_e32 v4, 3, v1
	v_cmp_gt_u32_e64 s[4:5], 8, v1
	v_ffbh_u32_e32 v1, v3
	v_min_u32_e32 v5, 32, v1
	v_subrev_u32_e32 v1, 28, v5
	v_lshlrev_b64 v[1:2], v1, v[55:56]
	v_sub_u32_e32 v2, 29, v5
	v_and_b32_e32 v1, 7, v1
	v_cndmask_b32_e64 v2, v4, v2, s[4:5]
	v_cndmask_b32_e64 v1, v3, v1, s[4:5]
	v_lshlrev_b32_e32 v0, 24, v0
	v_bfrev_b32_e32 v3, 60
	v_lshlrev_b32_e32 v1, 20, v1
	v_and_b32_e32 v0, 0x80000000, v0
	v_lshl_add_u32 v2, v2, 23, v3
	v_or3_b32 v0, v0, v2, v1
	buffer_load_dword v2, off, s[56:59], 0 offset:76 ; 4-byte Folded Reload
	s_nop 0
	buffer_store_dword v0, off, s[56:59], 0 offset:60 ; 4-byte Folded Spill
.LBB187_161:                            ;   in Loop: Header=BB187_14 Depth=1
	s_or_b64 exec, exec, s[44:45]
.LBB187_162:                            ;   in Loop: Header=BB187_14 Depth=1
	s_or_b64 exec, exec, s[42:43]
.LBB187_163:                            ;   in Loop: Header=BB187_14 Depth=1
	s_or_b64 exec, exec, s[40:41]
	global_load_ubyte v1, v[53:54], off offset:1536
	v_mov_b32_e32 v0, 0
	buffer_store_dword v0, off, s[56:59], 0 offset:68 ; 4-byte Folded Spill
	v_mov_b32_e32 v0, 0
	buffer_store_dword v0, off, s[56:59], 0 offset:72 ; 4-byte Folded Spill
	s_waitcnt vmcnt(2)
	v_cmp_ne_u16_e64 s[4:5], 0, v1
	s_and_saveexec_b64 s[40:41], s[4:5]
	s_cbranch_execz .LBB187_169
; %bb.164:                              ;   in Loop: Header=BB187_14 Depth=1
	v_cmp_ne_u16_e64 s[4:5], s52, v1
	v_bfrev_b32_e32 v0, 1
	buffer_store_dword v0, off, s[56:59], 0 offset:72 ; 4-byte Folded Spill
	s_and_saveexec_b64 s[42:43], s[4:5]
	s_cbranch_execz .LBB187_168
; %bb.165:                              ;   in Loop: Header=BB187_14 Depth=1
	v_and_b32_e32 v55, 0xffff, v1
	v_and_b32_e32 v2, 0x7f, v55
	v_cmp_ne_u32_e64 s[4:5], s53, v2
	v_mov_b32_e32 v0, 0x7f800001
	buffer_store_dword v0, off, s[56:59], 0 offset:72 ; 4-byte Folded Spill
	s_and_saveexec_b64 s[44:45], s[4:5]
	s_cbranch_execz .LBB187_167
; %bb.166:                              ;   in Loop: Header=BB187_14 Depth=1
	v_and_b32_e32 v0, 7, v55
	v_lshrrev_b32_e32 v4, 3, v2
	v_cmp_gt_u32_e64 s[4:5], 8, v2
	v_ffbh_u32_e32 v2, v0
	v_min_u32_e32 v5, 32, v2
	v_subrev_u32_e32 v2, 28, v5
	v_lshlrev_b64 v[2:3], v2, v[55:56]
	v_sub_u32_e32 v3, 29, v5
	v_and_b32_e32 v2, 7, v2
	v_cndmask_b32_e64 v3, v4, v3, s[4:5]
	v_cndmask_b32_e64 v0, v0, v2, s[4:5]
	v_lshlrev_b32_e32 v1, 24, v1
	v_bfrev_b32_e32 v2, 60
	v_lshlrev_b32_e32 v0, 20, v0
	v_and_b32_e32 v1, 0x80000000, v1
	v_lshl_add_u32 v2, v3, 23, v2
	v_or3_b32 v0, v1, v2, v0
	buffer_store_dword v0, off, s[56:59], 0 offset:72 ; 4-byte Folded Spill
.LBB187_167:                            ;   in Loop: Header=BB187_14 Depth=1
	s_or_b64 exec, exec, s[44:45]
	buffer_load_dword v2, off, s[56:59], 0 offset:76 ; 4-byte Folded Reload
.LBB187_168:                            ;   in Loop: Header=BB187_14 Depth=1
	s_or_b64 exec, exec, s[42:43]
.LBB187_169:                            ;   in Loop: Header=BB187_14 Depth=1
	s_or_b64 exec, exec, s[40:41]
	global_load_ubyte v1, v[53:54], off offset:1540
	s_waitcnt vmcnt(0)
	v_cmp_ne_u16_e64 s[4:5], 0, v1
	s_and_saveexec_b64 s[40:41], s[4:5]
	s_cbranch_execz .LBB187_175
; %bb.170:                              ;   in Loop: Header=BB187_14 Depth=1
	v_cmp_ne_u16_e64 s[4:5], s52, v1
	v_bfrev_b32_e32 v0, 1
	buffer_store_dword v0, off, s[56:59], 0 offset:68 ; 4-byte Folded Spill
	s_and_saveexec_b64 s[42:43], s[4:5]
	s_cbranch_execz .LBB187_174
; %bb.171:                              ;   in Loop: Header=BB187_14 Depth=1
	v_and_b32_e32 v55, 0xffff, v1
	v_and_b32_e32 v2, 0x7f, v55
	v_cmp_ne_u32_e64 s[4:5], s53, v2
	v_mov_b32_e32 v0, 0x7f800001
	buffer_store_dword v0, off, s[56:59], 0 offset:68 ; 4-byte Folded Spill
	s_and_saveexec_b64 s[44:45], s[4:5]
	s_cbranch_execz .LBB187_173
; %bb.172:                              ;   in Loop: Header=BB187_14 Depth=1
	v_and_b32_e32 v4, 7, v55
	v_lshrrev_b32_e32 v5, 3, v2
	v_cmp_gt_u32_e64 s[4:5], 8, v2
	v_ffbh_u32_e32 v2, v4
	v_min_u32_e32 v6, 32, v2
	v_subrev_u32_e32 v2, 28, v6
	v_lshlrev_b64 v[2:3], v2, v[55:56]
	v_sub_u32_e32 v3, 29, v6
	v_and_b32_e32 v2, 7, v2
	v_cndmask_b32_e64 v3, v5, v3, s[4:5]
	v_cndmask_b32_e64 v2, v4, v2, s[4:5]
	v_lshlrev_b32_e32 v1, 24, v1
	v_bfrev_b32_e32 v4, 60
	v_lshlrev_b32_e32 v2, 20, v2
	v_and_b32_e32 v1, 0x80000000, v1
	v_lshl_add_u32 v3, v3, 23, v4
	v_or3_b32 v0, v1, v3, v2
	buffer_store_dword v0, off, s[56:59], 0 offset:68 ; 4-byte Folded Spill
.LBB187_173:                            ;   in Loop: Header=BB187_14 Depth=1
	s_or_b64 exec, exec, s[44:45]
	buffer_load_dword v2, off, s[56:59], 0 offset:76 ; 4-byte Folded Reload
.LBB187_174:                            ;   in Loop: Header=BB187_14 Depth=1
	s_or_b64 exec, exec, s[42:43]
.LBB187_175:                            ;   in Loop: Header=BB187_14 Depth=1
	s_or_b64 exec, exec, s[40:41]
	global_load_ubyte v3, v[53:54], off offset:1544
	v_mov_b32_e32 v1, 0
	v_mov_b32_e32 v0, 0
	s_waitcnt vmcnt(0)
	v_cmp_ne_u16_e64 s[4:5], 0, v3
	s_and_saveexec_b64 s[40:41], s[4:5]
	s_cbranch_execz .LBB187_181
; %bb.176:                              ;   in Loop: Header=BB187_14 Depth=1
	v_cmp_ne_u16_e64 s[4:5], s52, v3
	v_bfrev_b32_e32 v0, 1
	s_and_saveexec_b64 s[42:43], s[4:5]
	s_cbranch_execz .LBB187_180
; %bb.177:                              ;   in Loop: Header=BB187_14 Depth=1
	v_and_b32_e32 v55, 0xffff, v3
	v_and_b32_e32 v4, 0x7f, v55
	v_cmp_ne_u32_e64 s[4:5], s53, v4
	v_mov_b32_e32 v0, 0x7f800001
	s_and_saveexec_b64 s[44:45], s[4:5]
	s_cbranch_execz .LBB187_179
; %bb.178:                              ;   in Loop: Header=BB187_14 Depth=1
	v_and_b32_e32 v2, 7, v55
	v_lshrrev_b32_e32 v6, 3, v4
	v_cmp_gt_u32_e64 s[4:5], 8, v4
	v_ffbh_u32_e32 v4, v2
	v_min_u32_e32 v7, 32, v4
	v_subrev_u32_e32 v4, 28, v7
	v_lshlrev_b64 v[4:5], v4, v[55:56]
	v_sub_u32_e32 v5, 29, v7
	v_and_b32_e32 v4, 7, v4
	v_cndmask_b32_e64 v5, v6, v5, s[4:5]
	v_cndmask_b32_e64 v2, v2, v4, s[4:5]
	v_lshlrev_b32_e32 v3, 24, v3
	v_bfrev_b32_e32 v4, 60
	v_lshlrev_b32_e32 v2, 20, v2
	v_and_b32_e32 v3, 0x80000000, v3
	v_lshl_add_u32 v4, v5, 23, v4
	v_or3_b32 v0, v3, v4, v2
	buffer_load_dword v2, off, s[56:59], 0 offset:76 ; 4-byte Folded Reload
.LBB187_179:                            ;   in Loop: Header=BB187_14 Depth=1
	s_or_b64 exec, exec, s[44:45]
.LBB187_180:                            ;   in Loop: Header=BB187_14 Depth=1
	s_or_b64 exec, exec, s[42:43]
.LBB187_181:                            ;   in Loop: Header=BB187_14 Depth=1
	s_or_b64 exec, exec, s[40:41]
	global_load_ubyte v3, v[53:54], off offset:1548
	s_waitcnt vmcnt(0)
	v_cmp_ne_u16_e64 s[4:5], 0, v3
	s_and_saveexec_b64 s[40:41], s[4:5]
	s_cbranch_execz .LBB187_187
; %bb.182:                              ;   in Loop: Header=BB187_14 Depth=1
	v_cmp_ne_u16_e64 s[4:5], s52, v3
	v_bfrev_b32_e32 v1, 1
	s_and_saveexec_b64 s[42:43], s[4:5]
	s_cbranch_execz .LBB187_186
; %bb.183:                              ;   in Loop: Header=BB187_14 Depth=1
	v_and_b32_e32 v55, 0xffff, v3
	v_and_b32_e32 v4, 0x7f, v55
	v_cmp_ne_u32_e64 s[4:5], s53, v4
	v_mov_b32_e32 v1, 0x7f800001
	s_and_saveexec_b64 s[44:45], s[4:5]
	s_cbranch_execz .LBB187_185
; %bb.184:                              ;   in Loop: Header=BB187_14 Depth=1
	v_and_b32_e32 v1, 7, v55
	v_lshrrev_b32_e32 v6, 3, v4
	v_cmp_gt_u32_e64 s[4:5], 8, v4
	v_ffbh_u32_e32 v4, v1
	v_min_u32_e32 v7, 32, v4
	v_subrev_u32_e32 v4, 28, v7
	v_lshlrev_b64 v[4:5], v4, v[55:56]
	v_sub_u32_e32 v5, 29, v7
	v_and_b32_e32 v4, 7, v4
	v_cndmask_b32_e64 v5, v6, v5, s[4:5]
	v_cndmask_b32_e64 v1, v1, v4, s[4:5]
	v_lshlrev_b32_e32 v3, 24, v3
	v_bfrev_b32_e32 v4, 60
	v_lshlrev_b32_e32 v1, 20, v1
	v_and_b32_e32 v3, 0x80000000, v3
	v_lshl_add_u32 v4, v5, 23, v4
	v_or3_b32 v1, v3, v4, v1
.LBB187_185:                            ;   in Loop: Header=BB187_14 Depth=1
	s_or_b64 exec, exec, s[44:45]
.LBB187_186:                            ;   in Loop: Header=BB187_14 Depth=1
	s_or_b64 exec, exec, s[42:43]
.LBB187_187:                            ;   in Loop: Header=BB187_14 Depth=1
	s_or_b64 exec, exec, s[40:41]
	global_load_ubyte v5, v[53:54], off offset:1792
	v_mov_b32_e32 v3, 0
	v_mov_b32_e32 v4, 0
	s_waitcnt vmcnt(0)
	v_cmp_ne_u16_e64 s[4:5], 0, v5
	s_and_saveexec_b64 s[40:41], s[4:5]
	s_cbranch_execz .LBB187_193
; %bb.188:                              ;   in Loop: Header=BB187_14 Depth=1
	v_cmp_ne_u16_e64 s[4:5], s52, v5
	v_bfrev_b32_e32 v4, 1
	s_and_saveexec_b64 s[42:43], s[4:5]
	s_cbranch_execz .LBB187_192
; %bb.189:                              ;   in Loop: Header=BB187_14 Depth=1
	v_and_b32_e32 v55, 0xffff, v5
	v_and_b32_e32 v6, 0x7f, v55
	v_cmp_ne_u32_e64 s[4:5], s53, v6
	v_mov_b32_e32 v4, 0x7f800001
	s_and_saveexec_b64 s[44:45], s[4:5]
	s_cbranch_execz .LBB187_191
; %bb.190:                              ;   in Loop: Header=BB187_14 Depth=1
	v_and_b32_e32 v4, 7, v55
	v_lshrrev_b32_e32 v8, 3, v6
	v_cmp_gt_u32_e64 s[4:5], 8, v6
	v_ffbh_u32_e32 v6, v4
	v_min_u32_e32 v9, 32, v6
	v_subrev_u32_e32 v6, 28, v9
	v_lshlrev_b64 v[6:7], v6, v[55:56]
	v_sub_u32_e32 v7, 29, v9
	v_and_b32_e32 v6, 7, v6
	v_cndmask_b32_e64 v7, v8, v7, s[4:5]
	v_cndmask_b32_e64 v4, v4, v6, s[4:5]
	v_lshlrev_b32_e32 v5, 24, v5
	v_bfrev_b32_e32 v6, 60
	v_lshlrev_b32_e32 v4, 20, v4
	v_and_b32_e32 v5, 0x80000000, v5
	v_lshl_add_u32 v6, v7, 23, v6
	v_or3_b32 v4, v5, v6, v4
.LBB187_191:                            ;   in Loop: Header=BB187_14 Depth=1
	s_or_b64 exec, exec, s[44:45]
.LBB187_192:                            ;   in Loop: Header=BB187_14 Depth=1
	s_or_b64 exec, exec, s[42:43]
.LBB187_193:                            ;   in Loop: Header=BB187_14 Depth=1
	s_or_b64 exec, exec, s[40:41]
	global_load_ubyte v5, v[53:54], off offset:1796
	s_waitcnt vmcnt(0)
	v_cmp_ne_u16_e64 s[4:5], 0, v5
	s_and_saveexec_b64 s[40:41], s[4:5]
	s_cbranch_execz .LBB187_199
; %bb.194:                              ;   in Loop: Header=BB187_14 Depth=1
	v_cmp_ne_u16_e64 s[4:5], s52, v5
	v_bfrev_b32_e32 v3, 1
	s_and_saveexec_b64 s[42:43], s[4:5]
	s_cbranch_execz .LBB187_198
; %bb.195:                              ;   in Loop: Header=BB187_14 Depth=1
	v_and_b32_e32 v55, 0xffff, v5
	v_and_b32_e32 v6, 0x7f, v55
	v_cmp_ne_u32_e64 s[4:5], s53, v6
	v_mov_b32_e32 v3, 0x7f800001
	s_and_saveexec_b64 s[44:45], s[4:5]
	s_cbranch_execz .LBB187_197
; %bb.196:                              ;   in Loop: Header=BB187_14 Depth=1
	v_and_b32_e32 v3, 7, v55
	v_lshrrev_b32_e32 v8, 3, v6
	v_cmp_gt_u32_e64 s[4:5], 8, v6
	v_ffbh_u32_e32 v6, v3
	v_min_u32_e32 v9, 32, v6
	v_subrev_u32_e32 v6, 28, v9
	v_lshlrev_b64 v[6:7], v6, v[55:56]
	v_sub_u32_e32 v7, 29, v9
	v_and_b32_e32 v6, 7, v6
	v_cndmask_b32_e64 v7, v8, v7, s[4:5]
	v_cndmask_b32_e64 v3, v3, v6, s[4:5]
	v_lshlrev_b32_e32 v5, 24, v5
	v_bfrev_b32_e32 v6, 60
	v_lshlrev_b32_e32 v3, 20, v3
	v_and_b32_e32 v5, 0x80000000, v5
	v_lshl_add_u32 v6, v7, 23, v6
	v_or3_b32 v3, v5, v6, v3
.LBB187_197:                            ;   in Loop: Header=BB187_14 Depth=1
	s_or_b64 exec, exec, s[44:45]
.LBB187_198:                            ;   in Loop: Header=BB187_14 Depth=1
	s_or_b64 exec, exec, s[42:43]
.LBB187_199:                            ;   in Loop: Header=BB187_14 Depth=1
	s_or_b64 exec, exec, s[40:41]
	global_load_ubyte v7, v[53:54], off offset:1800
	v_mov_b32_e32 v5, 0
	v_mov_b32_e32 v6, 0
	s_waitcnt vmcnt(0)
	v_cmp_ne_u16_e64 s[4:5], 0, v7
	s_and_saveexec_b64 s[40:41], s[4:5]
	s_cbranch_execz .LBB187_205
; %bb.200:                              ;   in Loop: Header=BB187_14 Depth=1
	v_cmp_ne_u16_e64 s[4:5], s52, v7
	v_bfrev_b32_e32 v6, 1
	s_and_saveexec_b64 s[42:43], s[4:5]
	s_cbranch_execz .LBB187_204
; %bb.201:                              ;   in Loop: Header=BB187_14 Depth=1
	v_and_b32_e32 v55, 0xffff, v7
	v_and_b32_e32 v8, 0x7f, v55
	v_cmp_ne_u32_e64 s[4:5], s53, v8
	v_mov_b32_e32 v6, 0x7f800001
	s_and_saveexec_b64 s[44:45], s[4:5]
	s_cbranch_execz .LBB187_203
; %bb.202:                              ;   in Loop: Header=BB187_14 Depth=1
	v_and_b32_e32 v6, 7, v55
	v_lshrrev_b32_e32 v10, 3, v8
	v_cmp_gt_u32_e64 s[4:5], 8, v8
	v_ffbh_u32_e32 v8, v6
	v_min_u32_e32 v11, 32, v8
	v_subrev_u32_e32 v8, 28, v11
	v_lshlrev_b64 v[8:9], v8, v[55:56]
	v_sub_u32_e32 v9, 29, v11
	v_and_b32_e32 v8, 7, v8
	v_cndmask_b32_e64 v9, v10, v9, s[4:5]
	v_cndmask_b32_e64 v6, v6, v8, s[4:5]
	v_lshlrev_b32_e32 v7, 24, v7
	v_bfrev_b32_e32 v8, 60
	v_lshlrev_b32_e32 v6, 20, v6
	v_and_b32_e32 v7, 0x80000000, v7
	v_lshl_add_u32 v8, v9, 23, v8
	v_or3_b32 v6, v7, v8, v6
.LBB187_203:                            ;   in Loop: Header=BB187_14 Depth=1
	s_or_b64 exec, exec, s[44:45]
.LBB187_204:                            ;   in Loop: Header=BB187_14 Depth=1
	s_or_b64 exec, exec, s[42:43]
.LBB187_205:                            ;   in Loop: Header=BB187_14 Depth=1
	s_or_b64 exec, exec, s[40:41]
	global_load_ubyte v7, v[53:54], off offset:1804
	s_waitcnt vmcnt(0)
	v_cmp_ne_u16_e64 s[4:5], 0, v7
	s_and_saveexec_b64 s[40:41], s[4:5]
	s_cbranch_execz .LBB187_211
; %bb.206:                              ;   in Loop: Header=BB187_14 Depth=1
	v_cmp_ne_u16_e64 s[4:5], s52, v7
	v_bfrev_b32_e32 v5, 1
	s_and_saveexec_b64 s[42:43], s[4:5]
	s_cbranch_execz .LBB187_210
; %bb.207:                              ;   in Loop: Header=BB187_14 Depth=1
	v_and_b32_e32 v55, 0xffff, v7
	v_and_b32_e32 v8, 0x7f, v55
	v_cmp_ne_u32_e64 s[4:5], s53, v8
	v_mov_b32_e32 v5, 0x7f800001
	s_and_saveexec_b64 s[44:45], s[4:5]
	s_cbranch_execz .LBB187_209
; %bb.208:                              ;   in Loop: Header=BB187_14 Depth=1
	v_and_b32_e32 v5, 7, v55
	v_lshrrev_b32_e32 v10, 3, v8
	v_cmp_gt_u32_e64 s[4:5], 8, v8
	v_ffbh_u32_e32 v8, v5
	v_min_u32_e32 v11, 32, v8
	v_subrev_u32_e32 v8, 28, v11
	v_lshlrev_b64 v[8:9], v8, v[55:56]
	v_sub_u32_e32 v9, 29, v11
	v_and_b32_e32 v8, 7, v8
	v_cndmask_b32_e64 v9, v10, v9, s[4:5]
	v_cndmask_b32_e64 v5, v5, v8, s[4:5]
	v_lshlrev_b32_e32 v7, 24, v7
	v_bfrev_b32_e32 v8, 60
	v_lshlrev_b32_e32 v5, 20, v5
	v_and_b32_e32 v7, 0x80000000, v7
	v_lshl_add_u32 v8, v9, 23, v8
	v_or3_b32 v5, v7, v8, v5
.LBB187_209:                            ;   in Loop: Header=BB187_14 Depth=1
	s_or_b64 exec, exec, s[44:45]
.LBB187_210:                            ;   in Loop: Header=BB187_14 Depth=1
	s_or_b64 exec, exec, s[42:43]
.LBB187_211:                            ;   in Loop: Header=BB187_14 Depth=1
	s_or_b64 exec, exec, s[40:41]
	global_load_ubyte v9, v[53:54], off offset:2048
	v_mov_b32_e32 v7, 0
	v_mov_b32_e32 v8, 0
	s_waitcnt vmcnt(0)
	v_cmp_ne_u16_e64 s[4:5], 0, v9
	s_and_saveexec_b64 s[40:41], s[4:5]
	s_cbranch_execz .LBB187_217
; %bb.212:                              ;   in Loop: Header=BB187_14 Depth=1
	v_cmp_ne_u16_e64 s[4:5], s52, v9
	v_bfrev_b32_e32 v8, 1
	s_and_saveexec_b64 s[42:43], s[4:5]
	s_cbranch_execz .LBB187_216
; %bb.213:                              ;   in Loop: Header=BB187_14 Depth=1
	v_and_b32_e32 v55, 0xffff, v9
	v_and_b32_e32 v10, 0x7f, v55
	v_cmp_ne_u32_e64 s[4:5], s53, v10
	v_mov_b32_e32 v8, 0x7f800001
	s_and_saveexec_b64 s[44:45], s[4:5]
	s_cbranch_execz .LBB187_215
; %bb.214:                              ;   in Loop: Header=BB187_14 Depth=1
	v_and_b32_e32 v8, 7, v55
	v_lshrrev_b32_e32 v12, 3, v10
	v_cmp_gt_u32_e64 s[4:5], 8, v10
	v_ffbh_u32_e32 v10, v8
	v_min_u32_e32 v13, 32, v10
	v_subrev_u32_e32 v10, 28, v13
	v_lshlrev_b64 v[10:11], v10, v[55:56]
	v_sub_u32_e32 v11, 29, v13
	v_and_b32_e32 v10, 7, v10
	v_cndmask_b32_e64 v11, v12, v11, s[4:5]
	v_cndmask_b32_e64 v8, v8, v10, s[4:5]
	v_lshlrev_b32_e32 v9, 24, v9
	v_bfrev_b32_e32 v10, 60
	v_lshlrev_b32_e32 v8, 20, v8
	v_and_b32_e32 v9, 0x80000000, v9
	v_lshl_add_u32 v10, v11, 23, v10
	v_or3_b32 v8, v9, v10, v8
.LBB187_215:                            ;   in Loop: Header=BB187_14 Depth=1
	s_or_b64 exec, exec, s[44:45]
.LBB187_216:                            ;   in Loop: Header=BB187_14 Depth=1
	s_or_b64 exec, exec, s[42:43]
.LBB187_217:                            ;   in Loop: Header=BB187_14 Depth=1
	s_or_b64 exec, exec, s[40:41]
	global_load_ubyte v9, v[53:54], off offset:2052
	s_waitcnt vmcnt(0)
	v_cmp_ne_u16_e64 s[4:5], 0, v9
	s_and_saveexec_b64 s[40:41], s[4:5]
	s_cbranch_execz .LBB187_223
; %bb.218:                              ;   in Loop: Header=BB187_14 Depth=1
	v_cmp_ne_u16_e64 s[4:5], s52, v9
	v_bfrev_b32_e32 v7, 1
	s_and_saveexec_b64 s[42:43], s[4:5]
	s_cbranch_execz .LBB187_222
; %bb.219:                              ;   in Loop: Header=BB187_14 Depth=1
	v_and_b32_e32 v55, 0xffff, v9
	v_and_b32_e32 v10, 0x7f, v55
	v_cmp_ne_u32_e64 s[4:5], s53, v10
	v_mov_b32_e32 v7, 0x7f800001
	s_and_saveexec_b64 s[44:45], s[4:5]
	s_cbranch_execz .LBB187_221
; %bb.220:                              ;   in Loop: Header=BB187_14 Depth=1
	v_and_b32_e32 v7, 7, v55
	v_lshrrev_b32_e32 v12, 3, v10
	v_cmp_gt_u32_e64 s[4:5], 8, v10
	v_ffbh_u32_e32 v10, v7
	v_min_u32_e32 v13, 32, v10
	v_subrev_u32_e32 v10, 28, v13
	v_lshlrev_b64 v[10:11], v10, v[55:56]
	v_sub_u32_e32 v11, 29, v13
	v_and_b32_e32 v10, 7, v10
	v_cndmask_b32_e64 v11, v12, v11, s[4:5]
	v_cndmask_b32_e64 v7, v7, v10, s[4:5]
	v_lshlrev_b32_e32 v9, 24, v9
	v_bfrev_b32_e32 v10, 60
	v_lshlrev_b32_e32 v7, 20, v7
	v_and_b32_e32 v9, 0x80000000, v9
	v_lshl_add_u32 v10, v11, 23, v10
	v_or3_b32 v7, v9, v10, v7
.LBB187_221:                            ;   in Loop: Header=BB187_14 Depth=1
	s_or_b64 exec, exec, s[44:45]
.LBB187_222:                            ;   in Loop: Header=BB187_14 Depth=1
	s_or_b64 exec, exec, s[42:43]
.LBB187_223:                            ;   in Loop: Header=BB187_14 Depth=1
	s_or_b64 exec, exec, s[40:41]
	global_load_ubyte v11, v[53:54], off offset:2056
	v_mov_b32_e32 v9, 0
	v_mov_b32_e32 v10, 0
	s_waitcnt vmcnt(0)
	v_cmp_ne_u16_e64 s[4:5], 0, v11
	s_and_saveexec_b64 s[40:41], s[4:5]
	s_cbranch_execz .LBB187_229
; %bb.224:                              ;   in Loop: Header=BB187_14 Depth=1
	v_cmp_ne_u16_e64 s[4:5], s52, v11
	v_bfrev_b32_e32 v10, 1
	s_and_saveexec_b64 s[42:43], s[4:5]
	s_cbranch_execz .LBB187_228
; %bb.225:                              ;   in Loop: Header=BB187_14 Depth=1
	v_and_b32_e32 v55, 0xffff, v11
	v_and_b32_e32 v12, 0x7f, v55
	v_cmp_ne_u32_e64 s[4:5], s53, v12
	v_mov_b32_e32 v10, 0x7f800001
	s_and_saveexec_b64 s[44:45], s[4:5]
	s_cbranch_execz .LBB187_227
; %bb.226:                              ;   in Loop: Header=BB187_14 Depth=1
	v_and_b32_e32 v10, 7, v55
	v_lshrrev_b32_e32 v14, 3, v12
	v_cmp_gt_u32_e64 s[4:5], 8, v12
	v_ffbh_u32_e32 v12, v10
	v_min_u32_e32 v15, 32, v12
	v_subrev_u32_e32 v12, 28, v15
	v_lshlrev_b64 v[12:13], v12, v[55:56]
	v_sub_u32_e32 v13, 29, v15
	v_and_b32_e32 v12, 7, v12
	v_cndmask_b32_e64 v13, v14, v13, s[4:5]
	v_cndmask_b32_e64 v10, v10, v12, s[4:5]
	v_lshlrev_b32_e32 v11, 24, v11
	v_bfrev_b32_e32 v12, 60
	v_lshlrev_b32_e32 v10, 20, v10
	v_and_b32_e32 v11, 0x80000000, v11
	v_lshl_add_u32 v12, v13, 23, v12
	v_or3_b32 v10, v11, v12, v10
.LBB187_227:                            ;   in Loop: Header=BB187_14 Depth=1
	s_or_b64 exec, exec, s[44:45]
.LBB187_228:                            ;   in Loop: Header=BB187_14 Depth=1
	s_or_b64 exec, exec, s[42:43]
.LBB187_229:                            ;   in Loop: Header=BB187_14 Depth=1
	s_or_b64 exec, exec, s[40:41]
	global_load_ubyte v11, v[53:54], off offset:2060
	s_waitcnt vmcnt(0)
	v_cmp_ne_u16_e64 s[4:5], 0, v11
	s_and_saveexec_b64 s[40:41], s[4:5]
	s_cbranch_execz .LBB187_235
; %bb.230:                              ;   in Loop: Header=BB187_14 Depth=1
	v_cmp_ne_u16_e64 s[4:5], s52, v11
	v_bfrev_b32_e32 v9, 1
	s_and_saveexec_b64 s[42:43], s[4:5]
	s_cbranch_execz .LBB187_234
; %bb.231:                              ;   in Loop: Header=BB187_14 Depth=1
	v_and_b32_e32 v55, 0xffff, v11
	v_and_b32_e32 v12, 0x7f, v55
	v_cmp_ne_u32_e64 s[4:5], s53, v12
	v_mov_b32_e32 v9, 0x7f800001
	s_and_saveexec_b64 s[44:45], s[4:5]
	s_cbranch_execz .LBB187_233
; %bb.232:                              ;   in Loop: Header=BB187_14 Depth=1
	v_and_b32_e32 v9, 7, v55
	v_lshrrev_b32_e32 v14, 3, v12
	v_cmp_gt_u32_e64 s[4:5], 8, v12
	v_ffbh_u32_e32 v12, v9
	v_min_u32_e32 v15, 32, v12
	v_subrev_u32_e32 v12, 28, v15
	v_lshlrev_b64 v[12:13], v12, v[55:56]
	v_sub_u32_e32 v13, 29, v15
	v_and_b32_e32 v12, 7, v12
	v_cndmask_b32_e64 v13, v14, v13, s[4:5]
	v_cndmask_b32_e64 v9, v9, v12, s[4:5]
	v_lshlrev_b32_e32 v11, 24, v11
	v_bfrev_b32_e32 v12, 60
	v_lshlrev_b32_e32 v9, 20, v9
	v_and_b32_e32 v11, 0x80000000, v11
	v_lshl_add_u32 v12, v13, 23, v12
	v_or3_b32 v9, v11, v12, v9
.LBB187_233:                            ;   in Loop: Header=BB187_14 Depth=1
	s_or_b64 exec, exec, s[44:45]
.LBB187_234:                            ;   in Loop: Header=BB187_14 Depth=1
	s_or_b64 exec, exec, s[42:43]
.LBB187_235:                            ;   in Loop: Header=BB187_14 Depth=1
	s_or_b64 exec, exec, s[40:41]
	global_load_ubyte v13, v[53:54], off offset:2304
	v_mov_b32_e32 v11, 0
	v_mov_b32_e32 v12, 0
	s_waitcnt vmcnt(0)
	v_cmp_ne_u16_e64 s[4:5], 0, v13
	s_and_saveexec_b64 s[40:41], s[4:5]
	s_cbranch_execz .LBB187_241
; %bb.236:                              ;   in Loop: Header=BB187_14 Depth=1
	v_cmp_ne_u16_e64 s[4:5], s52, v13
	v_bfrev_b32_e32 v12, 1
	s_and_saveexec_b64 s[42:43], s[4:5]
	s_cbranch_execz .LBB187_240
; %bb.237:                              ;   in Loop: Header=BB187_14 Depth=1
	v_and_b32_e32 v55, 0xffff, v13
	v_and_b32_e32 v14, 0x7f, v55
	v_cmp_ne_u32_e64 s[4:5], s53, v14
	v_mov_b32_e32 v12, 0x7f800001
	s_and_saveexec_b64 s[44:45], s[4:5]
	s_cbranch_execz .LBB187_239
; %bb.238:                              ;   in Loop: Header=BB187_14 Depth=1
	v_and_b32_e32 v12, 7, v55
	v_lshrrev_b32_e32 v16, 3, v14
	v_cmp_gt_u32_e64 s[4:5], 8, v14
	v_ffbh_u32_e32 v14, v12
	v_min_u32_e32 v17, 32, v14
	v_subrev_u32_e32 v14, 28, v17
	v_lshlrev_b64 v[14:15], v14, v[55:56]
	v_sub_u32_e32 v15, 29, v17
	v_and_b32_e32 v14, 7, v14
	v_cndmask_b32_e64 v15, v16, v15, s[4:5]
	v_cndmask_b32_e64 v12, v12, v14, s[4:5]
	v_lshlrev_b32_e32 v13, 24, v13
	v_bfrev_b32_e32 v14, 60
	v_lshlrev_b32_e32 v12, 20, v12
	v_and_b32_e32 v13, 0x80000000, v13
	v_lshl_add_u32 v14, v15, 23, v14
	v_or3_b32 v12, v13, v14, v12
.LBB187_239:                            ;   in Loop: Header=BB187_14 Depth=1
	s_or_b64 exec, exec, s[44:45]
.LBB187_240:                            ;   in Loop: Header=BB187_14 Depth=1
	s_or_b64 exec, exec, s[42:43]
.LBB187_241:                            ;   in Loop: Header=BB187_14 Depth=1
	s_or_b64 exec, exec, s[40:41]
	global_load_ubyte v13, v[53:54], off offset:2308
	s_waitcnt vmcnt(0)
	v_cmp_ne_u16_e64 s[4:5], 0, v13
	s_and_saveexec_b64 s[40:41], s[4:5]
	s_cbranch_execz .LBB187_247
; %bb.242:                              ;   in Loop: Header=BB187_14 Depth=1
	v_cmp_ne_u16_e64 s[4:5], s52, v13
	v_bfrev_b32_e32 v11, 1
	s_and_saveexec_b64 s[42:43], s[4:5]
	s_cbranch_execz .LBB187_246
; %bb.243:                              ;   in Loop: Header=BB187_14 Depth=1
	v_and_b32_e32 v55, 0xffff, v13
	v_and_b32_e32 v14, 0x7f, v55
	v_cmp_ne_u32_e64 s[4:5], s53, v14
	v_mov_b32_e32 v11, 0x7f800001
	s_and_saveexec_b64 s[44:45], s[4:5]
	s_cbranch_execz .LBB187_245
; %bb.244:                              ;   in Loop: Header=BB187_14 Depth=1
	v_and_b32_e32 v11, 7, v55
	v_lshrrev_b32_e32 v16, 3, v14
	v_cmp_gt_u32_e64 s[4:5], 8, v14
	v_ffbh_u32_e32 v14, v11
	v_min_u32_e32 v17, 32, v14
	v_subrev_u32_e32 v14, 28, v17
	v_lshlrev_b64 v[14:15], v14, v[55:56]
	v_sub_u32_e32 v15, 29, v17
	v_and_b32_e32 v14, 7, v14
	v_cndmask_b32_e64 v15, v16, v15, s[4:5]
	v_cndmask_b32_e64 v11, v11, v14, s[4:5]
	v_lshlrev_b32_e32 v13, 24, v13
	v_bfrev_b32_e32 v14, 60
	v_lshlrev_b32_e32 v11, 20, v11
	v_and_b32_e32 v13, 0x80000000, v13
	v_lshl_add_u32 v14, v15, 23, v14
	v_or3_b32 v11, v13, v14, v11
.LBB187_245:                            ;   in Loop: Header=BB187_14 Depth=1
	s_or_b64 exec, exec, s[44:45]
.LBB187_246:                            ;   in Loop: Header=BB187_14 Depth=1
	s_or_b64 exec, exec, s[42:43]
.LBB187_247:                            ;   in Loop: Header=BB187_14 Depth=1
	s_or_b64 exec, exec, s[40:41]
	global_load_ubyte v15, v[53:54], off offset:2312
	v_mov_b32_e32 v13, 0
	v_mov_b32_e32 v14, 0
	s_waitcnt vmcnt(0)
	v_cmp_ne_u16_e64 s[4:5], 0, v15
	s_and_saveexec_b64 s[40:41], s[4:5]
	s_cbranch_execz .LBB187_253
; %bb.248:                              ;   in Loop: Header=BB187_14 Depth=1
	v_cmp_ne_u16_e64 s[4:5], s52, v15
	v_bfrev_b32_e32 v14, 1
	s_and_saveexec_b64 s[42:43], s[4:5]
	s_cbranch_execz .LBB187_252
; %bb.249:                              ;   in Loop: Header=BB187_14 Depth=1
	v_and_b32_e32 v55, 0xffff, v15
	v_and_b32_e32 v16, 0x7f, v55
	v_cmp_ne_u32_e64 s[4:5], s53, v16
	v_mov_b32_e32 v14, 0x7f800001
	s_and_saveexec_b64 s[44:45], s[4:5]
	s_cbranch_execz .LBB187_251
; %bb.250:                              ;   in Loop: Header=BB187_14 Depth=1
	v_and_b32_e32 v14, 7, v55
	v_lshrrev_b32_e32 v18, 3, v16
	v_cmp_gt_u32_e64 s[4:5], 8, v16
	v_ffbh_u32_e32 v16, v14
	v_min_u32_e32 v19, 32, v16
	v_subrev_u32_e32 v16, 28, v19
	v_lshlrev_b64 v[16:17], v16, v[55:56]
	v_sub_u32_e32 v17, 29, v19
	v_and_b32_e32 v16, 7, v16
	v_cndmask_b32_e64 v17, v18, v17, s[4:5]
	v_cndmask_b32_e64 v14, v14, v16, s[4:5]
	v_lshlrev_b32_e32 v15, 24, v15
	v_bfrev_b32_e32 v16, 60
	v_lshlrev_b32_e32 v14, 20, v14
	v_and_b32_e32 v15, 0x80000000, v15
	v_lshl_add_u32 v16, v17, 23, v16
	v_or3_b32 v14, v15, v16, v14
.LBB187_251:                            ;   in Loop: Header=BB187_14 Depth=1
	s_or_b64 exec, exec, s[44:45]
.LBB187_252:                            ;   in Loop: Header=BB187_14 Depth=1
	s_or_b64 exec, exec, s[42:43]
.LBB187_253:                            ;   in Loop: Header=BB187_14 Depth=1
	s_or_b64 exec, exec, s[40:41]
	global_load_ubyte v15, v[53:54], off offset:2316
	s_waitcnt vmcnt(0)
	v_cmp_ne_u16_e64 s[4:5], 0, v15
	s_and_saveexec_b64 s[40:41], s[4:5]
	s_cbranch_execz .LBB187_259
; %bb.254:                              ;   in Loop: Header=BB187_14 Depth=1
	v_cmp_ne_u16_e64 s[4:5], s52, v15
	v_bfrev_b32_e32 v13, 1
	s_and_saveexec_b64 s[42:43], s[4:5]
	s_cbranch_execz .LBB187_258
; %bb.255:                              ;   in Loop: Header=BB187_14 Depth=1
	v_and_b32_e32 v55, 0xffff, v15
	v_and_b32_e32 v16, 0x7f, v55
	v_cmp_ne_u32_e64 s[4:5], s53, v16
	v_mov_b32_e32 v13, 0x7f800001
	s_and_saveexec_b64 s[44:45], s[4:5]
	s_cbranch_execz .LBB187_257
; %bb.256:                              ;   in Loop: Header=BB187_14 Depth=1
	v_and_b32_e32 v13, 7, v55
	v_lshrrev_b32_e32 v18, 3, v16
	v_cmp_gt_u32_e64 s[4:5], 8, v16
	v_ffbh_u32_e32 v16, v13
	v_min_u32_e32 v19, 32, v16
	v_subrev_u32_e32 v16, 28, v19
	v_lshlrev_b64 v[16:17], v16, v[55:56]
	v_sub_u32_e32 v17, 29, v19
	v_and_b32_e32 v16, 7, v16
	v_cndmask_b32_e64 v17, v18, v17, s[4:5]
	v_cndmask_b32_e64 v13, v13, v16, s[4:5]
	v_lshlrev_b32_e32 v15, 24, v15
	v_bfrev_b32_e32 v16, 60
	v_lshlrev_b32_e32 v13, 20, v13
	v_and_b32_e32 v15, 0x80000000, v15
	v_lshl_add_u32 v16, v17, 23, v16
	v_or3_b32 v13, v15, v16, v13
.LBB187_257:                            ;   in Loop: Header=BB187_14 Depth=1
	s_or_b64 exec, exec, s[44:45]
.LBB187_258:                            ;   in Loop: Header=BB187_14 Depth=1
	s_or_b64 exec, exec, s[42:43]
.LBB187_259:                            ;   in Loop: Header=BB187_14 Depth=1
	s_or_b64 exec, exec, s[40:41]
	global_load_ubyte v17, v[53:54], off offset:2560
	v_mov_b32_e32 v15, 0
	v_mov_b32_e32 v16, 0
	s_waitcnt vmcnt(0)
	v_cmp_ne_u16_e64 s[4:5], 0, v17
	s_and_saveexec_b64 s[40:41], s[4:5]
	s_cbranch_execz .LBB187_265
; %bb.260:                              ;   in Loop: Header=BB187_14 Depth=1
	v_cmp_ne_u16_e64 s[4:5], s52, v17
	v_bfrev_b32_e32 v16, 1
	s_and_saveexec_b64 s[42:43], s[4:5]
	s_cbranch_execz .LBB187_264
; %bb.261:                              ;   in Loop: Header=BB187_14 Depth=1
	v_and_b32_e32 v55, 0xffff, v17
	v_and_b32_e32 v18, 0x7f, v55
	v_cmp_ne_u32_e64 s[4:5], s53, v18
	v_mov_b32_e32 v16, 0x7f800001
	s_and_saveexec_b64 s[44:45], s[4:5]
	s_cbranch_execz .LBB187_263
; %bb.262:                              ;   in Loop: Header=BB187_14 Depth=1
	v_and_b32_e32 v16, 7, v55
	v_lshrrev_b32_e32 v20, 3, v18
	v_cmp_gt_u32_e64 s[4:5], 8, v18
	v_ffbh_u32_e32 v18, v16
	v_min_u32_e32 v21, 32, v18
	v_subrev_u32_e32 v18, 28, v21
	v_lshlrev_b64 v[18:19], v18, v[55:56]
	v_sub_u32_e32 v19, 29, v21
	v_and_b32_e32 v18, 7, v18
	v_cndmask_b32_e64 v19, v20, v19, s[4:5]
	v_cndmask_b32_e64 v16, v16, v18, s[4:5]
	v_lshlrev_b32_e32 v17, 24, v17
	v_bfrev_b32_e32 v18, 60
	v_lshlrev_b32_e32 v16, 20, v16
	v_and_b32_e32 v17, 0x80000000, v17
	v_lshl_add_u32 v18, v19, 23, v18
	v_or3_b32 v16, v17, v18, v16
.LBB187_263:                            ;   in Loop: Header=BB187_14 Depth=1
	s_or_b64 exec, exec, s[44:45]
.LBB187_264:                            ;   in Loop: Header=BB187_14 Depth=1
	s_or_b64 exec, exec, s[42:43]
.LBB187_265:                            ;   in Loop: Header=BB187_14 Depth=1
	s_or_b64 exec, exec, s[40:41]
	global_load_ubyte v17, v[53:54], off offset:2564
	s_waitcnt vmcnt(0)
	v_cmp_ne_u16_e64 s[4:5], 0, v17
	s_and_saveexec_b64 s[40:41], s[4:5]
	s_cbranch_execz .LBB187_271
; %bb.266:                              ;   in Loop: Header=BB187_14 Depth=1
	v_cmp_ne_u16_e64 s[4:5], s52, v17
	v_bfrev_b32_e32 v15, 1
	s_and_saveexec_b64 s[42:43], s[4:5]
	s_cbranch_execz .LBB187_270
; %bb.267:                              ;   in Loop: Header=BB187_14 Depth=1
	v_and_b32_e32 v55, 0xffff, v17
	v_and_b32_e32 v18, 0x7f, v55
	v_cmp_ne_u32_e64 s[4:5], s53, v18
	v_mov_b32_e32 v15, 0x7f800001
	s_and_saveexec_b64 s[44:45], s[4:5]
	s_cbranch_execz .LBB187_269
; %bb.268:                              ;   in Loop: Header=BB187_14 Depth=1
	v_and_b32_e32 v15, 7, v55
	v_lshrrev_b32_e32 v20, 3, v18
	v_cmp_gt_u32_e64 s[4:5], 8, v18
	v_ffbh_u32_e32 v18, v15
	v_min_u32_e32 v21, 32, v18
	v_subrev_u32_e32 v18, 28, v21
	v_lshlrev_b64 v[18:19], v18, v[55:56]
	v_sub_u32_e32 v19, 29, v21
	v_and_b32_e32 v18, 7, v18
	v_cndmask_b32_e64 v19, v20, v19, s[4:5]
	v_cndmask_b32_e64 v15, v15, v18, s[4:5]
	v_lshlrev_b32_e32 v17, 24, v17
	v_bfrev_b32_e32 v18, 60
	v_lshlrev_b32_e32 v15, 20, v15
	v_and_b32_e32 v17, 0x80000000, v17
	v_lshl_add_u32 v18, v19, 23, v18
	v_or3_b32 v15, v17, v18, v15
.LBB187_269:                            ;   in Loop: Header=BB187_14 Depth=1
	s_or_b64 exec, exec, s[44:45]
.LBB187_270:                            ;   in Loop: Header=BB187_14 Depth=1
	s_or_b64 exec, exec, s[42:43]
.LBB187_271:                            ;   in Loop: Header=BB187_14 Depth=1
	s_or_b64 exec, exec, s[40:41]
	global_load_ubyte v19, v[53:54], off offset:2568
	v_mov_b32_e32 v17, 0
	v_mov_b32_e32 v18, 0
	s_waitcnt vmcnt(0)
	v_cmp_ne_u16_e64 s[4:5], 0, v19
	s_and_saveexec_b64 s[40:41], s[4:5]
	s_cbranch_execz .LBB187_277
; %bb.272:                              ;   in Loop: Header=BB187_14 Depth=1
	v_cmp_ne_u16_e64 s[4:5], s52, v19
	v_bfrev_b32_e32 v18, 1
	s_and_saveexec_b64 s[42:43], s[4:5]
	s_cbranch_execz .LBB187_276
; %bb.273:                              ;   in Loop: Header=BB187_14 Depth=1
	v_and_b32_e32 v55, 0xffff, v19
	v_and_b32_e32 v20, 0x7f, v55
	v_cmp_ne_u32_e64 s[4:5], s53, v20
	v_mov_b32_e32 v18, 0x7f800001
	s_and_saveexec_b64 s[44:45], s[4:5]
	s_cbranch_execz .LBB187_275
; %bb.274:                              ;   in Loop: Header=BB187_14 Depth=1
	v_and_b32_e32 v18, 7, v55
	v_lshrrev_b32_e32 v22, 3, v20
	v_cmp_gt_u32_e64 s[4:5], 8, v20
	v_ffbh_u32_e32 v20, v18
	v_min_u32_e32 v23, 32, v20
	v_subrev_u32_e32 v20, 28, v23
	v_lshlrev_b64 v[20:21], v20, v[55:56]
	v_sub_u32_e32 v21, 29, v23
	v_and_b32_e32 v20, 7, v20
	v_cndmask_b32_e64 v21, v22, v21, s[4:5]
	v_cndmask_b32_e64 v18, v18, v20, s[4:5]
	v_lshlrev_b32_e32 v19, 24, v19
	v_bfrev_b32_e32 v20, 60
	v_lshlrev_b32_e32 v18, 20, v18
	v_and_b32_e32 v19, 0x80000000, v19
	v_lshl_add_u32 v20, v21, 23, v20
	v_or3_b32 v18, v19, v20, v18
.LBB187_275:                            ;   in Loop: Header=BB187_14 Depth=1
	s_or_b64 exec, exec, s[44:45]
.LBB187_276:                            ;   in Loop: Header=BB187_14 Depth=1
	s_or_b64 exec, exec, s[42:43]
.LBB187_277:                            ;   in Loop: Header=BB187_14 Depth=1
	s_or_b64 exec, exec, s[40:41]
	global_load_ubyte v19, v[53:54], off offset:2572
	s_waitcnt vmcnt(0)
	v_cmp_ne_u16_e64 s[4:5], 0, v19
	s_and_saveexec_b64 s[40:41], s[4:5]
	s_cbranch_execz .LBB187_283
; %bb.278:                              ;   in Loop: Header=BB187_14 Depth=1
	v_cmp_ne_u16_e64 s[4:5], s52, v19
	v_bfrev_b32_e32 v17, 1
	s_and_saveexec_b64 s[42:43], s[4:5]
	s_cbranch_execz .LBB187_282
; %bb.279:                              ;   in Loop: Header=BB187_14 Depth=1
	v_and_b32_e32 v55, 0xffff, v19
	v_and_b32_e32 v20, 0x7f, v55
	v_cmp_ne_u32_e64 s[4:5], s53, v20
	v_mov_b32_e32 v17, 0x7f800001
	s_and_saveexec_b64 s[44:45], s[4:5]
	s_cbranch_execz .LBB187_281
; %bb.280:                              ;   in Loop: Header=BB187_14 Depth=1
	v_and_b32_e32 v17, 7, v55
	v_lshrrev_b32_e32 v22, 3, v20
	v_cmp_gt_u32_e64 s[4:5], 8, v20
	v_ffbh_u32_e32 v20, v17
	v_min_u32_e32 v23, 32, v20
	v_subrev_u32_e32 v20, 28, v23
	v_lshlrev_b64 v[20:21], v20, v[55:56]
	v_sub_u32_e32 v21, 29, v23
	v_and_b32_e32 v20, 7, v20
	v_cndmask_b32_e64 v21, v22, v21, s[4:5]
	v_cndmask_b32_e64 v17, v17, v20, s[4:5]
	v_lshlrev_b32_e32 v19, 24, v19
	v_bfrev_b32_e32 v20, 60
	v_lshlrev_b32_e32 v17, 20, v17
	v_and_b32_e32 v19, 0x80000000, v19
	v_lshl_add_u32 v20, v21, 23, v20
	v_or3_b32 v17, v19, v20, v17
.LBB187_281:                            ;   in Loop: Header=BB187_14 Depth=1
	s_or_b64 exec, exec, s[44:45]
.LBB187_282:                            ;   in Loop: Header=BB187_14 Depth=1
	s_or_b64 exec, exec, s[42:43]
.LBB187_283:                            ;   in Loop: Header=BB187_14 Depth=1
	s_or_b64 exec, exec, s[40:41]
	global_load_ubyte v21, v[53:54], off offset:2816
	v_mov_b32_e32 v19, 0
	v_mov_b32_e32 v20, 0
	s_waitcnt vmcnt(0)
	v_cmp_ne_u16_e64 s[4:5], 0, v21
	s_mov_b64 s[40:41], exec
	s_and_b64 s[4:5], s[40:41], s[4:5]
	buffer_store_dword v0, off, s[56:59], 0 offset:196 ; 4-byte Folded Spill
	s_mov_b64 exec, s[4:5]
	s_cbranch_execz .LBB187_289
; %bb.284:                              ;   in Loop: Header=BB187_14 Depth=1
	v_cmp_ne_u16_e64 s[4:5], s52, v21
	v_bfrev_b32_e32 v20, 1
	s_and_saveexec_b64 s[42:43], s[4:5]
	s_cbranch_execz .LBB187_288
; %bb.285:                              ;   in Loop: Header=BB187_14 Depth=1
	v_and_b32_e32 v55, 0xffff, v21
	v_and_b32_e32 v22, 0x7f, v55
	v_cmp_ne_u32_e64 s[4:5], s53, v22
	v_mov_b32_e32 v20, 0x7f800001
	s_and_saveexec_b64 s[44:45], s[4:5]
	s_cbranch_execz .LBB187_287
; %bb.286:                              ;   in Loop: Header=BB187_14 Depth=1
	v_and_b32_e32 v20, 7, v55
	v_lshrrev_b32_e32 v24, 3, v22
	v_cmp_gt_u32_e64 s[4:5], 8, v22
	v_ffbh_u32_e32 v22, v20
	v_mov_b32_e32 v0, v25
	v_mov_b32_e32 v25, v57
	v_min_u32_e32 v57, 32, v22
	v_subrev_u32_e32 v22, 28, v57
	v_lshlrev_b64 v[22:23], v22, v[55:56]
	v_sub_u32_e32 v23, 29, v57
	v_and_b32_e32 v22, 7, v22
	v_cndmask_b32_e64 v23, v24, v23, s[4:5]
	v_cndmask_b32_e64 v20, v20, v22, s[4:5]
	v_lshlrev_b32_e32 v21, 24, v21
	v_bfrev_b32_e32 v22, 60
	v_lshlrev_b32_e32 v20, 20, v20
	v_and_b32_e32 v21, 0x80000000, v21
	v_lshl_add_u32 v22, v23, 23, v22
	v_mov_b32_e32 v57, v25
	v_mov_b32_e32 v25, v0
	v_or3_b32 v20, v21, v22, v20
.LBB187_287:                            ;   in Loop: Header=BB187_14 Depth=1
	s_or_b64 exec, exec, s[44:45]
.LBB187_288:                            ;   in Loop: Header=BB187_14 Depth=1
	s_or_b64 exec, exec, s[42:43]
.LBB187_289:                            ;   in Loop: Header=BB187_14 Depth=1
	s_or_b64 exec, exec, s[40:41]
	global_load_ubyte v21, v[53:54], off offset:2820
	s_waitcnt vmcnt(0)
	v_cmp_ne_u16_e64 s[4:5], 0, v21
	s_and_saveexec_b64 s[40:41], s[4:5]
	s_cbranch_execz .LBB187_295
; %bb.290:                              ;   in Loop: Header=BB187_14 Depth=1
	v_cmp_ne_u16_e64 s[4:5], s52, v21
	v_bfrev_b32_e32 v19, 1
	s_and_saveexec_b64 s[42:43], s[4:5]
	s_cbranch_execz .LBB187_294
; %bb.291:                              ;   in Loop: Header=BB187_14 Depth=1
	v_and_b32_e32 v55, 0xffff, v21
	v_and_b32_e32 v22, 0x7f, v55
	v_cmp_ne_u32_e64 s[4:5], s53, v22
	v_mov_b32_e32 v19, 0x7f800001
	s_and_saveexec_b64 s[44:45], s[4:5]
	s_cbranch_execz .LBB187_293
; %bb.292:                              ;   in Loop: Header=BB187_14 Depth=1
	v_and_b32_e32 v19, 7, v55
	v_lshrrev_b32_e32 v24, 3, v22
	v_cmp_gt_u32_e64 s[4:5], 8, v22
	v_ffbh_u32_e32 v22, v19
	v_mov_b32_e32 v0, v25
	v_mov_b32_e32 v25, v57
	v_min_u32_e32 v57, 32, v22
	v_subrev_u32_e32 v22, 28, v57
	v_lshlrev_b64 v[22:23], v22, v[55:56]
	v_sub_u32_e32 v23, 29, v57
	v_and_b32_e32 v22, 7, v22
	v_cndmask_b32_e64 v23, v24, v23, s[4:5]
	v_cndmask_b32_e64 v19, v19, v22, s[4:5]
	v_lshlrev_b32_e32 v21, 24, v21
	v_bfrev_b32_e32 v22, 60
	v_lshlrev_b32_e32 v19, 20, v19
	v_and_b32_e32 v21, 0x80000000, v21
	v_lshl_add_u32 v22, v23, 23, v22
	v_mov_b32_e32 v57, v25
	v_mov_b32_e32 v25, v0
	v_or3_b32 v19, v21, v22, v19
.LBB187_293:                            ;   in Loop: Header=BB187_14 Depth=1
	s_or_b64 exec, exec, s[44:45]
.LBB187_294:                            ;   in Loop: Header=BB187_14 Depth=1
	s_or_b64 exec, exec, s[42:43]
.LBB187_295:                            ;   in Loop: Header=BB187_14 Depth=1
	s_or_b64 exec, exec, s[40:41]
	global_load_ubyte v22, v[53:54], off offset:2824
	v_mov_b32_e32 v21, 0
	v_mov_b32_e32 v23, 0
	s_waitcnt vmcnt(0)
	v_cmp_ne_u16_e64 s[4:5], 0, v22
	s_and_saveexec_b64 s[40:41], s[4:5]
	s_cbranch_execz .LBB187_301
; %bb.296:                              ;   in Loop: Header=BB187_14 Depth=1
	v_cmp_ne_u16_e64 s[4:5], s52, v22
	v_bfrev_b32_e32 v23, 1
	s_and_saveexec_b64 s[42:43], s[4:5]
	s_cbranch_execz .LBB187_300
; %bb.297:                              ;   in Loop: Header=BB187_14 Depth=1
	v_and_b32_e32 v55, 0xffff, v22
	v_and_b32_e32 v24, 0x7f, v55
	v_cmp_ne_u32_e64 s[4:5], s53, v24
	v_mov_b32_e32 v23, 0x7f800001
	s_and_saveexec_b64 s[44:45], s[4:5]
	s_cbranch_execz .LBB187_299
; %bb.298:                              ;   in Loop: Header=BB187_14 Depth=1
	v_mov_b32_e32 v0, v62
	v_mov_b32_e32 v62, v61
	;; [unrolled: 1-line block ×27, first 2 shown]
	v_and_b32_e32 v57, 7, v55
	v_ffbh_u32_e32 v23, v57
	v_mov_b32_e32 v58, v16
	v_mov_b32_e32 v16, v15
	;; [unrolled: 1-line block ×19, first 2 shown]
	v_min_u32_e32 v26, 32, v23
	v_subrev_u32_e32 v23, 28, v26
	v_mov_b32_e32 v2, v25
	v_lshrrev_b32_e32 v25, 3, v24
	v_cmp_gt_u32_e64 s[4:5], 8, v24
	v_lshlrev_b64 v[23:24], v23, v[55:56]
	v_sub_u32_e32 v24, 29, v26
	v_cndmask_b32_e64 v24, v25, v24, s[4:5]
	v_bfrev_b32_e32 v25, 60
	v_lshl_add_u32 v24, v24, 23, v25
	v_mov_b32_e32 v25, v2
	buffer_load_dword v2, off, s[56:59], 0 offset:76 ; 4-byte Folded Reload
	v_and_b32_e32 v23, 7, v23
	v_cndmask_b32_e64 v23, v57, v23, s[4:5]
	v_mov_b32_e32 v57, v27
	v_mov_b32_e32 v27, v28
	;; [unrolled: 1-line block ×16, first 2 shown]
	v_lshlrev_b32_e32 v22, 24, v22
	v_mov_b32_e32 v42, v43
	v_mov_b32_e32 v43, v44
	v_mov_b32_e32 v44, v45
	v_mov_b32_e32 v45, v46
	v_lshlrev_b32_e32 v23, 20, v23
	v_and_b32_e32 v22, 0x80000000, v22
	v_mov_b32_e32 v26, v1
	v_mov_b32_e32 v1, v3
	;; [unrolled: 1-line block ×26, first 2 shown]
	v_or3_b32 v23, v22, v24, v23
.LBB187_299:                            ;   in Loop: Header=BB187_14 Depth=1
	s_or_b64 exec, exec, s[44:45]
.LBB187_300:                            ;   in Loop: Header=BB187_14 Depth=1
	s_or_b64 exec, exec, s[42:43]
.LBB187_301:                            ;   in Loop: Header=BB187_14 Depth=1
	s_or_b64 exec, exec, s[40:41]
	global_load_ubyte v22, v[53:54], off offset:2828
	s_waitcnt vmcnt(0)
	v_cmp_ne_u16_e64 s[4:5], 0, v22
	s_and_saveexec_b64 s[40:41], s[4:5]
	s_cbranch_execz .LBB187_307
; %bb.302:                              ;   in Loop: Header=BB187_14 Depth=1
	v_cmp_ne_u16_e64 s[4:5], s52, v22
	v_bfrev_b32_e32 v21, 1
	s_and_saveexec_b64 s[42:43], s[4:5]
	s_cbranch_execz .LBB187_306
; %bb.303:                              ;   in Loop: Header=BB187_14 Depth=1
	v_and_b32_e32 v53, 0xffff, v22
	v_and_b32_e32 v24, 0x7f, v53
	v_cmp_ne_u32_e64 s[4:5], s53, v24
	v_mov_b32_e32 v21, 0x7f800001
	s_and_saveexec_b64 s[44:45], s[4:5]
	s_cbranch_execz .LBB187_305
; %bb.304:                              ;   in Loop: Header=BB187_14 Depth=1
	v_and_b32_e32 v21, 7, v53
	v_mov_b32_e32 v55, v1
	v_mov_b32_e32 v1, v25
	v_lshrrev_b32_e32 v25, 3, v24
	v_cmp_gt_u32_e64 s[4:5], 8, v24
	v_ffbh_u32_e32 v24, v21
	v_min_u32_e32 v24, 32, v24
	v_mov_b32_e32 v0, v26
	v_subrev_u32_e32 v26, 28, v24
	v_lshlrev_b64 v[53:54], v26, v[53:54]
	v_sub_u32_e32 v24, 29, v24
	v_and_b32_e32 v26, 7, v53
	v_cndmask_b32_e64 v24, v25, v24, s[4:5]
	v_cndmask_b32_e64 v21, v21, v26, s[4:5]
	v_lshlrev_b32_e32 v22, 24, v22
	v_bfrev_b32_e32 v25, 60
	v_lshlrev_b32_e32 v21, 20, v21
	v_and_b32_e32 v22, 0x80000000, v22
	v_lshl_add_u32 v24, v24, 23, v25
	v_mov_b32_e32 v26, v0
	v_mov_b32_e32 v25, v1
	;; [unrolled: 1-line block ×3, first 2 shown]
	v_or3_b32 v21, v22, v24, v21
.LBB187_305:                            ;   in Loop: Header=BB187_14 Depth=1
	s_or_b64 exec, exec, s[44:45]
.LBB187_306:                            ;   in Loop: Header=BB187_14 Depth=1
	s_or_b64 exec, exec, s[42:43]
.LBB187_307:                            ;   in Loop: Header=BB187_14 Depth=1
	s_or_b64 exec, exec, s[40:41]
	buffer_load_dword v0, off, s[56:59], 0 offset:4 ; 4-byte Folded Reload
	v_mul_f32_e32 v22, s54, v27
	v_mul_f32_e32 v24, s54, v28
	;; [unrolled: 1-line block ×3, first 2 shown]
	v_fmac_f32_e32 v22, v45, v24
	v_mul_f32_e32 v24, s54, v63
	v_fmac_f32_e32 v22, v47, v24
	v_mul_f32_e32 v24, s54, v49
	;; [unrolled: 2-line block ×4, first 2 shown]
	v_fmac_f32_e32 v22, v42, v24
	buffer_load_dword v28, off, s[56:59], 0 offset:52 ; 4-byte Folded Reload
	v_mul_f32_e32 v1, s54, v1
	v_mul_f32_e32 v4, s54, v4
	v_mul_f32_e32 v3, s54, v3
	v_mul_f32_e32 v6, s54, v6
	v_mul_f32_e32 v5, s54, v5
	v_mul_f32_e32 v8, s54, v8
	v_mul_f32_e32 v7, s54, v7
	v_mul_f32_e32 v10, s54, v10
	v_mul_f32_e32 v9, s54, v9
	v_mul_f32_e32 v12, s54, v12
	v_mul_f32_e32 v11, s54, v11
	v_mul_f32_e32 v14, s54, v14
	v_mul_f32_e32 v13, s54, v13
	v_mul_f32_e32 v16, s54, v16
	v_mul_f32_e32 v15, s54, v15
	v_mul_f32_e32 v18, s54, v18
	v_mul_f32_e32 v17, s54, v17
	v_mul_f32_e32 v20, s54, v20
	v_mul_f32_e32 v19, s54, v19
	v_mul_f32_e32 v23, s54, v23
	v_mul_f32_e32 v21, s54, v21
	buffer_load_dword v27, off, s[56:59], 0 offset:56 ; 4-byte Folded Reload
	buffer_load_dword v26, off, s[56:59], 0 offset:64 ; 4-byte Folded Reload
	s_waitcnt vmcnt(3)
	v_mul_f32_e32 v24, s54, v0
	buffer_load_dword v0, off, s[56:59], 0 offset:12 ; 4-byte Folded Reload
	v_fmac_f32_e32 v22, v43, v24
	v_mul_f32_e32 v24, s54, v25
	v_fmac_f32_e32 v22, v44, v24
	buffer_load_dword v25, off, s[56:59], 0 offset:60 ; 4-byte Folded Reload
	s_waitcnt vmcnt(4)
	v_mul_f32_e32 v28, s54, v28
	s_waitcnt vmcnt(3)
	v_mul_f32_e32 v27, s54, v27
	;; [unrolled: 2-line block ×4, first 2 shown]
	buffer_load_dword v0, off, s[56:59], 0 offset:8 ; 4-byte Folded Reload
	v_fmac_f32_e32 v22, v37, v24
	s_waitcnt vmcnt(1)
	v_mul_f32_e32 v25, s54, v25
	s_waitcnt vmcnt(0)
	v_mul_f32_e32 v24, s54, v0
	buffer_load_dword v0, off, s[56:59], 0 offset:20 ; 4-byte Folded Reload
	v_fmac_f32_e32 v22, v38, v24
	s_waitcnt vmcnt(0)
	v_mul_f32_e32 v24, s54, v0
	buffer_load_dword v0, off, s[56:59], 0 offset:16 ; 4-byte Folded Reload
	v_fmac_f32_e32 v22, v39, v24
	;; [unrolled: 4-line block ×10, first 2 shown]
	v_mul_f32_e32 v24, s54, v2
	v_fmac_f32_e32 v22, v32, v24
	buffer_load_dword v31, off, s[56:59], 0 offset:208 ; 4-byte Folded Reload
	s_waitcnt vmcnt(1)
	v_mul_f32_e32 v2, s54, v0
	buffer_load_dword v0, off, s[56:59], 0 offset:68 ; 4-byte Folded Reload
	s_waitcnt vmcnt(1)
	v_and_b32_e32 v29, 64, v31
	v_xor_b32_e32 v30, 2, v31
	v_add_u32_e32 v29, 64, v29
	v_cmp_lt_i32_e64 s[4:5], v30, v29
	v_cndmask_b32_e64 v30, v31, v30, s[4:5]
	v_lshlrev_b32_e32 v30, 2, v30
	s_waitcnt vmcnt(0)
	v_mul_f32_e32 v24, s54, v0
	buffer_load_dword v0, off, s[56:59], 0 offset:72 ; 4-byte Folded Reload
	buffer_load_dword v32, off, s[56:59], 0 offset:180 ; 4-byte Folded Reload
	;; [unrolled: 1-line block ×5, first 2 shown]
	s_waitcnt vmcnt(3)
	v_fmac_f32_e32 v22, v32, v28
	s_waitcnt vmcnt(2)
	v_fmac_f32_e32 v22, v33, v27
	;; [unrolled: 2-line block ×4, first 2 shown]
	buffer_load_dword v25, off, s[56:59], 0 offset:164 ; 4-byte Folded Reload
	buffer_load_dword v26, off, s[56:59], 0 offset:168 ; 4-byte Folded Reload
	;; [unrolled: 1-line block ×4, first 2 shown]
	v_mul_f32_e32 v0, s54, v0
	s_waitcnt vmcnt(3)
	v_fmac_f32_e32 v22, v25, v0
	s_waitcnt vmcnt(2)
	v_fmac_f32_e32 v22, v26, v24
	;; [unrolled: 2-line block ×3, first 2 shown]
	buffer_load_dword v24, off, s[56:59], 0 offset:148 ; 4-byte Folded Reload
	buffer_load_dword v25, off, s[56:59], 0 offset:152 ; 4-byte Folded Reload
	;; [unrolled: 1-line block ×4, first 2 shown]
	s_waitcnt vmcnt(4)
	v_fmac_f32_e32 v22, v28, v1
	s_waitcnt vmcnt(3)
	v_fmac_f32_e32 v22, v24, v4
	;; [unrolled: 2-line block ×3, first 2 shown]
	buffer_load_dword v0, off, s[56:59], 0 offset:132 ; 4-byte Folded Reload
	buffer_load_dword v1, off, s[56:59], 0 offset:136 ; 4-byte Folded Reload
	;; [unrolled: 1-line block ×4, first 2 shown]
	s_waitcnt vmcnt(5)
	v_fmac_f32_e32 v22, v26, v6
	s_waitcnt vmcnt(4)
	v_fmac_f32_e32 v22, v27, v5
	;; [unrolled: 2-line block ×6, first 2 shown]
	buffer_load_dword v0, off, s[56:59], 0 offset:116 ; 4-byte Folded Reload
	buffer_load_dword v1, off, s[56:59], 0 offset:120 ; 4-byte Folded Reload
	buffer_load_dword v2, off, s[56:59], 0 offset:124 ; 4-byte Folded Reload
	buffer_load_dword v3, off, s[56:59], 0 offset:128 ; 4-byte Folded Reload
	s_waitcnt vmcnt(3)
	v_fmac_f32_e32 v22, v0, v12
	s_waitcnt vmcnt(2)
	v_fmac_f32_e32 v22, v1, v11
	s_waitcnt vmcnt(1)
	v_fmac_f32_e32 v22, v2, v14
	s_waitcnt vmcnt(0)
	v_fmac_f32_e32 v22, v3, v13
	buffer_load_dword v0, off, s[56:59], 0 offset:100 ; 4-byte Folded Reload
	buffer_load_dword v1, off, s[56:59], 0 offset:104 ; 4-byte Folded Reload
	buffer_load_dword v2, off, s[56:59], 0 offset:108 ; 4-byte Folded Reload
	buffer_load_dword v3, off, s[56:59], 0 offset:112 ; 4-byte Folded Reload
	s_waitcnt vmcnt(3)
	v_fmac_f32_e32 v22, v0, v16
	s_waitcnt vmcnt(2)
	v_fmac_f32_e32 v22, v1, v15
	s_waitcnt vmcnt(1)
	v_fmac_f32_e32 v22, v2, v18
	s_waitcnt vmcnt(0)
	v_fmac_f32_e32 v22, v3, v17
	;; [unrolled: 12-line block ×3, first 2 shown]
	ds_bpermute_b32 v0, v30, v22
	v_xor_b32_e32 v1, 1, v31
	v_cmp_lt_i32_e64 s[4:5], v1, v29
	v_cndmask_b32_e64 v1, v31, v1, s[4:5]
	v_lshlrev_b32_e32 v1, 2, v1
	s_waitcnt lgkmcnt(0)
	v_add_f32_e32 v0, v22, v0
	ds_bpermute_b32 v1, v1, v0
	s_and_saveexec_b64 s[40:41], vcc
	s_cbranch_execz .LBB187_12
; %bb.308:                              ;   in Loop: Header=BB187_14 Depth=1
	buffer_load_dword v2, off, s[56:59], 0 offset:216 ; 4-byte Folded Reload
	buffer_load_dword v3, off, s[56:59], 0 offset:212 ; 4-byte Folded Reload
	s_waitcnt lgkmcnt(0)
	v_add_f32_e32 v0, v0, v1
	s_waitcnt vmcnt(1)
	v_add_u32_e32 v2, v2, v59
	v_cvt_f32_i32_e32 v2, v2
	s_waitcnt vmcnt(0)
	v_add_u32_e32 v3, v3, v59
	v_cmp_gt_i32_e64 s[4:5], s33, v3
	v_mul_f32_e32 v1, s48, v2
	v_cndmask_b32_e64 v1, 0, v1, s[2:3]
	v_fmac_f32_e32 v1, s37, v0
	v_cndmask_b32_e64 v0, 0, v1, s[4:5]
	ds_write_b32 v56, v0
	v_max_f32_e32 v0, v57, v57
	v_max_f32_e32 v0, v0, v1
	v_cndmask_b32_e64 v57, v57, v0, s[4:5]
	s_branch .LBB187_12
.LBB187_309:
	s_or_b64 exec, exec, s[38:39]
	buffer_load_dword v56, off, s[56:59], 0 offset:220 ; 4-byte Folded Reload
	buffer_load_dword v14, off, s[56:59], 0 offset:236 ; 4-byte Folded Reload
	;; [unrolled: 1-line block ×3, first 2 shown]
	v_mbcnt_lo_u32_b32 v5, -1, 0
.LBB187_310:
	s_or_b64 exec, exec, s[18:19]
	v_mbcnt_hi_u32_b32 v0, -1, v5
	v_and_b32_e32 v8, 64, v0
	s_waitcnt lgkmcnt(0)
	v_add_u32_e32 v1, 64, v8
	v_xor_b32_e32 v2, 32, v0
	v_cmp_lt_i32_e32 vcc, v2, v1
	v_cndmask_b32_e32 v2, v0, v2, vcc
	v_lshlrev_b32_e32 v2, 2, v2
	ds_bpermute_b32 v3, v2, v57
	v_xor_b32_e32 v5, 16, v0
	v_max_f32_e32 v4, v57, v57
	v_cmp_lt_i32_e32 vcc, v5, v1
	v_xor_b32_e32 v6, 8, v0
	s_waitcnt lgkmcnt(0)
	v_max_f32_e32 v3, v3, v3
	v_max_f32_e32 v4, v4, v3
	v_cndmask_b32_e32 v3, v0, v5, vcc
	v_lshlrev_b32_e32 v3, 2, v3
	ds_bpermute_b32 v5, v3, v4
	v_cmp_lt_i32_e32 vcc, v6, v1
	v_xor_b32_e32 v7, 4, v0
	s_waitcnt vmcnt(2)
	v_and_b32_e32 v18, 63, v56
	s_waitcnt lgkmcnt(0)
	v_max_f32_e32 v5, v5, v5
	v_max_f32_e32 v4, v4, v5
	v_cndmask_b32_e32 v5, v0, v6, vcc
	v_lshlrev_b32_e32 v6, 2, v5
	ds_bpermute_b32 v5, v6, v4
	v_cmp_lt_i32_e32 vcc, v7, v1
	s_waitcnt lgkmcnt(0)
	v_max_f32_e32 v5, v5, v5
	v_max_f32_e32 v5, v4, v5
	v_cndmask_b32_e32 v4, v0, v7, vcc
	v_lshlrev_b32_e32 v7, 2, v4
	buffer_load_dword v4, off, s[56:59], 0  ; 4-byte Folded Reload
	ds_bpermute_b32 v9, v7, v5
	v_cmp_eq_u32_e32 vcc, 0, v18
	s_waitcnt vmcnt(0)
	v_lshlrev_b32_e32 v4, 2, v4
	s_and_saveexec_b64 s[2:3], vcc
	s_cbranch_execz .LBB187_312
; %bb.311:
	s_waitcnt lgkmcnt(0)
	v_max_f32_e32 v9, v9, v9
	v_max_f32_e32 v5, v5, v5
	v_max_f32_e32 v5, v5, v9
	ds_write_b32 v4, v5 offset:768
.LBB187_312:
	s_or_b64 exec, exec, s[2:3]
	v_cmp_gt_u32_e64 s[2:3], 2, v18
	s_waitcnt lgkmcnt(0)
	v_mov_b32_e32 v9, 0xff7fffff
	v_lshlrev_b32_e32 v5, 2, v18
	s_barrier
	s_and_saveexec_b64 s[4:5], s[2:3]
; %bb.313:
	ds_read_b32 v9, v5 offset:768
; %bb.314:
	s_or_b64 exec, exec, s[4:5]
	v_xor_b32_e32 v10, 1, v0
	v_cmp_lt_i32_e64 s[4:5], v10, v1
	v_cndmask_b32_e64 v10, v0, v10, s[4:5]
	v_lshlrev_b32_e32 v17, 2, v10
	s_waitcnt lgkmcnt(0)
	ds_bpermute_b32 v10, v17, v9
	v_max_f32_e32 v9, v9, v9
	v_lshlrev_b32_e32 v8, 2, v8
	s_lshl_b32 s4, s20, 4
	s_min_i32 s37, s4, s33
	s_waitcnt lgkmcnt(0)
	v_max_f32_e32 v10, v10, v10
	v_max_f32_e32 v9, v9, v10
	ds_bpermute_b32 v9, v8, v9
	v_cmp_gt_i32_e64 s[4:5], s37, v56
	v_mov_b32_e32 v8, 0
	s_and_saveexec_b64 s[12:13], s[4:5]
	s_cbranch_execz .LBB187_318
; %bb.315:
	v_mov_b32_e32 v8, 0x310
	v_lshl_add_u32 v10, v56, 2, v8
	v_mov_b32_e32 v8, 0
	s_mov_b64 s[18:19], 0
	v_mov_b32_e32 v11, v56
.LBB187_316:                            ; =>This Inner Loop Header: Depth=1
	ds_read_b32 v12, v10
	v_add_u32_e32 v11, 0x80, v11
	v_cmp_le_i32_e64 s[6:7], s37, v11
	s_or_b64 s[18:19], s[6:7], s[18:19]
	s_waitcnt lgkmcnt(0)
	v_sub_f32_e32 v12, v12, v9
	v_mul_f32_e32 v12, 0x3fb8aa3b, v12
	v_exp_f32_e32 v12, v12
	ds_write_b32 v10, v12
	v_add_f32_e32 v8, v8, v12
	v_add_u32_e32 v10, 0x200, v10
	s_andn2_b64 exec, exec, s[18:19]
	s_cbranch_execnz .LBB187_316
; %bb.317:
	s_or_b64 exec, exec, s[18:19]
.LBB187_318:
	s_or_b64 exec, exec, s[12:13]
	ds_bpermute_b32 v2, v2, v8
	s_waitcnt lgkmcnt(0)
	v_add_f32_e32 v2, v8, v2
	ds_bpermute_b32 v3, v3, v2
	s_waitcnt lgkmcnt(0)
	v_add_f32_e32 v2, v2, v3
	ds_bpermute_b32 v3, v6, v2
	v_xor_b32_e32 v6, 2, v0
	v_cmp_lt_i32_e64 s[6:7], v6, v1
	v_cndmask_b32_e64 v1, v0, v6, s[6:7]
	v_lshlrev_b32_e32 v13, 2, v1
	s_waitcnt lgkmcnt(0)
	v_add_f32_e32 v2, v2, v3
	ds_bpermute_b32 v3, v7, v2
	s_waitcnt lgkmcnt(0)
	v_add_f32_e32 v2, v2, v3
	ds_bpermute_b32 v1, v13, v2
	;; [unrolled: 3-line block ×3, first 2 shown]
	s_waitcnt lgkmcnt(0)
	v_add_f32_e32 v1, v1, v2
	s_and_saveexec_b64 s[6:7], vcc
; %bb.319:
	ds_write_b32 v4, v1 offset:776
; %bb.320:
	s_or_b64 exec, exec, s[6:7]
	s_waitcnt lgkmcnt(0)
	s_barrier
	s_and_saveexec_b64 s[6:7], s[2:3]
; %bb.321:
	ds_read_b32 v1, v5 offset:776
; %bb.322:
	s_or_b64 exec, exec, s[6:7]
	s_waitcnt lgkmcnt(0)
	ds_bpermute_b32 v2, v17, v1
	v_lshlrev_b32_e32 v0, 2, v0
	v_and_b32_e32 v0, 0x100, v0
	s_waitcnt lgkmcnt(0)
	v_add_f32_e32 v1, v1, v2
	ds_bpermute_b32 v0, v0, v1
	s_and_saveexec_b64 s[2:3], s[4:5]
	s_cbranch_execz .LBB187_325
; %bb.323:
	s_waitcnt lgkmcnt(0)
	v_add_f32_e32 v1, 0x358637bd, v0
	v_div_scale_f32 v0, s[4:5], v1, v1, 1.0
	v_div_scale_f32 v2, vcc, 1.0, v1, 1.0
	s_mov_b64 s[4:5], 0
	v_rcp_f32_e32 v3, v0
	v_fma_f32 v4, -v0, v3, 1.0
	v_fmac_f32_e32 v3, v4, v3
	v_mul_f32_e32 v4, v2, v3
	v_fma_f32 v5, -v0, v4, v2
	v_fmac_f32_e32 v4, v5, v3
	v_fma_f32 v0, -v0, v4, v2
	v_div_fmas_f32 v2, v0, v3, v4
	v_mov_b32_e32 v0, 0x310
	v_lshl_add_u32 v0, v56, 2, v0
	v_div_fixup_f32 v1, v2, v1, 1.0
	v_mov_b32_e32 v2, v56
.LBB187_324:                            ; =>This Inner Loop Header: Depth=1
	ds_read_b32 v3, v0
	v_add_u32_e32 v2, 0x80, v2
	v_cmp_le_i32_e32 vcc, s37, v2
	s_or_b64 s[4:5], vcc, s[4:5]
	s_waitcnt lgkmcnt(0)
	v_mul_f32_e32 v3, v1, v3
	ds_write_b32 v0, v3
	v_add_u32_e32 v0, 0x200, v0
	s_andn2_b64 exec, exec, s[4:5]
	s_cbranch_execnz .LBB187_324
.LBB187_325:
	s_or_b64 exec, exec, s[2:3]
	v_mov_b32_e32 v6, 0
	v_mov_b32_e32 v4, 0
	;; [unrolled: 1-line block ×9, first 2 shown]
	s_waitcnt lgkmcnt(0)
	v_mov_b32_e32 v0, 0
	v_mov_b32_e32 v58, 0
	;; [unrolled: 1-line block ×3, first 2 shown]
	s_barrier
	buffer_store_dword v0, off, s[56:59], 0 offset:64 ; 4-byte Folded Spill
	s_and_saveexec_b64 s[2:3], s[0:1]
	s_cbranch_execz .LBB187_643
; %bb.326:
	s_sub_i32 s21, s16, s21
	s_ashr_i32 s0, s47, 31
	s_add_u32 s4, s34, s47
	s_addc_u32 s5, s35, s0
	s_abs_i32 s22, s22
	v_cvt_f32_u32_e32 v0, s22
	s_sub_i32 s0, 0, s22
	v_and_b32_e32 v1, 12, v14
	buffer_store_dword v13, off, s[56:59], 0 offset:196 ; 4-byte Folded Spill
	buffer_store_dword v17, off, s[56:59], 0 offset:180 ; 4-byte Folded Spill
	;; [unrolled: 1-line block ×3, first 2 shown]
	v_rcp_iflag_f32_e32 v0, v0
	buffer_store_dword v1, off, s[56:59], 0 offset:132 ; 4-byte Folded Spill
	v_and_b32_e32 v1, 0xfc, v14
	s_add_i32 s35, s20, -1
	v_mul_f32_e32 v0, 0x4f7ffffe, v0
	v_cvt_u32_f32_e32 v0, v0
	v_mov_b32_e32 v4, s5
	v_add_co_u32_e32 v6, vcc, s4, v1
	v_mul_lo_u32 v3, s0, v0
	s_lshl_b64 s[0:1], s[30:31], 2
	s_add_u32 s0, s28, s0
	v_and_b32_e32 v2, 60, v15
	v_mul_hi_u32 v3, v0, v3
	v_addc_co_u32_e32 v7, vcc, 0, v4, vcc
	s_addc_u32 s1, s29, s1
	v_add_u32_e32 v0, v0, v3
	buffer_store_dword v6, off, s[56:59], 0 offset:148 ; 4-byte Folded Spill
	s_nop 0
	buffer_store_dword v7, off, s[56:59], 0 offset:152 ; 4-byte Folded Spill
	buffer_store_dword v0, off, s[56:59], 0 offset:80 ; 4-byte Folded Spill
	v_mov_b32_e32 v0, s1
	v_add_co_u32_e32 v9, vcc, s0, v2
	v_addc_co_u32_e32 v10, vcc, 0, v0, vcc
	buffer_load_dword v0, off, s[56:59], 0 offset:224 ; 4-byte Folded Reload
	buffer_load_dword v1, off, s[56:59], 0  ; 4-byte Folded Reload
	v_mov_b32_e32 v5, 0
	s_mov_b32 s34, s17
	s_mov_b64 s[4:5], 0
	s_movk_i32 s28, 0x80
	s_movk_i32 s29, 0x7f
	s_brev_b32 s30, 1
	s_mov_b32 s31, 0xffffff
	v_bfrev_b32_e32 v6, 1
	v_mov_b32_e32 v12, 0x7f800001
	v_mov_b32_e32 v55, v5
	;; [unrolled: 1-line block ×9, first 2 shown]
	s_waitcnt vmcnt(1)
	v_lshlrev_b32_e32 v0, 4, v0
	s_waitcnt vmcnt(0)
	v_lshl_or_b32 v0, v1, 6, v0
	v_add_u32_e32 v41, 0x310, v0
	v_mov_b32_e32 v0, v5
	buffer_store_dword v0, off, s[56:59], 0 offset:64 ; 4-byte Folded Spill
	buffer_store_dword v0, off, s[56:59], 0 offset:68 ; 4-byte Folded Spill
	;; [unrolled: 1-line block ×4, first 2 shown]
	s_branch .LBB187_329
.LBB187_327:                            ;   in Loop: Header=BB187_329 Depth=1
	s_or_b64 exec, exec, s[0:1]
	buffer_load_dword v7, off, s[56:59], 0 offset:64 ; 4-byte Folded Reload
	buffer_load_dword v8, off, s[56:59], 0 offset:84 ; 4-byte Folded Reload
	v_mul_f32_e32 v16, v1, v53
	v_fmac_f32_e32 v16, v2, v0
	v_mul_f32_e32 v0, v1, v48
	v_fmac_f32_e32 v0, v2, v45
	v_fmac_f32_e32 v16, v3, v23
	;; [unrolled: 1-line block ×5, first 2 shown]
	v_add_f32_e32 v58, v58, v16
	buffer_load_dword v16, off, s[56:59], 0 offset:52 ; 4-byte Folded Reload
	buffer_load_dword v17, off, s[56:59], 0 offset:36 ; 4-byte Folded Reload
	s_waitcnt vmcnt(3)
	v_add_f32_e32 v7, v7, v0
	buffer_store_dword v7, off, s[56:59], 0 offset:64 ; 4-byte Folded Spill
	buffer_load_dword v7, off, s[56:59], 0 offset:100 ; 4-byte Folded Reload
	v_mul_f32_e32 v0, v1, v42
	v_fmac_f32_e32 v0, v2, v36
	v_fmac_f32_e32 v0, v3, v38
	v_fmac_f32_e32 v0, v4, v37
	v_add_f32_e32 v62, v62, v0
	v_mul_f32_e32 v0, v1, v35
	v_fmac_f32_e32 v0, v2, v32
	v_fmac_f32_e32 v0, v3, v34
	v_fmac_f32_e32 v0, v4, v33
	v_add_f32_e32 v61, v61, v0
	v_mul_f32_e32 v0, v1, v31
	v_fmac_f32_e32 v0, v2, v28
	v_fmac_f32_e32 v0, v3, v30
	v_fmac_f32_e32 v0, v4, v29
	v_add_f32_e32 v57, v57, v0
	v_mul_f32_e32 v0, v1, v27
	v_fmac_f32_e32 v0, v2, v26
	v_fmac_f32_e32 v0, v3, v40
	;; [unrolled: 1-line block ×3, first 2 shown]
	s_waitcnt vmcnt(4)
	v_add_f32_e32 v8, v8, v0
	v_mul_f32_e32 v0, v1, v43
	v_fmac_f32_e32 v0, v2, v39
	v_fmac_f32_e32 v0, v3, v24
	;; [unrolled: 1-line block ×3, first 2 shown]
	s_waitcnt vmcnt(0)
	v_add_f32_e32 v7, v7, v0
	v_mul_f32_e32 v0, v1, v44
	v_fmac_f32_e32 v0, v2, v16
	buffer_load_dword v16, off, s[56:59], 0 offset:60 ; 4-byte Folded Reload
	s_waitcnt vmcnt(0)
	v_fmac_f32_e32 v0, v3, v16
	buffer_load_dword v16, off, s[56:59], 0 offset:56 ; 4-byte Folded Reload
	s_waitcnt vmcnt(0)
	;; [unrolled: 3-line block ×3, first 2 shown]
	v_add_f32_e32 v16, v16, v0
	buffer_load_dword v0, off, s[56:59], 0 offset:48 ; 4-byte Folded Reload
	s_waitcnt vmcnt(0)
	v_mul_f32_e32 v0, v1, v0
	v_fmac_f32_e32 v0, v2, v17
	buffer_load_dword v17, off, s[56:59], 0 offset:44 ; 4-byte Folded Reload
	s_waitcnt vmcnt(0)
	v_fmac_f32_e32 v0, v3, v17
	buffer_load_dword v17, off, s[56:59], 0 offset:40 ; 4-byte Folded Reload
	s_waitcnt vmcnt(0)
	;; [unrolled: 3-line block ×3, first 2 shown]
	v_add_f32_e32 v17, v17, v0
	buffer_load_dword v0, off, s[56:59], 0 offset:32 ; 4-byte Folded Reload
	s_nop 0
	buffer_store_dword v17, off, s[56:59], 0 offset:68 ; 4-byte Folded Spill
	buffer_load_dword v17, off, s[56:59], 0 offset:20 ; 4-byte Folded Reload
	s_waitcnt vmcnt(2)
	v_mul_f32_e32 v0, v1, v0
	s_waitcnt vmcnt(0)
	v_fmac_f32_e32 v0, v2, v17
	buffer_load_dword v17, off, s[56:59], 0 offset:28 ; 4-byte Folded Reload
	s_waitcnt vmcnt(0)
	v_fmac_f32_e32 v0, v3, v17
	buffer_load_dword v17, off, s[56:59], 0 offset:24 ; 4-byte Folded Reload
	;; [unrolled: 3-line block ×3, first 2 shown]
	s_waitcnt vmcnt(0)
	v_add_f32_e32 v17, v17, v0
	buffer_load_dword v0, off, s[56:59], 0 offset:16 ; 4-byte Folded Reload
	s_nop 0
	buffer_store_dword v17, off, s[56:59], 0 offset:72 ; 4-byte Folded Spill
	buffer_load_dword v17, off, s[56:59], 0 offset:4 ; 4-byte Folded Reload
	s_waitcnt vmcnt(2)
	v_mul_f32_e32 v0, v1, v0
	s_waitcnt vmcnt(0)
	v_fmac_f32_e32 v0, v2, v17
	buffer_load_dword v17, off, s[56:59], 0 offset:12 ; 4-byte Folded Reload
	s_waitcnt vmcnt(0)
	v_fmac_f32_e32 v0, v3, v17
	buffer_load_dword v17, off, s[56:59], 0 offset:8 ; 4-byte Folded Reload
	;; [unrolled: 3-line block ×3, first 2 shown]
	s_waitcnt vmcnt(0)
	v_add_f32_e32 v17, v17, v0
	v_mul_f32_e32 v0, v1, v15
	v_fmac_f32_e32 v0, v2, v11
	v_fmac_f32_e32 v0, v3, v14
	;; [unrolled: 1-line block ×3, first 2 shown]
	v_add_f32_e32 v55, v55, v0
	buffer_store_dword v17, off, s[56:59], 0 offset:76 ; 4-byte Folded Spill
.LBB187_328:                            ;   in Loop: Header=BB187_329 Depth=1
	s_or_b64 exec, exec, s[6:7]
	buffer_load_dword v0, off, s[56:59], 0  ; 4-byte Folded Reload
	v_add_co_u32_e32 v9, vcc, 8, v9
	v_addc_co_u32_e32 v10, vcc, 0, v10, vcc
	v_add_u32_e32 v60, 32, v60
	v_add_u32_e32 v41, 0x80, v41
	s_waitcnt vmcnt(0)
	v_add_u32_e32 v0, 2, v0
	v_cmp_le_i32_e32 vcc, s20, v0
	s_or_b64 s[4:5], vcc, s[4:5]
	buffer_store_dword v0, off, s[56:59], 0 ; 4-byte Folded Spill
	s_andn2_b64 exec, exec, s[4:5]
	s_cbranch_execz .LBB187_642
.LBB187_329:                            ; =>This Inner Loop Header: Depth=1
	buffer_load_dword v3, off, s[56:59], 0 offset:80 ; 4-byte Folded Reload
	v_mul_hi_u32 v0, v60, s46
	v_mul_lo_u32 v1, v0, s25
	v_add_u32_e32 v2, 1, v0
	v_sub_u32_e32 v1, v60, v1
	v_cmp_le_u32_e32 vcc, s25, v1
	v_cndmask_b32_e32 v0, v0, v2, vcc
	v_subrev_u32_e32 v2, s25, v1
	v_cndmask_b32_e32 v1, v1, v2, vcc
	v_add_u32_e32 v2, 1, v0
	v_cmp_le_u32_e32 vcc, s25, v1
	v_cndmask_b32_e32 v0, v0, v2, vcc
	v_xor_b32_e32 v0, s23, v0
	v_subrev_u32_e32 v0, s23, v0
	v_add_u32_e32 v1, s36, v0
	v_sub_u32_e32 v2, 0, v1
	v_max_i32_e32 v2, v1, v2
	v_ashrrev_i32_e32 v1, 31, v1
	v_cmp_lt_i32_e64 s[0:1], s21, v0
	s_waitcnt vmcnt(0)
	v_mul_hi_u32 v3, v2, v3
	v_mul_lo_u32 v3, v3, s22
	v_sub_u32_e32 v2, v2, v3
	v_subrev_u32_e32 v3, s22, v2
	v_cmp_le_u32_e32 vcc, s22, v2
	v_cndmask_b32_e32 v2, v2, v3, vcc
	v_subrev_u32_e32 v3, s22, v2
	v_cmp_le_u32_e32 vcc, s22, v2
	v_cndmask_b32_e32 v2, v2, v3, vcc
	v_xor_b32_e32 v2, v2, v1
	v_sub_u32_e32 v1, v2, v1
	v_cmp_eq_u32_e32 vcc, 0, v1
	s_or_b64 s[0:1], vcc, s[0:1]
	s_and_saveexec_b64 s[6:7], s[0:1]
	s_cbranch_execz .LBB187_328
; %bb.330:                              ;   in Loop: Header=BB187_329 Depth=1
	buffer_store_dword v16, off, s[56:59], 0 offset:116 ; 4-byte Folded Spill
	buffer_store_dword v7, off, s[56:59], 0 offset:100 ; 4-byte Folded Spill
	buffer_store_dword v8, off, s[56:59], 0 offset:84 ; 4-byte Folded Spill
	global_load_dword v0, v[9:10], off
	buffer_load_dword v1, off, s[56:59], 0 offset:148 ; 4-byte Folded Reload
	buffer_load_dword v2, off, s[56:59], 0 offset:152 ; 4-byte Folded Reload
	s_load_dword s37, s[14:15], 0x0
	v_mov_b32_e32 v18, 0
	v_mov_b32_e32 v16, 0
	;; [unrolled: 1-line block ×4, first 2 shown]
	s_waitcnt vmcnt(0)
	v_mad_i64_i32 v[13:14], s[0:1], v0, s34, v[1:2]
	ds_read_b128 v[1:4], v41
	global_load_dword v15, v[13:14], off
	s_waitcnt vmcnt(0)
	v_cmp_ne_u16_sdwa s[12:13], v15, v5 src0_sel:BYTE_0 src1_sel:DWORD
	s_and_saveexec_b64 s[0:1], s[12:13]
	s_cbranch_execz .LBB187_336
; %bb.331:                              ;   in Loop: Header=BB187_329 Depth=1
	v_bfrev_b32_e32 v16, 1
	v_mov_b32_e32 v17, 0
	v_cmp_ne_u16_sdwa s[16:17], v15, s28 src0_sel:BYTE_0 src1_sel:DWORD
	s_and_saveexec_b64 s[12:13], s[16:17]
	s_cbranch_execz .LBB187_335
; %bb.332:                              ;   in Loop: Header=BB187_329 Depth=1
	v_and_b32_e32 v0, 0x7f, v15
	v_mov_b32_e32 v16, 0x7f800001
	v_mov_b32_e32 v17, 0
	v_cmp_ne_u32_e32 vcc, s29, v0
	s_and_saveexec_b64 s[16:17], vcc
	s_cbranch_execz .LBB187_334
; %bb.333:                              ;   in Loop: Header=BB187_329 Depth=1
	v_and_b32_e32 v11, 7, v15
	v_ffbh_u32_e32 v7, v11
	v_min_u32_e32 v17, 32, v7
	v_lshrrev_b32_e32 v16, 3, v0
	v_subrev_u32_e32 v7, 28, v17
	v_lshlrev_b64 v[7:8], v7, v[15:16]
	v_sub_u32_e32 v8, 29, v17
	v_and_b32_e32 v7, 7, v7
	v_cmp_gt_u32_e32 vcc, 8, v0
	v_cndmask_b32_e32 v0, v16, v8, vcc
	v_cndmask_b32_e32 v7, v11, v7, vcc
	v_bfrev_b32_e32 v11, 60
	v_lshlrev_b32_e32 v7, 20, v7
	v_and_b32_sdwa v8, sext(v15), s30 dst_sel:DWORD dst_unused:UNUSED_PAD src0_sel:BYTE_0 src1_sel:DWORD
	v_lshl_add_u32 v0, v0, 23, v11
	v_or3_b32 v16, v8, v0, v7
	v_mov_b32_e32 v17, v5
.LBB187_334:                            ;   in Loop: Header=BB187_329 Depth=1
	s_or_b64 exec, exec, s[16:17]
.LBB187_335:                            ;   in Loop: Header=BB187_329 Depth=1
	s_or_b64 exec, exec, s[12:13]
.LBB187_336:                            ;   in Loop: Header=BB187_329 Depth=1
	s_or_b64 exec, exec, s[0:1]
	v_cmp_ne_u16_sdwa s[12:13], v15, v5 src0_sel:BYTE_1 src1_sel:DWORD
	s_and_saveexec_b64 s[0:1], s[12:13]
	s_cbranch_execz .LBB187_342
; %bb.337:                              ;   in Loop: Header=BB187_329 Depth=1
	v_mov_b32_e32 v19, v6
	v_cmp_ne_u16_sdwa s[16:17], v15, s28 src0_sel:BYTE_1 src1_sel:DWORD
	v_mov_b32_e32 v18, v5
	s_and_saveexec_b64 s[12:13], s[16:17]
	s_cbranch_execz .LBB187_341
; %bb.338:                              ;   in Loop: Header=BB187_329 Depth=1
	v_and_b32_sdwa v0, v15, s29 dst_sel:DWORD dst_unused:UNUSED_PAD src0_sel:BYTE_1 src1_sel:DWORD
	v_mov_b32_e32 v11, v5
	v_mov_b32_e32 v19, v12
	v_cmp_ne_u32_e32 vcc, s29, v0
	v_mov_b32_e32 v18, v11
	s_and_saveexec_b64 s[16:17], vcc
	s_cbranch_execz .LBB187_340
; %bb.339:                              ;   in Loop: Header=BB187_329 Depth=1
	v_mov_b32_e32 v7, 7
	v_and_b32_sdwa v7, v15, v7 dst_sel:DWORD dst_unused:UNUSED_PAD src0_sel:BYTE_1 src1_sel:DWORD
	v_ffbh_u32_e32 v18, v7
	v_min_u32_e32 v20, 32, v18
	v_mov_b32_e32 v8, v5
	v_subrev_u32_e32 v18, 28, v20
	v_lshlrev_b64 v[18:19], v18, v[7:8]
	v_lshrrev_b32_e32 v11, 3, v0
	v_sub_u32_e32 v8, 29, v20
	v_cmp_gt_u32_e32 vcc, 8, v0
	v_and_b32_e32 v18, 7, v18
	v_cndmask_b32_e32 v0, v11, v8, vcc
	v_bfrev_b32_e32 v11, 60
	v_cndmask_b32_e32 v7, v7, v18, vcc
	v_lshlrev_b32_e32 v8, 16, v15
	v_lshl_add_u32 v0, v0, 23, v11
	v_and_or_b32 v0, v8, s30, v0
	v_lshlrev_b32_e32 v7, 20, v7
	v_or_b32_e32 v19, v0, v7
	v_mov_b32_e32 v18, v5
.LBB187_340:                            ;   in Loop: Header=BB187_329 Depth=1
	s_or_b64 exec, exec, s[16:17]
.LBB187_341:                            ;   in Loop: Header=BB187_329 Depth=1
	s_or_b64 exec, exec, s[12:13]
.LBB187_342:                            ;   in Loop: Header=BB187_329 Depth=1
	s_or_b64 exec, exec, s[0:1]
	v_lshrrev_b32_e32 v11, 16, v15
	v_mov_b32_e32 v22, 0
	v_mov_b32_e32 v20, 0
	;; [unrolled: 1-line block ×4, first 2 shown]
	v_cmp_ne_u16_sdwa s[12:13], v11, v5 src0_sel:BYTE_0 src1_sel:DWORD
	s_and_saveexec_b64 s[0:1], s[12:13]
	s_cbranch_execz .LBB187_348
; %bb.343:                              ;   in Loop: Header=BB187_329 Depth=1
	v_bfrev_b32_e32 v20, 1
	v_mov_b32_e32 v21, 0
	v_cmp_ne_u16_sdwa s[16:17], v11, s28 src0_sel:BYTE_0 src1_sel:DWORD
	s_and_saveexec_b64 s[12:13], s[16:17]
	s_cbranch_execz .LBB187_347
; %bb.344:                              ;   in Loop: Header=BB187_329 Depth=1
	v_bfe_u32 v0, v15, 16, 7
	v_mov_b32_e32 v20, 0x7f800001
	v_mov_b32_e32 v21, 0
	v_cmp_ne_u32_e32 vcc, s29, v0
	s_and_saveexec_b64 s[16:17], vcc
	s_cbranch_execz .LBB187_346
; %bb.345:                              ;   in Loop: Header=BB187_329 Depth=1
	v_and_b32_e32 v20, 7, v11
	v_ffbh_u32_e32 v7, v20
	v_min_u32_e32 v24, 32, v7
	v_subrev_u32_e32 v7, 28, v24
	v_lshlrev_b64 v[7:8], v7, v[11:12]
	v_lshrrev_b32_e32 v21, 3, v0
	v_sub_u32_e32 v8, 29, v24
	v_and_b32_e32 v7, 7, v7
	v_cmp_gt_u32_e32 vcc, 8, v0
	v_cndmask_b32_e32 v0, v21, v8, vcc
	v_cndmask_b32_e32 v7, v20, v7, vcc
	v_and_b32_sdwa v8, sext(v11), s30 dst_sel:DWORD dst_unused:UNUSED_PAD src0_sel:BYTE_0 src1_sel:DWORD
	v_bfrev_b32_e32 v11, 60
	v_lshlrev_b32_e32 v7, 20, v7
	v_lshl_add_u32 v0, v0, 23, v11
	v_or3_b32 v20, v8, v0, v7
	v_mov_b32_e32 v21, v5
.LBB187_346:                            ;   in Loop: Header=BB187_329 Depth=1
	s_or_b64 exec, exec, s[16:17]
.LBB187_347:                            ;   in Loop: Header=BB187_329 Depth=1
	s_or_b64 exec, exec, s[12:13]
.LBB187_348:                            ;   in Loop: Header=BB187_329 Depth=1
	s_or_b64 exec, exec, s[0:1]
	v_cmp_lt_u32_e32 vcc, s31, v15
	s_and_saveexec_b64 s[0:1], vcc
	s_cbranch_execz .LBB187_354
; %bb.349:                              ;   in Loop: Header=BB187_329 Depth=1
	v_mov_b32_e32 v23, v6
	v_cmp_ne_u32_sdwa s[16:17], v15, s28 src0_sel:BYTE_3 src1_sel:DWORD
	v_mov_b32_e32 v22, v5
	s_and_saveexec_b64 s[12:13], s[16:17]
	s_cbranch_execz .LBB187_353
; %bb.350:                              ;   in Loop: Header=BB187_329 Depth=1
	v_bfe_u32 v0, v15, 24, 7
	v_mov_b32_e32 v11, v5
	v_mov_b32_e32 v23, v12
	v_cmp_ne_u32_e32 vcc, s29, v0
	v_mov_b32_e32 v22, v11
	s_and_saveexec_b64 s[16:17], vcc
	s_cbranch_execz .LBB187_352
; %bb.351:                              ;   in Loop: Header=BB187_329 Depth=1
	v_mov_b32_e32 v7, 7
	v_and_b32_sdwa v7, v15, v7 dst_sel:DWORD dst_unused:UNUSED_PAD src0_sel:BYTE_3 src1_sel:DWORD
	v_ffbh_u32_e32 v22, v7
	v_min_u32_e32 v24, 32, v22
	v_mov_b32_e32 v8, v5
	v_subrev_u32_e32 v22, 28, v24
	v_lshlrev_b64 v[22:23], v22, v[7:8]
	v_lshrrev_b32_e32 v11, 3, v0
	v_sub_u32_e32 v8, 29, v24
	v_cmp_gt_u32_e32 vcc, 8, v0
	v_and_b32_e32 v22, 7, v22
	v_cndmask_b32_e32 v0, v11, v8, vcc
	v_mov_b32_e32 v8, 24
	v_bfrev_b32_e32 v11, 60
	v_cndmask_b32_e32 v7, v7, v22, vcc
	v_lshlrev_b32_sdwa v8, v8, v15 dst_sel:DWORD dst_unused:UNUSED_PAD src0_sel:DWORD src1_sel:BYTE_3
	v_lshl_add_u32 v0, v0, 23, v11
	v_and_or_b32 v0, v8, s30, v0
	v_lshlrev_b32_e32 v7, 20, v7
	v_or_b32_e32 v23, v0, v7
	v_mov_b32_e32 v22, v5
.LBB187_352:                            ;   in Loop: Header=BB187_329 Depth=1
	s_or_b64 exec, exec, s[16:17]
.LBB187_353:                            ;   in Loop: Header=BB187_329 Depth=1
	s_or_b64 exec, exec, s[12:13]
.LBB187_354:                            ;   in Loop: Header=BB187_329 Depth=1
	s_or_b64 exec, exec, s[0:1]
	buffer_load_dword v0, off, s[56:59], 0 offset:132 ; 4-byte Folded Reload
	v_or_b32_e32 v7, v18, v16
	s_waitcnt vmcnt(0)
	v_add_u32_e32 v49, v0, v60
	buffer_load_dword v0, off, s[56:59], 0  ; 4-byte Folded Reload
	v_add_u32_e32 v52, 1, v49
	v_add_u32_e32 v51, 2, v49
	;; [unrolled: 1-line block ×3, first 2 shown]
	s_waitcnt vmcnt(0)
	v_cmp_eq_u32_e32 vcc, s35, v0
	v_or_b32_e32 v0, v19, v17
	s_waitcnt lgkmcnt(0)
	v_mul_f32_e32 v0, s37, v0
	buffer_store_dword v0, off, s[56:59], 0 offset:4 ; 4-byte Folded Spill
	v_mul_f32_e32 v0, s37, v7
	buffer_store_dword v0, off, s[56:59], 0 offset:16 ; 4-byte Folded Spill
	v_or_b32_e32 v0, v23, v21
	v_or_b32_e32 v7, v22, v20
	v_mul_f32_e32 v7, s37, v7
	v_mul_f32_e32 v0, s37, v0
	buffer_store_dword v7, off, s[56:59], 0 offset:12 ; 4-byte Folded Spill
	buffer_store_dword v0, off, s[56:59], 0 offset:8 ; 4-byte Folded Spill
	s_and_saveexec_b64 s[12:13], vcc
	s_cbranch_execz .LBB187_356
; %bb.355:                              ;   in Loop: Header=BB187_329 Depth=1
	buffer_load_dword v0, off, s[56:59], 0 offset:16 ; 4-byte Folded Reload
	v_cmp_gt_i32_e64 s[0:1], s33, v49
	s_waitcnt vmcnt(0)
	v_cndmask_b32_e64 v0, 0, v0, s[0:1]
	buffer_store_dword v0, off, s[56:59], 0 offset:16 ; 4-byte Folded Spill
	buffer_load_dword v0, off, s[56:59], 0 offset:4 ; 4-byte Folded Reload
	v_cmp_gt_i32_e64 s[0:1], s33, v52
	s_waitcnt vmcnt(0)
	v_cndmask_b32_e64 v0, 0, v0, s[0:1]
	buffer_store_dword v0, off, s[56:59], 0 offset:4 ; 4-byte Folded Spill
	;; [unrolled: 5-line block ×4, first 2 shown]
.LBB187_356:                            ;   in Loop: Header=BB187_329 Depth=1
	s_or_b64 exec, exec, s[12:13]
	global_load_dword v15, v[13:14], off offset:256
	v_mov_b32_e32 v18, 0
	v_mov_b32_e32 v16, 0
	;; [unrolled: 1-line block ×4, first 2 shown]
	s_waitcnt vmcnt(0)
	v_cmp_ne_u16_sdwa s[0:1], v15, v5 src0_sel:BYTE_0 src1_sel:DWORD
	s_and_saveexec_b64 s[12:13], s[0:1]
	s_cbranch_execz .LBB187_362
; %bb.357:                              ;   in Loop: Header=BB187_329 Depth=1
	v_bfrev_b32_e32 v16, 1
	v_mov_b32_e32 v17, 0
	v_cmp_ne_u16_sdwa s[0:1], v15, s28 src0_sel:BYTE_0 src1_sel:DWORD
	s_and_saveexec_b64 s[16:17], s[0:1]
	s_cbranch_execz .LBB187_361
; %bb.358:                              ;   in Loop: Header=BB187_329 Depth=1
	v_and_b32_e32 v0, 0x7f, v15
	v_mov_b32_e32 v16, 0x7f800001
	v_mov_b32_e32 v17, 0
	v_cmp_ne_u32_e64 s[0:1], s29, v0
	s_and_saveexec_b64 s[18:19], s[0:1]
	s_cbranch_execz .LBB187_360
; %bb.359:                              ;   in Loop: Header=BB187_329 Depth=1
	v_and_b32_e32 v11, 7, v15
	v_ffbh_u32_e32 v7, v11
	v_min_u32_e32 v17, 32, v7
	v_lshrrev_b32_e32 v16, 3, v0
	v_subrev_u32_e32 v7, 28, v17
	v_lshlrev_b64 v[7:8], v7, v[15:16]
	v_sub_u32_e32 v8, 29, v17
	v_and_b32_e32 v7, 7, v7
	v_cmp_gt_u32_e64 s[0:1], 8, v0
	v_cndmask_b32_e64 v0, v16, v8, s[0:1]
	v_cndmask_b32_e64 v7, v11, v7, s[0:1]
	v_bfrev_b32_e32 v11, 60
	v_lshlrev_b32_e32 v7, 20, v7
	v_and_b32_sdwa v8, sext(v15), s30 dst_sel:DWORD dst_unused:UNUSED_PAD src0_sel:BYTE_0 src1_sel:DWORD
	v_lshl_add_u32 v0, v0, 23, v11
	v_or3_b32 v16, v8, v0, v7
	v_mov_b32_e32 v17, v5
.LBB187_360:                            ;   in Loop: Header=BB187_329 Depth=1
	s_or_b64 exec, exec, s[18:19]
.LBB187_361:                            ;   in Loop: Header=BB187_329 Depth=1
	s_or_b64 exec, exec, s[16:17]
.LBB187_362:                            ;   in Loop: Header=BB187_329 Depth=1
	s_or_b64 exec, exec, s[12:13]
	v_cmp_ne_u16_sdwa s[0:1], v15, v5 src0_sel:BYTE_1 src1_sel:DWORD
	s_and_saveexec_b64 s[12:13], s[0:1]
	s_cbranch_execz .LBB187_368
; %bb.363:                              ;   in Loop: Header=BB187_329 Depth=1
	v_mov_b32_e32 v19, v6
	v_cmp_ne_u16_sdwa s[0:1], v15, s28 src0_sel:BYTE_1 src1_sel:DWORD
	v_mov_b32_e32 v18, v5
	s_and_saveexec_b64 s[16:17], s[0:1]
	s_cbranch_execz .LBB187_367
; %bb.364:                              ;   in Loop: Header=BB187_329 Depth=1
	v_and_b32_sdwa v0, v15, s29 dst_sel:DWORD dst_unused:UNUSED_PAD src0_sel:BYTE_1 src1_sel:DWORD
	v_mov_b32_e32 v11, v5
	v_mov_b32_e32 v19, v12
	v_cmp_ne_u32_e64 s[0:1], s29, v0
	v_mov_b32_e32 v18, v11
	s_and_saveexec_b64 s[18:19], s[0:1]
	s_cbranch_execz .LBB187_366
; %bb.365:                              ;   in Loop: Header=BB187_329 Depth=1
	v_mov_b32_e32 v7, 7
	v_and_b32_sdwa v7, v15, v7 dst_sel:DWORD dst_unused:UNUSED_PAD src0_sel:BYTE_1 src1_sel:DWORD
	v_ffbh_u32_e32 v18, v7
	v_min_u32_e32 v20, 32, v18
	v_mov_b32_e32 v8, v5
	v_subrev_u32_e32 v18, 28, v20
	v_lshlrev_b64 v[18:19], v18, v[7:8]
	v_lshrrev_b32_e32 v11, 3, v0
	v_sub_u32_e32 v8, 29, v20
	v_cmp_gt_u32_e64 s[0:1], 8, v0
	v_and_b32_e32 v18, 7, v18
	v_cndmask_b32_e64 v0, v11, v8, s[0:1]
	v_bfrev_b32_e32 v11, 60
	v_cndmask_b32_e64 v7, v7, v18, s[0:1]
	v_lshlrev_b32_e32 v8, 16, v15
	v_lshl_add_u32 v0, v0, 23, v11
	v_and_or_b32 v0, v8, s30, v0
	v_lshlrev_b32_e32 v7, 20, v7
	v_or_b32_e32 v19, v0, v7
	v_mov_b32_e32 v18, v5
.LBB187_366:                            ;   in Loop: Header=BB187_329 Depth=1
	s_or_b64 exec, exec, s[18:19]
.LBB187_367:                            ;   in Loop: Header=BB187_329 Depth=1
	s_or_b64 exec, exec, s[16:17]
.LBB187_368:                            ;   in Loop: Header=BB187_329 Depth=1
	s_or_b64 exec, exec, s[12:13]
	v_lshrrev_b32_e32 v11, 16, v15
	v_mov_b32_e32 v22, 0
	v_mov_b32_e32 v20, 0
	v_mov_b32_e32 v23, 0
	v_mov_b32_e32 v21, 0
	v_cmp_ne_u16_sdwa s[0:1], v11, v5 src0_sel:BYTE_0 src1_sel:DWORD
	s_and_saveexec_b64 s[12:13], s[0:1]
	s_cbranch_execz .LBB187_374
; %bb.369:                              ;   in Loop: Header=BB187_329 Depth=1
	v_bfrev_b32_e32 v20, 1
	v_mov_b32_e32 v21, 0
	v_cmp_ne_u16_sdwa s[0:1], v11, s28 src0_sel:BYTE_0 src1_sel:DWORD
	s_and_saveexec_b64 s[16:17], s[0:1]
	s_cbranch_execz .LBB187_373
; %bb.370:                              ;   in Loop: Header=BB187_329 Depth=1
	v_bfe_u32 v0, v15, 16, 7
	v_mov_b32_e32 v20, 0x7f800001
	v_mov_b32_e32 v21, 0
	v_cmp_ne_u32_e64 s[0:1], s29, v0
	s_and_saveexec_b64 s[18:19], s[0:1]
	s_cbranch_execz .LBB187_372
; %bb.371:                              ;   in Loop: Header=BB187_329 Depth=1
	v_and_b32_e32 v20, 7, v11
	v_ffbh_u32_e32 v7, v20
	v_min_u32_e32 v24, 32, v7
	v_subrev_u32_e32 v7, 28, v24
	v_lshlrev_b64 v[7:8], v7, v[11:12]
	v_lshrrev_b32_e32 v21, 3, v0
	v_sub_u32_e32 v8, 29, v24
	v_and_b32_e32 v7, 7, v7
	v_cmp_gt_u32_e64 s[0:1], 8, v0
	v_cndmask_b32_e64 v0, v21, v8, s[0:1]
	v_cndmask_b32_e64 v7, v20, v7, s[0:1]
	v_and_b32_sdwa v8, sext(v11), s30 dst_sel:DWORD dst_unused:UNUSED_PAD src0_sel:BYTE_0 src1_sel:DWORD
	v_bfrev_b32_e32 v11, 60
	v_lshlrev_b32_e32 v7, 20, v7
	v_lshl_add_u32 v0, v0, 23, v11
	v_or3_b32 v20, v8, v0, v7
	v_mov_b32_e32 v21, v5
.LBB187_372:                            ;   in Loop: Header=BB187_329 Depth=1
	s_or_b64 exec, exec, s[18:19]
.LBB187_373:                            ;   in Loop: Header=BB187_329 Depth=1
	s_or_b64 exec, exec, s[16:17]
.LBB187_374:                            ;   in Loop: Header=BB187_329 Depth=1
	s_or_b64 exec, exec, s[12:13]
	v_cmp_lt_u32_e64 s[0:1], s31, v15
	s_and_saveexec_b64 s[12:13], s[0:1]
	s_cbranch_execz .LBB187_380
; %bb.375:                              ;   in Loop: Header=BB187_329 Depth=1
	v_mov_b32_e32 v23, v6
	v_cmp_ne_u32_sdwa s[0:1], v15, s28 src0_sel:BYTE_3 src1_sel:DWORD
	v_mov_b32_e32 v22, v5
	s_and_saveexec_b64 s[16:17], s[0:1]
	s_cbranch_execz .LBB187_379
; %bb.376:                              ;   in Loop: Header=BB187_329 Depth=1
	v_bfe_u32 v0, v15, 24, 7
	v_mov_b32_e32 v11, v5
	v_mov_b32_e32 v23, v12
	v_cmp_ne_u32_e64 s[0:1], s29, v0
	v_mov_b32_e32 v22, v11
	s_and_saveexec_b64 s[18:19], s[0:1]
	s_cbranch_execz .LBB187_378
; %bb.377:                              ;   in Loop: Header=BB187_329 Depth=1
	v_mov_b32_e32 v7, 7
	v_and_b32_sdwa v7, v15, v7 dst_sel:DWORD dst_unused:UNUSED_PAD src0_sel:BYTE_3 src1_sel:DWORD
	v_ffbh_u32_e32 v22, v7
	v_min_u32_e32 v24, 32, v22
	v_mov_b32_e32 v8, v5
	v_subrev_u32_e32 v22, 28, v24
	v_lshlrev_b64 v[22:23], v22, v[7:8]
	v_lshrrev_b32_e32 v11, 3, v0
	v_sub_u32_e32 v8, 29, v24
	v_cmp_gt_u32_e64 s[0:1], 8, v0
	v_and_b32_e32 v22, 7, v22
	v_cndmask_b32_e64 v0, v11, v8, s[0:1]
	v_mov_b32_e32 v8, 24
	v_bfrev_b32_e32 v11, 60
	v_cndmask_b32_e64 v7, v7, v22, s[0:1]
	v_lshlrev_b32_sdwa v8, v8, v15 dst_sel:DWORD dst_unused:UNUSED_PAD src0_sel:DWORD src1_sel:BYTE_3
	v_lshl_add_u32 v0, v0, 23, v11
	v_and_or_b32 v0, v8, s30, v0
	v_lshlrev_b32_e32 v7, 20, v7
	v_or_b32_e32 v23, v0, v7
	v_mov_b32_e32 v22, v5
.LBB187_378:                            ;   in Loop: Header=BB187_329 Depth=1
	s_or_b64 exec, exec, s[18:19]
.LBB187_379:                            ;   in Loop: Header=BB187_329 Depth=1
	s_or_b64 exec, exec, s[16:17]
.LBB187_380:                            ;   in Loop: Header=BB187_329 Depth=1
	s_or_b64 exec, exec, s[12:13]
	s_mov_b32 s38, s37
	v_or_b32_e32 v0, v19, v17
	v_or_b32_e32 v7, v18, v16
	v_mul_f32_e32 v0, s38, v0
	buffer_store_dword v0, off, s[56:59], 0 offset:20 ; 4-byte Folded Spill
	v_mul_f32_e32 v0, s37, v7
	buffer_store_dword v0, off, s[56:59], 0 offset:32 ; 4-byte Folded Spill
	v_or_b32_e32 v0, v23, v21
	v_or_b32_e32 v7, v22, v20
	v_mul_f32_e32 v7, s37, v7
	v_mul_f32_e32 v0, s38, v0
	buffer_store_dword v7, off, s[56:59], 0 offset:28 ; 4-byte Folded Spill
	buffer_store_dword v0, off, s[56:59], 0 offset:24 ; 4-byte Folded Spill
	s_and_saveexec_b64 s[12:13], vcc
	s_cbranch_execz .LBB187_382
; %bb.381:                              ;   in Loop: Header=BB187_329 Depth=1
	buffer_load_dword v0, off, s[56:59], 0 offset:32 ; 4-byte Folded Reload
	v_cmp_gt_i32_e64 s[0:1], s33, v49
	s_waitcnt vmcnt(0)
	v_cndmask_b32_e64 v0, 0, v0, s[0:1]
	buffer_store_dword v0, off, s[56:59], 0 offset:32 ; 4-byte Folded Spill
	buffer_load_dword v0, off, s[56:59], 0 offset:20 ; 4-byte Folded Reload
	v_cmp_gt_i32_e64 s[0:1], s33, v52
	s_waitcnt vmcnt(0)
	v_cndmask_b32_e64 v0, 0, v0, s[0:1]
	buffer_store_dword v0, off, s[56:59], 0 offset:20 ; 4-byte Folded Spill
	;; [unrolled: 5-line block ×4, first 2 shown]
.LBB187_382:                            ;   in Loop: Header=BB187_329 Depth=1
	s_or_b64 exec, exec, s[12:13]
	global_load_dword v15, v[13:14], off offset:512
	v_mov_b32_e32 v18, 0
	v_mov_b32_e32 v16, 0
	;; [unrolled: 1-line block ×4, first 2 shown]
	s_waitcnt vmcnt(0)
	v_cmp_ne_u16_sdwa s[0:1], v15, v5 src0_sel:BYTE_0 src1_sel:DWORD
	s_and_saveexec_b64 s[12:13], s[0:1]
	s_cbranch_execz .LBB187_388
; %bb.383:                              ;   in Loop: Header=BB187_329 Depth=1
	v_bfrev_b32_e32 v16, 1
	v_mov_b32_e32 v17, 0
	v_cmp_ne_u16_sdwa s[0:1], v15, s28 src0_sel:BYTE_0 src1_sel:DWORD
	s_and_saveexec_b64 s[16:17], s[0:1]
	s_cbranch_execz .LBB187_387
; %bb.384:                              ;   in Loop: Header=BB187_329 Depth=1
	v_and_b32_e32 v0, 0x7f, v15
	v_mov_b32_e32 v16, 0x7f800001
	v_mov_b32_e32 v17, 0
	v_cmp_ne_u32_e64 s[0:1], s29, v0
	s_and_saveexec_b64 s[18:19], s[0:1]
	s_cbranch_execz .LBB187_386
; %bb.385:                              ;   in Loop: Header=BB187_329 Depth=1
	v_and_b32_e32 v11, 7, v15
	v_ffbh_u32_e32 v7, v11
	v_min_u32_e32 v17, 32, v7
	v_lshrrev_b32_e32 v16, 3, v0
	v_subrev_u32_e32 v7, 28, v17
	v_lshlrev_b64 v[7:8], v7, v[15:16]
	v_sub_u32_e32 v8, 29, v17
	v_and_b32_e32 v7, 7, v7
	v_cmp_gt_u32_e64 s[0:1], 8, v0
	v_cndmask_b32_e64 v0, v16, v8, s[0:1]
	v_cndmask_b32_e64 v7, v11, v7, s[0:1]
	v_bfrev_b32_e32 v11, 60
	v_lshlrev_b32_e32 v7, 20, v7
	v_and_b32_sdwa v8, sext(v15), s30 dst_sel:DWORD dst_unused:UNUSED_PAD src0_sel:BYTE_0 src1_sel:DWORD
	v_lshl_add_u32 v0, v0, 23, v11
	v_or3_b32 v16, v8, v0, v7
	v_mov_b32_e32 v17, v5
.LBB187_386:                            ;   in Loop: Header=BB187_329 Depth=1
	s_or_b64 exec, exec, s[18:19]
.LBB187_387:                            ;   in Loop: Header=BB187_329 Depth=1
	s_or_b64 exec, exec, s[16:17]
.LBB187_388:                            ;   in Loop: Header=BB187_329 Depth=1
	s_or_b64 exec, exec, s[12:13]
	v_cmp_ne_u16_sdwa s[0:1], v15, v5 src0_sel:BYTE_1 src1_sel:DWORD
	s_and_saveexec_b64 s[12:13], s[0:1]
	s_cbranch_execz .LBB187_394
; %bb.389:                              ;   in Loop: Header=BB187_329 Depth=1
	v_mov_b32_e32 v19, v6
	v_cmp_ne_u16_sdwa s[0:1], v15, s28 src0_sel:BYTE_1 src1_sel:DWORD
	v_mov_b32_e32 v18, v5
	s_and_saveexec_b64 s[16:17], s[0:1]
	s_cbranch_execz .LBB187_393
; %bb.390:                              ;   in Loop: Header=BB187_329 Depth=1
	v_and_b32_sdwa v0, v15, s29 dst_sel:DWORD dst_unused:UNUSED_PAD src0_sel:BYTE_1 src1_sel:DWORD
	v_mov_b32_e32 v11, v5
	v_mov_b32_e32 v19, v12
	v_cmp_ne_u32_e64 s[0:1], s29, v0
	v_mov_b32_e32 v18, v11
	s_and_saveexec_b64 s[18:19], s[0:1]
	s_cbranch_execz .LBB187_392
; %bb.391:                              ;   in Loop: Header=BB187_329 Depth=1
	v_mov_b32_e32 v7, 7
	v_and_b32_sdwa v7, v15, v7 dst_sel:DWORD dst_unused:UNUSED_PAD src0_sel:BYTE_1 src1_sel:DWORD
	v_ffbh_u32_e32 v18, v7
	v_min_u32_e32 v20, 32, v18
	v_mov_b32_e32 v8, v5
	v_subrev_u32_e32 v18, 28, v20
	v_lshlrev_b64 v[18:19], v18, v[7:8]
	v_lshrrev_b32_e32 v11, 3, v0
	v_sub_u32_e32 v8, 29, v20
	v_cmp_gt_u32_e64 s[0:1], 8, v0
	v_and_b32_e32 v18, 7, v18
	v_cndmask_b32_e64 v0, v11, v8, s[0:1]
	v_bfrev_b32_e32 v11, 60
	v_cndmask_b32_e64 v7, v7, v18, s[0:1]
	v_lshlrev_b32_e32 v8, 16, v15
	v_lshl_add_u32 v0, v0, 23, v11
	v_and_or_b32 v0, v8, s30, v0
	v_lshlrev_b32_e32 v7, 20, v7
	v_or_b32_e32 v19, v0, v7
	v_mov_b32_e32 v18, v5
.LBB187_392:                            ;   in Loop: Header=BB187_329 Depth=1
	s_or_b64 exec, exec, s[18:19]
.LBB187_393:                            ;   in Loop: Header=BB187_329 Depth=1
	s_or_b64 exec, exec, s[16:17]
.LBB187_394:                            ;   in Loop: Header=BB187_329 Depth=1
	s_or_b64 exec, exec, s[12:13]
	v_lshrrev_b32_e32 v11, 16, v15
	v_mov_b32_e32 v22, 0
	v_mov_b32_e32 v20, 0
	;; [unrolled: 1-line block ×4, first 2 shown]
	v_cmp_ne_u16_sdwa s[0:1], v11, v5 src0_sel:BYTE_0 src1_sel:DWORD
	s_and_saveexec_b64 s[12:13], s[0:1]
	s_cbranch_execz .LBB187_400
; %bb.395:                              ;   in Loop: Header=BB187_329 Depth=1
	v_bfrev_b32_e32 v20, 1
	v_mov_b32_e32 v21, 0
	v_cmp_ne_u16_sdwa s[0:1], v11, s28 src0_sel:BYTE_0 src1_sel:DWORD
	s_and_saveexec_b64 s[16:17], s[0:1]
	s_cbranch_execz .LBB187_399
; %bb.396:                              ;   in Loop: Header=BB187_329 Depth=1
	v_bfe_u32 v0, v15, 16, 7
	v_mov_b32_e32 v20, 0x7f800001
	v_mov_b32_e32 v21, 0
	v_cmp_ne_u32_e64 s[0:1], s29, v0
	s_and_saveexec_b64 s[18:19], s[0:1]
	s_cbranch_execz .LBB187_398
; %bb.397:                              ;   in Loop: Header=BB187_329 Depth=1
	v_and_b32_e32 v20, 7, v11
	v_lshrrev_b32_e32 v21, 3, v0
	v_cmp_gt_u32_e64 s[0:1], 8, v0
	v_ffbh_u32_e32 v0, v20
	v_min_u32_e32 v0, 32, v0
	v_subrev_u32_e32 v7, 28, v0
	v_lshlrev_b64 v[7:8], v7, v[11:12]
	v_sub_u32_e32 v0, 29, v0
	v_and_b32_e32 v7, 7, v7
	v_cndmask_b32_e64 v0, v21, v0, s[0:1]
	v_cndmask_b32_e64 v7, v20, v7, s[0:1]
	v_and_b32_sdwa v8, sext(v11), s30 dst_sel:DWORD dst_unused:UNUSED_PAD src0_sel:BYTE_0 src1_sel:DWORD
	v_bfrev_b32_e32 v11, 60
	v_lshlrev_b32_e32 v7, 20, v7
	v_lshl_add_u32 v0, v0, 23, v11
	v_or3_b32 v20, v8, v0, v7
	v_mov_b32_e32 v21, v5
.LBB187_398:                            ;   in Loop: Header=BB187_329 Depth=1
	s_or_b64 exec, exec, s[18:19]
.LBB187_399:                            ;   in Loop: Header=BB187_329 Depth=1
	s_or_b64 exec, exec, s[16:17]
.LBB187_400:                            ;   in Loop: Header=BB187_329 Depth=1
	s_or_b64 exec, exec, s[12:13]
	v_cmp_lt_u32_e64 s[0:1], s31, v15
	s_and_saveexec_b64 s[12:13], s[0:1]
	s_cbranch_execz .LBB187_406
; %bb.401:                              ;   in Loop: Header=BB187_329 Depth=1
	v_mov_b32_e32 v23, v6
	v_cmp_ne_u32_sdwa s[0:1], v15, s28 src0_sel:BYTE_3 src1_sel:DWORD
	v_mov_b32_e32 v22, v5
	s_and_saveexec_b64 s[16:17], s[0:1]
	s_cbranch_execz .LBB187_405
; %bb.402:                              ;   in Loop: Header=BB187_329 Depth=1
	v_bfe_u32 v0, v15, 24, 7
	v_mov_b32_e32 v11, v5
	v_mov_b32_e32 v23, v12
	v_cmp_ne_u32_e64 s[0:1], s29, v0
	v_mov_b32_e32 v22, v11
	s_and_saveexec_b64 s[18:19], s[0:1]
	s_cbranch_execz .LBB187_404
; %bb.403:                              ;   in Loop: Header=BB187_329 Depth=1
	v_mov_b32_e32 v7, 7
	v_and_b32_sdwa v7, v15, v7 dst_sel:DWORD dst_unused:UNUSED_PAD src0_sel:BYTE_3 src1_sel:DWORD
	v_lshrrev_b32_e32 v11, 3, v0
	v_cmp_gt_u32_e64 s[0:1], 8, v0
	v_ffbh_u32_e32 v0, v7
	v_min_u32_e32 v0, 32, v0
	v_mov_b32_e32 v8, v5
	v_subrev_u32_e32 v22, 28, v0
	v_lshlrev_b64 v[22:23], v22, v[7:8]
	v_sub_u32_e32 v0, 29, v0
	v_and_b32_e32 v8, 7, v22
	v_cndmask_b32_e64 v0, v11, v0, s[0:1]
	v_cndmask_b32_e64 v7, v7, v8, s[0:1]
	v_mov_b32_e32 v8, 24
	v_bfrev_b32_e32 v11, 60
	v_lshlrev_b32_sdwa v8, v8, v15 dst_sel:DWORD dst_unused:UNUSED_PAD src0_sel:DWORD src1_sel:BYTE_3
	v_lshl_add_u32 v0, v0, 23, v11
	v_and_or_b32 v0, v8, s30, v0
	v_lshlrev_b32_e32 v7, 20, v7
	v_or_b32_e32 v23, v0, v7
	v_mov_b32_e32 v22, v5
.LBB187_404:                            ;   in Loop: Header=BB187_329 Depth=1
	s_or_b64 exec, exec, s[18:19]
.LBB187_405:                            ;   in Loop: Header=BB187_329 Depth=1
	s_or_b64 exec, exec, s[16:17]
.LBB187_406:                            ;   in Loop: Header=BB187_329 Depth=1
	s_or_b64 exec, exec, s[12:13]
	v_or_b32_e32 v0, v19, v17
	v_or_b32_e32 v7, v18, v16
	v_mul_f32_e32 v0, s38, v0
	buffer_store_dword v0, off, s[56:59], 0 offset:36 ; 4-byte Folded Spill
	v_mul_f32_e32 v0, s37, v7
	buffer_store_dword v0, off, s[56:59], 0 offset:48 ; 4-byte Folded Spill
	v_or_b32_e32 v0, v23, v21
	v_or_b32_e32 v7, v22, v20
	v_mul_f32_e32 v7, s37, v7
	v_mul_f32_e32 v0, s38, v0
	buffer_store_dword v7, off, s[56:59], 0 offset:44 ; 4-byte Folded Spill
	buffer_store_dword v0, off, s[56:59], 0 offset:40 ; 4-byte Folded Spill
	s_and_saveexec_b64 s[12:13], vcc
	s_cbranch_execz .LBB187_408
; %bb.407:                              ;   in Loop: Header=BB187_329 Depth=1
	buffer_load_dword v0, off, s[56:59], 0 offset:48 ; 4-byte Folded Reload
	v_cmp_gt_i32_e64 s[0:1], s33, v49
	s_waitcnt vmcnt(0)
	v_cndmask_b32_e64 v0, 0, v0, s[0:1]
	buffer_store_dword v0, off, s[56:59], 0 offset:48 ; 4-byte Folded Spill
	buffer_load_dword v0, off, s[56:59], 0 offset:36 ; 4-byte Folded Reload
	v_cmp_gt_i32_e64 s[0:1], s33, v52
	s_waitcnt vmcnt(0)
	v_cndmask_b32_e64 v0, 0, v0, s[0:1]
	buffer_store_dword v0, off, s[56:59], 0 offset:36 ; 4-byte Folded Spill
	;; [unrolled: 5-line block ×4, first 2 shown]
.LBB187_408:                            ;   in Loop: Header=BB187_329 Depth=1
	s_or_b64 exec, exec, s[12:13]
	global_load_dword v15, v[13:14], off offset:768
	v_mov_b32_e32 v18, 0
	v_mov_b32_e32 v16, 0
	;; [unrolled: 1-line block ×4, first 2 shown]
	s_waitcnt vmcnt(0)
	v_cmp_ne_u16_sdwa s[0:1], v15, v5 src0_sel:BYTE_0 src1_sel:DWORD
	s_and_saveexec_b64 s[12:13], s[0:1]
	s_cbranch_execz .LBB187_414
; %bb.409:                              ;   in Loop: Header=BB187_329 Depth=1
	v_bfrev_b32_e32 v16, 1
	v_mov_b32_e32 v17, 0
	v_cmp_ne_u16_sdwa s[0:1], v15, s28 src0_sel:BYTE_0 src1_sel:DWORD
	s_and_saveexec_b64 s[16:17], s[0:1]
	s_cbranch_execz .LBB187_413
; %bb.410:                              ;   in Loop: Header=BB187_329 Depth=1
	v_and_b32_e32 v0, 0x7f, v15
	v_mov_b32_e32 v16, 0x7f800001
	v_mov_b32_e32 v17, 0
	v_cmp_ne_u32_e64 s[0:1], s29, v0
	s_and_saveexec_b64 s[18:19], s[0:1]
	s_cbranch_execz .LBB187_412
; %bb.411:                              ;   in Loop: Header=BB187_329 Depth=1
	v_and_b32_e32 v11, 7, v15
	v_lshrrev_b32_e32 v16, 3, v0
	v_cmp_gt_u32_e64 s[0:1], 8, v0
	v_ffbh_u32_e32 v0, v11
	v_min_u32_e32 v0, 32, v0
	v_subrev_u32_e32 v7, 28, v0
	v_lshlrev_b64 v[7:8], v7, v[15:16]
	v_sub_u32_e32 v0, 29, v0
	v_and_b32_e32 v7, 7, v7
	v_cndmask_b32_e64 v0, v16, v0, s[0:1]
	v_cndmask_b32_e64 v7, v11, v7, s[0:1]
	v_bfrev_b32_e32 v11, 60
	v_lshlrev_b32_e32 v7, 20, v7
	v_and_b32_sdwa v8, sext(v15), s30 dst_sel:DWORD dst_unused:UNUSED_PAD src0_sel:BYTE_0 src1_sel:DWORD
	v_lshl_add_u32 v0, v0, 23, v11
	v_or3_b32 v16, v8, v0, v7
	v_mov_b32_e32 v17, v5
.LBB187_412:                            ;   in Loop: Header=BB187_329 Depth=1
	s_or_b64 exec, exec, s[18:19]
.LBB187_413:                            ;   in Loop: Header=BB187_329 Depth=1
	s_or_b64 exec, exec, s[16:17]
.LBB187_414:                            ;   in Loop: Header=BB187_329 Depth=1
	s_or_b64 exec, exec, s[12:13]
	v_cmp_ne_u16_sdwa s[0:1], v15, v5 src0_sel:BYTE_1 src1_sel:DWORD
	s_and_saveexec_b64 s[12:13], s[0:1]
	s_cbranch_execz .LBB187_420
; %bb.415:                              ;   in Loop: Header=BB187_329 Depth=1
	v_mov_b32_e32 v19, v6
	v_cmp_ne_u16_sdwa s[0:1], v15, s28 src0_sel:BYTE_1 src1_sel:DWORD
	v_mov_b32_e32 v18, v5
	s_and_saveexec_b64 s[16:17], s[0:1]
	s_cbranch_execz .LBB187_419
; %bb.416:                              ;   in Loop: Header=BB187_329 Depth=1
	v_and_b32_sdwa v0, v15, s29 dst_sel:DWORD dst_unused:UNUSED_PAD src0_sel:BYTE_1 src1_sel:DWORD
	v_mov_b32_e32 v11, v5
	v_mov_b32_e32 v19, v12
	v_cmp_ne_u32_e64 s[0:1], s29, v0
	v_mov_b32_e32 v18, v11
	s_and_saveexec_b64 s[18:19], s[0:1]
	s_cbranch_execz .LBB187_418
; %bb.417:                              ;   in Loop: Header=BB187_329 Depth=1
	v_mov_b32_e32 v7, 7
	v_and_b32_sdwa v7, v15, v7 dst_sel:DWORD dst_unused:UNUSED_PAD src0_sel:BYTE_1 src1_sel:DWORD
	v_lshrrev_b32_e32 v11, 3, v0
	v_cmp_gt_u32_e64 s[0:1], 8, v0
	v_ffbh_u32_e32 v0, v7
	v_min_u32_e32 v0, 32, v0
	v_mov_b32_e32 v8, v5
	v_subrev_u32_e32 v18, 28, v0
	v_lshlrev_b64 v[18:19], v18, v[7:8]
	v_sub_u32_e32 v0, 29, v0
	v_and_b32_e32 v8, 7, v18
	v_cndmask_b32_e64 v0, v11, v0, s[0:1]
	v_bfrev_b32_e32 v11, 60
	v_cndmask_b32_e64 v7, v7, v8, s[0:1]
	v_lshlrev_b32_e32 v8, 16, v15
	v_lshl_add_u32 v0, v0, 23, v11
	v_and_or_b32 v0, v8, s30, v0
	v_lshlrev_b32_e32 v7, 20, v7
	v_or_b32_e32 v19, v0, v7
	v_mov_b32_e32 v18, v5
.LBB187_418:                            ;   in Loop: Header=BB187_329 Depth=1
	s_or_b64 exec, exec, s[18:19]
.LBB187_419:                            ;   in Loop: Header=BB187_329 Depth=1
	s_or_b64 exec, exec, s[16:17]
.LBB187_420:                            ;   in Loop: Header=BB187_329 Depth=1
	s_or_b64 exec, exec, s[12:13]
	v_lshrrev_b32_e32 v11, 16, v15
	v_mov_b32_e32 v22, 0
	v_mov_b32_e32 v20, 0
	;; [unrolled: 1-line block ×4, first 2 shown]
	v_cmp_ne_u16_sdwa s[0:1], v11, v5 src0_sel:BYTE_0 src1_sel:DWORD
	s_and_saveexec_b64 s[12:13], s[0:1]
	s_cbranch_execz .LBB187_426
; %bb.421:                              ;   in Loop: Header=BB187_329 Depth=1
	v_bfrev_b32_e32 v20, 1
	v_mov_b32_e32 v21, 0
	v_cmp_ne_u16_sdwa s[0:1], v11, s28 src0_sel:BYTE_0 src1_sel:DWORD
	s_and_saveexec_b64 s[16:17], s[0:1]
	s_cbranch_execz .LBB187_425
; %bb.422:                              ;   in Loop: Header=BB187_329 Depth=1
	v_bfe_u32 v0, v15, 16, 7
	v_mov_b32_e32 v20, 0x7f800001
	v_mov_b32_e32 v21, 0
	v_cmp_ne_u32_e64 s[0:1], s29, v0
	s_and_saveexec_b64 s[18:19], s[0:1]
	s_cbranch_execz .LBB187_424
; %bb.423:                              ;   in Loop: Header=BB187_329 Depth=1
	v_and_b32_e32 v20, 7, v11
	v_lshrrev_b32_e32 v21, 3, v0
	v_cmp_gt_u32_e64 s[0:1], 8, v0
	v_ffbh_u32_e32 v0, v20
	v_min_u32_e32 v0, 32, v0
	v_subrev_u32_e32 v7, 28, v0
	v_lshlrev_b64 v[7:8], v7, v[11:12]
	v_sub_u32_e32 v0, 29, v0
	v_and_b32_e32 v7, 7, v7
	v_cndmask_b32_e64 v0, v21, v0, s[0:1]
	v_cndmask_b32_e64 v7, v20, v7, s[0:1]
	v_and_b32_sdwa v8, sext(v11), s30 dst_sel:DWORD dst_unused:UNUSED_PAD src0_sel:BYTE_0 src1_sel:DWORD
	v_bfrev_b32_e32 v11, 60
	v_lshlrev_b32_e32 v7, 20, v7
	v_lshl_add_u32 v0, v0, 23, v11
	v_or3_b32 v20, v8, v0, v7
	v_mov_b32_e32 v21, v5
.LBB187_424:                            ;   in Loop: Header=BB187_329 Depth=1
	s_or_b64 exec, exec, s[18:19]
.LBB187_425:                            ;   in Loop: Header=BB187_329 Depth=1
	s_or_b64 exec, exec, s[16:17]
.LBB187_426:                            ;   in Loop: Header=BB187_329 Depth=1
	s_or_b64 exec, exec, s[12:13]
	v_cmp_lt_u32_e64 s[0:1], s31, v15
	s_and_saveexec_b64 s[12:13], s[0:1]
	s_cbranch_execz .LBB187_432
; %bb.427:                              ;   in Loop: Header=BB187_329 Depth=1
	v_mov_b32_e32 v23, v6
	v_cmp_ne_u32_sdwa s[0:1], v15, s28 src0_sel:BYTE_3 src1_sel:DWORD
	v_mov_b32_e32 v22, v5
	s_and_saveexec_b64 s[16:17], s[0:1]
	s_cbranch_execz .LBB187_431
; %bb.428:                              ;   in Loop: Header=BB187_329 Depth=1
	v_bfe_u32 v0, v15, 24, 7
	v_mov_b32_e32 v11, v5
	v_mov_b32_e32 v23, v12
	v_cmp_ne_u32_e64 s[0:1], s29, v0
	v_mov_b32_e32 v22, v11
	s_and_saveexec_b64 s[18:19], s[0:1]
	s_cbranch_execz .LBB187_430
; %bb.429:                              ;   in Loop: Header=BB187_329 Depth=1
	v_mov_b32_e32 v7, 7
	v_and_b32_sdwa v7, v15, v7 dst_sel:DWORD dst_unused:UNUSED_PAD src0_sel:BYTE_3 src1_sel:DWORD
	v_lshrrev_b32_e32 v11, 3, v0
	v_cmp_gt_u32_e64 s[0:1], 8, v0
	v_ffbh_u32_e32 v0, v7
	v_min_u32_e32 v0, 32, v0
	v_mov_b32_e32 v8, v5
	v_subrev_u32_e32 v22, 28, v0
	v_lshlrev_b64 v[22:23], v22, v[7:8]
	v_sub_u32_e32 v0, 29, v0
	v_and_b32_e32 v8, 7, v22
	v_cndmask_b32_e64 v0, v11, v0, s[0:1]
	v_cndmask_b32_e64 v7, v7, v8, s[0:1]
	v_mov_b32_e32 v8, 24
	v_bfrev_b32_e32 v11, 60
	v_lshlrev_b32_sdwa v8, v8, v15 dst_sel:DWORD dst_unused:UNUSED_PAD src0_sel:DWORD src1_sel:BYTE_3
	v_lshl_add_u32 v0, v0, 23, v11
	v_and_or_b32 v0, v8, s30, v0
	v_lshlrev_b32_e32 v7, 20, v7
	v_or_b32_e32 v23, v0, v7
	v_mov_b32_e32 v22, v5
.LBB187_430:                            ;   in Loop: Header=BB187_329 Depth=1
	s_or_b64 exec, exec, s[18:19]
.LBB187_431:                            ;   in Loop: Header=BB187_329 Depth=1
	s_or_b64 exec, exec, s[16:17]
.LBB187_432:                            ;   in Loop: Header=BB187_329 Depth=1
	s_or_b64 exec, exec, s[12:13]
	v_or_b32_e32 v0, v19, v17
	v_or_b32_e32 v7, v18, v16
	v_mul_f32_e32 v0, s38, v0
	buffer_store_dword v0, off, s[56:59], 0 offset:52 ; 4-byte Folded Spill
	v_mul_f32_e32 v44, s37, v7
	v_or_b32_e32 v0, v23, v21
	v_or_b32_e32 v7, v22, v20
	v_mul_f32_e32 v7, s37, v7
	v_mul_f32_e32 v0, s38, v0
	buffer_store_dword v7, off, s[56:59], 0 offset:60 ; 4-byte Folded Spill
	buffer_store_dword v0, off, s[56:59], 0 offset:56 ; 4-byte Folded Spill
	s_and_saveexec_b64 s[12:13], vcc
	s_cbranch_execz .LBB187_434
; %bb.433:                              ;   in Loop: Header=BB187_329 Depth=1
	buffer_load_dword v0, off, s[56:59], 0 offset:52 ; 4-byte Folded Reload
	v_cmp_gt_i32_e64 s[0:1], s33, v49
	v_cndmask_b32_e64 v44, 0, v44, s[0:1]
	v_cmp_gt_i32_e64 s[0:1], s33, v52
	s_waitcnt vmcnt(0)
	v_cndmask_b32_e64 v0, 0, v0, s[0:1]
	buffer_store_dword v0, off, s[56:59], 0 offset:52 ; 4-byte Folded Spill
	buffer_load_dword v0, off, s[56:59], 0 offset:60 ; 4-byte Folded Reload
	v_cmp_gt_i32_e64 s[0:1], s33, v51
	s_waitcnt vmcnt(0)
	v_cndmask_b32_e64 v0, 0, v0, s[0:1]
	buffer_store_dword v0, off, s[56:59], 0 offset:60 ; 4-byte Folded Spill
	buffer_load_dword v0, off, s[56:59], 0 offset:56 ; 4-byte Folded Reload
	v_cmp_gt_i32_e64 s[0:1], s33, v50
	s_waitcnt vmcnt(0)
	v_cndmask_b32_e64 v0, 0, v0, s[0:1]
	buffer_store_dword v0, off, s[56:59], 0 offset:56 ; 4-byte Folded Spill
.LBB187_434:                            ;   in Loop: Header=BB187_329 Depth=1
	s_or_b64 exec, exec, s[12:13]
	global_load_dword v15, v[13:14], off offset:1024
	v_mov_b32_e32 v18, 0
	v_mov_b32_e32 v16, 0
	;; [unrolled: 1-line block ×4, first 2 shown]
	s_waitcnt vmcnt(0)
	v_cmp_ne_u16_sdwa s[0:1], v15, v5 src0_sel:BYTE_0 src1_sel:DWORD
	s_and_saveexec_b64 s[12:13], s[0:1]
	s_cbranch_execz .LBB187_440
; %bb.435:                              ;   in Loop: Header=BB187_329 Depth=1
	v_bfrev_b32_e32 v16, 1
	v_mov_b32_e32 v17, 0
	v_cmp_ne_u16_sdwa s[0:1], v15, s28 src0_sel:BYTE_0 src1_sel:DWORD
	s_and_saveexec_b64 s[16:17], s[0:1]
	s_cbranch_execz .LBB187_439
; %bb.436:                              ;   in Loop: Header=BB187_329 Depth=1
	v_and_b32_e32 v0, 0x7f, v15
	v_mov_b32_e32 v16, 0x7f800001
	v_mov_b32_e32 v17, 0
	v_cmp_ne_u32_e64 s[0:1], s29, v0
	s_and_saveexec_b64 s[18:19], s[0:1]
	s_cbranch_execz .LBB187_438
; %bb.437:                              ;   in Loop: Header=BB187_329 Depth=1
	v_and_b32_e32 v11, 7, v15
	v_lshrrev_b32_e32 v16, 3, v0
	v_cmp_gt_u32_e64 s[0:1], 8, v0
	v_ffbh_u32_e32 v0, v11
	v_min_u32_e32 v0, 32, v0
	v_subrev_u32_e32 v7, 28, v0
	v_lshlrev_b64 v[7:8], v7, v[15:16]
	v_sub_u32_e32 v0, 29, v0
	v_and_b32_e32 v7, 7, v7
	v_cndmask_b32_e64 v0, v16, v0, s[0:1]
	v_cndmask_b32_e64 v7, v11, v7, s[0:1]
	v_bfrev_b32_e32 v11, 60
	v_lshlrev_b32_e32 v7, 20, v7
	v_and_b32_sdwa v8, sext(v15), s30 dst_sel:DWORD dst_unused:UNUSED_PAD src0_sel:BYTE_0 src1_sel:DWORD
	v_lshl_add_u32 v0, v0, 23, v11
	v_or3_b32 v16, v8, v0, v7
	v_mov_b32_e32 v17, v5
.LBB187_438:                            ;   in Loop: Header=BB187_329 Depth=1
	s_or_b64 exec, exec, s[18:19]
.LBB187_439:                            ;   in Loop: Header=BB187_329 Depth=1
	s_or_b64 exec, exec, s[16:17]
.LBB187_440:                            ;   in Loop: Header=BB187_329 Depth=1
	s_or_b64 exec, exec, s[12:13]
	v_cmp_ne_u16_sdwa s[0:1], v15, v5 src0_sel:BYTE_1 src1_sel:DWORD
	s_and_saveexec_b64 s[12:13], s[0:1]
	s_cbranch_execz .LBB187_446
; %bb.441:                              ;   in Loop: Header=BB187_329 Depth=1
	v_mov_b32_e32 v19, v6
	v_cmp_ne_u16_sdwa s[0:1], v15, s28 src0_sel:BYTE_1 src1_sel:DWORD
	v_mov_b32_e32 v18, v5
	s_and_saveexec_b64 s[16:17], s[0:1]
	s_cbranch_execz .LBB187_445
; %bb.442:                              ;   in Loop: Header=BB187_329 Depth=1
	v_and_b32_sdwa v0, v15, s29 dst_sel:DWORD dst_unused:UNUSED_PAD src0_sel:BYTE_1 src1_sel:DWORD
	v_mov_b32_e32 v11, v5
	v_mov_b32_e32 v19, v12
	v_cmp_ne_u32_e64 s[0:1], s29, v0
	v_mov_b32_e32 v18, v11
	s_and_saveexec_b64 s[18:19], s[0:1]
	s_cbranch_execz .LBB187_444
; %bb.443:                              ;   in Loop: Header=BB187_329 Depth=1
	v_mov_b32_e32 v7, 7
	v_and_b32_sdwa v7, v15, v7 dst_sel:DWORD dst_unused:UNUSED_PAD src0_sel:BYTE_1 src1_sel:DWORD
	v_lshrrev_b32_e32 v11, 3, v0
	v_cmp_gt_u32_e64 s[0:1], 8, v0
	v_ffbh_u32_e32 v0, v7
	v_min_u32_e32 v0, 32, v0
	v_mov_b32_e32 v8, v5
	v_subrev_u32_e32 v18, 28, v0
	v_lshlrev_b64 v[18:19], v18, v[7:8]
	v_sub_u32_e32 v0, 29, v0
	v_and_b32_e32 v8, 7, v18
	v_cndmask_b32_e64 v0, v11, v0, s[0:1]
	v_bfrev_b32_e32 v11, 60
	v_cndmask_b32_e64 v7, v7, v8, s[0:1]
	v_lshlrev_b32_e32 v8, 16, v15
	v_lshl_add_u32 v0, v0, 23, v11
	v_and_or_b32 v0, v8, s30, v0
	v_lshlrev_b32_e32 v7, 20, v7
	v_or_b32_e32 v19, v0, v7
	v_mov_b32_e32 v18, v5
.LBB187_444:                            ;   in Loop: Header=BB187_329 Depth=1
	s_or_b64 exec, exec, s[18:19]
.LBB187_445:                            ;   in Loop: Header=BB187_329 Depth=1
	s_or_b64 exec, exec, s[16:17]
.LBB187_446:                            ;   in Loop: Header=BB187_329 Depth=1
	s_or_b64 exec, exec, s[12:13]
	v_lshrrev_b32_e32 v11, 16, v15
	v_mov_b32_e32 v22, 0
	v_mov_b32_e32 v20, 0
	;; [unrolled: 1-line block ×4, first 2 shown]
	v_cmp_ne_u16_sdwa s[0:1], v11, v5 src0_sel:BYTE_0 src1_sel:DWORD
	s_and_saveexec_b64 s[12:13], s[0:1]
	s_cbranch_execz .LBB187_452
; %bb.447:                              ;   in Loop: Header=BB187_329 Depth=1
	v_bfrev_b32_e32 v20, 1
	v_mov_b32_e32 v21, 0
	v_cmp_ne_u16_sdwa s[0:1], v11, s28 src0_sel:BYTE_0 src1_sel:DWORD
	s_and_saveexec_b64 s[16:17], s[0:1]
	s_cbranch_execz .LBB187_451
; %bb.448:                              ;   in Loop: Header=BB187_329 Depth=1
	v_bfe_u32 v0, v15, 16, 7
	v_mov_b32_e32 v20, 0x7f800001
	v_mov_b32_e32 v21, 0
	v_cmp_ne_u32_e64 s[0:1], s29, v0
	s_and_saveexec_b64 s[18:19], s[0:1]
	s_cbranch_execz .LBB187_450
; %bb.449:                              ;   in Loop: Header=BB187_329 Depth=1
	v_and_b32_e32 v20, 7, v11
	v_lshrrev_b32_e32 v21, 3, v0
	v_cmp_gt_u32_e64 s[0:1], 8, v0
	v_ffbh_u32_e32 v0, v20
	v_min_u32_e32 v0, 32, v0
	v_subrev_u32_e32 v7, 28, v0
	v_lshlrev_b64 v[7:8], v7, v[11:12]
	v_sub_u32_e32 v0, 29, v0
	v_and_b32_e32 v7, 7, v7
	v_cndmask_b32_e64 v0, v21, v0, s[0:1]
	v_cndmask_b32_e64 v7, v20, v7, s[0:1]
	v_and_b32_sdwa v8, sext(v11), s30 dst_sel:DWORD dst_unused:UNUSED_PAD src0_sel:BYTE_0 src1_sel:DWORD
	v_bfrev_b32_e32 v11, 60
	v_lshlrev_b32_e32 v7, 20, v7
	v_lshl_add_u32 v0, v0, 23, v11
	v_or3_b32 v20, v8, v0, v7
	v_mov_b32_e32 v21, v5
.LBB187_450:                            ;   in Loop: Header=BB187_329 Depth=1
	s_or_b64 exec, exec, s[18:19]
.LBB187_451:                            ;   in Loop: Header=BB187_329 Depth=1
	s_or_b64 exec, exec, s[16:17]
.LBB187_452:                            ;   in Loop: Header=BB187_329 Depth=1
	s_or_b64 exec, exec, s[12:13]
	v_cmp_lt_u32_e64 s[0:1], s31, v15
	s_and_saveexec_b64 s[12:13], s[0:1]
	s_cbranch_execz .LBB187_458
; %bb.453:                              ;   in Loop: Header=BB187_329 Depth=1
	v_mov_b32_e32 v23, v6
	v_cmp_ne_u32_sdwa s[0:1], v15, s28 src0_sel:BYTE_3 src1_sel:DWORD
	v_mov_b32_e32 v22, v5
	s_and_saveexec_b64 s[16:17], s[0:1]
	s_cbranch_execz .LBB187_457
; %bb.454:                              ;   in Loop: Header=BB187_329 Depth=1
	v_bfe_u32 v0, v15, 24, 7
	v_mov_b32_e32 v11, v5
	v_mov_b32_e32 v23, v12
	v_cmp_ne_u32_e64 s[0:1], s29, v0
	v_mov_b32_e32 v22, v11
	s_and_saveexec_b64 s[18:19], s[0:1]
	s_cbranch_execz .LBB187_456
; %bb.455:                              ;   in Loop: Header=BB187_329 Depth=1
	v_mov_b32_e32 v7, 7
	v_and_b32_sdwa v7, v15, v7 dst_sel:DWORD dst_unused:UNUSED_PAD src0_sel:BYTE_3 src1_sel:DWORD
	v_lshrrev_b32_e32 v11, 3, v0
	v_cmp_gt_u32_e64 s[0:1], 8, v0
	v_ffbh_u32_e32 v0, v7
	v_min_u32_e32 v0, 32, v0
	v_mov_b32_e32 v8, v5
	v_subrev_u32_e32 v22, 28, v0
	v_lshlrev_b64 v[22:23], v22, v[7:8]
	v_sub_u32_e32 v0, 29, v0
	v_and_b32_e32 v8, 7, v22
	v_cndmask_b32_e64 v0, v11, v0, s[0:1]
	v_cndmask_b32_e64 v7, v7, v8, s[0:1]
	v_mov_b32_e32 v8, 24
	v_bfrev_b32_e32 v11, 60
	v_lshlrev_b32_sdwa v8, v8, v15 dst_sel:DWORD dst_unused:UNUSED_PAD src0_sel:DWORD src1_sel:BYTE_3
	v_lshl_add_u32 v0, v0, 23, v11
	v_and_or_b32 v0, v8, s30, v0
	v_lshlrev_b32_e32 v7, 20, v7
	v_or_b32_e32 v23, v0, v7
	v_mov_b32_e32 v22, v5
.LBB187_456:                            ;   in Loop: Header=BB187_329 Depth=1
	s_or_b64 exec, exec, s[18:19]
.LBB187_457:                            ;   in Loop: Header=BB187_329 Depth=1
	s_or_b64 exec, exec, s[16:17]
.LBB187_458:                            ;   in Loop: Header=BB187_329 Depth=1
	s_or_b64 exec, exec, s[12:13]
	v_or_b32_e32 v0, v19, v17
	v_or_b32_e32 v7, v18, v16
	v_mul_f32_e32 v39, s38, v0
	v_mul_f32_e32 v43, s37, v7
	v_or_b32_e32 v0, v23, v21
	v_or_b32_e32 v7, v22, v20
	v_mul_f32_e32 v24, s37, v7
	v_mul_f32_e32 v63, s38, v0
	s_and_saveexec_b64 s[12:13], vcc
; %bb.459:                              ;   in Loop: Header=BB187_329 Depth=1
	v_cmp_gt_i32_e64 s[0:1], s33, v49
	v_cndmask_b32_e64 v43, 0, v43, s[0:1]
	v_cmp_gt_i32_e64 s[0:1], s33, v52
	v_cndmask_b32_e64 v39, 0, v39, s[0:1]
	;; [unrolled: 2-line block ×4, first 2 shown]
; %bb.460:                              ;   in Loop: Header=BB187_329 Depth=1
	s_or_b64 exec, exec, s[12:13]
	global_load_dword v15, v[13:14], off offset:1280
	v_mov_b32_e32 v18, 0
	v_mov_b32_e32 v16, 0
	;; [unrolled: 1-line block ×4, first 2 shown]
	s_waitcnt vmcnt(0)
	v_cmp_ne_u16_sdwa s[0:1], v15, v5 src0_sel:BYTE_0 src1_sel:DWORD
	s_and_saveexec_b64 s[12:13], s[0:1]
	s_cbranch_execz .LBB187_466
; %bb.461:                              ;   in Loop: Header=BB187_329 Depth=1
	v_bfrev_b32_e32 v16, 1
	v_mov_b32_e32 v17, 0
	v_cmp_ne_u16_sdwa s[0:1], v15, s28 src0_sel:BYTE_0 src1_sel:DWORD
	s_and_saveexec_b64 s[16:17], s[0:1]
	s_cbranch_execz .LBB187_465
; %bb.462:                              ;   in Loop: Header=BB187_329 Depth=1
	v_and_b32_e32 v0, 0x7f, v15
	v_mov_b32_e32 v16, 0x7f800001
	v_mov_b32_e32 v17, 0
	v_cmp_ne_u32_e64 s[0:1], s29, v0
	s_and_saveexec_b64 s[18:19], s[0:1]
	s_cbranch_execz .LBB187_464
; %bb.463:                              ;   in Loop: Header=BB187_329 Depth=1
	v_and_b32_e32 v11, 7, v15
	v_lshrrev_b32_e32 v20, 3, v0
	v_cmp_gt_u32_e64 s[0:1], 8, v0
	v_ffbh_u32_e32 v0, v11
	v_min_u32_e32 v0, 32, v0
	v_subrev_u32_e32 v16, 28, v0
	v_lshlrev_b64 v[16:17], v16, v[15:16]
	v_sub_u32_e32 v0, 29, v0
	v_and_b32_e32 v16, 7, v16
	v_cndmask_b32_e64 v0, v20, v0, s[0:1]
	v_cndmask_b32_e64 v11, v11, v16, s[0:1]
	v_bfrev_b32_e32 v7, 60
	v_lshlrev_b32_e32 v11, 20, v11
	v_and_b32_sdwa v16, sext(v15), s30 dst_sel:DWORD dst_unused:UNUSED_PAD src0_sel:BYTE_0 src1_sel:DWORD
	v_lshl_add_u32 v0, v0, 23, v7
	v_or3_b32 v16, v16, v0, v11
	v_mov_b32_e32 v17, v5
.LBB187_464:                            ;   in Loop: Header=BB187_329 Depth=1
	s_or_b64 exec, exec, s[18:19]
.LBB187_465:                            ;   in Loop: Header=BB187_329 Depth=1
	s_or_b64 exec, exec, s[16:17]
.LBB187_466:                            ;   in Loop: Header=BB187_329 Depth=1
	s_or_b64 exec, exec, s[12:13]
	v_cmp_ne_u16_sdwa s[0:1], v15, v5 src0_sel:BYTE_1 src1_sel:DWORD
	s_and_saveexec_b64 s[12:13], s[0:1]
	s_cbranch_execz .LBB187_472
; %bb.467:                              ;   in Loop: Header=BB187_329 Depth=1
	v_mov_b32_e32 v19, v6
	v_cmp_ne_u16_sdwa s[0:1], v15, s28 src0_sel:BYTE_1 src1_sel:DWORD
	v_mov_b32_e32 v18, v5
	s_and_saveexec_b64 s[16:17], s[0:1]
	s_cbranch_execz .LBB187_471
; %bb.468:                              ;   in Loop: Header=BB187_329 Depth=1
	v_and_b32_sdwa v0, v15, s29 dst_sel:DWORD dst_unused:UNUSED_PAD src0_sel:BYTE_1 src1_sel:DWORD
	v_mov_b32_e32 v11, v5
	v_mov_b32_e32 v19, v12
	v_cmp_ne_u32_e64 s[0:1], s29, v0
	v_mov_b32_e32 v18, v11
	s_and_saveexec_b64 s[18:19], s[0:1]
	s_cbranch_execz .LBB187_470
; %bb.469:                              ;   in Loop: Header=BB187_329 Depth=1
	v_mov_b32_e32 v7, 7
	v_and_b32_sdwa v18, v15, v7 dst_sel:DWORD dst_unused:UNUSED_PAD src0_sel:BYTE_1 src1_sel:DWORD
	v_lshrrev_b32_e32 v11, 3, v0
	v_cmp_gt_u32_e64 s[0:1], 8, v0
	v_ffbh_u32_e32 v0, v18
	v_min_u32_e32 v0, 32, v0
	v_mov_b32_e32 v19, v5
	v_subrev_u32_e32 v20, 28, v0
	v_lshlrev_b64 v[19:20], v20, v[18:19]
	v_sub_u32_e32 v0, 29, v0
	v_and_b32_e32 v19, 7, v19
	v_cndmask_b32_e64 v0, v11, v0, s[0:1]
	v_bfrev_b32_e32 v7, 60
	v_cndmask_b32_e64 v11, v18, v19, s[0:1]
	v_lshlrev_b32_e32 v18, 16, v15
	v_lshl_add_u32 v0, v0, 23, v7
	v_and_or_b32 v0, v18, s30, v0
	v_lshlrev_b32_e32 v11, 20, v11
	v_or_b32_e32 v19, v0, v11
	v_mov_b32_e32 v18, v5
.LBB187_470:                            ;   in Loop: Header=BB187_329 Depth=1
	s_or_b64 exec, exec, s[18:19]
.LBB187_471:                            ;   in Loop: Header=BB187_329 Depth=1
	s_or_b64 exec, exec, s[16:17]
.LBB187_472:                            ;   in Loop: Header=BB187_329 Depth=1
	s_or_b64 exec, exec, s[12:13]
	v_lshrrev_b32_e32 v11, 16, v15
	v_mov_b32_e32 v22, 0
	v_mov_b32_e32 v20, 0
	;; [unrolled: 1-line block ×4, first 2 shown]
	v_cmp_ne_u16_sdwa s[0:1], v11, v5 src0_sel:BYTE_0 src1_sel:DWORD
	s_and_saveexec_b64 s[12:13], s[0:1]
	s_cbranch_execz .LBB187_478
; %bb.473:                              ;   in Loop: Header=BB187_329 Depth=1
	v_bfrev_b32_e32 v20, 1
	v_mov_b32_e32 v21, 0
	v_cmp_ne_u16_sdwa s[0:1], v11, s28 src0_sel:BYTE_0 src1_sel:DWORD
	s_and_saveexec_b64 s[16:17], s[0:1]
	s_cbranch_execz .LBB187_477
; %bb.474:                              ;   in Loop: Header=BB187_329 Depth=1
	v_bfe_u32 v0, v15, 16, 7
	v_mov_b32_e32 v20, 0x7f800001
	v_mov_b32_e32 v21, 0
	v_cmp_ne_u32_e64 s[0:1], s29, v0
	s_and_saveexec_b64 s[18:19], s[0:1]
	s_cbranch_execz .LBB187_476
; %bb.475:                              ;   in Loop: Header=BB187_329 Depth=1
	v_and_b32_e32 v25, 7, v11
	v_lshrrev_b32_e32 v26, 3, v0
	v_cmp_gt_u32_e64 s[0:1], 8, v0
	v_ffbh_u32_e32 v0, v25
	v_min_u32_e32 v0, 32, v0
	v_subrev_u32_e32 v20, 28, v0
	v_lshlrev_b64 v[20:21], v20, v[11:12]
	v_sub_u32_e32 v0, 29, v0
	v_and_b32_e32 v20, 7, v20
	v_cndmask_b32_e64 v0, v26, v0, s[0:1]
	v_cndmask_b32_e64 v20, v25, v20, s[0:1]
	v_bfrev_b32_e32 v7, 60
	v_lshlrev_b32_e32 v20, 20, v20
	v_and_b32_sdwa v11, sext(v11), s30 dst_sel:DWORD dst_unused:UNUSED_PAD src0_sel:BYTE_0 src1_sel:DWORD
	v_lshl_add_u32 v0, v0, 23, v7
	v_or3_b32 v20, v11, v0, v20
	v_mov_b32_e32 v21, v5
.LBB187_476:                            ;   in Loop: Header=BB187_329 Depth=1
	s_or_b64 exec, exec, s[18:19]
.LBB187_477:                            ;   in Loop: Header=BB187_329 Depth=1
	s_or_b64 exec, exec, s[16:17]
.LBB187_478:                            ;   in Loop: Header=BB187_329 Depth=1
	s_or_b64 exec, exec, s[12:13]
	v_cmp_lt_u32_e64 s[0:1], s31, v15
	s_and_saveexec_b64 s[12:13], s[0:1]
	s_cbranch_execz .LBB187_484
; %bb.479:                              ;   in Loop: Header=BB187_329 Depth=1
	v_mov_b32_e32 v23, v6
	v_cmp_ne_u32_sdwa s[0:1], v15, s28 src0_sel:BYTE_3 src1_sel:DWORD
	v_mov_b32_e32 v22, v5
	s_and_saveexec_b64 s[16:17], s[0:1]
	s_cbranch_execz .LBB187_483
; %bb.480:                              ;   in Loop: Header=BB187_329 Depth=1
	v_bfe_u32 v0, v15, 24, 7
	v_mov_b32_e32 v11, v5
	v_mov_b32_e32 v23, v12
	v_cmp_ne_u32_e64 s[0:1], s29, v0
	v_mov_b32_e32 v22, v11
	s_and_saveexec_b64 s[18:19], s[0:1]
	s_cbranch_execz .LBB187_482
; %bb.481:                              ;   in Loop: Header=BB187_329 Depth=1
	v_mov_b32_e32 v7, 7
	v_and_b32_sdwa v22, v15, v7 dst_sel:DWORD dst_unused:UNUSED_PAD src0_sel:BYTE_3 src1_sel:DWORD
	v_lshrrev_b32_e32 v11, 3, v0
	v_cmp_gt_u32_e64 s[0:1], 8, v0
	v_ffbh_u32_e32 v0, v22
	v_min_u32_e32 v0, 32, v0
	v_mov_b32_e32 v23, v5
	v_subrev_u32_e32 v25, 28, v0
	v_lshlrev_b64 v[25:26], v25, v[22:23]
	v_sub_u32_e32 v0, 29, v0
	v_mov_b32_e32 v7, 24
	v_and_b32_e32 v23, 7, v25
	v_cndmask_b32_e64 v0, v11, v0, s[0:1]
	v_lshlrev_b32_sdwa v15, v7, v15 dst_sel:DWORD dst_unused:UNUSED_PAD src0_sel:DWORD src1_sel:BYTE_3
	v_bfrev_b32_e32 v7, 60
	v_cndmask_b32_e64 v11, v22, v23, s[0:1]
	v_lshl_add_u32 v0, v0, 23, v7
	v_and_or_b32 v0, v15, s30, v0
	v_lshlrev_b32_e32 v11, 20, v11
	v_or_b32_e32 v23, v0, v11
	v_mov_b32_e32 v22, v5
.LBB187_482:                            ;   in Loop: Header=BB187_329 Depth=1
	s_or_b64 exec, exec, s[18:19]
.LBB187_483:                            ;   in Loop: Header=BB187_329 Depth=1
	s_or_b64 exec, exec, s[16:17]
.LBB187_484:                            ;   in Loop: Header=BB187_329 Depth=1
	s_or_b64 exec, exec, s[12:13]
	v_or_b32_e32 v0, v19, v17
	v_or_b32_e32 v11, v18, v16
	v_mul_f32_e32 v26, s38, v0
	v_mul_f32_e32 v27, s37, v11
	v_or_b32_e32 v0, v23, v21
	v_or_b32_e32 v11, v22, v20
	v_mul_f32_e32 v40, s37, v11
	v_mul_f32_e32 v25, s38, v0
	s_and_saveexec_b64 s[12:13], vcc
; %bb.485:                              ;   in Loop: Header=BB187_329 Depth=1
	v_cmp_gt_i32_e64 s[0:1], s33, v49
	v_cndmask_b32_e64 v27, 0, v27, s[0:1]
	v_cmp_gt_i32_e64 s[0:1], s33, v52
	v_cndmask_b32_e64 v26, 0, v26, s[0:1]
	;; [unrolled: 2-line block ×4, first 2 shown]
; %bb.486:                              ;   in Loop: Header=BB187_329 Depth=1
	s_or_b64 exec, exec, s[12:13]
	global_load_dword v15, v[13:14], off offset:1536
	v_mov_b32_e32 v18, 0
	v_mov_b32_e32 v16, 0
	;; [unrolled: 1-line block ×4, first 2 shown]
	s_waitcnt vmcnt(0)
	v_cmp_ne_u16_sdwa s[0:1], v15, v5 src0_sel:BYTE_0 src1_sel:DWORD
	s_and_saveexec_b64 s[12:13], s[0:1]
	s_cbranch_execz .LBB187_492
; %bb.487:                              ;   in Loop: Header=BB187_329 Depth=1
	v_bfrev_b32_e32 v16, 1
	v_mov_b32_e32 v17, 0
	v_cmp_ne_u16_sdwa s[0:1], v15, s28 src0_sel:BYTE_0 src1_sel:DWORD
	s_and_saveexec_b64 s[16:17], s[0:1]
	s_cbranch_execz .LBB187_491
; %bb.488:                              ;   in Loop: Header=BB187_329 Depth=1
	v_and_b32_e32 v0, 0x7f, v15
	v_mov_b32_e32 v16, 0x7f800001
	v_mov_b32_e32 v17, 0
	v_cmp_ne_u32_e64 s[0:1], s29, v0
	s_and_saveexec_b64 s[18:19], s[0:1]
	s_cbranch_execz .LBB187_490
; %bb.489:                              ;   in Loop: Header=BB187_329 Depth=1
	v_and_b32_e32 v11, 7, v15
	v_lshrrev_b32_e32 v20, 3, v0
	v_cmp_gt_u32_e64 s[0:1], 8, v0
	v_ffbh_u32_e32 v0, v11
	v_min_u32_e32 v0, 32, v0
	v_subrev_u32_e32 v16, 28, v0
	v_lshlrev_b64 v[16:17], v16, v[15:16]
	v_sub_u32_e32 v0, 29, v0
	v_and_b32_e32 v16, 7, v16
	v_cndmask_b32_e64 v0, v20, v0, s[0:1]
	v_cndmask_b32_e64 v11, v11, v16, s[0:1]
	v_bfrev_b32_e32 v7, 60
	v_lshlrev_b32_e32 v11, 20, v11
	v_and_b32_sdwa v16, sext(v15), s30 dst_sel:DWORD dst_unused:UNUSED_PAD src0_sel:BYTE_0 src1_sel:DWORD
	v_lshl_add_u32 v0, v0, 23, v7
	v_or3_b32 v16, v16, v0, v11
	v_mov_b32_e32 v17, v5
.LBB187_490:                            ;   in Loop: Header=BB187_329 Depth=1
	s_or_b64 exec, exec, s[18:19]
.LBB187_491:                            ;   in Loop: Header=BB187_329 Depth=1
	s_or_b64 exec, exec, s[16:17]
.LBB187_492:                            ;   in Loop: Header=BB187_329 Depth=1
	s_or_b64 exec, exec, s[12:13]
	v_cmp_ne_u16_sdwa s[0:1], v15, v5 src0_sel:BYTE_1 src1_sel:DWORD
	s_and_saveexec_b64 s[12:13], s[0:1]
	s_cbranch_execz .LBB187_498
; %bb.493:                              ;   in Loop: Header=BB187_329 Depth=1
	v_mov_b32_e32 v19, v6
	v_cmp_ne_u16_sdwa s[0:1], v15, s28 src0_sel:BYTE_1 src1_sel:DWORD
	v_mov_b32_e32 v18, v5
	s_and_saveexec_b64 s[16:17], s[0:1]
	s_cbranch_execz .LBB187_497
; %bb.494:                              ;   in Loop: Header=BB187_329 Depth=1
	v_and_b32_sdwa v0, v15, s29 dst_sel:DWORD dst_unused:UNUSED_PAD src0_sel:BYTE_1 src1_sel:DWORD
	v_mov_b32_e32 v11, v5
	v_mov_b32_e32 v19, v12
	v_cmp_ne_u32_e64 s[0:1], s29, v0
	v_mov_b32_e32 v18, v11
	s_and_saveexec_b64 s[18:19], s[0:1]
	s_cbranch_execz .LBB187_496
; %bb.495:                              ;   in Loop: Header=BB187_329 Depth=1
	v_mov_b32_e32 v7, 7
	v_and_b32_sdwa v18, v15, v7 dst_sel:DWORD dst_unused:UNUSED_PAD src0_sel:BYTE_1 src1_sel:DWORD
	v_lshrrev_b32_e32 v11, 3, v0
	v_cmp_gt_u32_e64 s[0:1], 8, v0
	v_ffbh_u32_e32 v0, v18
	v_min_u32_e32 v0, 32, v0
	v_mov_b32_e32 v19, v5
	v_subrev_u32_e32 v20, 28, v0
	v_lshlrev_b64 v[19:20], v20, v[18:19]
	v_sub_u32_e32 v0, 29, v0
	v_and_b32_e32 v19, 7, v19
	v_cndmask_b32_e64 v0, v11, v0, s[0:1]
	v_bfrev_b32_e32 v7, 60
	v_cndmask_b32_e64 v11, v18, v19, s[0:1]
	v_lshlrev_b32_e32 v18, 16, v15
	v_lshl_add_u32 v0, v0, 23, v7
	v_and_or_b32 v0, v18, s30, v0
	v_lshlrev_b32_e32 v11, 20, v11
	v_or_b32_e32 v19, v0, v11
	v_mov_b32_e32 v18, v5
.LBB187_496:                            ;   in Loop: Header=BB187_329 Depth=1
	s_or_b64 exec, exec, s[18:19]
.LBB187_497:                            ;   in Loop: Header=BB187_329 Depth=1
	s_or_b64 exec, exec, s[16:17]
.LBB187_498:                            ;   in Loop: Header=BB187_329 Depth=1
	s_or_b64 exec, exec, s[12:13]
	v_lshrrev_b32_e32 v11, 16, v15
	v_mov_b32_e32 v22, 0
	v_mov_b32_e32 v20, 0
	;; [unrolled: 1-line block ×4, first 2 shown]
	v_cmp_ne_u16_sdwa s[0:1], v11, v5 src0_sel:BYTE_0 src1_sel:DWORD
	s_and_saveexec_b64 s[12:13], s[0:1]
	s_cbranch_execz .LBB187_504
; %bb.499:                              ;   in Loop: Header=BB187_329 Depth=1
	v_bfrev_b32_e32 v20, 1
	v_mov_b32_e32 v21, 0
	v_cmp_ne_u16_sdwa s[0:1], v11, s28 src0_sel:BYTE_0 src1_sel:DWORD
	s_and_saveexec_b64 s[16:17], s[0:1]
	s_cbranch_execz .LBB187_503
; %bb.500:                              ;   in Loop: Header=BB187_329 Depth=1
	v_bfe_u32 v0, v15, 16, 7
	v_mov_b32_e32 v20, 0x7f800001
	v_mov_b32_e32 v21, 0
	v_cmp_ne_u32_e64 s[0:1], s29, v0
	s_and_saveexec_b64 s[18:19], s[0:1]
	s_cbranch_execz .LBB187_502
; %bb.501:                              ;   in Loop: Header=BB187_329 Depth=1
	v_and_b32_e32 v28, 7, v11
	v_lshrrev_b32_e32 v29, 3, v0
	v_cmp_gt_u32_e64 s[0:1], 8, v0
	v_ffbh_u32_e32 v0, v28
	v_min_u32_e32 v0, 32, v0
	v_subrev_u32_e32 v20, 28, v0
	v_lshlrev_b64 v[20:21], v20, v[11:12]
	v_sub_u32_e32 v0, 29, v0
	v_and_b32_e32 v20, 7, v20
	v_cndmask_b32_e64 v0, v29, v0, s[0:1]
	v_cndmask_b32_e64 v20, v28, v20, s[0:1]
	v_bfrev_b32_e32 v7, 60
	v_lshlrev_b32_e32 v20, 20, v20
	v_and_b32_sdwa v11, sext(v11), s30 dst_sel:DWORD dst_unused:UNUSED_PAD src0_sel:BYTE_0 src1_sel:DWORD
	v_lshl_add_u32 v0, v0, 23, v7
	v_or3_b32 v20, v11, v0, v20
	v_mov_b32_e32 v21, v5
.LBB187_502:                            ;   in Loop: Header=BB187_329 Depth=1
	s_or_b64 exec, exec, s[18:19]
.LBB187_503:                            ;   in Loop: Header=BB187_329 Depth=1
	s_or_b64 exec, exec, s[16:17]
.LBB187_504:                            ;   in Loop: Header=BB187_329 Depth=1
	s_or_b64 exec, exec, s[12:13]
	v_cmp_lt_u32_e64 s[0:1], s31, v15
	s_and_saveexec_b64 s[12:13], s[0:1]
	s_cbranch_execz .LBB187_510
; %bb.505:                              ;   in Loop: Header=BB187_329 Depth=1
	v_mov_b32_e32 v23, v6
	v_cmp_ne_u32_sdwa s[0:1], v15, s28 src0_sel:BYTE_3 src1_sel:DWORD
	v_mov_b32_e32 v22, v5
	s_and_saveexec_b64 s[16:17], s[0:1]
	s_cbranch_execz .LBB187_509
; %bb.506:                              ;   in Loop: Header=BB187_329 Depth=1
	v_bfe_u32 v0, v15, 24, 7
	v_mov_b32_e32 v11, v5
	v_mov_b32_e32 v23, v12
	v_cmp_ne_u32_e64 s[0:1], s29, v0
	v_mov_b32_e32 v22, v11
	s_and_saveexec_b64 s[18:19], s[0:1]
	s_cbranch_execz .LBB187_508
; %bb.507:                              ;   in Loop: Header=BB187_329 Depth=1
	v_mov_b32_e32 v7, 7
	v_and_b32_sdwa v22, v15, v7 dst_sel:DWORD dst_unused:UNUSED_PAD src0_sel:BYTE_3 src1_sel:DWORD
	v_lshrrev_b32_e32 v11, 3, v0
	v_cmp_gt_u32_e64 s[0:1], 8, v0
	v_ffbh_u32_e32 v0, v22
	v_min_u32_e32 v0, 32, v0
	v_mov_b32_e32 v23, v5
	v_subrev_u32_e32 v28, 28, v0
	v_lshlrev_b64 v[28:29], v28, v[22:23]
	v_sub_u32_e32 v0, 29, v0
	v_mov_b32_e32 v7, 24
	v_and_b32_e32 v23, 7, v28
	v_cndmask_b32_e64 v0, v11, v0, s[0:1]
	v_lshlrev_b32_sdwa v15, v7, v15 dst_sel:DWORD dst_unused:UNUSED_PAD src0_sel:DWORD src1_sel:BYTE_3
	v_bfrev_b32_e32 v7, 60
	v_cndmask_b32_e64 v11, v22, v23, s[0:1]
	v_lshl_add_u32 v0, v0, 23, v7
	v_and_or_b32 v0, v15, s30, v0
	v_lshlrev_b32_e32 v11, 20, v11
	v_or_b32_e32 v23, v0, v11
	v_mov_b32_e32 v22, v5
.LBB187_508:                            ;   in Loop: Header=BB187_329 Depth=1
	s_or_b64 exec, exec, s[18:19]
.LBB187_509:                            ;   in Loop: Header=BB187_329 Depth=1
	s_or_b64 exec, exec, s[16:17]
.LBB187_510:                            ;   in Loop: Header=BB187_329 Depth=1
	s_or_b64 exec, exec, s[12:13]
	v_or_b32_e32 v0, v19, v17
	v_or_b32_e32 v11, v18, v16
	v_mul_f32_e32 v28, s38, v0
	v_mul_f32_e32 v31, s37, v11
	v_or_b32_e32 v0, v23, v21
	v_or_b32_e32 v11, v22, v20
	v_mul_f32_e32 v30, s37, v11
	v_mul_f32_e32 v29, s38, v0
	s_and_saveexec_b64 s[12:13], vcc
; %bb.511:                              ;   in Loop: Header=BB187_329 Depth=1
	v_cmp_gt_i32_e64 s[0:1], s33, v49
	v_cndmask_b32_e64 v31, 0, v31, s[0:1]
	v_cmp_gt_i32_e64 s[0:1], s33, v52
	v_cndmask_b32_e64 v28, 0, v28, s[0:1]
	;; [unrolled: 2-line block ×4, first 2 shown]
; %bb.512:                              ;   in Loop: Header=BB187_329 Depth=1
	s_or_b64 exec, exec, s[12:13]
	global_load_dword v15, v[13:14], off offset:1792
	v_mov_b32_e32 v18, 0
	v_mov_b32_e32 v16, 0
	;; [unrolled: 1-line block ×4, first 2 shown]
	s_waitcnt vmcnt(0)
	v_cmp_ne_u16_sdwa s[0:1], v15, v5 src0_sel:BYTE_0 src1_sel:DWORD
	s_and_saveexec_b64 s[12:13], s[0:1]
	s_cbranch_execz .LBB187_518
; %bb.513:                              ;   in Loop: Header=BB187_329 Depth=1
	v_bfrev_b32_e32 v16, 1
	v_mov_b32_e32 v17, 0
	v_cmp_ne_u16_sdwa s[0:1], v15, s28 src0_sel:BYTE_0 src1_sel:DWORD
	s_and_saveexec_b64 s[16:17], s[0:1]
	s_cbranch_execz .LBB187_517
; %bb.514:                              ;   in Loop: Header=BB187_329 Depth=1
	v_and_b32_e32 v0, 0x7f, v15
	v_mov_b32_e32 v16, 0x7f800001
	v_mov_b32_e32 v17, 0
	v_cmp_ne_u32_e64 s[0:1], s29, v0
	s_and_saveexec_b64 s[18:19], s[0:1]
	s_cbranch_execz .LBB187_516
; %bb.515:                              ;   in Loop: Header=BB187_329 Depth=1
	v_and_b32_e32 v11, 7, v15
	v_lshrrev_b32_e32 v20, 3, v0
	v_cmp_gt_u32_e64 s[0:1], 8, v0
	v_ffbh_u32_e32 v0, v11
	v_min_u32_e32 v0, 32, v0
	v_subrev_u32_e32 v16, 28, v0
	v_lshlrev_b64 v[16:17], v16, v[15:16]
	v_sub_u32_e32 v0, 29, v0
	v_and_b32_e32 v16, 7, v16
	v_cndmask_b32_e64 v0, v20, v0, s[0:1]
	v_cndmask_b32_e64 v11, v11, v16, s[0:1]
	v_bfrev_b32_e32 v7, 60
	v_lshlrev_b32_e32 v11, 20, v11
	v_and_b32_sdwa v16, sext(v15), s30 dst_sel:DWORD dst_unused:UNUSED_PAD src0_sel:BYTE_0 src1_sel:DWORD
	v_lshl_add_u32 v0, v0, 23, v7
	v_or3_b32 v16, v16, v0, v11
	v_mov_b32_e32 v17, v5
.LBB187_516:                            ;   in Loop: Header=BB187_329 Depth=1
	s_or_b64 exec, exec, s[18:19]
.LBB187_517:                            ;   in Loop: Header=BB187_329 Depth=1
	s_or_b64 exec, exec, s[16:17]
.LBB187_518:                            ;   in Loop: Header=BB187_329 Depth=1
	s_or_b64 exec, exec, s[12:13]
	v_cmp_ne_u16_sdwa s[0:1], v15, v5 src0_sel:BYTE_1 src1_sel:DWORD
	s_and_saveexec_b64 s[12:13], s[0:1]
	s_cbranch_execz .LBB187_524
; %bb.519:                              ;   in Loop: Header=BB187_329 Depth=1
	v_mov_b32_e32 v19, v6
	v_cmp_ne_u16_sdwa s[0:1], v15, s28 src0_sel:BYTE_1 src1_sel:DWORD
	v_mov_b32_e32 v18, v5
	s_and_saveexec_b64 s[16:17], s[0:1]
	s_cbranch_execz .LBB187_523
; %bb.520:                              ;   in Loop: Header=BB187_329 Depth=1
	v_and_b32_sdwa v0, v15, s29 dst_sel:DWORD dst_unused:UNUSED_PAD src0_sel:BYTE_1 src1_sel:DWORD
	v_mov_b32_e32 v11, v5
	v_mov_b32_e32 v19, v12
	v_cmp_ne_u32_e64 s[0:1], s29, v0
	v_mov_b32_e32 v18, v11
	s_and_saveexec_b64 s[18:19], s[0:1]
	s_cbranch_execz .LBB187_522
; %bb.521:                              ;   in Loop: Header=BB187_329 Depth=1
	v_mov_b32_e32 v7, 7
	v_and_b32_sdwa v18, v15, v7 dst_sel:DWORD dst_unused:UNUSED_PAD src0_sel:BYTE_1 src1_sel:DWORD
	v_lshrrev_b32_e32 v11, 3, v0
	v_cmp_gt_u32_e64 s[0:1], 8, v0
	v_ffbh_u32_e32 v0, v18
	v_min_u32_e32 v0, 32, v0
	v_mov_b32_e32 v19, v5
	v_subrev_u32_e32 v20, 28, v0
	v_lshlrev_b64 v[19:20], v20, v[18:19]
	v_sub_u32_e32 v0, 29, v0
	v_and_b32_e32 v19, 7, v19
	v_cndmask_b32_e64 v0, v11, v0, s[0:1]
	v_bfrev_b32_e32 v7, 60
	v_cndmask_b32_e64 v11, v18, v19, s[0:1]
	v_lshlrev_b32_e32 v18, 16, v15
	v_lshl_add_u32 v0, v0, 23, v7
	v_and_or_b32 v0, v18, s30, v0
	v_lshlrev_b32_e32 v11, 20, v11
	v_or_b32_e32 v19, v0, v11
	v_mov_b32_e32 v18, v5
.LBB187_522:                            ;   in Loop: Header=BB187_329 Depth=1
	s_or_b64 exec, exec, s[18:19]
.LBB187_523:                            ;   in Loop: Header=BB187_329 Depth=1
	s_or_b64 exec, exec, s[16:17]
.LBB187_524:                            ;   in Loop: Header=BB187_329 Depth=1
	s_or_b64 exec, exec, s[12:13]
	v_lshrrev_b32_e32 v11, 16, v15
	v_mov_b32_e32 v22, 0
	v_mov_b32_e32 v20, 0
	;; [unrolled: 1-line block ×4, first 2 shown]
	v_cmp_ne_u16_sdwa s[0:1], v11, v5 src0_sel:BYTE_0 src1_sel:DWORD
	s_and_saveexec_b64 s[12:13], s[0:1]
	s_cbranch_execz .LBB187_530
; %bb.525:                              ;   in Loop: Header=BB187_329 Depth=1
	v_bfrev_b32_e32 v20, 1
	v_mov_b32_e32 v21, 0
	v_cmp_ne_u16_sdwa s[0:1], v11, s28 src0_sel:BYTE_0 src1_sel:DWORD
	s_and_saveexec_b64 s[16:17], s[0:1]
	s_cbranch_execz .LBB187_529
; %bb.526:                              ;   in Loop: Header=BB187_329 Depth=1
	v_bfe_u32 v0, v15, 16, 7
	v_mov_b32_e32 v20, 0x7f800001
	v_mov_b32_e32 v21, 0
	v_cmp_ne_u32_e64 s[0:1], s29, v0
	s_and_saveexec_b64 s[18:19], s[0:1]
	s_cbranch_execz .LBB187_528
; %bb.527:                              ;   in Loop: Header=BB187_329 Depth=1
	v_and_b32_e32 v32, 7, v11
	v_lshrrev_b32_e32 v33, 3, v0
	v_cmp_gt_u32_e64 s[0:1], 8, v0
	v_ffbh_u32_e32 v0, v32
	v_min_u32_e32 v0, 32, v0
	v_subrev_u32_e32 v20, 28, v0
	v_lshlrev_b64 v[20:21], v20, v[11:12]
	v_sub_u32_e32 v0, 29, v0
	v_and_b32_e32 v20, 7, v20
	v_cndmask_b32_e64 v0, v33, v0, s[0:1]
	v_cndmask_b32_e64 v20, v32, v20, s[0:1]
	v_bfrev_b32_e32 v7, 60
	v_lshlrev_b32_e32 v20, 20, v20
	v_and_b32_sdwa v11, sext(v11), s30 dst_sel:DWORD dst_unused:UNUSED_PAD src0_sel:BYTE_0 src1_sel:DWORD
	v_lshl_add_u32 v0, v0, 23, v7
	v_or3_b32 v20, v11, v0, v20
	v_mov_b32_e32 v21, v5
.LBB187_528:                            ;   in Loop: Header=BB187_329 Depth=1
	s_or_b64 exec, exec, s[18:19]
.LBB187_529:                            ;   in Loop: Header=BB187_329 Depth=1
	s_or_b64 exec, exec, s[16:17]
.LBB187_530:                            ;   in Loop: Header=BB187_329 Depth=1
	s_or_b64 exec, exec, s[12:13]
	v_cmp_lt_u32_e64 s[0:1], s31, v15
	s_and_saveexec_b64 s[12:13], s[0:1]
	s_cbranch_execz .LBB187_536
; %bb.531:                              ;   in Loop: Header=BB187_329 Depth=1
	v_mov_b32_e32 v23, v6
	v_cmp_ne_u32_sdwa s[0:1], v15, s28 src0_sel:BYTE_3 src1_sel:DWORD
	v_mov_b32_e32 v22, v5
	s_and_saveexec_b64 s[16:17], s[0:1]
	s_cbranch_execz .LBB187_535
; %bb.532:                              ;   in Loop: Header=BB187_329 Depth=1
	v_bfe_u32 v0, v15, 24, 7
	v_mov_b32_e32 v11, v5
	v_mov_b32_e32 v23, v12
	v_cmp_ne_u32_e64 s[0:1], s29, v0
	v_mov_b32_e32 v22, v11
	s_and_saveexec_b64 s[18:19], s[0:1]
	s_cbranch_execz .LBB187_534
; %bb.533:                              ;   in Loop: Header=BB187_329 Depth=1
	v_mov_b32_e32 v7, 7
	v_and_b32_sdwa v22, v15, v7 dst_sel:DWORD dst_unused:UNUSED_PAD src0_sel:BYTE_3 src1_sel:DWORD
	v_lshrrev_b32_e32 v11, 3, v0
	v_cmp_gt_u32_e64 s[0:1], 8, v0
	v_ffbh_u32_e32 v0, v22
	v_min_u32_e32 v0, 32, v0
	v_mov_b32_e32 v23, v5
	v_subrev_u32_e32 v32, 28, v0
	v_lshlrev_b64 v[32:33], v32, v[22:23]
	v_sub_u32_e32 v0, 29, v0
	v_mov_b32_e32 v7, 24
	v_and_b32_e32 v23, 7, v32
	v_cndmask_b32_e64 v0, v11, v0, s[0:1]
	v_lshlrev_b32_sdwa v15, v7, v15 dst_sel:DWORD dst_unused:UNUSED_PAD src0_sel:DWORD src1_sel:BYTE_3
	v_bfrev_b32_e32 v7, 60
	v_cndmask_b32_e64 v11, v22, v23, s[0:1]
	v_lshl_add_u32 v0, v0, 23, v7
	v_and_or_b32 v0, v15, s30, v0
	v_lshlrev_b32_e32 v11, 20, v11
	v_or_b32_e32 v23, v0, v11
	v_mov_b32_e32 v22, v5
.LBB187_534:                            ;   in Loop: Header=BB187_329 Depth=1
	s_or_b64 exec, exec, s[18:19]
.LBB187_535:                            ;   in Loop: Header=BB187_329 Depth=1
	s_or_b64 exec, exec, s[16:17]
.LBB187_536:                            ;   in Loop: Header=BB187_329 Depth=1
	s_or_b64 exec, exec, s[12:13]
	v_or_b32_e32 v0, v19, v17
	v_or_b32_e32 v11, v18, v16
	v_mul_f32_e32 v32, s38, v0
	v_mul_f32_e32 v35, s37, v11
	v_or_b32_e32 v0, v23, v21
	v_or_b32_e32 v11, v22, v20
	v_mul_f32_e32 v34, s37, v11
	v_mul_f32_e32 v33, s38, v0
	s_and_saveexec_b64 s[12:13], vcc
; %bb.537:                              ;   in Loop: Header=BB187_329 Depth=1
	v_cmp_gt_i32_e64 s[0:1], s33, v49
	v_cndmask_b32_e64 v35, 0, v35, s[0:1]
	v_cmp_gt_i32_e64 s[0:1], s33, v52
	v_cndmask_b32_e64 v32, 0, v32, s[0:1]
	;; [unrolled: 2-line block ×4, first 2 shown]
; %bb.538:                              ;   in Loop: Header=BB187_329 Depth=1
	s_or_b64 exec, exec, s[12:13]
	global_load_dword v15, v[13:14], off offset:2048
	v_mov_b32_e32 v18, 0
	v_mov_b32_e32 v16, 0
	;; [unrolled: 1-line block ×4, first 2 shown]
	s_waitcnt vmcnt(0)
	v_cmp_ne_u16_sdwa s[0:1], v15, v5 src0_sel:BYTE_0 src1_sel:DWORD
	s_and_saveexec_b64 s[12:13], s[0:1]
	s_cbranch_execz .LBB187_544
; %bb.539:                              ;   in Loop: Header=BB187_329 Depth=1
	v_bfrev_b32_e32 v16, 1
	v_mov_b32_e32 v17, 0
	v_cmp_ne_u16_sdwa s[0:1], v15, s28 src0_sel:BYTE_0 src1_sel:DWORD
	s_and_saveexec_b64 s[16:17], s[0:1]
	s_cbranch_execz .LBB187_543
; %bb.540:                              ;   in Loop: Header=BB187_329 Depth=1
	v_and_b32_e32 v0, 0x7f, v15
	v_mov_b32_e32 v16, 0x7f800001
	v_mov_b32_e32 v17, 0
	v_cmp_ne_u32_e64 s[0:1], s29, v0
	s_and_saveexec_b64 s[18:19], s[0:1]
	s_cbranch_execz .LBB187_542
; %bb.541:                              ;   in Loop: Header=BB187_329 Depth=1
	v_and_b32_e32 v11, 7, v15
	v_lshrrev_b32_e32 v20, 3, v0
	v_cmp_gt_u32_e64 s[0:1], 8, v0
	v_ffbh_u32_e32 v0, v11
	v_min_u32_e32 v0, 32, v0
	v_subrev_u32_e32 v16, 28, v0
	v_lshlrev_b64 v[16:17], v16, v[15:16]
	v_sub_u32_e32 v0, 29, v0
	v_and_b32_e32 v16, 7, v16
	v_cndmask_b32_e64 v0, v20, v0, s[0:1]
	v_cndmask_b32_e64 v11, v11, v16, s[0:1]
	v_bfrev_b32_e32 v7, 60
	v_lshlrev_b32_e32 v11, 20, v11
	v_and_b32_sdwa v16, sext(v15), s30 dst_sel:DWORD dst_unused:UNUSED_PAD src0_sel:BYTE_0 src1_sel:DWORD
	v_lshl_add_u32 v0, v0, 23, v7
	v_or3_b32 v16, v16, v0, v11
	v_mov_b32_e32 v17, v5
.LBB187_542:                            ;   in Loop: Header=BB187_329 Depth=1
	s_or_b64 exec, exec, s[18:19]
.LBB187_543:                            ;   in Loop: Header=BB187_329 Depth=1
	s_or_b64 exec, exec, s[16:17]
.LBB187_544:                            ;   in Loop: Header=BB187_329 Depth=1
	s_or_b64 exec, exec, s[12:13]
	v_cmp_ne_u16_sdwa s[0:1], v15, v5 src0_sel:BYTE_1 src1_sel:DWORD
	s_and_saveexec_b64 s[12:13], s[0:1]
	s_cbranch_execz .LBB187_550
; %bb.545:                              ;   in Loop: Header=BB187_329 Depth=1
	v_mov_b32_e32 v19, v6
	v_cmp_ne_u16_sdwa s[0:1], v15, s28 src0_sel:BYTE_1 src1_sel:DWORD
	v_mov_b32_e32 v18, v5
	s_and_saveexec_b64 s[16:17], s[0:1]
	s_cbranch_execz .LBB187_549
; %bb.546:                              ;   in Loop: Header=BB187_329 Depth=1
	v_and_b32_sdwa v0, v15, s29 dst_sel:DWORD dst_unused:UNUSED_PAD src0_sel:BYTE_1 src1_sel:DWORD
	v_mov_b32_e32 v11, v5
	v_mov_b32_e32 v19, v12
	v_cmp_ne_u32_e64 s[0:1], s29, v0
	v_mov_b32_e32 v18, v11
	s_and_saveexec_b64 s[18:19], s[0:1]
	s_cbranch_execz .LBB187_548
; %bb.547:                              ;   in Loop: Header=BB187_329 Depth=1
	v_mov_b32_e32 v7, 7
	v_and_b32_sdwa v18, v15, v7 dst_sel:DWORD dst_unused:UNUSED_PAD src0_sel:BYTE_1 src1_sel:DWORD
	v_lshrrev_b32_e32 v11, 3, v0
	v_cmp_gt_u32_e64 s[0:1], 8, v0
	v_ffbh_u32_e32 v0, v18
	v_min_u32_e32 v0, 32, v0
	v_mov_b32_e32 v19, v5
	v_subrev_u32_e32 v20, 28, v0
	v_lshlrev_b64 v[19:20], v20, v[18:19]
	v_sub_u32_e32 v0, 29, v0
	v_and_b32_e32 v19, 7, v19
	v_cndmask_b32_e64 v0, v11, v0, s[0:1]
	v_bfrev_b32_e32 v7, 60
	v_cndmask_b32_e64 v11, v18, v19, s[0:1]
	v_lshlrev_b32_e32 v18, 16, v15
	v_lshl_add_u32 v0, v0, 23, v7
	v_and_or_b32 v0, v18, s30, v0
	v_lshlrev_b32_e32 v11, 20, v11
	v_or_b32_e32 v19, v0, v11
	v_mov_b32_e32 v18, v5
.LBB187_548:                            ;   in Loop: Header=BB187_329 Depth=1
	s_or_b64 exec, exec, s[18:19]
.LBB187_549:                            ;   in Loop: Header=BB187_329 Depth=1
	s_or_b64 exec, exec, s[16:17]
.LBB187_550:                            ;   in Loop: Header=BB187_329 Depth=1
	s_or_b64 exec, exec, s[12:13]
	v_lshrrev_b32_e32 v11, 16, v15
	v_mov_b32_e32 v22, 0
	v_mov_b32_e32 v20, 0
	;; [unrolled: 1-line block ×4, first 2 shown]
	v_cmp_ne_u16_sdwa s[0:1], v11, v5 src0_sel:BYTE_0 src1_sel:DWORD
	s_and_saveexec_b64 s[12:13], s[0:1]
	s_cbranch_execz .LBB187_556
; %bb.551:                              ;   in Loop: Header=BB187_329 Depth=1
	v_bfrev_b32_e32 v20, 1
	v_mov_b32_e32 v21, 0
	v_cmp_ne_u16_sdwa s[0:1], v11, s28 src0_sel:BYTE_0 src1_sel:DWORD
	s_and_saveexec_b64 s[16:17], s[0:1]
	s_cbranch_execz .LBB187_555
; %bb.552:                              ;   in Loop: Header=BB187_329 Depth=1
	v_bfe_u32 v0, v15, 16, 7
	v_mov_b32_e32 v20, 0x7f800001
	v_mov_b32_e32 v21, 0
	v_cmp_ne_u32_e64 s[0:1], s29, v0
	s_and_saveexec_b64 s[18:19], s[0:1]
	s_cbranch_execz .LBB187_554
; %bb.553:                              ;   in Loop: Header=BB187_329 Depth=1
	v_and_b32_e32 v36, 7, v11
	v_lshrrev_b32_e32 v37, 3, v0
	v_cmp_gt_u32_e64 s[0:1], 8, v0
	v_ffbh_u32_e32 v0, v36
	v_min_u32_e32 v0, 32, v0
	v_subrev_u32_e32 v20, 28, v0
	v_lshlrev_b64 v[20:21], v20, v[11:12]
	v_sub_u32_e32 v0, 29, v0
	v_and_b32_e32 v20, 7, v20
	v_cndmask_b32_e64 v0, v37, v0, s[0:1]
	v_cndmask_b32_e64 v20, v36, v20, s[0:1]
	v_bfrev_b32_e32 v7, 60
	v_lshlrev_b32_e32 v20, 20, v20
	v_and_b32_sdwa v11, sext(v11), s30 dst_sel:DWORD dst_unused:UNUSED_PAD src0_sel:BYTE_0 src1_sel:DWORD
	v_lshl_add_u32 v0, v0, 23, v7
	v_or3_b32 v20, v11, v0, v20
	v_mov_b32_e32 v21, v5
.LBB187_554:                            ;   in Loop: Header=BB187_329 Depth=1
	s_or_b64 exec, exec, s[18:19]
.LBB187_555:                            ;   in Loop: Header=BB187_329 Depth=1
	s_or_b64 exec, exec, s[16:17]
.LBB187_556:                            ;   in Loop: Header=BB187_329 Depth=1
	s_or_b64 exec, exec, s[12:13]
	v_cmp_lt_u32_e64 s[0:1], s31, v15
	s_and_saveexec_b64 s[12:13], s[0:1]
	s_cbranch_execz .LBB187_562
; %bb.557:                              ;   in Loop: Header=BB187_329 Depth=1
	v_mov_b32_e32 v23, v6
	v_cmp_ne_u32_sdwa s[0:1], v15, s28 src0_sel:BYTE_3 src1_sel:DWORD
	v_mov_b32_e32 v22, v5
	s_and_saveexec_b64 s[16:17], s[0:1]
	s_cbranch_execz .LBB187_561
; %bb.558:                              ;   in Loop: Header=BB187_329 Depth=1
	v_bfe_u32 v0, v15, 24, 7
	v_mov_b32_e32 v11, v5
	v_mov_b32_e32 v23, v12
	v_cmp_ne_u32_e64 s[0:1], s29, v0
	v_mov_b32_e32 v22, v11
	s_and_saveexec_b64 s[18:19], s[0:1]
	s_cbranch_execz .LBB187_560
; %bb.559:                              ;   in Loop: Header=BB187_329 Depth=1
	v_mov_b32_e32 v7, 7
	v_and_b32_sdwa v22, v15, v7 dst_sel:DWORD dst_unused:UNUSED_PAD src0_sel:BYTE_3 src1_sel:DWORD
	v_lshrrev_b32_e32 v11, 3, v0
	v_cmp_gt_u32_e64 s[0:1], 8, v0
	v_ffbh_u32_e32 v0, v22
	v_min_u32_e32 v0, 32, v0
	v_mov_b32_e32 v23, v5
	v_subrev_u32_e32 v36, 28, v0
	v_lshlrev_b64 v[36:37], v36, v[22:23]
	v_sub_u32_e32 v0, 29, v0
	v_mov_b32_e32 v7, 24
	v_and_b32_e32 v23, 7, v36
	v_cndmask_b32_e64 v0, v11, v0, s[0:1]
	v_lshlrev_b32_sdwa v15, v7, v15 dst_sel:DWORD dst_unused:UNUSED_PAD src0_sel:DWORD src1_sel:BYTE_3
	v_bfrev_b32_e32 v7, 60
	v_cndmask_b32_e64 v11, v22, v23, s[0:1]
	v_lshl_add_u32 v0, v0, 23, v7
	v_and_or_b32 v0, v15, s30, v0
	v_lshlrev_b32_e32 v11, 20, v11
	v_or_b32_e32 v23, v0, v11
	v_mov_b32_e32 v22, v5
.LBB187_560:                            ;   in Loop: Header=BB187_329 Depth=1
	s_or_b64 exec, exec, s[18:19]
.LBB187_561:                            ;   in Loop: Header=BB187_329 Depth=1
	s_or_b64 exec, exec, s[16:17]
.LBB187_562:                            ;   in Loop: Header=BB187_329 Depth=1
	s_or_b64 exec, exec, s[12:13]
	v_or_b32_e32 v0, v19, v17
	v_or_b32_e32 v11, v18, v16
	v_mul_f32_e32 v36, s38, v0
	v_mul_f32_e32 v42, s37, v11
	v_or_b32_e32 v0, v23, v21
	v_or_b32_e32 v11, v22, v20
	v_mul_f32_e32 v38, s37, v11
	v_mul_f32_e32 v37, s38, v0
	s_and_saveexec_b64 s[12:13], vcc
; %bb.563:                              ;   in Loop: Header=BB187_329 Depth=1
	v_cmp_gt_i32_e64 s[0:1], s33, v49
	v_cndmask_b32_e64 v42, 0, v42, s[0:1]
	v_cmp_gt_i32_e64 s[0:1], s33, v52
	v_cndmask_b32_e64 v36, 0, v36, s[0:1]
	;; [unrolled: 2-line block ×4, first 2 shown]
; %bb.564:                              ;   in Loop: Header=BB187_329 Depth=1
	s_or_b64 exec, exec, s[12:13]
	global_load_dword v15, v[13:14], off offset:2304
	v_mov_b32_e32 v18, 0
	v_mov_b32_e32 v16, 0
	;; [unrolled: 1-line block ×4, first 2 shown]
	s_waitcnt vmcnt(0)
	v_cmp_ne_u16_sdwa s[0:1], v15, v5 src0_sel:BYTE_0 src1_sel:DWORD
	s_and_saveexec_b64 s[12:13], s[0:1]
	s_cbranch_execz .LBB187_570
; %bb.565:                              ;   in Loop: Header=BB187_329 Depth=1
	v_bfrev_b32_e32 v16, 1
	v_mov_b32_e32 v17, 0
	v_cmp_ne_u16_sdwa s[0:1], v15, s28 src0_sel:BYTE_0 src1_sel:DWORD
	s_and_saveexec_b64 s[16:17], s[0:1]
	s_cbranch_execz .LBB187_569
; %bb.566:                              ;   in Loop: Header=BB187_329 Depth=1
	v_and_b32_e32 v0, 0x7f, v15
	v_mov_b32_e32 v16, 0x7f800001
	v_mov_b32_e32 v17, 0
	v_cmp_ne_u32_e64 s[0:1], s29, v0
	s_and_saveexec_b64 s[18:19], s[0:1]
	s_cbranch_execz .LBB187_568
; %bb.567:                              ;   in Loop: Header=BB187_329 Depth=1
	v_and_b32_e32 v11, 7, v15
	v_lshrrev_b32_e32 v20, 3, v0
	v_cmp_gt_u32_e64 s[0:1], 8, v0
	v_ffbh_u32_e32 v0, v11
	v_min_u32_e32 v0, 32, v0
	v_subrev_u32_e32 v16, 28, v0
	v_lshlrev_b64 v[16:17], v16, v[15:16]
	v_sub_u32_e32 v0, 29, v0
	v_and_b32_e32 v16, 7, v16
	v_cndmask_b32_e64 v0, v20, v0, s[0:1]
	v_cndmask_b32_e64 v11, v11, v16, s[0:1]
	v_bfrev_b32_e32 v7, 60
	v_lshlrev_b32_e32 v11, 20, v11
	v_and_b32_sdwa v16, sext(v15), s30 dst_sel:DWORD dst_unused:UNUSED_PAD src0_sel:BYTE_0 src1_sel:DWORD
	v_lshl_add_u32 v0, v0, 23, v7
	v_or3_b32 v16, v16, v0, v11
	v_mov_b32_e32 v17, v5
.LBB187_568:                            ;   in Loop: Header=BB187_329 Depth=1
	s_or_b64 exec, exec, s[18:19]
.LBB187_569:                            ;   in Loop: Header=BB187_329 Depth=1
	s_or_b64 exec, exec, s[16:17]
.LBB187_570:                            ;   in Loop: Header=BB187_329 Depth=1
	s_or_b64 exec, exec, s[12:13]
	v_cmp_ne_u16_sdwa s[0:1], v15, v5 src0_sel:BYTE_1 src1_sel:DWORD
	s_and_saveexec_b64 s[12:13], s[0:1]
	s_cbranch_execz .LBB187_576
; %bb.571:                              ;   in Loop: Header=BB187_329 Depth=1
	v_mov_b32_e32 v19, v6
	v_cmp_ne_u16_sdwa s[0:1], v15, s28 src0_sel:BYTE_1 src1_sel:DWORD
	v_mov_b32_e32 v18, v5
	s_and_saveexec_b64 s[16:17], s[0:1]
	s_cbranch_execz .LBB187_575
; %bb.572:                              ;   in Loop: Header=BB187_329 Depth=1
	v_and_b32_sdwa v0, v15, s29 dst_sel:DWORD dst_unused:UNUSED_PAD src0_sel:BYTE_1 src1_sel:DWORD
	v_mov_b32_e32 v11, v5
	v_mov_b32_e32 v19, v12
	v_cmp_ne_u32_e64 s[0:1], s29, v0
	v_mov_b32_e32 v18, v11
	s_and_saveexec_b64 s[18:19], s[0:1]
	s_cbranch_execz .LBB187_574
; %bb.573:                              ;   in Loop: Header=BB187_329 Depth=1
	v_mov_b32_e32 v7, 7
	v_and_b32_sdwa v18, v15, v7 dst_sel:DWORD dst_unused:UNUSED_PAD src0_sel:BYTE_1 src1_sel:DWORD
	v_lshrrev_b32_e32 v11, 3, v0
	v_cmp_gt_u32_e64 s[0:1], 8, v0
	v_ffbh_u32_e32 v0, v18
	v_min_u32_e32 v0, 32, v0
	v_mov_b32_e32 v19, v5
	v_subrev_u32_e32 v20, 28, v0
	v_lshlrev_b64 v[19:20], v20, v[18:19]
	v_sub_u32_e32 v0, 29, v0
	v_and_b32_e32 v19, 7, v19
	v_cndmask_b32_e64 v0, v11, v0, s[0:1]
	v_bfrev_b32_e32 v7, 60
	v_cndmask_b32_e64 v11, v18, v19, s[0:1]
	v_lshlrev_b32_e32 v18, 16, v15
	v_lshl_add_u32 v0, v0, 23, v7
	v_and_or_b32 v0, v18, s30, v0
	v_lshlrev_b32_e32 v11, 20, v11
	v_or_b32_e32 v19, v0, v11
	v_mov_b32_e32 v18, v5
.LBB187_574:                            ;   in Loop: Header=BB187_329 Depth=1
	s_or_b64 exec, exec, s[18:19]
.LBB187_575:                            ;   in Loop: Header=BB187_329 Depth=1
	s_or_b64 exec, exec, s[16:17]
.LBB187_576:                            ;   in Loop: Header=BB187_329 Depth=1
	s_or_b64 exec, exec, s[12:13]
	v_lshrrev_b32_e32 v11, 16, v15
	v_mov_b32_e32 v22, 0
	v_mov_b32_e32 v20, 0
	;; [unrolled: 1-line block ×4, first 2 shown]
	v_cmp_ne_u16_sdwa s[0:1], v11, v5 src0_sel:BYTE_0 src1_sel:DWORD
	s_and_saveexec_b64 s[12:13], s[0:1]
	s_cbranch_execz .LBB187_582
; %bb.577:                              ;   in Loop: Header=BB187_329 Depth=1
	v_bfrev_b32_e32 v20, 1
	v_mov_b32_e32 v21, 0
	v_cmp_ne_u16_sdwa s[0:1], v11, s28 src0_sel:BYTE_0 src1_sel:DWORD
	s_and_saveexec_b64 s[16:17], s[0:1]
	s_cbranch_execz .LBB187_581
; %bb.578:                              ;   in Loop: Header=BB187_329 Depth=1
	v_bfe_u32 v0, v15, 16, 7
	v_mov_b32_e32 v20, 0x7f800001
	v_mov_b32_e32 v21, 0
	v_cmp_ne_u32_e64 s[0:1], s29, v0
	s_and_saveexec_b64 s[18:19], s[0:1]
	s_cbranch_execz .LBB187_580
; %bb.579:                              ;   in Loop: Header=BB187_329 Depth=1
	v_and_b32_e32 v45, 7, v11
	v_lshrrev_b32_e32 v46, 3, v0
	v_cmp_gt_u32_e64 s[0:1], 8, v0
	v_ffbh_u32_e32 v0, v45
	v_min_u32_e32 v0, 32, v0
	v_subrev_u32_e32 v20, 28, v0
	v_lshlrev_b64 v[20:21], v20, v[11:12]
	v_sub_u32_e32 v0, 29, v0
	v_and_b32_e32 v20, 7, v20
	v_cndmask_b32_e64 v0, v46, v0, s[0:1]
	v_cndmask_b32_e64 v20, v45, v20, s[0:1]
	v_bfrev_b32_e32 v7, 60
	v_lshlrev_b32_e32 v20, 20, v20
	v_and_b32_sdwa v11, sext(v11), s30 dst_sel:DWORD dst_unused:UNUSED_PAD src0_sel:BYTE_0 src1_sel:DWORD
	v_lshl_add_u32 v0, v0, 23, v7
	v_or3_b32 v20, v11, v0, v20
	v_mov_b32_e32 v21, v5
.LBB187_580:                            ;   in Loop: Header=BB187_329 Depth=1
	s_or_b64 exec, exec, s[18:19]
.LBB187_581:                            ;   in Loop: Header=BB187_329 Depth=1
	s_or_b64 exec, exec, s[16:17]
.LBB187_582:                            ;   in Loop: Header=BB187_329 Depth=1
	s_or_b64 exec, exec, s[12:13]
	v_cmp_lt_u32_e64 s[0:1], s31, v15
	s_and_saveexec_b64 s[12:13], s[0:1]
	s_cbranch_execz .LBB187_588
; %bb.583:                              ;   in Loop: Header=BB187_329 Depth=1
	v_mov_b32_e32 v23, v6
	v_cmp_ne_u32_sdwa s[0:1], v15, s28 src0_sel:BYTE_3 src1_sel:DWORD
	v_mov_b32_e32 v22, v5
	s_and_saveexec_b64 s[16:17], s[0:1]
	s_cbranch_execz .LBB187_587
; %bb.584:                              ;   in Loop: Header=BB187_329 Depth=1
	v_bfe_u32 v0, v15, 24, 7
	v_mov_b32_e32 v11, v5
	v_mov_b32_e32 v23, v12
	v_cmp_ne_u32_e64 s[0:1], s29, v0
	v_mov_b32_e32 v22, v11
	s_and_saveexec_b64 s[18:19], s[0:1]
	s_cbranch_execz .LBB187_586
; %bb.585:                              ;   in Loop: Header=BB187_329 Depth=1
	v_mov_b32_e32 v7, 7
	v_and_b32_sdwa v22, v15, v7 dst_sel:DWORD dst_unused:UNUSED_PAD src0_sel:BYTE_3 src1_sel:DWORD
	v_lshrrev_b32_e32 v11, 3, v0
	v_cmp_gt_u32_e64 s[0:1], 8, v0
	v_ffbh_u32_e32 v0, v22
	v_min_u32_e32 v0, 32, v0
	v_mov_b32_e32 v23, v5
	v_subrev_u32_e32 v45, 28, v0
	v_lshlrev_b64 v[45:46], v45, v[22:23]
	v_sub_u32_e32 v0, 29, v0
	v_mov_b32_e32 v7, 24
	v_and_b32_e32 v23, 7, v45
	v_cndmask_b32_e64 v0, v11, v0, s[0:1]
	v_lshlrev_b32_sdwa v15, v7, v15 dst_sel:DWORD dst_unused:UNUSED_PAD src0_sel:DWORD src1_sel:BYTE_3
	v_bfrev_b32_e32 v7, 60
	v_cndmask_b32_e64 v11, v22, v23, s[0:1]
	v_lshl_add_u32 v0, v0, 23, v7
	v_and_or_b32 v0, v15, s30, v0
	v_lshlrev_b32_e32 v11, 20, v11
	v_or_b32_e32 v23, v0, v11
	v_mov_b32_e32 v22, v5
.LBB187_586:                            ;   in Loop: Header=BB187_329 Depth=1
	s_or_b64 exec, exec, s[18:19]
.LBB187_587:                            ;   in Loop: Header=BB187_329 Depth=1
	s_or_b64 exec, exec, s[16:17]
.LBB187_588:                            ;   in Loop: Header=BB187_329 Depth=1
	s_or_b64 exec, exec, s[12:13]
	v_or_b32_e32 v0, v19, v17
	v_or_b32_e32 v11, v18, v16
	v_mul_f32_e32 v45, s38, v0
	v_mul_f32_e32 v48, s37, v11
	v_or_b32_e32 v0, v23, v21
	v_or_b32_e32 v11, v22, v20
	v_mul_f32_e32 v47, s37, v11
	v_mul_f32_e32 v46, s38, v0
	s_and_saveexec_b64 s[12:13], vcc
; %bb.589:                              ;   in Loop: Header=BB187_329 Depth=1
	v_cmp_gt_i32_e64 s[0:1], s33, v49
	v_cndmask_b32_e64 v48, 0, v48, s[0:1]
	v_cmp_gt_i32_e64 s[0:1], s33, v52
	v_cndmask_b32_e64 v45, 0, v45, s[0:1]
	;; [unrolled: 2-line block ×4, first 2 shown]
; %bb.590:                              ;   in Loop: Header=BB187_329 Depth=1
	s_or_b64 exec, exec, s[12:13]
	global_load_dword v15, v[13:14], off offset:2560
	v_mov_b32_e32 v18, 0
	v_mov_b32_e32 v16, 0
	;; [unrolled: 1-line block ×4, first 2 shown]
	s_waitcnt vmcnt(0)
	v_cmp_ne_u16_sdwa s[0:1], v15, v5 src0_sel:BYTE_0 src1_sel:DWORD
	s_and_saveexec_b64 s[12:13], s[0:1]
	s_cbranch_execz .LBB187_596
; %bb.591:                              ;   in Loop: Header=BB187_329 Depth=1
	v_bfrev_b32_e32 v16, 1
	v_mov_b32_e32 v17, 0
	v_cmp_ne_u16_sdwa s[0:1], v15, s28 src0_sel:BYTE_0 src1_sel:DWORD
	s_and_saveexec_b64 s[16:17], s[0:1]
	s_cbranch_execz .LBB187_595
; %bb.592:                              ;   in Loop: Header=BB187_329 Depth=1
	v_and_b32_e32 v0, 0x7f, v15
	v_mov_b32_e32 v16, 0x7f800001
	v_mov_b32_e32 v17, 0
	v_cmp_ne_u32_e64 s[0:1], s29, v0
	s_and_saveexec_b64 s[18:19], s[0:1]
	s_cbranch_execz .LBB187_594
; %bb.593:                              ;   in Loop: Header=BB187_329 Depth=1
	v_and_b32_e32 v11, 7, v15
	v_lshrrev_b32_e32 v20, 3, v0
	v_cmp_gt_u32_e64 s[0:1], 8, v0
	v_ffbh_u32_e32 v0, v11
	v_min_u32_e32 v0, 32, v0
	v_subrev_u32_e32 v16, 28, v0
	v_lshlrev_b64 v[16:17], v16, v[15:16]
	v_sub_u32_e32 v0, 29, v0
	v_and_b32_e32 v16, 7, v16
	v_cndmask_b32_e64 v0, v20, v0, s[0:1]
	v_cndmask_b32_e64 v11, v11, v16, s[0:1]
	v_bfrev_b32_e32 v7, 60
	v_lshlrev_b32_e32 v11, 20, v11
	v_and_b32_sdwa v16, sext(v15), s30 dst_sel:DWORD dst_unused:UNUSED_PAD src0_sel:BYTE_0 src1_sel:DWORD
	v_lshl_add_u32 v0, v0, 23, v7
	v_or3_b32 v16, v16, v0, v11
	v_mov_b32_e32 v17, v5
.LBB187_594:                            ;   in Loop: Header=BB187_329 Depth=1
	s_or_b64 exec, exec, s[18:19]
.LBB187_595:                            ;   in Loop: Header=BB187_329 Depth=1
	s_or_b64 exec, exec, s[16:17]
.LBB187_596:                            ;   in Loop: Header=BB187_329 Depth=1
	s_or_b64 exec, exec, s[12:13]
	v_cmp_ne_u16_sdwa s[0:1], v15, v5 src0_sel:BYTE_1 src1_sel:DWORD
	s_and_saveexec_b64 s[12:13], s[0:1]
	s_cbranch_execz .LBB187_602
; %bb.597:                              ;   in Loop: Header=BB187_329 Depth=1
	v_mov_b32_e32 v19, v6
	v_cmp_ne_u16_sdwa s[0:1], v15, s28 src0_sel:BYTE_1 src1_sel:DWORD
	v_mov_b32_e32 v18, v5
	s_and_saveexec_b64 s[16:17], s[0:1]
	s_cbranch_execz .LBB187_601
; %bb.598:                              ;   in Loop: Header=BB187_329 Depth=1
	v_and_b32_sdwa v0, v15, s29 dst_sel:DWORD dst_unused:UNUSED_PAD src0_sel:BYTE_1 src1_sel:DWORD
	v_mov_b32_e32 v11, v5
	v_mov_b32_e32 v19, v12
	v_cmp_ne_u32_e64 s[0:1], s29, v0
	v_mov_b32_e32 v18, v11
	s_and_saveexec_b64 s[18:19], s[0:1]
	s_cbranch_execz .LBB187_600
; %bb.599:                              ;   in Loop: Header=BB187_329 Depth=1
	v_mov_b32_e32 v7, 7
	v_and_b32_sdwa v18, v15, v7 dst_sel:DWORD dst_unused:UNUSED_PAD src0_sel:BYTE_1 src1_sel:DWORD
	v_lshrrev_b32_e32 v11, 3, v0
	v_cmp_gt_u32_e64 s[0:1], 8, v0
	v_ffbh_u32_e32 v0, v18
	v_min_u32_e32 v0, 32, v0
	v_mov_b32_e32 v19, v5
	v_subrev_u32_e32 v20, 28, v0
	v_lshlrev_b64 v[19:20], v20, v[18:19]
	v_sub_u32_e32 v0, 29, v0
	v_and_b32_e32 v19, 7, v19
	v_cndmask_b32_e64 v0, v11, v0, s[0:1]
	v_bfrev_b32_e32 v7, 60
	v_cndmask_b32_e64 v11, v18, v19, s[0:1]
	v_lshlrev_b32_e32 v18, 16, v15
	v_lshl_add_u32 v0, v0, 23, v7
	v_and_or_b32 v0, v18, s30, v0
	v_lshlrev_b32_e32 v11, 20, v11
	v_or_b32_e32 v19, v0, v11
	v_mov_b32_e32 v18, v5
.LBB187_600:                            ;   in Loop: Header=BB187_329 Depth=1
	s_or_b64 exec, exec, s[18:19]
.LBB187_601:                            ;   in Loop: Header=BB187_329 Depth=1
	s_or_b64 exec, exec, s[16:17]
.LBB187_602:                            ;   in Loop: Header=BB187_329 Depth=1
	s_or_b64 exec, exec, s[12:13]
	v_lshrrev_b32_e32 v11, 16, v15
	v_mov_b32_e32 v22, 0
	v_mov_b32_e32 v20, 0
	;; [unrolled: 1-line block ×4, first 2 shown]
	v_cmp_ne_u16_sdwa s[0:1], v11, v5 src0_sel:BYTE_0 src1_sel:DWORD
	s_and_saveexec_b64 s[12:13], s[0:1]
	s_cbranch_execz .LBB187_608
; %bb.603:                              ;   in Loop: Header=BB187_329 Depth=1
	v_bfrev_b32_e32 v20, 1
	v_mov_b32_e32 v21, 0
	v_cmp_ne_u16_sdwa s[0:1], v11, s28 src0_sel:BYTE_0 src1_sel:DWORD
	s_and_saveexec_b64 s[16:17], s[0:1]
	s_cbranch_execz .LBB187_607
; %bb.604:                              ;   in Loop: Header=BB187_329 Depth=1
	v_bfe_u32 v0, v15, 16, 7
	v_mov_b32_e32 v20, 0x7f800001
	v_mov_b32_e32 v21, 0
	v_cmp_ne_u32_e64 s[0:1], s29, v0
	s_and_saveexec_b64 s[18:19], s[0:1]
	s_cbranch_execz .LBB187_606
; %bb.605:                              ;   in Loop: Header=BB187_329 Depth=1
	v_and_b32_e32 v53, 7, v11
	v_lshrrev_b32_e32 v54, 3, v0
	v_cmp_gt_u32_e64 s[0:1], 8, v0
	v_ffbh_u32_e32 v0, v53
	v_min_u32_e32 v0, 32, v0
	v_subrev_u32_e32 v20, 28, v0
	v_lshlrev_b64 v[20:21], v20, v[11:12]
	v_sub_u32_e32 v0, 29, v0
	v_and_b32_e32 v20, 7, v20
	v_cndmask_b32_e64 v0, v54, v0, s[0:1]
	v_cndmask_b32_e64 v20, v53, v20, s[0:1]
	v_bfrev_b32_e32 v7, 60
	v_lshlrev_b32_e32 v20, 20, v20
	v_and_b32_sdwa v11, sext(v11), s30 dst_sel:DWORD dst_unused:UNUSED_PAD src0_sel:BYTE_0 src1_sel:DWORD
	v_lshl_add_u32 v0, v0, 23, v7
	v_or3_b32 v20, v11, v0, v20
	v_mov_b32_e32 v21, v5
.LBB187_606:                            ;   in Loop: Header=BB187_329 Depth=1
	s_or_b64 exec, exec, s[18:19]
.LBB187_607:                            ;   in Loop: Header=BB187_329 Depth=1
	s_or_b64 exec, exec, s[16:17]
.LBB187_608:                            ;   in Loop: Header=BB187_329 Depth=1
	s_or_b64 exec, exec, s[12:13]
	v_cmp_lt_u32_e64 s[0:1], s31, v15
	s_and_saveexec_b64 s[12:13], s[0:1]
	s_cbranch_execz .LBB187_614
; %bb.609:                              ;   in Loop: Header=BB187_329 Depth=1
	v_mov_b32_e32 v23, v6
	v_cmp_ne_u32_sdwa s[0:1], v15, s28 src0_sel:BYTE_3 src1_sel:DWORD
	v_mov_b32_e32 v22, v5
	s_and_saveexec_b64 s[16:17], s[0:1]
	s_cbranch_execz .LBB187_613
; %bb.610:                              ;   in Loop: Header=BB187_329 Depth=1
	v_bfe_u32 v0, v15, 24, 7
	v_mov_b32_e32 v11, v5
	v_mov_b32_e32 v23, v12
	v_cmp_ne_u32_e64 s[0:1], s29, v0
	v_mov_b32_e32 v22, v11
	s_and_saveexec_b64 s[18:19], s[0:1]
	s_cbranch_execz .LBB187_612
; %bb.611:                              ;   in Loop: Header=BB187_329 Depth=1
	v_mov_b32_e32 v7, 7
	v_and_b32_sdwa v22, v15, v7 dst_sel:DWORD dst_unused:UNUSED_PAD src0_sel:BYTE_3 src1_sel:DWORD
	v_lshrrev_b32_e32 v11, 3, v0
	v_cmp_gt_u32_e64 s[0:1], 8, v0
	v_ffbh_u32_e32 v0, v22
	v_min_u32_e32 v0, 32, v0
	v_mov_b32_e32 v23, v5
	v_subrev_u32_e32 v53, 28, v0
	v_lshlrev_b64 v[53:54], v53, v[22:23]
	v_sub_u32_e32 v0, 29, v0
	v_mov_b32_e32 v7, 24
	v_and_b32_e32 v23, 7, v53
	v_cndmask_b32_e64 v0, v11, v0, s[0:1]
	v_lshlrev_b32_sdwa v15, v7, v15 dst_sel:DWORD dst_unused:UNUSED_PAD src0_sel:DWORD src1_sel:BYTE_3
	v_bfrev_b32_e32 v7, 60
	v_cndmask_b32_e64 v11, v22, v23, s[0:1]
	v_lshl_add_u32 v0, v0, 23, v7
	v_and_or_b32 v0, v15, s30, v0
	v_lshlrev_b32_e32 v11, 20, v11
	v_or_b32_e32 v23, v0, v11
	v_mov_b32_e32 v22, v5
.LBB187_612:                            ;   in Loop: Header=BB187_329 Depth=1
	s_or_b64 exec, exec, s[18:19]
.LBB187_613:                            ;   in Loop: Header=BB187_329 Depth=1
	s_or_b64 exec, exec, s[16:17]
.LBB187_614:                            ;   in Loop: Header=BB187_329 Depth=1
	s_or_b64 exec, exec, s[12:13]
	v_or_b32_e32 v11, v18, v16
	v_or_b32_e32 v0, v19, v17
	v_mul_f32_e32 v53, s37, v11
	v_or_b32_e32 v11, v23, v21
	v_or_b32_e32 v15, v22, v20
	v_mul_f32_e32 v0, s38, v0
	v_mul_f32_e32 v23, s37, v15
	;; [unrolled: 1-line block ×3, first 2 shown]
	s_and_saveexec_b64 s[12:13], vcc
; %bb.615:                              ;   in Loop: Header=BB187_329 Depth=1
	v_cmp_gt_i32_e64 s[0:1], s33, v49
	v_cndmask_b32_e64 v53, 0, v53, s[0:1]
	v_cmp_gt_i32_e64 s[0:1], s33, v52
	v_cndmask_b32_e64 v0, 0, v0, s[0:1]
	;; [unrolled: 2-line block ×4, first 2 shown]
; %bb.616:                              ;   in Loop: Header=BB187_329 Depth=1
	s_or_b64 exec, exec, s[12:13]
	global_load_dword v13, v[13:14], off offset:2816
	v_mov_b32_e32 v16, 0
	v_mov_b32_e32 v14, 0
	;; [unrolled: 1-line block ×4, first 2 shown]
	s_waitcnt vmcnt(0)
	v_cmp_ne_u16_sdwa s[0:1], v13, v5 src0_sel:BYTE_0 src1_sel:DWORD
	s_and_saveexec_b64 s[12:13], s[0:1]
	s_cbranch_execz .LBB187_622
; %bb.617:                              ;   in Loop: Header=BB187_329 Depth=1
	v_bfrev_b32_e32 v14, 1
	v_mov_b32_e32 v15, 0
	v_cmp_ne_u16_sdwa s[0:1], v13, s28 src0_sel:BYTE_0 src1_sel:DWORD
	s_and_saveexec_b64 s[16:17], s[0:1]
	s_cbranch_execz .LBB187_621
; %bb.618:                              ;   in Loop: Header=BB187_329 Depth=1
	v_and_b32_e32 v11, 0x7f, v13
	v_mov_b32_e32 v14, 0x7f800001
	v_mov_b32_e32 v15, 0
	v_cmp_ne_u32_e64 s[0:1], s29, v11
	s_and_saveexec_b64 s[18:19], s[0:1]
	s_cbranch_execz .LBB187_620
; %bb.619:                              ;   in Loop: Header=BB187_329 Depth=1
	v_and_b32_e32 v18, 7, v13
	v_lshrrev_b32_e32 v19, 3, v11
	v_cmp_gt_u32_e64 s[0:1], 8, v11
	v_ffbh_u32_e32 v11, v18
	v_min_u32_e32 v11, 32, v11
	v_subrev_u32_e32 v14, 28, v11
	v_lshlrev_b64 v[14:15], v14, v[13:14]
	v_sub_u32_e32 v11, 29, v11
	v_and_b32_e32 v14, 7, v14
	v_cndmask_b32_e64 v11, v19, v11, s[0:1]
	v_cndmask_b32_e64 v14, v18, v14, s[0:1]
	v_bfrev_b32_e32 v7, 60
	v_lshlrev_b32_e32 v14, 20, v14
	v_and_b32_sdwa v15, sext(v13), s30 dst_sel:DWORD dst_unused:UNUSED_PAD src0_sel:BYTE_0 src1_sel:DWORD
	v_lshl_add_u32 v11, v11, 23, v7
	v_or3_b32 v14, v15, v11, v14
	v_mov_b32_e32 v15, v5
.LBB187_620:                            ;   in Loop: Header=BB187_329 Depth=1
	s_or_b64 exec, exec, s[18:19]
.LBB187_621:                            ;   in Loop: Header=BB187_329 Depth=1
	s_or_b64 exec, exec, s[16:17]
.LBB187_622:                            ;   in Loop: Header=BB187_329 Depth=1
	s_or_b64 exec, exec, s[12:13]
	v_cmp_ne_u16_sdwa s[0:1], v13, v5 src0_sel:BYTE_1 src1_sel:DWORD
	s_and_saveexec_b64 s[12:13], s[0:1]
	s_cbranch_execz .LBB187_628
; %bb.623:                              ;   in Loop: Header=BB187_329 Depth=1
	v_mov_b32_e32 v17, v6
	v_cmp_ne_u16_sdwa s[0:1], v13, s28 src0_sel:BYTE_1 src1_sel:DWORD
	v_mov_b32_e32 v16, v5
	s_and_saveexec_b64 s[16:17], s[0:1]
	s_cbranch_execz .LBB187_627
; %bb.624:                              ;   in Loop: Header=BB187_329 Depth=1
	v_and_b32_sdwa v18, v13, s29 dst_sel:DWORD dst_unused:UNUSED_PAD src0_sel:BYTE_1 src1_sel:DWORD
	v_mov_b32_e32 v11, v5
	v_mov_b32_e32 v17, v12
	v_cmp_ne_u32_e64 s[0:1], s29, v18
	v_mov_b32_e32 v16, v11
	s_and_saveexec_b64 s[18:19], s[0:1]
	s_cbranch_execz .LBB187_626
; %bb.625:                              ;   in Loop: Header=BB187_329 Depth=1
	v_mov_b32_e32 v7, 7
	v_and_b32_sdwa v16, v13, v7 dst_sel:DWORD dst_unused:UNUSED_PAD src0_sel:BYTE_1 src1_sel:DWORD
	v_lshrrev_b32_e32 v11, 3, v18
	v_cmp_gt_u32_e64 s[0:1], 8, v18
	v_ffbh_u32_e32 v18, v16
	v_min_u32_e32 v19, 32, v18
	v_mov_b32_e32 v17, v5
	v_subrev_u32_e32 v18, 28, v19
	v_lshlrev_b64 v[17:18], v18, v[16:17]
	v_sub_u32_e32 v18, 29, v19
	v_and_b32_e32 v17, 7, v17
	v_cndmask_b32_e64 v11, v11, v18, s[0:1]
	v_bfrev_b32_e32 v7, 60
	v_cndmask_b32_e64 v16, v16, v17, s[0:1]
	v_lshlrev_b32_e32 v17, 16, v13
	v_lshl_add_u32 v11, v11, 23, v7
	v_and_or_b32 v11, v17, s30, v11
	v_lshlrev_b32_e32 v16, 20, v16
	v_or_b32_e32 v17, v11, v16
	v_mov_b32_e32 v16, v5
.LBB187_626:                            ;   in Loop: Header=BB187_329 Depth=1
	s_or_b64 exec, exec, s[18:19]
.LBB187_627:                            ;   in Loop: Header=BB187_329 Depth=1
	s_or_b64 exec, exec, s[16:17]
.LBB187_628:                            ;   in Loop: Header=BB187_329 Depth=1
	s_or_b64 exec, exec, s[12:13]
	v_lshrrev_b32_e32 v11, 16, v13
	v_mov_b32_e32 v20, 0
	v_mov_b32_e32 v18, 0
	;; [unrolled: 1-line block ×4, first 2 shown]
	v_cmp_ne_u16_sdwa s[0:1], v11, v5 src0_sel:BYTE_0 src1_sel:DWORD
	s_and_saveexec_b64 s[12:13], s[0:1]
	s_cbranch_execz .LBB187_634
; %bb.629:                              ;   in Loop: Header=BB187_329 Depth=1
	v_bfrev_b32_e32 v18, 1
	v_mov_b32_e32 v19, 0
	v_cmp_ne_u16_sdwa s[0:1], v11, s28 src0_sel:BYTE_0 src1_sel:DWORD
	s_and_saveexec_b64 s[16:17], s[0:1]
	s_cbranch_execz .LBB187_633
; %bb.630:                              ;   in Loop: Header=BB187_329 Depth=1
	v_bfe_u32 v54, v13, 16, 7
	v_mov_b32_e32 v18, 0x7f800001
	v_mov_b32_e32 v8, v57
	;; [unrolled: 1-line block ×3, first 2 shown]
	v_cmp_ne_u32_e64 s[0:1], s29, v54
	s_and_saveexec_b64 s[18:19], s[0:1]
	s_cbranch_execz .LBB187_632
; %bb.631:                              ;   in Loop: Header=BB187_329 Depth=1
	v_and_b32_e32 v57, 7, v11
	v_ffbh_u32_e32 v18, v57
	v_lshrrev_b32_e32 v56, 3, v54
	v_cmp_gt_u32_e64 s[0:1], 8, v54
	v_min_u32_e32 v54, 32, v18
	v_subrev_u32_e32 v18, 28, v54
	v_lshlrev_b64 v[18:19], v18, v[11:12]
	v_sub_u32_e32 v19, 29, v54
	v_cndmask_b32_e64 v19, v56, v19, s[0:1]
	buffer_load_dword v56, off, s[56:59], 0 offset:220 ; 4-byte Folded Reload
	v_and_b32_e32 v18, 7, v18
	v_cndmask_b32_e64 v18, v57, v18, s[0:1]
	v_bfrev_b32_e32 v7, 60
	v_lshlrev_b32_e32 v18, 20, v18
	v_and_b32_sdwa v11, sext(v11), s30 dst_sel:DWORD dst_unused:UNUSED_PAD src0_sel:BYTE_0 src1_sel:DWORD
	v_lshl_add_u32 v19, v19, 23, v7
	v_or3_b32 v18, v11, v19, v18
	v_mov_b32_e32 v19, v5
.LBB187_632:                            ;   in Loop: Header=BB187_329 Depth=1
	s_or_b64 exec, exec, s[18:19]
	v_mov_b32_e32 v57, v8
.LBB187_633:                            ;   in Loop: Header=BB187_329 Depth=1
	s_or_b64 exec, exec, s[16:17]
.LBB187_634:                            ;   in Loop: Header=BB187_329 Depth=1
	s_or_b64 exec, exec, s[12:13]
	v_cmp_lt_u32_e64 s[0:1], s31, v13
	s_and_saveexec_b64 s[12:13], s[0:1]
	s_cbranch_execz .LBB187_640
; %bb.635:                              ;   in Loop: Header=BB187_329 Depth=1
	v_mov_b32_e32 v21, v6
	v_cmp_ne_u32_sdwa s[0:1], v13, s28 src0_sel:BYTE_3 src1_sel:DWORD
	v_mov_b32_e32 v20, v5
	s_and_saveexec_b64 s[16:17], s[0:1]
	s_cbranch_execz .LBB187_639
; %bb.636:                              ;   in Loop: Header=BB187_329 Depth=1
	v_bfe_u32 v54, v13, 24, 7
	v_mov_b32_e32 v11, v5
	v_mov_b32_e32 v21, v12
	v_cmp_ne_u32_e64 s[0:1], s29, v54
	v_mov_b32_e32 v20, v11
	s_and_saveexec_b64 s[18:19], s[0:1]
	s_cbranch_execz .LBB187_638
; %bb.637:                              ;   in Loop: Header=BB187_329 Depth=1
	v_mov_b32_e32 v7, 7
	v_and_b32_sdwa v20, v13, v7 dst_sel:DWORD dst_unused:UNUSED_PAD src0_sel:BYTE_3 src1_sel:DWORD
	v_lshrrev_b32_e32 v11, 3, v54
	v_cmp_gt_u32_e64 s[0:1], 8, v54
	v_ffbh_u32_e32 v54, v20
	s_waitcnt vmcnt(0)
	v_min_u32_e32 v56, 32, v54
	v_mov_b32_e32 v21, v5
	v_subrev_u32_e32 v54, 28, v56
	v_lshlrev_b64 v[7:8], v54, v[20:21]
	v_sub_u32_e32 v21, 29, v56
	buffer_load_dword v56, off, s[56:59], 0 offset:220 ; 4-byte Folded Reload
	v_and_b32_e32 v54, 7, v7
	v_mov_b32_e32 v7, 24
	v_cndmask_b32_e64 v11, v11, v21, s[0:1]
	v_lshlrev_b32_sdwa v13, v7, v13 dst_sel:DWORD dst_unused:UNUSED_PAD src0_sel:DWORD src1_sel:BYTE_3
	v_bfrev_b32_e32 v7, 60
	v_cndmask_b32_e64 v20, v20, v54, s[0:1]
	v_lshl_add_u32 v11, v11, 23, v7
	v_and_or_b32 v11, v13, s30, v11
	v_lshlrev_b32_e32 v13, 20, v20
	v_or_b32_e32 v21, v11, v13
	v_mov_b32_e32 v20, v5
.LBB187_638:                            ;   in Loop: Header=BB187_329 Depth=1
	s_or_b64 exec, exec, s[18:19]
.LBB187_639:                            ;   in Loop: Header=BB187_329 Depth=1
	s_or_b64 exec, exec, s[16:17]
.LBB187_640:                            ;   in Loop: Header=BB187_329 Depth=1
	s_or_b64 exec, exec, s[12:13]
	v_or_b32_e32 v13, v16, v14
	v_or_b32_e32 v11, v17, v15
	v_mul_f32_e32 v15, s37, v13
	v_or_b32_e32 v13, v21, v19
	v_or_b32_e32 v14, v20, v18
	v_mul_f32_e32 v11, s38, v11
	v_mul_f32_e32 v14, s37, v14
	;; [unrolled: 1-line block ×3, first 2 shown]
	s_and_saveexec_b64 s[0:1], vcc
	s_cbranch_execz .LBB187_327
; %bb.641:                              ;   in Loop: Header=BB187_329 Depth=1
	v_cmp_gt_i32_e32 vcc, s33, v49
	v_cndmask_b32_e32 v15, 0, v15, vcc
	v_cmp_gt_i32_e32 vcc, s33, v52
	v_cndmask_b32_e32 v11, 0, v11, vcc
	;; [unrolled: 2-line block ×4, first 2 shown]
	s_branch .LBB187_327
.LBB187_642:
	s_or_b64 exec, exec, s[4:5]
	buffer_load_dword v18, off, s[56:59], 0 offset:164 ; 4-byte Folded Reload
	buffer_load_dword v17, off, s[56:59], 0 offset:180 ; 4-byte Folded Reload
	;; [unrolled: 1-line block ×6, first 2 shown]
.LBB187_643:
	s_or_b64 exec, exec, s[2:3]
	buffer_load_dword v14, off, s[56:59], 0 offset:64 ; 4-byte Folded Reload
	s_waitcnt vmcnt(1)
	ds_bpermute_b32 v0, v13, v6
	ds_bpermute_b32 v1, v13, v4
	;; [unrolled: 1-line block ×5, first 2 shown]
	s_waitcnt lgkmcnt(4)
	v_add_f32_e32 v0, v6, v0
	s_waitcnt lgkmcnt(3)
	v_add_f32_e32 v1, v4, v1
	ds_bpermute_b32 v4, v17, v0
	s_waitcnt lgkmcnt(3)
	v_add_f32_e32 v2, v5, v2
	ds_bpermute_b32 v5, v17, v1
	;; [unrolled: 3-line block ×11, first 2 shown]
	s_waitcnt lgkmcnt(2)
	v_add_f32_e32 v5, v6, v8
	v_add_f32_e32 v8, v61, v11
	s_waitcnt lgkmcnt(1)
	v_add_f32_e32 v6, v9, v10
	ds_bpermute_b32 v9, v17, v8
	s_waitcnt lgkmcnt(1)
	v_add_f32_e32 v11, v62, v7
	ds_bpermute_b32 v7, v13, v58
	ds_bpermute_b32 v12, v17, v11
	s_waitcnt vmcnt(0) lgkmcnt(0)
	s_barrier
	v_add_f32_e32 v15, v58, v7
	ds_bpermute_b32 v16, v17, v15
	v_add_f32_e32 v7, v8, v9
	v_add_f32_e32 v8, v11, v12
	v_and_b32_e32 v12, 0x3c3, v56
	v_cmp_eq_u32_e32 vcc, 64, v12
	ds_bpermute_b32 v10, v13, v14
	ds_bpermute_b32 v13, v13, v55
	s_waitcnt lgkmcnt(1)
	v_add_f32_e32 v10, v14, v10
	s_waitcnt lgkmcnt(0)
	v_add_f32_e32 v13, v55, v13
	ds_bpermute_b32 v14, v17, v10
	ds_bpermute_b32 v17, v17, v13
	s_waitcnt lgkmcnt(1)
	v_add_f32_e32 v9, v10, v14
	v_add_f32_e32 v10, v15, v16
	s_waitcnt lgkmcnt(0)
	v_add_f32_e32 v11, v13, v17
	s_mov_b64 s[0:1], exec
	buffer_load_dword v14, off, s[56:59], 0 offset:228 ; 4-byte Folded Reload
	buffer_load_dword v15, off, s[56:59], 0 offset:224 ; 4-byte Folded Reload
	s_and_b64 s[2:3], s[0:1], vcc
	s_mov_b64 exec, s[2:3]
	s_cbranch_execz .LBB187_645
; %bb.644:
	v_add_u32_e32 v13, 0x310, v18
	ds_write2_b32 v13, v0, v1 offset1:16
	ds_write2_b32 v13, v2, v3 offset0:32 offset1:48
	ds_write2_b32 v13, v4, v5 offset0:64 offset1:80
	;; [unrolled: 1-line block ×5, first 2 shown]
.LBB187_645:
	s_or_b64 exec, exec, s[0:1]
	v_cmp_gt_u32_e32 vcc, 64, v56
	s_waitcnt vmcnt(0) lgkmcnt(0)
	s_barrier
	s_and_saveexec_b64 s[0:1], vcc
	s_cbranch_execz .LBB187_660
; %bb.646:
	v_mov_b32_e32 v13, 0x310
	v_cmp_eq_u32_e32 vcc, 0, v15
	v_lshl_add_u32 v13, v14, 2, v13
	s_and_saveexec_b64 s[2:3], vcc
	s_cbranch_execnz .LBB187_663
; %bb.647:
	s_or_b64 exec, exec, s[2:3]
	s_and_saveexec_b64 s[2:3], vcc
	s_cbranch_execnz .LBB187_664
.LBB187_648:
	s_or_b64 exec, exec, s[2:3]
	s_and_saveexec_b64 s[2:3], vcc
	s_cbranch_execnz .LBB187_665
.LBB187_649:
	s_or_b64 exec, exec, s[2:3]
	s_and_saveexec_b64 s[2:3], vcc
	s_cbranch_execnz .LBB187_666
.LBB187_650:
	s_or_b64 exec, exec, s[2:3]
	s_and_saveexec_b64 s[2:3], vcc
	s_cbranch_execnz .LBB187_667
.LBB187_651:
	s_or_b64 exec, exec, s[2:3]
	s_and_saveexec_b64 s[2:3], vcc
	s_cbranch_execnz .LBB187_668
.LBB187_652:
	s_or_b64 exec, exec, s[2:3]
	s_and_saveexec_b64 s[2:3], vcc
	s_cbranch_execnz .LBB187_669
.LBB187_653:
	s_or_b64 exec, exec, s[2:3]
	s_and_saveexec_b64 s[2:3], vcc
	s_cbranch_execnz .LBB187_670
.LBB187_654:
	s_or_b64 exec, exec, s[2:3]
	s_and_saveexec_b64 s[2:3], vcc
	s_cbranch_execnz .LBB187_671
.LBB187_655:
	s_or_b64 exec, exec, s[2:3]
	s_and_saveexec_b64 s[2:3], vcc
	s_cbranch_execnz .LBB187_672
.LBB187_656:
	s_or_b64 exec, exec, s[2:3]
	s_and_saveexec_b64 s[2:3], vcc
	s_cbranch_execnz .LBB187_673
.LBB187_657:
	s_or_b64 exec, exec, s[2:3]
	s_and_saveexec_b64 s[2:3], vcc
	s_cbranch_execz .LBB187_659
.LBB187_658:
	ds_read_b32 v13, v13 offset:704
	s_waitcnt lgkmcnt(0)
	v_add_f32_e32 v11, v11, v13
.LBB187_659:
	s_or_b64 exec, exec, s[2:3]
.LBB187_660:
	s_or_b64 exec, exec, s[0:1]
	v_cmp_eq_u32_e32 vcc, 0, v12
	s_barrier
	s_and_saveexec_b64 s[0:1], vcc
	s_cbranch_execz .LBB187_662
; %bb.661:
	buffer_load_dword v12, off, s[56:59], 0 offset:232 ; 4-byte Folded Reload
	s_mul_i32 s0, s10, s11
	s_mul_i32 s0, s0, s9
	s_mulk_i32 s0, 0xc0
	s_ashr_i32 s1, s0, 31
	s_lshl_b64 s[0:1], s[0:1], 2
	s_add_u32 s2, s26, s0
	s_mul_i32 s0, s11, s24
	s_addc_u32 s3, s27, s1
	s_ashr_i32 s1, s0, 31
	s_lshl_b64 s[0:1], s[0:1], 2
	s_add_u32 s2, s2, s0
	s_mul_i32 s0, s8, 0xc0
	s_addc_u32 s3, s3, s1
	s_ashr_i32 s1, s0, 31
	s_lshl_b64 s[0:1], s[0:1], 2
	s_add_u32 s0, s2, s0
	s_addc_u32 s1, s3, s1
	s_waitcnt vmcnt(0)
	global_store_dword v12, v0, s[0:1]
	global_store_dword v12, v1, s[0:1] offset:64
	global_store_dword v12, v2, s[0:1] offset:128
	;; [unrolled: 1-line block ×11, first 2 shown]
.LBB187_662:
	s_endpgm
.LBB187_663:
	ds_read_b32 v14, v13
	s_waitcnt lgkmcnt(0)
	v_add_f32_e32 v0, v0, v14
	s_or_b64 exec, exec, s[2:3]
	s_and_saveexec_b64 s[2:3], vcc
	s_cbranch_execz .LBB187_648
.LBB187_664:
	ds_read_b32 v14, v13 offset:64
	s_waitcnt lgkmcnt(0)
	v_add_f32_e32 v1, v1, v14
	s_or_b64 exec, exec, s[2:3]
	s_and_saveexec_b64 s[2:3], vcc
	s_cbranch_execz .LBB187_649
.LBB187_665:
	ds_read_b32 v14, v13 offset:128
	s_waitcnt lgkmcnt(0)
	v_add_f32_e32 v2, v2, v14
	s_or_b64 exec, exec, s[2:3]
	s_and_saveexec_b64 s[2:3], vcc
	s_cbranch_execz .LBB187_650
.LBB187_666:
	ds_read_b32 v14, v13 offset:192
	s_waitcnt lgkmcnt(0)
	v_add_f32_e32 v3, v3, v14
	s_or_b64 exec, exec, s[2:3]
	s_and_saveexec_b64 s[2:3], vcc
	s_cbranch_execz .LBB187_651
.LBB187_667:
	ds_read_b32 v14, v13 offset:256
	s_waitcnt lgkmcnt(0)
	v_add_f32_e32 v4, v4, v14
	s_or_b64 exec, exec, s[2:3]
	s_and_saveexec_b64 s[2:3], vcc
	s_cbranch_execz .LBB187_652
.LBB187_668:
	ds_read_b32 v14, v13 offset:320
	s_waitcnt lgkmcnt(0)
	v_add_f32_e32 v5, v5, v14
	s_or_b64 exec, exec, s[2:3]
	s_and_saveexec_b64 s[2:3], vcc
	s_cbranch_execz .LBB187_653
.LBB187_669:
	ds_read_b32 v14, v13 offset:384
	s_waitcnt lgkmcnt(0)
	v_add_f32_e32 v6, v6, v14
	s_or_b64 exec, exec, s[2:3]
	s_and_saveexec_b64 s[2:3], vcc
	s_cbranch_execz .LBB187_654
.LBB187_670:
	ds_read_b32 v14, v13 offset:448
	s_waitcnt lgkmcnt(0)
	v_add_f32_e32 v7, v7, v14
	s_or_b64 exec, exec, s[2:3]
	s_and_saveexec_b64 s[2:3], vcc
	s_cbranch_execz .LBB187_655
.LBB187_671:
	ds_read_b32 v14, v13 offset:512
	s_waitcnt lgkmcnt(0)
	v_add_f32_e32 v8, v8, v14
	s_or_b64 exec, exec, s[2:3]
	s_and_saveexec_b64 s[2:3], vcc
	s_cbranch_execz .LBB187_656
.LBB187_672:
	ds_read_b32 v14, v13 offset:576
	s_waitcnt lgkmcnt(0)
	v_add_f32_e32 v9, v9, v14
	s_or_b64 exec, exec, s[2:3]
	s_and_saveexec_b64 s[2:3], vcc
	s_cbranch_execz .LBB187_657
.LBB187_673:
	ds_read_b32 v14, v13 offset:640
	s_waitcnt lgkmcnt(0)
	v_add_f32_e32 v10, v10, v14
	s_or_b64 exec, exec, s[2:3]
	s_and_saveexec_b64 s[2:3], vcc
	s_cbranch_execnz .LBB187_658
	s_branch .LBB187_659
	.section	.rodata,"a",@progbits
	.p2align	6, 0x0
	.amdhsa_kernel _ZN4vllm25paged_attention_v1_kernelIfhLi192ELi16ELi128ELNS_18Fp8KVCacheDataTypeE1ELb1EEEvPT_PKS2_PKT0_S8_ifPKiSA_iPKfiiiSC_SC_iiiii
		.amdhsa_group_segment_fixed_size 784
		.amdhsa_private_segment_fixed_size 248
		.amdhsa_kernarg_size 384
		.amdhsa_user_sgpr_count 6
		.amdhsa_user_sgpr_private_segment_buffer 1
		.amdhsa_user_sgpr_dispatch_ptr 0
		.amdhsa_user_sgpr_queue_ptr 0
		.amdhsa_user_sgpr_kernarg_segment_ptr 1
		.amdhsa_user_sgpr_dispatch_id 0
		.amdhsa_user_sgpr_flat_scratch_init 0
		.amdhsa_user_sgpr_private_segment_size 0
		.amdhsa_uses_dynamic_stack 0
		.amdhsa_system_sgpr_private_segment_wavefront_offset 1
		.amdhsa_system_sgpr_workgroup_id_x 1
		.amdhsa_system_sgpr_workgroup_id_y 1
		.amdhsa_system_sgpr_workgroup_id_z 1
		.amdhsa_system_sgpr_workgroup_info 0
		.amdhsa_system_vgpr_workitem_id 0
		.amdhsa_next_free_vgpr 64
		.amdhsa_next_free_sgpr 60
		.amdhsa_reserve_vcc 1
		.amdhsa_reserve_flat_scratch 0
		.amdhsa_float_round_mode_32 0
		.amdhsa_float_round_mode_16_64 0
		.amdhsa_float_denorm_mode_32 3
		.amdhsa_float_denorm_mode_16_64 3
		.amdhsa_dx10_clamp 1
		.amdhsa_ieee_mode 1
		.amdhsa_fp16_overflow 0
		.amdhsa_exception_fp_ieee_invalid_op 0
		.amdhsa_exception_fp_denorm_src 0
		.amdhsa_exception_fp_ieee_div_zero 0
		.amdhsa_exception_fp_ieee_overflow 0
		.amdhsa_exception_fp_ieee_underflow 0
		.amdhsa_exception_fp_ieee_inexact 0
		.amdhsa_exception_int_div_zero 0
	.end_amdhsa_kernel
	.section	.text._ZN4vllm25paged_attention_v1_kernelIfhLi192ELi16ELi128ELNS_18Fp8KVCacheDataTypeE1ELb1EEEvPT_PKS2_PKT0_S8_ifPKiSA_iPKfiiiSC_SC_iiiii,"axG",@progbits,_ZN4vllm25paged_attention_v1_kernelIfhLi192ELi16ELi128ELNS_18Fp8KVCacheDataTypeE1ELb1EEEvPT_PKS2_PKT0_S8_ifPKiSA_iPKfiiiSC_SC_iiiii,comdat
.Lfunc_end187:
	.size	_ZN4vllm25paged_attention_v1_kernelIfhLi192ELi16ELi128ELNS_18Fp8KVCacheDataTypeE1ELb1EEEvPT_PKS2_PKT0_S8_ifPKiSA_iPKfiiiSC_SC_iiiii, .Lfunc_end187-_ZN4vllm25paged_attention_v1_kernelIfhLi192ELi16ELi128ELNS_18Fp8KVCacheDataTypeE1ELb1EEEvPT_PKS2_PKT0_S8_ifPKiSA_iPKfiiiSC_SC_iiiii
                                        ; -- End function
	.set _ZN4vllm25paged_attention_v1_kernelIfhLi192ELi16ELi128ELNS_18Fp8KVCacheDataTypeE1ELb1EEEvPT_PKS2_PKT0_S8_ifPKiSA_iPKfiiiSC_SC_iiiii.num_vgpr, 64
	.set _ZN4vllm25paged_attention_v1_kernelIfhLi192ELi16ELi128ELNS_18Fp8KVCacheDataTypeE1ELb1EEEvPT_PKS2_PKT0_S8_ifPKiSA_iPKfiiiSC_SC_iiiii.num_agpr, 0
	.set _ZN4vllm25paged_attention_v1_kernelIfhLi192ELi16ELi128ELNS_18Fp8KVCacheDataTypeE1ELb1EEEvPT_PKS2_PKT0_S8_ifPKiSA_iPKfiiiSC_SC_iiiii.numbered_sgpr, 60
	.set _ZN4vllm25paged_attention_v1_kernelIfhLi192ELi16ELi128ELNS_18Fp8KVCacheDataTypeE1ELb1EEEvPT_PKS2_PKT0_S8_ifPKiSA_iPKfiiiSC_SC_iiiii.num_named_barrier, 0
	.set _ZN4vllm25paged_attention_v1_kernelIfhLi192ELi16ELi128ELNS_18Fp8KVCacheDataTypeE1ELb1EEEvPT_PKS2_PKT0_S8_ifPKiSA_iPKfiiiSC_SC_iiiii.private_seg_size, 248
	.set _ZN4vllm25paged_attention_v1_kernelIfhLi192ELi16ELi128ELNS_18Fp8KVCacheDataTypeE1ELb1EEEvPT_PKS2_PKT0_S8_ifPKiSA_iPKfiiiSC_SC_iiiii.uses_vcc, 1
	.set _ZN4vllm25paged_attention_v1_kernelIfhLi192ELi16ELi128ELNS_18Fp8KVCacheDataTypeE1ELb1EEEvPT_PKS2_PKT0_S8_ifPKiSA_iPKfiiiSC_SC_iiiii.uses_flat_scratch, 0
	.set _ZN4vllm25paged_attention_v1_kernelIfhLi192ELi16ELi128ELNS_18Fp8KVCacheDataTypeE1ELb1EEEvPT_PKS2_PKT0_S8_ifPKiSA_iPKfiiiSC_SC_iiiii.has_dyn_sized_stack, 0
	.set _ZN4vllm25paged_attention_v1_kernelIfhLi192ELi16ELi128ELNS_18Fp8KVCacheDataTypeE1ELb1EEEvPT_PKS2_PKT0_S8_ifPKiSA_iPKfiiiSC_SC_iiiii.has_recursion, 0
	.set _ZN4vllm25paged_attention_v1_kernelIfhLi192ELi16ELi128ELNS_18Fp8KVCacheDataTypeE1ELb1EEEvPT_PKS2_PKT0_S8_ifPKiSA_iPKfiiiSC_SC_iiiii.has_indirect_call, 0
	.section	.AMDGPU.csdata,"",@progbits
; Kernel info:
; codeLenInByte = 28700
; TotalNumSgprs: 64
; NumVgprs: 64
; ScratchSize: 248
; MemoryBound: 0
; FloatMode: 240
; IeeeMode: 1
; LDSByteSize: 784 bytes/workgroup (compile time only)
; SGPRBlocks: 7
; VGPRBlocks: 15
; NumSGPRsForWavesPerEU: 64
; NumVGPRsForWavesPerEU: 64
; Occupancy: 4
; WaveLimiterHint : 1
; COMPUTE_PGM_RSRC2:SCRATCH_EN: 1
; COMPUTE_PGM_RSRC2:USER_SGPR: 6
; COMPUTE_PGM_RSRC2:TRAP_HANDLER: 0
; COMPUTE_PGM_RSRC2:TGID_X_EN: 1
; COMPUTE_PGM_RSRC2:TGID_Y_EN: 1
; COMPUTE_PGM_RSRC2:TGID_Z_EN: 1
; COMPUTE_PGM_RSRC2:TIDIG_COMP_CNT: 0
	.section	.text._ZN4vllm25paged_attention_v1_kernelIfhLi256ELi16ELi128ELNS_18Fp8KVCacheDataTypeE1ELb1EEEvPT_PKS2_PKT0_S8_ifPKiSA_iPKfiiiSC_SC_iiiii,"axG",@progbits,_ZN4vllm25paged_attention_v1_kernelIfhLi256ELi16ELi128ELNS_18Fp8KVCacheDataTypeE1ELb1EEEvPT_PKS2_PKT0_S8_ifPKiSA_iPKfiiiSC_SC_iiiii,comdat
	.protected	_ZN4vllm25paged_attention_v1_kernelIfhLi256ELi16ELi128ELNS_18Fp8KVCacheDataTypeE1ELb1EEEvPT_PKS2_PKT0_S8_ifPKiSA_iPKfiiiSC_SC_iiiii ; -- Begin function _ZN4vllm25paged_attention_v1_kernelIfhLi256ELi16ELi128ELNS_18Fp8KVCacheDataTypeE1ELb1EEEvPT_PKS2_PKT0_S8_ifPKiSA_iPKfiiiSC_SC_iiiii
	.globl	_ZN4vllm25paged_attention_v1_kernelIfhLi256ELi16ELi128ELNS_18Fp8KVCacheDataTypeE1ELb1EEEvPT_PKS2_PKT0_S8_ifPKiSA_iPKfiiiSC_SC_iiiii
	.p2align	8
	.type	_ZN4vllm25paged_attention_v1_kernelIfhLi256ELi16ELi128ELNS_18Fp8KVCacheDataTypeE1ELb1EEEvPT_PKS2_PKT0_S8_ifPKiSA_iPKfiiiSC_SC_iiiii,@function
_ZN4vllm25paged_attention_v1_kernelIfhLi256ELi16ELi128ELNS_18Fp8KVCacheDataTypeE1ELb1EEEvPT_PKS2_PKT0_S8_ifPKiSA_iPKfiiiSC_SC_iiiii: ; @_ZN4vllm25paged_attention_v1_kernelIfhLi256ELi16ELi128ELNS_18Fp8KVCacheDataTypeE1ELb1EEEvPT_PKS2_PKT0_S8_ifPKiSA_iPKfiiiSC_SC_iiiii
; %bb.0:
	s_mov_b64 s[58:59], s[2:3]
	s_mov_b64 s[56:57], s[0:1]
	s_add_u32 s56, s56, s9
	s_addc_u32 s57, s57, 0
	buffer_store_dword v0, off, s[56:59], 0 offset:316 ; 4-byte Folded Spill
	s_load_dword s9, s[4:5], 0x80
	s_load_dwordx2 s[0:1], s[4:5], 0x30
	s_load_dwordx2 s[36:37], s[4:5], 0x20
	s_mov_b32 s10, s7
	s_ashr_i32 s11, s7, 31
	s_lshl_b64 s[2:3], s[10:11], 2
	s_waitcnt lgkmcnt(0)
	s_add_u32 s0, s0, s2
	s_addc_u32 s1, s1, s3
	s_abs_i32 s2, s36
	v_cvt_f32_u32_e32 v0, s2
	s_sub_i32 s11, 0, s2
	s_abs_i32 s7, s9
	s_xor_b32 s3, s9, s36
	v_rcp_iflag_f32_e32 v0, v0
	s_ashr_i32 s3, s3, 31
	s_mov_b32 s48, 0
	v_mul_f32_e32 v0, 0x4f7ffffe, v0
	v_cvt_u32_f32_e32 v0, v0
	v_readfirstlane_b32 s12, v0
	s_mul_i32 s11, s11, s12
	s_mul_hi_u32 s11, s12, s11
	s_add_i32 s12, s12, s11
	s_mul_hi_u32 s11, s7, s12
	s_mul_i32 s12, s11, s2
	s_sub_i32 s7, s7, s12
	s_add_i32 s12, s11, 1
	s_sub_i32 s13, s7, s2
	s_cmp_ge_u32 s7, s2
	s_cselect_b32 s11, s12, s11
	s_cselect_b32 s7, s13, s7
	s_add_i32 s12, s11, 1
	s_cmp_ge_u32 s7, s2
	s_cselect_b32 s2, s12, s11
	s_xor_b32 s2, s2, s3
	s_sub_i32 s11, s2, s3
	s_abs_i32 s12, s11
	v_cvt_f32_u32_e32 v0, s12
	s_load_dwordx2 s[2:3], s[4:5], 0x40
	s_sub_i32 s7, 0, s12
	s_abs_i32 s13, s6
	v_rcp_iflag_f32_e32 v0, v0
	v_mul_f32_e32 v0, 0x4f7ffffe, v0
	v_cvt_u32_f32_e32 v0, v0
	v_readfirstlane_b32 s14, v0
	s_mul_i32 s7, s7, s14
	s_mul_hi_u32 s7, s14, s7
	s_add_i32 s14, s14, s7
	s_waitcnt lgkmcnt(0)
	s_cmp_eq_u64 s[2:3], 0
	s_mul_hi_u32 s14, s13, s14
	s_cbranch_scc1 .LBB188_2
; %bb.1:
	s_ashr_i32 s7, s6, 31
	s_lshl_b64 s[16:17], s[6:7], 2
	s_add_u32 s2, s2, s16
	s_addc_u32 s3, s3, s17
	s_load_dword s48, s[2:3], 0x0
.LBB188_2:
	s_load_dword s33, s[0:1], 0x0
	s_ashr_i32 s15, s11, 31
	s_load_dword s11, s[4:5], 0x88
	s_load_dwordx4 s[16:19], s[4:5], 0x48
	buffer_load_dword v0, off, s[56:59], 0 offset:316 ; 4-byte Folded Reload
	s_movk_i32 s0, 0x100
	s_ashr_i32 s7, s6, 31
	s_lshl_b32 s24, s6, 8
	s_waitcnt vmcnt(0)
	v_lshrrev_b32_e32 v3, 2, v0
	v_and_b32_e32 v4, 3, v0
	v_cmp_gt_u32_e32 vcc, s0, v0
	v_lshlrev_b32_e32 v14, 2, v0
	v_lshlrev_b32_e32 v0, 2, v3
	buffer_store_dword v0, off, s[56:59], 0 offset:340 ; 4-byte Folded Spill
	s_and_saveexec_b64 s[0:1], vcc
	s_cbranch_execz .LBB188_5
; %bb.3:
	s_load_dwordx2 s[2:3], s[4:5], 0x8
	s_waitcnt lgkmcnt(0)
	s_mul_i32 s20, s16, s10
	s_ashr_i32 s21, s20, 31
	s_lshl_b64 s[20:21], s[20:21], 2
	v_lshlrev_b32_e32 v0, 2, v3
	s_add_u32 s16, s2, s20
	s_addc_u32 s19, s3, s21
	s_ashr_i32 s25, s24, 31
	s_lshl_b64 s[2:3], s[24:25], 2
	s_add_u32 s2, s16, s2
	s_addc_u32 s3, s19, s3
	global_load_dword v1, v14, s[2:3]
	v_lshl_add_u32 v0, v4, 8, v0
	s_movk_i32 s16, 0x80
	s_waitcnt vmcnt(0)
	ds_write_b32 v0, v1
	buffer_load_dword v1, off, s[56:59], 0 offset:316 ; 4-byte Folded Reload
	s_waitcnt vmcnt(0)
	v_cmp_gt_u32_e32 vcc, s16, v1
	s_and_b64 exec, exec, vcc
	s_cbranch_execz .LBB188_5
; %bb.4:
	v_lshlrev_b32_e32 v1, 4, v3
	v_lshlrev_b32_e32 v2, 2, v4
	s_movk_i32 s16, 0x200
	v_or3_b32 v1, v1, v2, s16
	global_load_dword v1, v1, s[2:3]
	s_waitcnt vmcnt(0)
	ds_write_b32 v0, v1 offset:128
.LBB188_5:
	s_or_b64 exec, exec, s[0:1]
	s_mul_i32 s1, s14, s12
	s_sub_i32 s1, s13, s1
	s_xor_b32 s0, s7, s15
	s_add_i32 s2, s14, 1
	s_sub_i32 s7, s1, s12
	s_load_dwordx4 s[20:23], s[4:5], 0x68
	s_load_dword s3, s[4:5], 0x78
	s_cmp_ge_u32 s1, s12
	s_cselect_b32 s2, s2, s14
	s_cselect_b32 s1, s7, s1
	s_add_i32 s7, s2, 1
	s_cmp_ge_u32 s1, s12
	s_cselect_b32 s1, s7, s2
	s_waitcnt lgkmcnt(0)
	s_abs_i32 s25, s23
	v_cvt_f32_u32_e32 v0, s25
	s_xor_b32 s1, s1, s0
	s_sub_i32 s2, s1, s0
	s_sub_i32 s0, 0, s25
	v_rcp_iflag_f32_e32 v0, v0
	s_add_i32 s12, s33, -1
	s_abs_i32 s7, s12
	v_mul_f32_e32 v0, 0x4f7ffffe, v0
	v_cvt_u32_f32_e32 v0, v0
	s_waitcnt vmcnt(0)
	s_barrier
	v_readfirstlane_b32 s46, v0
	s_mul_i32 s0, s0, s46
	s_mul_hi_u32 s0, s46, s0
	s_add_i32 s46, s46, s0
	s_cmp_lt_i32 s3, 0
	s_mul_hi_u32 s16, s7, s46
	s_cbranch_scc0 .LBB188_7
; %bb.6:
	s_mul_i32 s0, s20, s36
	s_add_i32 s0, s2, s0
	s_mul_i32 s0, s0, s3
	s_sub_i32 s36, 1, s0
	s_mov_b64 s[0:1], 0
	s_branch .LBB188_8
.LBB188_7:
	s_mov_b64 s[0:1], -1
                                        ; implicit-def: $sgpr36
.LBB188_8:
	s_load_dwordx2 s[28:29], s[4:5], 0x28
	s_ashr_i32 s19, s12, 31
	s_andn2_b64 vcc, exec, s[0:1]
	s_ashr_i32 s23, s23, 31
	buffer_store_dword v3, off, s[56:59], 0 offset:332 ; 4-byte Folded Spill
	s_cbranch_vccnz .LBB188_10
; %bb.9:
	s_mul_i32 s0, s9, s20
	s_add_i32 s0, s0, s6
	s_mul_i32 s0, s0, s3
	s_add_i32 s36, s0, 1
.LBB188_10:
	s_load_dword s0, s[4:5], 0x38
	s_load_dwordx2 s[26:27], s[4:5], 0x0
	s_load_dwordx2 s[34:35], s[4:5], 0x18
	s_load_dwordx4 s[12:15], s[4:5], 0x58
	buffer_load_dword v1, off, s[56:59], 0 offset:316 ; 4-byte Folded Reload
	s_waitcnt lgkmcnt(0)
	s_mul_i32 s30, s0, s10
	s_mul_i32 s0, s16, s25
	s_sub_i32 s0, s7, s0
	s_xor_b32 s1, s19, s23
	s_ashr_i32 s31, s30, 31
	s_add_i32 s3, s16, 1
	s_sub_i32 s6, s0, s25
	s_cmp_ge_u32 s0, s25
	s_cselect_b32 s3, s3, s16
	s_cselect_b32 s0, s6, s0
	s_add_i32 s6, s3, 1
	s_cmp_ge_u32 s0, s25
	s_cselect_b32 s0, s6, s3
	s_xor_b32 s0, s0, s1
	s_sub_i32 s16, s0, s1
	s_add_i32 s0, s33, 15
	s_ashr_i32 s1, s0, 31
	s_lshr_b32 s1, s1, 28
	s_add_i32 s0, s0, s1
	s_ashr_i32 s47, s0, 4
	v_mov_b32_e32 v62, 0xff7fffff
	s_mul_i32 s20, s2, s18
	v_mbcnt_lo_u32_b32 v6, -1, 0
	s_waitcnt vmcnt(0)
	v_lshrrev_b32_e32 v51, 6, v1
	v_cmp_gt_i32_e64 s[0:1], s47, v51
	v_lshrrev_b32_e32 v15, 4, v1
	v_lshlrev_b32_e32 v61, 4, v51
	s_mov_b64 s[18:19], exec
	s_and_b64 s[2:3], s[18:19], s[0:1]
	buffer_store_dword v4, off, s[56:59], 0 offset:336 ; 4-byte Folded Spill
	s_mov_b64 exec, s[2:3]
	s_cbranch_execz .LBB188_406
; %bb.11:
	buffer_store_dword v61, off, s[56:59], 0 offset:300 ; 4-byte Folded Spill
	buffer_store_dword v14, off, s[56:59], 0 offset:296 ; 4-byte Folded Spill
	buffer_load_dword v2, off, s[56:59], 0 offset:316 ; 4-byte Folded Reload
	s_load_dwordx2 s[2:3], s[4:5], 0x10
	s_sub_i32 s49, s16, s21
	s_ashr_i32 s4, s20, 31
	v_cmp_eq_u32_e32 vcc, 0, v4
	v_lshlrev_b32_e32 v63, 8, v4
	s_waitcnt lgkmcnt(0)
	s_add_u32 s5, s2, s20
	s_addc_u32 s4, s3, s4
	s_abs_i32 s50, s22
	v_cvt_f32_u32_e32 v1, s50
	v_mov_b32_e32 v3, s4
	s_sub_i32 s4, 0, s50
	v_mov_b32_e32 v5, v4
	v_rcp_iflag_f32_e32 v1, v1
	v_mov_b32_e32 v61, v51
	s_mov_b32 s51, s17
	v_cmp_neq_f32_e64 s[2:3], s48, 0
	v_mul_f32_e32 v1, 0x4f7ffffe, v1
	v_cvt_u32_f32_e32 v1, v1
	v_lshlrev_b32_e32 v58, 4, v61
	s_mov_b64 s[38:39], 0
	s_movk_i32 s52, 0x80
	v_mul_lo_u32 v4, s4, v1
	s_movk_i32 s53, 0x7f
	v_mul_hi_u32 v4, v1, v4
	v_add_u32_e32 v0, v1, v4
	v_and_b32_e32 v1, 60, v15
	s_waitcnt vmcnt(0)
	v_bfe_u32 v7, v2, 2, 4
	v_lshlrev_b32_e32 v2, 4, v7
	v_add_co_u32_e64 v2, s[4:5], s5, v2
	v_addc_co_u32_e64 v3, s[4:5], 0, v3, s[4:5]
	v_add_co_u32_e64 v2, s[4:5], v2, v5
	v_addc_co_u32_e64 v3, s[4:5], 0, v3, s[4:5]
	s_lshl_b64 s[4:5], s[30:31], 2
	s_add_u32 s4, s28, s4
	buffer_store_dword v2, off, s[56:59], 0 offset:276 ; 4-byte Folded Spill
	s_nop 0
	buffer_store_dword v3, off, s[56:59], 0 offset:280 ; 4-byte Folded Spill
	s_addc_u32 s5, s29, s5
	v_mov_b32_e32 v2, s5
	v_add_co_u32_e64 v51, s[4:5], s4, v1
	v_subrev_u32_e32 v1, s33, v7
	buffer_store_dword v0, off, s[56:59], 0 offset:84 ; 4-byte Folded Spill
	buffer_store_dword v15, off, s[56:59], 0 offset:304 ; 4-byte Folded Spill
	v_add_u32_e32 v0, 1, v1
	v_lshlrev_b32_e32 v1, 2, v7
	buffer_store_dword v0, off, s[56:59], 0 offset:288 ; 4-byte Folded Spill
	buffer_store_dword v7, off, s[56:59], 0 offset:292 ; 4-byte Folded Spill
	v_lshl_or_b32 v1, v61, 6, v1
	v_mbcnt_hi_u32_b32 v0, -1, v6
	v_addc_co_u32_e64 v52, s[4:5], 0, v2, s[4:5]
	v_add_u32_e32 v49, 0x410, v1
	buffer_store_dword v0, off, s[56:59], 0 offset:284 ; 4-byte Folded Spill
	v_mov_b32_e32 v0, 0xff7fffff
	buffer_store_dword v0, off, s[56:59], 0 offset:272 ; 4-byte Folded Spill
	buffer_store_dword v61, off, s[56:59], 0 offset:308 ; 4-byte Folded Spill
	s_branch .LBB188_14
.LBB188_12:                             ;   in Loop: Header=BB188_14 Depth=1
	s_or_b64 exec, exec, s[40:41]
.LBB188_13:                             ;   in Loop: Header=BB188_14 Depth=1
	s_or_b64 exec, exec, s[6:7]
	v_add_co_u32_e64 v51, s[4:5], 8, v51
	v_add_u32_e32 v61, 2, v61
	v_addc_co_u32_e64 v52, s[4:5], 0, v52, s[4:5]
	v_cmp_le_i32_e64 s[4:5], s47, v61
	v_add_u32_e32 v58, 32, v58
	s_or_b64 s[38:39], s[4:5], s[38:39]
	v_add_u32_e32 v49, 0x80, v49
	s_andn2_b64 exec, exec, s[38:39]
	s_cbranch_execz .LBB188_405
.LBB188_14:                             ; =>This Inner Loop Header: Depth=1
	buffer_load_dword v4, off, s[56:59], 0 offset:84 ; 4-byte Folded Reload
	v_mul_hi_u32 v1, v58, s46
	s_waitcnt lgkmcnt(0)
	v_mul_lo_u32 v2, v1, s25
	v_add_u32_e32 v3, 1, v1
	v_sub_u32_e32 v2, v58, v2
	v_cmp_le_u32_e64 s[4:5], s25, v2
	v_cndmask_b32_e64 v1, v1, v3, s[4:5]
	v_subrev_u32_e32 v3, s25, v2
	v_cndmask_b32_e64 v2, v2, v3, s[4:5]
	v_add_u32_e32 v3, 1, v1
	v_cmp_le_u32_e64 s[4:5], s25, v2
	v_cndmask_b32_e64 v1, v1, v3, s[4:5]
	v_xor_b32_e32 v1, s23, v1
	v_subrev_u32_e32 v1, s23, v1
	v_add_u32_e32 v2, s36, v1
	v_sub_u32_e32 v3, 0, v2
	v_max_i32_e32 v3, v2, v3
	v_ashrrev_i32_e32 v2, 31, v2
	v_cmp_ge_i32_e64 s[6:7], s49, v1
	s_waitcnt vmcnt(0)
	v_mul_hi_u32 v4, v3, v4
	v_mul_lo_u32 v4, v4, s50
	v_sub_u32_e32 v3, v3, v4
	v_subrev_u32_e32 v4, s50, v3
	v_cmp_le_u32_e64 s[4:5], s50, v3
	v_cndmask_b32_e64 v3, v3, v4, s[4:5]
	v_subrev_u32_e32 v4, s50, v3
	v_cmp_le_u32_e64 s[4:5], s50, v3
	v_cndmask_b32_e64 v3, v3, v4, s[4:5]
	v_xor_b32_e32 v3, v3, v2
	v_sub_u32_e32 v2, v3, v2
	v_cmp_ne_u32_e64 s[4:5], 0, v2
	s_and_b64 s[4:5], s[4:5], s[6:7]
	s_and_saveexec_b64 s[6:7], s[4:5]
	s_xor_b64 s[4:5], exec, s[6:7]
	s_cbranch_execz .LBB188_18
; %bb.15:                               ;   in Loop: Header=BB188_14 Depth=1
	s_and_saveexec_b64 s[6:7], vcc
; %bb.16:                               ;   in Loop: Header=BB188_14 Depth=1
	v_mov_b32_e32 v1, 0xff7fffff
	ds_write_b32 v49, v1
; %bb.17:                               ;   in Loop: Header=BB188_14 Depth=1
	s_or_b64 exec, exec, s[6:7]
.LBB188_18:                             ;   in Loop: Header=BB188_14 Depth=1
	s_andn2_saveexec_b64 s[6:7], s[4:5]
	s_cbranch_execz .LBB188_13
; %bb.19:                               ;   in Loop: Header=BB188_14 Depth=1
	global_load_dword v1, v[51:52], off
	buffer_load_dword v2, off, s[56:59], 0 offset:276 ; 4-byte Folded Reload
	buffer_load_dword v3, off, s[56:59], 0 offset:280 ; 4-byte Folded Reload
	v_mov_b32_e32 v62, 0
	v_mov_b32_e32 v0, 0
	s_waitcnt vmcnt(0)
	v_mad_i64_i32 v[55:56], s[4:5], v1, s51, v[2:3]
	ds_read_b128 v[2:5], v63
	global_load_ubyte v1, v[55:56], off
	s_waitcnt lgkmcnt(0)
	buffer_store_dword v2, off, s[56:59], 0 offset:208 ; 4-byte Folded Spill
	s_nop 0
	buffer_store_dword v3, off, s[56:59], 0 offset:212 ; 4-byte Folded Spill
	buffer_store_dword v4, off, s[56:59], 0 offset:216 ; 4-byte Folded Spill
	buffer_store_dword v5, off, s[56:59], 0 offset:220 ; 4-byte Folded Spill
	ds_read_b128 v[2:5], v63 offset:16
	s_waitcnt lgkmcnt(0)
	buffer_store_dword v2, off, s[56:59], 0 offset:192 ; 4-byte Folded Spill
	s_nop 0
	buffer_store_dword v3, off, s[56:59], 0 offset:196 ; 4-byte Folded Spill
	buffer_store_dword v4, off, s[56:59], 0 offset:200 ; 4-byte Folded Spill
	buffer_store_dword v5, off, s[56:59], 0 offset:204 ; 4-byte Folded Spill
	ds_read_b128 v[2:5], v63 offset:32
	;; [unrolled: 7-line block ×3, first 2 shown]
	ds_read_b64 v[2:3], v63 offset:192
	s_waitcnt lgkmcnt(0)
	buffer_store_dword v2, off, s[56:59], 0 offset:88 ; 4-byte Folded Spill
	s_nop 0
	buffer_store_dword v3, off, s[56:59], 0 offset:92 ; 4-byte Folded Spill
	ds_read_b128 v[2:5], v63 offset:64
	s_load_dword s54, s[12:13], 0x0
	s_waitcnt lgkmcnt(0)
	buffer_store_dword v2, off, s[56:59], 0 offset:256 ; 4-byte Folded Spill
	s_nop 0
	buffer_store_dword v3, off, s[56:59], 0 offset:260 ; 4-byte Folded Spill
	buffer_store_dword v4, off, s[56:59], 0 offset:264 ; 4-byte Folded Spill
	buffer_store_dword v5, off, s[56:59], 0 offset:268 ; 4-byte Folded Spill
	ds_read_b128 v[2:5], v63 offset:80
	s_waitcnt lgkmcnt(0)
	buffer_store_dword v2, off, s[56:59], 0 offset:240 ; 4-byte Folded Spill
	s_nop 0
	buffer_store_dword v3, off, s[56:59], 0 offset:244 ; 4-byte Folded Spill
	buffer_store_dword v4, off, s[56:59], 0 offset:248 ; 4-byte Folded Spill
	buffer_store_dword v5, off, s[56:59], 0 offset:252 ; 4-byte Folded Spill
	ds_read_b128 v[2:5], v63 offset:96
	;; [unrolled: 7-line block ×7, first 2 shown]
	s_waitcnt lgkmcnt(0)
	buffer_store_dword v2, off, s[56:59], 0 offset:96 ; 4-byte Folded Spill
	s_nop 0
	buffer_store_dword v3, off, s[56:59], 0 offset:100 ; 4-byte Folded Spill
	buffer_store_dword v4, off, s[56:59], 0 offset:104 ; 4-byte Folded Spill
	;; [unrolled: 1-line block ×3, first 2 shown]
	s_waitcnt vmcnt(46)
	v_cmp_ne_u16_e64 s[4:5], 0, v1
	s_and_saveexec_b64 s[40:41], s[4:5]
	s_cbranch_execz .LBB188_25
; %bb.20:                               ;   in Loop: Header=BB188_14 Depth=1
	v_cmp_ne_u16_e64 s[4:5], s52, v1
	v_bfrev_b32_e32 v0, 1
	s_and_saveexec_b64 s[42:43], s[4:5]
	s_cbranch_execz .LBB188_24
; %bb.21:                               ;   in Loop: Header=BB188_14 Depth=1
	v_and_b32_e32 v57, 0xffff, v1
	v_and_b32_e32 v2, 0x7f, v57
	v_cmp_ne_u32_e64 s[4:5], s53, v2
	v_mov_b32_e32 v0, 0x7f800001
	s_and_saveexec_b64 s[44:45], s[4:5]
	s_cbranch_execz .LBB188_23
; %bb.22:                               ;   in Loop: Header=BB188_14 Depth=1
	v_and_b32_e32 v4, 7, v57
	v_lshrrev_b32_e32 v5, 3, v2
	v_cmp_gt_u32_e64 s[4:5], 8, v2
	v_ffbh_u32_e32 v2, v4
	v_min_u32_e32 v6, 32, v2
	v_subrev_u32_e32 v2, 28, v6
	v_lshlrev_b64 v[2:3], v2, v[57:58]
	v_sub_u32_e32 v3, 29, v6
	v_and_b32_e32 v2, 7, v2
	v_cndmask_b32_e64 v3, v5, v3, s[4:5]
	v_cndmask_b32_e64 v2, v4, v2, s[4:5]
	v_lshlrev_b32_e32 v1, 24, v1
	v_bfrev_b32_e32 v4, 60
	v_lshlrev_b32_e32 v2, 20, v2
	v_and_b32_e32 v1, 0x80000000, v1
	v_lshl_add_u32 v3, v3, 23, v4
	v_or3_b32 v0, v1, v3, v2
.LBB188_23:                             ;   in Loop: Header=BB188_14 Depth=1
	s_or_b64 exec, exec, s[44:45]
.LBB188_24:                             ;   in Loop: Header=BB188_14 Depth=1
	s_or_b64 exec, exec, s[42:43]
.LBB188_25:                             ;   in Loop: Header=BB188_14 Depth=1
	s_or_b64 exec, exec, s[40:41]
	global_load_ubyte v1, v[55:56], off offset:4
	s_waitcnt vmcnt(0)
	v_cmp_ne_u16_e64 s[4:5], 0, v1
	s_and_saveexec_b64 s[40:41], s[4:5]
	s_cbranch_execz .LBB188_31
; %bb.26:                               ;   in Loop: Header=BB188_14 Depth=1
	v_cmp_ne_u16_e64 s[4:5], s52, v1
	v_bfrev_b32_e32 v62, 1
	s_and_saveexec_b64 s[42:43], s[4:5]
	s_cbranch_execz .LBB188_30
; %bb.27:                               ;   in Loop: Header=BB188_14 Depth=1
	v_and_b32_e32 v57, 0xffff, v1
	v_and_b32_e32 v2, 0x7f, v57
	v_cmp_ne_u32_e64 s[4:5], s53, v2
	v_mov_b32_e32 v62, 0x7f800001
	s_and_saveexec_b64 s[44:45], s[4:5]
	s_cbranch_execz .LBB188_29
; %bb.28:                               ;   in Loop: Header=BB188_14 Depth=1
	v_and_b32_e32 v4, 7, v57
	v_lshrrev_b32_e32 v5, 3, v2
	v_cmp_gt_u32_e64 s[4:5], 8, v2
	v_ffbh_u32_e32 v2, v4
	v_min_u32_e32 v6, 32, v2
	v_subrev_u32_e32 v2, 28, v6
	v_lshlrev_b64 v[2:3], v2, v[57:58]
	v_sub_u32_e32 v3, 29, v6
	v_and_b32_e32 v2, 7, v2
	v_cndmask_b32_e64 v3, v5, v3, s[4:5]
	v_cndmask_b32_e64 v2, v4, v2, s[4:5]
	v_lshlrev_b32_e32 v1, 24, v1
	v_bfrev_b32_e32 v4, 60
	v_lshlrev_b32_e32 v2, 20, v2
	v_and_b32_e32 v1, 0x80000000, v1
	v_lshl_add_u32 v3, v3, 23, v4
	v_or3_b32 v62, v1, v3, v2
.LBB188_29:                             ;   in Loop: Header=BB188_14 Depth=1
	s_or_b64 exec, exec, s[44:45]
.LBB188_30:                             ;   in Loop: Header=BB188_14 Depth=1
	s_or_b64 exec, exec, s[42:43]
.LBB188_31:                             ;   in Loop: Header=BB188_14 Depth=1
	s_or_b64 exec, exec, s[40:41]
	global_load_ubyte v1, v[55:56], off offset:8
	v_mov_b32_e32 v60, 0
	v_mov_b32_e32 v53, 0
	s_waitcnt vmcnt(0)
	v_cmp_ne_u16_e64 s[4:5], 0, v1
	s_and_saveexec_b64 s[40:41], s[4:5]
	s_cbranch_execz .LBB188_37
; %bb.32:                               ;   in Loop: Header=BB188_14 Depth=1
	v_cmp_ne_u16_e64 s[4:5], s52, v1
	v_bfrev_b32_e32 v53, 1
	s_and_saveexec_b64 s[42:43], s[4:5]
	s_cbranch_execz .LBB188_36
; %bb.33:                               ;   in Loop: Header=BB188_14 Depth=1
	v_and_b32_e32 v57, 0xffff, v1
	v_and_b32_e32 v2, 0x7f, v57
	v_cmp_ne_u32_e64 s[4:5], s53, v2
	v_mov_b32_e32 v53, 0x7f800001
	s_and_saveexec_b64 s[44:45], s[4:5]
	s_cbranch_execz .LBB188_35
; %bb.34:                               ;   in Loop: Header=BB188_14 Depth=1
	v_and_b32_e32 v4, 7, v57
	v_lshrrev_b32_e32 v5, 3, v2
	v_cmp_gt_u32_e64 s[4:5], 8, v2
	v_ffbh_u32_e32 v2, v4
	v_min_u32_e32 v6, 32, v2
	v_subrev_u32_e32 v2, 28, v6
	v_lshlrev_b64 v[2:3], v2, v[57:58]
	v_sub_u32_e32 v3, 29, v6
	v_and_b32_e32 v2, 7, v2
	v_cndmask_b32_e64 v3, v5, v3, s[4:5]
	v_cndmask_b32_e64 v2, v4, v2, s[4:5]
	v_lshlrev_b32_e32 v1, 24, v1
	v_bfrev_b32_e32 v4, 60
	v_lshlrev_b32_e32 v2, 20, v2
	v_and_b32_e32 v1, 0x80000000, v1
	v_lshl_add_u32 v3, v3, 23, v4
	v_or3_b32 v53, v1, v3, v2
.LBB188_35:                             ;   in Loop: Header=BB188_14 Depth=1
	s_or_b64 exec, exec, s[44:45]
.LBB188_36:                             ;   in Loop: Header=BB188_14 Depth=1
	s_or_b64 exec, exec, s[42:43]
.LBB188_37:                             ;   in Loop: Header=BB188_14 Depth=1
	s_or_b64 exec, exec, s[40:41]
	global_load_ubyte v1, v[55:56], off offset:12
	s_waitcnt vmcnt(0)
	v_cmp_ne_u16_e64 s[4:5], 0, v1
	s_and_saveexec_b64 s[40:41], s[4:5]
	s_cbranch_execz .LBB188_43
; %bb.38:                               ;   in Loop: Header=BB188_14 Depth=1
	v_cmp_ne_u16_e64 s[4:5], s52, v1
	v_bfrev_b32_e32 v60, 1
	s_and_saveexec_b64 s[42:43], s[4:5]
	s_cbranch_execz .LBB188_42
; %bb.39:                               ;   in Loop: Header=BB188_14 Depth=1
	v_and_b32_e32 v57, 0xffff, v1
	v_and_b32_e32 v2, 0x7f, v57
	v_cmp_ne_u32_e64 s[4:5], s53, v2
	v_mov_b32_e32 v60, 0x7f800001
	s_and_saveexec_b64 s[44:45], s[4:5]
	s_cbranch_execz .LBB188_41
; %bb.40:                               ;   in Loop: Header=BB188_14 Depth=1
	v_and_b32_e32 v4, 7, v57
	v_lshrrev_b32_e32 v5, 3, v2
	v_cmp_gt_u32_e64 s[4:5], 8, v2
	v_ffbh_u32_e32 v2, v4
	v_min_u32_e32 v6, 32, v2
	v_subrev_u32_e32 v2, 28, v6
	v_lshlrev_b64 v[2:3], v2, v[57:58]
	v_sub_u32_e32 v3, 29, v6
	v_and_b32_e32 v2, 7, v2
	v_cndmask_b32_e64 v3, v5, v3, s[4:5]
	v_cndmask_b32_e64 v2, v4, v2, s[4:5]
	v_lshlrev_b32_e32 v1, 24, v1
	v_bfrev_b32_e32 v4, 60
	v_lshlrev_b32_e32 v2, 20, v2
	v_and_b32_e32 v1, 0x80000000, v1
	v_lshl_add_u32 v3, v3, 23, v4
	v_or3_b32 v60, v1, v3, v2
.LBB188_41:                             ;   in Loop: Header=BB188_14 Depth=1
	s_or_b64 exec, exec, s[44:45]
.LBB188_42:                             ;   in Loop: Header=BB188_14 Depth=1
	s_or_b64 exec, exec, s[42:43]
.LBB188_43:                             ;   in Loop: Header=BB188_14 Depth=1
	s_or_b64 exec, exec, s[40:41]
	global_load_ubyte v1, v[55:56], off offset:256
	v_mov_b32_e32 v54, 0
	v_mov_b32_e32 v59, 0
	s_waitcnt vmcnt(0)
	v_cmp_ne_u16_e64 s[4:5], 0, v1
	s_and_saveexec_b64 s[40:41], s[4:5]
	s_cbranch_execz .LBB188_49
; %bb.44:                               ;   in Loop: Header=BB188_14 Depth=1
	v_cmp_ne_u16_e64 s[4:5], s52, v1
	v_bfrev_b32_e32 v59, 1
	s_and_saveexec_b64 s[42:43], s[4:5]
	s_cbranch_execz .LBB188_48
; %bb.45:                               ;   in Loop: Header=BB188_14 Depth=1
	v_and_b32_e32 v57, 0xffff, v1
	v_and_b32_e32 v2, 0x7f, v57
	v_cmp_ne_u32_e64 s[4:5], s53, v2
	v_mov_b32_e32 v59, 0x7f800001
	s_and_saveexec_b64 s[44:45], s[4:5]
	s_cbranch_execz .LBB188_47
; %bb.46:                               ;   in Loop: Header=BB188_14 Depth=1
	v_and_b32_e32 v4, 7, v57
	v_lshrrev_b32_e32 v5, 3, v2
	v_cmp_gt_u32_e64 s[4:5], 8, v2
	v_ffbh_u32_e32 v2, v4
	v_min_u32_e32 v6, 32, v2
	v_subrev_u32_e32 v2, 28, v6
	v_lshlrev_b64 v[2:3], v2, v[57:58]
	v_sub_u32_e32 v3, 29, v6
	v_and_b32_e32 v2, 7, v2
	v_cndmask_b32_e64 v3, v5, v3, s[4:5]
	v_cndmask_b32_e64 v2, v4, v2, s[4:5]
	v_lshlrev_b32_e32 v1, 24, v1
	v_bfrev_b32_e32 v4, 60
	v_lshlrev_b32_e32 v2, 20, v2
	v_and_b32_e32 v1, 0x80000000, v1
	v_lshl_add_u32 v3, v3, 23, v4
	v_or3_b32 v59, v1, v3, v2
.LBB188_47:                             ;   in Loop: Header=BB188_14 Depth=1
	s_or_b64 exec, exec, s[44:45]
.LBB188_48:                             ;   in Loop: Header=BB188_14 Depth=1
	s_or_b64 exec, exec, s[42:43]
.LBB188_49:                             ;   in Loop: Header=BB188_14 Depth=1
	s_or_b64 exec, exec, s[40:41]
	global_load_ubyte v1, v[55:56], off offset:260
	s_waitcnt vmcnt(0)
	v_cmp_ne_u16_e64 s[4:5], 0, v1
	s_and_saveexec_b64 s[40:41], s[4:5]
	s_cbranch_execz .LBB188_55
; %bb.50:                               ;   in Loop: Header=BB188_14 Depth=1
	v_cmp_ne_u16_e64 s[4:5], s52, v1
	v_bfrev_b32_e32 v54, 1
	s_and_saveexec_b64 s[42:43], s[4:5]
	s_cbranch_execz .LBB188_54
; %bb.51:                               ;   in Loop: Header=BB188_14 Depth=1
	v_and_b32_e32 v57, 0xffff, v1
	v_and_b32_e32 v2, 0x7f, v57
	v_cmp_ne_u32_e64 s[4:5], s53, v2
	v_mov_b32_e32 v54, 0x7f800001
	s_and_saveexec_b64 s[44:45], s[4:5]
	s_cbranch_execz .LBB188_53
; %bb.52:                               ;   in Loop: Header=BB188_14 Depth=1
	v_and_b32_e32 v4, 7, v57
	v_lshrrev_b32_e32 v5, 3, v2
	v_cmp_gt_u32_e64 s[4:5], 8, v2
	v_ffbh_u32_e32 v2, v4
	v_min_u32_e32 v6, 32, v2
	v_subrev_u32_e32 v2, 28, v6
	v_lshlrev_b64 v[2:3], v2, v[57:58]
	v_sub_u32_e32 v3, 29, v6
	v_and_b32_e32 v2, 7, v2
	v_cndmask_b32_e64 v3, v5, v3, s[4:5]
	v_cndmask_b32_e64 v2, v4, v2, s[4:5]
	v_lshlrev_b32_e32 v1, 24, v1
	v_bfrev_b32_e32 v4, 60
	v_lshlrev_b32_e32 v2, 20, v2
	v_and_b32_e32 v1, 0x80000000, v1
	v_lshl_add_u32 v3, v3, 23, v4
	v_or3_b32 v54, v1, v3, v2
.LBB188_53:                             ;   in Loop: Header=BB188_14 Depth=1
	s_or_b64 exec, exec, s[44:45]
.LBB188_54:                             ;   in Loop: Header=BB188_14 Depth=1
	s_or_b64 exec, exec, s[42:43]
.LBB188_55:                             ;   in Loop: Header=BB188_14 Depth=1
	s_or_b64 exec, exec, s[40:41]
	global_load_ubyte v1, v[55:56], off offset:264
	v_mov_b32_e32 v2, 0
	v_mov_b32_e32 v48, 0
	buffer_store_dword v2, off, s[56:59], 0 offset:80 ; 4-byte Folded Spill
	s_waitcnt vmcnt(1)
	v_cmp_ne_u16_e64 s[4:5], 0, v1
	s_and_saveexec_b64 s[40:41], s[4:5]
	s_cbranch_execz .LBB188_61
; %bb.56:                               ;   in Loop: Header=BB188_14 Depth=1
	v_cmp_ne_u16_e64 s[4:5], s52, v1
	v_bfrev_b32_e32 v48, 1
	s_and_saveexec_b64 s[42:43], s[4:5]
	s_cbranch_execz .LBB188_60
; %bb.57:                               ;   in Loop: Header=BB188_14 Depth=1
	v_and_b32_e32 v57, 0xffff, v1
	v_and_b32_e32 v2, 0x7f, v57
	v_cmp_ne_u32_e64 s[4:5], s53, v2
	v_mov_b32_e32 v48, 0x7f800001
	s_and_saveexec_b64 s[44:45], s[4:5]
	s_cbranch_execz .LBB188_59
; %bb.58:                               ;   in Loop: Header=BB188_14 Depth=1
	v_and_b32_e32 v4, 7, v57
	v_lshrrev_b32_e32 v5, 3, v2
	v_cmp_gt_u32_e64 s[4:5], 8, v2
	v_ffbh_u32_e32 v2, v4
	v_min_u32_e32 v6, 32, v2
	v_subrev_u32_e32 v2, 28, v6
	v_lshlrev_b64 v[2:3], v2, v[57:58]
	v_sub_u32_e32 v3, 29, v6
	v_and_b32_e32 v2, 7, v2
	v_cndmask_b32_e64 v3, v5, v3, s[4:5]
	v_cndmask_b32_e64 v2, v4, v2, s[4:5]
	v_lshlrev_b32_e32 v1, 24, v1
	v_bfrev_b32_e32 v4, 60
	v_lshlrev_b32_e32 v2, 20, v2
	v_and_b32_e32 v1, 0x80000000, v1
	v_lshl_add_u32 v3, v3, 23, v4
	v_or3_b32 v48, v1, v3, v2
.LBB188_59:                             ;   in Loop: Header=BB188_14 Depth=1
	s_or_b64 exec, exec, s[44:45]
.LBB188_60:                             ;   in Loop: Header=BB188_14 Depth=1
	s_or_b64 exec, exec, s[42:43]
.LBB188_61:                             ;   in Loop: Header=BB188_14 Depth=1
	s_or_b64 exec, exec, s[40:41]
	global_load_ubyte v1, v[55:56], off offset:268
	s_waitcnt vmcnt(0)
	v_cmp_ne_u16_e64 s[4:5], 0, v1
	s_and_saveexec_b64 s[40:41], s[4:5]
	s_cbranch_execz .LBB188_67
; %bb.62:                               ;   in Loop: Header=BB188_14 Depth=1
	v_cmp_ne_u16_e64 s[4:5], s52, v1
	v_bfrev_b32_e32 v2, 1
	buffer_store_dword v2, off, s[56:59], 0 offset:80 ; 4-byte Folded Spill
	s_and_saveexec_b64 s[42:43], s[4:5]
	s_cbranch_execz .LBB188_66
; %bb.63:                               ;   in Loop: Header=BB188_14 Depth=1
	v_and_b32_e32 v57, 0xffff, v1
	v_and_b32_e32 v2, 0x7f, v57
	v_cmp_ne_u32_e64 s[4:5], s53, v2
	v_mov_b32_e32 v3, 0x7f800001
	buffer_store_dword v3, off, s[56:59], 0 offset:80 ; 4-byte Folded Spill
	s_and_saveexec_b64 s[44:45], s[4:5]
	s_cbranch_execz .LBB188_65
; %bb.64:                               ;   in Loop: Header=BB188_14 Depth=1
	v_and_b32_e32 v4, 7, v57
	v_lshrrev_b32_e32 v5, 3, v2
	v_cmp_gt_u32_e64 s[4:5], 8, v2
	v_ffbh_u32_e32 v2, v4
	v_min_u32_e32 v6, 32, v2
	v_subrev_u32_e32 v2, 28, v6
	v_lshlrev_b64 v[2:3], v2, v[57:58]
	v_sub_u32_e32 v3, 29, v6
	v_and_b32_e32 v2, 7, v2
	v_cndmask_b32_e64 v3, v5, v3, s[4:5]
	v_cndmask_b32_e64 v2, v4, v2, s[4:5]
	v_lshlrev_b32_e32 v1, 24, v1
	v_bfrev_b32_e32 v4, 60
	v_lshlrev_b32_e32 v2, 20, v2
	v_and_b32_e32 v1, 0x80000000, v1
	v_lshl_add_u32 v3, v3, 23, v4
	v_or3_b32 v1, v1, v3, v2
	buffer_store_dword v1, off, s[56:59], 0 offset:80 ; 4-byte Folded Spill
.LBB188_65:                             ;   in Loop: Header=BB188_14 Depth=1
	s_or_b64 exec, exec, s[44:45]
.LBB188_66:                             ;   in Loop: Header=BB188_14 Depth=1
	s_or_b64 exec, exec, s[42:43]
.LBB188_67:                             ;   in Loop: Header=BB188_14 Depth=1
	s_or_b64 exec, exec, s[40:41]
	global_load_ubyte v1, v[55:56], off offset:512
	v_mov_b32_e32 v38, 0
	v_mov_b32_e32 v39, 0
	s_waitcnt vmcnt(0)
	v_cmp_ne_u16_e64 s[4:5], 0, v1
	s_and_saveexec_b64 s[40:41], s[4:5]
	s_cbranch_execz .LBB188_73
; %bb.68:                               ;   in Loop: Header=BB188_14 Depth=1
	v_cmp_ne_u16_e64 s[4:5], s52, v1
	v_bfrev_b32_e32 v39, 1
	s_and_saveexec_b64 s[42:43], s[4:5]
	s_cbranch_execz .LBB188_72
; %bb.69:                               ;   in Loop: Header=BB188_14 Depth=1
	v_and_b32_e32 v57, 0xffff, v1
	v_and_b32_e32 v2, 0x7f, v57
	v_cmp_ne_u32_e64 s[4:5], s53, v2
	v_mov_b32_e32 v39, 0x7f800001
	s_and_saveexec_b64 s[44:45], s[4:5]
	s_cbranch_execz .LBB188_71
; %bb.70:                               ;   in Loop: Header=BB188_14 Depth=1
	v_and_b32_e32 v4, 7, v57
	v_lshrrev_b32_e32 v5, 3, v2
	v_cmp_gt_u32_e64 s[4:5], 8, v2
	v_ffbh_u32_e32 v2, v4
	v_min_u32_e32 v6, 32, v2
	v_subrev_u32_e32 v2, 28, v6
	v_lshlrev_b64 v[2:3], v2, v[57:58]
	v_sub_u32_e32 v3, 29, v6
	v_and_b32_e32 v2, 7, v2
	v_cndmask_b32_e64 v3, v5, v3, s[4:5]
	v_cndmask_b32_e64 v2, v4, v2, s[4:5]
	v_lshlrev_b32_e32 v1, 24, v1
	v_bfrev_b32_e32 v4, 60
	v_lshlrev_b32_e32 v2, 20, v2
	v_and_b32_e32 v1, 0x80000000, v1
	v_lshl_add_u32 v3, v3, 23, v4
	v_or3_b32 v39, v1, v3, v2
.LBB188_71:                             ;   in Loop: Header=BB188_14 Depth=1
	s_or_b64 exec, exec, s[44:45]
.LBB188_72:                             ;   in Loop: Header=BB188_14 Depth=1
	s_or_b64 exec, exec, s[42:43]
.LBB188_73:                             ;   in Loop: Header=BB188_14 Depth=1
	s_or_b64 exec, exec, s[40:41]
	global_load_ubyte v1, v[55:56], off offset:516
	s_waitcnt vmcnt(0)
	v_cmp_ne_u16_e64 s[4:5], 0, v1
	s_and_saveexec_b64 s[40:41], s[4:5]
	s_cbranch_execz .LBB188_79
; %bb.74:                               ;   in Loop: Header=BB188_14 Depth=1
	v_cmp_ne_u16_e64 s[4:5], s52, v1
	v_bfrev_b32_e32 v38, 1
	s_and_saveexec_b64 s[42:43], s[4:5]
	s_cbranch_execz .LBB188_78
; %bb.75:                               ;   in Loop: Header=BB188_14 Depth=1
	v_and_b32_e32 v57, 0xffff, v1
	v_and_b32_e32 v2, 0x7f, v57
	v_cmp_ne_u32_e64 s[4:5], s53, v2
	v_mov_b32_e32 v38, 0x7f800001
	s_and_saveexec_b64 s[44:45], s[4:5]
	s_cbranch_execz .LBB188_77
; %bb.76:                               ;   in Loop: Header=BB188_14 Depth=1
	v_and_b32_e32 v4, 7, v57
	v_lshrrev_b32_e32 v5, 3, v2
	v_cmp_gt_u32_e64 s[4:5], 8, v2
	v_ffbh_u32_e32 v2, v4
	v_min_u32_e32 v6, 32, v2
	v_subrev_u32_e32 v2, 28, v6
	v_lshlrev_b64 v[2:3], v2, v[57:58]
	v_sub_u32_e32 v3, 29, v6
	v_and_b32_e32 v2, 7, v2
	v_cndmask_b32_e64 v3, v5, v3, s[4:5]
	v_cndmask_b32_e64 v2, v4, v2, s[4:5]
	v_lshlrev_b32_e32 v1, 24, v1
	v_bfrev_b32_e32 v4, 60
	v_lshlrev_b32_e32 v2, 20, v2
	v_and_b32_e32 v1, 0x80000000, v1
	v_lshl_add_u32 v3, v3, 23, v4
	v_or3_b32 v38, v1, v3, v2
.LBB188_77:                             ;   in Loop: Header=BB188_14 Depth=1
	s_or_b64 exec, exec, s[44:45]
.LBB188_78:                             ;   in Loop: Header=BB188_14 Depth=1
	s_or_b64 exec, exec, s[42:43]
.LBB188_79:                             ;   in Loop: Header=BB188_14 Depth=1
	s_or_b64 exec, exec, s[40:41]
	global_load_ubyte v1, v[55:56], off offset:520
	v_mov_b32_e32 v40, 0
	v_mov_b32_e32 v37, 0
	s_waitcnt vmcnt(0)
	v_cmp_ne_u16_e64 s[4:5], 0, v1
	s_and_saveexec_b64 s[40:41], s[4:5]
	s_cbranch_execz .LBB188_85
; %bb.80:                               ;   in Loop: Header=BB188_14 Depth=1
	v_cmp_ne_u16_e64 s[4:5], s52, v1
	v_bfrev_b32_e32 v37, 1
	s_and_saveexec_b64 s[42:43], s[4:5]
	s_cbranch_execz .LBB188_84
; %bb.81:                               ;   in Loop: Header=BB188_14 Depth=1
	v_and_b32_e32 v57, 0xffff, v1
	v_and_b32_e32 v2, 0x7f, v57
	v_cmp_ne_u32_e64 s[4:5], s53, v2
	v_mov_b32_e32 v37, 0x7f800001
	s_and_saveexec_b64 s[44:45], s[4:5]
	s_cbranch_execz .LBB188_83
; %bb.82:                               ;   in Loop: Header=BB188_14 Depth=1
	v_and_b32_e32 v4, 7, v57
	v_lshrrev_b32_e32 v5, 3, v2
	v_cmp_gt_u32_e64 s[4:5], 8, v2
	v_ffbh_u32_e32 v2, v4
	v_min_u32_e32 v6, 32, v2
	v_subrev_u32_e32 v2, 28, v6
	v_lshlrev_b64 v[2:3], v2, v[57:58]
	v_sub_u32_e32 v3, 29, v6
	v_and_b32_e32 v2, 7, v2
	v_cndmask_b32_e64 v3, v5, v3, s[4:5]
	v_cndmask_b32_e64 v2, v4, v2, s[4:5]
	v_lshlrev_b32_e32 v1, 24, v1
	v_bfrev_b32_e32 v4, 60
	v_lshlrev_b32_e32 v2, 20, v2
	v_and_b32_e32 v1, 0x80000000, v1
	v_lshl_add_u32 v3, v3, 23, v4
	v_or3_b32 v37, v1, v3, v2
.LBB188_83:                             ;   in Loop: Header=BB188_14 Depth=1
	s_or_b64 exec, exec, s[44:45]
.LBB188_84:                             ;   in Loop: Header=BB188_14 Depth=1
	s_or_b64 exec, exec, s[42:43]
.LBB188_85:                             ;   in Loop: Header=BB188_14 Depth=1
	s_or_b64 exec, exec, s[40:41]
	global_load_ubyte v1, v[55:56], off offset:524
	s_waitcnt vmcnt(0)
	v_cmp_ne_u16_e64 s[4:5], 0, v1
	s_and_saveexec_b64 s[40:41], s[4:5]
	s_cbranch_execz .LBB188_91
; %bb.86:                               ;   in Loop: Header=BB188_14 Depth=1
	v_cmp_ne_u16_e64 s[4:5], s52, v1
	v_bfrev_b32_e32 v40, 1
	s_and_saveexec_b64 s[42:43], s[4:5]
	s_cbranch_execz .LBB188_90
; %bb.87:                               ;   in Loop: Header=BB188_14 Depth=1
	v_and_b32_e32 v57, 0xffff, v1
	v_and_b32_e32 v2, 0x7f, v57
	v_cmp_ne_u32_e64 s[4:5], s53, v2
	v_mov_b32_e32 v40, 0x7f800001
	s_and_saveexec_b64 s[44:45], s[4:5]
	s_cbranch_execz .LBB188_89
; %bb.88:                               ;   in Loop: Header=BB188_14 Depth=1
	v_and_b32_e32 v4, 7, v57
	v_lshrrev_b32_e32 v5, 3, v2
	v_cmp_gt_u32_e64 s[4:5], 8, v2
	v_ffbh_u32_e32 v2, v4
	v_min_u32_e32 v6, 32, v2
	v_subrev_u32_e32 v2, 28, v6
	v_lshlrev_b64 v[2:3], v2, v[57:58]
	v_sub_u32_e32 v3, 29, v6
	v_and_b32_e32 v2, 7, v2
	v_cndmask_b32_e64 v3, v5, v3, s[4:5]
	v_cndmask_b32_e64 v2, v4, v2, s[4:5]
	v_lshlrev_b32_e32 v1, 24, v1
	v_bfrev_b32_e32 v4, 60
	v_lshlrev_b32_e32 v2, 20, v2
	v_and_b32_e32 v1, 0x80000000, v1
	v_lshl_add_u32 v3, v3, 23, v4
	v_or3_b32 v40, v1, v3, v2
.LBB188_89:                             ;   in Loop: Header=BB188_14 Depth=1
	s_or_b64 exec, exec, s[44:45]
.LBB188_90:                             ;   in Loop: Header=BB188_14 Depth=1
	s_or_b64 exec, exec, s[42:43]
.LBB188_91:                             ;   in Loop: Header=BB188_14 Depth=1
	s_or_b64 exec, exec, s[40:41]
	global_load_ubyte v1, v[55:56], off offset:768
	v_mov_b32_e32 v41, 0
	v_mov_b32_e32 v46, 0
	s_waitcnt vmcnt(0)
	v_cmp_ne_u16_e64 s[4:5], 0, v1
	s_and_saveexec_b64 s[40:41], s[4:5]
	s_cbranch_execz .LBB188_97
; %bb.92:                               ;   in Loop: Header=BB188_14 Depth=1
	v_cmp_ne_u16_e64 s[4:5], s52, v1
	v_bfrev_b32_e32 v46, 1
	s_and_saveexec_b64 s[42:43], s[4:5]
	s_cbranch_execz .LBB188_96
; %bb.93:                               ;   in Loop: Header=BB188_14 Depth=1
	v_and_b32_e32 v57, 0xffff, v1
	v_and_b32_e32 v2, 0x7f, v57
	v_cmp_ne_u32_e64 s[4:5], s53, v2
	v_mov_b32_e32 v46, 0x7f800001
	s_and_saveexec_b64 s[44:45], s[4:5]
	s_cbranch_execz .LBB188_95
; %bb.94:                               ;   in Loop: Header=BB188_14 Depth=1
	v_and_b32_e32 v4, 7, v57
	v_lshrrev_b32_e32 v5, 3, v2
	v_cmp_gt_u32_e64 s[4:5], 8, v2
	v_ffbh_u32_e32 v2, v4
	v_min_u32_e32 v6, 32, v2
	v_subrev_u32_e32 v2, 28, v6
	v_lshlrev_b64 v[2:3], v2, v[57:58]
	v_sub_u32_e32 v3, 29, v6
	v_and_b32_e32 v2, 7, v2
	v_cndmask_b32_e64 v3, v5, v3, s[4:5]
	v_cndmask_b32_e64 v2, v4, v2, s[4:5]
	v_lshlrev_b32_e32 v1, 24, v1
	v_bfrev_b32_e32 v4, 60
	v_lshlrev_b32_e32 v2, 20, v2
	v_and_b32_e32 v1, 0x80000000, v1
	v_lshl_add_u32 v3, v3, 23, v4
	v_or3_b32 v46, v1, v3, v2
.LBB188_95:                             ;   in Loop: Header=BB188_14 Depth=1
	s_or_b64 exec, exec, s[44:45]
.LBB188_96:                             ;   in Loop: Header=BB188_14 Depth=1
	s_or_b64 exec, exec, s[42:43]
.LBB188_97:                             ;   in Loop: Header=BB188_14 Depth=1
	s_or_b64 exec, exec, s[40:41]
	global_load_ubyte v1, v[55:56], off offset:772
	s_waitcnt vmcnt(0)
	v_cmp_ne_u16_e64 s[4:5], 0, v1
	s_and_saveexec_b64 s[40:41], s[4:5]
	s_cbranch_execz .LBB188_103
; %bb.98:                               ;   in Loop: Header=BB188_14 Depth=1
	v_cmp_ne_u16_e64 s[4:5], s52, v1
	v_bfrev_b32_e32 v41, 1
	s_and_saveexec_b64 s[42:43], s[4:5]
	s_cbranch_execz .LBB188_102
; %bb.99:                               ;   in Loop: Header=BB188_14 Depth=1
	v_and_b32_e32 v57, 0xffff, v1
	v_and_b32_e32 v2, 0x7f, v57
	v_cmp_ne_u32_e64 s[4:5], s53, v2
	v_mov_b32_e32 v41, 0x7f800001
	s_and_saveexec_b64 s[44:45], s[4:5]
	s_cbranch_execz .LBB188_101
; %bb.100:                              ;   in Loop: Header=BB188_14 Depth=1
	v_and_b32_e32 v4, 7, v57
	v_lshrrev_b32_e32 v5, 3, v2
	v_cmp_gt_u32_e64 s[4:5], 8, v2
	v_ffbh_u32_e32 v2, v4
	v_min_u32_e32 v6, 32, v2
	v_subrev_u32_e32 v2, 28, v6
	v_lshlrev_b64 v[2:3], v2, v[57:58]
	v_sub_u32_e32 v3, 29, v6
	v_and_b32_e32 v2, 7, v2
	v_cndmask_b32_e64 v3, v5, v3, s[4:5]
	v_cndmask_b32_e64 v2, v4, v2, s[4:5]
	v_lshlrev_b32_e32 v1, 24, v1
	v_bfrev_b32_e32 v4, 60
	v_lshlrev_b32_e32 v2, 20, v2
	v_and_b32_e32 v1, 0x80000000, v1
	v_lshl_add_u32 v3, v3, 23, v4
	v_or3_b32 v41, v1, v3, v2
.LBB188_101:                            ;   in Loop: Header=BB188_14 Depth=1
	s_or_b64 exec, exec, s[44:45]
.LBB188_102:                            ;   in Loop: Header=BB188_14 Depth=1
	s_or_b64 exec, exec, s[42:43]
.LBB188_103:                            ;   in Loop: Header=BB188_14 Depth=1
	s_or_b64 exec, exec, s[40:41]
	global_load_ubyte v1, v[55:56], off offset:776
	v_mov_b32_e32 v2, 0
	buffer_store_dword v2, off, s[56:59], 0 ; 4-byte Folded Spill
	v_mov_b32_e32 v2, 0
	buffer_store_dword v2, off, s[56:59], 0 offset:4 ; 4-byte Folded Spill
	s_waitcnt vmcnt(2)
	v_cmp_ne_u16_e64 s[4:5], 0, v1
	s_and_saveexec_b64 s[40:41], s[4:5]
	s_cbranch_execz .LBB188_109
; %bb.104:                              ;   in Loop: Header=BB188_14 Depth=1
	v_cmp_ne_u16_e64 s[4:5], s52, v1
	v_bfrev_b32_e32 v2, 1
	buffer_store_dword v2, off, s[56:59], 0 offset:4 ; 4-byte Folded Spill
	s_and_saveexec_b64 s[42:43], s[4:5]
	s_cbranch_execz .LBB188_108
; %bb.105:                              ;   in Loop: Header=BB188_14 Depth=1
	v_and_b32_e32 v57, 0xffff, v1
	v_and_b32_e32 v2, 0x7f, v57
	v_cmp_ne_u32_e64 s[4:5], s53, v2
	v_mov_b32_e32 v3, 0x7f800001
	buffer_store_dword v3, off, s[56:59], 0 offset:4 ; 4-byte Folded Spill
	s_and_saveexec_b64 s[44:45], s[4:5]
	s_cbranch_execz .LBB188_107
; %bb.106:                              ;   in Loop: Header=BB188_14 Depth=1
	v_and_b32_e32 v4, 7, v57
	v_lshrrev_b32_e32 v5, 3, v2
	v_cmp_gt_u32_e64 s[4:5], 8, v2
	v_ffbh_u32_e32 v2, v4
	v_min_u32_e32 v6, 32, v2
	v_subrev_u32_e32 v2, 28, v6
	v_lshlrev_b64 v[2:3], v2, v[57:58]
	v_sub_u32_e32 v3, 29, v6
	v_and_b32_e32 v2, 7, v2
	v_cndmask_b32_e64 v3, v5, v3, s[4:5]
	v_cndmask_b32_e64 v2, v4, v2, s[4:5]
	v_lshlrev_b32_e32 v1, 24, v1
	v_bfrev_b32_e32 v4, 60
	v_lshlrev_b32_e32 v2, 20, v2
	v_and_b32_e32 v1, 0x80000000, v1
	v_lshl_add_u32 v3, v3, 23, v4
	v_or3_b32 v1, v1, v3, v2
	buffer_store_dword v1, off, s[56:59], 0 offset:4 ; 4-byte Folded Spill
.LBB188_107:                            ;   in Loop: Header=BB188_14 Depth=1
	s_or_b64 exec, exec, s[44:45]
.LBB188_108:                            ;   in Loop: Header=BB188_14 Depth=1
	s_or_b64 exec, exec, s[42:43]
.LBB188_109:                            ;   in Loop: Header=BB188_14 Depth=1
	s_or_b64 exec, exec, s[40:41]
	global_load_ubyte v1, v[55:56], off offset:780
	s_waitcnt vmcnt(0)
	v_cmp_ne_u16_e64 s[4:5], 0, v1
	s_and_saveexec_b64 s[40:41], s[4:5]
	s_cbranch_execz .LBB188_115
; %bb.110:                              ;   in Loop: Header=BB188_14 Depth=1
	v_cmp_ne_u16_e64 s[4:5], s52, v1
	v_bfrev_b32_e32 v2, 1
	buffer_store_dword v2, off, s[56:59], 0 ; 4-byte Folded Spill
	s_and_saveexec_b64 s[42:43], s[4:5]
	s_cbranch_execz .LBB188_114
; %bb.111:                              ;   in Loop: Header=BB188_14 Depth=1
	v_and_b32_e32 v57, 0xffff, v1
	v_and_b32_e32 v2, 0x7f, v57
	v_cmp_ne_u32_e64 s[4:5], s53, v2
	v_mov_b32_e32 v3, 0x7f800001
	buffer_store_dword v3, off, s[56:59], 0 ; 4-byte Folded Spill
	s_and_saveexec_b64 s[44:45], s[4:5]
	s_cbranch_execz .LBB188_113
; %bb.112:                              ;   in Loop: Header=BB188_14 Depth=1
	v_and_b32_e32 v4, 7, v57
	v_lshrrev_b32_e32 v5, 3, v2
	v_cmp_gt_u32_e64 s[4:5], 8, v2
	v_ffbh_u32_e32 v2, v4
	v_min_u32_e32 v6, 32, v2
	v_subrev_u32_e32 v2, 28, v6
	v_lshlrev_b64 v[2:3], v2, v[57:58]
	v_sub_u32_e32 v3, 29, v6
	v_and_b32_e32 v2, 7, v2
	v_cndmask_b32_e64 v3, v5, v3, s[4:5]
	v_cndmask_b32_e64 v2, v4, v2, s[4:5]
	v_lshlrev_b32_e32 v1, 24, v1
	v_bfrev_b32_e32 v4, 60
	v_lshlrev_b32_e32 v2, 20, v2
	v_and_b32_e32 v1, 0x80000000, v1
	v_lshl_add_u32 v3, v3, 23, v4
	v_or3_b32 v1, v1, v3, v2
	buffer_store_dword v1, off, s[56:59], 0 ; 4-byte Folded Spill
.LBB188_113:                            ;   in Loop: Header=BB188_14 Depth=1
	s_or_b64 exec, exec, s[44:45]
.LBB188_114:                            ;   in Loop: Header=BB188_14 Depth=1
	s_or_b64 exec, exec, s[42:43]
.LBB188_115:                            ;   in Loop: Header=BB188_14 Depth=1
	s_or_b64 exec, exec, s[40:41]
	global_load_ubyte v1, v[55:56], off offset:1024
	v_mov_b32_e32 v2, 0
	buffer_store_dword v2, off, s[56:59], 0 offset:8 ; 4-byte Folded Spill
	v_mov_b32_e32 v2, 0
	buffer_store_dword v2, off, s[56:59], 0 offset:12 ; 4-byte Folded Spill
	s_waitcnt vmcnt(2)
	v_cmp_ne_u16_e64 s[4:5], 0, v1
	s_and_saveexec_b64 s[40:41], s[4:5]
	s_cbranch_execz .LBB188_121
; %bb.116:                              ;   in Loop: Header=BB188_14 Depth=1
	v_cmp_ne_u16_e64 s[4:5], s52, v1
	v_bfrev_b32_e32 v2, 1
	buffer_store_dword v2, off, s[56:59], 0 offset:12 ; 4-byte Folded Spill
	s_and_saveexec_b64 s[42:43], s[4:5]
	s_cbranch_execz .LBB188_120
; %bb.117:                              ;   in Loop: Header=BB188_14 Depth=1
	v_and_b32_e32 v57, 0xffff, v1
	v_and_b32_e32 v2, 0x7f, v57
	v_cmp_ne_u32_e64 s[4:5], s53, v2
	v_mov_b32_e32 v3, 0x7f800001
	buffer_store_dword v3, off, s[56:59], 0 offset:12 ; 4-byte Folded Spill
	s_and_saveexec_b64 s[44:45], s[4:5]
	s_cbranch_execz .LBB188_119
; %bb.118:                              ;   in Loop: Header=BB188_14 Depth=1
	v_and_b32_e32 v4, 7, v57
	v_lshrrev_b32_e32 v5, 3, v2
	v_cmp_gt_u32_e64 s[4:5], 8, v2
	v_ffbh_u32_e32 v2, v4
	v_min_u32_e32 v6, 32, v2
	v_subrev_u32_e32 v2, 28, v6
	v_lshlrev_b64 v[2:3], v2, v[57:58]
	v_sub_u32_e32 v3, 29, v6
	v_and_b32_e32 v2, 7, v2
	v_cndmask_b32_e64 v3, v5, v3, s[4:5]
	v_cndmask_b32_e64 v2, v4, v2, s[4:5]
	v_lshlrev_b32_e32 v1, 24, v1
	v_bfrev_b32_e32 v4, 60
	v_lshlrev_b32_e32 v2, 20, v2
	v_and_b32_e32 v1, 0x80000000, v1
	v_lshl_add_u32 v3, v3, 23, v4
	v_or3_b32 v1, v1, v3, v2
	buffer_store_dword v1, off, s[56:59], 0 offset:12 ; 4-byte Folded Spill
.LBB188_119:                            ;   in Loop: Header=BB188_14 Depth=1
	s_or_b64 exec, exec, s[44:45]
.LBB188_120:                            ;   in Loop: Header=BB188_14 Depth=1
	s_or_b64 exec, exec, s[42:43]
.LBB188_121:                            ;   in Loop: Header=BB188_14 Depth=1
	s_or_b64 exec, exec, s[40:41]
	global_load_ubyte v1, v[55:56], off offset:1028
	s_waitcnt vmcnt(0)
	v_cmp_ne_u16_e64 s[4:5], 0, v1
	s_and_saveexec_b64 s[40:41], s[4:5]
	s_cbranch_execz .LBB188_127
; %bb.122:                              ;   in Loop: Header=BB188_14 Depth=1
	v_cmp_ne_u16_e64 s[4:5], s52, v1
	v_bfrev_b32_e32 v2, 1
	buffer_store_dword v2, off, s[56:59], 0 offset:8 ; 4-byte Folded Spill
	s_and_saveexec_b64 s[42:43], s[4:5]
	s_cbranch_execz .LBB188_126
; %bb.123:                              ;   in Loop: Header=BB188_14 Depth=1
	v_and_b32_e32 v57, 0xffff, v1
	v_and_b32_e32 v2, 0x7f, v57
	v_cmp_ne_u32_e64 s[4:5], s53, v2
	v_mov_b32_e32 v3, 0x7f800001
	buffer_store_dword v3, off, s[56:59], 0 offset:8 ; 4-byte Folded Spill
	s_and_saveexec_b64 s[44:45], s[4:5]
	s_cbranch_execz .LBB188_125
; %bb.124:                              ;   in Loop: Header=BB188_14 Depth=1
	v_and_b32_e32 v4, 7, v57
	v_lshrrev_b32_e32 v5, 3, v2
	v_cmp_gt_u32_e64 s[4:5], 8, v2
	v_ffbh_u32_e32 v2, v4
	v_min_u32_e32 v6, 32, v2
	v_subrev_u32_e32 v2, 28, v6
	v_lshlrev_b64 v[2:3], v2, v[57:58]
	v_sub_u32_e32 v3, 29, v6
	v_and_b32_e32 v2, 7, v2
	v_cndmask_b32_e64 v3, v5, v3, s[4:5]
	v_cndmask_b32_e64 v2, v4, v2, s[4:5]
	v_lshlrev_b32_e32 v1, 24, v1
	v_bfrev_b32_e32 v4, 60
	v_lshlrev_b32_e32 v2, 20, v2
	v_and_b32_e32 v1, 0x80000000, v1
	v_lshl_add_u32 v3, v3, 23, v4
	v_or3_b32 v1, v1, v3, v2
	buffer_store_dword v1, off, s[56:59], 0 offset:8 ; 4-byte Folded Spill
.LBB188_125:                            ;   in Loop: Header=BB188_14 Depth=1
	s_or_b64 exec, exec, s[44:45]
.LBB188_126:                            ;   in Loop: Header=BB188_14 Depth=1
	s_or_b64 exec, exec, s[42:43]
.LBB188_127:                            ;   in Loop: Header=BB188_14 Depth=1
	s_or_b64 exec, exec, s[40:41]
	global_load_ubyte v1, v[55:56], off offset:1032
	v_mov_b32_e32 v2, 0
	buffer_store_dword v2, off, s[56:59], 0 offset:16 ; 4-byte Folded Spill
	v_mov_b32_e32 v2, 0
	buffer_store_dword v2, off, s[56:59], 0 offset:20 ; 4-byte Folded Spill
	s_waitcnt vmcnt(2)
	v_cmp_ne_u16_e64 s[4:5], 0, v1
	s_and_saveexec_b64 s[40:41], s[4:5]
	s_cbranch_execz .LBB188_133
; %bb.128:                              ;   in Loop: Header=BB188_14 Depth=1
	v_cmp_ne_u16_e64 s[4:5], s52, v1
	v_bfrev_b32_e32 v2, 1
	buffer_store_dword v2, off, s[56:59], 0 offset:20 ; 4-byte Folded Spill
	s_and_saveexec_b64 s[42:43], s[4:5]
	s_cbranch_execz .LBB188_132
; %bb.129:                              ;   in Loop: Header=BB188_14 Depth=1
	v_and_b32_e32 v57, 0xffff, v1
	v_and_b32_e32 v2, 0x7f, v57
	v_cmp_ne_u32_e64 s[4:5], s53, v2
	v_mov_b32_e32 v3, 0x7f800001
	buffer_store_dword v3, off, s[56:59], 0 offset:20 ; 4-byte Folded Spill
	s_and_saveexec_b64 s[44:45], s[4:5]
	s_cbranch_execz .LBB188_131
; %bb.130:                              ;   in Loop: Header=BB188_14 Depth=1
	v_and_b32_e32 v4, 7, v57
	v_lshrrev_b32_e32 v5, 3, v2
	v_cmp_gt_u32_e64 s[4:5], 8, v2
	v_ffbh_u32_e32 v2, v4
	v_min_u32_e32 v6, 32, v2
	v_subrev_u32_e32 v2, 28, v6
	v_lshlrev_b64 v[2:3], v2, v[57:58]
	v_sub_u32_e32 v3, 29, v6
	v_and_b32_e32 v2, 7, v2
	v_cndmask_b32_e64 v3, v5, v3, s[4:5]
	v_cndmask_b32_e64 v2, v4, v2, s[4:5]
	v_lshlrev_b32_e32 v1, 24, v1
	v_bfrev_b32_e32 v4, 60
	v_lshlrev_b32_e32 v2, 20, v2
	v_and_b32_e32 v1, 0x80000000, v1
	v_lshl_add_u32 v3, v3, 23, v4
	v_or3_b32 v1, v1, v3, v2
	buffer_store_dword v1, off, s[56:59], 0 offset:20 ; 4-byte Folded Spill
.LBB188_131:                            ;   in Loop: Header=BB188_14 Depth=1
	s_or_b64 exec, exec, s[44:45]
.LBB188_132:                            ;   in Loop: Header=BB188_14 Depth=1
	s_or_b64 exec, exec, s[42:43]
.LBB188_133:                            ;   in Loop: Header=BB188_14 Depth=1
	s_or_b64 exec, exec, s[40:41]
	global_load_ubyte v1, v[55:56], off offset:1036
	s_waitcnt vmcnt(0)
	v_cmp_ne_u16_e64 s[4:5], 0, v1
	s_and_saveexec_b64 s[40:41], s[4:5]
	s_cbranch_execz .LBB188_139
; %bb.134:                              ;   in Loop: Header=BB188_14 Depth=1
	v_cmp_ne_u16_e64 s[4:5], s52, v1
	v_bfrev_b32_e32 v2, 1
	buffer_store_dword v2, off, s[56:59], 0 offset:16 ; 4-byte Folded Spill
	s_and_saveexec_b64 s[42:43], s[4:5]
	s_cbranch_execz .LBB188_138
; %bb.135:                              ;   in Loop: Header=BB188_14 Depth=1
	v_and_b32_e32 v57, 0xffff, v1
	v_and_b32_e32 v2, 0x7f, v57
	v_cmp_ne_u32_e64 s[4:5], s53, v2
	v_mov_b32_e32 v3, 0x7f800001
	buffer_store_dword v3, off, s[56:59], 0 offset:16 ; 4-byte Folded Spill
	s_and_saveexec_b64 s[44:45], s[4:5]
	s_cbranch_execz .LBB188_137
; %bb.136:                              ;   in Loop: Header=BB188_14 Depth=1
	v_and_b32_e32 v4, 7, v57
	v_lshrrev_b32_e32 v5, 3, v2
	v_cmp_gt_u32_e64 s[4:5], 8, v2
	v_ffbh_u32_e32 v2, v4
	v_min_u32_e32 v6, 32, v2
	v_subrev_u32_e32 v2, 28, v6
	v_lshlrev_b64 v[2:3], v2, v[57:58]
	v_sub_u32_e32 v3, 29, v6
	v_and_b32_e32 v2, 7, v2
	v_cndmask_b32_e64 v3, v5, v3, s[4:5]
	v_cndmask_b32_e64 v2, v4, v2, s[4:5]
	v_lshlrev_b32_e32 v1, 24, v1
	v_bfrev_b32_e32 v4, 60
	v_lshlrev_b32_e32 v2, 20, v2
	v_and_b32_e32 v1, 0x80000000, v1
	v_lshl_add_u32 v3, v3, 23, v4
	v_or3_b32 v1, v1, v3, v2
	buffer_store_dword v1, off, s[56:59], 0 offset:16 ; 4-byte Folded Spill
.LBB188_137:                            ;   in Loop: Header=BB188_14 Depth=1
	s_or_b64 exec, exec, s[44:45]
.LBB188_138:                            ;   in Loop: Header=BB188_14 Depth=1
	s_or_b64 exec, exec, s[42:43]
.LBB188_139:                            ;   in Loop: Header=BB188_14 Depth=1
	s_or_b64 exec, exec, s[40:41]
	global_load_ubyte v1, v[55:56], off offset:1280
	v_mov_b32_e32 v2, 0
	buffer_store_dword v2, off, s[56:59], 0 offset:24 ; 4-byte Folded Spill
	v_mov_b32_e32 v2, 0
	buffer_store_dword v2, off, s[56:59], 0 offset:28 ; 4-byte Folded Spill
	s_waitcnt vmcnt(2)
	v_cmp_ne_u16_e64 s[4:5], 0, v1
	s_and_saveexec_b64 s[40:41], s[4:5]
	s_cbranch_execz .LBB188_145
; %bb.140:                              ;   in Loop: Header=BB188_14 Depth=1
	v_cmp_ne_u16_e64 s[4:5], s52, v1
	v_bfrev_b32_e32 v2, 1
	buffer_store_dword v2, off, s[56:59], 0 offset:28 ; 4-byte Folded Spill
	s_and_saveexec_b64 s[42:43], s[4:5]
	s_cbranch_execz .LBB188_144
; %bb.141:                              ;   in Loop: Header=BB188_14 Depth=1
	v_and_b32_e32 v57, 0xffff, v1
	v_and_b32_e32 v2, 0x7f, v57
	v_cmp_ne_u32_e64 s[4:5], s53, v2
	v_mov_b32_e32 v3, 0x7f800001
	buffer_store_dword v3, off, s[56:59], 0 offset:28 ; 4-byte Folded Spill
	s_and_saveexec_b64 s[44:45], s[4:5]
	s_cbranch_execz .LBB188_143
; %bb.142:                              ;   in Loop: Header=BB188_14 Depth=1
	v_and_b32_e32 v4, 7, v57
	v_lshrrev_b32_e32 v5, 3, v2
	v_cmp_gt_u32_e64 s[4:5], 8, v2
	v_ffbh_u32_e32 v2, v4
	v_min_u32_e32 v6, 32, v2
	v_subrev_u32_e32 v2, 28, v6
	v_lshlrev_b64 v[2:3], v2, v[57:58]
	v_sub_u32_e32 v3, 29, v6
	v_and_b32_e32 v2, 7, v2
	v_cndmask_b32_e64 v3, v5, v3, s[4:5]
	v_cndmask_b32_e64 v2, v4, v2, s[4:5]
	v_lshlrev_b32_e32 v1, 24, v1
	v_bfrev_b32_e32 v4, 60
	v_lshlrev_b32_e32 v2, 20, v2
	v_and_b32_e32 v1, 0x80000000, v1
	v_lshl_add_u32 v3, v3, 23, v4
	v_or3_b32 v1, v1, v3, v2
	buffer_store_dword v1, off, s[56:59], 0 offset:28 ; 4-byte Folded Spill
.LBB188_143:                            ;   in Loop: Header=BB188_14 Depth=1
	s_or_b64 exec, exec, s[44:45]
.LBB188_144:                            ;   in Loop: Header=BB188_14 Depth=1
	s_or_b64 exec, exec, s[42:43]
.LBB188_145:                            ;   in Loop: Header=BB188_14 Depth=1
	s_or_b64 exec, exec, s[40:41]
	global_load_ubyte v1, v[55:56], off offset:1284
	s_waitcnt vmcnt(0)
	v_cmp_ne_u16_e64 s[4:5], 0, v1
	s_and_saveexec_b64 s[40:41], s[4:5]
	s_cbranch_execz .LBB188_151
; %bb.146:                              ;   in Loop: Header=BB188_14 Depth=1
	v_cmp_ne_u16_e64 s[4:5], s52, v1
	v_bfrev_b32_e32 v2, 1
	buffer_store_dword v2, off, s[56:59], 0 offset:24 ; 4-byte Folded Spill
	s_and_saveexec_b64 s[42:43], s[4:5]
	s_cbranch_execz .LBB188_150
; %bb.147:                              ;   in Loop: Header=BB188_14 Depth=1
	v_and_b32_e32 v57, 0xffff, v1
	v_and_b32_e32 v2, 0x7f, v57
	v_cmp_ne_u32_e64 s[4:5], s53, v2
	v_mov_b32_e32 v3, 0x7f800001
	buffer_store_dword v3, off, s[56:59], 0 offset:24 ; 4-byte Folded Spill
	s_and_saveexec_b64 s[44:45], s[4:5]
	s_cbranch_execz .LBB188_149
; %bb.148:                              ;   in Loop: Header=BB188_14 Depth=1
	v_and_b32_e32 v4, 7, v57
	v_lshrrev_b32_e32 v5, 3, v2
	v_cmp_gt_u32_e64 s[4:5], 8, v2
	v_ffbh_u32_e32 v2, v4
	v_min_u32_e32 v6, 32, v2
	v_subrev_u32_e32 v2, 28, v6
	v_lshlrev_b64 v[2:3], v2, v[57:58]
	v_sub_u32_e32 v3, 29, v6
	v_and_b32_e32 v2, 7, v2
	v_cndmask_b32_e64 v3, v5, v3, s[4:5]
	v_cndmask_b32_e64 v2, v4, v2, s[4:5]
	v_lshlrev_b32_e32 v1, 24, v1
	v_bfrev_b32_e32 v4, 60
	v_lshlrev_b32_e32 v2, 20, v2
	v_and_b32_e32 v1, 0x80000000, v1
	v_lshl_add_u32 v3, v3, 23, v4
	v_or3_b32 v1, v1, v3, v2
	buffer_store_dword v1, off, s[56:59], 0 offset:24 ; 4-byte Folded Spill
.LBB188_149:                            ;   in Loop: Header=BB188_14 Depth=1
	s_or_b64 exec, exec, s[44:45]
.LBB188_150:                            ;   in Loop: Header=BB188_14 Depth=1
	s_or_b64 exec, exec, s[42:43]
.LBB188_151:                            ;   in Loop: Header=BB188_14 Depth=1
	s_or_b64 exec, exec, s[40:41]
	global_load_ubyte v1, v[55:56], off offset:1288
	v_mov_b32_e32 v2, 0
	buffer_store_dword v2, off, s[56:59], 0 offset:32 ; 4-byte Folded Spill
	v_mov_b32_e32 v2, 0
	buffer_store_dword v2, off, s[56:59], 0 offset:36 ; 4-byte Folded Spill
	s_waitcnt vmcnt(2)
	v_cmp_ne_u16_e64 s[4:5], 0, v1
	s_and_saveexec_b64 s[40:41], s[4:5]
	s_cbranch_execz .LBB188_157
; %bb.152:                              ;   in Loop: Header=BB188_14 Depth=1
	v_cmp_ne_u16_e64 s[4:5], s52, v1
	v_bfrev_b32_e32 v2, 1
	buffer_store_dword v2, off, s[56:59], 0 offset:36 ; 4-byte Folded Spill
	s_and_saveexec_b64 s[42:43], s[4:5]
	s_cbranch_execz .LBB188_156
; %bb.153:                              ;   in Loop: Header=BB188_14 Depth=1
	v_and_b32_e32 v57, 0xffff, v1
	v_and_b32_e32 v2, 0x7f, v57
	v_cmp_ne_u32_e64 s[4:5], s53, v2
	v_mov_b32_e32 v3, 0x7f800001
	buffer_store_dword v3, off, s[56:59], 0 offset:36 ; 4-byte Folded Spill
	s_and_saveexec_b64 s[44:45], s[4:5]
	s_cbranch_execz .LBB188_155
; %bb.154:                              ;   in Loop: Header=BB188_14 Depth=1
	v_and_b32_e32 v4, 7, v57
	v_lshrrev_b32_e32 v5, 3, v2
	v_cmp_gt_u32_e64 s[4:5], 8, v2
	v_ffbh_u32_e32 v2, v4
	v_min_u32_e32 v6, 32, v2
	v_subrev_u32_e32 v2, 28, v6
	v_lshlrev_b64 v[2:3], v2, v[57:58]
	v_sub_u32_e32 v3, 29, v6
	v_and_b32_e32 v2, 7, v2
	v_cndmask_b32_e64 v3, v5, v3, s[4:5]
	v_cndmask_b32_e64 v2, v4, v2, s[4:5]
	v_lshlrev_b32_e32 v1, 24, v1
	v_bfrev_b32_e32 v4, 60
	v_lshlrev_b32_e32 v2, 20, v2
	v_and_b32_e32 v1, 0x80000000, v1
	v_lshl_add_u32 v3, v3, 23, v4
	v_or3_b32 v1, v1, v3, v2
	buffer_store_dword v1, off, s[56:59], 0 offset:36 ; 4-byte Folded Spill
.LBB188_155:                            ;   in Loop: Header=BB188_14 Depth=1
	s_or_b64 exec, exec, s[44:45]
.LBB188_156:                            ;   in Loop: Header=BB188_14 Depth=1
	s_or_b64 exec, exec, s[42:43]
.LBB188_157:                            ;   in Loop: Header=BB188_14 Depth=1
	s_or_b64 exec, exec, s[40:41]
	global_load_ubyte v1, v[55:56], off offset:1292
	s_waitcnt vmcnt(0)
	v_cmp_ne_u16_e64 s[4:5], 0, v1
	s_and_saveexec_b64 s[40:41], s[4:5]
	s_cbranch_execz .LBB188_163
; %bb.158:                              ;   in Loop: Header=BB188_14 Depth=1
	v_cmp_ne_u16_e64 s[4:5], s52, v1
	v_bfrev_b32_e32 v2, 1
	buffer_store_dword v2, off, s[56:59], 0 offset:32 ; 4-byte Folded Spill
	s_and_saveexec_b64 s[42:43], s[4:5]
	s_cbranch_execz .LBB188_162
; %bb.159:                              ;   in Loop: Header=BB188_14 Depth=1
	v_and_b32_e32 v57, 0xffff, v1
	v_and_b32_e32 v2, 0x7f, v57
	v_cmp_ne_u32_e64 s[4:5], s53, v2
	v_mov_b32_e32 v3, 0x7f800001
	buffer_store_dword v3, off, s[56:59], 0 offset:32 ; 4-byte Folded Spill
	s_and_saveexec_b64 s[44:45], s[4:5]
	s_cbranch_execz .LBB188_161
; %bb.160:                              ;   in Loop: Header=BB188_14 Depth=1
	v_and_b32_e32 v4, 7, v57
	v_lshrrev_b32_e32 v5, 3, v2
	v_cmp_gt_u32_e64 s[4:5], 8, v2
	v_ffbh_u32_e32 v2, v4
	v_min_u32_e32 v6, 32, v2
	v_subrev_u32_e32 v2, 28, v6
	v_lshlrev_b64 v[2:3], v2, v[57:58]
	v_sub_u32_e32 v3, 29, v6
	v_and_b32_e32 v2, 7, v2
	v_cndmask_b32_e64 v3, v5, v3, s[4:5]
	v_cndmask_b32_e64 v2, v4, v2, s[4:5]
	v_lshlrev_b32_e32 v1, 24, v1
	v_bfrev_b32_e32 v4, 60
	v_lshlrev_b32_e32 v2, 20, v2
	v_and_b32_e32 v1, 0x80000000, v1
	v_lshl_add_u32 v3, v3, 23, v4
	v_or3_b32 v1, v1, v3, v2
	buffer_store_dword v1, off, s[56:59], 0 offset:32 ; 4-byte Folded Spill
.LBB188_161:                            ;   in Loop: Header=BB188_14 Depth=1
	s_or_b64 exec, exec, s[44:45]
.LBB188_162:                            ;   in Loop: Header=BB188_14 Depth=1
	s_or_b64 exec, exec, s[42:43]
.LBB188_163:                            ;   in Loop: Header=BB188_14 Depth=1
	s_or_b64 exec, exec, s[40:41]
	global_load_ubyte v1, v[55:56], off offset:1536
	v_mov_b32_e32 v2, 0
	buffer_store_dword v2, off, s[56:59], 0 offset:40 ; 4-byte Folded Spill
	v_mov_b32_e32 v2, 0
	buffer_store_dword v2, off, s[56:59], 0 offset:44 ; 4-byte Folded Spill
	s_waitcnt vmcnt(2)
	v_cmp_ne_u16_e64 s[4:5], 0, v1
	s_and_saveexec_b64 s[40:41], s[4:5]
	s_cbranch_execz .LBB188_169
; %bb.164:                              ;   in Loop: Header=BB188_14 Depth=1
	v_cmp_ne_u16_e64 s[4:5], s52, v1
	v_bfrev_b32_e32 v2, 1
	buffer_store_dword v2, off, s[56:59], 0 offset:44 ; 4-byte Folded Spill
	s_and_saveexec_b64 s[42:43], s[4:5]
	s_cbranch_execz .LBB188_168
; %bb.165:                              ;   in Loop: Header=BB188_14 Depth=1
	v_and_b32_e32 v57, 0xffff, v1
	v_and_b32_e32 v2, 0x7f, v57
	v_cmp_ne_u32_e64 s[4:5], s53, v2
	v_mov_b32_e32 v3, 0x7f800001
	buffer_store_dword v3, off, s[56:59], 0 offset:44 ; 4-byte Folded Spill
	s_and_saveexec_b64 s[44:45], s[4:5]
	s_cbranch_execz .LBB188_167
; %bb.166:                              ;   in Loop: Header=BB188_14 Depth=1
	v_and_b32_e32 v4, 7, v57
	v_lshrrev_b32_e32 v5, 3, v2
	v_cmp_gt_u32_e64 s[4:5], 8, v2
	v_ffbh_u32_e32 v2, v4
	v_min_u32_e32 v6, 32, v2
	v_subrev_u32_e32 v2, 28, v6
	v_lshlrev_b64 v[2:3], v2, v[57:58]
	v_sub_u32_e32 v3, 29, v6
	v_and_b32_e32 v2, 7, v2
	v_cndmask_b32_e64 v3, v5, v3, s[4:5]
	v_cndmask_b32_e64 v2, v4, v2, s[4:5]
	v_lshlrev_b32_e32 v1, 24, v1
	v_bfrev_b32_e32 v4, 60
	v_lshlrev_b32_e32 v2, 20, v2
	v_and_b32_e32 v1, 0x80000000, v1
	v_lshl_add_u32 v3, v3, 23, v4
	v_or3_b32 v1, v1, v3, v2
	buffer_store_dword v1, off, s[56:59], 0 offset:44 ; 4-byte Folded Spill
.LBB188_167:                            ;   in Loop: Header=BB188_14 Depth=1
	s_or_b64 exec, exec, s[44:45]
.LBB188_168:                            ;   in Loop: Header=BB188_14 Depth=1
	s_or_b64 exec, exec, s[42:43]
.LBB188_169:                            ;   in Loop: Header=BB188_14 Depth=1
	s_or_b64 exec, exec, s[40:41]
	global_load_ubyte v1, v[55:56], off offset:1540
	s_waitcnt vmcnt(0)
	v_cmp_ne_u16_e64 s[4:5], 0, v1
	s_and_saveexec_b64 s[40:41], s[4:5]
	s_cbranch_execz .LBB188_175
; %bb.170:                              ;   in Loop: Header=BB188_14 Depth=1
	v_cmp_ne_u16_e64 s[4:5], s52, v1
	v_bfrev_b32_e32 v2, 1
	buffer_store_dword v2, off, s[56:59], 0 offset:40 ; 4-byte Folded Spill
	s_and_saveexec_b64 s[42:43], s[4:5]
	s_cbranch_execz .LBB188_174
; %bb.171:                              ;   in Loop: Header=BB188_14 Depth=1
	v_and_b32_e32 v57, 0xffff, v1
	v_and_b32_e32 v2, 0x7f, v57
	v_cmp_ne_u32_e64 s[4:5], s53, v2
	v_mov_b32_e32 v3, 0x7f800001
	buffer_store_dword v3, off, s[56:59], 0 offset:40 ; 4-byte Folded Spill
	s_and_saveexec_b64 s[44:45], s[4:5]
	s_cbranch_execz .LBB188_173
; %bb.172:                              ;   in Loop: Header=BB188_14 Depth=1
	v_and_b32_e32 v4, 7, v57
	v_lshrrev_b32_e32 v5, 3, v2
	v_cmp_gt_u32_e64 s[4:5], 8, v2
	v_ffbh_u32_e32 v2, v4
	v_min_u32_e32 v6, 32, v2
	v_subrev_u32_e32 v2, 28, v6
	v_lshlrev_b64 v[2:3], v2, v[57:58]
	v_sub_u32_e32 v3, 29, v6
	v_and_b32_e32 v2, 7, v2
	v_cndmask_b32_e64 v3, v5, v3, s[4:5]
	v_cndmask_b32_e64 v2, v4, v2, s[4:5]
	v_lshlrev_b32_e32 v1, 24, v1
	v_bfrev_b32_e32 v4, 60
	v_lshlrev_b32_e32 v2, 20, v2
	v_and_b32_e32 v1, 0x80000000, v1
	v_lshl_add_u32 v3, v3, 23, v4
	v_or3_b32 v1, v1, v3, v2
	buffer_store_dword v1, off, s[56:59], 0 offset:40 ; 4-byte Folded Spill
.LBB188_173:                            ;   in Loop: Header=BB188_14 Depth=1
	s_or_b64 exec, exec, s[44:45]
.LBB188_174:                            ;   in Loop: Header=BB188_14 Depth=1
	s_or_b64 exec, exec, s[42:43]
.LBB188_175:                            ;   in Loop: Header=BB188_14 Depth=1
	s_or_b64 exec, exec, s[40:41]
	global_load_ubyte v1, v[55:56], off offset:1544
	v_mov_b32_e32 v2, 0
	buffer_store_dword v2, off, s[56:59], 0 offset:48 ; 4-byte Folded Spill
	v_mov_b32_e32 v2, 0
	buffer_store_dword v2, off, s[56:59], 0 offset:52 ; 4-byte Folded Spill
	s_waitcnt vmcnt(2)
	v_cmp_ne_u16_e64 s[4:5], 0, v1
	s_and_saveexec_b64 s[40:41], s[4:5]
	s_cbranch_execz .LBB188_181
; %bb.176:                              ;   in Loop: Header=BB188_14 Depth=1
	v_cmp_ne_u16_e64 s[4:5], s52, v1
	v_bfrev_b32_e32 v2, 1
	buffer_store_dword v2, off, s[56:59], 0 offset:52 ; 4-byte Folded Spill
	s_and_saveexec_b64 s[42:43], s[4:5]
	s_cbranch_execz .LBB188_180
; %bb.177:                              ;   in Loop: Header=BB188_14 Depth=1
	v_and_b32_e32 v57, 0xffff, v1
	v_and_b32_e32 v2, 0x7f, v57
	v_cmp_ne_u32_e64 s[4:5], s53, v2
	v_mov_b32_e32 v3, 0x7f800001
	buffer_store_dword v3, off, s[56:59], 0 offset:52 ; 4-byte Folded Spill
	s_and_saveexec_b64 s[44:45], s[4:5]
	s_cbranch_execz .LBB188_179
; %bb.178:                              ;   in Loop: Header=BB188_14 Depth=1
	v_and_b32_e32 v4, 7, v57
	v_lshrrev_b32_e32 v5, 3, v2
	v_cmp_gt_u32_e64 s[4:5], 8, v2
	v_ffbh_u32_e32 v2, v4
	v_min_u32_e32 v6, 32, v2
	v_subrev_u32_e32 v2, 28, v6
	v_lshlrev_b64 v[2:3], v2, v[57:58]
	v_sub_u32_e32 v3, 29, v6
	v_and_b32_e32 v2, 7, v2
	v_cndmask_b32_e64 v3, v5, v3, s[4:5]
	v_cndmask_b32_e64 v2, v4, v2, s[4:5]
	v_lshlrev_b32_e32 v1, 24, v1
	v_bfrev_b32_e32 v4, 60
	v_lshlrev_b32_e32 v2, 20, v2
	v_and_b32_e32 v1, 0x80000000, v1
	v_lshl_add_u32 v3, v3, 23, v4
	v_or3_b32 v1, v1, v3, v2
	buffer_store_dword v1, off, s[56:59], 0 offset:52 ; 4-byte Folded Spill
.LBB188_179:                            ;   in Loop: Header=BB188_14 Depth=1
	s_or_b64 exec, exec, s[44:45]
.LBB188_180:                            ;   in Loop: Header=BB188_14 Depth=1
	s_or_b64 exec, exec, s[42:43]
.LBB188_181:                            ;   in Loop: Header=BB188_14 Depth=1
	s_or_b64 exec, exec, s[40:41]
	global_load_ubyte v1, v[55:56], off offset:1548
	s_waitcnt vmcnt(0)
	v_cmp_ne_u16_e64 s[4:5], 0, v1
	s_and_saveexec_b64 s[40:41], s[4:5]
	s_cbranch_execz .LBB188_187
; %bb.182:                              ;   in Loop: Header=BB188_14 Depth=1
	v_cmp_ne_u16_e64 s[4:5], s52, v1
	v_bfrev_b32_e32 v2, 1
	buffer_store_dword v2, off, s[56:59], 0 offset:48 ; 4-byte Folded Spill
	s_and_saveexec_b64 s[42:43], s[4:5]
	s_cbranch_execz .LBB188_186
; %bb.183:                              ;   in Loop: Header=BB188_14 Depth=1
	v_and_b32_e32 v57, 0xffff, v1
	v_and_b32_e32 v2, 0x7f, v57
	v_cmp_ne_u32_e64 s[4:5], s53, v2
	v_mov_b32_e32 v3, 0x7f800001
	buffer_store_dword v3, off, s[56:59], 0 offset:48 ; 4-byte Folded Spill
	s_and_saveexec_b64 s[44:45], s[4:5]
	s_cbranch_execz .LBB188_185
; %bb.184:                              ;   in Loop: Header=BB188_14 Depth=1
	v_and_b32_e32 v4, 7, v57
	v_lshrrev_b32_e32 v5, 3, v2
	v_cmp_gt_u32_e64 s[4:5], 8, v2
	v_ffbh_u32_e32 v2, v4
	v_min_u32_e32 v6, 32, v2
	v_subrev_u32_e32 v2, 28, v6
	v_lshlrev_b64 v[2:3], v2, v[57:58]
	v_sub_u32_e32 v3, 29, v6
	v_and_b32_e32 v2, 7, v2
	v_cndmask_b32_e64 v3, v5, v3, s[4:5]
	v_cndmask_b32_e64 v2, v4, v2, s[4:5]
	v_lshlrev_b32_e32 v1, 24, v1
	v_bfrev_b32_e32 v4, 60
	v_lshlrev_b32_e32 v2, 20, v2
	v_and_b32_e32 v1, 0x80000000, v1
	v_lshl_add_u32 v3, v3, 23, v4
	v_or3_b32 v1, v1, v3, v2
	buffer_store_dword v1, off, s[56:59], 0 offset:48 ; 4-byte Folded Spill
.LBB188_185:                            ;   in Loop: Header=BB188_14 Depth=1
	s_or_b64 exec, exec, s[44:45]
.LBB188_186:                            ;   in Loop: Header=BB188_14 Depth=1
	s_or_b64 exec, exec, s[42:43]
.LBB188_187:                            ;   in Loop: Header=BB188_14 Depth=1
	s_or_b64 exec, exec, s[40:41]
	global_load_ubyte v1, v[55:56], off offset:1792
	v_mov_b32_e32 v2, 0
	buffer_store_dword v2, off, s[56:59], 0 offset:56 ; 4-byte Folded Spill
	v_mov_b32_e32 v2, 0
	buffer_store_dword v2, off, s[56:59], 0 offset:60 ; 4-byte Folded Spill
	s_waitcnt vmcnt(2)
	v_cmp_ne_u16_e64 s[4:5], 0, v1
	s_and_saveexec_b64 s[40:41], s[4:5]
	s_cbranch_execz .LBB188_193
; %bb.188:                              ;   in Loop: Header=BB188_14 Depth=1
	v_cmp_ne_u16_e64 s[4:5], s52, v1
	v_bfrev_b32_e32 v2, 1
	buffer_store_dword v2, off, s[56:59], 0 offset:60 ; 4-byte Folded Spill
	s_and_saveexec_b64 s[42:43], s[4:5]
	s_cbranch_execz .LBB188_192
; %bb.189:                              ;   in Loop: Header=BB188_14 Depth=1
	v_and_b32_e32 v57, 0xffff, v1
	v_and_b32_e32 v2, 0x7f, v57
	v_cmp_ne_u32_e64 s[4:5], s53, v2
	v_mov_b32_e32 v3, 0x7f800001
	buffer_store_dword v3, off, s[56:59], 0 offset:60 ; 4-byte Folded Spill
	s_and_saveexec_b64 s[44:45], s[4:5]
	s_cbranch_execz .LBB188_191
; %bb.190:                              ;   in Loop: Header=BB188_14 Depth=1
	v_and_b32_e32 v4, 7, v57
	v_lshrrev_b32_e32 v5, 3, v2
	v_cmp_gt_u32_e64 s[4:5], 8, v2
	v_ffbh_u32_e32 v2, v4
	v_min_u32_e32 v6, 32, v2
	v_subrev_u32_e32 v2, 28, v6
	v_lshlrev_b64 v[2:3], v2, v[57:58]
	v_sub_u32_e32 v3, 29, v6
	v_and_b32_e32 v2, 7, v2
	v_cndmask_b32_e64 v3, v5, v3, s[4:5]
	v_cndmask_b32_e64 v2, v4, v2, s[4:5]
	v_lshlrev_b32_e32 v1, 24, v1
	v_bfrev_b32_e32 v4, 60
	v_lshlrev_b32_e32 v2, 20, v2
	v_and_b32_e32 v1, 0x80000000, v1
	v_lshl_add_u32 v3, v3, 23, v4
	v_or3_b32 v1, v1, v3, v2
	buffer_store_dword v1, off, s[56:59], 0 offset:60 ; 4-byte Folded Spill
.LBB188_191:                            ;   in Loop: Header=BB188_14 Depth=1
	s_or_b64 exec, exec, s[44:45]
.LBB188_192:                            ;   in Loop: Header=BB188_14 Depth=1
	s_or_b64 exec, exec, s[42:43]
.LBB188_193:                            ;   in Loop: Header=BB188_14 Depth=1
	s_or_b64 exec, exec, s[40:41]
	global_load_ubyte v1, v[55:56], off offset:1796
	s_waitcnt vmcnt(0)
	v_cmp_ne_u16_e64 s[4:5], 0, v1
	s_and_saveexec_b64 s[40:41], s[4:5]
	s_cbranch_execz .LBB188_199
; %bb.194:                              ;   in Loop: Header=BB188_14 Depth=1
	v_cmp_ne_u16_e64 s[4:5], s52, v1
	v_bfrev_b32_e32 v2, 1
	buffer_store_dword v2, off, s[56:59], 0 offset:56 ; 4-byte Folded Spill
	s_and_saveexec_b64 s[42:43], s[4:5]
	s_cbranch_execz .LBB188_198
; %bb.195:                              ;   in Loop: Header=BB188_14 Depth=1
	v_and_b32_e32 v57, 0xffff, v1
	v_and_b32_e32 v2, 0x7f, v57
	v_cmp_ne_u32_e64 s[4:5], s53, v2
	v_mov_b32_e32 v3, 0x7f800001
	buffer_store_dword v3, off, s[56:59], 0 offset:56 ; 4-byte Folded Spill
	s_and_saveexec_b64 s[44:45], s[4:5]
	s_cbranch_execz .LBB188_197
; %bb.196:                              ;   in Loop: Header=BB188_14 Depth=1
	v_and_b32_e32 v4, 7, v57
	v_lshrrev_b32_e32 v5, 3, v2
	v_cmp_gt_u32_e64 s[4:5], 8, v2
	v_ffbh_u32_e32 v2, v4
	v_min_u32_e32 v6, 32, v2
	v_subrev_u32_e32 v2, 28, v6
	v_lshlrev_b64 v[2:3], v2, v[57:58]
	v_sub_u32_e32 v3, 29, v6
	v_and_b32_e32 v2, 7, v2
	v_cndmask_b32_e64 v3, v5, v3, s[4:5]
	v_cndmask_b32_e64 v2, v4, v2, s[4:5]
	v_lshlrev_b32_e32 v1, 24, v1
	v_bfrev_b32_e32 v4, 60
	v_lshlrev_b32_e32 v2, 20, v2
	v_and_b32_e32 v1, 0x80000000, v1
	v_lshl_add_u32 v3, v3, 23, v4
	v_or3_b32 v1, v1, v3, v2
	buffer_store_dword v1, off, s[56:59], 0 offset:56 ; 4-byte Folded Spill
.LBB188_197:                            ;   in Loop: Header=BB188_14 Depth=1
	s_or_b64 exec, exec, s[44:45]
.LBB188_198:                            ;   in Loop: Header=BB188_14 Depth=1
	s_or_b64 exec, exec, s[42:43]
.LBB188_199:                            ;   in Loop: Header=BB188_14 Depth=1
	s_or_b64 exec, exec, s[40:41]
	global_load_ubyte v1, v[55:56], off offset:1800
	v_mov_b32_e32 v2, 0
	buffer_store_dword v2, off, s[56:59], 0 offset:64 ; 4-byte Folded Spill
	v_mov_b32_e32 v2, 0
	buffer_store_dword v2, off, s[56:59], 0 offset:68 ; 4-byte Folded Spill
	s_waitcnt vmcnt(2)
	v_cmp_ne_u16_e64 s[4:5], 0, v1
	s_and_saveexec_b64 s[40:41], s[4:5]
	s_cbranch_execz .LBB188_205
; %bb.200:                              ;   in Loop: Header=BB188_14 Depth=1
	v_cmp_ne_u16_e64 s[4:5], s52, v1
	v_bfrev_b32_e32 v2, 1
	buffer_store_dword v2, off, s[56:59], 0 offset:68 ; 4-byte Folded Spill
	s_and_saveexec_b64 s[42:43], s[4:5]
	s_cbranch_execz .LBB188_204
; %bb.201:                              ;   in Loop: Header=BB188_14 Depth=1
	v_and_b32_e32 v57, 0xffff, v1
	v_and_b32_e32 v2, 0x7f, v57
	v_cmp_ne_u32_e64 s[4:5], s53, v2
	v_mov_b32_e32 v3, 0x7f800001
	buffer_store_dword v3, off, s[56:59], 0 offset:68 ; 4-byte Folded Spill
	s_and_saveexec_b64 s[44:45], s[4:5]
	s_cbranch_execz .LBB188_203
; %bb.202:                              ;   in Loop: Header=BB188_14 Depth=1
	v_and_b32_e32 v4, 7, v57
	v_lshrrev_b32_e32 v5, 3, v2
	v_cmp_gt_u32_e64 s[4:5], 8, v2
	v_ffbh_u32_e32 v2, v4
	v_min_u32_e32 v6, 32, v2
	v_subrev_u32_e32 v2, 28, v6
	v_lshlrev_b64 v[2:3], v2, v[57:58]
	v_sub_u32_e32 v3, 29, v6
	v_and_b32_e32 v2, 7, v2
	v_cndmask_b32_e64 v3, v5, v3, s[4:5]
	v_cndmask_b32_e64 v2, v4, v2, s[4:5]
	v_lshlrev_b32_e32 v1, 24, v1
	v_bfrev_b32_e32 v4, 60
	v_lshlrev_b32_e32 v2, 20, v2
	v_and_b32_e32 v1, 0x80000000, v1
	v_lshl_add_u32 v3, v3, 23, v4
	v_or3_b32 v1, v1, v3, v2
	buffer_store_dword v1, off, s[56:59], 0 offset:68 ; 4-byte Folded Spill
.LBB188_203:                            ;   in Loop: Header=BB188_14 Depth=1
	s_or_b64 exec, exec, s[44:45]
.LBB188_204:                            ;   in Loop: Header=BB188_14 Depth=1
	s_or_b64 exec, exec, s[42:43]
.LBB188_205:                            ;   in Loop: Header=BB188_14 Depth=1
	s_or_b64 exec, exec, s[40:41]
	global_load_ubyte v1, v[55:56], off offset:1804
	s_waitcnt vmcnt(0)
	v_cmp_ne_u16_e64 s[4:5], 0, v1
	s_and_saveexec_b64 s[40:41], s[4:5]
	s_cbranch_execz .LBB188_211
; %bb.206:                              ;   in Loop: Header=BB188_14 Depth=1
	v_cmp_ne_u16_e64 s[4:5], s52, v1
	v_bfrev_b32_e32 v2, 1
	buffer_store_dword v2, off, s[56:59], 0 offset:64 ; 4-byte Folded Spill
	s_and_saveexec_b64 s[42:43], s[4:5]
	s_cbranch_execz .LBB188_210
; %bb.207:                              ;   in Loop: Header=BB188_14 Depth=1
	v_and_b32_e32 v57, 0xffff, v1
	v_and_b32_e32 v2, 0x7f, v57
	v_cmp_ne_u32_e64 s[4:5], s53, v2
	v_mov_b32_e32 v3, 0x7f800001
	buffer_store_dword v3, off, s[56:59], 0 offset:64 ; 4-byte Folded Spill
	s_and_saveexec_b64 s[44:45], s[4:5]
	s_cbranch_execz .LBB188_209
; %bb.208:                              ;   in Loop: Header=BB188_14 Depth=1
	v_and_b32_e32 v4, 7, v57
	v_lshrrev_b32_e32 v5, 3, v2
	v_cmp_gt_u32_e64 s[4:5], 8, v2
	v_ffbh_u32_e32 v2, v4
	v_min_u32_e32 v6, 32, v2
	v_subrev_u32_e32 v2, 28, v6
	v_lshlrev_b64 v[2:3], v2, v[57:58]
	v_sub_u32_e32 v3, 29, v6
	v_and_b32_e32 v2, 7, v2
	v_cndmask_b32_e64 v3, v5, v3, s[4:5]
	v_cndmask_b32_e64 v2, v4, v2, s[4:5]
	v_lshlrev_b32_e32 v1, 24, v1
	v_bfrev_b32_e32 v4, 60
	v_lshlrev_b32_e32 v2, 20, v2
	v_and_b32_e32 v1, 0x80000000, v1
	v_lshl_add_u32 v3, v3, 23, v4
	v_or3_b32 v1, v1, v3, v2
	buffer_store_dword v1, off, s[56:59], 0 offset:64 ; 4-byte Folded Spill
.LBB188_209:                            ;   in Loop: Header=BB188_14 Depth=1
	s_or_b64 exec, exec, s[44:45]
.LBB188_210:                            ;   in Loop: Header=BB188_14 Depth=1
	s_or_b64 exec, exec, s[42:43]
.LBB188_211:                            ;   in Loop: Header=BB188_14 Depth=1
	s_or_b64 exec, exec, s[40:41]
	global_load_ubyte v2, v[55:56], off offset:2048
	v_mov_b32_e32 v1, 0
	buffer_store_dword v1, off, s[56:59], 0 offset:72 ; 4-byte Folded Spill
	v_mov_b32_e32 v1, 0
	buffer_store_dword v1, off, s[56:59], 0 offset:76 ; 4-byte Folded Spill
	s_waitcnt vmcnt(2)
	v_cmp_ne_u16_e64 s[4:5], 0, v2
	s_and_saveexec_b64 s[40:41], s[4:5]
	s_cbranch_execz .LBB188_217
; %bb.212:                              ;   in Loop: Header=BB188_14 Depth=1
	v_cmp_ne_u16_e64 s[4:5], s52, v2
	v_bfrev_b32_e32 v1, 1
	buffer_store_dword v1, off, s[56:59], 0 offset:76 ; 4-byte Folded Spill
	s_and_saveexec_b64 s[42:43], s[4:5]
	s_cbranch_execz .LBB188_216
; %bb.213:                              ;   in Loop: Header=BB188_14 Depth=1
	v_and_b32_e32 v57, 0xffff, v2
	v_and_b32_e32 v3, 0x7f, v57
	v_cmp_ne_u32_e64 s[4:5], s53, v3
	v_mov_b32_e32 v1, 0x7f800001
	buffer_store_dword v1, off, s[56:59], 0 offset:76 ; 4-byte Folded Spill
	s_and_saveexec_b64 s[44:45], s[4:5]
	s_cbranch_execz .LBB188_215
; %bb.214:                              ;   in Loop: Header=BB188_14 Depth=1
	v_and_b32_e32 v1, 7, v57
	v_lshrrev_b32_e32 v5, 3, v3
	v_cmp_gt_u32_e64 s[4:5], 8, v3
	v_ffbh_u32_e32 v3, v1
	v_min_u32_e32 v6, 32, v3
	v_subrev_u32_e32 v3, 28, v6
	v_lshlrev_b64 v[3:4], v3, v[57:58]
	v_sub_u32_e32 v4, 29, v6
	v_and_b32_e32 v3, 7, v3
	v_cndmask_b32_e64 v4, v5, v4, s[4:5]
	v_cndmask_b32_e64 v1, v1, v3, s[4:5]
	v_lshlrev_b32_e32 v2, 24, v2
	v_bfrev_b32_e32 v3, 60
	v_lshlrev_b32_e32 v1, 20, v1
	v_and_b32_e32 v2, 0x80000000, v2
	v_lshl_add_u32 v3, v4, 23, v3
	v_or3_b32 v1, v2, v3, v1
	buffer_store_dword v1, off, s[56:59], 0 offset:76 ; 4-byte Folded Spill
.LBB188_215:                            ;   in Loop: Header=BB188_14 Depth=1
	s_or_b64 exec, exec, s[44:45]
.LBB188_216:                            ;   in Loop: Header=BB188_14 Depth=1
	s_or_b64 exec, exec, s[42:43]
.LBB188_217:                            ;   in Loop: Header=BB188_14 Depth=1
	s_or_b64 exec, exec, s[40:41]
	global_load_ubyte v2, v[55:56], off offset:2052
	s_waitcnt vmcnt(0)
	v_cmp_ne_u16_e64 s[4:5], 0, v2
	s_and_saveexec_b64 s[40:41], s[4:5]
	s_cbranch_execz .LBB188_223
; %bb.218:                              ;   in Loop: Header=BB188_14 Depth=1
	v_cmp_ne_u16_e64 s[4:5], s52, v2
	v_bfrev_b32_e32 v1, 1
	buffer_store_dword v1, off, s[56:59], 0 offset:72 ; 4-byte Folded Spill
	s_and_saveexec_b64 s[42:43], s[4:5]
	s_cbranch_execz .LBB188_222
; %bb.219:                              ;   in Loop: Header=BB188_14 Depth=1
	v_and_b32_e32 v57, 0xffff, v2
	v_and_b32_e32 v3, 0x7f, v57
	v_cmp_ne_u32_e64 s[4:5], s53, v3
	v_mov_b32_e32 v1, 0x7f800001
	buffer_store_dword v1, off, s[56:59], 0 offset:72 ; 4-byte Folded Spill
	s_and_saveexec_b64 s[44:45], s[4:5]
	s_cbranch_execz .LBB188_221
; %bb.220:                              ;   in Loop: Header=BB188_14 Depth=1
	v_and_b32_e32 v5, 7, v57
	v_lshrrev_b32_e32 v6, 3, v3
	v_cmp_gt_u32_e64 s[4:5], 8, v3
	v_ffbh_u32_e32 v3, v5
	v_min_u32_e32 v7, 32, v3
	v_subrev_u32_e32 v3, 28, v7
	v_lshlrev_b64 v[3:4], v3, v[57:58]
	v_sub_u32_e32 v4, 29, v7
	v_and_b32_e32 v3, 7, v3
	v_cndmask_b32_e64 v4, v6, v4, s[4:5]
	v_cndmask_b32_e64 v3, v5, v3, s[4:5]
	v_lshlrev_b32_e32 v2, 24, v2
	v_bfrev_b32_e32 v5, 60
	v_lshlrev_b32_e32 v3, 20, v3
	v_and_b32_e32 v2, 0x80000000, v2
	v_lshl_add_u32 v4, v4, 23, v5
	v_or3_b32 v1, v2, v4, v3
	buffer_store_dword v1, off, s[56:59], 0 offset:72 ; 4-byte Folded Spill
.LBB188_221:                            ;   in Loop: Header=BB188_14 Depth=1
	s_or_b64 exec, exec, s[44:45]
.LBB188_222:                            ;   in Loop: Header=BB188_14 Depth=1
	s_or_b64 exec, exec, s[42:43]
.LBB188_223:                            ;   in Loop: Header=BB188_14 Depth=1
	s_or_b64 exec, exec, s[40:41]
	global_load_ubyte v4, v[55:56], off offset:2056
	v_mov_b32_e32 v47, 0
	v_mov_b32_e32 v36, 0
	s_waitcnt vmcnt(0)
	v_cmp_ne_u16_e64 s[4:5], 0, v4
	s_and_saveexec_b64 s[40:41], s[4:5]
	s_cbranch_execz .LBB188_229
; %bb.224:                              ;   in Loop: Header=BB188_14 Depth=1
	v_cmp_ne_u16_e64 s[4:5], s52, v4
	v_bfrev_b32_e32 v36, 1
	s_and_saveexec_b64 s[42:43], s[4:5]
	s_cbranch_execz .LBB188_228
; %bb.225:                              ;   in Loop: Header=BB188_14 Depth=1
	v_and_b32_e32 v57, 0xffff, v4
	v_and_b32_e32 v5, 0x7f, v57
	v_cmp_ne_u32_e64 s[4:5], s53, v5
	v_mov_b32_e32 v36, 0x7f800001
	s_and_saveexec_b64 s[44:45], s[4:5]
	s_cbranch_execz .LBB188_227
; %bb.226:                              ;   in Loop: Header=BB188_14 Depth=1
	v_and_b32_e32 v3, 7, v57
	v_lshrrev_b32_e32 v7, 3, v5
	v_cmp_gt_u32_e64 s[4:5], 8, v5
	v_ffbh_u32_e32 v5, v3
	v_min_u32_e32 v8, 32, v5
	v_subrev_u32_e32 v5, 28, v8
	v_lshlrev_b64 v[5:6], v5, v[57:58]
	v_sub_u32_e32 v6, 29, v8
	v_and_b32_e32 v5, 7, v5
	v_cndmask_b32_e64 v6, v7, v6, s[4:5]
	v_cndmask_b32_e64 v3, v3, v5, s[4:5]
	v_lshlrev_b32_e32 v4, 24, v4
	v_bfrev_b32_e32 v5, 60
	v_lshlrev_b32_e32 v3, 20, v3
	v_and_b32_e32 v4, 0x80000000, v4
	v_lshl_add_u32 v5, v6, 23, v5
	v_or3_b32 v36, v4, v5, v3
.LBB188_227:                            ;   in Loop: Header=BB188_14 Depth=1
	s_or_b64 exec, exec, s[44:45]
.LBB188_228:                            ;   in Loop: Header=BB188_14 Depth=1
	s_or_b64 exec, exec, s[42:43]
.LBB188_229:                            ;   in Loop: Header=BB188_14 Depth=1
	s_or_b64 exec, exec, s[40:41]
	global_load_ubyte v4, v[55:56], off offset:2060
	s_waitcnt vmcnt(0)
	v_cmp_ne_u16_e64 s[4:5], 0, v4
	s_and_saveexec_b64 s[40:41], s[4:5]
	s_cbranch_execz .LBB188_235
; %bb.230:                              ;   in Loop: Header=BB188_14 Depth=1
	v_cmp_ne_u16_e64 s[4:5], s52, v4
	v_bfrev_b32_e32 v47, 1
	s_and_saveexec_b64 s[42:43], s[4:5]
	s_cbranch_execz .LBB188_234
; %bb.231:                              ;   in Loop: Header=BB188_14 Depth=1
	v_and_b32_e32 v57, 0xffff, v4
	v_and_b32_e32 v5, 0x7f, v57
	v_cmp_ne_u32_e64 s[4:5], s53, v5
	v_mov_b32_e32 v47, 0x7f800001
	s_and_saveexec_b64 s[44:45], s[4:5]
	s_cbranch_execz .LBB188_233
; %bb.232:                              ;   in Loop: Header=BB188_14 Depth=1
	v_and_b32_e32 v2, 7, v57
	v_lshrrev_b32_e32 v7, 3, v5
	v_cmp_gt_u32_e64 s[4:5], 8, v5
	v_ffbh_u32_e32 v5, v2
	v_min_u32_e32 v8, 32, v5
	v_subrev_u32_e32 v5, 28, v8
	v_lshlrev_b64 v[5:6], v5, v[57:58]
	v_sub_u32_e32 v6, 29, v8
	v_and_b32_e32 v5, 7, v5
	v_cndmask_b32_e64 v6, v7, v6, s[4:5]
	v_cndmask_b32_e64 v2, v2, v5, s[4:5]
	v_lshlrev_b32_e32 v4, 24, v4
	v_bfrev_b32_e32 v5, 60
	v_lshlrev_b32_e32 v2, 20, v2
	v_and_b32_e32 v4, 0x80000000, v4
	v_lshl_add_u32 v5, v6, 23, v5
	v_or3_b32 v47, v4, v5, v2
.LBB188_233:                            ;   in Loop: Header=BB188_14 Depth=1
	s_or_b64 exec, exec, s[44:45]
.LBB188_234:                            ;   in Loop: Header=BB188_14 Depth=1
	s_or_b64 exec, exec, s[42:43]
.LBB188_235:                            ;   in Loop: Header=BB188_14 Depth=1
	s_or_b64 exec, exec, s[40:41]
	global_load_ubyte v6, v[55:56], off offset:2304
	v_mov_b32_e32 v35, 0
	v_mov_b32_e32 v5, 0
	s_waitcnt vmcnt(0)
	v_cmp_ne_u16_e64 s[4:5], 0, v6
	s_and_saveexec_b64 s[40:41], s[4:5]
	s_cbranch_execz .LBB188_241
; %bb.236:                              ;   in Loop: Header=BB188_14 Depth=1
	v_cmp_ne_u16_e64 s[4:5], s52, v6
	v_bfrev_b32_e32 v5, 1
	s_and_saveexec_b64 s[42:43], s[4:5]
	s_cbranch_execz .LBB188_240
; %bb.237:                              ;   in Loop: Header=BB188_14 Depth=1
	v_and_b32_e32 v57, 0xffff, v6
	v_and_b32_e32 v7, 0x7f, v57
	v_cmp_ne_u32_e64 s[4:5], s53, v7
	v_mov_b32_e32 v5, 0x7f800001
	s_and_saveexec_b64 s[44:45], s[4:5]
	s_cbranch_execz .LBB188_239
; %bb.238:                              ;   in Loop: Header=BB188_14 Depth=1
	v_and_b32_e32 v5, 7, v57
	v_lshrrev_b32_e32 v9, 3, v7
	v_cmp_gt_u32_e64 s[4:5], 8, v7
	v_ffbh_u32_e32 v7, v5
	v_min_u32_e32 v10, 32, v7
	v_subrev_u32_e32 v7, 28, v10
	v_lshlrev_b64 v[7:8], v7, v[57:58]
	v_sub_u32_e32 v8, 29, v10
	v_and_b32_e32 v7, 7, v7
	v_cndmask_b32_e64 v8, v9, v8, s[4:5]
	v_cndmask_b32_e64 v5, v5, v7, s[4:5]
	v_lshlrev_b32_e32 v6, 24, v6
	v_bfrev_b32_e32 v7, 60
	v_lshlrev_b32_e32 v5, 20, v5
	v_and_b32_e32 v6, 0x80000000, v6
	v_lshl_add_u32 v7, v8, 23, v7
	v_or3_b32 v5, v6, v7, v5
.LBB188_239:                            ;   in Loop: Header=BB188_14 Depth=1
	s_or_b64 exec, exec, s[44:45]
.LBB188_240:                            ;   in Loop: Header=BB188_14 Depth=1
	s_or_b64 exec, exec, s[42:43]
.LBB188_241:                            ;   in Loop: Header=BB188_14 Depth=1
	s_or_b64 exec, exec, s[40:41]
	global_load_ubyte v6, v[55:56], off offset:2308
	s_waitcnt vmcnt(0)
	v_cmp_ne_u16_e64 s[4:5], 0, v6
	s_and_saveexec_b64 s[40:41], s[4:5]
	s_cbranch_execz .LBB188_247
; %bb.242:                              ;   in Loop: Header=BB188_14 Depth=1
	v_cmp_ne_u16_e64 s[4:5], s52, v6
	v_bfrev_b32_e32 v35, 1
	s_and_saveexec_b64 s[42:43], s[4:5]
	s_cbranch_execz .LBB188_246
; %bb.243:                              ;   in Loop: Header=BB188_14 Depth=1
	v_and_b32_e32 v57, 0xffff, v6
	v_and_b32_e32 v7, 0x7f, v57
	v_cmp_ne_u32_e64 s[4:5], s53, v7
	v_mov_b32_e32 v35, 0x7f800001
	s_and_saveexec_b64 s[44:45], s[4:5]
	s_cbranch_execz .LBB188_245
; %bb.244:                              ;   in Loop: Header=BB188_14 Depth=1
	v_and_b32_e32 v4, 7, v57
	v_lshrrev_b32_e32 v9, 3, v7
	v_cmp_gt_u32_e64 s[4:5], 8, v7
	v_ffbh_u32_e32 v7, v4
	v_min_u32_e32 v10, 32, v7
	v_subrev_u32_e32 v7, 28, v10
	v_lshlrev_b64 v[7:8], v7, v[57:58]
	v_sub_u32_e32 v8, 29, v10
	v_and_b32_e32 v7, 7, v7
	v_cndmask_b32_e64 v8, v9, v8, s[4:5]
	v_cndmask_b32_e64 v4, v4, v7, s[4:5]
	v_lshlrev_b32_e32 v6, 24, v6
	v_bfrev_b32_e32 v7, 60
	v_lshlrev_b32_e32 v4, 20, v4
	v_and_b32_e32 v6, 0x80000000, v6
	v_lshl_add_u32 v7, v8, 23, v7
	v_or3_b32 v35, v6, v7, v4
.LBB188_245:                            ;   in Loop: Header=BB188_14 Depth=1
	s_or_b64 exec, exec, s[44:45]
.LBB188_246:                            ;   in Loop: Header=BB188_14 Depth=1
	s_or_b64 exec, exec, s[42:43]
.LBB188_247:                            ;   in Loop: Header=BB188_14 Depth=1
	s_or_b64 exec, exec, s[40:41]
	global_load_ubyte v8, v[55:56], off offset:2312
	v_mov_b32_e32 v6, 0
	v_mov_b32_e32 v7, 0
	s_waitcnt vmcnt(0)
	v_cmp_ne_u16_e64 s[4:5], 0, v8
	s_and_saveexec_b64 s[40:41], s[4:5]
	s_cbranch_execz .LBB188_253
; %bb.248:                              ;   in Loop: Header=BB188_14 Depth=1
	v_cmp_ne_u16_e64 s[4:5], s52, v8
	v_bfrev_b32_e32 v7, 1
	s_and_saveexec_b64 s[42:43], s[4:5]
	s_cbranch_execz .LBB188_252
; %bb.249:                              ;   in Loop: Header=BB188_14 Depth=1
	v_and_b32_e32 v57, 0xffff, v8
	v_and_b32_e32 v9, 0x7f, v57
	v_cmp_ne_u32_e64 s[4:5], s53, v9
	v_mov_b32_e32 v7, 0x7f800001
	s_and_saveexec_b64 s[44:45], s[4:5]
	s_cbranch_execz .LBB188_251
; %bb.250:                              ;   in Loop: Header=BB188_14 Depth=1
	v_and_b32_e32 v7, 7, v57
	v_lshrrev_b32_e32 v11, 3, v9
	v_cmp_gt_u32_e64 s[4:5], 8, v9
	v_ffbh_u32_e32 v9, v7
	v_min_u32_e32 v12, 32, v9
	v_subrev_u32_e32 v9, 28, v12
	v_lshlrev_b64 v[9:10], v9, v[57:58]
	v_sub_u32_e32 v10, 29, v12
	v_and_b32_e32 v9, 7, v9
	v_cndmask_b32_e64 v10, v11, v10, s[4:5]
	v_cndmask_b32_e64 v7, v7, v9, s[4:5]
	v_lshlrev_b32_e32 v8, 24, v8
	v_bfrev_b32_e32 v9, 60
	v_lshlrev_b32_e32 v7, 20, v7
	v_and_b32_e32 v8, 0x80000000, v8
	v_lshl_add_u32 v9, v10, 23, v9
	v_or3_b32 v7, v8, v9, v7
.LBB188_251:                            ;   in Loop: Header=BB188_14 Depth=1
	s_or_b64 exec, exec, s[44:45]
.LBB188_252:                            ;   in Loop: Header=BB188_14 Depth=1
	s_or_b64 exec, exec, s[42:43]
.LBB188_253:                            ;   in Loop: Header=BB188_14 Depth=1
	s_or_b64 exec, exec, s[40:41]
	global_load_ubyte v8, v[55:56], off offset:2316
	s_waitcnt vmcnt(0)
	v_cmp_ne_u16_e64 s[4:5], 0, v8
	s_and_saveexec_b64 s[40:41], s[4:5]
	s_cbranch_execz .LBB188_259
; %bb.254:                              ;   in Loop: Header=BB188_14 Depth=1
	v_cmp_ne_u16_e64 s[4:5], s52, v8
	v_bfrev_b32_e32 v6, 1
	s_and_saveexec_b64 s[42:43], s[4:5]
	s_cbranch_execz .LBB188_258
; %bb.255:                              ;   in Loop: Header=BB188_14 Depth=1
	v_and_b32_e32 v57, 0xffff, v8
	v_and_b32_e32 v9, 0x7f, v57
	v_cmp_ne_u32_e64 s[4:5], s53, v9
	v_mov_b32_e32 v6, 0x7f800001
	s_and_saveexec_b64 s[44:45], s[4:5]
	s_cbranch_execz .LBB188_257
; %bb.256:                              ;   in Loop: Header=BB188_14 Depth=1
	v_and_b32_e32 v6, 7, v57
	v_lshrrev_b32_e32 v11, 3, v9
	v_cmp_gt_u32_e64 s[4:5], 8, v9
	v_ffbh_u32_e32 v9, v6
	v_min_u32_e32 v12, 32, v9
	v_subrev_u32_e32 v9, 28, v12
	v_lshlrev_b64 v[9:10], v9, v[57:58]
	v_sub_u32_e32 v10, 29, v12
	v_and_b32_e32 v9, 7, v9
	v_cndmask_b32_e64 v10, v11, v10, s[4:5]
	v_cndmask_b32_e64 v6, v6, v9, s[4:5]
	v_lshlrev_b32_e32 v8, 24, v8
	v_bfrev_b32_e32 v9, 60
	v_lshlrev_b32_e32 v6, 20, v6
	v_and_b32_e32 v8, 0x80000000, v8
	v_lshl_add_u32 v9, v10, 23, v9
	v_or3_b32 v6, v8, v9, v6
.LBB188_257:                            ;   in Loop: Header=BB188_14 Depth=1
	s_or_b64 exec, exec, s[44:45]
.LBB188_258:                            ;   in Loop: Header=BB188_14 Depth=1
	s_or_b64 exec, exec, s[42:43]
.LBB188_259:                            ;   in Loop: Header=BB188_14 Depth=1
	s_or_b64 exec, exec, s[40:41]
	global_load_ubyte v10, v[55:56], off offset:2560
	v_mov_b32_e32 v8, 0
	v_mov_b32_e32 v9, 0
	s_waitcnt vmcnt(0)
	v_cmp_ne_u16_e64 s[4:5], 0, v10
	s_and_saveexec_b64 s[40:41], s[4:5]
	s_cbranch_execz .LBB188_265
; %bb.260:                              ;   in Loop: Header=BB188_14 Depth=1
	v_cmp_ne_u16_e64 s[4:5], s52, v10
	v_bfrev_b32_e32 v9, 1
	s_and_saveexec_b64 s[42:43], s[4:5]
	s_cbranch_execz .LBB188_264
; %bb.261:                              ;   in Loop: Header=BB188_14 Depth=1
	v_and_b32_e32 v57, 0xffff, v10
	v_and_b32_e32 v11, 0x7f, v57
	v_cmp_ne_u32_e64 s[4:5], s53, v11
	v_mov_b32_e32 v9, 0x7f800001
	s_and_saveexec_b64 s[44:45], s[4:5]
	s_cbranch_execz .LBB188_263
; %bb.262:                              ;   in Loop: Header=BB188_14 Depth=1
	v_and_b32_e32 v9, 7, v57
	v_lshrrev_b32_e32 v13, 3, v11
	v_cmp_gt_u32_e64 s[4:5], 8, v11
	v_ffbh_u32_e32 v11, v9
	v_min_u32_e32 v14, 32, v11
	v_subrev_u32_e32 v11, 28, v14
	v_lshlrev_b64 v[11:12], v11, v[57:58]
	v_sub_u32_e32 v12, 29, v14
	v_and_b32_e32 v11, 7, v11
	v_cndmask_b32_e64 v12, v13, v12, s[4:5]
	v_cndmask_b32_e64 v9, v9, v11, s[4:5]
	v_lshlrev_b32_e32 v10, 24, v10
	v_bfrev_b32_e32 v11, 60
	v_lshlrev_b32_e32 v9, 20, v9
	v_and_b32_e32 v10, 0x80000000, v10
	v_lshl_add_u32 v11, v12, 23, v11
	v_or3_b32 v9, v10, v11, v9
.LBB188_263:                            ;   in Loop: Header=BB188_14 Depth=1
	s_or_b64 exec, exec, s[44:45]
.LBB188_264:                            ;   in Loop: Header=BB188_14 Depth=1
	s_or_b64 exec, exec, s[42:43]
.LBB188_265:                            ;   in Loop: Header=BB188_14 Depth=1
	s_or_b64 exec, exec, s[40:41]
	global_load_ubyte v10, v[55:56], off offset:2564
	s_waitcnt vmcnt(0)
	v_cmp_ne_u16_e64 s[4:5], 0, v10
	s_and_saveexec_b64 s[40:41], s[4:5]
	s_cbranch_execz .LBB188_271
; %bb.266:                              ;   in Loop: Header=BB188_14 Depth=1
	v_cmp_ne_u16_e64 s[4:5], s52, v10
	v_bfrev_b32_e32 v8, 1
	s_and_saveexec_b64 s[42:43], s[4:5]
	s_cbranch_execz .LBB188_270
; %bb.267:                              ;   in Loop: Header=BB188_14 Depth=1
	v_and_b32_e32 v57, 0xffff, v10
	v_and_b32_e32 v11, 0x7f, v57
	v_cmp_ne_u32_e64 s[4:5], s53, v11
	v_mov_b32_e32 v8, 0x7f800001
	s_and_saveexec_b64 s[44:45], s[4:5]
	s_cbranch_execz .LBB188_269
; %bb.268:                              ;   in Loop: Header=BB188_14 Depth=1
	v_and_b32_e32 v8, 7, v57
	v_lshrrev_b32_e32 v13, 3, v11
	v_cmp_gt_u32_e64 s[4:5], 8, v11
	v_ffbh_u32_e32 v11, v8
	v_min_u32_e32 v14, 32, v11
	v_subrev_u32_e32 v11, 28, v14
	v_lshlrev_b64 v[11:12], v11, v[57:58]
	v_sub_u32_e32 v12, 29, v14
	v_and_b32_e32 v11, 7, v11
	v_cndmask_b32_e64 v12, v13, v12, s[4:5]
	v_cndmask_b32_e64 v8, v8, v11, s[4:5]
	v_lshlrev_b32_e32 v10, 24, v10
	v_bfrev_b32_e32 v11, 60
	v_lshlrev_b32_e32 v8, 20, v8
	v_and_b32_e32 v10, 0x80000000, v10
	v_lshl_add_u32 v11, v12, 23, v11
	v_or3_b32 v8, v10, v11, v8
.LBB188_269:                            ;   in Loop: Header=BB188_14 Depth=1
	s_or_b64 exec, exec, s[44:45]
.LBB188_270:                            ;   in Loop: Header=BB188_14 Depth=1
	s_or_b64 exec, exec, s[42:43]
.LBB188_271:                            ;   in Loop: Header=BB188_14 Depth=1
	s_or_b64 exec, exec, s[40:41]
	global_load_ubyte v12, v[55:56], off offset:2568
	v_mov_b32_e32 v10, 0
	v_mov_b32_e32 v11, 0
	s_waitcnt vmcnt(0)
	v_cmp_ne_u16_e64 s[4:5], 0, v12
	s_and_saveexec_b64 s[40:41], s[4:5]
	s_cbranch_execz .LBB188_277
; %bb.272:                              ;   in Loop: Header=BB188_14 Depth=1
	v_cmp_ne_u16_e64 s[4:5], s52, v12
	v_bfrev_b32_e32 v11, 1
	s_and_saveexec_b64 s[42:43], s[4:5]
	s_cbranch_execz .LBB188_276
; %bb.273:                              ;   in Loop: Header=BB188_14 Depth=1
	v_and_b32_e32 v57, 0xffff, v12
	v_and_b32_e32 v13, 0x7f, v57
	v_cmp_ne_u32_e64 s[4:5], s53, v13
	v_mov_b32_e32 v11, 0x7f800001
	s_and_saveexec_b64 s[44:45], s[4:5]
	s_cbranch_execz .LBB188_275
; %bb.274:                              ;   in Loop: Header=BB188_14 Depth=1
	v_and_b32_e32 v11, 7, v57
	v_lshrrev_b32_e32 v15, 3, v13
	v_cmp_gt_u32_e64 s[4:5], 8, v13
	v_ffbh_u32_e32 v13, v11
	v_min_u32_e32 v16, 32, v13
	v_subrev_u32_e32 v13, 28, v16
	v_lshlrev_b64 v[13:14], v13, v[57:58]
	v_sub_u32_e32 v14, 29, v16
	v_and_b32_e32 v13, 7, v13
	v_cndmask_b32_e64 v14, v15, v14, s[4:5]
	v_cndmask_b32_e64 v11, v11, v13, s[4:5]
	v_lshlrev_b32_e32 v12, 24, v12
	v_bfrev_b32_e32 v13, 60
	v_lshlrev_b32_e32 v11, 20, v11
	v_and_b32_e32 v12, 0x80000000, v12
	v_lshl_add_u32 v13, v14, 23, v13
	v_or3_b32 v11, v12, v13, v11
.LBB188_275:                            ;   in Loop: Header=BB188_14 Depth=1
	s_or_b64 exec, exec, s[44:45]
.LBB188_276:                            ;   in Loop: Header=BB188_14 Depth=1
	s_or_b64 exec, exec, s[42:43]
.LBB188_277:                            ;   in Loop: Header=BB188_14 Depth=1
	s_or_b64 exec, exec, s[40:41]
	global_load_ubyte v12, v[55:56], off offset:2572
	s_waitcnt vmcnt(0)
	v_cmp_ne_u16_e64 s[4:5], 0, v12
	s_and_saveexec_b64 s[40:41], s[4:5]
	s_cbranch_execz .LBB188_283
; %bb.278:                              ;   in Loop: Header=BB188_14 Depth=1
	v_cmp_ne_u16_e64 s[4:5], s52, v12
	v_bfrev_b32_e32 v10, 1
	s_and_saveexec_b64 s[42:43], s[4:5]
	s_cbranch_execz .LBB188_282
; %bb.279:                              ;   in Loop: Header=BB188_14 Depth=1
	v_and_b32_e32 v57, 0xffff, v12
	v_and_b32_e32 v13, 0x7f, v57
	v_cmp_ne_u32_e64 s[4:5], s53, v13
	v_mov_b32_e32 v10, 0x7f800001
	s_and_saveexec_b64 s[44:45], s[4:5]
	s_cbranch_execz .LBB188_281
; %bb.280:                              ;   in Loop: Header=BB188_14 Depth=1
	v_and_b32_e32 v10, 7, v57
	v_lshrrev_b32_e32 v15, 3, v13
	v_cmp_gt_u32_e64 s[4:5], 8, v13
	v_ffbh_u32_e32 v13, v10
	v_min_u32_e32 v16, 32, v13
	v_subrev_u32_e32 v13, 28, v16
	v_lshlrev_b64 v[13:14], v13, v[57:58]
	v_sub_u32_e32 v14, 29, v16
	v_and_b32_e32 v13, 7, v13
	v_cndmask_b32_e64 v14, v15, v14, s[4:5]
	v_cndmask_b32_e64 v10, v10, v13, s[4:5]
	v_lshlrev_b32_e32 v12, 24, v12
	v_bfrev_b32_e32 v13, 60
	v_lshlrev_b32_e32 v10, 20, v10
	v_and_b32_e32 v12, 0x80000000, v12
	v_lshl_add_u32 v13, v14, 23, v13
	v_or3_b32 v10, v12, v13, v10
.LBB188_281:                            ;   in Loop: Header=BB188_14 Depth=1
	s_or_b64 exec, exec, s[44:45]
.LBB188_282:                            ;   in Loop: Header=BB188_14 Depth=1
	s_or_b64 exec, exec, s[42:43]
.LBB188_283:                            ;   in Loop: Header=BB188_14 Depth=1
	s_or_b64 exec, exec, s[40:41]
	global_load_ubyte v14, v[55:56], off offset:2816
	v_mov_b32_e32 v12, 0
	v_mov_b32_e32 v13, 0
	s_waitcnt vmcnt(0)
	v_cmp_ne_u16_e64 s[4:5], 0, v14
	s_and_saveexec_b64 s[40:41], s[4:5]
	s_cbranch_execz .LBB188_289
; %bb.284:                              ;   in Loop: Header=BB188_14 Depth=1
	v_cmp_ne_u16_e64 s[4:5], s52, v14
	v_bfrev_b32_e32 v13, 1
	s_and_saveexec_b64 s[42:43], s[4:5]
	s_cbranch_execz .LBB188_288
; %bb.285:                              ;   in Loop: Header=BB188_14 Depth=1
	v_and_b32_e32 v57, 0xffff, v14
	v_and_b32_e32 v15, 0x7f, v57
	v_cmp_ne_u32_e64 s[4:5], s53, v15
	v_mov_b32_e32 v13, 0x7f800001
	s_and_saveexec_b64 s[44:45], s[4:5]
	s_cbranch_execz .LBB188_287
; %bb.286:                              ;   in Loop: Header=BB188_14 Depth=1
	v_and_b32_e32 v13, 7, v57
	v_lshrrev_b32_e32 v17, 3, v15
	v_cmp_gt_u32_e64 s[4:5], 8, v15
	v_ffbh_u32_e32 v15, v13
	v_min_u32_e32 v18, 32, v15
	v_subrev_u32_e32 v15, 28, v18
	v_lshlrev_b64 v[15:16], v15, v[57:58]
	v_sub_u32_e32 v16, 29, v18
	v_and_b32_e32 v15, 7, v15
	v_cndmask_b32_e64 v16, v17, v16, s[4:5]
	v_cndmask_b32_e64 v13, v13, v15, s[4:5]
	v_lshlrev_b32_e32 v14, 24, v14
	v_bfrev_b32_e32 v15, 60
	v_lshlrev_b32_e32 v13, 20, v13
	v_and_b32_e32 v14, 0x80000000, v14
	v_lshl_add_u32 v15, v16, 23, v15
	v_or3_b32 v13, v14, v15, v13
.LBB188_287:                            ;   in Loop: Header=BB188_14 Depth=1
	s_or_b64 exec, exec, s[44:45]
.LBB188_288:                            ;   in Loop: Header=BB188_14 Depth=1
	s_or_b64 exec, exec, s[42:43]
.LBB188_289:                            ;   in Loop: Header=BB188_14 Depth=1
	s_or_b64 exec, exec, s[40:41]
	global_load_ubyte v14, v[55:56], off offset:2820
	s_waitcnt vmcnt(0)
	v_cmp_ne_u16_e64 s[4:5], 0, v14
	s_and_saveexec_b64 s[40:41], s[4:5]
	s_cbranch_execz .LBB188_295
; %bb.290:                              ;   in Loop: Header=BB188_14 Depth=1
	v_cmp_ne_u16_e64 s[4:5], s52, v14
	v_bfrev_b32_e32 v12, 1
	s_and_saveexec_b64 s[42:43], s[4:5]
	s_cbranch_execz .LBB188_294
; %bb.291:                              ;   in Loop: Header=BB188_14 Depth=1
	v_and_b32_e32 v57, 0xffff, v14
	v_and_b32_e32 v15, 0x7f, v57
	v_cmp_ne_u32_e64 s[4:5], s53, v15
	v_mov_b32_e32 v12, 0x7f800001
	s_and_saveexec_b64 s[44:45], s[4:5]
	s_cbranch_execz .LBB188_293
; %bb.292:                              ;   in Loop: Header=BB188_14 Depth=1
	v_and_b32_e32 v12, 7, v57
	v_lshrrev_b32_e32 v17, 3, v15
	v_cmp_gt_u32_e64 s[4:5], 8, v15
	v_ffbh_u32_e32 v15, v12
	v_min_u32_e32 v18, 32, v15
	v_subrev_u32_e32 v15, 28, v18
	v_lshlrev_b64 v[15:16], v15, v[57:58]
	v_sub_u32_e32 v16, 29, v18
	v_and_b32_e32 v15, 7, v15
	v_cndmask_b32_e64 v16, v17, v16, s[4:5]
	v_cndmask_b32_e64 v12, v12, v15, s[4:5]
	v_lshlrev_b32_e32 v14, 24, v14
	v_bfrev_b32_e32 v15, 60
	v_lshlrev_b32_e32 v12, 20, v12
	v_and_b32_e32 v14, 0x80000000, v14
	v_lshl_add_u32 v15, v16, 23, v15
	v_or3_b32 v12, v14, v15, v12
.LBB188_293:                            ;   in Loop: Header=BB188_14 Depth=1
	s_or_b64 exec, exec, s[44:45]
.LBB188_294:                            ;   in Loop: Header=BB188_14 Depth=1
	s_or_b64 exec, exec, s[42:43]
.LBB188_295:                            ;   in Loop: Header=BB188_14 Depth=1
	s_or_b64 exec, exec, s[40:41]
	global_load_ubyte v16, v[55:56], off offset:2824
	v_mov_b32_e32 v14, 0
	v_mov_b32_e32 v15, 0
	s_waitcnt vmcnt(0)
	v_cmp_ne_u16_e64 s[4:5], 0, v16
	s_and_saveexec_b64 s[40:41], s[4:5]
	s_cbranch_execz .LBB188_301
; %bb.296:                              ;   in Loop: Header=BB188_14 Depth=1
	v_cmp_ne_u16_e64 s[4:5], s52, v16
	v_bfrev_b32_e32 v15, 1
	s_and_saveexec_b64 s[42:43], s[4:5]
	s_cbranch_execz .LBB188_300
; %bb.297:                              ;   in Loop: Header=BB188_14 Depth=1
	v_and_b32_e32 v57, 0xffff, v16
	v_and_b32_e32 v17, 0x7f, v57
	v_cmp_ne_u32_e64 s[4:5], s53, v17
	v_mov_b32_e32 v15, 0x7f800001
	s_and_saveexec_b64 s[44:45], s[4:5]
	s_cbranch_execz .LBB188_299
; %bb.298:                              ;   in Loop: Header=BB188_14 Depth=1
	v_and_b32_e32 v15, 7, v57
	v_lshrrev_b32_e32 v19, 3, v17
	v_cmp_gt_u32_e64 s[4:5], 8, v17
	v_ffbh_u32_e32 v17, v15
	v_min_u32_e32 v20, 32, v17
	v_subrev_u32_e32 v17, 28, v20
	v_lshlrev_b64 v[17:18], v17, v[57:58]
	v_sub_u32_e32 v18, 29, v20
	v_and_b32_e32 v17, 7, v17
	v_cndmask_b32_e64 v18, v19, v18, s[4:5]
	v_cndmask_b32_e64 v15, v15, v17, s[4:5]
	v_lshlrev_b32_e32 v16, 24, v16
	v_bfrev_b32_e32 v17, 60
	v_lshlrev_b32_e32 v15, 20, v15
	v_and_b32_e32 v16, 0x80000000, v16
	v_lshl_add_u32 v17, v18, 23, v17
	v_or3_b32 v15, v16, v17, v15
.LBB188_299:                            ;   in Loop: Header=BB188_14 Depth=1
	s_or_b64 exec, exec, s[44:45]
.LBB188_300:                            ;   in Loop: Header=BB188_14 Depth=1
	s_or_b64 exec, exec, s[42:43]
.LBB188_301:                            ;   in Loop: Header=BB188_14 Depth=1
	s_or_b64 exec, exec, s[40:41]
	global_load_ubyte v16, v[55:56], off offset:2828
	s_waitcnt vmcnt(0)
	v_cmp_ne_u16_e64 s[4:5], 0, v16
	s_and_saveexec_b64 s[40:41], s[4:5]
	s_cbranch_execz .LBB188_307
; %bb.302:                              ;   in Loop: Header=BB188_14 Depth=1
	v_cmp_ne_u16_e64 s[4:5], s52, v16
	v_bfrev_b32_e32 v14, 1
	s_and_saveexec_b64 s[42:43], s[4:5]
	s_cbranch_execz .LBB188_306
; %bb.303:                              ;   in Loop: Header=BB188_14 Depth=1
	v_and_b32_e32 v57, 0xffff, v16
	v_and_b32_e32 v17, 0x7f, v57
	v_cmp_ne_u32_e64 s[4:5], s53, v17
	v_mov_b32_e32 v14, 0x7f800001
	s_and_saveexec_b64 s[44:45], s[4:5]
	s_cbranch_execz .LBB188_305
; %bb.304:                              ;   in Loop: Header=BB188_14 Depth=1
	v_and_b32_e32 v14, 7, v57
	v_lshrrev_b32_e32 v19, 3, v17
	v_cmp_gt_u32_e64 s[4:5], 8, v17
	v_ffbh_u32_e32 v17, v14
	v_min_u32_e32 v20, 32, v17
	v_subrev_u32_e32 v17, 28, v20
	v_lshlrev_b64 v[17:18], v17, v[57:58]
	v_sub_u32_e32 v18, 29, v20
	v_and_b32_e32 v17, 7, v17
	v_cndmask_b32_e64 v18, v19, v18, s[4:5]
	v_cndmask_b32_e64 v14, v14, v17, s[4:5]
	v_lshlrev_b32_e32 v16, 24, v16
	v_bfrev_b32_e32 v17, 60
	v_lshlrev_b32_e32 v14, 20, v14
	v_and_b32_e32 v16, 0x80000000, v16
	v_lshl_add_u32 v17, v18, 23, v17
	v_or3_b32 v14, v16, v17, v14
.LBB188_305:                            ;   in Loop: Header=BB188_14 Depth=1
	s_or_b64 exec, exec, s[44:45]
.LBB188_306:                            ;   in Loop: Header=BB188_14 Depth=1
	s_or_b64 exec, exec, s[42:43]
.LBB188_307:                            ;   in Loop: Header=BB188_14 Depth=1
	s_or_b64 exec, exec, s[40:41]
	global_load_ubyte v18, v[55:56], off offset:3072
	v_mov_b32_e32 v16, 0
	v_mov_b32_e32 v17, 0
	s_waitcnt vmcnt(0)
	v_cmp_ne_u16_e64 s[4:5], 0, v18
	s_and_saveexec_b64 s[40:41], s[4:5]
	s_cbranch_execz .LBB188_313
; %bb.308:                              ;   in Loop: Header=BB188_14 Depth=1
	v_cmp_ne_u16_e64 s[4:5], s52, v18
	v_bfrev_b32_e32 v17, 1
	s_and_saveexec_b64 s[42:43], s[4:5]
	s_cbranch_execz .LBB188_312
; %bb.309:                              ;   in Loop: Header=BB188_14 Depth=1
	v_and_b32_e32 v57, 0xffff, v18
	v_and_b32_e32 v19, 0x7f, v57
	v_cmp_ne_u32_e64 s[4:5], s53, v19
	v_mov_b32_e32 v17, 0x7f800001
	s_and_saveexec_b64 s[44:45], s[4:5]
	s_cbranch_execz .LBB188_311
; %bb.310:                              ;   in Loop: Header=BB188_14 Depth=1
	v_and_b32_e32 v17, 7, v57
	v_lshrrev_b32_e32 v21, 3, v19
	v_cmp_gt_u32_e64 s[4:5], 8, v19
	v_ffbh_u32_e32 v19, v17
	v_min_u32_e32 v22, 32, v19
	v_subrev_u32_e32 v19, 28, v22
	v_lshlrev_b64 v[19:20], v19, v[57:58]
	v_sub_u32_e32 v20, 29, v22
	v_and_b32_e32 v19, 7, v19
	v_cndmask_b32_e64 v20, v21, v20, s[4:5]
	v_cndmask_b32_e64 v17, v17, v19, s[4:5]
	v_lshlrev_b32_e32 v18, 24, v18
	v_bfrev_b32_e32 v19, 60
	v_lshlrev_b32_e32 v17, 20, v17
	v_and_b32_e32 v18, 0x80000000, v18
	v_lshl_add_u32 v19, v20, 23, v19
	v_or3_b32 v17, v18, v19, v17
.LBB188_311:                            ;   in Loop: Header=BB188_14 Depth=1
	s_or_b64 exec, exec, s[44:45]
.LBB188_312:                            ;   in Loop: Header=BB188_14 Depth=1
	s_or_b64 exec, exec, s[42:43]
.LBB188_313:                            ;   in Loop: Header=BB188_14 Depth=1
	s_or_b64 exec, exec, s[40:41]
	global_load_ubyte v18, v[55:56], off offset:3076
	s_waitcnt vmcnt(0)
	v_cmp_ne_u16_e64 s[4:5], 0, v18
	s_and_saveexec_b64 s[40:41], s[4:5]
	s_cbranch_execz .LBB188_319
; %bb.314:                              ;   in Loop: Header=BB188_14 Depth=1
	v_cmp_ne_u16_e64 s[4:5], s52, v18
	v_bfrev_b32_e32 v16, 1
	s_and_saveexec_b64 s[42:43], s[4:5]
	s_cbranch_execz .LBB188_318
; %bb.315:                              ;   in Loop: Header=BB188_14 Depth=1
	v_and_b32_e32 v57, 0xffff, v18
	v_and_b32_e32 v19, 0x7f, v57
	v_cmp_ne_u32_e64 s[4:5], s53, v19
	v_mov_b32_e32 v16, 0x7f800001
	s_and_saveexec_b64 s[44:45], s[4:5]
	s_cbranch_execz .LBB188_317
; %bb.316:                              ;   in Loop: Header=BB188_14 Depth=1
	v_and_b32_e32 v16, 7, v57
	v_lshrrev_b32_e32 v21, 3, v19
	v_cmp_gt_u32_e64 s[4:5], 8, v19
	v_ffbh_u32_e32 v19, v16
	v_min_u32_e32 v22, 32, v19
	v_subrev_u32_e32 v19, 28, v22
	v_lshlrev_b64 v[19:20], v19, v[57:58]
	v_sub_u32_e32 v20, 29, v22
	v_and_b32_e32 v19, 7, v19
	v_cndmask_b32_e64 v20, v21, v20, s[4:5]
	v_cndmask_b32_e64 v16, v16, v19, s[4:5]
	v_lshlrev_b32_e32 v18, 24, v18
	v_bfrev_b32_e32 v19, 60
	v_lshlrev_b32_e32 v16, 20, v16
	v_and_b32_e32 v18, 0x80000000, v18
	v_lshl_add_u32 v19, v20, 23, v19
	v_or3_b32 v16, v18, v19, v16
.LBB188_317:                            ;   in Loop: Header=BB188_14 Depth=1
	s_or_b64 exec, exec, s[44:45]
.LBB188_318:                            ;   in Loop: Header=BB188_14 Depth=1
	s_or_b64 exec, exec, s[42:43]
.LBB188_319:                            ;   in Loop: Header=BB188_14 Depth=1
	s_or_b64 exec, exec, s[40:41]
	global_load_ubyte v20, v[55:56], off offset:3080
	v_mov_b32_e32 v18, 0
	v_mov_b32_e32 v19, 0
	s_waitcnt vmcnt(0)
	v_cmp_ne_u16_e64 s[4:5], 0, v20
	s_and_saveexec_b64 s[40:41], s[4:5]
	s_cbranch_execz .LBB188_325
; %bb.320:                              ;   in Loop: Header=BB188_14 Depth=1
	v_cmp_ne_u16_e64 s[4:5], s52, v20
	v_bfrev_b32_e32 v19, 1
	s_and_saveexec_b64 s[42:43], s[4:5]
	s_cbranch_execz .LBB188_324
; %bb.321:                              ;   in Loop: Header=BB188_14 Depth=1
	v_and_b32_e32 v57, 0xffff, v20
	v_and_b32_e32 v21, 0x7f, v57
	v_cmp_ne_u32_e64 s[4:5], s53, v21
	v_mov_b32_e32 v19, 0x7f800001
	s_and_saveexec_b64 s[44:45], s[4:5]
	s_cbranch_execz .LBB188_323
; %bb.322:                              ;   in Loop: Header=BB188_14 Depth=1
	v_and_b32_e32 v19, 7, v57
	v_lshrrev_b32_e32 v23, 3, v21
	v_cmp_gt_u32_e64 s[4:5], 8, v21
	v_ffbh_u32_e32 v21, v19
	v_min_u32_e32 v24, 32, v21
	v_subrev_u32_e32 v21, 28, v24
	v_lshlrev_b64 v[21:22], v21, v[57:58]
	v_sub_u32_e32 v22, 29, v24
	v_and_b32_e32 v21, 7, v21
	v_cndmask_b32_e64 v22, v23, v22, s[4:5]
	v_cndmask_b32_e64 v19, v19, v21, s[4:5]
	v_lshlrev_b32_e32 v20, 24, v20
	v_bfrev_b32_e32 v21, 60
	v_lshlrev_b32_e32 v19, 20, v19
	v_and_b32_e32 v20, 0x80000000, v20
	v_lshl_add_u32 v21, v22, 23, v21
	v_or3_b32 v19, v20, v21, v19
.LBB188_323:                            ;   in Loop: Header=BB188_14 Depth=1
	s_or_b64 exec, exec, s[44:45]
.LBB188_324:                            ;   in Loop: Header=BB188_14 Depth=1
	s_or_b64 exec, exec, s[42:43]
.LBB188_325:                            ;   in Loop: Header=BB188_14 Depth=1
	s_or_b64 exec, exec, s[40:41]
	global_load_ubyte v20, v[55:56], off offset:3084
	s_waitcnt vmcnt(0)
	v_cmp_ne_u16_e64 s[4:5], 0, v20
	s_and_saveexec_b64 s[40:41], s[4:5]
	s_cbranch_execz .LBB188_331
; %bb.326:                              ;   in Loop: Header=BB188_14 Depth=1
	v_cmp_ne_u16_e64 s[4:5], s52, v20
	v_bfrev_b32_e32 v18, 1
	s_and_saveexec_b64 s[42:43], s[4:5]
	s_cbranch_execz .LBB188_330
; %bb.327:                              ;   in Loop: Header=BB188_14 Depth=1
	v_and_b32_e32 v57, 0xffff, v20
	v_and_b32_e32 v21, 0x7f, v57
	v_cmp_ne_u32_e64 s[4:5], s53, v21
	v_mov_b32_e32 v18, 0x7f800001
	s_and_saveexec_b64 s[44:45], s[4:5]
	s_cbranch_execz .LBB188_329
; %bb.328:                              ;   in Loop: Header=BB188_14 Depth=1
	v_and_b32_e32 v18, 7, v57
	v_lshrrev_b32_e32 v23, 3, v21
	v_cmp_gt_u32_e64 s[4:5], 8, v21
	v_ffbh_u32_e32 v21, v18
	v_min_u32_e32 v24, 32, v21
	v_subrev_u32_e32 v21, 28, v24
	v_lshlrev_b64 v[21:22], v21, v[57:58]
	v_sub_u32_e32 v22, 29, v24
	v_and_b32_e32 v21, 7, v21
	v_cndmask_b32_e64 v22, v23, v22, s[4:5]
	v_cndmask_b32_e64 v18, v18, v21, s[4:5]
	v_lshlrev_b32_e32 v20, 24, v20
	v_bfrev_b32_e32 v21, 60
	v_lshlrev_b32_e32 v18, 20, v18
	v_and_b32_e32 v20, 0x80000000, v20
	v_lshl_add_u32 v21, v22, 23, v21
	v_or3_b32 v18, v20, v21, v18
.LBB188_329:                            ;   in Loop: Header=BB188_14 Depth=1
	s_or_b64 exec, exec, s[44:45]
.LBB188_330:                            ;   in Loop: Header=BB188_14 Depth=1
	s_or_b64 exec, exec, s[42:43]
.LBB188_331:                            ;   in Loop: Header=BB188_14 Depth=1
	s_or_b64 exec, exec, s[40:41]
	global_load_ubyte v21, v[55:56], off offset:3328
	v_mov_b32_e32 v20, 0
	v_mov_b32_e32 v50, 0
	s_waitcnt vmcnt(0)
	v_cmp_ne_u16_e64 s[4:5], 0, v21
	s_and_saveexec_b64 s[40:41], s[4:5]
	s_cbranch_execz .LBB188_337
; %bb.332:                              ;   in Loop: Header=BB188_14 Depth=1
	v_cmp_ne_u16_e64 s[4:5], s52, v21
	v_bfrev_b32_e32 v50, 1
	s_and_saveexec_b64 s[42:43], s[4:5]
	s_cbranch_execz .LBB188_336
; %bb.333:                              ;   in Loop: Header=BB188_14 Depth=1
	v_and_b32_e32 v57, 0xffff, v21
	v_and_b32_e32 v22, 0x7f, v57
	v_cmp_ne_u32_e64 s[4:5], s53, v22
	v_mov_b32_e32 v50, 0x7f800001
	s_and_saveexec_b64 s[44:45], s[4:5]
	s_cbranch_execz .LBB188_335
; %bb.334:                              ;   in Loop: Header=BB188_14 Depth=1
	v_and_b32_e32 v24, 7, v57
	v_lshrrev_b32_e32 v25, 3, v22
	v_cmp_gt_u32_e64 s[4:5], 8, v22
	v_ffbh_u32_e32 v22, v24
	v_min_u32_e32 v26, 32, v22
	v_subrev_u32_e32 v22, 28, v26
	v_lshlrev_b64 v[22:23], v22, v[57:58]
	v_sub_u32_e32 v23, 29, v26
	v_and_b32_e32 v22, 7, v22
	v_cndmask_b32_e64 v23, v25, v23, s[4:5]
	v_cndmask_b32_e64 v22, v24, v22, s[4:5]
	v_lshlrev_b32_e32 v21, 24, v21
	v_bfrev_b32_e32 v24, 60
	v_lshlrev_b32_e32 v22, 20, v22
	v_and_b32_e32 v21, 0x80000000, v21
	v_lshl_add_u32 v23, v23, 23, v24
	v_or3_b32 v50, v21, v23, v22
.LBB188_335:                            ;   in Loop: Header=BB188_14 Depth=1
	s_or_b64 exec, exec, s[44:45]
.LBB188_336:                            ;   in Loop: Header=BB188_14 Depth=1
	s_or_b64 exec, exec, s[42:43]
.LBB188_337:                            ;   in Loop: Header=BB188_14 Depth=1
	s_or_b64 exec, exec, s[40:41]
	global_load_ubyte v21, v[55:56], off offset:3332
	s_waitcnt vmcnt(0)
	v_cmp_ne_u16_e64 s[4:5], 0, v21
	s_and_saveexec_b64 s[40:41], s[4:5]
	s_cbranch_execz .LBB188_343
; %bb.338:                              ;   in Loop: Header=BB188_14 Depth=1
	v_cmp_ne_u16_e64 s[4:5], s52, v21
	v_bfrev_b32_e32 v20, 1
	s_and_saveexec_b64 s[42:43], s[4:5]
	s_cbranch_execz .LBB188_342
; %bb.339:                              ;   in Loop: Header=BB188_14 Depth=1
	v_and_b32_e32 v57, 0xffff, v21
	v_and_b32_e32 v22, 0x7f, v57
	v_cmp_ne_u32_e64 s[4:5], s53, v22
	v_mov_b32_e32 v20, 0x7f800001
	s_and_saveexec_b64 s[44:45], s[4:5]
	s_cbranch_execz .LBB188_341
; %bb.340:                              ;   in Loop: Header=BB188_14 Depth=1
	v_and_b32_e32 v20, 7, v57
	v_lshrrev_b32_e32 v24, 3, v22
	v_cmp_gt_u32_e64 s[4:5], 8, v22
	v_ffbh_u32_e32 v22, v20
	v_min_u32_e32 v25, 32, v22
	v_subrev_u32_e32 v22, 28, v25
	v_lshlrev_b64 v[22:23], v22, v[57:58]
	v_sub_u32_e32 v23, 29, v25
	v_and_b32_e32 v22, 7, v22
	v_cndmask_b32_e64 v23, v24, v23, s[4:5]
	v_cndmask_b32_e64 v20, v20, v22, s[4:5]
	v_lshlrev_b32_e32 v21, 24, v21
	v_bfrev_b32_e32 v22, 60
	v_lshlrev_b32_e32 v20, 20, v20
	v_and_b32_e32 v21, 0x80000000, v21
	v_lshl_add_u32 v22, v23, 23, v22
	v_or3_b32 v20, v21, v22, v20
.LBB188_341:                            ;   in Loop: Header=BB188_14 Depth=1
	s_or_b64 exec, exec, s[44:45]
.LBB188_342:                            ;   in Loop: Header=BB188_14 Depth=1
	s_or_b64 exec, exec, s[42:43]
.LBB188_343:                            ;   in Loop: Header=BB188_14 Depth=1
	s_or_b64 exec, exec, s[40:41]
	global_load_ubyte v23, v[55:56], off offset:3336
	v_mov_b32_e32 v21, 0
	v_mov_b32_e32 v22, 0
	s_waitcnt vmcnt(0)
	v_cmp_ne_u16_e64 s[4:5], 0, v23
	s_and_saveexec_b64 s[40:41], s[4:5]
	s_cbranch_execz .LBB188_349
; %bb.344:                              ;   in Loop: Header=BB188_14 Depth=1
	v_cmp_ne_u16_e64 s[4:5], s52, v23
	v_bfrev_b32_e32 v22, 1
	s_and_saveexec_b64 s[42:43], s[4:5]
	s_cbranch_execz .LBB188_348
; %bb.345:                              ;   in Loop: Header=BB188_14 Depth=1
	v_and_b32_e32 v57, 0xffff, v23
	v_and_b32_e32 v24, 0x7f, v57
	v_cmp_ne_u32_e64 s[4:5], s53, v24
	v_mov_b32_e32 v22, 0x7f800001
	s_and_saveexec_b64 s[44:45], s[4:5]
	s_cbranch_execz .LBB188_347
; %bb.346:                              ;   in Loop: Header=BB188_14 Depth=1
	v_and_b32_e32 v22, 7, v57
	v_lshrrev_b32_e32 v26, 3, v24
	v_cmp_gt_u32_e64 s[4:5], 8, v24
	v_ffbh_u32_e32 v24, v22
	v_min_u32_e32 v27, 32, v24
	v_subrev_u32_e32 v24, 28, v27
	v_lshlrev_b64 v[24:25], v24, v[57:58]
	v_sub_u32_e32 v25, 29, v27
	v_and_b32_e32 v24, 7, v24
	v_cndmask_b32_e64 v25, v26, v25, s[4:5]
	v_cndmask_b32_e64 v22, v22, v24, s[4:5]
	v_lshlrev_b32_e32 v23, 24, v23
	v_bfrev_b32_e32 v24, 60
	v_lshlrev_b32_e32 v22, 20, v22
	v_and_b32_e32 v23, 0x80000000, v23
	v_lshl_add_u32 v24, v25, 23, v24
	v_or3_b32 v22, v23, v24, v22
.LBB188_347:                            ;   in Loop: Header=BB188_14 Depth=1
	s_or_b64 exec, exec, s[44:45]
.LBB188_348:                            ;   in Loop: Header=BB188_14 Depth=1
	s_or_b64 exec, exec, s[42:43]
.LBB188_349:                            ;   in Loop: Header=BB188_14 Depth=1
	s_or_b64 exec, exec, s[40:41]
	global_load_ubyte v23, v[55:56], off offset:3340
	s_waitcnt vmcnt(0)
	v_cmp_ne_u16_e64 s[4:5], 0, v23
	s_and_saveexec_b64 s[40:41], s[4:5]
	s_cbranch_execz .LBB188_355
; %bb.350:                              ;   in Loop: Header=BB188_14 Depth=1
	v_cmp_ne_u16_e64 s[4:5], s52, v23
	v_bfrev_b32_e32 v21, 1
	s_and_saveexec_b64 s[42:43], s[4:5]
	s_cbranch_execz .LBB188_354
; %bb.351:                              ;   in Loop: Header=BB188_14 Depth=1
	v_and_b32_e32 v57, 0xffff, v23
	v_and_b32_e32 v24, 0x7f, v57
	v_cmp_ne_u32_e64 s[4:5], s53, v24
	v_mov_b32_e32 v21, 0x7f800001
	s_and_saveexec_b64 s[44:45], s[4:5]
	s_cbranch_execz .LBB188_353
; %bb.352:                              ;   in Loop: Header=BB188_14 Depth=1
	v_and_b32_e32 v21, 7, v57
	v_lshrrev_b32_e32 v26, 3, v24
	v_cmp_gt_u32_e64 s[4:5], 8, v24
	v_ffbh_u32_e32 v24, v21
	v_min_u32_e32 v27, 32, v24
	v_subrev_u32_e32 v24, 28, v27
	v_lshlrev_b64 v[24:25], v24, v[57:58]
	v_sub_u32_e32 v25, 29, v27
	v_and_b32_e32 v24, 7, v24
	v_cndmask_b32_e64 v25, v26, v25, s[4:5]
	v_cndmask_b32_e64 v21, v21, v24, s[4:5]
	v_lshlrev_b32_e32 v23, 24, v23
	v_bfrev_b32_e32 v24, 60
	v_lshlrev_b32_e32 v21, 20, v21
	v_and_b32_e32 v23, 0x80000000, v23
	v_lshl_add_u32 v24, v25, 23, v24
	v_or3_b32 v21, v23, v24, v21
.LBB188_353:                            ;   in Loop: Header=BB188_14 Depth=1
	s_or_b64 exec, exec, s[44:45]
.LBB188_354:                            ;   in Loop: Header=BB188_14 Depth=1
	s_or_b64 exec, exec, s[42:43]
.LBB188_355:                            ;   in Loop: Header=BB188_14 Depth=1
	s_or_b64 exec, exec, s[40:41]
	global_load_ubyte v25, v[55:56], off offset:3584
	v_mov_b32_e32 v23, 0
	v_mov_b32_e32 v24, 0
	s_waitcnt vmcnt(0)
	v_cmp_ne_u16_e64 s[4:5], 0, v25
	s_and_saveexec_b64 s[40:41], s[4:5]
	s_cbranch_execz .LBB188_361
; %bb.356:                              ;   in Loop: Header=BB188_14 Depth=1
	v_cmp_ne_u16_e64 s[4:5], s52, v25
	v_bfrev_b32_e32 v24, 1
	s_and_saveexec_b64 s[42:43], s[4:5]
	s_cbranch_execz .LBB188_360
; %bb.357:                              ;   in Loop: Header=BB188_14 Depth=1
	v_and_b32_e32 v57, 0xffff, v25
	v_and_b32_e32 v26, 0x7f, v57
	v_cmp_ne_u32_e64 s[4:5], s53, v26
	v_mov_b32_e32 v24, 0x7f800001
	s_and_saveexec_b64 s[44:45], s[4:5]
	s_cbranch_execz .LBB188_359
; %bb.358:                              ;   in Loop: Header=BB188_14 Depth=1
	v_and_b32_e32 v24, 7, v57
	v_lshrrev_b32_e32 v28, 3, v26
	v_cmp_gt_u32_e64 s[4:5], 8, v26
	v_ffbh_u32_e32 v26, v24
	v_min_u32_e32 v29, 32, v26
	v_subrev_u32_e32 v26, 28, v29
	v_lshlrev_b64 v[26:27], v26, v[57:58]
	v_sub_u32_e32 v27, 29, v29
	v_and_b32_e32 v26, 7, v26
	v_cndmask_b32_e64 v27, v28, v27, s[4:5]
	v_cndmask_b32_e64 v24, v24, v26, s[4:5]
	v_lshlrev_b32_e32 v25, 24, v25
	v_bfrev_b32_e32 v26, 60
	v_lshlrev_b32_e32 v24, 20, v24
	v_and_b32_e32 v25, 0x80000000, v25
	v_lshl_add_u32 v26, v27, 23, v26
	v_or3_b32 v24, v25, v26, v24
.LBB188_359:                            ;   in Loop: Header=BB188_14 Depth=1
	s_or_b64 exec, exec, s[44:45]
.LBB188_360:                            ;   in Loop: Header=BB188_14 Depth=1
	s_or_b64 exec, exec, s[42:43]
.LBB188_361:                            ;   in Loop: Header=BB188_14 Depth=1
	s_or_b64 exec, exec, s[40:41]
	global_load_ubyte v25, v[55:56], off offset:3588
	s_waitcnt vmcnt(0)
	v_cmp_ne_u16_e64 s[4:5], 0, v25
	s_and_saveexec_b64 s[40:41], s[4:5]
	s_cbranch_execz .LBB188_367
; %bb.362:                              ;   in Loop: Header=BB188_14 Depth=1
	v_cmp_ne_u16_e64 s[4:5], s52, v25
	v_bfrev_b32_e32 v23, 1
	s_and_saveexec_b64 s[42:43], s[4:5]
	s_cbranch_execz .LBB188_366
; %bb.363:                              ;   in Loop: Header=BB188_14 Depth=1
	v_and_b32_e32 v57, 0xffff, v25
	v_and_b32_e32 v26, 0x7f, v57
	v_cmp_ne_u32_e64 s[4:5], s53, v26
	v_mov_b32_e32 v23, 0x7f800001
	s_and_saveexec_b64 s[44:45], s[4:5]
	s_cbranch_execz .LBB188_365
; %bb.364:                              ;   in Loop: Header=BB188_14 Depth=1
	v_and_b32_e32 v23, 7, v57
	v_lshrrev_b32_e32 v28, 3, v26
	v_cmp_gt_u32_e64 s[4:5], 8, v26
	v_ffbh_u32_e32 v26, v23
	v_min_u32_e32 v29, 32, v26
	v_subrev_u32_e32 v26, 28, v29
	v_lshlrev_b64 v[26:27], v26, v[57:58]
	v_sub_u32_e32 v27, 29, v29
	v_and_b32_e32 v26, 7, v26
	v_cndmask_b32_e64 v27, v28, v27, s[4:5]
	v_cndmask_b32_e64 v23, v23, v26, s[4:5]
	v_lshlrev_b32_e32 v25, 24, v25
	v_bfrev_b32_e32 v26, 60
	v_lshlrev_b32_e32 v23, 20, v23
	v_and_b32_e32 v25, 0x80000000, v25
	v_lshl_add_u32 v26, v27, 23, v26
	v_or3_b32 v23, v25, v26, v23
.LBB188_365:                            ;   in Loop: Header=BB188_14 Depth=1
	s_or_b64 exec, exec, s[44:45]
.LBB188_366:                            ;   in Loop: Header=BB188_14 Depth=1
	s_or_b64 exec, exec, s[42:43]
.LBB188_367:                            ;   in Loop: Header=BB188_14 Depth=1
	s_or_b64 exec, exec, s[40:41]
	global_load_ubyte v27, v[55:56], off offset:3592
	v_mov_b32_e32 v25, 0
	v_mov_b32_e32 v26, 0
	s_waitcnt vmcnt(0)
	v_cmp_ne_u16_e64 s[4:5], 0, v27
	s_and_saveexec_b64 s[40:41], s[4:5]
	s_cbranch_execz .LBB188_373
; %bb.368:                              ;   in Loop: Header=BB188_14 Depth=1
	v_cmp_ne_u16_e64 s[4:5], s52, v27
	v_bfrev_b32_e32 v26, 1
	s_and_saveexec_b64 s[42:43], s[4:5]
	s_cbranch_execz .LBB188_372
; %bb.369:                              ;   in Loop: Header=BB188_14 Depth=1
	v_and_b32_e32 v57, 0xffff, v27
	v_and_b32_e32 v28, 0x7f, v57
	v_cmp_ne_u32_e64 s[4:5], s53, v28
	v_mov_b32_e32 v26, 0x7f800001
	s_and_saveexec_b64 s[44:45], s[4:5]
	s_cbranch_execz .LBB188_371
; %bb.370:                              ;   in Loop: Header=BB188_14 Depth=1
	v_and_b32_e32 v26, 7, v57
	v_lshrrev_b32_e32 v30, 3, v28
	v_cmp_gt_u32_e64 s[4:5], 8, v28
	v_ffbh_u32_e32 v28, v26
	v_min_u32_e32 v31, 32, v28
	v_subrev_u32_e32 v28, 28, v31
	v_lshlrev_b64 v[28:29], v28, v[57:58]
	v_sub_u32_e32 v29, 29, v31
	v_and_b32_e32 v28, 7, v28
	v_cndmask_b32_e64 v29, v30, v29, s[4:5]
	v_cndmask_b32_e64 v26, v26, v28, s[4:5]
	v_lshlrev_b32_e32 v27, 24, v27
	v_bfrev_b32_e32 v28, 60
	v_lshlrev_b32_e32 v26, 20, v26
	v_and_b32_e32 v27, 0x80000000, v27
	v_lshl_add_u32 v28, v29, 23, v28
	v_or3_b32 v26, v27, v28, v26
.LBB188_371:                            ;   in Loop: Header=BB188_14 Depth=1
	s_or_b64 exec, exec, s[44:45]
.LBB188_372:                            ;   in Loop: Header=BB188_14 Depth=1
	s_or_b64 exec, exec, s[42:43]
.LBB188_373:                            ;   in Loop: Header=BB188_14 Depth=1
	s_or_b64 exec, exec, s[40:41]
	global_load_ubyte v27, v[55:56], off offset:3596
	s_waitcnt vmcnt(0)
	v_cmp_ne_u16_e64 s[4:5], 0, v27
	s_and_saveexec_b64 s[40:41], s[4:5]
	s_cbranch_execz .LBB188_379
; %bb.374:                              ;   in Loop: Header=BB188_14 Depth=1
	v_cmp_ne_u16_e64 s[4:5], s52, v27
	v_bfrev_b32_e32 v25, 1
	s_and_saveexec_b64 s[42:43], s[4:5]
	s_cbranch_execz .LBB188_378
; %bb.375:                              ;   in Loop: Header=BB188_14 Depth=1
	v_and_b32_e32 v57, 0xffff, v27
	v_and_b32_e32 v28, 0x7f, v57
	v_cmp_ne_u32_e64 s[4:5], s53, v28
	v_mov_b32_e32 v25, 0x7f800001
	s_and_saveexec_b64 s[44:45], s[4:5]
	s_cbranch_execz .LBB188_377
; %bb.376:                              ;   in Loop: Header=BB188_14 Depth=1
	v_and_b32_e32 v25, 7, v57
	v_lshrrev_b32_e32 v30, 3, v28
	v_cmp_gt_u32_e64 s[4:5], 8, v28
	v_ffbh_u32_e32 v28, v25
	v_min_u32_e32 v31, 32, v28
	v_subrev_u32_e32 v28, 28, v31
	v_lshlrev_b64 v[28:29], v28, v[57:58]
	v_sub_u32_e32 v29, 29, v31
	v_and_b32_e32 v28, 7, v28
	v_cndmask_b32_e64 v29, v30, v29, s[4:5]
	v_cndmask_b32_e64 v25, v25, v28, s[4:5]
	v_lshlrev_b32_e32 v27, 24, v27
	v_bfrev_b32_e32 v28, 60
	v_lshlrev_b32_e32 v25, 20, v25
	v_and_b32_e32 v27, 0x80000000, v27
	v_lshl_add_u32 v28, v29, 23, v28
	v_or3_b32 v25, v27, v28, v25
.LBB188_377:                            ;   in Loop: Header=BB188_14 Depth=1
	s_or_b64 exec, exec, s[44:45]
.LBB188_378:                            ;   in Loop: Header=BB188_14 Depth=1
	s_or_b64 exec, exec, s[42:43]
.LBB188_379:                            ;   in Loop: Header=BB188_14 Depth=1
	s_or_b64 exec, exec, s[40:41]
	global_load_ubyte v29, v[55:56], off offset:3840
	v_mov_b32_e32 v27, 0
	v_mov_b32_e32 v28, 0
	s_waitcnt vmcnt(0)
	v_cmp_ne_u16_e64 s[4:5], 0, v29
	s_and_saveexec_b64 s[40:41], s[4:5]
	s_cbranch_execz .LBB188_385
; %bb.380:                              ;   in Loop: Header=BB188_14 Depth=1
	v_cmp_ne_u16_e64 s[4:5], s52, v29
	v_bfrev_b32_e32 v28, 1
	s_and_saveexec_b64 s[42:43], s[4:5]
	s_cbranch_execz .LBB188_384
; %bb.381:                              ;   in Loop: Header=BB188_14 Depth=1
	v_and_b32_e32 v57, 0xffff, v29
	v_and_b32_e32 v30, 0x7f, v57
	v_cmp_ne_u32_e64 s[4:5], s53, v30
	v_mov_b32_e32 v28, 0x7f800001
	s_and_saveexec_b64 s[44:45], s[4:5]
	s_cbranch_execz .LBB188_383
; %bb.382:                              ;   in Loop: Header=BB188_14 Depth=1
	v_and_b32_e32 v28, 7, v57
	v_lshrrev_b32_e32 v32, 3, v30
	v_cmp_gt_u32_e64 s[4:5], 8, v30
	v_ffbh_u32_e32 v30, v28
	v_min_u32_e32 v33, 32, v30
	v_subrev_u32_e32 v30, 28, v33
	v_lshlrev_b64 v[30:31], v30, v[57:58]
	v_sub_u32_e32 v31, 29, v33
	v_and_b32_e32 v30, 7, v30
	v_cndmask_b32_e64 v31, v32, v31, s[4:5]
	v_cndmask_b32_e64 v28, v28, v30, s[4:5]
	v_lshlrev_b32_e32 v29, 24, v29
	v_bfrev_b32_e32 v30, 60
	v_mov_b32_e32 v4, v46
	v_mov_b32_e32 v46, v59
	;; [unrolled: 1-line block ×5, first 2 shown]
	v_lshlrev_b32_e32 v28, 20, v28
	v_and_b32_e32 v29, 0x80000000, v29
	v_lshl_add_u32 v30, v31, 23, v30
	v_mov_b32_e32 v60, v53
	v_mov_b32_e32 v53, v54
	;; [unrolled: 1-line block ×5, first 2 shown]
	v_or3_b32 v28, v29, v30, v28
.LBB188_383:                            ;   in Loop: Header=BB188_14 Depth=1
	s_or_b64 exec, exec, s[44:45]
.LBB188_384:                            ;   in Loop: Header=BB188_14 Depth=1
	s_or_b64 exec, exec, s[42:43]
.LBB188_385:                            ;   in Loop: Header=BB188_14 Depth=1
	s_or_b64 exec, exec, s[40:41]
	global_load_ubyte v29, v[55:56], off offset:3844
	s_waitcnt vmcnt(0)
	v_cmp_ne_u16_e64 s[4:5], 0, v29
	s_and_saveexec_b64 s[40:41], s[4:5]
	s_cbranch_execz .LBB188_391
; %bb.386:                              ;   in Loop: Header=BB188_14 Depth=1
	v_cmp_ne_u16_e64 s[4:5], s52, v29
	v_bfrev_b32_e32 v27, 1
	s_and_saveexec_b64 s[42:43], s[4:5]
	s_cbranch_execz .LBB188_390
; %bb.387:                              ;   in Loop: Header=BB188_14 Depth=1
	v_and_b32_e32 v57, 0xffff, v29
	v_and_b32_e32 v30, 0x7f, v57
	v_cmp_ne_u32_e64 s[4:5], s53, v30
	v_mov_b32_e32 v27, 0x7f800001
	s_and_saveexec_b64 s[44:45], s[4:5]
	s_cbranch_execz .LBB188_389
; %bb.388:                              ;   in Loop: Header=BB188_14 Depth=1
	v_and_b32_e32 v27, 7, v57
	v_lshrrev_b32_e32 v32, 3, v30
	v_cmp_gt_u32_e64 s[4:5], 8, v30
	v_ffbh_u32_e32 v30, v27
	v_min_u32_e32 v33, 32, v30
	v_subrev_u32_e32 v30, 28, v33
	v_lshlrev_b64 v[30:31], v30, v[57:58]
	v_sub_u32_e32 v31, 29, v33
	v_and_b32_e32 v30, 7, v30
	v_cndmask_b32_e64 v31, v32, v31, s[4:5]
	v_cndmask_b32_e64 v27, v27, v30, s[4:5]
	v_lshlrev_b32_e32 v29, 24, v29
	v_bfrev_b32_e32 v30, 60
	v_mov_b32_e32 v4, v46
	v_mov_b32_e32 v46, v59
	;; [unrolled: 1-line block ×5, first 2 shown]
	v_lshlrev_b32_e32 v27, 20, v27
	v_and_b32_e32 v29, 0x80000000, v29
	v_lshl_add_u32 v30, v31, 23, v30
	v_mov_b32_e32 v60, v53
	v_mov_b32_e32 v53, v54
	v_mov_b32_e32 v54, v59
	v_mov_b32_e32 v59, v46
	v_mov_b32_e32 v46, v4
	v_or3_b32 v27, v29, v30, v27
.LBB188_389:                            ;   in Loop: Header=BB188_14 Depth=1
	s_or_b64 exec, exec, s[44:45]
.LBB188_390:                            ;   in Loop: Header=BB188_14 Depth=1
	s_or_b64 exec, exec, s[42:43]
.LBB188_391:                            ;   in Loop: Header=BB188_14 Depth=1
	s_or_b64 exec, exec, s[40:41]
	global_load_ubyte v30, v[55:56], off offset:3848
	v_mov_b32_e32 v29, 0
	v_mov_b32_e32 v31, 0
	s_waitcnt vmcnt(0)
	v_cmp_ne_u16_e64 s[4:5], 0, v30
	s_and_saveexec_b64 s[40:41], s[4:5]
	s_cbranch_execz .LBB188_397
; %bb.392:                              ;   in Loop: Header=BB188_14 Depth=1
	v_cmp_ne_u16_e64 s[4:5], s52, v30
	v_bfrev_b32_e32 v31, 1
	s_and_saveexec_b64 s[42:43], s[4:5]
	s_cbranch_execz .LBB188_396
; %bb.393:                              ;   in Loop: Header=BB188_14 Depth=1
	v_and_b32_e32 v57, 0xffff, v30
	v_and_b32_e32 v32, 0x7f, v57
	v_cmp_ne_u32_e64 s[4:5], s53, v32
	v_mov_b32_e32 v31, 0x7f800001
	s_and_saveexec_b64 s[44:45], s[4:5]
	s_cbranch_execz .LBB188_395
; %bb.394:                              ;   in Loop: Header=BB188_14 Depth=1
	v_and_b32_e32 v33, 7, v57
	v_mov_b32_e32 v4, v41
	v_mov_b32_e32 v41, v40
	;; [unrolled: 1-line block ×13, first 2 shown]
	v_ffbh_u32_e32 v31, v33
	v_mov_b32_e32 v1, v43
	v_mov_b32_e32 v2, v44
	v_mov_b32_e32 v3, v45
	v_mov_b32_e32 v42, v35
	v_min_u32_e32 v35, 32, v31
	v_subrev_u32_e32 v31, 28, v35
	v_lshrrev_b32_e32 v34, 3, v32
	v_cmp_gt_u32_e64 s[4:5], 8, v32
	v_lshlrev_b64 v[31:32], v31, v[57:58]
	v_sub_u32_e32 v32, 29, v35
	v_and_b32_e32 v31, 7, v31
	v_cndmask_b32_e64 v32, v34, v32, s[4:5]
	v_cndmask_b32_e64 v31, v33, v31, s[4:5]
	v_lshlrev_b32_e32 v30, 24, v30
	v_bfrev_b32_e32 v33, 60
	v_mov_b32_e32 v35, v42
	v_lshlrev_b32_e32 v31, 20, v31
	v_and_b32_e32 v30, 0x80000000, v30
	v_lshl_add_u32 v32, v32, 23, v33
	v_mov_b32_e32 v45, v3
	v_mov_b32_e32 v44, v2
	;; [unrolled: 1-line block ×16, first 2 shown]
	v_or3_b32 v31, v30, v32, v31
.LBB188_395:                            ;   in Loop: Header=BB188_14 Depth=1
	s_or_b64 exec, exec, s[44:45]
.LBB188_396:                            ;   in Loop: Header=BB188_14 Depth=1
	s_or_b64 exec, exec, s[42:43]
.LBB188_397:                            ;   in Loop: Header=BB188_14 Depth=1
	s_or_b64 exec, exec, s[40:41]
	global_load_ubyte v30, v[55:56], off offset:3852
	s_waitcnt vmcnt(0)
	v_cmp_ne_u16_e64 s[4:5], 0, v30
	s_and_saveexec_b64 s[40:41], s[4:5]
	s_cbranch_execz .LBB188_403
; %bb.398:                              ;   in Loop: Header=BB188_14 Depth=1
	v_cmp_ne_u16_e64 s[4:5], s52, v30
	v_bfrev_b32_e32 v29, 1
	s_and_saveexec_b64 s[42:43], s[4:5]
	s_cbranch_execz .LBB188_402
; %bb.399:                              ;   in Loop: Header=BB188_14 Depth=1
	v_and_b32_e32 v55, 0xffff, v30
	v_and_b32_e32 v32, 0x7f, v55
	v_cmp_ne_u32_e64 s[4:5], s53, v32
	v_mov_b32_e32 v29, 0x7f800001
	s_and_saveexec_b64 s[44:45], s[4:5]
	s_cbranch_execz .LBB188_401
; %bb.400:                              ;   in Loop: Header=BB188_14 Depth=1
	v_and_b32_e32 v29, 7, v55
	v_lshrrev_b32_e32 v33, 3, v32
	v_cmp_gt_u32_e64 s[4:5], 8, v32
	v_ffbh_u32_e32 v32, v29
	v_min_u32_e32 v32, 32, v32
	v_subrev_u32_e32 v34, 28, v32
	v_lshlrev_b64 v[55:56], v34, v[55:56]
	v_sub_u32_e32 v32, 29, v32
	v_and_b32_e32 v34, 7, v55
	v_cndmask_b32_e64 v32, v33, v32, s[4:5]
	v_cndmask_b32_e64 v29, v29, v34, s[4:5]
	v_lshlrev_b32_e32 v30, 24, v30
	v_bfrev_b32_e32 v33, 60
	v_lshlrev_b32_e32 v29, 20, v29
	v_and_b32_e32 v30, 0x80000000, v30
	v_lshl_add_u32 v32, v32, 23, v33
	v_or3_b32 v29, v30, v32, v29
.LBB188_401:                            ;   in Loop: Header=BB188_14 Depth=1
	s_or_b64 exec, exec, s[44:45]
.LBB188_402:                            ;   in Loop: Header=BB188_14 Depth=1
	s_or_b64 exec, exec, s[42:43]
.LBB188_403:                            ;   in Loop: Header=BB188_14 Depth=1
	s_or_b64 exec, exec, s[40:41]
	v_mul_f32_e32 v32, s54, v0
	buffer_load_dword v0, off, s[56:59], 0 offset:208 ; 4-byte Folded Reload
	buffer_load_dword v1, off, s[56:59], 0 offset:212 ; 4-byte Folded Reload
	;; [unrolled: 1-line block ×4, first 2 shown]
	v_mul_f32_e32 v30, s54, v62
	v_mul_f32_e32 v4, s54, v35
	;; [unrolled: 1-line block ×29, first 2 shown]
	s_waitcnt vmcnt(2)
	v_mul_f32_e32 v30, v1, v30
	v_fmac_f32_e32 v30, v0, v32
	v_mul_f32_e32 v32, s54, v53
	s_waitcnt vmcnt(1)
	v_fmac_f32_e32 v30, v2, v32
	v_mul_f32_e32 v32, s54, v60
	s_waitcnt vmcnt(0)
	v_fmac_f32_e32 v30, v3, v32
	buffer_load_dword v0, off, s[56:59], 0 offset:192 ; 4-byte Folded Reload
	buffer_load_dword v1, off, s[56:59], 0 offset:196 ; 4-byte Folded Reload
	;; [unrolled: 1-line block ×4, first 2 shown]
	v_mul_f32_e32 v32, s54, v59
	s_waitcnt vmcnt(3)
	v_fmac_f32_e32 v30, v0, v32
	buffer_load_dword v0, off, s[56:59], 0 offset:80 ; 4-byte Folded Reload
	v_mul_f32_e32 v32, s54, v54
	s_waitcnt vmcnt(3)
	v_fmac_f32_e32 v30, v1, v32
	v_mul_f32_e32 v32, s54, v48
	s_waitcnt vmcnt(2)
	v_fmac_f32_e32 v30, v2, v32
	s_waitcnt vmcnt(0)
	v_mul_f32_e32 v32, s54, v0
	v_fmac_f32_e32 v30, v3, v32
	buffer_load_dword v0, off, s[56:59], 0 offset:176 ; 4-byte Folded Reload
	buffer_load_dword v1, off, s[56:59], 0 offset:180 ; 4-byte Folded Reload
	buffer_load_dword v2, off, s[56:59], 0 offset:184 ; 4-byte Folded Reload
	buffer_load_dword v3, off, s[56:59], 0 offset:188 ; 4-byte Folded Reload
	v_mul_f32_e32 v32, s54, v39
	s_waitcnt vmcnt(3)
	v_fmac_f32_e32 v30, v0, v32
	buffer_load_dword v0, off, s[56:59], 0 offset:4 ; 4-byte Folded Reload
	v_mul_f32_e32 v32, s54, v38
	s_waitcnt vmcnt(3)
	v_fmac_f32_e32 v30, v1, v32
	v_mul_f32_e32 v32, s54, v37
	s_waitcnt vmcnt(2)
	v_fmac_f32_e32 v30, v2, v32
	;; [unrolled: 3-line block ×3, first 2 shown]
	v_mul_f32_e32 v32, s54, v46
	v_fmac_f32_e32 v30, v42, v32
	v_mul_f32_e32 v32, s54, v41
	v_fmac_f32_e32 v30, v43, v32
	s_waitcnt vmcnt(0)
	v_mul_f32_e32 v32, s54, v0
	buffer_load_dword v0, off, s[56:59], 0  ; 4-byte Folded Reload
	v_fmac_f32_e32 v30, v44, v32
	s_waitcnt vmcnt(0)
	v_mul_f32_e32 v32, s54, v0
	buffer_load_dword v0, off, s[56:59], 0 offset:12 ; 4-byte Folded Reload
	v_fmac_f32_e32 v30, v45, v32
	s_waitcnt vmcnt(0)
	v_mul_f32_e32 v32, s54, v0
	buffer_load_dword v0, off, s[56:59], 0 offset:256 ; 4-byte Folded Reload
	buffer_load_dword v1, off, s[56:59], 0 offset:260 ; 4-byte Folded Reload
	buffer_load_dword v2, off, s[56:59], 0 offset:264 ; 4-byte Folded Reload
	buffer_load_dword v3, off, s[56:59], 0 offset:268 ; 4-byte Folded Reload
	s_waitcnt vmcnt(3)
	v_fmac_f32_e32 v30, v0, v32
	buffer_load_dword v0, off, s[56:59], 0 offset:8 ; 4-byte Folded Reload
	s_waitcnt vmcnt(0)
	v_mul_f32_e32 v32, s54, v0
	buffer_load_dword v0, off, s[56:59], 0 offset:20 ; 4-byte Folded Reload
	v_fmac_f32_e32 v30, v1, v32
	s_waitcnt vmcnt(0)
	v_mul_f32_e32 v32, s54, v0
	buffer_load_dword v0, off, s[56:59], 0 offset:16 ; 4-byte Folded Reload
	v_fmac_f32_e32 v30, v2, v32
	s_waitcnt vmcnt(0)
	v_mul_f32_e32 v32, s54, v0
	buffer_load_dword v0, off, s[56:59], 0 offset:28 ; 4-byte Folded Reload
	v_fmac_f32_e32 v30, v3, v32
	s_waitcnt vmcnt(0)
	v_mul_f32_e32 v32, s54, v0
	buffer_load_dword v0, off, s[56:59], 0 offset:240 ; 4-byte Folded Reload
	buffer_load_dword v1, off, s[56:59], 0 offset:244 ; 4-byte Folded Reload
	buffer_load_dword v2, off, s[56:59], 0 offset:248 ; 4-byte Folded Reload
	buffer_load_dword v3, off, s[56:59], 0 offset:252 ; 4-byte Folded Reload
	s_waitcnt vmcnt(3)
	v_fmac_f32_e32 v30, v0, v32
	buffer_load_dword v0, off, s[56:59], 0 offset:24 ; 4-byte Folded Reload
	s_waitcnt vmcnt(0)
	v_mul_f32_e32 v32, s54, v0
	buffer_load_dword v0, off, s[56:59], 0 offset:36 ; 4-byte Folded Reload
	v_fmac_f32_e32 v30, v1, v32
	s_waitcnt vmcnt(0)
	v_mul_f32_e32 v32, s54, v0
	buffer_load_dword v0, off, s[56:59], 0 offset:32 ; 4-byte Folded Reload
	;; [unrolled: 21-line block ×3, first 2 shown]
	v_fmac_f32_e32 v30, v2, v32
	s_waitcnt vmcnt(0)
	v_mul_f32_e32 v32, s54, v0
	buffer_load_dword v0, off, s[56:59], 0 offset:60 ; 4-byte Folded Reload
	v_fmac_f32_e32 v30, v3, v32
	buffer_load_dword v37, off, s[56:59], 0 offset:160 ; 4-byte Folded Reload
	buffer_load_dword v38, off, s[56:59], 0 offset:164 ; 4-byte Folded Reload
	;; [unrolled: 1-line block ×4, first 2 shown]
	s_waitcnt vmcnt(4)
	v_mul_f32_e32 v32, s54, v0
	buffer_load_dword v0, off, s[56:59], 0 offset:72 ; 4-byte Folded Reload
	s_waitcnt vmcnt(4)
	v_fmac_f32_e32 v30, v37, v32
	v_mul_f32_e32 v32, s54, v50
	s_waitcnt vmcnt(0)
	v_mul_f32_e32 v35, s54, v0
	buffer_load_dword v0, off, s[56:59], 0 offset:76 ; 4-byte Folded Reload
	s_waitcnt vmcnt(0)
	v_mul_f32_e32 v36, s54, v0
	buffer_load_dword v0, off, s[56:59], 0 offset:64 ; 4-byte Folded Reload
	;; [unrolled: 3-line block ×4, first 2 shown]
	s_waitcnt vmcnt(0)
	v_mul_f32_e32 v1, s54, v0
	v_fmac_f32_e32 v30, v38, v1
	v_fmac_f32_e32 v30, v39, v2
	buffer_load_dword v38, off, s[56:59], 0 offset:284 ; 4-byte Folded Reload
	v_fmac_f32_e32 v30, v40, v37
	buffer_load_dword v39, off, s[56:59], 0 offset:144 ; 4-byte Folded Reload
	buffer_load_dword v40, off, s[56:59], 0 offset:148 ; 4-byte Folded Reload
	;; [unrolled: 1-line block ×4, first 2 shown]
	s_waitcnt vmcnt(3)
	v_fmac_f32_e32 v30, v39, v36
	s_waitcnt vmcnt(2)
	v_fmac_f32_e32 v30, v40, v35
	;; [unrolled: 2-line block ×4, first 2 shown]
	buffer_load_dword v33, off, s[56:59], 0 offset:128 ; 4-byte Folded Reload
	buffer_load_dword v34, off, s[56:59], 0 offset:132 ; 4-byte Folded Reload
	;; [unrolled: 1-line block ×4, first 2 shown]
	v_and_b32_e32 v1, 64, v38
	v_add_u32_e32 v1, 64, v1
	v_xor_b32_e32 v2, 2, v38
	v_cmp_lt_i32_e64 s[4:5], v2, v1
	v_cndmask_b32_e64 v3, v38, v2, s[4:5]
	v_mul_f32_e32 v2, s54, v29
	v_lshlrev_b32_e32 v3, 2, v3
	s_waitcnt vmcnt(3)
	v_fmac_f32_e32 v30, v33, v5
	s_waitcnt vmcnt(2)
	v_fmac_f32_e32 v30, v34, v4
	;; [unrolled: 2-line block ×4, first 2 shown]
	buffer_load_dword v4, off, s[56:59], 0 offset:112 ; 4-byte Folded Reload
	buffer_load_dword v5, off, s[56:59], 0 offset:116 ; 4-byte Folded Reload
	;; [unrolled: 1-line block ×4, first 2 shown]
	s_waitcnt vmcnt(3)
	v_fmac_f32_e32 v30, v4, v9
	s_waitcnt vmcnt(2)
	v_fmac_f32_e32 v30, v5, v8
	;; [unrolled: 2-line block ×4, first 2 shown]
	buffer_load_dword v5, off, s[56:59], 0 offset:96 ; 4-byte Folded Reload
	buffer_load_dword v6, off, s[56:59], 0 offset:100 ; 4-byte Folded Reload
	;; [unrolled: 1-line block ×4, first 2 shown]
	s_waitcnt vmcnt(3)
	v_fmac_f32_e32 v30, v5, v13
	s_waitcnt vmcnt(2)
	v_fmac_f32_e32 v30, v6, v12
	;; [unrolled: 2-line block ×3, first 2 shown]
	ds_read2_b64 v[4:7], v63 offset0:25 offset1:26
	s_waitcnt vmcnt(0)
	v_fmac_f32_e32 v30, v8, v14
	buffer_load_dword v8, off, s[56:59], 0 offset:88 ; 4-byte Folded Reload
	buffer_load_dword v9, off, s[56:59], 0 offset:92 ; 4-byte Folded Reload
	s_waitcnt vmcnt(1)
	v_fmac_f32_e32 v30, v8, v17
	s_waitcnt vmcnt(0)
	v_fmac_f32_e32 v30, v9, v16
	ds_read2_b64 v[8:11], v63 offset0:27 offset1:28
	s_waitcnt lgkmcnt(1)
	v_fmac_f32_e32 v30, v19, v4
	v_fmac_f32_e32 v30, v18, v5
	;; [unrolled: 1-line block ×4, first 2 shown]
	ds_read2_b64 v[4:7], v63 offset0:29 offset1:30
	s_waitcnt lgkmcnt(1)
	v_fmac_f32_e32 v30, v22, v8
	v_fmac_f32_e32 v30, v21, v9
	;; [unrolled: 1-line block ×4, first 2 shown]
	ds_read_b64 v[8:9], v63 offset:248
	s_waitcnt lgkmcnt(1)
	v_fmac_f32_e32 v30, v26, v4
	v_fmac_f32_e32 v30, v25, v5
	;; [unrolled: 1-line block ×4, first 2 shown]
	s_waitcnt lgkmcnt(0)
	v_fmac_f32_e32 v30, v31, v8
	v_fmac_f32_e32 v30, v2, v9
	ds_bpermute_b32 v2, v3, v30
	v_xor_b32_e32 v3, 1, v38
	v_cmp_lt_i32_e64 s[4:5], v3, v1
	v_cndmask_b32_e64 v1, v38, v3, s[4:5]
	v_lshlrev_b32_e32 v3, 2, v1
	s_waitcnt lgkmcnt(0)
	v_add_f32_e32 v1, v30, v2
	ds_bpermute_b32 v2, v3, v1
	s_and_saveexec_b64 s[40:41], vcc
	s_cbranch_execz .LBB188_12
; %bb.404:                              ;   in Loop: Header=BB188_14 Depth=1
	buffer_load_dword v3, off, s[56:59], 0 offset:288 ; 4-byte Folded Reload
	buffer_load_dword v4, off, s[56:59], 0 offset:292 ; 4-byte Folded Reload
	;; [unrolled: 1-line block ×3, first 2 shown]
	s_waitcnt lgkmcnt(0)
	v_add_f32_e32 v1, v1, v2
	s_waitcnt vmcnt(2)
	v_add_u32_e32 v3, v3, v58
	v_cvt_f32_i32_e32 v3, v3
	s_waitcnt vmcnt(1)
	v_add_u32_e32 v4, v4, v58
	v_cmp_gt_i32_e64 s[4:5], s33, v4
	v_mul_f32_e32 v2, s48, v3
	v_cndmask_b32_e64 v2, 0, v2, s[2:3]
	v_fmac_f32_e32 v2, s37, v1
	v_cndmask_b32_e64 v1, 0, v2, s[4:5]
	ds_write_b32 v49, v1
	s_waitcnt vmcnt(0)
	v_max_f32_e32 v1, v0, v0
	v_max_f32_e32 v1, v1, v2
	v_cndmask_b32_e64 v0, v0, v1, s[4:5]
	buffer_store_dword v0, off, s[56:59], 0 offset:272 ; 4-byte Folded Spill
	s_branch .LBB188_12
.LBB188_405:
	s_or_b64 exec, exec, s[38:39]
	buffer_load_dword v14, off, s[56:59], 0 offset:296 ; 4-byte Folded Reload
	buffer_load_dword v51, off, s[56:59], 0 offset:308 ; 4-byte Folded Reload
	;; [unrolled: 1-line block ×5, first 2 shown]
	v_mbcnt_lo_u32_b32 v6, -1, 0
.LBB188_406:
	s_or_b64 exec, exec, s[18:19]
	v_mbcnt_hi_u32_b32 v1, -1, v6
	v_and_b32_e32 v9, 64, v1
	s_waitcnt lgkmcnt(0)
	v_add_u32_e32 v2, 64, v9
	v_xor_b32_e32 v3, 32, v1
	v_cmp_lt_i32_e32 vcc, v3, v2
	v_cndmask_b32_e32 v3, v1, v3, vcc
	v_lshlrev_b32_e32 v3, 2, v3
	s_waitcnt vmcnt(0)
	ds_bpermute_b32 v4, v3, v62
	v_xor_b32_e32 v6, 16, v1
	v_max_f32_e32 v5, v62, v62
	v_cmp_lt_i32_e32 vcc, v6, v2
	v_xor_b32_e32 v7, 8, v1
	s_waitcnt lgkmcnt(0)
	v_max_f32_e32 v4, v4, v4
	v_max_f32_e32 v5, v5, v4
	v_cndmask_b32_e32 v4, v1, v6, vcc
	v_lshlrev_b32_e32 v4, 2, v4
	ds_bpermute_b32 v6, v4, v5
	v_cmp_lt_i32_e32 vcc, v7, v2
	v_xor_b32_e32 v8, 4, v1
	s_waitcnt lgkmcnt(0)
	v_max_f32_e32 v6, v6, v6
	v_max_f32_e32 v5, v5, v6
	v_cndmask_b32_e32 v6, v1, v7, vcc
	v_lshlrev_b32_e32 v7, 2, v6
	ds_bpermute_b32 v6, v7, v5
	v_cmp_lt_i32_e32 vcc, v8, v2
	s_waitcnt lgkmcnt(0)
	v_max_f32_e32 v6, v6, v6
	v_max_f32_e32 v6, v5, v6
	v_cndmask_b32_e32 v5, v1, v8, vcc
	v_lshlrev_b32_e32 v8, 2, v5
	buffer_load_dword v5, off, s[56:59], 0 offset:316 ; 4-byte Folded Reload
	ds_bpermute_b32 v10, v8, v6
	s_waitcnt vmcnt(0)
	v_and_b32_e32 v22, 63, v5
	v_cmp_eq_u32_e32 vcc, 0, v22
	v_lshlrev_b32_e32 v5, 2, v51
	s_and_saveexec_b64 s[2:3], vcc
	s_cbranch_execz .LBB188_408
; %bb.407:
	s_waitcnt lgkmcnt(0)
	v_max_f32_e32 v10, v10, v10
	v_max_f32_e32 v6, v6, v6
	;; [unrolled: 1-line block ×3, first 2 shown]
	ds_write_b32 v5, v6 offset:1024
.LBB188_408:
	s_or_b64 exec, exec, s[2:3]
	v_cmp_gt_u32_e64 s[2:3], 2, v22
	s_waitcnt lgkmcnt(0)
	v_mov_b32_e32 v10, 0xff7fffff
	v_lshlrev_b32_e32 v6, 2, v22
	s_barrier
	s_and_saveexec_b64 s[4:5], s[2:3]
; %bb.409:
	ds_read_b32 v10, v6 offset:1024
; %bb.410:
	s_or_b64 exec, exec, s[4:5]
	v_xor_b32_e32 v11, 1, v1
	v_cmp_lt_i32_e64 s[4:5], v11, v2
	v_cndmask_b32_e64 v11, v1, v11, s[4:5]
	v_lshlrev_b32_e32 v21, 2, v11
	s_waitcnt lgkmcnt(0)
	ds_bpermute_b32 v11, v21, v10
	v_max_f32_e32 v10, v10, v10
	v_lshlrev_b32_e32 v9, 2, v9
	s_lshl_b32 s4, s47, 4
	s_min_i32 s37, s4, s33
	s_waitcnt lgkmcnt(0)
	v_max_f32_e32 v11, v11, v11
	v_max_f32_e32 v10, v10, v11
	ds_bpermute_b32 v10, v9, v10
	buffer_load_dword v9, off, s[56:59], 0 offset:316 ; 4-byte Folded Reload
	s_waitcnt vmcnt(0)
	v_cmp_gt_i32_e64 s[4:5], s37, v9
	v_mov_b32_e32 v9, 0
	s_and_saveexec_b64 s[12:13], s[4:5]
	s_cbranch_execz .LBB188_414
; %bb.411:
	buffer_load_dword v12, off, s[56:59], 0 offset:316 ; 4-byte Folded Reload
	v_mov_b32_e32 v9, 0x410
	s_mov_b64 s[18:19], 0
	s_waitcnt vmcnt(0)
	v_lshl_add_u32 v11, v12, 2, v9
	v_mov_b32_e32 v9, 0
.LBB188_412:                            ; =>This Inner Loop Header: Depth=1
	ds_read_b32 v13, v11
	v_add_u32_e32 v12, 0x80, v12
	v_cmp_le_i32_e64 s[6:7], s37, v12
	s_or_b64 s[18:19], s[6:7], s[18:19]
	s_waitcnt lgkmcnt(0)
	v_sub_f32_e32 v13, v13, v10
	v_mul_f32_e32 v13, 0x3fb8aa3b, v13
	v_exp_f32_e32 v13, v13
	ds_write_b32 v11, v13
	v_add_f32_e32 v9, v9, v13
	v_add_u32_e32 v11, 0x200, v11
	s_andn2_b64 exec, exec, s[18:19]
	s_cbranch_execnz .LBB188_412
; %bb.413:
	s_or_b64 exec, exec, s[18:19]
.LBB188_414:
	s_or_b64 exec, exec, s[12:13]
	ds_bpermute_b32 v3, v3, v9
	s_waitcnt lgkmcnt(0)
	v_add_f32_e32 v3, v9, v3
	ds_bpermute_b32 v4, v4, v3
	s_waitcnt lgkmcnt(0)
	v_add_f32_e32 v3, v3, v4
	ds_bpermute_b32 v4, v7, v3
	v_xor_b32_e32 v7, 2, v1
	v_cmp_lt_i32_e64 s[6:7], v7, v2
	v_cndmask_b32_e64 v2, v1, v7, s[6:7]
	v_lshlrev_b32_e32 v17, 2, v2
	s_waitcnt lgkmcnt(0)
	v_add_f32_e32 v3, v3, v4
	ds_bpermute_b32 v4, v8, v3
	s_waitcnt lgkmcnt(0)
	v_add_f32_e32 v3, v3, v4
	ds_bpermute_b32 v2, v17, v3
	;; [unrolled: 3-line block ×3, first 2 shown]
	s_waitcnt lgkmcnt(0)
	v_add_f32_e32 v2, v2, v3
	s_and_saveexec_b64 s[6:7], vcc
; %bb.415:
	ds_write_b32 v5, v2 offset:1032
; %bb.416:
	s_or_b64 exec, exec, s[6:7]
	s_waitcnt lgkmcnt(0)
	s_barrier
	s_and_saveexec_b64 s[6:7], s[2:3]
; %bb.417:
	ds_read_b32 v2, v6 offset:1032
; %bb.418:
	s_or_b64 exec, exec, s[6:7]
	s_waitcnt lgkmcnt(0)
	ds_bpermute_b32 v3, v21, v2
	v_lshlrev_b32_e32 v1, 2, v1
	v_and_b32_e32 v1, 0x100, v1
	s_waitcnt lgkmcnt(0)
	v_add_f32_e32 v2, v2, v3
	ds_bpermute_b32 v1, v1, v2
	s_and_saveexec_b64 s[2:3], s[4:5]
	s_cbranch_execz .LBB188_421
; %bb.419:
	s_waitcnt lgkmcnt(0)
	v_add_f32_e32 v2, 0x358637bd, v1
	v_div_scale_f32 v1, s[4:5], v2, v2, 1.0
	v_div_scale_f32 v3, vcc, 1.0, v2, 1.0
	s_mov_b64 s[4:5], 0
	v_rcp_f32_e32 v4, v1
	v_fma_f32 v5, -v1, v4, 1.0
	v_fmac_f32_e32 v4, v5, v4
	v_mul_f32_e32 v5, v3, v4
	v_fma_f32 v6, -v1, v5, v3
	v_fmac_f32_e32 v5, v6, v4
	v_fma_f32 v1, -v1, v5, v3
	v_div_fmas_f32 v3, v1, v4, v5
	buffer_load_dword v4, off, s[56:59], 0 offset:316 ; 4-byte Folded Reload
	v_mov_b32_e32 v1, 0x410
	v_div_fixup_f32 v2, v3, v2, 1.0
	s_waitcnt vmcnt(0)
	v_lshl_add_u32 v1, v4, 2, v1
	v_mov_b32_e32 v3, v4
.LBB188_420:                            ; =>This Inner Loop Header: Depth=1
	ds_read_b32 v4, v1
	v_add_u32_e32 v3, 0x80, v3
	v_cmp_le_i32_e32 vcc, s37, v3
	s_or_b64 s[4:5], vcc, s[4:5]
	s_waitcnt lgkmcnt(0)
	v_mul_f32_e32 v4, v2, v4
	ds_write_b32 v1, v4
	v_add_u32_e32 v1, 0x200, v1
	s_andn2_b64 exec, exec, s[4:5]
	s_cbranch_execnz .LBB188_420
.LBB188_421:
	s_or_b64 exec, exec, s[2:3]
	v_mov_b32_e32 v56, 0
	v_mov_b32_e32 v62, 0
	;; [unrolled: 1-line block ×16, first 2 shown]
	s_waitcnt lgkmcnt(0)
	s_barrier
	s_and_saveexec_b64 s[2:3], s[0:1]
	s_cbranch_execz .LBB188_843
; %bb.422:
	s_sub_i32 s37, s16, s21
	s_ashr_i32 s0, s20, 31
	s_add_u32 s4, s34, s20
	s_addc_u32 s5, s35, s0
	s_abs_i32 s22, s22
	v_cvt_f32_u32_e32 v1, s22
	s_sub_i32 s0, 0, s22
	buffer_store_dword v17, off, s[56:59], 0 offset:352 ; 4-byte Folded Spill
	buffer_store_dword v21, off, s[56:59], 0 offset:348 ; 4-byte Folded Spill
	;; [unrolled: 1-line block ×3, first 2 shown]
	s_add_i32 s35, s47, -1
	v_rcp_iflag_f32_e32 v1, v1
	v_and_b32_e32 v0, 12, v14
	v_and_b32_e32 v3, 60, v15
	buffer_store_dword v0, off, s[56:59], 0 offset:320 ; 4-byte Folded Spill
	v_mul_f32_e32 v1, 0x4f7ffffe, v1
	v_cvt_u32_f32_e32 v1, v1
	v_and_b32_e32 v0, 0xfc, v14
	v_mov_b32_e32 v5, 0
	s_mov_b32 s34, s17
	v_mul_lo_u32 v2, s0, v1
	s_lshl_b64 s[0:1], s[30:31], 2
	s_add_u32 s0, s28, s0
	s_addc_u32 s1, s29, s1
	v_mul_hi_u32 v2, v1, v2
	v_mov_b32_e32 v4, s1
	v_add_co_u32_e32 v7, vcc, s0, v3
	v_add_u32_e32 v44, v1, v2
	buffer_load_dword v1, off, s[56:59], 0 offset:336 ; 4-byte Folded Reload
	v_addc_co_u32_e32 v8, vcc, 0, v4, vcc
	buffer_store_dword v0, off, s[56:59], 0 offset:328 ; 4-byte Folded Spill
	v_or_b32_e32 v0, 0xf00, v14
	s_mov_b64 s[6:7], 0
	s_movk_i32 s28, 0x80
	s_movk_i32 s29, 0x7f
	s_brev_b32 s30, 1
	s_mov_b32 s31, 0xffffff
	v_bfrev_b32_e32 v49, 60
	v_bfrev_b32_e32 v6, 1
	v_mov_b32_e32 v10, 0x7f800001
	v_mov_b32_e32 v34, 7
	;; [unrolled: 1-line block ×19, first 2 shown]
	buffer_store_dword v0, off, s[56:59], 0 offset:324 ; 4-byte Folded Spill
	s_waitcnt vmcnt(2)
	v_lshlrev_b32_e32 v1, 4, v1
	v_lshl_or_b32 v1, v51, 6, v1
	v_add_u32_e32 v47, 0x410, v1
	s_branch .LBB188_425
.LBB188_423:                            ;   in Loop: Header=BB188_425 Depth=1
	s_or_b64 exec, exec, s[0:1]
	v_mul_f32_e32 v14, v1, v31
	v_fmac_f32_e32 v14, v2, v30
	v_fmac_f32_e32 v14, v3, v21
	v_fmac_f32_e32 v14, v4, v20
	v_add_f32_e32 v36, v36, v14
	v_mul_f32_e32 v14, v1, v29
	v_fmac_f32_e32 v14, v2, v28
	v_fmac_f32_e32 v14, v3, v23
	v_fmac_f32_e32 v14, v4, v22
	v_add_f32_e32 v35, v35, v14
	;; [unrolled: 5-line block ×3, first 2 shown]
	v_mul_f32_e32 v14, v1, v24
	v_fmac_f32_e32 v14, v2, v0
	buffer_load_dword v0, off, s[56:59], 0 offset:312 ; 4-byte Folded Reload
	v_fmac_f32_e32 v14, v3, v45
	v_fmac_f32_e32 v14, v4, v43
	v_add_f32_e32 v37, v37, v14
	s_waitcnt vmcnt(0)
	v_mul_f32_e32 v14, v1, v0
	buffer_load_dword v0, off, s[56:59], 0 offset:300 ; 4-byte Folded Reload
	s_waitcnt vmcnt(0)
	v_fmac_f32_e32 v14, v2, v0
	buffer_load_dword v0, off, s[56:59], 0 offset:308 ; 4-byte Folded Reload
	s_waitcnt vmcnt(0)
	v_fmac_f32_e32 v14, v3, v0
	buffer_load_dword v0, off, s[56:59], 0 offset:304 ; 4-byte Folded Reload
	s_waitcnt vmcnt(0)
	v_fmac_f32_e32 v14, v4, v0
	buffer_load_dword v0, off, s[56:59], 0 offset:296 ; 4-byte Folded Reload
	v_add_f32_e32 v40, v40, v14
	s_waitcnt vmcnt(0)
	v_mul_f32_e32 v14, v1, v0
	buffer_load_dword v0, off, s[56:59], 0 offset:284 ; 4-byte Folded Reload
	s_waitcnt vmcnt(0)
	v_fmac_f32_e32 v14, v2, v0
	buffer_load_dword v0, off, s[56:59], 0 offset:292 ; 4-byte Folded Reload
	s_waitcnt vmcnt(0)
	v_fmac_f32_e32 v14, v3, v0
	buffer_load_dword v0, off, s[56:59], 0 offset:288 ; 4-byte Folded Reload
	s_waitcnt vmcnt(0)
	v_fmac_f32_e32 v14, v4, v0
	buffer_load_dword v0, off, s[56:59], 0 offset:276 ; 4-byte Folded Reload
	;; [unrolled: 13-line block ×10, first 2 shown]
	v_add_f32_e32 v62, v62, v14
	s_waitcnt vmcnt(0)
	v_mul_f32_e32 v14, v1, v0
	buffer_load_dword v0, off, s[56:59], 0 offset:8 ; 4-byte Folded Reload
	v_fmac_f32_e32 v14, v2, v55
	v_mul_f32_e32 v1, v1, v13
	v_fmac_f32_e32 v1, v2, v9
	v_fmac_f32_e32 v1, v3, v12
	;; [unrolled: 1-line block ×3, first 2 shown]
	v_add_f32_e32 v33, v33, v1
	s_waitcnt vmcnt(0)
	v_fmac_f32_e32 v14, v3, v0
	buffer_load_dword v0, off, s[56:59], 0 offset:4 ; 4-byte Folded Reload
	s_waitcnt vmcnt(0)
	v_fmac_f32_e32 v14, v4, v0
	v_add_f32_e32 v56, v56, v14
.LBB188_424:                            ;   in Loop: Header=BB188_425 Depth=1
	s_or_b64 exec, exec, s[12:13]
	v_add_co_u32_e32 v7, vcc, 8, v7
	v_add_u32_e32 v51, 2, v51
	v_addc_co_u32_e32 v8, vcc, 0, v8, vcc
	v_cmp_le_i32_e32 vcc, s47, v51
	v_add_u32_e32 v61, 32, v61
	s_or_b64 s[6:7], vcc, s[6:7]
	v_add_u32_e32 v47, 0x80, v47
	s_andn2_b64 exec, exec, s[6:7]
	s_cbranch_execz .LBB188_842
.LBB188_425:                            ; =>This Inner Loop Header: Depth=1
	v_mul_hi_u32 v1, v61, s46
	v_mul_lo_u32 v2, v1, s25
	v_add_u32_e32 v3, 1, v1
	v_sub_u32_e32 v2, v61, v2
	v_cmp_le_u32_e32 vcc, s25, v2
	v_cndmask_b32_e32 v1, v1, v3, vcc
	v_subrev_u32_e32 v3, s25, v2
	v_cndmask_b32_e32 v2, v2, v3, vcc
	v_add_u32_e32 v3, 1, v1
	v_cmp_le_u32_e32 vcc, s25, v2
	v_cndmask_b32_e32 v1, v1, v3, vcc
	v_xor_b32_e32 v1, s23, v1
	v_subrev_u32_e32 v1, s23, v1
	v_add_u32_e32 v2, s36, v1
	v_sub_u32_e32 v3, 0, v2
	v_max_i32_e32 v3, v2, v3
	v_mul_hi_u32 v4, v3, v44
	v_ashrrev_i32_e32 v2, 31, v2
	v_cmp_lt_i32_e64 s[0:1], s37, v1
	v_mul_lo_u32 v4, v4, s22
	v_sub_u32_e32 v3, v3, v4
	v_subrev_u32_e32 v4, s22, v3
	v_cmp_le_u32_e32 vcc, s22, v3
	v_cndmask_b32_e32 v3, v3, v4, vcc
	v_subrev_u32_e32 v4, s22, v3
	v_cmp_le_u32_e32 vcc, s22, v3
	v_cndmask_b32_e32 v3, v3, v4, vcc
	v_xor_b32_e32 v3, v3, v2
	v_sub_u32_e32 v2, v3, v2
	v_cmp_eq_u32_e32 vcc, 0, v2
	s_or_b64 s[0:1], vcc, s[0:1]
	s_and_saveexec_b64 s[12:13], s[0:1]
	s_cbranch_execz .LBB188_424
; %bb.426:                              ;   in Loop: Header=BB188_425 Depth=1
	global_load_dword v3, v[7:8], off
	buffer_load_dword v0, off, s[56:59], 0 offset:328 ; 4-byte Folded Reload
	v_mov_b32_e32 v1, s4
	v_mov_b32_e32 v2, s5
	s_load_dword s38, s[14:15], 0x0
	v_mov_b32_e32 v18, 0
	v_mov_b32_e32 v16, 0
	v_mov_b32_e32 v19, 0
	v_mov_b32_e32 v17, 0
	s_waitcnt vmcnt(1)
	v_mad_i64_i32 v[11:12], s[0:1], v3, s34, v[1:2]
	ds_read_b128 v[1:4], v47
	s_waitcnt vmcnt(0)
	v_add_co_u32_e32 v13, vcc, v11, v0
	v_addc_co_u32_e32 v14, vcc, 0, v12, vcc
	global_load_dword v15, v[13:14], off
	s_waitcnt vmcnt(0)
	v_cmp_ne_u16_sdwa s[16:17], v15, v5 src0_sel:BYTE_0 src1_sel:DWORD
	s_and_saveexec_b64 s[0:1], s[16:17]
	s_cbranch_execz .LBB188_432
; %bb.427:                              ;   in Loop: Header=BB188_425 Depth=1
	v_bfrev_b32_e32 v16, 1
	v_mov_b32_e32 v17, 0
	v_cmp_ne_u16_sdwa s[18:19], v15, s28 src0_sel:BYTE_0 src1_sel:DWORD
	s_and_saveexec_b64 s[16:17], s[18:19]
	s_cbranch_execz .LBB188_431
; %bb.428:                              ;   in Loop: Header=BB188_425 Depth=1
	v_and_b32_e32 v9, 0x7f, v15
	v_mov_b32_e32 v16, 0x7f800001
	v_mov_b32_e32 v17, 0
	v_cmp_ne_u32_e32 vcc, s29, v9
	s_and_saveexec_b64 s[18:19], vcc
	s_cbranch_execz .LBB188_430
; %bb.429:                              ;   in Loop: Header=BB188_425 Depth=1
	v_and_b32_e32 v20, 7, v15
	v_ffbh_u32_e32 v16, v20
	v_min_u32_e32 v22, 32, v16
	v_subrev_u32_e32 v16, 28, v22
	v_lshlrev_b64 v[16:17], v16, v[15:16]
	v_lshrrev_b32_e32 v21, 3, v9
	v_sub_u32_e32 v17, 29, v22
	v_and_b32_e32 v16, 7, v16
	v_cmp_gt_u32_e32 vcc, 8, v9
	v_cndmask_b32_e32 v9, v21, v17, vcc
	v_cndmask_b32_e32 v16, v20, v16, vcc
	v_lshlrev_b32_e32 v16, 20, v16
	v_and_b32_sdwa v17, sext(v15), s30 dst_sel:DWORD dst_unused:UNUSED_PAD src0_sel:BYTE_0 src1_sel:DWORD
	v_lshl_add_u32 v9, v9, 23, v49
	v_or3_b32 v16, v17, v9, v16
	v_mov_b32_e32 v17, v5
.LBB188_430:                            ;   in Loop: Header=BB188_425 Depth=1
	s_or_b64 exec, exec, s[18:19]
.LBB188_431:                            ;   in Loop: Header=BB188_425 Depth=1
	s_or_b64 exec, exec, s[16:17]
.LBB188_432:                            ;   in Loop: Header=BB188_425 Depth=1
	s_or_b64 exec, exec, s[0:1]
	v_cmp_ne_u16_sdwa s[16:17], v15, v5 src0_sel:BYTE_1 src1_sel:DWORD
	s_and_saveexec_b64 s[0:1], s[16:17]
	s_cbranch_execz .LBB188_438
; %bb.433:                              ;   in Loop: Header=BB188_425 Depth=1
	v_mov_b32_e32 v19, v6
	v_cmp_ne_u16_sdwa s[18:19], v15, s28 src0_sel:BYTE_1 src1_sel:DWORD
	v_mov_b32_e32 v18, v5
	s_and_saveexec_b64 s[16:17], s[18:19]
	s_cbranch_execz .LBB188_437
; %bb.434:                              ;   in Loop: Header=BB188_425 Depth=1
	v_and_b32_sdwa v20, v15, s29 dst_sel:DWORD dst_unused:UNUSED_PAD src0_sel:BYTE_1 src1_sel:DWORD
	v_mov_b32_e32 v9, v5
	v_mov_b32_e32 v19, v10
	v_cmp_ne_u32_e32 vcc, s29, v20
	v_mov_b32_e32 v18, v9
	s_and_saveexec_b64 s[18:19], vcc
	s_cbranch_execz .LBB188_436
; %bb.435:                              ;   in Loop: Header=BB188_425 Depth=1
	v_and_b32_sdwa v18, v15, v34 dst_sel:DWORD dst_unused:UNUSED_PAD src0_sel:BYTE_1 src1_sel:DWORD
	v_ffbh_u32_e32 v21, v18
	v_min_u32_e32 v23, 32, v21
	v_mov_b32_e32 v19, v5
	v_subrev_u32_e32 v21, 28, v23
	v_lshlrev_b64 v[21:22], v21, v[18:19]
	v_lshrrev_b32_e32 v9, 3, v20
	v_sub_u32_e32 v19, 29, v23
	v_cmp_gt_u32_e32 vcc, 8, v20
	v_and_b32_e32 v21, 7, v21
	v_cndmask_b32_e32 v9, v9, v19, vcc
	v_cndmask_b32_e32 v18, v18, v21, vcc
	v_lshlrev_b32_e32 v19, 16, v15
	v_lshl_add_u32 v9, v9, 23, v49
	v_and_or_b32 v9, v19, s30, v9
	v_lshlrev_b32_e32 v18, 20, v18
	v_or_b32_e32 v19, v9, v18
	v_mov_b32_e32 v18, v5
.LBB188_436:                            ;   in Loop: Header=BB188_425 Depth=1
	s_or_b64 exec, exec, s[18:19]
.LBB188_437:                            ;   in Loop: Header=BB188_425 Depth=1
	s_or_b64 exec, exec, s[16:17]
.LBB188_438:                            ;   in Loop: Header=BB188_425 Depth=1
	s_or_b64 exec, exec, s[0:1]
	v_lshrrev_b32_e32 v9, 16, v15
	v_mov_b32_e32 v22, 0
	v_mov_b32_e32 v20, 0
	;; [unrolled: 1-line block ×4, first 2 shown]
	v_cmp_ne_u16_sdwa s[16:17], v9, v5 src0_sel:BYTE_0 src1_sel:DWORD
	s_and_saveexec_b64 s[0:1], s[16:17]
	s_cbranch_execz .LBB188_444
; %bb.439:                              ;   in Loop: Header=BB188_425 Depth=1
	v_bfrev_b32_e32 v20, 1
	v_mov_b32_e32 v21, 0
	v_cmp_ne_u16_sdwa s[18:19], v9, s28 src0_sel:BYTE_0 src1_sel:DWORD
	s_and_saveexec_b64 s[16:17], s[18:19]
	s_cbranch_execz .LBB188_443
; %bb.440:                              ;   in Loop: Header=BB188_425 Depth=1
	v_bfe_u32 v24, v15, 16, 7
	v_mov_b32_e32 v20, 0x7f800001
	v_mov_b32_e32 v21, 0
	v_cmp_ne_u32_e32 vcc, s29, v24
	s_and_saveexec_b64 s[18:19], vcc
	s_cbranch_execz .LBB188_442
; %bb.441:                              ;   in Loop: Header=BB188_425 Depth=1
	v_and_b32_e32 v25, 7, v9
	v_ffbh_u32_e32 v20, v25
	v_min_u32_e32 v27, 32, v20
	v_subrev_u32_e32 v20, 28, v27
	v_lshlrev_b64 v[20:21], v20, v[9:10]
	v_lshrrev_b32_e32 v26, 3, v24
	v_sub_u32_e32 v21, 29, v27
	v_and_b32_e32 v20, 7, v20
	v_cmp_gt_u32_e32 vcc, 8, v24
	v_cndmask_b32_e32 v21, v26, v21, vcc
	v_cndmask_b32_e32 v20, v25, v20, vcc
	v_lshlrev_b32_e32 v20, 20, v20
	v_and_b32_sdwa v9, sext(v9), s30 dst_sel:DWORD dst_unused:UNUSED_PAD src0_sel:BYTE_0 src1_sel:DWORD
	v_lshl_add_u32 v21, v21, 23, v49
	v_or3_b32 v20, v9, v21, v20
	v_mov_b32_e32 v21, v5
.LBB188_442:                            ;   in Loop: Header=BB188_425 Depth=1
	s_or_b64 exec, exec, s[18:19]
.LBB188_443:                            ;   in Loop: Header=BB188_425 Depth=1
	s_or_b64 exec, exec, s[16:17]
.LBB188_444:                            ;   in Loop: Header=BB188_425 Depth=1
	s_or_b64 exec, exec, s[0:1]
	v_cmp_lt_u32_e32 vcc, s31, v15
	s_and_saveexec_b64 s[0:1], vcc
	s_cbranch_execz .LBB188_450
; %bb.445:                              ;   in Loop: Header=BB188_425 Depth=1
	v_mov_b32_e32 v23, v6
	v_cmp_ne_u32_sdwa s[18:19], v15, s28 src0_sel:BYTE_3 src1_sel:DWORD
	v_mov_b32_e32 v22, v5
	s_and_saveexec_b64 s[16:17], s[18:19]
	s_cbranch_execz .LBB188_449
; %bb.446:                              ;   in Loop: Header=BB188_425 Depth=1
	v_bfe_u32 v24, v15, 24, 7
	v_mov_b32_e32 v9, v5
	v_mov_b32_e32 v23, v10
	v_cmp_ne_u32_e32 vcc, s29, v24
	v_mov_b32_e32 v22, v9
	s_and_saveexec_b64 s[18:19], vcc
	s_cbranch_execz .LBB188_448
; %bb.447:                              ;   in Loop: Header=BB188_425 Depth=1
	v_and_b32_sdwa v22, v15, v34 dst_sel:DWORD dst_unused:UNUSED_PAD src0_sel:BYTE_3 src1_sel:DWORD
	v_ffbh_u32_e32 v25, v22
	v_min_u32_e32 v27, 32, v25
	v_mov_b32_e32 v23, v5
	v_subrev_u32_e32 v25, 28, v27
	v_lshlrev_b64 v[25:26], v25, v[22:23]
	v_lshrrev_b32_e32 v9, 3, v24
	v_sub_u32_e32 v23, 29, v27
	v_cmp_gt_u32_e32 vcc, 8, v24
	v_and_b32_e32 v25, 7, v25
	v_cndmask_b32_e32 v9, v9, v23, vcc
	v_cndmask_b32_e32 v22, v22, v25, vcc
	v_lshlrev_b32_sdwa v15, v58, v15 dst_sel:DWORD dst_unused:UNUSED_PAD src0_sel:DWORD src1_sel:BYTE_3
	v_lshl_add_u32 v9, v9, 23, v49
	v_and_or_b32 v9, v15, s30, v9
	v_lshlrev_b32_e32 v15, 20, v22
	v_or_b32_e32 v23, v9, v15
	v_mov_b32_e32 v22, v5
.LBB188_448:                            ;   in Loop: Header=BB188_425 Depth=1
	s_or_b64 exec, exec, s[18:19]
.LBB188_449:                            ;   in Loop: Header=BB188_425 Depth=1
	s_or_b64 exec, exec, s[16:17]
.LBB188_450:                            ;   in Loop: Header=BB188_425 Depth=1
	s_or_b64 exec, exec, s[0:1]
	buffer_load_dword v0, off, s[56:59], 0 offset:320 ; 4-byte Folded Reload
	v_or_b32_e32 v15, v18, v16
	v_or_b32_e32 v9, v19, v17
	s_waitcnt lgkmcnt(0)
	v_mul_f32_e32 v55, s38, v9
	v_or_b32_e32 v9, v23, v21
	v_cmp_eq_u32_e32 vcc, s35, v51
	s_waitcnt vmcnt(0)
	v_add_u32_e32 v24, v0, v61
	v_mul_f32_e32 v0, s38, v15
	v_or_b32_e32 v15, v22, v20
	buffer_store_dword v0, off, s[56:59], 0 offset:12 ; 4-byte Folded Spill
	v_mul_f32_e32 v0, s38, v15
	buffer_store_dword v0, off, s[56:59], 0 offset:8 ; 4-byte Folded Spill
	v_mul_f32_e32 v0, s38, v9
	buffer_store_dword v0, off, s[56:59], 0 offset:4 ; 4-byte Folded Spill
	v_add_u32_e32 v50, 1, v24
	v_add_u32_e32 v63, 2, v24
	v_mov_b32_e32 v57, v24
	v_add_u32_e32 v0, 3, v24
	buffer_store_dword v0, off, s[56:59], 0 ; 4-byte Folded Spill
	s_and_saveexec_b64 s[16:17], vcc
	s_cbranch_execz .LBB188_452
; %bb.451:                              ;   in Loop: Header=BB188_425 Depth=1
	buffer_load_dword v0, off, s[56:59], 0 offset:12 ; 4-byte Folded Reload
	v_cmp_gt_i32_e64 s[0:1], s33, v57
	s_waitcnt vmcnt(0)
	v_cndmask_b32_e64 v0, 0, v0, s[0:1]
	buffer_store_dword v0, off, s[56:59], 0 offset:12 ; 4-byte Folded Spill
	buffer_load_dword v0, off, s[56:59], 0 offset:8 ; 4-byte Folded Reload
	v_cmp_gt_i32_e64 s[0:1], s33, v50
	v_cndmask_b32_e64 v55, 0, v55, s[0:1]
	v_cmp_gt_i32_e64 s[0:1], s33, v63
	s_waitcnt vmcnt(0)
	v_cndmask_b32_e64 v0, 0, v0, s[0:1]
	buffer_store_dword v0, off, s[56:59], 0 offset:8 ; 4-byte Folded Spill
	buffer_load_dword v0, off, s[56:59], 0  ; 4-byte Folded Reload
	s_waitcnt vmcnt(0)
	v_cmp_gt_i32_e64 s[0:1], s33, v0
	buffer_load_dword v0, off, s[56:59], 0 offset:4 ; 4-byte Folded Reload
	s_waitcnt vmcnt(0)
	v_cndmask_b32_e64 v0, 0, v0, s[0:1]
	buffer_store_dword v0, off, s[56:59], 0 offset:4 ; 4-byte Folded Spill
.LBB188_452:                            ;   in Loop: Header=BB188_425 Depth=1
	s_or_b64 exec, exec, s[16:17]
	global_load_dword v15, v[13:14], off offset:256
	v_mov_b32_e32 v18, 0
	v_mov_b32_e32 v16, 0
	;; [unrolled: 1-line block ×4, first 2 shown]
	s_waitcnt vmcnt(0)
	v_cmp_ne_u16_sdwa s[0:1], v15, v5 src0_sel:BYTE_0 src1_sel:DWORD
	s_and_saveexec_b64 s[16:17], s[0:1]
	s_cbranch_execz .LBB188_458
; %bb.453:                              ;   in Loop: Header=BB188_425 Depth=1
	v_bfrev_b32_e32 v16, 1
	v_mov_b32_e32 v17, 0
	v_cmp_ne_u16_sdwa s[0:1], v15, s28 src0_sel:BYTE_0 src1_sel:DWORD
	s_and_saveexec_b64 s[18:19], s[0:1]
	s_cbranch_execz .LBB188_457
; %bb.454:                              ;   in Loop: Header=BB188_425 Depth=1
	v_and_b32_e32 v9, 0x7f, v15
	v_mov_b32_e32 v16, 0x7f800001
	v_mov_b32_e32 v17, 0
	v_cmp_ne_u32_e64 s[0:1], s29, v9
	s_and_saveexec_b64 s[20:21], s[0:1]
	s_cbranch_execz .LBB188_456
; %bb.455:                              ;   in Loop: Header=BB188_425 Depth=1
	v_and_b32_e32 v20, 7, v15
	v_ffbh_u32_e32 v16, v20
	v_min_u32_e32 v22, 32, v16
	v_subrev_u32_e32 v16, 28, v22
	v_lshlrev_b64 v[16:17], v16, v[15:16]
	v_lshrrev_b32_e32 v21, 3, v9
	v_sub_u32_e32 v17, 29, v22
	v_and_b32_e32 v16, 7, v16
	v_cmp_gt_u32_e64 s[0:1], 8, v9
	v_cndmask_b32_e64 v9, v21, v17, s[0:1]
	v_cndmask_b32_e64 v16, v20, v16, s[0:1]
	v_lshlrev_b32_e32 v16, 20, v16
	v_and_b32_sdwa v17, sext(v15), s30 dst_sel:DWORD dst_unused:UNUSED_PAD src0_sel:BYTE_0 src1_sel:DWORD
	v_lshl_add_u32 v9, v9, 23, v49
	v_or3_b32 v16, v17, v9, v16
	v_mov_b32_e32 v17, v5
.LBB188_456:                            ;   in Loop: Header=BB188_425 Depth=1
	s_or_b64 exec, exec, s[20:21]
.LBB188_457:                            ;   in Loop: Header=BB188_425 Depth=1
	s_or_b64 exec, exec, s[18:19]
.LBB188_458:                            ;   in Loop: Header=BB188_425 Depth=1
	s_or_b64 exec, exec, s[16:17]
	v_cmp_ne_u16_sdwa s[0:1], v15, v5 src0_sel:BYTE_1 src1_sel:DWORD
	s_and_saveexec_b64 s[16:17], s[0:1]
	s_cbranch_execz .LBB188_464
; %bb.459:                              ;   in Loop: Header=BB188_425 Depth=1
	v_mov_b32_e32 v19, v6
	v_cmp_ne_u16_sdwa s[0:1], v15, s28 src0_sel:BYTE_1 src1_sel:DWORD
	v_mov_b32_e32 v18, v5
	s_and_saveexec_b64 s[18:19], s[0:1]
	s_cbranch_execz .LBB188_463
; %bb.460:                              ;   in Loop: Header=BB188_425 Depth=1
	v_and_b32_sdwa v20, v15, s29 dst_sel:DWORD dst_unused:UNUSED_PAD src0_sel:BYTE_1 src1_sel:DWORD
	v_mov_b32_e32 v9, v5
	v_mov_b32_e32 v19, v10
	v_cmp_ne_u32_e64 s[0:1], s29, v20
	v_mov_b32_e32 v18, v9
	s_and_saveexec_b64 s[20:21], s[0:1]
	s_cbranch_execz .LBB188_462
; %bb.461:                              ;   in Loop: Header=BB188_425 Depth=1
	v_and_b32_sdwa v18, v15, v34 dst_sel:DWORD dst_unused:UNUSED_PAD src0_sel:BYTE_1 src1_sel:DWORD
	v_lshrrev_b32_e32 v9, 3, v20
	v_cmp_gt_u32_e64 s[0:1], 8, v20
	v_ffbh_u32_e32 v20, v18
	v_min_u32_e32 v21, 32, v20
	v_mov_b32_e32 v19, v5
	v_subrev_u32_e32 v20, 28, v21
	v_lshlrev_b64 v[19:20], v20, v[18:19]
	v_sub_u32_e32 v20, 29, v21
	v_and_b32_e32 v19, 7, v19
	v_cndmask_b32_e64 v9, v9, v20, s[0:1]
	v_cndmask_b32_e64 v18, v18, v19, s[0:1]
	v_lshlrev_b32_e32 v19, 16, v15
	v_lshl_add_u32 v9, v9, 23, v49
	v_and_or_b32 v9, v19, s30, v9
	v_lshlrev_b32_e32 v18, 20, v18
	v_or_b32_e32 v19, v9, v18
	v_mov_b32_e32 v18, v5
.LBB188_462:                            ;   in Loop: Header=BB188_425 Depth=1
	s_or_b64 exec, exec, s[20:21]
.LBB188_463:                            ;   in Loop: Header=BB188_425 Depth=1
	s_or_b64 exec, exec, s[18:19]
.LBB188_464:                            ;   in Loop: Header=BB188_425 Depth=1
	s_or_b64 exec, exec, s[16:17]
	v_lshrrev_b32_e32 v9, 16, v15
	v_mov_b32_e32 v22, 0
	v_mov_b32_e32 v20, 0
	;; [unrolled: 1-line block ×4, first 2 shown]
	v_cmp_ne_u16_sdwa s[0:1], v9, v5 src0_sel:BYTE_0 src1_sel:DWORD
	s_and_saveexec_b64 s[16:17], s[0:1]
	s_cbranch_execz .LBB188_470
; %bb.465:                              ;   in Loop: Header=BB188_425 Depth=1
	v_bfrev_b32_e32 v20, 1
	v_mov_b32_e32 v21, 0
	v_cmp_ne_u16_sdwa s[0:1], v9, s28 src0_sel:BYTE_0 src1_sel:DWORD
	s_and_saveexec_b64 s[18:19], s[0:1]
	s_cbranch_execz .LBB188_469
; %bb.466:                              ;   in Loop: Header=BB188_425 Depth=1
	v_bfe_u32 v24, v15, 16, 7
	v_mov_b32_e32 v20, 0x7f800001
	v_mov_b32_e32 v21, 0
	v_cmp_ne_u32_e64 s[0:1], s29, v24
	s_and_saveexec_b64 s[20:21], s[0:1]
	s_cbranch_execz .LBB188_468
; %bb.467:                              ;   in Loop: Header=BB188_425 Depth=1
	v_and_b32_e32 v25, 7, v9
	v_ffbh_u32_e32 v20, v25
	v_lshrrev_b32_e32 v26, 3, v24
	v_cmp_gt_u32_e64 s[0:1], 8, v24
	v_min_u32_e32 v24, 32, v20
	v_subrev_u32_e32 v20, 28, v24
	v_lshlrev_b64 v[20:21], v20, v[9:10]
	v_sub_u32_e32 v21, 29, v24
	v_and_b32_e32 v20, 7, v20
	v_cndmask_b32_e64 v21, v26, v21, s[0:1]
	v_cndmask_b32_e64 v20, v25, v20, s[0:1]
	v_lshlrev_b32_e32 v20, 20, v20
	v_and_b32_sdwa v9, sext(v9), s30 dst_sel:DWORD dst_unused:UNUSED_PAD src0_sel:BYTE_0 src1_sel:DWORD
	v_lshl_add_u32 v21, v21, 23, v49
	v_or3_b32 v20, v9, v21, v20
	v_mov_b32_e32 v21, v5
.LBB188_468:                            ;   in Loop: Header=BB188_425 Depth=1
	s_or_b64 exec, exec, s[20:21]
.LBB188_469:                            ;   in Loop: Header=BB188_425 Depth=1
	s_or_b64 exec, exec, s[18:19]
.LBB188_470:                            ;   in Loop: Header=BB188_425 Depth=1
	s_or_b64 exec, exec, s[16:17]
	v_cmp_lt_u32_e64 s[0:1], s31, v15
	s_and_saveexec_b64 s[16:17], s[0:1]
	s_cbranch_execz .LBB188_476
; %bb.471:                              ;   in Loop: Header=BB188_425 Depth=1
	v_mov_b32_e32 v23, v6
	v_cmp_ne_u32_sdwa s[0:1], v15, s28 src0_sel:BYTE_3 src1_sel:DWORD
	v_mov_b32_e32 v22, v5
	s_and_saveexec_b64 s[18:19], s[0:1]
	s_cbranch_execz .LBB188_475
; %bb.472:                              ;   in Loop: Header=BB188_425 Depth=1
	v_bfe_u32 v24, v15, 24, 7
	v_mov_b32_e32 v9, v5
	v_mov_b32_e32 v23, v10
	v_cmp_ne_u32_e64 s[0:1], s29, v24
	v_mov_b32_e32 v22, v9
	s_and_saveexec_b64 s[20:21], s[0:1]
	s_cbranch_execz .LBB188_474
; %bb.473:                              ;   in Loop: Header=BB188_425 Depth=1
	v_and_b32_sdwa v22, v15, v34 dst_sel:DWORD dst_unused:UNUSED_PAD src0_sel:BYTE_3 src1_sel:DWORD
	v_lshrrev_b32_e32 v9, 3, v24
	v_cmp_gt_u32_e64 s[0:1], 8, v24
	v_ffbh_u32_e32 v24, v22
	v_min_u32_e32 v25, 32, v24
	v_mov_b32_e32 v23, v5
	v_subrev_u32_e32 v24, 28, v25
	v_lshlrev_b64 v[23:24], v24, v[22:23]
	v_sub_u32_e32 v24, 29, v25
	v_and_b32_e32 v23, 7, v23
	v_cndmask_b32_e64 v9, v9, v24, s[0:1]
	v_cndmask_b32_e64 v22, v22, v23, s[0:1]
	v_lshlrev_b32_sdwa v15, v58, v15 dst_sel:DWORD dst_unused:UNUSED_PAD src0_sel:DWORD src1_sel:BYTE_3
	v_lshl_add_u32 v9, v9, 23, v49
	v_and_or_b32 v9, v15, s30, v9
	v_lshlrev_b32_e32 v15, 20, v22
	v_or_b32_e32 v23, v9, v15
	v_mov_b32_e32 v22, v5
.LBB188_474:                            ;   in Loop: Header=BB188_425 Depth=1
	s_or_b64 exec, exec, s[20:21]
.LBB188_475:                            ;   in Loop: Header=BB188_425 Depth=1
	s_or_b64 exec, exec, s[18:19]
.LBB188_476:                            ;   in Loop: Header=BB188_425 Depth=1
	s_or_b64 exec, exec, s[16:17]
	s_mov_b32 s39, s38
	v_or_b32_e32 v9, v19, v17
	v_or_b32_e32 v15, v18, v16
	v_mul_f32_e32 v0, s39, v9
	buffer_store_dword v0, off, s[56:59], 0 offset:16 ; 4-byte Folded Spill
	v_mul_f32_e32 v0, s38, v15
	v_or_b32_e32 v15, v22, v20
	buffer_store_dword v0, off, s[56:59], 0 offset:28 ; 4-byte Folded Spill
	v_or_b32_e32 v9, v23, v21
	v_mul_f32_e32 v0, s38, v15
	buffer_store_dword v0, off, s[56:59], 0 offset:24 ; 4-byte Folded Spill
	v_mul_f32_e32 v0, s39, v9
	buffer_store_dword v0, off, s[56:59], 0 offset:20 ; 4-byte Folded Spill
	s_and_saveexec_b64 s[16:17], vcc
	s_cbranch_execz .LBB188_478
; %bb.477:                              ;   in Loop: Header=BB188_425 Depth=1
	buffer_load_dword v0, off, s[56:59], 0 offset:28 ; 4-byte Folded Reload
	v_cmp_gt_i32_e64 s[0:1], s33, v57
	s_waitcnt vmcnt(0)
	v_cndmask_b32_e64 v0, 0, v0, s[0:1]
	buffer_store_dword v0, off, s[56:59], 0 offset:28 ; 4-byte Folded Spill
	buffer_load_dword v0, off, s[56:59], 0 offset:16 ; 4-byte Folded Reload
	v_cmp_gt_i32_e64 s[0:1], s33, v50
	s_waitcnt vmcnt(0)
	v_cndmask_b32_e64 v0, 0, v0, s[0:1]
	buffer_store_dword v0, off, s[56:59], 0 offset:16 ; 4-byte Folded Spill
	;; [unrolled: 5-line block ×3, first 2 shown]
	buffer_load_dword v0, off, s[56:59], 0  ; 4-byte Folded Reload
	s_waitcnt vmcnt(0)
	v_cmp_gt_i32_e64 s[0:1], s33, v0
	buffer_load_dword v0, off, s[56:59], 0 offset:20 ; 4-byte Folded Reload
	s_waitcnt vmcnt(0)
	v_cndmask_b32_e64 v0, 0, v0, s[0:1]
	buffer_store_dword v0, off, s[56:59], 0 offset:20 ; 4-byte Folded Spill
.LBB188_478:                            ;   in Loop: Header=BB188_425 Depth=1
	s_or_b64 exec, exec, s[16:17]
	global_load_dword v15, v[13:14], off offset:512
	v_mov_b32_e32 v18, 0
	v_mov_b32_e32 v16, 0
	;; [unrolled: 1-line block ×4, first 2 shown]
	s_waitcnt vmcnt(0)
	v_cmp_ne_u16_sdwa s[0:1], v15, v5 src0_sel:BYTE_0 src1_sel:DWORD
	s_and_saveexec_b64 s[16:17], s[0:1]
	s_cbranch_execz .LBB188_484
; %bb.479:                              ;   in Loop: Header=BB188_425 Depth=1
	v_bfrev_b32_e32 v16, 1
	v_mov_b32_e32 v17, 0
	v_cmp_ne_u16_sdwa s[0:1], v15, s28 src0_sel:BYTE_0 src1_sel:DWORD
	s_and_saveexec_b64 s[18:19], s[0:1]
	s_cbranch_execz .LBB188_483
; %bb.480:                              ;   in Loop: Header=BB188_425 Depth=1
	v_and_b32_e32 v9, 0x7f, v15
	v_mov_b32_e32 v16, 0x7f800001
	v_mov_b32_e32 v17, 0
	v_cmp_ne_u32_e64 s[0:1], s29, v9
	s_and_saveexec_b64 s[20:21], s[0:1]
	s_cbranch_execz .LBB188_482
; %bb.481:                              ;   in Loop: Header=BB188_425 Depth=1
	v_and_b32_e32 v20, 7, v15
	v_lshrrev_b32_e32 v21, 3, v9
	v_cmp_gt_u32_e64 s[0:1], 8, v9
	v_ffbh_u32_e32 v9, v20
	v_min_u32_e32 v9, 32, v9
	v_subrev_u32_e32 v16, 28, v9
	v_lshlrev_b64 v[16:17], v16, v[15:16]
	v_sub_u32_e32 v9, 29, v9
	v_and_b32_e32 v16, 7, v16
	v_cndmask_b32_e64 v9, v21, v9, s[0:1]
	v_cndmask_b32_e64 v16, v20, v16, s[0:1]
	v_lshlrev_b32_e32 v16, 20, v16
	v_and_b32_sdwa v17, sext(v15), s30 dst_sel:DWORD dst_unused:UNUSED_PAD src0_sel:BYTE_0 src1_sel:DWORD
	v_lshl_add_u32 v9, v9, 23, v49
	v_or3_b32 v16, v17, v9, v16
	v_mov_b32_e32 v17, v5
.LBB188_482:                            ;   in Loop: Header=BB188_425 Depth=1
	s_or_b64 exec, exec, s[20:21]
.LBB188_483:                            ;   in Loop: Header=BB188_425 Depth=1
	s_or_b64 exec, exec, s[18:19]
.LBB188_484:                            ;   in Loop: Header=BB188_425 Depth=1
	s_or_b64 exec, exec, s[16:17]
	v_cmp_ne_u16_sdwa s[0:1], v15, v5 src0_sel:BYTE_1 src1_sel:DWORD
	s_and_saveexec_b64 s[16:17], s[0:1]
	s_cbranch_execz .LBB188_490
; %bb.485:                              ;   in Loop: Header=BB188_425 Depth=1
	v_mov_b32_e32 v19, v6
	v_cmp_ne_u16_sdwa s[0:1], v15, s28 src0_sel:BYTE_1 src1_sel:DWORD
	v_mov_b32_e32 v18, v5
	s_and_saveexec_b64 s[18:19], s[0:1]
	s_cbranch_execz .LBB188_489
; %bb.486:                              ;   in Loop: Header=BB188_425 Depth=1
	v_and_b32_sdwa v20, v15, s29 dst_sel:DWORD dst_unused:UNUSED_PAD src0_sel:BYTE_1 src1_sel:DWORD
	v_mov_b32_e32 v9, v5
	v_mov_b32_e32 v19, v10
	v_cmp_ne_u32_e64 s[0:1], s29, v20
	v_mov_b32_e32 v18, v9
	s_and_saveexec_b64 s[20:21], s[0:1]
	s_cbranch_execz .LBB188_488
; %bb.487:                              ;   in Loop: Header=BB188_425 Depth=1
	v_and_b32_sdwa v18, v15, v34 dst_sel:DWORD dst_unused:UNUSED_PAD src0_sel:BYTE_1 src1_sel:DWORD
	v_lshrrev_b32_e32 v9, 3, v20
	v_cmp_gt_u32_e64 s[0:1], 8, v20
	v_ffbh_u32_e32 v20, v18
	v_min_u32_e32 v21, 32, v20
	v_mov_b32_e32 v19, v5
	v_subrev_u32_e32 v20, 28, v21
	v_lshlrev_b64 v[19:20], v20, v[18:19]
	v_sub_u32_e32 v20, 29, v21
	v_and_b32_e32 v19, 7, v19
	v_cndmask_b32_e64 v9, v9, v20, s[0:1]
	v_cndmask_b32_e64 v18, v18, v19, s[0:1]
	v_lshlrev_b32_e32 v19, 16, v15
	v_lshl_add_u32 v9, v9, 23, v49
	v_and_or_b32 v9, v19, s30, v9
	v_lshlrev_b32_e32 v18, 20, v18
	v_or_b32_e32 v19, v9, v18
	v_mov_b32_e32 v18, v5
.LBB188_488:                            ;   in Loop: Header=BB188_425 Depth=1
	s_or_b64 exec, exec, s[20:21]
.LBB188_489:                            ;   in Loop: Header=BB188_425 Depth=1
	s_or_b64 exec, exec, s[18:19]
.LBB188_490:                            ;   in Loop: Header=BB188_425 Depth=1
	s_or_b64 exec, exec, s[16:17]
	v_lshrrev_b32_e32 v9, 16, v15
	v_mov_b32_e32 v22, 0
	v_mov_b32_e32 v20, 0
	v_mov_b32_e32 v23, 0
	v_mov_b32_e32 v21, 0
	v_cmp_ne_u16_sdwa s[0:1], v9, v5 src0_sel:BYTE_0 src1_sel:DWORD
	s_and_saveexec_b64 s[16:17], s[0:1]
	s_cbranch_execz .LBB188_496
; %bb.491:                              ;   in Loop: Header=BB188_425 Depth=1
	v_bfrev_b32_e32 v20, 1
	v_mov_b32_e32 v21, 0
	v_cmp_ne_u16_sdwa s[0:1], v9, s28 src0_sel:BYTE_0 src1_sel:DWORD
	s_and_saveexec_b64 s[18:19], s[0:1]
	s_cbranch_execz .LBB188_495
; %bb.492:                              ;   in Loop: Header=BB188_425 Depth=1
	v_bfe_u32 v24, v15, 16, 7
	v_mov_b32_e32 v20, 0x7f800001
	v_mov_b32_e32 v21, 0
	v_cmp_ne_u32_e64 s[0:1], s29, v24
	s_and_saveexec_b64 s[20:21], s[0:1]
	s_cbranch_execz .LBB188_494
; %bb.493:                              ;   in Loop: Header=BB188_425 Depth=1
	v_and_b32_e32 v25, 7, v9
	v_ffbh_u32_e32 v20, v25
	v_lshrrev_b32_e32 v26, 3, v24
	v_cmp_gt_u32_e64 s[0:1], 8, v24
	v_min_u32_e32 v24, 32, v20
	v_subrev_u32_e32 v20, 28, v24
	v_lshlrev_b64 v[20:21], v20, v[9:10]
	v_sub_u32_e32 v21, 29, v24
	v_and_b32_e32 v20, 7, v20
	v_cndmask_b32_e64 v21, v26, v21, s[0:1]
	v_cndmask_b32_e64 v20, v25, v20, s[0:1]
	v_lshlrev_b32_e32 v20, 20, v20
	v_and_b32_sdwa v9, sext(v9), s30 dst_sel:DWORD dst_unused:UNUSED_PAD src0_sel:BYTE_0 src1_sel:DWORD
	v_lshl_add_u32 v21, v21, 23, v49
	v_or3_b32 v20, v9, v21, v20
	v_mov_b32_e32 v21, v5
.LBB188_494:                            ;   in Loop: Header=BB188_425 Depth=1
	s_or_b64 exec, exec, s[20:21]
.LBB188_495:                            ;   in Loop: Header=BB188_425 Depth=1
	s_or_b64 exec, exec, s[18:19]
.LBB188_496:                            ;   in Loop: Header=BB188_425 Depth=1
	s_or_b64 exec, exec, s[16:17]
	v_cmp_lt_u32_e64 s[0:1], s31, v15
	s_and_saveexec_b64 s[16:17], s[0:1]
	s_cbranch_execz .LBB188_502
; %bb.497:                              ;   in Loop: Header=BB188_425 Depth=1
	v_mov_b32_e32 v23, v6
	v_cmp_ne_u32_sdwa s[0:1], v15, s28 src0_sel:BYTE_3 src1_sel:DWORD
	v_mov_b32_e32 v22, v5
	s_and_saveexec_b64 s[18:19], s[0:1]
	s_cbranch_execz .LBB188_501
; %bb.498:                              ;   in Loop: Header=BB188_425 Depth=1
	v_bfe_u32 v24, v15, 24, 7
	v_mov_b32_e32 v9, v5
	v_mov_b32_e32 v23, v10
	v_cmp_ne_u32_e64 s[0:1], s29, v24
	v_mov_b32_e32 v22, v9
	s_and_saveexec_b64 s[20:21], s[0:1]
	s_cbranch_execz .LBB188_500
; %bb.499:                              ;   in Loop: Header=BB188_425 Depth=1
	v_and_b32_sdwa v22, v15, v34 dst_sel:DWORD dst_unused:UNUSED_PAD src0_sel:BYTE_3 src1_sel:DWORD
	v_lshrrev_b32_e32 v9, 3, v24
	v_cmp_gt_u32_e64 s[0:1], 8, v24
	v_ffbh_u32_e32 v24, v22
	v_min_u32_e32 v25, 32, v24
	v_mov_b32_e32 v23, v5
	v_subrev_u32_e32 v24, 28, v25
	v_lshlrev_b64 v[23:24], v24, v[22:23]
	v_sub_u32_e32 v24, 29, v25
	v_and_b32_e32 v23, 7, v23
	v_cndmask_b32_e64 v9, v9, v24, s[0:1]
	v_cndmask_b32_e64 v22, v22, v23, s[0:1]
	v_lshlrev_b32_sdwa v15, v58, v15 dst_sel:DWORD dst_unused:UNUSED_PAD src0_sel:DWORD src1_sel:BYTE_3
	v_lshl_add_u32 v9, v9, 23, v49
	v_and_or_b32 v9, v15, s30, v9
	v_lshlrev_b32_e32 v15, 20, v22
	v_or_b32_e32 v23, v9, v15
	v_mov_b32_e32 v22, v5
.LBB188_500:                            ;   in Loop: Header=BB188_425 Depth=1
	s_or_b64 exec, exec, s[20:21]
.LBB188_501:                            ;   in Loop: Header=BB188_425 Depth=1
	s_or_b64 exec, exec, s[18:19]
.LBB188_502:                            ;   in Loop: Header=BB188_425 Depth=1
	s_or_b64 exec, exec, s[16:17]
	v_or_b32_e32 v9, v19, v17
	v_or_b32_e32 v15, v18, v16
	v_mul_f32_e32 v0, s39, v9
	buffer_store_dword v0, off, s[56:59], 0 offset:32 ; 4-byte Folded Spill
	v_mul_f32_e32 v0, s38, v15
	v_or_b32_e32 v15, v22, v20
	buffer_store_dword v0, off, s[56:59], 0 offset:44 ; 4-byte Folded Spill
	v_or_b32_e32 v9, v23, v21
	v_mul_f32_e32 v0, s38, v15
	buffer_store_dword v0, off, s[56:59], 0 offset:40 ; 4-byte Folded Spill
	v_mul_f32_e32 v0, s39, v9
	buffer_store_dword v0, off, s[56:59], 0 offset:36 ; 4-byte Folded Spill
	s_and_saveexec_b64 s[16:17], vcc
	s_cbranch_execz .LBB188_504
; %bb.503:                              ;   in Loop: Header=BB188_425 Depth=1
	buffer_load_dword v0, off, s[56:59], 0 offset:44 ; 4-byte Folded Reload
	v_cmp_gt_i32_e64 s[0:1], s33, v57
	s_waitcnt vmcnt(0)
	v_cndmask_b32_e64 v0, 0, v0, s[0:1]
	buffer_store_dword v0, off, s[56:59], 0 offset:44 ; 4-byte Folded Spill
	buffer_load_dword v0, off, s[56:59], 0 offset:32 ; 4-byte Folded Reload
	v_cmp_gt_i32_e64 s[0:1], s33, v50
	s_waitcnt vmcnt(0)
	v_cndmask_b32_e64 v0, 0, v0, s[0:1]
	buffer_store_dword v0, off, s[56:59], 0 offset:32 ; 4-byte Folded Spill
	;; [unrolled: 5-line block ×3, first 2 shown]
	buffer_load_dword v0, off, s[56:59], 0  ; 4-byte Folded Reload
	s_waitcnt vmcnt(0)
	v_cmp_gt_i32_e64 s[0:1], s33, v0
	buffer_load_dword v0, off, s[56:59], 0 offset:36 ; 4-byte Folded Reload
	s_waitcnt vmcnt(0)
	v_cndmask_b32_e64 v0, 0, v0, s[0:1]
	buffer_store_dword v0, off, s[56:59], 0 offset:36 ; 4-byte Folded Spill
.LBB188_504:                            ;   in Loop: Header=BB188_425 Depth=1
	s_or_b64 exec, exec, s[16:17]
	global_load_dword v15, v[13:14], off offset:768
	v_mov_b32_e32 v18, 0
	v_mov_b32_e32 v16, 0
	v_mov_b32_e32 v19, 0
	v_mov_b32_e32 v17, 0
	s_waitcnt vmcnt(0)
	v_cmp_ne_u16_sdwa s[0:1], v15, v5 src0_sel:BYTE_0 src1_sel:DWORD
	s_and_saveexec_b64 s[16:17], s[0:1]
	s_cbranch_execz .LBB188_510
; %bb.505:                              ;   in Loop: Header=BB188_425 Depth=1
	v_bfrev_b32_e32 v16, 1
	v_mov_b32_e32 v17, 0
	v_cmp_ne_u16_sdwa s[0:1], v15, s28 src0_sel:BYTE_0 src1_sel:DWORD
	s_and_saveexec_b64 s[18:19], s[0:1]
	s_cbranch_execz .LBB188_509
; %bb.506:                              ;   in Loop: Header=BB188_425 Depth=1
	v_and_b32_e32 v9, 0x7f, v15
	v_mov_b32_e32 v16, 0x7f800001
	v_mov_b32_e32 v17, 0
	v_cmp_ne_u32_e64 s[0:1], s29, v9
	s_and_saveexec_b64 s[20:21], s[0:1]
	s_cbranch_execz .LBB188_508
; %bb.507:                              ;   in Loop: Header=BB188_425 Depth=1
	v_and_b32_e32 v20, 7, v15
	v_lshrrev_b32_e32 v21, 3, v9
	v_cmp_gt_u32_e64 s[0:1], 8, v9
	v_ffbh_u32_e32 v9, v20
	v_min_u32_e32 v9, 32, v9
	v_subrev_u32_e32 v16, 28, v9
	v_lshlrev_b64 v[16:17], v16, v[15:16]
	v_sub_u32_e32 v9, 29, v9
	v_and_b32_e32 v16, 7, v16
	v_cndmask_b32_e64 v9, v21, v9, s[0:1]
	v_cndmask_b32_e64 v16, v20, v16, s[0:1]
	v_lshlrev_b32_e32 v16, 20, v16
	v_and_b32_sdwa v17, sext(v15), s30 dst_sel:DWORD dst_unused:UNUSED_PAD src0_sel:BYTE_0 src1_sel:DWORD
	v_lshl_add_u32 v9, v9, 23, v49
	v_or3_b32 v16, v17, v9, v16
	v_mov_b32_e32 v17, v5
.LBB188_508:                            ;   in Loop: Header=BB188_425 Depth=1
	s_or_b64 exec, exec, s[20:21]
.LBB188_509:                            ;   in Loop: Header=BB188_425 Depth=1
	s_or_b64 exec, exec, s[18:19]
.LBB188_510:                            ;   in Loop: Header=BB188_425 Depth=1
	s_or_b64 exec, exec, s[16:17]
	v_cmp_ne_u16_sdwa s[0:1], v15, v5 src0_sel:BYTE_1 src1_sel:DWORD
	s_and_saveexec_b64 s[16:17], s[0:1]
	s_cbranch_execz .LBB188_516
; %bb.511:                              ;   in Loop: Header=BB188_425 Depth=1
	v_mov_b32_e32 v19, v6
	v_cmp_ne_u16_sdwa s[0:1], v15, s28 src0_sel:BYTE_1 src1_sel:DWORD
	v_mov_b32_e32 v18, v5
	s_and_saveexec_b64 s[18:19], s[0:1]
	s_cbranch_execz .LBB188_515
; %bb.512:                              ;   in Loop: Header=BB188_425 Depth=1
	v_and_b32_sdwa v20, v15, s29 dst_sel:DWORD dst_unused:UNUSED_PAD src0_sel:BYTE_1 src1_sel:DWORD
	v_mov_b32_e32 v9, v5
	v_mov_b32_e32 v19, v10
	v_cmp_ne_u32_e64 s[0:1], s29, v20
	v_mov_b32_e32 v18, v9
	s_and_saveexec_b64 s[20:21], s[0:1]
	s_cbranch_execz .LBB188_514
; %bb.513:                              ;   in Loop: Header=BB188_425 Depth=1
	v_and_b32_sdwa v18, v15, v34 dst_sel:DWORD dst_unused:UNUSED_PAD src0_sel:BYTE_1 src1_sel:DWORD
	v_lshrrev_b32_e32 v9, 3, v20
	v_cmp_gt_u32_e64 s[0:1], 8, v20
	v_ffbh_u32_e32 v20, v18
	v_min_u32_e32 v21, 32, v20
	v_mov_b32_e32 v19, v5
	v_subrev_u32_e32 v20, 28, v21
	v_lshlrev_b64 v[19:20], v20, v[18:19]
	v_sub_u32_e32 v20, 29, v21
	v_and_b32_e32 v19, 7, v19
	v_cndmask_b32_e64 v9, v9, v20, s[0:1]
	v_cndmask_b32_e64 v18, v18, v19, s[0:1]
	v_lshlrev_b32_e32 v19, 16, v15
	v_lshl_add_u32 v9, v9, 23, v49
	v_and_or_b32 v9, v19, s30, v9
	v_lshlrev_b32_e32 v18, 20, v18
	v_or_b32_e32 v19, v9, v18
	v_mov_b32_e32 v18, v5
.LBB188_514:                            ;   in Loop: Header=BB188_425 Depth=1
	s_or_b64 exec, exec, s[20:21]
.LBB188_515:                            ;   in Loop: Header=BB188_425 Depth=1
	s_or_b64 exec, exec, s[18:19]
.LBB188_516:                            ;   in Loop: Header=BB188_425 Depth=1
	s_or_b64 exec, exec, s[16:17]
	v_lshrrev_b32_e32 v9, 16, v15
	v_mov_b32_e32 v22, 0
	v_mov_b32_e32 v20, 0
	;; [unrolled: 1-line block ×4, first 2 shown]
	v_cmp_ne_u16_sdwa s[0:1], v9, v5 src0_sel:BYTE_0 src1_sel:DWORD
	s_and_saveexec_b64 s[16:17], s[0:1]
	s_cbranch_execz .LBB188_522
; %bb.517:                              ;   in Loop: Header=BB188_425 Depth=1
	v_bfrev_b32_e32 v20, 1
	v_mov_b32_e32 v21, 0
	v_cmp_ne_u16_sdwa s[0:1], v9, s28 src0_sel:BYTE_0 src1_sel:DWORD
	s_and_saveexec_b64 s[18:19], s[0:1]
	s_cbranch_execz .LBB188_521
; %bb.518:                              ;   in Loop: Header=BB188_425 Depth=1
	v_bfe_u32 v24, v15, 16, 7
	v_mov_b32_e32 v20, 0x7f800001
	v_mov_b32_e32 v21, 0
	v_cmp_ne_u32_e64 s[0:1], s29, v24
	s_and_saveexec_b64 s[20:21], s[0:1]
	s_cbranch_execz .LBB188_520
; %bb.519:                              ;   in Loop: Header=BB188_425 Depth=1
	v_and_b32_e32 v25, 7, v9
	v_ffbh_u32_e32 v20, v25
	v_lshrrev_b32_e32 v26, 3, v24
	v_cmp_gt_u32_e64 s[0:1], 8, v24
	v_min_u32_e32 v24, 32, v20
	v_subrev_u32_e32 v20, 28, v24
	v_lshlrev_b64 v[20:21], v20, v[9:10]
	v_sub_u32_e32 v21, 29, v24
	v_and_b32_e32 v20, 7, v20
	v_cndmask_b32_e64 v21, v26, v21, s[0:1]
	v_cndmask_b32_e64 v20, v25, v20, s[0:1]
	v_lshlrev_b32_e32 v20, 20, v20
	v_and_b32_sdwa v9, sext(v9), s30 dst_sel:DWORD dst_unused:UNUSED_PAD src0_sel:BYTE_0 src1_sel:DWORD
	v_lshl_add_u32 v21, v21, 23, v49
	v_or3_b32 v20, v9, v21, v20
	v_mov_b32_e32 v21, v5
.LBB188_520:                            ;   in Loop: Header=BB188_425 Depth=1
	s_or_b64 exec, exec, s[20:21]
.LBB188_521:                            ;   in Loop: Header=BB188_425 Depth=1
	s_or_b64 exec, exec, s[18:19]
.LBB188_522:                            ;   in Loop: Header=BB188_425 Depth=1
	s_or_b64 exec, exec, s[16:17]
	v_cmp_lt_u32_e64 s[0:1], s31, v15
	s_and_saveexec_b64 s[16:17], s[0:1]
	s_cbranch_execz .LBB188_528
; %bb.523:                              ;   in Loop: Header=BB188_425 Depth=1
	v_mov_b32_e32 v23, v6
	v_cmp_ne_u32_sdwa s[0:1], v15, s28 src0_sel:BYTE_3 src1_sel:DWORD
	v_mov_b32_e32 v22, v5
	s_and_saveexec_b64 s[18:19], s[0:1]
	s_cbranch_execz .LBB188_527
; %bb.524:                              ;   in Loop: Header=BB188_425 Depth=1
	v_bfe_u32 v24, v15, 24, 7
	v_mov_b32_e32 v9, v5
	v_mov_b32_e32 v23, v10
	v_cmp_ne_u32_e64 s[0:1], s29, v24
	v_mov_b32_e32 v22, v9
	s_and_saveexec_b64 s[20:21], s[0:1]
	s_cbranch_execz .LBB188_526
; %bb.525:                              ;   in Loop: Header=BB188_425 Depth=1
	v_and_b32_sdwa v22, v15, v34 dst_sel:DWORD dst_unused:UNUSED_PAD src0_sel:BYTE_3 src1_sel:DWORD
	v_lshrrev_b32_e32 v9, 3, v24
	v_cmp_gt_u32_e64 s[0:1], 8, v24
	v_ffbh_u32_e32 v24, v22
	v_min_u32_e32 v25, 32, v24
	v_mov_b32_e32 v23, v5
	v_subrev_u32_e32 v24, 28, v25
	v_lshlrev_b64 v[23:24], v24, v[22:23]
	v_sub_u32_e32 v24, 29, v25
	v_and_b32_e32 v23, 7, v23
	v_cndmask_b32_e64 v9, v9, v24, s[0:1]
	v_cndmask_b32_e64 v22, v22, v23, s[0:1]
	v_lshlrev_b32_sdwa v15, v58, v15 dst_sel:DWORD dst_unused:UNUSED_PAD src0_sel:DWORD src1_sel:BYTE_3
	v_lshl_add_u32 v9, v9, 23, v49
	v_and_or_b32 v9, v15, s30, v9
	v_lshlrev_b32_e32 v15, 20, v22
	v_or_b32_e32 v23, v9, v15
	v_mov_b32_e32 v22, v5
.LBB188_526:                            ;   in Loop: Header=BB188_425 Depth=1
	s_or_b64 exec, exec, s[20:21]
.LBB188_527:                            ;   in Loop: Header=BB188_425 Depth=1
	s_or_b64 exec, exec, s[18:19]
.LBB188_528:                            ;   in Loop: Header=BB188_425 Depth=1
	s_or_b64 exec, exec, s[16:17]
	v_or_b32_e32 v9, v19, v17
	v_or_b32_e32 v15, v18, v16
	v_mul_f32_e32 v0, s39, v9
	buffer_store_dword v0, off, s[56:59], 0 offset:48 ; 4-byte Folded Spill
	v_mul_f32_e32 v0, s38, v15
	v_or_b32_e32 v15, v22, v20
	buffer_store_dword v0, off, s[56:59], 0 offset:60 ; 4-byte Folded Spill
	v_or_b32_e32 v9, v23, v21
	v_mul_f32_e32 v0, s38, v15
	buffer_store_dword v0, off, s[56:59], 0 offset:56 ; 4-byte Folded Spill
	v_mul_f32_e32 v0, s39, v9
	buffer_store_dword v0, off, s[56:59], 0 offset:52 ; 4-byte Folded Spill
	s_and_saveexec_b64 s[16:17], vcc
	s_cbranch_execz .LBB188_530
; %bb.529:                              ;   in Loop: Header=BB188_425 Depth=1
	buffer_load_dword v0, off, s[56:59], 0 offset:60 ; 4-byte Folded Reload
	v_cmp_gt_i32_e64 s[0:1], s33, v57
	s_waitcnt vmcnt(0)
	v_cndmask_b32_e64 v0, 0, v0, s[0:1]
	buffer_store_dword v0, off, s[56:59], 0 offset:60 ; 4-byte Folded Spill
	buffer_load_dword v0, off, s[56:59], 0 offset:48 ; 4-byte Folded Reload
	v_cmp_gt_i32_e64 s[0:1], s33, v50
	s_waitcnt vmcnt(0)
	v_cndmask_b32_e64 v0, 0, v0, s[0:1]
	buffer_store_dword v0, off, s[56:59], 0 offset:48 ; 4-byte Folded Spill
	;; [unrolled: 5-line block ×3, first 2 shown]
	buffer_load_dword v0, off, s[56:59], 0  ; 4-byte Folded Reload
	s_waitcnt vmcnt(0)
	v_cmp_gt_i32_e64 s[0:1], s33, v0
	buffer_load_dword v0, off, s[56:59], 0 offset:52 ; 4-byte Folded Reload
	s_waitcnt vmcnt(0)
	v_cndmask_b32_e64 v0, 0, v0, s[0:1]
	buffer_store_dword v0, off, s[56:59], 0 offset:52 ; 4-byte Folded Spill
.LBB188_530:                            ;   in Loop: Header=BB188_425 Depth=1
	s_or_b64 exec, exec, s[16:17]
	global_load_dword v15, v[13:14], off offset:1024
	v_mov_b32_e32 v18, 0
	v_mov_b32_e32 v16, 0
	;; [unrolled: 1-line block ×4, first 2 shown]
	s_waitcnt vmcnt(0)
	v_cmp_ne_u16_sdwa s[0:1], v15, v5 src0_sel:BYTE_0 src1_sel:DWORD
	s_and_saveexec_b64 s[16:17], s[0:1]
	s_cbranch_execz .LBB188_536
; %bb.531:                              ;   in Loop: Header=BB188_425 Depth=1
	v_bfrev_b32_e32 v16, 1
	v_mov_b32_e32 v17, 0
	v_cmp_ne_u16_sdwa s[0:1], v15, s28 src0_sel:BYTE_0 src1_sel:DWORD
	s_and_saveexec_b64 s[18:19], s[0:1]
	s_cbranch_execz .LBB188_535
; %bb.532:                              ;   in Loop: Header=BB188_425 Depth=1
	v_and_b32_e32 v9, 0x7f, v15
	v_mov_b32_e32 v16, 0x7f800001
	v_mov_b32_e32 v17, 0
	v_cmp_ne_u32_e64 s[0:1], s29, v9
	s_and_saveexec_b64 s[20:21], s[0:1]
	s_cbranch_execz .LBB188_534
; %bb.533:                              ;   in Loop: Header=BB188_425 Depth=1
	v_and_b32_e32 v20, 7, v15
	v_lshrrev_b32_e32 v21, 3, v9
	v_cmp_gt_u32_e64 s[0:1], 8, v9
	v_ffbh_u32_e32 v9, v20
	v_min_u32_e32 v9, 32, v9
	v_subrev_u32_e32 v16, 28, v9
	v_lshlrev_b64 v[16:17], v16, v[15:16]
	v_sub_u32_e32 v9, 29, v9
	v_and_b32_e32 v16, 7, v16
	v_cndmask_b32_e64 v9, v21, v9, s[0:1]
	v_cndmask_b32_e64 v16, v20, v16, s[0:1]
	v_lshlrev_b32_e32 v16, 20, v16
	v_and_b32_sdwa v17, sext(v15), s30 dst_sel:DWORD dst_unused:UNUSED_PAD src0_sel:BYTE_0 src1_sel:DWORD
	v_lshl_add_u32 v9, v9, 23, v49
	v_or3_b32 v16, v17, v9, v16
	v_mov_b32_e32 v17, v5
.LBB188_534:                            ;   in Loop: Header=BB188_425 Depth=1
	s_or_b64 exec, exec, s[20:21]
.LBB188_535:                            ;   in Loop: Header=BB188_425 Depth=1
	s_or_b64 exec, exec, s[18:19]
.LBB188_536:                            ;   in Loop: Header=BB188_425 Depth=1
	s_or_b64 exec, exec, s[16:17]
	v_cmp_ne_u16_sdwa s[0:1], v15, v5 src0_sel:BYTE_1 src1_sel:DWORD
	s_and_saveexec_b64 s[16:17], s[0:1]
	s_cbranch_execz .LBB188_542
; %bb.537:                              ;   in Loop: Header=BB188_425 Depth=1
	v_mov_b32_e32 v19, v6
	v_cmp_ne_u16_sdwa s[0:1], v15, s28 src0_sel:BYTE_1 src1_sel:DWORD
	v_mov_b32_e32 v18, v5
	s_and_saveexec_b64 s[18:19], s[0:1]
	s_cbranch_execz .LBB188_541
; %bb.538:                              ;   in Loop: Header=BB188_425 Depth=1
	v_and_b32_sdwa v20, v15, s29 dst_sel:DWORD dst_unused:UNUSED_PAD src0_sel:BYTE_1 src1_sel:DWORD
	v_mov_b32_e32 v9, v5
	v_mov_b32_e32 v19, v10
	v_cmp_ne_u32_e64 s[0:1], s29, v20
	v_mov_b32_e32 v18, v9
	s_and_saveexec_b64 s[20:21], s[0:1]
	s_cbranch_execz .LBB188_540
; %bb.539:                              ;   in Loop: Header=BB188_425 Depth=1
	v_and_b32_sdwa v18, v15, v34 dst_sel:DWORD dst_unused:UNUSED_PAD src0_sel:BYTE_1 src1_sel:DWORD
	v_lshrrev_b32_e32 v9, 3, v20
	v_cmp_gt_u32_e64 s[0:1], 8, v20
	v_ffbh_u32_e32 v20, v18
	v_min_u32_e32 v21, 32, v20
	v_mov_b32_e32 v19, v5
	v_subrev_u32_e32 v20, 28, v21
	v_lshlrev_b64 v[19:20], v20, v[18:19]
	v_sub_u32_e32 v20, 29, v21
	v_and_b32_e32 v19, 7, v19
	v_cndmask_b32_e64 v9, v9, v20, s[0:1]
	v_cndmask_b32_e64 v18, v18, v19, s[0:1]
	v_lshlrev_b32_e32 v19, 16, v15
	v_lshl_add_u32 v9, v9, 23, v49
	v_and_or_b32 v9, v19, s30, v9
	v_lshlrev_b32_e32 v18, 20, v18
	v_or_b32_e32 v19, v9, v18
	v_mov_b32_e32 v18, v5
.LBB188_540:                            ;   in Loop: Header=BB188_425 Depth=1
	s_or_b64 exec, exec, s[20:21]
.LBB188_541:                            ;   in Loop: Header=BB188_425 Depth=1
	s_or_b64 exec, exec, s[18:19]
.LBB188_542:                            ;   in Loop: Header=BB188_425 Depth=1
	s_or_b64 exec, exec, s[16:17]
	v_lshrrev_b32_e32 v9, 16, v15
	v_mov_b32_e32 v22, 0
	v_mov_b32_e32 v20, 0
	;; [unrolled: 1-line block ×4, first 2 shown]
	v_cmp_ne_u16_sdwa s[0:1], v9, v5 src0_sel:BYTE_0 src1_sel:DWORD
	s_and_saveexec_b64 s[16:17], s[0:1]
	s_cbranch_execz .LBB188_548
; %bb.543:                              ;   in Loop: Header=BB188_425 Depth=1
	v_bfrev_b32_e32 v20, 1
	v_mov_b32_e32 v21, 0
	v_cmp_ne_u16_sdwa s[0:1], v9, s28 src0_sel:BYTE_0 src1_sel:DWORD
	s_and_saveexec_b64 s[18:19], s[0:1]
	s_cbranch_execz .LBB188_547
; %bb.544:                              ;   in Loop: Header=BB188_425 Depth=1
	v_bfe_u32 v24, v15, 16, 7
	v_mov_b32_e32 v20, 0x7f800001
	v_mov_b32_e32 v21, 0
	v_cmp_ne_u32_e64 s[0:1], s29, v24
	s_and_saveexec_b64 s[20:21], s[0:1]
	s_cbranch_execz .LBB188_546
; %bb.545:                              ;   in Loop: Header=BB188_425 Depth=1
	v_and_b32_e32 v25, 7, v9
	v_ffbh_u32_e32 v20, v25
	v_lshrrev_b32_e32 v26, 3, v24
	v_cmp_gt_u32_e64 s[0:1], 8, v24
	v_min_u32_e32 v24, 32, v20
	v_subrev_u32_e32 v20, 28, v24
	v_lshlrev_b64 v[20:21], v20, v[9:10]
	v_sub_u32_e32 v21, 29, v24
	v_and_b32_e32 v20, 7, v20
	v_cndmask_b32_e64 v21, v26, v21, s[0:1]
	v_cndmask_b32_e64 v20, v25, v20, s[0:1]
	v_lshlrev_b32_e32 v20, 20, v20
	v_and_b32_sdwa v9, sext(v9), s30 dst_sel:DWORD dst_unused:UNUSED_PAD src0_sel:BYTE_0 src1_sel:DWORD
	v_lshl_add_u32 v21, v21, 23, v49
	v_or3_b32 v20, v9, v21, v20
	v_mov_b32_e32 v21, v5
.LBB188_546:                            ;   in Loop: Header=BB188_425 Depth=1
	s_or_b64 exec, exec, s[20:21]
.LBB188_547:                            ;   in Loop: Header=BB188_425 Depth=1
	s_or_b64 exec, exec, s[18:19]
.LBB188_548:                            ;   in Loop: Header=BB188_425 Depth=1
	s_or_b64 exec, exec, s[16:17]
	v_cmp_lt_u32_e64 s[0:1], s31, v15
	s_and_saveexec_b64 s[16:17], s[0:1]
	s_cbranch_execz .LBB188_554
; %bb.549:                              ;   in Loop: Header=BB188_425 Depth=1
	v_mov_b32_e32 v23, v6
	v_cmp_ne_u32_sdwa s[0:1], v15, s28 src0_sel:BYTE_3 src1_sel:DWORD
	v_mov_b32_e32 v22, v5
	s_and_saveexec_b64 s[18:19], s[0:1]
	s_cbranch_execz .LBB188_553
; %bb.550:                              ;   in Loop: Header=BB188_425 Depth=1
	v_bfe_u32 v24, v15, 24, 7
	v_mov_b32_e32 v9, v5
	v_mov_b32_e32 v23, v10
	v_cmp_ne_u32_e64 s[0:1], s29, v24
	v_mov_b32_e32 v22, v9
	s_and_saveexec_b64 s[20:21], s[0:1]
	s_cbranch_execz .LBB188_552
; %bb.551:                              ;   in Loop: Header=BB188_425 Depth=1
	v_and_b32_sdwa v22, v15, v34 dst_sel:DWORD dst_unused:UNUSED_PAD src0_sel:BYTE_3 src1_sel:DWORD
	v_lshrrev_b32_e32 v9, 3, v24
	v_cmp_gt_u32_e64 s[0:1], 8, v24
	v_ffbh_u32_e32 v24, v22
	v_min_u32_e32 v25, 32, v24
	v_mov_b32_e32 v23, v5
	v_subrev_u32_e32 v24, 28, v25
	v_lshlrev_b64 v[23:24], v24, v[22:23]
	v_sub_u32_e32 v24, 29, v25
	v_and_b32_e32 v23, 7, v23
	v_cndmask_b32_e64 v9, v9, v24, s[0:1]
	v_cndmask_b32_e64 v22, v22, v23, s[0:1]
	v_lshlrev_b32_sdwa v15, v58, v15 dst_sel:DWORD dst_unused:UNUSED_PAD src0_sel:DWORD src1_sel:BYTE_3
	v_lshl_add_u32 v9, v9, 23, v49
	v_and_or_b32 v9, v15, s30, v9
	v_lshlrev_b32_e32 v15, 20, v22
	v_or_b32_e32 v23, v9, v15
	v_mov_b32_e32 v22, v5
.LBB188_552:                            ;   in Loop: Header=BB188_425 Depth=1
	s_or_b64 exec, exec, s[20:21]
.LBB188_553:                            ;   in Loop: Header=BB188_425 Depth=1
	s_or_b64 exec, exec, s[18:19]
.LBB188_554:                            ;   in Loop: Header=BB188_425 Depth=1
	s_or_b64 exec, exec, s[16:17]
	v_or_b32_e32 v9, v19, v17
	v_or_b32_e32 v15, v18, v16
	v_mul_f32_e32 v0, s39, v9
	buffer_store_dword v0, off, s[56:59], 0 offset:64 ; 4-byte Folded Spill
	v_mul_f32_e32 v0, s38, v15
	v_or_b32_e32 v15, v22, v20
	buffer_store_dword v0, off, s[56:59], 0 offset:76 ; 4-byte Folded Spill
	v_or_b32_e32 v9, v23, v21
	v_mul_f32_e32 v0, s38, v15
	buffer_store_dword v0, off, s[56:59], 0 offset:72 ; 4-byte Folded Spill
	v_mul_f32_e32 v0, s39, v9
	buffer_store_dword v0, off, s[56:59], 0 offset:68 ; 4-byte Folded Spill
	s_and_saveexec_b64 s[16:17], vcc
	s_cbranch_execz .LBB188_556
; %bb.555:                              ;   in Loop: Header=BB188_425 Depth=1
	buffer_load_dword v0, off, s[56:59], 0 offset:76 ; 4-byte Folded Reload
	v_cmp_gt_i32_e64 s[0:1], s33, v57
	s_waitcnt vmcnt(0)
	v_cndmask_b32_e64 v0, 0, v0, s[0:1]
	buffer_store_dword v0, off, s[56:59], 0 offset:76 ; 4-byte Folded Spill
	buffer_load_dword v0, off, s[56:59], 0 offset:64 ; 4-byte Folded Reload
	v_cmp_gt_i32_e64 s[0:1], s33, v50
	s_waitcnt vmcnt(0)
	v_cndmask_b32_e64 v0, 0, v0, s[0:1]
	buffer_store_dword v0, off, s[56:59], 0 offset:64 ; 4-byte Folded Spill
	;; [unrolled: 5-line block ×3, first 2 shown]
	buffer_load_dword v0, off, s[56:59], 0  ; 4-byte Folded Reload
	s_waitcnt vmcnt(0)
	v_cmp_gt_i32_e64 s[0:1], s33, v0
	buffer_load_dword v0, off, s[56:59], 0 offset:68 ; 4-byte Folded Reload
	s_waitcnt vmcnt(0)
	v_cndmask_b32_e64 v0, 0, v0, s[0:1]
	buffer_store_dword v0, off, s[56:59], 0 offset:68 ; 4-byte Folded Spill
.LBB188_556:                            ;   in Loop: Header=BB188_425 Depth=1
	s_or_b64 exec, exec, s[16:17]
	global_load_dword v15, v[13:14], off offset:1280
	v_mov_b32_e32 v18, 0
	v_mov_b32_e32 v16, 0
	;; [unrolled: 1-line block ×4, first 2 shown]
	s_waitcnt vmcnt(0)
	v_cmp_ne_u16_sdwa s[0:1], v15, v5 src0_sel:BYTE_0 src1_sel:DWORD
	s_and_saveexec_b64 s[16:17], s[0:1]
	s_cbranch_execz .LBB188_562
; %bb.557:                              ;   in Loop: Header=BB188_425 Depth=1
	v_bfrev_b32_e32 v16, 1
	v_mov_b32_e32 v17, 0
	v_cmp_ne_u16_sdwa s[0:1], v15, s28 src0_sel:BYTE_0 src1_sel:DWORD
	s_and_saveexec_b64 s[18:19], s[0:1]
	s_cbranch_execz .LBB188_561
; %bb.558:                              ;   in Loop: Header=BB188_425 Depth=1
	v_and_b32_e32 v9, 0x7f, v15
	v_mov_b32_e32 v16, 0x7f800001
	v_mov_b32_e32 v17, 0
	v_cmp_ne_u32_e64 s[0:1], s29, v9
	s_and_saveexec_b64 s[20:21], s[0:1]
	s_cbranch_execz .LBB188_560
; %bb.559:                              ;   in Loop: Header=BB188_425 Depth=1
	v_and_b32_e32 v20, 7, v15
	v_lshrrev_b32_e32 v21, 3, v9
	v_cmp_gt_u32_e64 s[0:1], 8, v9
	v_ffbh_u32_e32 v9, v20
	v_min_u32_e32 v9, 32, v9
	v_subrev_u32_e32 v16, 28, v9
	v_lshlrev_b64 v[16:17], v16, v[15:16]
	v_sub_u32_e32 v9, 29, v9
	v_and_b32_e32 v16, 7, v16
	v_cndmask_b32_e64 v9, v21, v9, s[0:1]
	v_cndmask_b32_e64 v16, v20, v16, s[0:1]
	v_lshlrev_b32_e32 v16, 20, v16
	v_and_b32_sdwa v17, sext(v15), s30 dst_sel:DWORD dst_unused:UNUSED_PAD src0_sel:BYTE_0 src1_sel:DWORD
	v_lshl_add_u32 v9, v9, 23, v49
	v_or3_b32 v16, v17, v9, v16
	v_mov_b32_e32 v17, v5
.LBB188_560:                            ;   in Loop: Header=BB188_425 Depth=1
	s_or_b64 exec, exec, s[20:21]
.LBB188_561:                            ;   in Loop: Header=BB188_425 Depth=1
	s_or_b64 exec, exec, s[18:19]
.LBB188_562:                            ;   in Loop: Header=BB188_425 Depth=1
	s_or_b64 exec, exec, s[16:17]
	v_cmp_ne_u16_sdwa s[0:1], v15, v5 src0_sel:BYTE_1 src1_sel:DWORD
	s_and_saveexec_b64 s[16:17], s[0:1]
	s_cbranch_execz .LBB188_568
; %bb.563:                              ;   in Loop: Header=BB188_425 Depth=1
	v_mov_b32_e32 v19, v6
	v_cmp_ne_u16_sdwa s[0:1], v15, s28 src0_sel:BYTE_1 src1_sel:DWORD
	v_mov_b32_e32 v18, v5
	s_and_saveexec_b64 s[18:19], s[0:1]
	s_cbranch_execz .LBB188_567
; %bb.564:                              ;   in Loop: Header=BB188_425 Depth=1
	v_and_b32_sdwa v20, v15, s29 dst_sel:DWORD dst_unused:UNUSED_PAD src0_sel:BYTE_1 src1_sel:DWORD
	v_mov_b32_e32 v9, v5
	v_mov_b32_e32 v19, v10
	v_cmp_ne_u32_e64 s[0:1], s29, v20
	v_mov_b32_e32 v18, v9
	s_and_saveexec_b64 s[20:21], s[0:1]
	s_cbranch_execz .LBB188_566
; %bb.565:                              ;   in Loop: Header=BB188_425 Depth=1
	v_and_b32_sdwa v18, v15, v34 dst_sel:DWORD dst_unused:UNUSED_PAD src0_sel:BYTE_1 src1_sel:DWORD
	v_lshrrev_b32_e32 v9, 3, v20
	v_cmp_gt_u32_e64 s[0:1], 8, v20
	v_ffbh_u32_e32 v20, v18
	v_min_u32_e32 v21, 32, v20
	v_mov_b32_e32 v19, v5
	v_subrev_u32_e32 v20, 28, v21
	v_lshlrev_b64 v[19:20], v20, v[18:19]
	v_sub_u32_e32 v20, 29, v21
	v_and_b32_e32 v19, 7, v19
	v_cndmask_b32_e64 v9, v9, v20, s[0:1]
	v_cndmask_b32_e64 v18, v18, v19, s[0:1]
	v_lshlrev_b32_e32 v19, 16, v15
	v_lshl_add_u32 v9, v9, 23, v49
	v_and_or_b32 v9, v19, s30, v9
	v_lshlrev_b32_e32 v18, 20, v18
	v_or_b32_e32 v19, v9, v18
	v_mov_b32_e32 v18, v5
.LBB188_566:                            ;   in Loop: Header=BB188_425 Depth=1
	s_or_b64 exec, exec, s[20:21]
.LBB188_567:                            ;   in Loop: Header=BB188_425 Depth=1
	s_or_b64 exec, exec, s[18:19]
.LBB188_568:                            ;   in Loop: Header=BB188_425 Depth=1
	s_or_b64 exec, exec, s[16:17]
	v_lshrrev_b32_e32 v9, 16, v15
	v_mov_b32_e32 v22, 0
	v_mov_b32_e32 v20, 0
	;; [unrolled: 1-line block ×4, first 2 shown]
	v_cmp_ne_u16_sdwa s[0:1], v9, v5 src0_sel:BYTE_0 src1_sel:DWORD
	s_and_saveexec_b64 s[16:17], s[0:1]
	s_cbranch_execz .LBB188_574
; %bb.569:                              ;   in Loop: Header=BB188_425 Depth=1
	v_bfrev_b32_e32 v20, 1
	v_mov_b32_e32 v21, 0
	v_cmp_ne_u16_sdwa s[0:1], v9, s28 src0_sel:BYTE_0 src1_sel:DWORD
	s_and_saveexec_b64 s[18:19], s[0:1]
	s_cbranch_execz .LBB188_573
; %bb.570:                              ;   in Loop: Header=BB188_425 Depth=1
	v_bfe_u32 v24, v15, 16, 7
	v_mov_b32_e32 v20, 0x7f800001
	v_mov_b32_e32 v21, 0
	v_cmp_ne_u32_e64 s[0:1], s29, v24
	s_and_saveexec_b64 s[20:21], s[0:1]
	s_cbranch_execz .LBB188_572
; %bb.571:                              ;   in Loop: Header=BB188_425 Depth=1
	v_and_b32_e32 v25, 7, v9
	v_ffbh_u32_e32 v20, v25
	v_lshrrev_b32_e32 v26, 3, v24
	v_cmp_gt_u32_e64 s[0:1], 8, v24
	v_min_u32_e32 v24, 32, v20
	v_subrev_u32_e32 v20, 28, v24
	v_lshlrev_b64 v[20:21], v20, v[9:10]
	v_sub_u32_e32 v21, 29, v24
	v_and_b32_e32 v20, 7, v20
	v_cndmask_b32_e64 v21, v26, v21, s[0:1]
	v_cndmask_b32_e64 v20, v25, v20, s[0:1]
	v_lshlrev_b32_e32 v20, 20, v20
	v_and_b32_sdwa v9, sext(v9), s30 dst_sel:DWORD dst_unused:UNUSED_PAD src0_sel:BYTE_0 src1_sel:DWORD
	v_lshl_add_u32 v21, v21, 23, v49
	v_or3_b32 v20, v9, v21, v20
	v_mov_b32_e32 v21, v5
.LBB188_572:                            ;   in Loop: Header=BB188_425 Depth=1
	s_or_b64 exec, exec, s[20:21]
.LBB188_573:                            ;   in Loop: Header=BB188_425 Depth=1
	s_or_b64 exec, exec, s[18:19]
.LBB188_574:                            ;   in Loop: Header=BB188_425 Depth=1
	s_or_b64 exec, exec, s[16:17]
	v_cmp_lt_u32_e64 s[0:1], s31, v15
	s_and_saveexec_b64 s[16:17], s[0:1]
	s_cbranch_execz .LBB188_580
; %bb.575:                              ;   in Loop: Header=BB188_425 Depth=1
	v_mov_b32_e32 v23, v6
	v_cmp_ne_u32_sdwa s[0:1], v15, s28 src0_sel:BYTE_3 src1_sel:DWORD
	v_mov_b32_e32 v22, v5
	s_and_saveexec_b64 s[18:19], s[0:1]
	s_cbranch_execz .LBB188_579
; %bb.576:                              ;   in Loop: Header=BB188_425 Depth=1
	v_bfe_u32 v24, v15, 24, 7
	v_mov_b32_e32 v9, v5
	v_mov_b32_e32 v23, v10
	v_cmp_ne_u32_e64 s[0:1], s29, v24
	v_mov_b32_e32 v22, v9
	s_and_saveexec_b64 s[20:21], s[0:1]
	s_cbranch_execz .LBB188_578
; %bb.577:                              ;   in Loop: Header=BB188_425 Depth=1
	v_and_b32_sdwa v22, v15, v34 dst_sel:DWORD dst_unused:UNUSED_PAD src0_sel:BYTE_3 src1_sel:DWORD
	v_lshrrev_b32_e32 v9, 3, v24
	v_cmp_gt_u32_e64 s[0:1], 8, v24
	v_ffbh_u32_e32 v24, v22
	v_min_u32_e32 v25, 32, v24
	v_mov_b32_e32 v23, v5
	v_subrev_u32_e32 v24, 28, v25
	v_lshlrev_b64 v[23:24], v24, v[22:23]
	v_sub_u32_e32 v24, 29, v25
	v_and_b32_e32 v23, 7, v23
	v_cndmask_b32_e64 v9, v9, v24, s[0:1]
	v_cndmask_b32_e64 v22, v22, v23, s[0:1]
	v_lshlrev_b32_sdwa v15, v58, v15 dst_sel:DWORD dst_unused:UNUSED_PAD src0_sel:DWORD src1_sel:BYTE_3
	v_lshl_add_u32 v9, v9, 23, v49
	v_and_or_b32 v9, v15, s30, v9
	v_lshlrev_b32_e32 v15, 20, v22
	v_or_b32_e32 v23, v9, v15
	v_mov_b32_e32 v22, v5
.LBB188_578:                            ;   in Loop: Header=BB188_425 Depth=1
	s_or_b64 exec, exec, s[20:21]
.LBB188_579:                            ;   in Loop: Header=BB188_425 Depth=1
	s_or_b64 exec, exec, s[18:19]
.LBB188_580:                            ;   in Loop: Header=BB188_425 Depth=1
	s_or_b64 exec, exec, s[16:17]
	v_or_b32_e32 v9, v19, v17
	v_or_b32_e32 v15, v18, v16
	v_mul_f32_e32 v0, s39, v9
	buffer_store_dword v0, off, s[56:59], 0 offset:80 ; 4-byte Folded Spill
	v_mul_f32_e32 v0, s38, v15
	v_or_b32_e32 v15, v22, v20
	buffer_store_dword v0, off, s[56:59], 0 offset:96 ; 4-byte Folded Spill
	v_or_b32_e32 v9, v23, v21
	v_mul_f32_e32 v0, s38, v15
	buffer_store_dword v0, off, s[56:59], 0 offset:88 ; 4-byte Folded Spill
	v_mul_f32_e32 v0, s39, v9
	buffer_store_dword v0, off, s[56:59], 0 offset:84 ; 4-byte Folded Spill
	s_and_saveexec_b64 s[16:17], vcc
	s_cbranch_execz .LBB188_582
; %bb.581:                              ;   in Loop: Header=BB188_425 Depth=1
	buffer_load_dword v0, off, s[56:59], 0 offset:96 ; 4-byte Folded Reload
	v_cmp_gt_i32_e64 s[0:1], s33, v57
	s_waitcnt vmcnt(0)
	v_cndmask_b32_e64 v0, 0, v0, s[0:1]
	buffer_store_dword v0, off, s[56:59], 0 offset:96 ; 4-byte Folded Spill
	buffer_load_dword v0, off, s[56:59], 0 offset:80 ; 4-byte Folded Reload
	v_cmp_gt_i32_e64 s[0:1], s33, v50
	s_waitcnt vmcnt(0)
	v_cndmask_b32_e64 v0, 0, v0, s[0:1]
	buffer_store_dword v0, off, s[56:59], 0 offset:80 ; 4-byte Folded Spill
	;; [unrolled: 5-line block ×3, first 2 shown]
	buffer_load_dword v0, off, s[56:59], 0  ; 4-byte Folded Reload
	s_waitcnt vmcnt(0)
	v_cmp_gt_i32_e64 s[0:1], s33, v0
	buffer_load_dword v0, off, s[56:59], 0 offset:84 ; 4-byte Folded Reload
	s_waitcnt vmcnt(0)
	v_cndmask_b32_e64 v0, 0, v0, s[0:1]
	buffer_store_dword v0, off, s[56:59], 0 offset:84 ; 4-byte Folded Spill
.LBB188_582:                            ;   in Loop: Header=BB188_425 Depth=1
	s_or_b64 exec, exec, s[16:17]
	global_load_dword v15, v[13:14], off offset:1536
	v_mov_b32_e32 v18, 0
	v_mov_b32_e32 v16, 0
	;; [unrolled: 1-line block ×4, first 2 shown]
	s_waitcnt vmcnt(0)
	v_cmp_ne_u16_sdwa s[0:1], v15, v5 src0_sel:BYTE_0 src1_sel:DWORD
	s_and_saveexec_b64 s[16:17], s[0:1]
	s_cbranch_execz .LBB188_588
; %bb.583:                              ;   in Loop: Header=BB188_425 Depth=1
	v_bfrev_b32_e32 v16, 1
	v_mov_b32_e32 v17, 0
	v_cmp_ne_u16_sdwa s[0:1], v15, s28 src0_sel:BYTE_0 src1_sel:DWORD
	s_and_saveexec_b64 s[18:19], s[0:1]
	s_cbranch_execz .LBB188_587
; %bb.584:                              ;   in Loop: Header=BB188_425 Depth=1
	v_and_b32_e32 v9, 0x7f, v15
	v_mov_b32_e32 v16, 0x7f800001
	v_mov_b32_e32 v17, 0
	v_cmp_ne_u32_e64 s[0:1], s29, v9
	s_and_saveexec_b64 s[20:21], s[0:1]
	s_cbranch_execz .LBB188_586
; %bb.585:                              ;   in Loop: Header=BB188_425 Depth=1
	v_and_b32_e32 v20, 7, v15
	v_lshrrev_b32_e32 v21, 3, v9
	v_cmp_gt_u32_e64 s[0:1], 8, v9
	v_ffbh_u32_e32 v9, v20
	v_min_u32_e32 v9, 32, v9
	v_subrev_u32_e32 v16, 28, v9
	v_lshlrev_b64 v[16:17], v16, v[15:16]
	v_sub_u32_e32 v9, 29, v9
	v_and_b32_e32 v16, 7, v16
	v_cndmask_b32_e64 v9, v21, v9, s[0:1]
	v_cndmask_b32_e64 v16, v20, v16, s[0:1]
	v_lshlrev_b32_e32 v16, 20, v16
	v_and_b32_sdwa v17, sext(v15), s30 dst_sel:DWORD dst_unused:UNUSED_PAD src0_sel:BYTE_0 src1_sel:DWORD
	v_lshl_add_u32 v9, v9, 23, v49
	v_or3_b32 v16, v17, v9, v16
	v_mov_b32_e32 v17, v5
.LBB188_586:                            ;   in Loop: Header=BB188_425 Depth=1
	s_or_b64 exec, exec, s[20:21]
.LBB188_587:                            ;   in Loop: Header=BB188_425 Depth=1
	s_or_b64 exec, exec, s[18:19]
.LBB188_588:                            ;   in Loop: Header=BB188_425 Depth=1
	s_or_b64 exec, exec, s[16:17]
	v_cmp_ne_u16_sdwa s[0:1], v15, v5 src0_sel:BYTE_1 src1_sel:DWORD
	s_and_saveexec_b64 s[16:17], s[0:1]
	s_cbranch_execz .LBB188_594
; %bb.589:                              ;   in Loop: Header=BB188_425 Depth=1
	v_mov_b32_e32 v19, v6
	v_cmp_ne_u16_sdwa s[0:1], v15, s28 src0_sel:BYTE_1 src1_sel:DWORD
	v_mov_b32_e32 v18, v5
	s_and_saveexec_b64 s[18:19], s[0:1]
	s_cbranch_execz .LBB188_593
; %bb.590:                              ;   in Loop: Header=BB188_425 Depth=1
	v_and_b32_sdwa v20, v15, s29 dst_sel:DWORD dst_unused:UNUSED_PAD src0_sel:BYTE_1 src1_sel:DWORD
	v_mov_b32_e32 v9, v5
	v_mov_b32_e32 v19, v10
	v_cmp_ne_u32_e64 s[0:1], s29, v20
	v_mov_b32_e32 v18, v9
	s_and_saveexec_b64 s[20:21], s[0:1]
	s_cbranch_execz .LBB188_592
; %bb.591:                              ;   in Loop: Header=BB188_425 Depth=1
	v_and_b32_sdwa v18, v15, v34 dst_sel:DWORD dst_unused:UNUSED_PAD src0_sel:BYTE_1 src1_sel:DWORD
	v_lshrrev_b32_e32 v9, 3, v20
	v_cmp_gt_u32_e64 s[0:1], 8, v20
	v_ffbh_u32_e32 v20, v18
	v_min_u32_e32 v21, 32, v20
	v_mov_b32_e32 v19, v5
	v_subrev_u32_e32 v20, 28, v21
	v_lshlrev_b64 v[19:20], v20, v[18:19]
	v_sub_u32_e32 v20, 29, v21
	v_and_b32_e32 v19, 7, v19
	v_cndmask_b32_e64 v9, v9, v20, s[0:1]
	v_cndmask_b32_e64 v18, v18, v19, s[0:1]
	v_lshlrev_b32_e32 v19, 16, v15
	v_lshl_add_u32 v9, v9, 23, v49
	v_and_or_b32 v9, v19, s30, v9
	v_lshlrev_b32_e32 v18, 20, v18
	v_or_b32_e32 v19, v9, v18
	v_mov_b32_e32 v18, v5
.LBB188_592:                            ;   in Loop: Header=BB188_425 Depth=1
	s_or_b64 exec, exec, s[20:21]
.LBB188_593:                            ;   in Loop: Header=BB188_425 Depth=1
	s_or_b64 exec, exec, s[18:19]
.LBB188_594:                            ;   in Loop: Header=BB188_425 Depth=1
	s_or_b64 exec, exec, s[16:17]
	v_lshrrev_b32_e32 v9, 16, v15
	v_mov_b32_e32 v22, 0
	v_mov_b32_e32 v20, 0
	;; [unrolled: 1-line block ×4, first 2 shown]
	v_cmp_ne_u16_sdwa s[0:1], v9, v5 src0_sel:BYTE_0 src1_sel:DWORD
	s_and_saveexec_b64 s[16:17], s[0:1]
	s_cbranch_execz .LBB188_600
; %bb.595:                              ;   in Loop: Header=BB188_425 Depth=1
	v_bfrev_b32_e32 v20, 1
	v_mov_b32_e32 v21, 0
	v_cmp_ne_u16_sdwa s[0:1], v9, s28 src0_sel:BYTE_0 src1_sel:DWORD
	s_and_saveexec_b64 s[18:19], s[0:1]
	s_cbranch_execz .LBB188_599
; %bb.596:                              ;   in Loop: Header=BB188_425 Depth=1
	v_bfe_u32 v24, v15, 16, 7
	v_mov_b32_e32 v20, 0x7f800001
	v_mov_b32_e32 v21, 0
	v_cmp_ne_u32_e64 s[0:1], s29, v24
	s_and_saveexec_b64 s[20:21], s[0:1]
	s_cbranch_execz .LBB188_598
; %bb.597:                              ;   in Loop: Header=BB188_425 Depth=1
	v_and_b32_e32 v25, 7, v9
	v_ffbh_u32_e32 v20, v25
	v_lshrrev_b32_e32 v26, 3, v24
	v_cmp_gt_u32_e64 s[0:1], 8, v24
	v_min_u32_e32 v24, 32, v20
	v_subrev_u32_e32 v20, 28, v24
	v_lshlrev_b64 v[20:21], v20, v[9:10]
	v_sub_u32_e32 v21, 29, v24
	v_and_b32_e32 v20, 7, v20
	v_cndmask_b32_e64 v21, v26, v21, s[0:1]
	v_cndmask_b32_e64 v20, v25, v20, s[0:1]
	v_lshlrev_b32_e32 v20, 20, v20
	v_and_b32_sdwa v9, sext(v9), s30 dst_sel:DWORD dst_unused:UNUSED_PAD src0_sel:BYTE_0 src1_sel:DWORD
	v_lshl_add_u32 v21, v21, 23, v49
	v_or3_b32 v20, v9, v21, v20
	v_mov_b32_e32 v21, v5
.LBB188_598:                            ;   in Loop: Header=BB188_425 Depth=1
	s_or_b64 exec, exec, s[20:21]
.LBB188_599:                            ;   in Loop: Header=BB188_425 Depth=1
	s_or_b64 exec, exec, s[18:19]
.LBB188_600:                            ;   in Loop: Header=BB188_425 Depth=1
	s_or_b64 exec, exec, s[16:17]
	v_cmp_lt_u32_e64 s[0:1], s31, v15
	s_and_saveexec_b64 s[16:17], s[0:1]
	s_cbranch_execz .LBB188_606
; %bb.601:                              ;   in Loop: Header=BB188_425 Depth=1
	v_mov_b32_e32 v23, v6
	v_cmp_ne_u32_sdwa s[0:1], v15, s28 src0_sel:BYTE_3 src1_sel:DWORD
	v_mov_b32_e32 v22, v5
	s_and_saveexec_b64 s[18:19], s[0:1]
	s_cbranch_execz .LBB188_605
; %bb.602:                              ;   in Loop: Header=BB188_425 Depth=1
	v_bfe_u32 v24, v15, 24, 7
	v_mov_b32_e32 v9, v5
	v_mov_b32_e32 v23, v10
	v_cmp_ne_u32_e64 s[0:1], s29, v24
	v_mov_b32_e32 v22, v9
	s_and_saveexec_b64 s[20:21], s[0:1]
	s_cbranch_execz .LBB188_604
; %bb.603:                              ;   in Loop: Header=BB188_425 Depth=1
	v_and_b32_sdwa v22, v15, v34 dst_sel:DWORD dst_unused:UNUSED_PAD src0_sel:BYTE_3 src1_sel:DWORD
	v_lshrrev_b32_e32 v9, 3, v24
	v_cmp_gt_u32_e64 s[0:1], 8, v24
	v_ffbh_u32_e32 v24, v22
	v_min_u32_e32 v25, 32, v24
	v_mov_b32_e32 v23, v5
	v_subrev_u32_e32 v24, 28, v25
	v_lshlrev_b64 v[23:24], v24, v[22:23]
	v_sub_u32_e32 v24, 29, v25
	v_and_b32_e32 v23, 7, v23
	v_cndmask_b32_e64 v9, v9, v24, s[0:1]
	v_cndmask_b32_e64 v22, v22, v23, s[0:1]
	v_lshlrev_b32_sdwa v15, v58, v15 dst_sel:DWORD dst_unused:UNUSED_PAD src0_sel:DWORD src1_sel:BYTE_3
	v_lshl_add_u32 v9, v9, 23, v49
	v_and_or_b32 v9, v15, s30, v9
	v_lshlrev_b32_e32 v15, 20, v22
	v_or_b32_e32 v23, v9, v15
	v_mov_b32_e32 v22, v5
.LBB188_604:                            ;   in Loop: Header=BB188_425 Depth=1
	s_or_b64 exec, exec, s[20:21]
.LBB188_605:                            ;   in Loop: Header=BB188_425 Depth=1
	s_or_b64 exec, exec, s[18:19]
.LBB188_606:                            ;   in Loop: Header=BB188_425 Depth=1
	s_or_b64 exec, exec, s[16:17]
	v_or_b32_e32 v9, v19, v17
	v_or_b32_e32 v15, v18, v16
	v_mul_f32_e32 v0, s39, v9
	buffer_store_dword v0, off, s[56:59], 0 offset:112 ; 4-byte Folded Spill
	v_mul_f32_e32 v0, s38, v15
	v_or_b32_e32 v15, v22, v20
	buffer_store_dword v0, off, s[56:59], 0 offset:160 ; 4-byte Folded Spill
	v_or_b32_e32 v9, v23, v21
	v_mul_f32_e32 v0, s38, v15
	buffer_store_dword v0, off, s[56:59], 0 offset:144 ; 4-byte Folded Spill
	v_mul_f32_e32 v0, s39, v9
	buffer_store_dword v0, off, s[56:59], 0 offset:128 ; 4-byte Folded Spill
	s_and_saveexec_b64 s[16:17], vcc
	s_cbranch_execz .LBB188_608
; %bb.607:                              ;   in Loop: Header=BB188_425 Depth=1
	buffer_load_dword v0, off, s[56:59], 0 offset:160 ; 4-byte Folded Reload
	v_cmp_gt_i32_e64 s[0:1], s33, v57
	s_waitcnt vmcnt(0)
	v_cndmask_b32_e64 v0, 0, v0, s[0:1]
	buffer_store_dword v0, off, s[56:59], 0 offset:160 ; 4-byte Folded Spill
	buffer_load_dword v0, off, s[56:59], 0 offset:112 ; 4-byte Folded Reload
	v_cmp_gt_i32_e64 s[0:1], s33, v50
	s_waitcnt vmcnt(0)
	v_cndmask_b32_e64 v0, 0, v0, s[0:1]
	buffer_store_dword v0, off, s[56:59], 0 offset:112 ; 4-byte Folded Spill
	;; [unrolled: 5-line block ×3, first 2 shown]
	buffer_load_dword v0, off, s[56:59], 0  ; 4-byte Folded Reload
	s_waitcnt vmcnt(0)
	v_cmp_gt_i32_e64 s[0:1], s33, v0
	buffer_load_dword v0, off, s[56:59], 0 offset:128 ; 4-byte Folded Reload
	s_waitcnt vmcnt(0)
	v_cndmask_b32_e64 v0, 0, v0, s[0:1]
	buffer_store_dword v0, off, s[56:59], 0 offset:128 ; 4-byte Folded Spill
.LBB188_608:                            ;   in Loop: Header=BB188_425 Depth=1
	s_or_b64 exec, exec, s[16:17]
	global_load_dword v15, v[13:14], off offset:1792
	v_mov_b32_e32 v18, 0
	v_mov_b32_e32 v16, 0
	;; [unrolled: 1-line block ×4, first 2 shown]
	s_waitcnt vmcnt(0)
	v_cmp_ne_u16_sdwa s[0:1], v15, v5 src0_sel:BYTE_0 src1_sel:DWORD
	s_and_saveexec_b64 s[16:17], s[0:1]
	s_cbranch_execz .LBB188_614
; %bb.609:                              ;   in Loop: Header=BB188_425 Depth=1
	v_bfrev_b32_e32 v16, 1
	v_mov_b32_e32 v17, 0
	v_cmp_ne_u16_sdwa s[0:1], v15, s28 src0_sel:BYTE_0 src1_sel:DWORD
	s_and_saveexec_b64 s[18:19], s[0:1]
	s_cbranch_execz .LBB188_613
; %bb.610:                              ;   in Loop: Header=BB188_425 Depth=1
	v_and_b32_e32 v9, 0x7f, v15
	v_mov_b32_e32 v16, 0x7f800001
	v_mov_b32_e32 v17, 0
	v_cmp_ne_u32_e64 s[0:1], s29, v9
	s_and_saveexec_b64 s[20:21], s[0:1]
	s_cbranch_execz .LBB188_612
; %bb.611:                              ;   in Loop: Header=BB188_425 Depth=1
	v_and_b32_e32 v20, 7, v15
	v_lshrrev_b32_e32 v21, 3, v9
	v_cmp_gt_u32_e64 s[0:1], 8, v9
	v_ffbh_u32_e32 v9, v20
	v_min_u32_e32 v9, 32, v9
	v_subrev_u32_e32 v16, 28, v9
	v_lshlrev_b64 v[16:17], v16, v[15:16]
	v_sub_u32_e32 v9, 29, v9
	v_and_b32_e32 v16, 7, v16
	v_cndmask_b32_e64 v9, v21, v9, s[0:1]
	v_cndmask_b32_e64 v16, v20, v16, s[0:1]
	v_lshlrev_b32_e32 v16, 20, v16
	v_and_b32_sdwa v17, sext(v15), s30 dst_sel:DWORD dst_unused:UNUSED_PAD src0_sel:BYTE_0 src1_sel:DWORD
	v_lshl_add_u32 v9, v9, 23, v49
	v_or3_b32 v16, v17, v9, v16
	v_mov_b32_e32 v17, v5
.LBB188_612:                            ;   in Loop: Header=BB188_425 Depth=1
	s_or_b64 exec, exec, s[20:21]
.LBB188_613:                            ;   in Loop: Header=BB188_425 Depth=1
	s_or_b64 exec, exec, s[18:19]
.LBB188_614:                            ;   in Loop: Header=BB188_425 Depth=1
	s_or_b64 exec, exec, s[16:17]
	v_cmp_ne_u16_sdwa s[0:1], v15, v5 src0_sel:BYTE_1 src1_sel:DWORD
	s_and_saveexec_b64 s[16:17], s[0:1]
	s_cbranch_execz .LBB188_620
; %bb.615:                              ;   in Loop: Header=BB188_425 Depth=1
	v_mov_b32_e32 v19, v6
	v_cmp_ne_u16_sdwa s[0:1], v15, s28 src0_sel:BYTE_1 src1_sel:DWORD
	v_mov_b32_e32 v18, v5
	s_and_saveexec_b64 s[18:19], s[0:1]
	s_cbranch_execz .LBB188_619
; %bb.616:                              ;   in Loop: Header=BB188_425 Depth=1
	v_and_b32_sdwa v20, v15, s29 dst_sel:DWORD dst_unused:UNUSED_PAD src0_sel:BYTE_1 src1_sel:DWORD
	v_mov_b32_e32 v9, v5
	v_mov_b32_e32 v19, v10
	v_cmp_ne_u32_e64 s[0:1], s29, v20
	v_mov_b32_e32 v18, v9
	s_and_saveexec_b64 s[20:21], s[0:1]
	s_cbranch_execz .LBB188_618
; %bb.617:                              ;   in Loop: Header=BB188_425 Depth=1
	v_and_b32_sdwa v18, v15, v34 dst_sel:DWORD dst_unused:UNUSED_PAD src0_sel:BYTE_1 src1_sel:DWORD
	v_lshrrev_b32_e32 v9, 3, v20
	v_cmp_gt_u32_e64 s[0:1], 8, v20
	v_ffbh_u32_e32 v20, v18
	v_min_u32_e32 v21, 32, v20
	v_mov_b32_e32 v19, v5
	v_subrev_u32_e32 v20, 28, v21
	v_lshlrev_b64 v[19:20], v20, v[18:19]
	v_sub_u32_e32 v20, 29, v21
	v_and_b32_e32 v19, 7, v19
	v_cndmask_b32_e64 v9, v9, v20, s[0:1]
	v_cndmask_b32_e64 v18, v18, v19, s[0:1]
	v_lshlrev_b32_e32 v19, 16, v15
	v_lshl_add_u32 v9, v9, 23, v49
	v_and_or_b32 v9, v19, s30, v9
	v_lshlrev_b32_e32 v18, 20, v18
	v_or_b32_e32 v19, v9, v18
	v_mov_b32_e32 v18, v5
.LBB188_618:                            ;   in Loop: Header=BB188_425 Depth=1
	s_or_b64 exec, exec, s[20:21]
.LBB188_619:                            ;   in Loop: Header=BB188_425 Depth=1
	s_or_b64 exec, exec, s[18:19]
.LBB188_620:                            ;   in Loop: Header=BB188_425 Depth=1
	s_or_b64 exec, exec, s[16:17]
	v_lshrrev_b32_e32 v9, 16, v15
	v_mov_b32_e32 v22, 0
	v_mov_b32_e32 v20, 0
	;; [unrolled: 1-line block ×4, first 2 shown]
	v_cmp_ne_u16_sdwa s[0:1], v9, v5 src0_sel:BYTE_0 src1_sel:DWORD
	s_and_saveexec_b64 s[16:17], s[0:1]
	s_cbranch_execz .LBB188_626
; %bb.621:                              ;   in Loop: Header=BB188_425 Depth=1
	v_bfrev_b32_e32 v20, 1
	v_mov_b32_e32 v21, 0
	v_cmp_ne_u16_sdwa s[0:1], v9, s28 src0_sel:BYTE_0 src1_sel:DWORD
	s_and_saveexec_b64 s[18:19], s[0:1]
	s_cbranch_execz .LBB188_625
; %bb.622:                              ;   in Loop: Header=BB188_425 Depth=1
	v_bfe_u32 v24, v15, 16, 7
	v_mov_b32_e32 v20, 0x7f800001
	v_mov_b32_e32 v21, 0
	v_cmp_ne_u32_e64 s[0:1], s29, v24
	s_and_saveexec_b64 s[20:21], s[0:1]
	s_cbranch_execz .LBB188_624
; %bb.623:                              ;   in Loop: Header=BB188_425 Depth=1
	v_and_b32_e32 v25, 7, v9
	v_ffbh_u32_e32 v20, v25
	v_lshrrev_b32_e32 v26, 3, v24
	v_cmp_gt_u32_e64 s[0:1], 8, v24
	v_min_u32_e32 v24, 32, v20
	v_subrev_u32_e32 v20, 28, v24
	v_lshlrev_b64 v[20:21], v20, v[9:10]
	v_sub_u32_e32 v21, 29, v24
	v_and_b32_e32 v20, 7, v20
	v_cndmask_b32_e64 v21, v26, v21, s[0:1]
	v_cndmask_b32_e64 v20, v25, v20, s[0:1]
	v_lshlrev_b32_e32 v20, 20, v20
	v_and_b32_sdwa v9, sext(v9), s30 dst_sel:DWORD dst_unused:UNUSED_PAD src0_sel:BYTE_0 src1_sel:DWORD
	v_lshl_add_u32 v21, v21, 23, v49
	v_or3_b32 v20, v9, v21, v20
	v_mov_b32_e32 v21, v5
.LBB188_624:                            ;   in Loop: Header=BB188_425 Depth=1
	s_or_b64 exec, exec, s[20:21]
.LBB188_625:                            ;   in Loop: Header=BB188_425 Depth=1
	s_or_b64 exec, exec, s[18:19]
.LBB188_626:                            ;   in Loop: Header=BB188_425 Depth=1
	s_or_b64 exec, exec, s[16:17]
	v_cmp_lt_u32_e64 s[0:1], s31, v15
	s_and_saveexec_b64 s[16:17], s[0:1]
	s_cbranch_execz .LBB188_632
; %bb.627:                              ;   in Loop: Header=BB188_425 Depth=1
	v_mov_b32_e32 v23, v6
	v_cmp_ne_u32_sdwa s[0:1], v15, s28 src0_sel:BYTE_3 src1_sel:DWORD
	v_mov_b32_e32 v22, v5
	s_and_saveexec_b64 s[18:19], s[0:1]
	s_cbranch_execz .LBB188_631
; %bb.628:                              ;   in Loop: Header=BB188_425 Depth=1
	v_bfe_u32 v24, v15, 24, 7
	v_mov_b32_e32 v9, v5
	v_mov_b32_e32 v23, v10
	v_cmp_ne_u32_e64 s[0:1], s29, v24
	v_mov_b32_e32 v22, v9
	s_and_saveexec_b64 s[20:21], s[0:1]
	s_cbranch_execz .LBB188_630
; %bb.629:                              ;   in Loop: Header=BB188_425 Depth=1
	v_and_b32_sdwa v22, v15, v34 dst_sel:DWORD dst_unused:UNUSED_PAD src0_sel:BYTE_3 src1_sel:DWORD
	v_lshrrev_b32_e32 v9, 3, v24
	v_cmp_gt_u32_e64 s[0:1], 8, v24
	v_ffbh_u32_e32 v24, v22
	v_min_u32_e32 v25, 32, v24
	v_mov_b32_e32 v23, v5
	v_subrev_u32_e32 v24, 28, v25
	v_lshlrev_b64 v[23:24], v24, v[22:23]
	v_sub_u32_e32 v24, 29, v25
	v_and_b32_e32 v23, 7, v23
	v_cndmask_b32_e64 v9, v9, v24, s[0:1]
	v_cndmask_b32_e64 v22, v22, v23, s[0:1]
	v_lshlrev_b32_sdwa v15, v58, v15 dst_sel:DWORD dst_unused:UNUSED_PAD src0_sel:DWORD src1_sel:BYTE_3
	v_lshl_add_u32 v9, v9, 23, v49
	v_and_or_b32 v9, v15, s30, v9
	v_lshlrev_b32_e32 v15, 20, v22
	v_or_b32_e32 v23, v9, v15
	v_mov_b32_e32 v22, v5
.LBB188_630:                            ;   in Loop: Header=BB188_425 Depth=1
	s_or_b64 exec, exec, s[20:21]
.LBB188_631:                            ;   in Loop: Header=BB188_425 Depth=1
	s_or_b64 exec, exec, s[18:19]
.LBB188_632:                            ;   in Loop: Header=BB188_425 Depth=1
	s_or_b64 exec, exec, s[16:17]
	v_or_b32_e32 v9, v19, v17
	v_or_b32_e32 v15, v18, v16
	v_mul_f32_e32 v0, s39, v9
	buffer_store_dword v0, off, s[56:59], 0 offset:176 ; 4-byte Folded Spill
	v_mul_f32_e32 v0, s38, v15
	v_or_b32_e32 v15, v22, v20
	buffer_store_dword v0, off, s[56:59], 0 offset:224 ; 4-byte Folded Spill
	v_or_b32_e32 v9, v23, v21
	v_mul_f32_e32 v0, s38, v15
	buffer_store_dword v0, off, s[56:59], 0 offset:208 ; 4-byte Folded Spill
	v_mul_f32_e32 v0, s39, v9
	buffer_store_dword v0, off, s[56:59], 0 offset:192 ; 4-byte Folded Spill
	s_and_saveexec_b64 s[16:17], vcc
	s_cbranch_execz .LBB188_634
; %bb.633:                              ;   in Loop: Header=BB188_425 Depth=1
	buffer_load_dword v0, off, s[56:59], 0 offset:224 ; 4-byte Folded Reload
	v_cmp_gt_i32_e64 s[0:1], s33, v57
	s_waitcnt vmcnt(0)
	v_cndmask_b32_e64 v0, 0, v0, s[0:1]
	buffer_store_dword v0, off, s[56:59], 0 offset:224 ; 4-byte Folded Spill
	buffer_load_dword v0, off, s[56:59], 0 offset:176 ; 4-byte Folded Reload
	v_cmp_gt_i32_e64 s[0:1], s33, v50
	s_waitcnt vmcnt(0)
	v_cndmask_b32_e64 v0, 0, v0, s[0:1]
	buffer_store_dword v0, off, s[56:59], 0 offset:176 ; 4-byte Folded Spill
	;; [unrolled: 5-line block ×3, first 2 shown]
	buffer_load_dword v0, off, s[56:59], 0  ; 4-byte Folded Reload
	s_waitcnt vmcnt(0)
	v_cmp_gt_i32_e64 s[0:1], s33, v0
	buffer_load_dword v0, off, s[56:59], 0 offset:192 ; 4-byte Folded Reload
	s_waitcnt vmcnt(0)
	v_cndmask_b32_e64 v0, 0, v0, s[0:1]
	buffer_store_dword v0, off, s[56:59], 0 offset:192 ; 4-byte Folded Spill
.LBB188_634:                            ;   in Loop: Header=BB188_425 Depth=1
	s_or_b64 exec, exec, s[16:17]
	global_load_dword v15, v[13:14], off offset:2048
	v_mov_b32_e32 v18, 0
	v_mov_b32_e32 v16, 0
	;; [unrolled: 1-line block ×4, first 2 shown]
	s_waitcnt vmcnt(0)
	v_cmp_ne_u16_sdwa s[0:1], v15, v5 src0_sel:BYTE_0 src1_sel:DWORD
	s_and_saveexec_b64 s[16:17], s[0:1]
	s_cbranch_execz .LBB188_640
; %bb.635:                              ;   in Loop: Header=BB188_425 Depth=1
	v_bfrev_b32_e32 v16, 1
	v_mov_b32_e32 v17, 0
	v_cmp_ne_u16_sdwa s[0:1], v15, s28 src0_sel:BYTE_0 src1_sel:DWORD
	s_and_saveexec_b64 s[18:19], s[0:1]
	s_cbranch_execz .LBB188_639
; %bb.636:                              ;   in Loop: Header=BB188_425 Depth=1
	v_and_b32_e32 v9, 0x7f, v15
	v_mov_b32_e32 v16, 0x7f800001
	v_mov_b32_e32 v17, 0
	v_cmp_ne_u32_e64 s[0:1], s29, v9
	s_and_saveexec_b64 s[20:21], s[0:1]
	s_cbranch_execz .LBB188_638
; %bb.637:                              ;   in Loop: Header=BB188_425 Depth=1
	v_and_b32_e32 v20, 7, v15
	v_lshrrev_b32_e32 v21, 3, v9
	v_cmp_gt_u32_e64 s[0:1], 8, v9
	v_ffbh_u32_e32 v9, v20
	v_min_u32_e32 v9, 32, v9
	v_subrev_u32_e32 v16, 28, v9
	v_lshlrev_b64 v[16:17], v16, v[15:16]
	v_sub_u32_e32 v9, 29, v9
	v_and_b32_e32 v16, 7, v16
	v_cndmask_b32_e64 v9, v21, v9, s[0:1]
	v_cndmask_b32_e64 v16, v20, v16, s[0:1]
	v_lshlrev_b32_e32 v16, 20, v16
	v_and_b32_sdwa v17, sext(v15), s30 dst_sel:DWORD dst_unused:UNUSED_PAD src0_sel:BYTE_0 src1_sel:DWORD
	v_lshl_add_u32 v9, v9, 23, v49
	v_or3_b32 v16, v17, v9, v16
	v_mov_b32_e32 v17, v5
.LBB188_638:                            ;   in Loop: Header=BB188_425 Depth=1
	s_or_b64 exec, exec, s[20:21]
.LBB188_639:                            ;   in Loop: Header=BB188_425 Depth=1
	s_or_b64 exec, exec, s[18:19]
.LBB188_640:                            ;   in Loop: Header=BB188_425 Depth=1
	s_or_b64 exec, exec, s[16:17]
	v_cmp_ne_u16_sdwa s[0:1], v15, v5 src0_sel:BYTE_1 src1_sel:DWORD
	s_and_saveexec_b64 s[16:17], s[0:1]
	s_cbranch_execz .LBB188_646
; %bb.641:                              ;   in Loop: Header=BB188_425 Depth=1
	v_mov_b32_e32 v19, v6
	v_cmp_ne_u16_sdwa s[0:1], v15, s28 src0_sel:BYTE_1 src1_sel:DWORD
	v_mov_b32_e32 v18, v5
	s_and_saveexec_b64 s[18:19], s[0:1]
	s_cbranch_execz .LBB188_645
; %bb.642:                              ;   in Loop: Header=BB188_425 Depth=1
	v_and_b32_sdwa v20, v15, s29 dst_sel:DWORD dst_unused:UNUSED_PAD src0_sel:BYTE_1 src1_sel:DWORD
	v_mov_b32_e32 v9, v5
	v_mov_b32_e32 v19, v10
	v_cmp_ne_u32_e64 s[0:1], s29, v20
	v_mov_b32_e32 v18, v9
	s_and_saveexec_b64 s[20:21], s[0:1]
	s_cbranch_execz .LBB188_644
; %bb.643:                              ;   in Loop: Header=BB188_425 Depth=1
	v_and_b32_sdwa v18, v15, v34 dst_sel:DWORD dst_unused:UNUSED_PAD src0_sel:BYTE_1 src1_sel:DWORD
	v_lshrrev_b32_e32 v9, 3, v20
	v_cmp_gt_u32_e64 s[0:1], 8, v20
	v_ffbh_u32_e32 v20, v18
	v_min_u32_e32 v21, 32, v20
	v_mov_b32_e32 v19, v5
	v_subrev_u32_e32 v20, 28, v21
	v_lshlrev_b64 v[19:20], v20, v[18:19]
	v_sub_u32_e32 v20, 29, v21
	v_and_b32_e32 v19, 7, v19
	v_cndmask_b32_e64 v9, v9, v20, s[0:1]
	v_cndmask_b32_e64 v18, v18, v19, s[0:1]
	v_lshlrev_b32_e32 v19, 16, v15
	v_lshl_add_u32 v9, v9, 23, v49
	v_and_or_b32 v9, v19, s30, v9
	v_lshlrev_b32_e32 v18, 20, v18
	v_or_b32_e32 v19, v9, v18
	v_mov_b32_e32 v18, v5
.LBB188_644:                            ;   in Loop: Header=BB188_425 Depth=1
	s_or_b64 exec, exec, s[20:21]
.LBB188_645:                            ;   in Loop: Header=BB188_425 Depth=1
	s_or_b64 exec, exec, s[18:19]
.LBB188_646:                            ;   in Loop: Header=BB188_425 Depth=1
	s_or_b64 exec, exec, s[16:17]
	v_lshrrev_b32_e32 v9, 16, v15
	v_mov_b32_e32 v22, 0
	v_mov_b32_e32 v20, 0
	;; [unrolled: 1-line block ×4, first 2 shown]
	v_cmp_ne_u16_sdwa s[0:1], v9, v5 src0_sel:BYTE_0 src1_sel:DWORD
	s_and_saveexec_b64 s[16:17], s[0:1]
	s_cbranch_execz .LBB188_652
; %bb.647:                              ;   in Loop: Header=BB188_425 Depth=1
	v_bfrev_b32_e32 v20, 1
	v_mov_b32_e32 v21, 0
	v_cmp_ne_u16_sdwa s[0:1], v9, s28 src0_sel:BYTE_0 src1_sel:DWORD
	s_and_saveexec_b64 s[18:19], s[0:1]
	s_cbranch_execz .LBB188_651
; %bb.648:                              ;   in Loop: Header=BB188_425 Depth=1
	v_bfe_u32 v24, v15, 16, 7
	v_mov_b32_e32 v20, 0x7f800001
	v_mov_b32_e32 v21, 0
	v_cmp_ne_u32_e64 s[0:1], s29, v24
	s_and_saveexec_b64 s[20:21], s[0:1]
	s_cbranch_execz .LBB188_650
; %bb.649:                              ;   in Loop: Header=BB188_425 Depth=1
	v_and_b32_e32 v25, 7, v9
	v_ffbh_u32_e32 v20, v25
	v_lshrrev_b32_e32 v26, 3, v24
	v_cmp_gt_u32_e64 s[0:1], 8, v24
	v_min_u32_e32 v24, 32, v20
	v_subrev_u32_e32 v20, 28, v24
	v_lshlrev_b64 v[20:21], v20, v[9:10]
	v_sub_u32_e32 v21, 29, v24
	v_and_b32_e32 v20, 7, v20
	v_cndmask_b32_e64 v21, v26, v21, s[0:1]
	v_cndmask_b32_e64 v20, v25, v20, s[0:1]
	v_lshlrev_b32_e32 v20, 20, v20
	v_and_b32_sdwa v9, sext(v9), s30 dst_sel:DWORD dst_unused:UNUSED_PAD src0_sel:BYTE_0 src1_sel:DWORD
	v_lshl_add_u32 v21, v21, 23, v49
	v_or3_b32 v20, v9, v21, v20
	v_mov_b32_e32 v21, v5
.LBB188_650:                            ;   in Loop: Header=BB188_425 Depth=1
	s_or_b64 exec, exec, s[20:21]
.LBB188_651:                            ;   in Loop: Header=BB188_425 Depth=1
	s_or_b64 exec, exec, s[18:19]
.LBB188_652:                            ;   in Loop: Header=BB188_425 Depth=1
	s_or_b64 exec, exec, s[16:17]
	v_cmp_lt_u32_e64 s[0:1], s31, v15
	s_and_saveexec_b64 s[16:17], s[0:1]
	s_cbranch_execz .LBB188_658
; %bb.653:                              ;   in Loop: Header=BB188_425 Depth=1
	v_mov_b32_e32 v23, v6
	v_cmp_ne_u32_sdwa s[0:1], v15, s28 src0_sel:BYTE_3 src1_sel:DWORD
	v_mov_b32_e32 v22, v5
	s_and_saveexec_b64 s[18:19], s[0:1]
	s_cbranch_execz .LBB188_657
; %bb.654:                              ;   in Loop: Header=BB188_425 Depth=1
	v_bfe_u32 v24, v15, 24, 7
	v_mov_b32_e32 v9, v5
	v_mov_b32_e32 v23, v10
	v_cmp_ne_u32_e64 s[0:1], s29, v24
	v_mov_b32_e32 v22, v9
	s_and_saveexec_b64 s[20:21], s[0:1]
	s_cbranch_execz .LBB188_656
; %bb.655:                              ;   in Loop: Header=BB188_425 Depth=1
	v_and_b32_sdwa v22, v15, v34 dst_sel:DWORD dst_unused:UNUSED_PAD src0_sel:BYTE_3 src1_sel:DWORD
	v_lshrrev_b32_e32 v9, 3, v24
	v_cmp_gt_u32_e64 s[0:1], 8, v24
	v_ffbh_u32_e32 v24, v22
	v_min_u32_e32 v25, 32, v24
	v_mov_b32_e32 v23, v5
	v_subrev_u32_e32 v24, 28, v25
	v_lshlrev_b64 v[23:24], v24, v[22:23]
	v_sub_u32_e32 v24, 29, v25
	v_and_b32_e32 v23, 7, v23
	v_cndmask_b32_e64 v9, v9, v24, s[0:1]
	v_cndmask_b32_e64 v22, v22, v23, s[0:1]
	v_lshlrev_b32_sdwa v15, v58, v15 dst_sel:DWORD dst_unused:UNUSED_PAD src0_sel:DWORD src1_sel:BYTE_3
	v_lshl_add_u32 v9, v9, 23, v49
	v_and_or_b32 v9, v15, s30, v9
	v_lshlrev_b32_e32 v15, 20, v22
	v_or_b32_e32 v23, v9, v15
	v_mov_b32_e32 v22, v5
.LBB188_656:                            ;   in Loop: Header=BB188_425 Depth=1
	s_or_b64 exec, exec, s[20:21]
.LBB188_657:                            ;   in Loop: Header=BB188_425 Depth=1
	s_or_b64 exec, exec, s[18:19]
.LBB188_658:                            ;   in Loop: Header=BB188_425 Depth=1
	s_or_b64 exec, exec, s[16:17]
	v_or_b32_e32 v9, v19, v17
	v_or_b32_e32 v15, v18, v16
	v_mul_f32_e32 v0, s39, v9
	buffer_store_dword v0, off, s[56:59], 0 offset:240 ; 4-byte Folded Spill
	v_mul_f32_e32 v0, s38, v15
	v_or_b32_e32 v15, v22, v20
	buffer_store_dword v0, off, s[56:59], 0 offset:276 ; 4-byte Folded Spill
	v_or_b32_e32 v9, v23, v21
	v_mul_f32_e32 v0, s38, v15
	buffer_store_dword v0, off, s[56:59], 0 offset:272 ; 4-byte Folded Spill
	v_mul_f32_e32 v0, s39, v9
	buffer_store_dword v0, off, s[56:59], 0 offset:256 ; 4-byte Folded Spill
	s_and_saveexec_b64 s[16:17], vcc
	s_cbranch_execz .LBB188_660
; %bb.659:                              ;   in Loop: Header=BB188_425 Depth=1
	buffer_load_dword v0, off, s[56:59], 0 offset:276 ; 4-byte Folded Reload
	v_cmp_gt_i32_e64 s[0:1], s33, v57
	s_waitcnt vmcnt(0)
	v_cndmask_b32_e64 v0, 0, v0, s[0:1]
	buffer_store_dword v0, off, s[56:59], 0 offset:276 ; 4-byte Folded Spill
	buffer_load_dword v0, off, s[56:59], 0 offset:240 ; 4-byte Folded Reload
	v_cmp_gt_i32_e64 s[0:1], s33, v50
	s_waitcnt vmcnt(0)
	v_cndmask_b32_e64 v0, 0, v0, s[0:1]
	buffer_store_dword v0, off, s[56:59], 0 offset:240 ; 4-byte Folded Spill
	;; [unrolled: 5-line block ×3, first 2 shown]
	buffer_load_dword v0, off, s[56:59], 0  ; 4-byte Folded Reload
	s_waitcnt vmcnt(0)
	v_cmp_gt_i32_e64 s[0:1], s33, v0
	buffer_load_dword v0, off, s[56:59], 0 offset:256 ; 4-byte Folded Reload
	s_waitcnt vmcnt(0)
	v_cndmask_b32_e64 v0, 0, v0, s[0:1]
	buffer_store_dword v0, off, s[56:59], 0 offset:256 ; 4-byte Folded Spill
.LBB188_660:                            ;   in Loop: Header=BB188_425 Depth=1
	s_or_b64 exec, exec, s[16:17]
	global_load_dword v15, v[13:14], off offset:2304
	v_mov_b32_e32 v18, 0
	v_mov_b32_e32 v16, 0
	;; [unrolled: 1-line block ×4, first 2 shown]
	s_waitcnt vmcnt(0)
	v_cmp_ne_u16_sdwa s[0:1], v15, v5 src0_sel:BYTE_0 src1_sel:DWORD
	s_and_saveexec_b64 s[16:17], s[0:1]
	s_cbranch_execz .LBB188_666
; %bb.661:                              ;   in Loop: Header=BB188_425 Depth=1
	v_bfrev_b32_e32 v16, 1
	v_mov_b32_e32 v17, 0
	v_cmp_ne_u16_sdwa s[0:1], v15, s28 src0_sel:BYTE_0 src1_sel:DWORD
	s_and_saveexec_b64 s[18:19], s[0:1]
	s_cbranch_execz .LBB188_665
; %bb.662:                              ;   in Loop: Header=BB188_425 Depth=1
	v_and_b32_e32 v9, 0x7f, v15
	v_mov_b32_e32 v16, 0x7f800001
	v_mov_b32_e32 v17, 0
	v_cmp_ne_u32_e64 s[0:1], s29, v9
	s_and_saveexec_b64 s[20:21], s[0:1]
	s_cbranch_execz .LBB188_664
; %bb.663:                              ;   in Loop: Header=BB188_425 Depth=1
	v_and_b32_e32 v20, 7, v15
	v_lshrrev_b32_e32 v21, 3, v9
	v_cmp_gt_u32_e64 s[0:1], 8, v9
	v_ffbh_u32_e32 v9, v20
	v_min_u32_e32 v9, 32, v9
	v_subrev_u32_e32 v16, 28, v9
	v_lshlrev_b64 v[16:17], v16, v[15:16]
	v_sub_u32_e32 v9, 29, v9
	v_and_b32_e32 v16, 7, v16
	v_cndmask_b32_e64 v9, v21, v9, s[0:1]
	v_cndmask_b32_e64 v16, v20, v16, s[0:1]
	v_lshlrev_b32_e32 v16, 20, v16
	v_and_b32_sdwa v17, sext(v15), s30 dst_sel:DWORD dst_unused:UNUSED_PAD src0_sel:BYTE_0 src1_sel:DWORD
	v_lshl_add_u32 v9, v9, 23, v49
	v_or3_b32 v16, v17, v9, v16
	v_mov_b32_e32 v17, v5
.LBB188_664:                            ;   in Loop: Header=BB188_425 Depth=1
	s_or_b64 exec, exec, s[20:21]
.LBB188_665:                            ;   in Loop: Header=BB188_425 Depth=1
	s_or_b64 exec, exec, s[18:19]
.LBB188_666:                            ;   in Loop: Header=BB188_425 Depth=1
	s_or_b64 exec, exec, s[16:17]
	v_cmp_ne_u16_sdwa s[0:1], v15, v5 src0_sel:BYTE_1 src1_sel:DWORD
	s_and_saveexec_b64 s[16:17], s[0:1]
	s_cbranch_execz .LBB188_672
; %bb.667:                              ;   in Loop: Header=BB188_425 Depth=1
	v_mov_b32_e32 v19, v6
	v_cmp_ne_u16_sdwa s[0:1], v15, s28 src0_sel:BYTE_1 src1_sel:DWORD
	v_mov_b32_e32 v18, v5
	s_and_saveexec_b64 s[18:19], s[0:1]
	s_cbranch_execz .LBB188_671
; %bb.668:                              ;   in Loop: Header=BB188_425 Depth=1
	v_and_b32_sdwa v20, v15, s29 dst_sel:DWORD dst_unused:UNUSED_PAD src0_sel:BYTE_1 src1_sel:DWORD
	v_mov_b32_e32 v9, v5
	v_mov_b32_e32 v19, v10
	v_cmp_ne_u32_e64 s[0:1], s29, v20
	v_mov_b32_e32 v18, v9
	s_and_saveexec_b64 s[20:21], s[0:1]
	s_cbranch_execz .LBB188_670
; %bb.669:                              ;   in Loop: Header=BB188_425 Depth=1
	v_and_b32_sdwa v18, v15, v34 dst_sel:DWORD dst_unused:UNUSED_PAD src0_sel:BYTE_1 src1_sel:DWORD
	v_lshrrev_b32_e32 v9, 3, v20
	v_cmp_gt_u32_e64 s[0:1], 8, v20
	v_ffbh_u32_e32 v20, v18
	v_min_u32_e32 v21, 32, v20
	v_mov_b32_e32 v19, v5
	v_subrev_u32_e32 v20, 28, v21
	v_lshlrev_b64 v[19:20], v20, v[18:19]
	v_sub_u32_e32 v20, 29, v21
	v_and_b32_e32 v19, 7, v19
	v_cndmask_b32_e64 v9, v9, v20, s[0:1]
	v_cndmask_b32_e64 v18, v18, v19, s[0:1]
	v_lshlrev_b32_e32 v19, 16, v15
	v_lshl_add_u32 v9, v9, 23, v49
	v_and_or_b32 v9, v19, s30, v9
	v_lshlrev_b32_e32 v18, 20, v18
	v_or_b32_e32 v19, v9, v18
	v_mov_b32_e32 v18, v5
.LBB188_670:                            ;   in Loop: Header=BB188_425 Depth=1
	s_or_b64 exec, exec, s[20:21]
.LBB188_671:                            ;   in Loop: Header=BB188_425 Depth=1
	s_or_b64 exec, exec, s[18:19]
.LBB188_672:                            ;   in Loop: Header=BB188_425 Depth=1
	s_or_b64 exec, exec, s[16:17]
	v_lshrrev_b32_e32 v9, 16, v15
	v_mov_b32_e32 v22, 0
	v_mov_b32_e32 v20, 0
	;; [unrolled: 1-line block ×4, first 2 shown]
	v_cmp_ne_u16_sdwa s[0:1], v9, v5 src0_sel:BYTE_0 src1_sel:DWORD
	s_and_saveexec_b64 s[16:17], s[0:1]
	s_cbranch_execz .LBB188_678
; %bb.673:                              ;   in Loop: Header=BB188_425 Depth=1
	v_bfrev_b32_e32 v20, 1
	v_mov_b32_e32 v21, 0
	v_cmp_ne_u16_sdwa s[0:1], v9, s28 src0_sel:BYTE_0 src1_sel:DWORD
	s_and_saveexec_b64 s[18:19], s[0:1]
	s_cbranch_execz .LBB188_677
; %bb.674:                              ;   in Loop: Header=BB188_425 Depth=1
	v_bfe_u32 v24, v15, 16, 7
	v_mov_b32_e32 v20, 0x7f800001
	v_mov_b32_e32 v21, 0
	v_cmp_ne_u32_e64 s[0:1], s29, v24
	s_and_saveexec_b64 s[20:21], s[0:1]
	s_cbranch_execz .LBB188_676
; %bb.675:                              ;   in Loop: Header=BB188_425 Depth=1
	v_and_b32_e32 v25, 7, v9
	v_ffbh_u32_e32 v20, v25
	v_lshrrev_b32_e32 v26, 3, v24
	v_cmp_gt_u32_e64 s[0:1], 8, v24
	v_min_u32_e32 v24, 32, v20
	v_subrev_u32_e32 v20, 28, v24
	v_lshlrev_b64 v[20:21], v20, v[9:10]
	v_sub_u32_e32 v21, 29, v24
	v_and_b32_e32 v20, 7, v20
	v_cndmask_b32_e64 v21, v26, v21, s[0:1]
	v_cndmask_b32_e64 v20, v25, v20, s[0:1]
	v_lshlrev_b32_e32 v20, 20, v20
	v_and_b32_sdwa v9, sext(v9), s30 dst_sel:DWORD dst_unused:UNUSED_PAD src0_sel:BYTE_0 src1_sel:DWORD
	v_lshl_add_u32 v21, v21, 23, v49
	v_or3_b32 v20, v9, v21, v20
	v_mov_b32_e32 v21, v5
.LBB188_676:                            ;   in Loop: Header=BB188_425 Depth=1
	s_or_b64 exec, exec, s[20:21]
.LBB188_677:                            ;   in Loop: Header=BB188_425 Depth=1
	s_or_b64 exec, exec, s[18:19]
.LBB188_678:                            ;   in Loop: Header=BB188_425 Depth=1
	s_or_b64 exec, exec, s[16:17]
	v_cmp_lt_u32_e64 s[0:1], s31, v15
	s_and_saveexec_b64 s[16:17], s[0:1]
	s_cbranch_execz .LBB188_684
; %bb.679:                              ;   in Loop: Header=BB188_425 Depth=1
	v_mov_b32_e32 v23, v6
	v_cmp_ne_u32_sdwa s[0:1], v15, s28 src0_sel:BYTE_3 src1_sel:DWORD
	v_mov_b32_e32 v22, v5
	s_and_saveexec_b64 s[18:19], s[0:1]
	s_cbranch_execz .LBB188_683
; %bb.680:                              ;   in Loop: Header=BB188_425 Depth=1
	v_bfe_u32 v24, v15, 24, 7
	v_mov_b32_e32 v9, v5
	v_mov_b32_e32 v23, v10
	v_cmp_ne_u32_e64 s[0:1], s29, v24
	v_mov_b32_e32 v22, v9
	s_and_saveexec_b64 s[20:21], s[0:1]
	s_cbranch_execz .LBB188_682
; %bb.681:                              ;   in Loop: Header=BB188_425 Depth=1
	v_and_b32_sdwa v22, v15, v34 dst_sel:DWORD dst_unused:UNUSED_PAD src0_sel:BYTE_3 src1_sel:DWORD
	v_lshrrev_b32_e32 v9, 3, v24
	v_cmp_gt_u32_e64 s[0:1], 8, v24
	v_ffbh_u32_e32 v24, v22
	v_min_u32_e32 v25, 32, v24
	v_mov_b32_e32 v23, v5
	v_subrev_u32_e32 v24, 28, v25
	v_lshlrev_b64 v[23:24], v24, v[22:23]
	v_sub_u32_e32 v24, 29, v25
	v_and_b32_e32 v23, 7, v23
	v_cndmask_b32_e64 v9, v9, v24, s[0:1]
	v_cndmask_b32_e64 v22, v22, v23, s[0:1]
	v_lshlrev_b32_sdwa v15, v58, v15 dst_sel:DWORD dst_unused:UNUSED_PAD src0_sel:DWORD src1_sel:BYTE_3
	v_lshl_add_u32 v9, v9, 23, v49
	v_and_or_b32 v9, v15, s30, v9
	v_lshlrev_b32_e32 v15, 20, v22
	v_or_b32_e32 v23, v9, v15
	v_mov_b32_e32 v22, v5
.LBB188_682:                            ;   in Loop: Header=BB188_425 Depth=1
	s_or_b64 exec, exec, s[20:21]
.LBB188_683:                            ;   in Loop: Header=BB188_425 Depth=1
	s_or_b64 exec, exec, s[18:19]
.LBB188_684:                            ;   in Loop: Header=BB188_425 Depth=1
	s_or_b64 exec, exec, s[16:17]
	v_or_b32_e32 v9, v19, v17
	v_or_b32_e32 v15, v18, v16
	v_mul_f32_e32 v0, s39, v9
	buffer_store_dword v0, off, s[56:59], 0 offset:284 ; 4-byte Folded Spill
	v_mul_f32_e32 v0, s38, v15
	v_or_b32_e32 v15, v22, v20
	buffer_store_dword v0, off, s[56:59], 0 offset:296 ; 4-byte Folded Spill
	v_or_b32_e32 v9, v23, v21
	v_mul_f32_e32 v0, s38, v15
	buffer_store_dword v0, off, s[56:59], 0 offset:292 ; 4-byte Folded Spill
	v_mul_f32_e32 v0, s39, v9
	buffer_store_dword v0, off, s[56:59], 0 offset:288 ; 4-byte Folded Spill
	s_and_saveexec_b64 s[16:17], vcc
	s_cbranch_execz .LBB188_686
; %bb.685:                              ;   in Loop: Header=BB188_425 Depth=1
	buffer_load_dword v0, off, s[56:59], 0 offset:296 ; 4-byte Folded Reload
	v_cmp_gt_i32_e64 s[0:1], s33, v57
	s_waitcnt vmcnt(0)
	v_cndmask_b32_e64 v0, 0, v0, s[0:1]
	buffer_store_dword v0, off, s[56:59], 0 offset:296 ; 4-byte Folded Spill
	buffer_load_dword v0, off, s[56:59], 0 offset:284 ; 4-byte Folded Reload
	v_cmp_gt_i32_e64 s[0:1], s33, v50
	s_waitcnt vmcnt(0)
	v_cndmask_b32_e64 v0, 0, v0, s[0:1]
	buffer_store_dword v0, off, s[56:59], 0 offset:284 ; 4-byte Folded Spill
	;; [unrolled: 5-line block ×3, first 2 shown]
	buffer_load_dword v0, off, s[56:59], 0  ; 4-byte Folded Reload
	s_waitcnt vmcnt(0)
	v_cmp_gt_i32_e64 s[0:1], s33, v0
	buffer_load_dword v0, off, s[56:59], 0 offset:288 ; 4-byte Folded Reload
	s_waitcnt vmcnt(0)
	v_cndmask_b32_e64 v0, 0, v0, s[0:1]
	buffer_store_dword v0, off, s[56:59], 0 offset:288 ; 4-byte Folded Spill
.LBB188_686:                            ;   in Loop: Header=BB188_425 Depth=1
	s_or_b64 exec, exec, s[16:17]
	global_load_dword v15, v[13:14], off offset:2560
	v_mov_b32_e32 v18, 0
	v_mov_b32_e32 v16, 0
	;; [unrolled: 1-line block ×4, first 2 shown]
	s_waitcnt vmcnt(0)
	v_cmp_ne_u16_sdwa s[0:1], v15, v5 src0_sel:BYTE_0 src1_sel:DWORD
	s_and_saveexec_b64 s[16:17], s[0:1]
	s_cbranch_execz .LBB188_692
; %bb.687:                              ;   in Loop: Header=BB188_425 Depth=1
	v_bfrev_b32_e32 v16, 1
	v_mov_b32_e32 v17, 0
	v_cmp_ne_u16_sdwa s[0:1], v15, s28 src0_sel:BYTE_0 src1_sel:DWORD
	s_and_saveexec_b64 s[18:19], s[0:1]
	s_cbranch_execz .LBB188_691
; %bb.688:                              ;   in Loop: Header=BB188_425 Depth=1
	v_and_b32_e32 v9, 0x7f, v15
	v_mov_b32_e32 v16, 0x7f800001
	v_mov_b32_e32 v17, 0
	v_cmp_ne_u32_e64 s[0:1], s29, v9
	s_and_saveexec_b64 s[20:21], s[0:1]
	s_cbranch_execz .LBB188_690
; %bb.689:                              ;   in Loop: Header=BB188_425 Depth=1
	v_and_b32_e32 v20, 7, v15
	v_lshrrev_b32_e32 v21, 3, v9
	v_cmp_gt_u32_e64 s[0:1], 8, v9
	v_ffbh_u32_e32 v9, v20
	v_min_u32_e32 v9, 32, v9
	v_subrev_u32_e32 v16, 28, v9
	v_lshlrev_b64 v[16:17], v16, v[15:16]
	v_sub_u32_e32 v9, 29, v9
	v_and_b32_e32 v16, 7, v16
	v_cndmask_b32_e64 v9, v21, v9, s[0:1]
	v_cndmask_b32_e64 v16, v20, v16, s[0:1]
	v_lshlrev_b32_e32 v16, 20, v16
	v_and_b32_sdwa v17, sext(v15), s30 dst_sel:DWORD dst_unused:UNUSED_PAD src0_sel:BYTE_0 src1_sel:DWORD
	v_lshl_add_u32 v9, v9, 23, v49
	v_or3_b32 v16, v17, v9, v16
	v_mov_b32_e32 v17, v5
.LBB188_690:                            ;   in Loop: Header=BB188_425 Depth=1
	s_or_b64 exec, exec, s[20:21]
.LBB188_691:                            ;   in Loop: Header=BB188_425 Depth=1
	s_or_b64 exec, exec, s[18:19]
.LBB188_692:                            ;   in Loop: Header=BB188_425 Depth=1
	s_or_b64 exec, exec, s[16:17]
	v_cmp_ne_u16_sdwa s[0:1], v15, v5 src0_sel:BYTE_1 src1_sel:DWORD
	s_and_saveexec_b64 s[16:17], s[0:1]
	s_cbranch_execz .LBB188_698
; %bb.693:                              ;   in Loop: Header=BB188_425 Depth=1
	v_mov_b32_e32 v19, v6
	v_cmp_ne_u16_sdwa s[0:1], v15, s28 src0_sel:BYTE_1 src1_sel:DWORD
	v_mov_b32_e32 v18, v5
	s_and_saveexec_b64 s[18:19], s[0:1]
	s_cbranch_execz .LBB188_697
; %bb.694:                              ;   in Loop: Header=BB188_425 Depth=1
	v_and_b32_sdwa v20, v15, s29 dst_sel:DWORD dst_unused:UNUSED_PAD src0_sel:BYTE_1 src1_sel:DWORD
	v_mov_b32_e32 v9, v5
	v_mov_b32_e32 v19, v10
	v_cmp_ne_u32_e64 s[0:1], s29, v20
	v_mov_b32_e32 v18, v9
	s_and_saveexec_b64 s[20:21], s[0:1]
	s_cbranch_execz .LBB188_696
; %bb.695:                              ;   in Loop: Header=BB188_425 Depth=1
	v_and_b32_sdwa v18, v15, v34 dst_sel:DWORD dst_unused:UNUSED_PAD src0_sel:BYTE_1 src1_sel:DWORD
	v_lshrrev_b32_e32 v9, 3, v20
	v_cmp_gt_u32_e64 s[0:1], 8, v20
	v_ffbh_u32_e32 v20, v18
	v_min_u32_e32 v21, 32, v20
	v_mov_b32_e32 v19, v5
	v_subrev_u32_e32 v20, 28, v21
	v_lshlrev_b64 v[19:20], v20, v[18:19]
	v_sub_u32_e32 v20, 29, v21
	v_and_b32_e32 v19, 7, v19
	v_cndmask_b32_e64 v9, v9, v20, s[0:1]
	v_cndmask_b32_e64 v18, v18, v19, s[0:1]
	v_lshlrev_b32_e32 v19, 16, v15
	v_lshl_add_u32 v9, v9, 23, v49
	v_and_or_b32 v9, v19, s30, v9
	v_lshlrev_b32_e32 v18, 20, v18
	v_or_b32_e32 v19, v9, v18
	v_mov_b32_e32 v18, v5
.LBB188_696:                            ;   in Loop: Header=BB188_425 Depth=1
	s_or_b64 exec, exec, s[20:21]
.LBB188_697:                            ;   in Loop: Header=BB188_425 Depth=1
	s_or_b64 exec, exec, s[18:19]
.LBB188_698:                            ;   in Loop: Header=BB188_425 Depth=1
	s_or_b64 exec, exec, s[16:17]
	v_lshrrev_b32_e32 v9, 16, v15
	v_mov_b32_e32 v22, 0
	v_mov_b32_e32 v20, 0
	;; [unrolled: 1-line block ×4, first 2 shown]
	v_cmp_ne_u16_sdwa s[0:1], v9, v5 src0_sel:BYTE_0 src1_sel:DWORD
	s_and_saveexec_b64 s[16:17], s[0:1]
	s_cbranch_execz .LBB188_704
; %bb.699:                              ;   in Loop: Header=BB188_425 Depth=1
	v_bfrev_b32_e32 v20, 1
	v_mov_b32_e32 v21, 0
	v_cmp_ne_u16_sdwa s[0:1], v9, s28 src0_sel:BYTE_0 src1_sel:DWORD
	s_and_saveexec_b64 s[18:19], s[0:1]
	s_cbranch_execz .LBB188_703
; %bb.700:                              ;   in Loop: Header=BB188_425 Depth=1
	v_bfe_u32 v24, v15, 16, 7
	v_mov_b32_e32 v20, 0x7f800001
	v_mov_b32_e32 v21, 0
	v_cmp_ne_u32_e64 s[0:1], s29, v24
	s_and_saveexec_b64 s[20:21], s[0:1]
	s_cbranch_execz .LBB188_702
; %bb.701:                              ;   in Loop: Header=BB188_425 Depth=1
	v_and_b32_e32 v25, 7, v9
	v_ffbh_u32_e32 v20, v25
	v_lshrrev_b32_e32 v26, 3, v24
	v_cmp_gt_u32_e64 s[0:1], 8, v24
	v_min_u32_e32 v24, 32, v20
	v_subrev_u32_e32 v20, 28, v24
	v_lshlrev_b64 v[20:21], v20, v[9:10]
	v_sub_u32_e32 v21, 29, v24
	v_and_b32_e32 v20, 7, v20
	v_cndmask_b32_e64 v21, v26, v21, s[0:1]
	v_cndmask_b32_e64 v20, v25, v20, s[0:1]
	v_lshlrev_b32_e32 v20, 20, v20
	v_and_b32_sdwa v9, sext(v9), s30 dst_sel:DWORD dst_unused:UNUSED_PAD src0_sel:BYTE_0 src1_sel:DWORD
	v_lshl_add_u32 v21, v21, 23, v49
	v_or3_b32 v20, v9, v21, v20
	v_mov_b32_e32 v21, v5
.LBB188_702:                            ;   in Loop: Header=BB188_425 Depth=1
	s_or_b64 exec, exec, s[20:21]
.LBB188_703:                            ;   in Loop: Header=BB188_425 Depth=1
	s_or_b64 exec, exec, s[18:19]
.LBB188_704:                            ;   in Loop: Header=BB188_425 Depth=1
	s_or_b64 exec, exec, s[16:17]
	v_cmp_lt_u32_e64 s[0:1], s31, v15
	s_and_saveexec_b64 s[16:17], s[0:1]
	s_cbranch_execz .LBB188_710
; %bb.705:                              ;   in Loop: Header=BB188_425 Depth=1
	v_mov_b32_e32 v23, v6
	v_cmp_ne_u32_sdwa s[0:1], v15, s28 src0_sel:BYTE_3 src1_sel:DWORD
	v_mov_b32_e32 v22, v5
	s_and_saveexec_b64 s[18:19], s[0:1]
	s_cbranch_execz .LBB188_709
; %bb.706:                              ;   in Loop: Header=BB188_425 Depth=1
	v_bfe_u32 v24, v15, 24, 7
	v_mov_b32_e32 v9, v5
	v_mov_b32_e32 v23, v10
	v_cmp_ne_u32_e64 s[0:1], s29, v24
	v_mov_b32_e32 v22, v9
	s_and_saveexec_b64 s[20:21], s[0:1]
	s_cbranch_execz .LBB188_708
; %bb.707:                              ;   in Loop: Header=BB188_425 Depth=1
	v_and_b32_sdwa v22, v15, v34 dst_sel:DWORD dst_unused:UNUSED_PAD src0_sel:BYTE_3 src1_sel:DWORD
	v_lshrrev_b32_e32 v9, 3, v24
	v_cmp_gt_u32_e64 s[0:1], 8, v24
	v_ffbh_u32_e32 v24, v22
	v_min_u32_e32 v25, 32, v24
	v_mov_b32_e32 v23, v5
	v_subrev_u32_e32 v24, 28, v25
	v_lshlrev_b64 v[23:24], v24, v[22:23]
	v_sub_u32_e32 v24, 29, v25
	v_and_b32_e32 v23, 7, v23
	v_cndmask_b32_e64 v9, v9, v24, s[0:1]
	v_cndmask_b32_e64 v22, v22, v23, s[0:1]
	v_lshlrev_b32_sdwa v15, v58, v15 dst_sel:DWORD dst_unused:UNUSED_PAD src0_sel:DWORD src1_sel:BYTE_3
	v_lshl_add_u32 v9, v9, 23, v49
	v_and_or_b32 v9, v15, s30, v9
	v_lshlrev_b32_e32 v15, 20, v22
	v_or_b32_e32 v23, v9, v15
	v_mov_b32_e32 v22, v5
.LBB188_708:                            ;   in Loop: Header=BB188_425 Depth=1
	s_or_b64 exec, exec, s[20:21]
.LBB188_709:                            ;   in Loop: Header=BB188_425 Depth=1
	s_or_b64 exec, exec, s[18:19]
.LBB188_710:                            ;   in Loop: Header=BB188_425 Depth=1
	s_or_b64 exec, exec, s[16:17]
	v_or_b32_e32 v9, v19, v17
	v_or_b32_e32 v15, v18, v16
	v_mul_f32_e32 v0, s39, v9
	buffer_store_dword v0, off, s[56:59], 0 offset:300 ; 4-byte Folded Spill
	v_mul_f32_e32 v0, s38, v15
	v_or_b32_e32 v15, v22, v20
	buffer_store_dword v0, off, s[56:59], 0 offset:312 ; 4-byte Folded Spill
	v_or_b32_e32 v9, v23, v21
	v_mul_f32_e32 v0, s38, v15
	buffer_store_dword v0, off, s[56:59], 0 offset:308 ; 4-byte Folded Spill
	v_mul_f32_e32 v0, s39, v9
	buffer_store_dword v0, off, s[56:59], 0 offset:304 ; 4-byte Folded Spill
	s_and_saveexec_b64 s[16:17], vcc
	s_cbranch_execz .LBB188_712
; %bb.711:                              ;   in Loop: Header=BB188_425 Depth=1
	buffer_load_dword v0, off, s[56:59], 0 offset:312 ; 4-byte Folded Reload
	v_cmp_gt_i32_e64 s[0:1], s33, v57
	s_waitcnt vmcnt(0)
	v_cndmask_b32_e64 v0, 0, v0, s[0:1]
	buffer_store_dword v0, off, s[56:59], 0 offset:312 ; 4-byte Folded Spill
	buffer_load_dword v0, off, s[56:59], 0 offset:300 ; 4-byte Folded Reload
	v_cmp_gt_i32_e64 s[0:1], s33, v50
	s_waitcnt vmcnt(0)
	v_cndmask_b32_e64 v0, 0, v0, s[0:1]
	buffer_store_dword v0, off, s[56:59], 0 offset:300 ; 4-byte Folded Spill
	buffer_load_dword v0, off, s[56:59], 0 offset:308 ; 4-byte Folded Reload
	v_cmp_gt_i32_e64 s[0:1], s33, v63
	s_waitcnt vmcnt(0)
	v_cndmask_b32_e64 v0, 0, v0, s[0:1]
	buffer_store_dword v0, off, s[56:59], 0 offset:308 ; 4-byte Folded Spill
	buffer_load_dword v0, off, s[56:59], 0  ; 4-byte Folded Reload
	s_waitcnt vmcnt(0)
	v_cmp_gt_i32_e64 s[0:1], s33, v0
	buffer_load_dword v0, off, s[56:59], 0 offset:304 ; 4-byte Folded Reload
	s_waitcnt vmcnt(0)
	v_cndmask_b32_e64 v0, 0, v0, s[0:1]
	buffer_store_dword v0, off, s[56:59], 0 offset:304 ; 4-byte Folded Spill
.LBB188_712:                            ;   in Loop: Header=BB188_425 Depth=1
	s_or_b64 exec, exec, s[16:17]
	global_load_dword v15, v[13:14], off offset:2816
	v_mov_b32_e32 v18, 0
	v_mov_b32_e32 v16, 0
	;; [unrolled: 1-line block ×4, first 2 shown]
	s_waitcnt vmcnt(0)
	v_cmp_ne_u16_sdwa s[0:1], v15, v5 src0_sel:BYTE_0 src1_sel:DWORD
	s_and_saveexec_b64 s[16:17], s[0:1]
	s_cbranch_execz .LBB188_718
; %bb.713:                              ;   in Loop: Header=BB188_425 Depth=1
	v_bfrev_b32_e32 v16, 1
	v_mov_b32_e32 v17, 0
	v_cmp_ne_u16_sdwa s[0:1], v15, s28 src0_sel:BYTE_0 src1_sel:DWORD
	s_and_saveexec_b64 s[18:19], s[0:1]
	s_cbranch_execz .LBB188_717
; %bb.714:                              ;   in Loop: Header=BB188_425 Depth=1
	v_and_b32_e32 v9, 0x7f, v15
	v_mov_b32_e32 v16, 0x7f800001
	v_mov_b32_e32 v17, 0
	v_cmp_ne_u32_e64 s[0:1], s29, v9
	s_and_saveexec_b64 s[20:21], s[0:1]
	s_cbranch_execz .LBB188_716
; %bb.715:                              ;   in Loop: Header=BB188_425 Depth=1
	v_and_b32_e32 v20, 7, v15
	v_lshrrev_b32_e32 v21, 3, v9
	v_cmp_gt_u32_e64 s[0:1], 8, v9
	v_ffbh_u32_e32 v9, v20
	v_min_u32_e32 v9, 32, v9
	v_subrev_u32_e32 v16, 28, v9
	v_lshlrev_b64 v[16:17], v16, v[15:16]
	v_sub_u32_e32 v9, 29, v9
	v_and_b32_e32 v16, 7, v16
	v_cndmask_b32_e64 v9, v21, v9, s[0:1]
	v_cndmask_b32_e64 v16, v20, v16, s[0:1]
	v_lshlrev_b32_e32 v16, 20, v16
	v_and_b32_sdwa v17, sext(v15), s30 dst_sel:DWORD dst_unused:UNUSED_PAD src0_sel:BYTE_0 src1_sel:DWORD
	v_lshl_add_u32 v9, v9, 23, v49
	v_or3_b32 v16, v17, v9, v16
	v_mov_b32_e32 v17, v5
.LBB188_716:                            ;   in Loop: Header=BB188_425 Depth=1
	s_or_b64 exec, exec, s[20:21]
.LBB188_717:                            ;   in Loop: Header=BB188_425 Depth=1
	s_or_b64 exec, exec, s[18:19]
.LBB188_718:                            ;   in Loop: Header=BB188_425 Depth=1
	s_or_b64 exec, exec, s[16:17]
	v_cmp_ne_u16_sdwa s[0:1], v15, v5 src0_sel:BYTE_1 src1_sel:DWORD
	s_and_saveexec_b64 s[16:17], s[0:1]
	s_cbranch_execz .LBB188_724
; %bb.719:                              ;   in Loop: Header=BB188_425 Depth=1
	v_mov_b32_e32 v19, v6
	v_cmp_ne_u16_sdwa s[0:1], v15, s28 src0_sel:BYTE_1 src1_sel:DWORD
	v_mov_b32_e32 v18, v5
	s_and_saveexec_b64 s[18:19], s[0:1]
	s_cbranch_execz .LBB188_723
; %bb.720:                              ;   in Loop: Header=BB188_425 Depth=1
	v_and_b32_sdwa v20, v15, s29 dst_sel:DWORD dst_unused:UNUSED_PAD src0_sel:BYTE_1 src1_sel:DWORD
	v_mov_b32_e32 v9, v5
	v_mov_b32_e32 v19, v10
	v_cmp_ne_u32_e64 s[0:1], s29, v20
	v_mov_b32_e32 v18, v9
	s_and_saveexec_b64 s[20:21], s[0:1]
	s_cbranch_execz .LBB188_722
; %bb.721:                              ;   in Loop: Header=BB188_425 Depth=1
	v_and_b32_sdwa v18, v15, v34 dst_sel:DWORD dst_unused:UNUSED_PAD src0_sel:BYTE_1 src1_sel:DWORD
	v_lshrrev_b32_e32 v9, 3, v20
	v_cmp_gt_u32_e64 s[0:1], 8, v20
	v_ffbh_u32_e32 v20, v18
	v_min_u32_e32 v21, 32, v20
	v_mov_b32_e32 v19, v5
	v_subrev_u32_e32 v20, 28, v21
	v_lshlrev_b64 v[19:20], v20, v[18:19]
	v_sub_u32_e32 v20, 29, v21
	v_and_b32_e32 v19, 7, v19
	v_cndmask_b32_e64 v9, v9, v20, s[0:1]
	v_cndmask_b32_e64 v18, v18, v19, s[0:1]
	v_lshlrev_b32_e32 v19, 16, v15
	v_lshl_add_u32 v9, v9, 23, v49
	v_and_or_b32 v9, v19, s30, v9
	v_lshlrev_b32_e32 v18, 20, v18
	v_or_b32_e32 v19, v9, v18
	v_mov_b32_e32 v18, v5
.LBB188_722:                            ;   in Loop: Header=BB188_425 Depth=1
	s_or_b64 exec, exec, s[20:21]
.LBB188_723:                            ;   in Loop: Header=BB188_425 Depth=1
	s_or_b64 exec, exec, s[18:19]
.LBB188_724:                            ;   in Loop: Header=BB188_425 Depth=1
	s_or_b64 exec, exec, s[16:17]
	v_lshrrev_b32_e32 v9, 16, v15
	v_mov_b32_e32 v22, 0
	v_mov_b32_e32 v20, 0
	;; [unrolled: 1-line block ×4, first 2 shown]
	v_cmp_ne_u16_sdwa s[0:1], v9, v5 src0_sel:BYTE_0 src1_sel:DWORD
	s_and_saveexec_b64 s[16:17], s[0:1]
	s_cbranch_execz .LBB188_730
; %bb.725:                              ;   in Loop: Header=BB188_425 Depth=1
	v_bfrev_b32_e32 v20, 1
	v_mov_b32_e32 v21, 0
	v_cmp_ne_u16_sdwa s[0:1], v9, s28 src0_sel:BYTE_0 src1_sel:DWORD
	s_and_saveexec_b64 s[18:19], s[0:1]
	s_cbranch_execz .LBB188_729
; %bb.726:                              ;   in Loop: Header=BB188_425 Depth=1
	v_bfe_u32 v25, v15, 16, 7
	v_mov_b32_e32 v20, 0x7f800001
	v_mov_b32_e32 v21, 0
	v_cmp_ne_u32_e64 s[0:1], s29, v25
	s_and_saveexec_b64 s[20:21], s[0:1]
	s_cbranch_execz .LBB188_728
; %bb.727:                              ;   in Loop: Header=BB188_425 Depth=1
	v_and_b32_e32 v26, 7, v9
	v_ffbh_u32_e32 v20, v26
	v_lshrrev_b32_e32 v27, 3, v25
	v_cmp_gt_u32_e64 s[0:1], 8, v25
	v_min_u32_e32 v25, 32, v20
	v_subrev_u32_e32 v20, 28, v25
	v_lshlrev_b64 v[20:21], v20, v[9:10]
	v_sub_u32_e32 v21, 29, v25
	v_and_b32_e32 v20, 7, v20
	v_cndmask_b32_e64 v21, v27, v21, s[0:1]
	v_cndmask_b32_e64 v20, v26, v20, s[0:1]
	v_lshlrev_b32_e32 v20, 20, v20
	v_and_b32_sdwa v9, sext(v9), s30 dst_sel:DWORD dst_unused:UNUSED_PAD src0_sel:BYTE_0 src1_sel:DWORD
	v_lshl_add_u32 v21, v21, 23, v49
	v_or3_b32 v20, v9, v21, v20
	v_mov_b32_e32 v21, v5
.LBB188_728:                            ;   in Loop: Header=BB188_425 Depth=1
	s_or_b64 exec, exec, s[20:21]
.LBB188_729:                            ;   in Loop: Header=BB188_425 Depth=1
	s_or_b64 exec, exec, s[18:19]
.LBB188_730:                            ;   in Loop: Header=BB188_425 Depth=1
	s_or_b64 exec, exec, s[16:17]
	v_cmp_lt_u32_e64 s[0:1], s31, v15
	s_and_saveexec_b64 s[16:17], s[0:1]
	s_cbranch_execz .LBB188_736
; %bb.731:                              ;   in Loop: Header=BB188_425 Depth=1
	v_mov_b32_e32 v23, v6
	v_cmp_ne_u32_sdwa s[0:1], v15, s28 src0_sel:BYTE_3 src1_sel:DWORD
	v_mov_b32_e32 v22, v5
	s_and_saveexec_b64 s[18:19], s[0:1]
	s_cbranch_execz .LBB188_735
; %bb.732:                              ;   in Loop: Header=BB188_425 Depth=1
	v_bfe_u32 v25, v15, 24, 7
	v_mov_b32_e32 v9, v5
	v_mov_b32_e32 v23, v10
	v_cmp_ne_u32_e64 s[0:1], s29, v25
	v_mov_b32_e32 v22, v9
	s_and_saveexec_b64 s[20:21], s[0:1]
	s_cbranch_execz .LBB188_734
; %bb.733:                              ;   in Loop: Header=BB188_425 Depth=1
	v_and_b32_sdwa v22, v15, v34 dst_sel:DWORD dst_unused:UNUSED_PAD src0_sel:BYTE_3 src1_sel:DWORD
	v_lshrrev_b32_e32 v9, 3, v25
	v_cmp_gt_u32_e64 s[0:1], 8, v25
	v_ffbh_u32_e32 v25, v22
	v_min_u32_e32 v27, 32, v25
	v_mov_b32_e32 v23, v5
	v_subrev_u32_e32 v25, 28, v27
	v_lshlrev_b64 v[25:26], v25, v[22:23]
	v_sub_u32_e32 v23, 29, v27
	v_and_b32_e32 v25, 7, v25
	v_cndmask_b32_e64 v9, v9, v23, s[0:1]
	v_cndmask_b32_e64 v22, v22, v25, s[0:1]
	v_lshlrev_b32_sdwa v15, v58, v15 dst_sel:DWORD dst_unused:UNUSED_PAD src0_sel:DWORD src1_sel:BYTE_3
	v_lshl_add_u32 v9, v9, 23, v49
	v_and_or_b32 v9, v15, s30, v9
	v_lshlrev_b32_e32 v15, 20, v22
	v_or_b32_e32 v23, v9, v15
	v_mov_b32_e32 v22, v5
.LBB188_734:                            ;   in Loop: Header=BB188_425 Depth=1
	s_or_b64 exec, exec, s[20:21]
.LBB188_735:                            ;   in Loop: Header=BB188_425 Depth=1
	s_or_b64 exec, exec, s[18:19]
.LBB188_736:                            ;   in Loop: Header=BB188_425 Depth=1
	s_or_b64 exec, exec, s[16:17]
	v_or_b32_e32 v9, v19, v17
	v_or_b32_e32 v15, v18, v16
	v_mul_f32_e32 v0, s39, v9
	v_mul_f32_e32 v24, s38, v15
	v_or_b32_e32 v9, v23, v21
	v_or_b32_e32 v15, v22, v20
	v_mul_f32_e32 v45, s38, v15
	v_mul_f32_e32 v43, s39, v9
	s_and_saveexec_b64 s[16:17], vcc
	s_cbranch_execz .LBB188_738
; %bb.737:                              ;   in Loop: Header=BB188_425 Depth=1
	buffer_load_dword v9, off, s[56:59], 0  ; 4-byte Folded Reload
	v_cmp_gt_i32_e64 s[0:1], s33, v57
	v_cndmask_b32_e64 v24, 0, v24, s[0:1]
	v_cmp_gt_i32_e64 s[0:1], s33, v50
	v_cndmask_b32_e64 v0, 0, v0, s[0:1]
	;; [unrolled: 2-line block ×3, first 2 shown]
	s_waitcnt vmcnt(0)
	v_cmp_gt_i32_e64 s[0:1], s33, v9
	v_cndmask_b32_e64 v43, 0, v43, s[0:1]
.LBB188_738:                            ;   in Loop: Header=BB188_425 Depth=1
	s_or_b64 exec, exec, s[16:17]
	global_load_dword v15, v[13:14], off offset:3072
	v_mov_b32_e32 v18, 0
	v_mov_b32_e32 v16, 0
	;; [unrolled: 1-line block ×4, first 2 shown]
	s_waitcnt vmcnt(0)
	v_cmp_ne_u16_sdwa s[0:1], v15, v5 src0_sel:BYTE_0 src1_sel:DWORD
	s_and_saveexec_b64 s[16:17], s[0:1]
	s_cbranch_execz .LBB188_744
; %bb.739:                              ;   in Loop: Header=BB188_425 Depth=1
	v_bfrev_b32_e32 v16, 1
	v_mov_b32_e32 v17, 0
	v_cmp_ne_u16_sdwa s[0:1], v15, s28 src0_sel:BYTE_0 src1_sel:DWORD
	s_and_saveexec_b64 s[18:19], s[0:1]
	s_cbranch_execz .LBB188_743
; %bb.740:                              ;   in Loop: Header=BB188_425 Depth=1
	v_and_b32_e32 v9, 0x7f, v15
	v_mov_b32_e32 v16, 0x7f800001
	v_mov_b32_e32 v17, 0
	v_cmp_ne_u32_e64 s[0:1], s29, v9
	s_and_saveexec_b64 s[20:21], s[0:1]
	s_cbranch_execz .LBB188_742
; %bb.741:                              ;   in Loop: Header=BB188_425 Depth=1
	v_and_b32_e32 v20, 7, v15
	v_lshrrev_b32_e32 v21, 3, v9
	v_cmp_gt_u32_e64 s[0:1], 8, v9
	v_ffbh_u32_e32 v9, v20
	v_min_u32_e32 v9, 32, v9
	v_subrev_u32_e32 v16, 28, v9
	v_lshlrev_b64 v[16:17], v16, v[15:16]
	v_sub_u32_e32 v9, 29, v9
	v_and_b32_e32 v16, 7, v16
	v_cndmask_b32_e64 v9, v21, v9, s[0:1]
	v_cndmask_b32_e64 v16, v20, v16, s[0:1]
	v_lshlrev_b32_e32 v16, 20, v16
	v_and_b32_sdwa v17, sext(v15), s30 dst_sel:DWORD dst_unused:UNUSED_PAD src0_sel:BYTE_0 src1_sel:DWORD
	v_lshl_add_u32 v9, v9, 23, v49
	v_or3_b32 v16, v17, v9, v16
	v_mov_b32_e32 v17, v5
.LBB188_742:                            ;   in Loop: Header=BB188_425 Depth=1
	s_or_b64 exec, exec, s[20:21]
.LBB188_743:                            ;   in Loop: Header=BB188_425 Depth=1
	s_or_b64 exec, exec, s[18:19]
.LBB188_744:                            ;   in Loop: Header=BB188_425 Depth=1
	s_or_b64 exec, exec, s[16:17]
	v_cmp_ne_u16_sdwa s[0:1], v15, v5 src0_sel:BYTE_1 src1_sel:DWORD
	s_and_saveexec_b64 s[16:17], s[0:1]
	s_cbranch_execz .LBB188_750
; %bb.745:                              ;   in Loop: Header=BB188_425 Depth=1
	v_mov_b32_e32 v19, v6
	v_cmp_ne_u16_sdwa s[0:1], v15, s28 src0_sel:BYTE_1 src1_sel:DWORD
	v_mov_b32_e32 v18, v5
	s_and_saveexec_b64 s[18:19], s[0:1]
	s_cbranch_execz .LBB188_749
; %bb.746:                              ;   in Loop: Header=BB188_425 Depth=1
	v_and_b32_sdwa v20, v15, s29 dst_sel:DWORD dst_unused:UNUSED_PAD src0_sel:BYTE_1 src1_sel:DWORD
	v_mov_b32_e32 v9, v5
	v_mov_b32_e32 v19, v10
	v_cmp_ne_u32_e64 s[0:1], s29, v20
	v_mov_b32_e32 v18, v9
	s_and_saveexec_b64 s[20:21], s[0:1]
	s_cbranch_execz .LBB188_748
; %bb.747:                              ;   in Loop: Header=BB188_425 Depth=1
	v_and_b32_sdwa v18, v15, v34 dst_sel:DWORD dst_unused:UNUSED_PAD src0_sel:BYTE_1 src1_sel:DWORD
	v_lshrrev_b32_e32 v9, 3, v20
	v_cmp_gt_u32_e64 s[0:1], 8, v20
	v_ffbh_u32_e32 v20, v18
	v_min_u32_e32 v21, 32, v20
	v_mov_b32_e32 v19, v5
	v_subrev_u32_e32 v20, 28, v21
	v_lshlrev_b64 v[19:20], v20, v[18:19]
	v_sub_u32_e32 v20, 29, v21
	v_and_b32_e32 v19, 7, v19
	v_cndmask_b32_e64 v9, v9, v20, s[0:1]
	v_cndmask_b32_e64 v18, v18, v19, s[0:1]
	v_lshlrev_b32_e32 v19, 16, v15
	v_lshl_add_u32 v9, v9, 23, v49
	v_and_or_b32 v9, v19, s30, v9
	v_lshlrev_b32_e32 v18, 20, v18
	v_or_b32_e32 v19, v9, v18
	v_mov_b32_e32 v18, v5
.LBB188_748:                            ;   in Loop: Header=BB188_425 Depth=1
	s_or_b64 exec, exec, s[20:21]
.LBB188_749:                            ;   in Loop: Header=BB188_425 Depth=1
	s_or_b64 exec, exec, s[18:19]
.LBB188_750:                            ;   in Loop: Header=BB188_425 Depth=1
	s_or_b64 exec, exec, s[16:17]
	v_lshrrev_b32_e32 v9, 16, v15
	v_mov_b32_e32 v22, 0
	v_mov_b32_e32 v20, 0
	;; [unrolled: 1-line block ×4, first 2 shown]
	v_cmp_ne_u16_sdwa s[0:1], v9, v5 src0_sel:BYTE_0 src1_sel:DWORD
	s_and_saveexec_b64 s[16:17], s[0:1]
	s_cbranch_execz .LBB188_756
; %bb.751:                              ;   in Loop: Header=BB188_425 Depth=1
	v_bfrev_b32_e32 v20, 1
	v_mov_b32_e32 v21, 0
	v_cmp_ne_u16_sdwa s[0:1], v9, s28 src0_sel:BYTE_0 src1_sel:DWORD
	s_and_saveexec_b64 s[18:19], s[0:1]
	s_cbranch_execz .LBB188_755
; %bb.752:                              ;   in Loop: Header=BB188_425 Depth=1
	v_bfe_u32 v25, v15, 16, 7
	v_mov_b32_e32 v20, 0x7f800001
	v_mov_b32_e32 v21, 0
	v_cmp_ne_u32_e64 s[0:1], s29, v25
	s_and_saveexec_b64 s[20:21], s[0:1]
	s_cbranch_execz .LBB188_754
; %bb.753:                              ;   in Loop: Header=BB188_425 Depth=1
	v_and_b32_e32 v26, 7, v9
	v_ffbh_u32_e32 v20, v26
	v_lshrrev_b32_e32 v27, 3, v25
	v_cmp_gt_u32_e64 s[0:1], 8, v25
	v_min_u32_e32 v25, 32, v20
	v_subrev_u32_e32 v20, 28, v25
	v_lshlrev_b64 v[20:21], v20, v[9:10]
	v_sub_u32_e32 v21, 29, v25
	v_and_b32_e32 v20, 7, v20
	v_cndmask_b32_e64 v21, v27, v21, s[0:1]
	v_cndmask_b32_e64 v20, v26, v20, s[0:1]
	v_lshlrev_b32_e32 v20, 20, v20
	v_and_b32_sdwa v9, sext(v9), s30 dst_sel:DWORD dst_unused:UNUSED_PAD src0_sel:BYTE_0 src1_sel:DWORD
	v_lshl_add_u32 v21, v21, 23, v49
	v_or3_b32 v20, v9, v21, v20
	v_mov_b32_e32 v21, v5
.LBB188_754:                            ;   in Loop: Header=BB188_425 Depth=1
	s_or_b64 exec, exec, s[20:21]
.LBB188_755:                            ;   in Loop: Header=BB188_425 Depth=1
	s_or_b64 exec, exec, s[18:19]
.LBB188_756:                            ;   in Loop: Header=BB188_425 Depth=1
	s_or_b64 exec, exec, s[16:17]
	v_cmp_lt_u32_e64 s[0:1], s31, v15
	s_and_saveexec_b64 s[16:17], s[0:1]
	s_cbranch_execz .LBB188_762
; %bb.757:                              ;   in Loop: Header=BB188_425 Depth=1
	v_mov_b32_e32 v23, v6
	v_cmp_ne_u32_sdwa s[0:1], v15, s28 src0_sel:BYTE_3 src1_sel:DWORD
	v_mov_b32_e32 v22, v5
	s_and_saveexec_b64 s[18:19], s[0:1]
	s_cbranch_execz .LBB188_761
; %bb.758:                              ;   in Loop: Header=BB188_425 Depth=1
	v_bfe_u32 v25, v15, 24, 7
	v_mov_b32_e32 v9, v5
	v_mov_b32_e32 v23, v10
	v_cmp_ne_u32_e64 s[0:1], s29, v25
	v_mov_b32_e32 v22, v9
	s_and_saveexec_b64 s[20:21], s[0:1]
	s_cbranch_execz .LBB188_760
; %bb.759:                              ;   in Loop: Header=BB188_425 Depth=1
	v_and_b32_sdwa v22, v15, v34 dst_sel:DWORD dst_unused:UNUSED_PAD src0_sel:BYTE_3 src1_sel:DWORD
	v_lshrrev_b32_e32 v9, 3, v25
	v_cmp_gt_u32_e64 s[0:1], 8, v25
	v_ffbh_u32_e32 v25, v22
	v_min_u32_e32 v27, 32, v25
	v_mov_b32_e32 v23, v5
	v_subrev_u32_e32 v25, 28, v27
	v_lshlrev_b64 v[25:26], v25, v[22:23]
	v_sub_u32_e32 v23, 29, v27
	v_and_b32_e32 v25, 7, v25
	v_cndmask_b32_e64 v9, v9, v23, s[0:1]
	v_cndmask_b32_e64 v22, v22, v25, s[0:1]
	v_lshlrev_b32_sdwa v15, v58, v15 dst_sel:DWORD dst_unused:UNUSED_PAD src0_sel:DWORD src1_sel:BYTE_3
	v_lshl_add_u32 v9, v9, 23, v49
	v_and_or_b32 v9, v15, s30, v9
	v_lshlrev_b32_e32 v15, 20, v22
	v_or_b32_e32 v23, v9, v15
	v_mov_b32_e32 v22, v5
.LBB188_760:                            ;   in Loop: Header=BB188_425 Depth=1
	s_or_b64 exec, exec, s[20:21]
.LBB188_761:                            ;   in Loop: Header=BB188_425 Depth=1
	s_or_b64 exec, exec, s[18:19]
.LBB188_762:                            ;   in Loop: Header=BB188_425 Depth=1
	s_or_b64 exec, exec, s[16:17]
	v_or_b32_e32 v9, v19, v17
	v_or_b32_e32 v15, v18, v16
	v_mul_f32_e32 v46, s39, v9
	v_mul_f32_e32 v27, s38, v15
	v_or_b32_e32 v9, v23, v21
	v_or_b32_e32 v15, v22, v20
	v_mul_f32_e32 v25, s38, v15
	v_mul_f32_e32 v26, s39, v9
	s_and_saveexec_b64 s[16:17], vcc
	s_cbranch_execz .LBB188_764
; %bb.763:                              ;   in Loop: Header=BB188_425 Depth=1
	buffer_load_dword v9, off, s[56:59], 0  ; 4-byte Folded Reload
	v_cmp_gt_i32_e64 s[0:1], s33, v57
	v_cndmask_b32_e64 v27, 0, v27, s[0:1]
	v_cmp_gt_i32_e64 s[0:1], s33, v50
	v_cndmask_b32_e64 v46, 0, v46, s[0:1]
	;; [unrolled: 2-line block ×3, first 2 shown]
	s_waitcnt vmcnt(0)
	v_cmp_gt_i32_e64 s[0:1], s33, v9
	v_cndmask_b32_e64 v26, 0, v26, s[0:1]
.LBB188_764:                            ;   in Loop: Header=BB188_425 Depth=1
	s_or_b64 exec, exec, s[16:17]
	global_load_dword v15, v[13:14], off offset:3328
	v_mov_b32_e32 v18, 0
	v_mov_b32_e32 v16, 0
	;; [unrolled: 1-line block ×4, first 2 shown]
	s_waitcnt vmcnt(0)
	v_cmp_ne_u16_sdwa s[0:1], v15, v5 src0_sel:BYTE_0 src1_sel:DWORD
	s_and_saveexec_b64 s[16:17], s[0:1]
	s_cbranch_execz .LBB188_770
; %bb.765:                              ;   in Loop: Header=BB188_425 Depth=1
	v_bfrev_b32_e32 v16, 1
	v_mov_b32_e32 v17, 0
	v_cmp_ne_u16_sdwa s[0:1], v15, s28 src0_sel:BYTE_0 src1_sel:DWORD
	s_and_saveexec_b64 s[18:19], s[0:1]
	s_cbranch_execz .LBB188_769
; %bb.766:                              ;   in Loop: Header=BB188_425 Depth=1
	v_and_b32_e32 v9, 0x7f, v15
	v_mov_b32_e32 v16, 0x7f800001
	v_mov_b32_e32 v17, 0
	v_cmp_ne_u32_e64 s[0:1], s29, v9
	s_and_saveexec_b64 s[20:21], s[0:1]
	s_cbranch_execz .LBB188_768
; %bb.767:                              ;   in Loop: Header=BB188_425 Depth=1
	v_and_b32_e32 v20, 7, v15
	v_lshrrev_b32_e32 v21, 3, v9
	v_cmp_gt_u32_e64 s[0:1], 8, v9
	v_ffbh_u32_e32 v9, v20
	v_min_u32_e32 v9, 32, v9
	v_subrev_u32_e32 v16, 28, v9
	v_lshlrev_b64 v[16:17], v16, v[15:16]
	v_sub_u32_e32 v9, 29, v9
	v_and_b32_e32 v16, 7, v16
	v_cndmask_b32_e64 v9, v21, v9, s[0:1]
	v_cndmask_b32_e64 v16, v20, v16, s[0:1]
	v_lshlrev_b32_e32 v16, 20, v16
	v_and_b32_sdwa v17, sext(v15), s30 dst_sel:DWORD dst_unused:UNUSED_PAD src0_sel:BYTE_0 src1_sel:DWORD
	v_lshl_add_u32 v9, v9, 23, v49
	v_or3_b32 v16, v17, v9, v16
	v_mov_b32_e32 v17, v5
.LBB188_768:                            ;   in Loop: Header=BB188_425 Depth=1
	s_or_b64 exec, exec, s[20:21]
.LBB188_769:                            ;   in Loop: Header=BB188_425 Depth=1
	s_or_b64 exec, exec, s[18:19]
.LBB188_770:                            ;   in Loop: Header=BB188_425 Depth=1
	s_or_b64 exec, exec, s[16:17]
	v_cmp_ne_u16_sdwa s[0:1], v15, v5 src0_sel:BYTE_1 src1_sel:DWORD
	s_and_saveexec_b64 s[16:17], s[0:1]
	s_cbranch_execz .LBB188_776
; %bb.771:                              ;   in Loop: Header=BB188_425 Depth=1
	v_mov_b32_e32 v19, v6
	v_cmp_ne_u16_sdwa s[0:1], v15, s28 src0_sel:BYTE_1 src1_sel:DWORD
	v_mov_b32_e32 v18, v5
	s_and_saveexec_b64 s[18:19], s[0:1]
	s_cbranch_execz .LBB188_775
; %bb.772:                              ;   in Loop: Header=BB188_425 Depth=1
	v_and_b32_sdwa v20, v15, s29 dst_sel:DWORD dst_unused:UNUSED_PAD src0_sel:BYTE_1 src1_sel:DWORD
	v_mov_b32_e32 v9, v5
	v_mov_b32_e32 v19, v10
	v_cmp_ne_u32_e64 s[0:1], s29, v20
	v_mov_b32_e32 v18, v9
	s_and_saveexec_b64 s[20:21], s[0:1]
	s_cbranch_execz .LBB188_774
; %bb.773:                              ;   in Loop: Header=BB188_425 Depth=1
	v_and_b32_sdwa v18, v15, v34 dst_sel:DWORD dst_unused:UNUSED_PAD src0_sel:BYTE_1 src1_sel:DWORD
	v_lshrrev_b32_e32 v9, 3, v20
	v_cmp_gt_u32_e64 s[0:1], 8, v20
	v_ffbh_u32_e32 v20, v18
	v_min_u32_e32 v21, 32, v20
	v_mov_b32_e32 v19, v5
	v_subrev_u32_e32 v20, 28, v21
	v_lshlrev_b64 v[19:20], v20, v[18:19]
	v_sub_u32_e32 v20, 29, v21
	v_and_b32_e32 v19, 7, v19
	v_cndmask_b32_e64 v9, v9, v20, s[0:1]
	v_cndmask_b32_e64 v18, v18, v19, s[0:1]
	v_lshlrev_b32_e32 v19, 16, v15
	v_lshl_add_u32 v9, v9, 23, v49
	v_and_or_b32 v9, v19, s30, v9
	v_lshlrev_b32_e32 v18, 20, v18
	v_or_b32_e32 v19, v9, v18
	v_mov_b32_e32 v18, v5
.LBB188_774:                            ;   in Loop: Header=BB188_425 Depth=1
	s_or_b64 exec, exec, s[20:21]
.LBB188_775:                            ;   in Loop: Header=BB188_425 Depth=1
	s_or_b64 exec, exec, s[18:19]
.LBB188_776:                            ;   in Loop: Header=BB188_425 Depth=1
	s_or_b64 exec, exec, s[16:17]
	v_lshrrev_b32_e32 v9, 16, v15
	v_mov_b32_e32 v22, 0
	v_mov_b32_e32 v20, 0
	v_mov_b32_e32 v23, 0
	v_mov_b32_e32 v21, 0
	v_cmp_ne_u16_sdwa s[0:1], v9, v5 src0_sel:BYTE_0 src1_sel:DWORD
	s_and_saveexec_b64 s[16:17], s[0:1]
	s_cbranch_execz .LBB188_782
; %bb.777:                              ;   in Loop: Header=BB188_425 Depth=1
	v_bfrev_b32_e32 v20, 1
	v_mov_b32_e32 v21, 0
	v_cmp_ne_u16_sdwa s[0:1], v9, s28 src0_sel:BYTE_0 src1_sel:DWORD
	s_and_saveexec_b64 s[18:19], s[0:1]
	s_cbranch_execz .LBB188_781
; %bb.778:                              ;   in Loop: Header=BB188_425 Depth=1
	v_bfe_u32 v28, v15, 16, 7
	v_mov_b32_e32 v20, 0x7f800001
	v_mov_b32_e32 v21, 0
	v_cmp_ne_u32_e64 s[0:1], s29, v28
	s_and_saveexec_b64 s[20:21], s[0:1]
	s_cbranch_execz .LBB188_780
; %bb.779:                              ;   in Loop: Header=BB188_425 Depth=1
	v_and_b32_e32 v29, 7, v9
	v_ffbh_u32_e32 v20, v29
	v_lshrrev_b32_e32 v30, 3, v28
	v_cmp_gt_u32_e64 s[0:1], 8, v28
	v_min_u32_e32 v28, 32, v20
	v_subrev_u32_e32 v20, 28, v28
	v_lshlrev_b64 v[20:21], v20, v[9:10]
	v_sub_u32_e32 v21, 29, v28
	v_and_b32_e32 v20, 7, v20
	v_cndmask_b32_e64 v21, v30, v21, s[0:1]
	v_cndmask_b32_e64 v20, v29, v20, s[0:1]
	v_lshlrev_b32_e32 v20, 20, v20
	v_and_b32_sdwa v9, sext(v9), s30 dst_sel:DWORD dst_unused:UNUSED_PAD src0_sel:BYTE_0 src1_sel:DWORD
	v_lshl_add_u32 v21, v21, 23, v49
	v_or3_b32 v20, v9, v21, v20
	v_mov_b32_e32 v21, v5
.LBB188_780:                            ;   in Loop: Header=BB188_425 Depth=1
	s_or_b64 exec, exec, s[20:21]
.LBB188_781:                            ;   in Loop: Header=BB188_425 Depth=1
	s_or_b64 exec, exec, s[18:19]
.LBB188_782:                            ;   in Loop: Header=BB188_425 Depth=1
	s_or_b64 exec, exec, s[16:17]
	v_cmp_lt_u32_e64 s[0:1], s31, v15
	s_and_saveexec_b64 s[16:17], s[0:1]
	s_cbranch_execz .LBB188_788
; %bb.783:                              ;   in Loop: Header=BB188_425 Depth=1
	v_mov_b32_e32 v23, v6
	v_cmp_ne_u32_sdwa s[0:1], v15, s28 src0_sel:BYTE_3 src1_sel:DWORD
	v_mov_b32_e32 v22, v5
	s_and_saveexec_b64 s[18:19], s[0:1]
	s_cbranch_execz .LBB188_787
; %bb.784:                              ;   in Loop: Header=BB188_425 Depth=1
	v_bfe_u32 v28, v15, 24, 7
	v_mov_b32_e32 v9, v5
	v_mov_b32_e32 v23, v10
	v_cmp_ne_u32_e64 s[0:1], s29, v28
	v_mov_b32_e32 v22, v9
	s_and_saveexec_b64 s[20:21], s[0:1]
	s_cbranch_execz .LBB188_786
; %bb.785:                              ;   in Loop: Header=BB188_425 Depth=1
	v_and_b32_sdwa v22, v15, v34 dst_sel:DWORD dst_unused:UNUSED_PAD src0_sel:BYTE_3 src1_sel:DWORD
	v_lshrrev_b32_e32 v9, 3, v28
	v_cmp_gt_u32_e64 s[0:1], 8, v28
	v_ffbh_u32_e32 v28, v22
	v_min_u32_e32 v30, 32, v28
	v_mov_b32_e32 v23, v5
	v_subrev_u32_e32 v28, 28, v30
	v_lshlrev_b64 v[28:29], v28, v[22:23]
	v_sub_u32_e32 v23, 29, v30
	v_and_b32_e32 v28, 7, v28
	v_cndmask_b32_e64 v9, v9, v23, s[0:1]
	v_cndmask_b32_e64 v22, v22, v28, s[0:1]
	v_lshlrev_b32_sdwa v15, v58, v15 dst_sel:DWORD dst_unused:UNUSED_PAD src0_sel:DWORD src1_sel:BYTE_3
	v_lshl_add_u32 v9, v9, 23, v49
	v_and_or_b32 v9, v15, s30, v9
	v_lshlrev_b32_e32 v15, 20, v22
	v_or_b32_e32 v23, v9, v15
	v_mov_b32_e32 v22, v5
.LBB188_786:                            ;   in Loop: Header=BB188_425 Depth=1
	s_or_b64 exec, exec, s[20:21]
.LBB188_787:                            ;   in Loop: Header=BB188_425 Depth=1
	s_or_b64 exec, exec, s[18:19]
.LBB188_788:                            ;   in Loop: Header=BB188_425 Depth=1
	s_or_b64 exec, exec, s[16:17]
	v_or_b32_e32 v9, v19, v17
	v_or_b32_e32 v15, v18, v16
	v_mul_f32_e32 v28, s39, v9
	v_mul_f32_e32 v29, s38, v15
	v_or_b32_e32 v9, v23, v21
	v_or_b32_e32 v15, v22, v20
	v_mul_f32_e32 v23, s38, v15
	v_mul_f32_e32 v22, s39, v9
	s_and_saveexec_b64 s[16:17], vcc
	s_cbranch_execz .LBB188_790
; %bb.789:                              ;   in Loop: Header=BB188_425 Depth=1
	buffer_load_dword v9, off, s[56:59], 0  ; 4-byte Folded Reload
	v_cmp_gt_i32_e64 s[0:1], s33, v57
	v_cndmask_b32_e64 v29, 0, v29, s[0:1]
	v_cmp_gt_i32_e64 s[0:1], s33, v50
	v_cndmask_b32_e64 v28, 0, v28, s[0:1]
	v_cmp_gt_i32_e64 s[0:1], s33, v63
	v_cndmask_b32_e64 v23, 0, v23, s[0:1]
	s_waitcnt vmcnt(0)
	v_cmp_gt_i32_e64 s[0:1], s33, v9
	v_cndmask_b32_e64 v22, 0, v22, s[0:1]
.LBB188_790:                            ;   in Loop: Header=BB188_425 Depth=1
	s_or_b64 exec, exec, s[16:17]
	global_load_dword v13, v[13:14], off offset:3584
	v_mov_b32_e32 v16, 0
	v_mov_b32_e32 v14, 0
	;; [unrolled: 1-line block ×4, first 2 shown]
	s_waitcnt vmcnt(0)
	v_cmp_ne_u16_sdwa s[0:1], v13, v5 src0_sel:BYTE_0 src1_sel:DWORD
	s_and_saveexec_b64 s[16:17], s[0:1]
	s_cbranch_execz .LBB188_796
; %bb.791:                              ;   in Loop: Header=BB188_425 Depth=1
	v_bfrev_b32_e32 v14, 1
	v_mov_b32_e32 v15, 0
	v_cmp_ne_u16_sdwa s[0:1], v13, s28 src0_sel:BYTE_0 src1_sel:DWORD
	s_and_saveexec_b64 s[18:19], s[0:1]
	s_cbranch_execz .LBB188_795
; %bb.792:                              ;   in Loop: Header=BB188_425 Depth=1
	v_and_b32_e32 v9, 0x7f, v13
	v_mov_b32_e32 v14, 0x7f800001
	v_mov_b32_e32 v15, 0
	v_cmp_ne_u32_e64 s[0:1], s29, v9
	s_and_saveexec_b64 s[20:21], s[0:1]
	s_cbranch_execz .LBB188_794
; %bb.793:                              ;   in Loop: Header=BB188_425 Depth=1
	v_and_b32_e32 v18, 7, v13
	v_lshrrev_b32_e32 v19, 3, v9
	v_cmp_gt_u32_e64 s[0:1], 8, v9
	v_ffbh_u32_e32 v9, v18
	v_min_u32_e32 v9, 32, v9
	v_subrev_u32_e32 v14, 28, v9
	v_lshlrev_b64 v[14:15], v14, v[13:14]
	v_sub_u32_e32 v9, 29, v9
	v_and_b32_e32 v14, 7, v14
	v_cndmask_b32_e64 v9, v19, v9, s[0:1]
	v_cndmask_b32_e64 v14, v18, v14, s[0:1]
	v_lshlrev_b32_e32 v14, 20, v14
	v_and_b32_sdwa v15, sext(v13), s30 dst_sel:DWORD dst_unused:UNUSED_PAD src0_sel:BYTE_0 src1_sel:DWORD
	v_lshl_add_u32 v9, v9, 23, v49
	v_or3_b32 v14, v15, v9, v14
	v_mov_b32_e32 v15, v5
.LBB188_794:                            ;   in Loop: Header=BB188_425 Depth=1
	s_or_b64 exec, exec, s[20:21]
.LBB188_795:                            ;   in Loop: Header=BB188_425 Depth=1
	s_or_b64 exec, exec, s[18:19]
.LBB188_796:                            ;   in Loop: Header=BB188_425 Depth=1
	s_or_b64 exec, exec, s[16:17]
	v_cmp_ne_u16_sdwa s[0:1], v13, v5 src0_sel:BYTE_1 src1_sel:DWORD
	s_and_saveexec_b64 s[16:17], s[0:1]
	s_cbranch_execz .LBB188_802
; %bb.797:                              ;   in Loop: Header=BB188_425 Depth=1
	v_mov_b32_e32 v17, v6
	v_cmp_ne_u16_sdwa s[0:1], v13, s28 src0_sel:BYTE_1 src1_sel:DWORD
	v_mov_b32_e32 v16, v5
	s_and_saveexec_b64 s[18:19], s[0:1]
	s_cbranch_execz .LBB188_801
; %bb.798:                              ;   in Loop: Header=BB188_425 Depth=1
	v_and_b32_sdwa v18, v13, s29 dst_sel:DWORD dst_unused:UNUSED_PAD src0_sel:BYTE_1 src1_sel:DWORD
	v_mov_b32_e32 v9, v5
	v_mov_b32_e32 v17, v10
	v_cmp_ne_u32_e64 s[0:1], s29, v18
	v_mov_b32_e32 v16, v9
	s_and_saveexec_b64 s[20:21], s[0:1]
	s_cbranch_execz .LBB188_800
; %bb.799:                              ;   in Loop: Header=BB188_425 Depth=1
	v_and_b32_sdwa v16, v13, v34 dst_sel:DWORD dst_unused:UNUSED_PAD src0_sel:BYTE_1 src1_sel:DWORD
	v_lshrrev_b32_e32 v9, 3, v18
	v_cmp_gt_u32_e64 s[0:1], 8, v18
	v_ffbh_u32_e32 v18, v16
	v_min_u32_e32 v19, 32, v18
	v_mov_b32_e32 v17, v5
	v_subrev_u32_e32 v18, 28, v19
	v_lshlrev_b64 v[17:18], v18, v[16:17]
	v_sub_u32_e32 v18, 29, v19
	v_and_b32_e32 v17, 7, v17
	v_cndmask_b32_e64 v9, v9, v18, s[0:1]
	v_cndmask_b32_e64 v16, v16, v17, s[0:1]
	v_lshlrev_b32_e32 v17, 16, v13
	v_lshl_add_u32 v9, v9, 23, v49
	v_and_or_b32 v9, v17, s30, v9
	v_lshlrev_b32_e32 v16, 20, v16
	v_or_b32_e32 v17, v9, v16
	v_mov_b32_e32 v16, v5
.LBB188_800:                            ;   in Loop: Header=BB188_425 Depth=1
	s_or_b64 exec, exec, s[20:21]
.LBB188_801:                            ;   in Loop: Header=BB188_425 Depth=1
	s_or_b64 exec, exec, s[18:19]
.LBB188_802:                            ;   in Loop: Header=BB188_425 Depth=1
	s_or_b64 exec, exec, s[16:17]
	v_lshrrev_b32_e32 v9, 16, v13
	v_mov_b32_e32 v20, 0
	v_mov_b32_e32 v18, 0
	;; [unrolled: 1-line block ×4, first 2 shown]
	v_cmp_ne_u16_sdwa s[0:1], v9, v5 src0_sel:BYTE_0 src1_sel:DWORD
	s_and_saveexec_b64 s[16:17], s[0:1]
	s_cbranch_execz .LBB188_808
; %bb.803:                              ;   in Loop: Header=BB188_425 Depth=1
	v_bfrev_b32_e32 v18, 1
	v_mov_b32_e32 v19, 0
	v_cmp_ne_u16_sdwa s[0:1], v9, s28 src0_sel:BYTE_0 src1_sel:DWORD
	s_and_saveexec_b64 s[18:19], s[0:1]
	s_cbranch_execz .LBB188_807
; %bb.804:                              ;   in Loop: Header=BB188_425 Depth=1
	v_bfe_u32 v30, v13, 16, 7
	v_mov_b32_e32 v18, 0x7f800001
	v_mov_b32_e32 v19, 0
	v_cmp_ne_u32_e64 s[0:1], s29, v30
	s_and_saveexec_b64 s[20:21], s[0:1]
	s_cbranch_execz .LBB188_806
; %bb.805:                              ;   in Loop: Header=BB188_425 Depth=1
	v_and_b32_e32 v31, 7, v9
	v_ffbh_u32_e32 v18, v31
	v_lshrrev_b32_e32 v32, 3, v30
	v_cmp_gt_u32_e64 s[0:1], 8, v30
	v_min_u32_e32 v30, 32, v18
	v_subrev_u32_e32 v18, 28, v30
	v_lshlrev_b64 v[18:19], v18, v[9:10]
	v_sub_u32_e32 v19, 29, v30
	v_and_b32_e32 v18, 7, v18
	v_cndmask_b32_e64 v19, v32, v19, s[0:1]
	v_cndmask_b32_e64 v18, v31, v18, s[0:1]
	v_lshlrev_b32_e32 v18, 20, v18
	v_and_b32_sdwa v9, sext(v9), s30 dst_sel:DWORD dst_unused:UNUSED_PAD src0_sel:BYTE_0 src1_sel:DWORD
	v_lshl_add_u32 v19, v19, 23, v49
	v_or3_b32 v18, v9, v19, v18
	v_mov_b32_e32 v19, v5
.LBB188_806:                            ;   in Loop: Header=BB188_425 Depth=1
	s_or_b64 exec, exec, s[20:21]
.LBB188_807:                            ;   in Loop: Header=BB188_425 Depth=1
	s_or_b64 exec, exec, s[18:19]
.LBB188_808:                            ;   in Loop: Header=BB188_425 Depth=1
	s_or_b64 exec, exec, s[16:17]
	v_cmp_lt_u32_e64 s[0:1], s31, v13
	s_and_saveexec_b64 s[16:17], s[0:1]
	s_cbranch_execz .LBB188_814
; %bb.809:                              ;   in Loop: Header=BB188_425 Depth=1
	v_mov_b32_e32 v21, v6
	v_cmp_ne_u32_sdwa s[0:1], v13, s28 src0_sel:BYTE_3 src1_sel:DWORD
	v_mov_b32_e32 v20, v5
	s_and_saveexec_b64 s[18:19], s[0:1]
	s_cbranch_execz .LBB188_813
; %bb.810:                              ;   in Loop: Header=BB188_425 Depth=1
	v_bfe_u32 v30, v13, 24, 7
	v_mov_b32_e32 v9, v5
	v_mov_b32_e32 v21, v10
	v_cmp_ne_u32_e64 s[0:1], s29, v30
	v_mov_b32_e32 v20, v9
	s_and_saveexec_b64 s[20:21], s[0:1]
	s_cbranch_execz .LBB188_812
; %bb.811:                              ;   in Loop: Header=BB188_425 Depth=1
	v_and_b32_sdwa v20, v13, v34 dst_sel:DWORD dst_unused:UNUSED_PAD src0_sel:BYTE_3 src1_sel:DWORD
	v_lshrrev_b32_e32 v9, 3, v30
	v_cmp_gt_u32_e64 s[0:1], 8, v30
	v_ffbh_u32_e32 v30, v20
	v_min_u32_e32 v32, 32, v30
	v_mov_b32_e32 v21, v5
	v_subrev_u32_e32 v30, 28, v32
	v_lshlrev_b64 v[30:31], v30, v[20:21]
	v_sub_u32_e32 v21, 29, v32
	v_and_b32_e32 v30, 7, v30
	v_cndmask_b32_e64 v9, v9, v21, s[0:1]
	v_cndmask_b32_e64 v20, v20, v30, s[0:1]
	v_lshlrev_b32_sdwa v13, v58, v13 dst_sel:DWORD dst_unused:UNUSED_PAD src0_sel:DWORD src1_sel:BYTE_3
	v_lshl_add_u32 v9, v9, 23, v49
	v_and_or_b32 v9, v13, s30, v9
	v_lshlrev_b32_e32 v13, 20, v20
	v_or_b32_e32 v21, v9, v13
	v_mov_b32_e32 v20, v5
.LBB188_812:                            ;   in Loop: Header=BB188_425 Depth=1
	s_or_b64 exec, exec, s[20:21]
.LBB188_813:                            ;   in Loop: Header=BB188_425 Depth=1
	s_or_b64 exec, exec, s[18:19]
.LBB188_814:                            ;   in Loop: Header=BB188_425 Depth=1
	s_or_b64 exec, exec, s[16:17]
	v_or_b32_e32 v9, v17, v15
	v_or_b32_e32 v13, v16, v14
	v_mul_f32_e32 v30, s39, v9
	v_mul_f32_e32 v31, s38, v13
	v_or_b32_e32 v9, v21, v19
	v_or_b32_e32 v13, v20, v18
	v_mul_f32_e32 v21, s38, v13
	v_mul_f32_e32 v20, s39, v9
	s_and_saveexec_b64 s[16:17], vcc
	s_cbranch_execz .LBB188_816
; %bb.815:                              ;   in Loop: Header=BB188_425 Depth=1
	buffer_load_dword v9, off, s[56:59], 0  ; 4-byte Folded Reload
	v_cmp_gt_i32_e64 s[0:1], s33, v57
	v_cndmask_b32_e64 v31, 0, v31, s[0:1]
	v_cmp_gt_i32_e64 s[0:1], s33, v50
	v_cndmask_b32_e64 v30, 0, v30, s[0:1]
	v_cmp_gt_i32_e64 s[0:1], s33, v63
	v_cndmask_b32_e64 v21, 0, v21, s[0:1]
	s_waitcnt vmcnt(0)
	v_cmp_gt_i32_e64 s[0:1], s33, v9
	v_cndmask_b32_e64 v20, 0, v20, s[0:1]
.LBB188_816:                            ;   in Loop: Header=BB188_425 Depth=1
	s_or_b64 exec, exec, s[16:17]
	buffer_load_dword v9, off, s[56:59], 0 offset:324 ; 4-byte Folded Reload
	v_mov_b32_e32 v14, 0
	v_mov_b32_e32 v15, 0
	s_waitcnt vmcnt(0)
	v_add_co_u32_e64 v11, s[0:1], v11, v9
	v_addc_co_u32_e64 v12, s[0:1], 0, v12, s[0:1]
	global_load_dword v11, v[11:12], off
	v_mov_b32_e32 v12, 0
	v_mov_b32_e32 v13, 0
	s_waitcnt vmcnt(0)
	v_cmp_ne_u16_sdwa s[0:1], v11, v5 src0_sel:BYTE_0 src1_sel:DWORD
	s_and_saveexec_b64 s[16:17], s[0:1]
	s_cbranch_execz .LBB188_822
; %bb.817:                              ;   in Loop: Header=BB188_425 Depth=1
	v_bfrev_b32_e32 v12, 1
	v_mov_b32_e32 v13, 0
	v_cmp_ne_u16_sdwa s[0:1], v11, s28 src0_sel:BYTE_0 src1_sel:DWORD
	s_and_saveexec_b64 s[18:19], s[0:1]
	s_cbranch_execz .LBB188_821
; %bb.818:                              ;   in Loop: Header=BB188_425 Depth=1
	v_and_b32_e32 v9, 0x7f, v11
	v_mov_b32_e32 v12, 0x7f800001
	v_mov_b32_e32 v13, 0
	v_cmp_ne_u32_e64 s[0:1], s29, v9
	s_and_saveexec_b64 s[20:21], s[0:1]
	s_cbranch_execz .LBB188_820
; %bb.819:                              ;   in Loop: Header=BB188_425 Depth=1
	v_and_b32_e32 v16, 7, v11
	v_lshrrev_b32_e32 v17, 3, v9
	v_cmp_gt_u32_e64 s[0:1], 8, v9
	v_ffbh_u32_e32 v9, v16
	v_min_u32_e32 v9, 32, v9
	v_subrev_u32_e32 v12, 28, v9
	v_lshlrev_b64 v[12:13], v12, v[11:12]
	v_sub_u32_e32 v9, 29, v9
	v_and_b32_e32 v12, 7, v12
	v_cndmask_b32_e64 v9, v17, v9, s[0:1]
	v_cndmask_b32_e64 v12, v16, v12, s[0:1]
	v_lshlrev_b32_e32 v12, 20, v12
	v_and_b32_sdwa v13, sext(v11), s30 dst_sel:DWORD dst_unused:UNUSED_PAD src0_sel:BYTE_0 src1_sel:DWORD
	v_lshl_add_u32 v9, v9, 23, v49
	v_or3_b32 v12, v13, v9, v12
	v_mov_b32_e32 v13, v5
.LBB188_820:                            ;   in Loop: Header=BB188_425 Depth=1
	s_or_b64 exec, exec, s[20:21]
.LBB188_821:                            ;   in Loop: Header=BB188_425 Depth=1
	s_or_b64 exec, exec, s[18:19]
.LBB188_822:                            ;   in Loop: Header=BB188_425 Depth=1
	s_or_b64 exec, exec, s[16:17]
	v_cmp_ne_u16_sdwa s[0:1], v11, v5 src0_sel:BYTE_1 src1_sel:DWORD
	s_and_saveexec_b64 s[16:17], s[0:1]
	s_cbranch_execz .LBB188_828
; %bb.823:                              ;   in Loop: Header=BB188_425 Depth=1
	v_mov_b32_e32 v15, v6
	v_cmp_ne_u16_sdwa s[0:1], v11, s28 src0_sel:BYTE_1 src1_sel:DWORD
	v_mov_b32_e32 v14, v5
	s_and_saveexec_b64 s[18:19], s[0:1]
	s_cbranch_execz .LBB188_827
; %bb.824:                              ;   in Loop: Header=BB188_425 Depth=1
	v_and_b32_sdwa v16, v11, s29 dst_sel:DWORD dst_unused:UNUSED_PAD src0_sel:BYTE_1 src1_sel:DWORD
	v_mov_b32_e32 v9, v5
	v_mov_b32_e32 v15, v10
	v_cmp_ne_u32_e64 s[0:1], s29, v16
	v_mov_b32_e32 v14, v9
	s_and_saveexec_b64 s[20:21], s[0:1]
	s_cbranch_execz .LBB188_826
; %bb.825:                              ;   in Loop: Header=BB188_425 Depth=1
	v_and_b32_sdwa v14, v11, v34 dst_sel:DWORD dst_unused:UNUSED_PAD src0_sel:BYTE_1 src1_sel:DWORD
	v_lshrrev_b32_e32 v9, 3, v16
	v_cmp_gt_u32_e64 s[0:1], 8, v16
	v_ffbh_u32_e32 v16, v14
	v_min_u32_e32 v17, 32, v16
	v_mov_b32_e32 v15, v5
	v_subrev_u32_e32 v16, 28, v17
	v_lshlrev_b64 v[15:16], v16, v[14:15]
	v_sub_u32_e32 v16, 29, v17
	v_and_b32_e32 v15, 7, v15
	v_cndmask_b32_e64 v9, v9, v16, s[0:1]
	v_cndmask_b32_e64 v14, v14, v15, s[0:1]
	v_lshlrev_b32_e32 v15, 16, v11
	v_lshl_add_u32 v9, v9, 23, v49
	v_and_or_b32 v9, v15, s30, v9
	v_lshlrev_b32_e32 v14, 20, v14
	v_or_b32_e32 v15, v9, v14
	v_mov_b32_e32 v14, v5
.LBB188_826:                            ;   in Loop: Header=BB188_425 Depth=1
	s_or_b64 exec, exec, s[20:21]
.LBB188_827:                            ;   in Loop: Header=BB188_425 Depth=1
	s_or_b64 exec, exec, s[18:19]
.LBB188_828:                            ;   in Loop: Header=BB188_425 Depth=1
	s_or_b64 exec, exec, s[16:17]
	v_lshrrev_b32_e32 v9, 16, v11
	v_mov_b32_e32 v18, 0
	v_mov_b32_e32 v16, 0
	;; [unrolled: 1-line block ×4, first 2 shown]
	v_cmp_ne_u16_sdwa s[0:1], v9, v5 src0_sel:BYTE_0 src1_sel:DWORD
	s_and_saveexec_b64 s[16:17], s[0:1]
	s_cbranch_execz .LBB188_834
; %bb.829:                              ;   in Loop: Header=BB188_425 Depth=1
	v_bfrev_b32_e32 v16, 1
	v_mov_b32_e32 v17, 0
	v_cmp_ne_u16_sdwa s[0:1], v9, s28 src0_sel:BYTE_0 src1_sel:DWORD
	s_and_saveexec_b64 s[18:19], s[0:1]
	s_cbranch_execz .LBB188_833
; %bb.830:                              ;   in Loop: Header=BB188_425 Depth=1
	v_bfe_u32 v32, v11, 16, 7
	v_mov_b32_e32 v16, 0x7f800001
	v_mov_b32_e32 v48, v55
	;; [unrolled: 1-line block ×3, first 2 shown]
	v_cmp_ne_u32_e64 s[0:1], s29, v32
	s_and_saveexec_b64 s[20:21], s[0:1]
	s_cbranch_execz .LBB188_832
; %bb.831:                              ;   in Loop: Header=BB188_425 Depth=1
	v_mov_b32_e32 v55, v61
	v_mov_b32_e32 v61, v59
	;; [unrolled: 1-line block ×8, first 2 shown]
	v_and_b32_e32 v35, 7, v9
	v_ffbh_u32_e32 v16, v35
	v_lshrrev_b32_e32 v34, 3, v32
	v_cmp_gt_u32_e64 s[0:1], 8, v32
	v_min_u32_e32 v32, 32, v16
	v_subrev_u32_e32 v16, 28, v32
	v_lshlrev_b64 v[16:17], v16, v[9:10]
	v_sub_u32_e32 v17, 29, v32
	v_and_b32_e32 v16, 7, v16
	v_cndmask_b32_e64 v17, v34, v17, s[0:1]
	v_cndmask_b32_e64 v16, v35, v16, s[0:1]
	v_lshlrev_b32_e32 v16, 20, v16
	v_and_b32_sdwa v9, sext(v9), s30 dst_sel:DWORD dst_unused:UNUSED_PAD src0_sel:BYTE_0 src1_sel:DWORD
	v_lshl_add_u32 v17, v17, 23, v49
	v_mov_b32_e32 v34, 7
	v_mov_b32_e32 v35, v37
	;; [unrolled: 1-line block ×10, first 2 shown]
	v_or3_b32 v16, v9, v17, v16
	v_mov_b32_e32 v17, v5
.LBB188_832:                            ;   in Loop: Header=BB188_425 Depth=1
	s_or_b64 exec, exec, s[20:21]
	v_mov_b32_e32 v55, v48
.LBB188_833:                            ;   in Loop: Header=BB188_425 Depth=1
	s_or_b64 exec, exec, s[18:19]
.LBB188_834:                            ;   in Loop: Header=BB188_425 Depth=1
	s_or_b64 exec, exec, s[16:17]
	v_cmp_lt_u32_e64 s[0:1], s31, v11
	s_and_saveexec_b64 s[16:17], s[0:1]
	s_cbranch_execz .LBB188_840
; %bb.835:                              ;   in Loop: Header=BB188_425 Depth=1
	v_mov_b32_e32 v19, v6
	v_cmp_ne_u32_sdwa s[0:1], v11, s28 src0_sel:BYTE_3 src1_sel:DWORD
	v_mov_b32_e32 v18, v5
	s_and_saveexec_b64 s[18:19], s[0:1]
	s_cbranch_execz .LBB188_839
; %bb.836:                              ;   in Loop: Header=BB188_425 Depth=1
	v_bfe_u32 v32, v11, 24, 7
	v_mov_b32_e32 v9, v5
	v_mov_b32_e32 v19, v10
	v_cmp_ne_u32_e64 s[0:1], s29, v32
	v_mov_b32_e32 v18, v9
	s_and_saveexec_b64 s[20:21], s[0:1]
	s_cbranch_execz .LBB188_838
; %bb.837:                              ;   in Loop: Header=BB188_425 Depth=1
	v_and_b32_sdwa v18, v11, v34 dst_sel:DWORD dst_unused:UNUSED_PAD src0_sel:BYTE_3 src1_sel:DWORD
	v_lshrrev_b32_e32 v9, 3, v32
	v_cmp_gt_u32_e64 s[0:1], 8, v32
	v_ffbh_u32_e32 v32, v18
	v_min_u32_e32 v34, 32, v32
	v_mov_b32_e32 v19, v5
	v_subrev_u32_e32 v32, 28, v34
	v_lshlrev_b64 v[48:49], v32, v[18:19]
	v_sub_u32_e32 v19, 29, v34
	v_bfrev_b32_e32 v49, 60
	v_and_b32_e32 v32, 7, v48
	v_mov_b32_e32 v58, 24
	v_cndmask_b32_e64 v9, v9, v19, s[0:1]
	v_cndmask_b32_e64 v18, v18, v32, s[0:1]
	v_lshlrev_b32_sdwa v11, v58, v11 dst_sel:DWORD dst_unused:UNUSED_PAD src0_sel:DWORD src1_sel:BYTE_3
	v_lshl_add_u32 v9, v9, 23, v49
	v_and_or_b32 v9, v11, s30, v9
	v_lshlrev_b32_e32 v11, 20, v18
	v_mov_b32_e32 v34, 7
	v_or_b32_e32 v19, v9, v11
	v_mov_b32_e32 v18, v5
.LBB188_838:                            ;   in Loop: Header=BB188_425 Depth=1
	s_or_b64 exec, exec, s[20:21]
.LBB188_839:                            ;   in Loop: Header=BB188_425 Depth=1
	s_or_b64 exec, exec, s[18:19]
.LBB188_840:                            ;   in Loop: Header=BB188_425 Depth=1
	s_or_b64 exec, exec, s[16:17]
	v_or_b32_e32 v11, v14, v12
	v_or_b32_e32 v9, v15, v13
	v_mul_f32_e32 v13, s38, v11
	v_or_b32_e32 v11, v19, v17
	v_or_b32_e32 v12, v18, v16
	v_mul_f32_e32 v9, s39, v9
	v_mul_f32_e32 v12, s38, v12
	;; [unrolled: 1-line block ×3, first 2 shown]
	s_and_saveexec_b64 s[0:1], vcc
	s_cbranch_execz .LBB188_423
; %bb.841:                              ;   in Loop: Header=BB188_425 Depth=1
	buffer_load_dword v14, off, s[56:59], 0 ; 4-byte Folded Reload
	v_cmp_gt_i32_e32 vcc, s33, v57
	v_cndmask_b32_e32 v13, 0, v13, vcc
	v_cmp_gt_i32_e32 vcc, s33, v50
	v_cndmask_b32_e32 v9, 0, v9, vcc
	;; [unrolled: 2-line block ×3, first 2 shown]
	s_waitcnt vmcnt(0)
	v_cmp_gt_i32_e32 vcc, s33, v14
	v_cndmask_b32_e32 v11, 0, v11, vcc
	s_branch .LBB188_423
.LBB188_842:
	s_or_b64 exec, exec, s[6:7]
	buffer_load_dword v22, off, s[56:59], 0 offset:344 ; 4-byte Folded Reload
	buffer_load_dword v21, off, s[56:59], 0 offset:348 ; 4-byte Folded Reload
	;; [unrolled: 1-line block ×3, first 2 shown]
.LBB188_843:
	s_or_b64 exec, exec, s[2:3]
	s_waitcnt vmcnt(0)
	ds_bpermute_b32 v1, v17, v62
	ds_bpermute_b32 v0, v17, v56
	;; [unrolled: 1-line block ×5, first 2 shown]
	s_waitcnt lgkmcnt(4)
	v_add_f32_e32 v1, v62, v1
	s_waitcnt lgkmcnt(3)
	v_add_f32_e32 v0, v56, v0
	ds_bpermute_b32 v4, v21, v1
	ds_bpermute_b32 v3, v21, v0
	s_waitcnt lgkmcnt(4)
	v_add_f32_e32 v2, v59, v2
	s_waitcnt lgkmcnt(2)
	v_add_f32_e32 v6, v53, v6
	ds_bpermute_b32 v7, v21, v6
	s_waitcnt lgkmcnt(2)
	v_add_f32_e32 v1, v1, v4
	v_add_f32_e32 v4, v60, v5
	s_waitcnt lgkmcnt(1)
	v_add_f32_e32 v0, v0, v3
	ds_bpermute_b32 v3, v21, v2
	ds_bpermute_b32 v5, v21, v4
	ds_bpermute_b32 v8, v17, v54
	ds_bpermute_b32 v14, v17, v37
	s_waitcnt lgkmcnt(0)
	v_add_f32_e32 v2, v2, v3
	v_add_f32_e32 v3, v4, v5
	ds_bpermute_b32 v5, v17, v52
	v_add_f32_e32 v4, v6, v7
	v_add_f32_e32 v7, v54, v8
	ds_bpermute_b32 v6, v17, v41
	ds_bpermute_b32 v8, v21, v7
	s_waitcnt lgkmcnt(2)
	v_add_f32_e32 v9, v52, v5
	ds_bpermute_b32 v10, v21, v9
	s_waitcnt lgkmcnt(0)
	s_barrier
	v_add_f32_e32 v11, v41, v6
	v_add_f32_e32 v5, v7, v8
	ds_bpermute_b32 v8, v17, v42
	ds_bpermute_b32 v12, v21, v11
	v_add_f32_e32 v6, v9, v10
	ds_bpermute_b32 v9, v17, v39
	ds_bpermute_b32 v10, v17, v40
	s_waitcnt lgkmcnt(3)
	v_add_f32_e32 v8, v42, v8
	s_waitcnt lgkmcnt(2)
	v_add_f32_e32 v7, v11, v12
	ds_bpermute_b32 v11, v21, v8
	s_waitcnt lgkmcnt(2)
	v_add_f32_e32 v9, v39, v9
	ds_bpermute_b32 v12, v21, v9
	s_waitcnt lgkmcnt(2)
	v_add_f32_e32 v10, v40, v10
	ds_bpermute_b32 v13, v21, v10
	s_waitcnt lgkmcnt(2)
	v_add_f32_e32 v8, v8, v11
	ds_bpermute_b32 v11, v17, v38
	s_waitcnt lgkmcnt(2)
	v_add_f32_e32 v9, v9, v12
	v_add_f32_e32 v12, v37, v14
	s_waitcnt lgkmcnt(1)
	v_add_f32_e32 v10, v10, v13
	ds_bpermute_b32 v13, v21, v12
	s_waitcnt lgkmcnt(1)
	v_add_f32_e32 v15, v38, v11
	ds_bpermute_b32 v11, v17, v36
	ds_bpermute_b32 v16, v21, v15
	s_waitcnt lgkmcnt(0)
	ds_bpermute_b32 v14, v17, v35
	ds_bpermute_b32 v17, v17, v33
	v_add_f32_e32 v19, v36, v11
	v_add_f32_e32 v11, v12, v13
	;; [unrolled: 1-line block ×3, first 2 shown]
	buffer_load_dword v16, off, s[56:59], 0 offset:316 ; 4-byte Folded Reload
	s_waitcnt lgkmcnt(1)
	v_add_f32_e32 v14, v35, v14
	s_waitcnt lgkmcnt(0)
	v_add_f32_e32 v17, v33, v17
	ds_bpermute_b32 v18, v21, v14
	ds_bpermute_b32 v20, v21, v19
	;; [unrolled: 1-line block ×3, first 2 shown]
	s_waitcnt lgkmcnt(2)
	v_add_f32_e32 v13, v14, v18
	s_waitcnt lgkmcnt(1)
	v_add_f32_e32 v14, v19, v20
	;; [unrolled: 2-line block ×3, first 2 shown]
	s_waitcnt vmcnt(0)
	v_and_b32_e32 v16, 0x3c3, v16
	v_cmp_eq_u32_e32 vcc, 64, v16
	s_mov_b64 s[0:1], exec
	buffer_load_dword v18, off, s[56:59], 0 offset:332 ; 4-byte Folded Reload
	s_and_b64 s[2:3], s[0:1], vcc
	s_mov_b64 exec, s[2:3]
	s_cbranch_execz .LBB188_845
; %bb.844:
	v_add_u32_e32 v17, 0x410, v22
	ds_write2_b32 v17, v0, v1 offset1:16
	ds_write2_b32 v17, v2, v3 offset0:32 offset1:48
	ds_write2_b32 v17, v4, v5 offset0:64 offset1:80
	ds_write2_b32 v17, v6, v7 offset0:96 offset1:112
	ds_write2_b32 v17, v8, v9 offset0:128 offset1:144
	ds_write2_b32 v17, v10, v11 offset0:160 offset1:176
	ds_write2_b32 v17, v12, v13 offset0:192 offset1:208
	ds_write2_b32 v17, v14, v15 offset0:224 offset1:240
.LBB188_845:
	s_or_b64 exec, exec, s[0:1]
	buffer_load_dword v17, off, s[56:59], 0 offset:316 ; 4-byte Folded Reload
	s_waitcnt vmcnt(0) lgkmcnt(0)
	s_barrier
	v_cmp_gt_u32_e32 vcc, 64, v17
	s_and_saveexec_b64 s[0:1], vcc
	s_cbranch_execz .LBB188_864
; %bb.846:
	buffer_load_dword v17, off, s[56:59], 0 offset:336 ; 4-byte Folded Reload
	s_waitcnt vmcnt(0)
	v_cmp_eq_u32_e32 vcc, 0, v17
	v_mov_b32_e32 v17, 0x410
	v_lshl_add_u32 v17, v18, 2, v17
	s_and_saveexec_b64 s[2:3], vcc
	s_cbranch_execnz .LBB188_867
; %bb.847:
	s_or_b64 exec, exec, s[2:3]
	s_and_saveexec_b64 s[2:3], vcc
	s_cbranch_execnz .LBB188_868
.LBB188_848:
	s_or_b64 exec, exec, s[2:3]
	s_and_saveexec_b64 s[2:3], vcc
	s_cbranch_execnz .LBB188_869
.LBB188_849:
	s_or_b64 exec, exec, s[2:3]
	s_and_saveexec_b64 s[2:3], vcc
	s_cbranch_execnz .LBB188_870
.LBB188_850:
	s_or_b64 exec, exec, s[2:3]
	s_and_saveexec_b64 s[2:3], vcc
	s_cbranch_execnz .LBB188_871
.LBB188_851:
	s_or_b64 exec, exec, s[2:3]
	s_and_saveexec_b64 s[2:3], vcc
	s_cbranch_execnz .LBB188_872
.LBB188_852:
	s_or_b64 exec, exec, s[2:3]
	s_and_saveexec_b64 s[2:3], vcc
	s_cbranch_execnz .LBB188_873
.LBB188_853:
	s_or_b64 exec, exec, s[2:3]
	s_and_saveexec_b64 s[2:3], vcc
	s_cbranch_execnz .LBB188_874
.LBB188_854:
	s_or_b64 exec, exec, s[2:3]
	s_and_saveexec_b64 s[2:3], vcc
	s_cbranch_execnz .LBB188_875
.LBB188_855:
	s_or_b64 exec, exec, s[2:3]
	s_and_saveexec_b64 s[2:3], vcc
	s_cbranch_execnz .LBB188_876
.LBB188_856:
	s_or_b64 exec, exec, s[2:3]
	s_and_saveexec_b64 s[2:3], vcc
	s_cbranch_execnz .LBB188_877
.LBB188_857:
	s_or_b64 exec, exec, s[2:3]
	s_and_saveexec_b64 s[2:3], vcc
	s_cbranch_execnz .LBB188_878
.LBB188_858:
	s_or_b64 exec, exec, s[2:3]
	s_and_saveexec_b64 s[2:3], vcc
	s_cbranch_execnz .LBB188_879
.LBB188_859:
	s_or_b64 exec, exec, s[2:3]
	s_and_saveexec_b64 s[2:3], vcc
	s_cbranch_execnz .LBB188_880
.LBB188_860:
	s_or_b64 exec, exec, s[2:3]
	s_and_saveexec_b64 s[2:3], vcc
	s_cbranch_execnz .LBB188_881
.LBB188_861:
	s_or_b64 exec, exec, s[2:3]
	s_and_saveexec_b64 s[2:3], vcc
	s_cbranch_execz .LBB188_863
.LBB188_862:
	ds_read_b32 v17, v17 offset:960
	s_waitcnt lgkmcnt(0)
	v_add_f32_e32 v15, v15, v17
.LBB188_863:
	s_or_b64 exec, exec, s[2:3]
.LBB188_864:
	s_or_b64 exec, exec, s[0:1]
	v_cmp_eq_u32_e32 vcc, 0, v16
	s_barrier
	s_and_saveexec_b64 s[0:1], vcc
	s_cbranch_execz .LBB188_866
; %bb.865:
	buffer_load_dword v16, off, s[56:59], 0 offset:340 ; 4-byte Folded Reload
	s_mul_i32 s0, s10, s11
	s_mul_i32 s0, s0, s9
	s_lshl_b32 s0, s0, 8
	s_ashr_i32 s1, s0, 31
	s_lshl_b64 s[0:1], s[0:1], 2
	s_add_u32 s2, s26, s0
	s_mul_i32 s0, s11, s24
	s_addc_u32 s3, s27, s1
	s_ashr_i32 s1, s0, 31
	s_lshl_b64 s[0:1], s[0:1], 2
	s_add_u32 s2, s2, s0
	s_addc_u32 s3, s3, s1
	s_lshl_b32 s0, s8, 8
	s_ashr_i32 s1, s0, 31
	s_lshl_b64 s[0:1], s[0:1], 2
	s_add_u32 s0, s2, s0
	s_addc_u32 s1, s3, s1
	s_waitcnt vmcnt(0)
	global_store_dword v16, v0, s[0:1]
	global_store_dword v16, v1, s[0:1] offset:64
	global_store_dword v16, v2, s[0:1] offset:128
	;; [unrolled: 1-line block ×15, first 2 shown]
.LBB188_866:
	s_endpgm
.LBB188_867:
	ds_read_b32 v18, v17
	s_waitcnt lgkmcnt(0)
	v_add_f32_e32 v0, v0, v18
	s_or_b64 exec, exec, s[2:3]
	s_and_saveexec_b64 s[2:3], vcc
	s_cbranch_execz .LBB188_848
.LBB188_868:
	ds_read_b32 v18, v17 offset:64
	s_waitcnt lgkmcnt(0)
	v_add_f32_e32 v1, v1, v18
	s_or_b64 exec, exec, s[2:3]
	s_and_saveexec_b64 s[2:3], vcc
	s_cbranch_execz .LBB188_849
.LBB188_869:
	ds_read_b32 v18, v17 offset:128
	s_waitcnt lgkmcnt(0)
	v_add_f32_e32 v2, v2, v18
	s_or_b64 exec, exec, s[2:3]
	s_and_saveexec_b64 s[2:3], vcc
	s_cbranch_execz .LBB188_850
.LBB188_870:
	ds_read_b32 v18, v17 offset:192
	s_waitcnt lgkmcnt(0)
	v_add_f32_e32 v3, v3, v18
	s_or_b64 exec, exec, s[2:3]
	s_and_saveexec_b64 s[2:3], vcc
	s_cbranch_execz .LBB188_851
.LBB188_871:
	ds_read_b32 v18, v17 offset:256
	s_waitcnt lgkmcnt(0)
	v_add_f32_e32 v4, v4, v18
	s_or_b64 exec, exec, s[2:3]
	s_and_saveexec_b64 s[2:3], vcc
	s_cbranch_execz .LBB188_852
.LBB188_872:
	ds_read_b32 v18, v17 offset:320
	s_waitcnt lgkmcnt(0)
	v_add_f32_e32 v5, v5, v18
	s_or_b64 exec, exec, s[2:3]
	s_and_saveexec_b64 s[2:3], vcc
	s_cbranch_execz .LBB188_853
.LBB188_873:
	ds_read_b32 v18, v17 offset:384
	s_waitcnt lgkmcnt(0)
	v_add_f32_e32 v6, v6, v18
	s_or_b64 exec, exec, s[2:3]
	s_and_saveexec_b64 s[2:3], vcc
	s_cbranch_execz .LBB188_854
.LBB188_874:
	ds_read_b32 v18, v17 offset:448
	s_waitcnt lgkmcnt(0)
	v_add_f32_e32 v7, v7, v18
	s_or_b64 exec, exec, s[2:3]
	s_and_saveexec_b64 s[2:3], vcc
	s_cbranch_execz .LBB188_855
.LBB188_875:
	ds_read_b32 v18, v17 offset:512
	s_waitcnt lgkmcnt(0)
	v_add_f32_e32 v8, v8, v18
	s_or_b64 exec, exec, s[2:3]
	s_and_saveexec_b64 s[2:3], vcc
	s_cbranch_execz .LBB188_856
.LBB188_876:
	ds_read_b32 v18, v17 offset:576
	s_waitcnt lgkmcnt(0)
	v_add_f32_e32 v9, v9, v18
	s_or_b64 exec, exec, s[2:3]
	s_and_saveexec_b64 s[2:3], vcc
	s_cbranch_execz .LBB188_857
.LBB188_877:
	ds_read_b32 v18, v17 offset:640
	s_waitcnt lgkmcnt(0)
	v_add_f32_e32 v10, v10, v18
	s_or_b64 exec, exec, s[2:3]
	s_and_saveexec_b64 s[2:3], vcc
	s_cbranch_execz .LBB188_858
.LBB188_878:
	ds_read_b32 v18, v17 offset:704
	s_waitcnt lgkmcnt(0)
	v_add_f32_e32 v11, v11, v18
	s_or_b64 exec, exec, s[2:3]
	s_and_saveexec_b64 s[2:3], vcc
	s_cbranch_execz .LBB188_859
.LBB188_879:
	ds_read_b32 v18, v17 offset:768
	s_waitcnt lgkmcnt(0)
	v_add_f32_e32 v12, v12, v18
	s_or_b64 exec, exec, s[2:3]
	s_and_saveexec_b64 s[2:3], vcc
	s_cbranch_execz .LBB188_860
.LBB188_880:
	ds_read_b32 v18, v17 offset:832
	s_waitcnt lgkmcnt(0)
	v_add_f32_e32 v13, v13, v18
	s_or_b64 exec, exec, s[2:3]
	s_and_saveexec_b64 s[2:3], vcc
	s_cbranch_execz .LBB188_861
.LBB188_881:
	ds_read_b32 v18, v17 offset:896
	s_waitcnt lgkmcnt(0)
	v_add_f32_e32 v14, v14, v18
	s_or_b64 exec, exec, s[2:3]
	s_and_saveexec_b64 s[2:3], vcc
	s_cbranch_execnz .LBB188_862
	s_branch .LBB188_863
	.section	.rodata,"a",@progbits
	.p2align	6, 0x0
	.amdhsa_kernel _ZN4vllm25paged_attention_v1_kernelIfhLi256ELi16ELi128ELNS_18Fp8KVCacheDataTypeE1ELb1EEEvPT_PKS2_PKT0_S8_ifPKiSA_iPKfiiiSC_SC_iiiii
		.amdhsa_group_segment_fixed_size 1040
		.amdhsa_private_segment_fixed_size 360
		.amdhsa_kernarg_size 384
		.amdhsa_user_sgpr_count 6
		.amdhsa_user_sgpr_private_segment_buffer 1
		.amdhsa_user_sgpr_dispatch_ptr 0
		.amdhsa_user_sgpr_queue_ptr 0
		.amdhsa_user_sgpr_kernarg_segment_ptr 1
		.amdhsa_user_sgpr_dispatch_id 0
		.amdhsa_user_sgpr_flat_scratch_init 0
		.amdhsa_user_sgpr_private_segment_size 0
		.amdhsa_uses_dynamic_stack 0
		.amdhsa_system_sgpr_private_segment_wavefront_offset 1
		.amdhsa_system_sgpr_workgroup_id_x 1
		.amdhsa_system_sgpr_workgroup_id_y 1
		.amdhsa_system_sgpr_workgroup_id_z 1
		.amdhsa_system_sgpr_workgroup_info 0
		.amdhsa_system_vgpr_workitem_id 0
		.amdhsa_next_free_vgpr 64
		.amdhsa_next_free_sgpr 60
		.amdhsa_reserve_vcc 1
		.amdhsa_reserve_flat_scratch 0
		.amdhsa_float_round_mode_32 0
		.amdhsa_float_round_mode_16_64 0
		.amdhsa_float_denorm_mode_32 3
		.amdhsa_float_denorm_mode_16_64 3
		.amdhsa_dx10_clamp 1
		.amdhsa_ieee_mode 1
		.amdhsa_fp16_overflow 0
		.amdhsa_exception_fp_ieee_invalid_op 0
		.amdhsa_exception_fp_denorm_src 0
		.amdhsa_exception_fp_ieee_div_zero 0
		.amdhsa_exception_fp_ieee_overflow 0
		.amdhsa_exception_fp_ieee_underflow 0
		.amdhsa_exception_fp_ieee_inexact 0
		.amdhsa_exception_int_div_zero 0
	.end_amdhsa_kernel
	.section	.text._ZN4vllm25paged_attention_v1_kernelIfhLi256ELi16ELi128ELNS_18Fp8KVCacheDataTypeE1ELb1EEEvPT_PKS2_PKT0_S8_ifPKiSA_iPKfiiiSC_SC_iiiii,"axG",@progbits,_ZN4vllm25paged_attention_v1_kernelIfhLi256ELi16ELi128ELNS_18Fp8KVCacheDataTypeE1ELb1EEEvPT_PKS2_PKT0_S8_ifPKiSA_iPKfiiiSC_SC_iiiii,comdat
.Lfunc_end188:
	.size	_ZN4vllm25paged_attention_v1_kernelIfhLi256ELi16ELi128ELNS_18Fp8KVCacheDataTypeE1ELb1EEEvPT_PKS2_PKT0_S8_ifPKiSA_iPKfiiiSC_SC_iiiii, .Lfunc_end188-_ZN4vllm25paged_attention_v1_kernelIfhLi256ELi16ELi128ELNS_18Fp8KVCacheDataTypeE1ELb1EEEvPT_PKS2_PKT0_S8_ifPKiSA_iPKfiiiSC_SC_iiiii
                                        ; -- End function
	.set _ZN4vllm25paged_attention_v1_kernelIfhLi256ELi16ELi128ELNS_18Fp8KVCacheDataTypeE1ELb1EEEvPT_PKS2_PKT0_S8_ifPKiSA_iPKfiiiSC_SC_iiiii.num_vgpr, 64
	.set _ZN4vllm25paged_attention_v1_kernelIfhLi256ELi16ELi128ELNS_18Fp8KVCacheDataTypeE1ELb1EEEvPT_PKS2_PKT0_S8_ifPKiSA_iPKfiiiSC_SC_iiiii.num_agpr, 0
	.set _ZN4vllm25paged_attention_v1_kernelIfhLi256ELi16ELi128ELNS_18Fp8KVCacheDataTypeE1ELb1EEEvPT_PKS2_PKT0_S8_ifPKiSA_iPKfiiiSC_SC_iiiii.numbered_sgpr, 60
	.set _ZN4vllm25paged_attention_v1_kernelIfhLi256ELi16ELi128ELNS_18Fp8KVCacheDataTypeE1ELb1EEEvPT_PKS2_PKT0_S8_ifPKiSA_iPKfiiiSC_SC_iiiii.num_named_barrier, 0
	.set _ZN4vllm25paged_attention_v1_kernelIfhLi256ELi16ELi128ELNS_18Fp8KVCacheDataTypeE1ELb1EEEvPT_PKS2_PKT0_S8_ifPKiSA_iPKfiiiSC_SC_iiiii.private_seg_size, 360
	.set _ZN4vllm25paged_attention_v1_kernelIfhLi256ELi16ELi128ELNS_18Fp8KVCacheDataTypeE1ELb1EEEvPT_PKS2_PKT0_S8_ifPKiSA_iPKfiiiSC_SC_iiiii.uses_vcc, 1
	.set _ZN4vllm25paged_attention_v1_kernelIfhLi256ELi16ELi128ELNS_18Fp8KVCacheDataTypeE1ELb1EEEvPT_PKS2_PKT0_S8_ifPKiSA_iPKfiiiSC_SC_iiiii.uses_flat_scratch, 0
	.set _ZN4vllm25paged_attention_v1_kernelIfhLi256ELi16ELi128ELNS_18Fp8KVCacheDataTypeE1ELb1EEEvPT_PKS2_PKT0_S8_ifPKiSA_iPKfiiiSC_SC_iiiii.has_dyn_sized_stack, 0
	.set _ZN4vllm25paged_attention_v1_kernelIfhLi256ELi16ELi128ELNS_18Fp8KVCacheDataTypeE1ELb1EEEvPT_PKS2_PKT0_S8_ifPKiSA_iPKfiiiSC_SC_iiiii.has_recursion, 0
	.set _ZN4vllm25paged_attention_v1_kernelIfhLi256ELi16ELi128ELNS_18Fp8KVCacheDataTypeE1ELb1EEEvPT_PKS2_PKT0_S8_ifPKiSA_iPKfiiiSC_SC_iiiii.has_indirect_call, 0
	.section	.AMDGPU.csdata,"",@progbits
; Kernel info:
; codeLenInByte = 37220
; TotalNumSgprs: 64
; NumVgprs: 64
; ScratchSize: 360
; MemoryBound: 0
; FloatMode: 240
; IeeeMode: 1
; LDSByteSize: 1040 bytes/workgroup (compile time only)
; SGPRBlocks: 7
; VGPRBlocks: 15
; NumSGPRsForWavesPerEU: 64
; NumVGPRsForWavesPerEU: 64
; Occupancy: 4
; WaveLimiterHint : 1
; COMPUTE_PGM_RSRC2:SCRATCH_EN: 1
; COMPUTE_PGM_RSRC2:USER_SGPR: 6
; COMPUTE_PGM_RSRC2:TRAP_HANDLER: 0
; COMPUTE_PGM_RSRC2:TGID_X_EN: 1
; COMPUTE_PGM_RSRC2:TGID_Y_EN: 1
; COMPUTE_PGM_RSRC2:TGID_Z_EN: 1
; COMPUTE_PGM_RSRC2:TIDIG_COMP_CNT: 0
	.section	.text._ZN4vllm25paged_attention_v1_kernelIfhLi32ELi16ELi128ELNS_18Fp8KVCacheDataTypeE1ELb0EEEvPT_PKS2_PKT0_S8_ifPKiSA_iPKfiiiSC_SC_iiiii,"axG",@progbits,_ZN4vllm25paged_attention_v1_kernelIfhLi32ELi16ELi128ELNS_18Fp8KVCacheDataTypeE1ELb0EEEvPT_PKS2_PKT0_S8_ifPKiSA_iPKfiiiSC_SC_iiiii,comdat
	.protected	_ZN4vllm25paged_attention_v1_kernelIfhLi32ELi16ELi128ELNS_18Fp8KVCacheDataTypeE1ELb0EEEvPT_PKS2_PKT0_S8_ifPKiSA_iPKfiiiSC_SC_iiiii ; -- Begin function _ZN4vllm25paged_attention_v1_kernelIfhLi32ELi16ELi128ELNS_18Fp8KVCacheDataTypeE1ELb0EEEvPT_PKS2_PKT0_S8_ifPKiSA_iPKfiiiSC_SC_iiiii
	.globl	_ZN4vllm25paged_attention_v1_kernelIfhLi32ELi16ELi128ELNS_18Fp8KVCacheDataTypeE1ELb0EEEvPT_PKS2_PKT0_S8_ifPKiSA_iPKfiiiSC_SC_iiiii
	.p2align	8
	.type	_ZN4vllm25paged_attention_v1_kernelIfhLi32ELi16ELi128ELNS_18Fp8KVCacheDataTypeE1ELb0EEEvPT_PKS2_PKT0_S8_ifPKiSA_iPKfiiiSC_SC_iiiii,@function
_ZN4vllm25paged_attention_v1_kernelIfhLi32ELi16ELi128ELNS_18Fp8KVCacheDataTypeE1ELb0EEEvPT_PKS2_PKT0_S8_ifPKiSA_iPKfiiiSC_SC_iiiii: ; @_ZN4vllm25paged_attention_v1_kernelIfhLi32ELi16ELi128ELNS_18Fp8KVCacheDataTypeE1ELb0EEEvPT_PKS2_PKT0_S8_ifPKiSA_iPKfiiiSC_SC_iiiii
; %bb.0:
	s_load_dword s9, s[4:5], 0x80
	s_load_dwordx2 s[0:1], s[4:5], 0x30
	s_load_dwordx2 s[30:31], s[4:5], 0x20
	s_mov_b32 s10, s7
	s_ashr_i32 s11, s7, 31
	s_lshl_b64 s[2:3], s[10:11], 2
	s_waitcnt lgkmcnt(0)
	s_add_u32 s0, s0, s2
	s_addc_u32 s1, s1, s3
	s_abs_i32 s2, s30
	v_cvt_f32_u32_e32 v1, s2
	s_sub_i32 s11, 0, s2
	s_abs_i32 s7, s9
	s_xor_b32 s3, s9, s30
	v_rcp_iflag_f32_e32 v1, v1
	s_ashr_i32 s3, s3, 31
	s_mov_b32 s33, 0
	v_mul_f32_e32 v1, 0x4f7ffffe, v1
	v_cvt_u32_f32_e32 v1, v1
	v_readfirstlane_b32 s12, v1
	s_mul_i32 s11, s11, s12
	s_mul_hi_u32 s11, s12, s11
	s_add_i32 s12, s12, s11
	s_mul_hi_u32 s11, s7, s12
	s_mul_i32 s12, s11, s2
	s_sub_i32 s7, s7, s12
	s_add_i32 s12, s11, 1
	s_sub_i32 s13, s7, s2
	s_cmp_ge_u32 s7, s2
	s_cselect_b32 s11, s12, s11
	s_cselect_b32 s7, s13, s7
	s_add_i32 s12, s11, 1
	s_cmp_ge_u32 s7, s2
	s_cselect_b32 s2, s12, s11
	s_xor_b32 s2, s2, s3
	s_sub_i32 s12, s2, s3
	s_abs_i32 s11, s12
	v_cvt_f32_u32_e32 v1, s11
	s_load_dwordx2 s[2:3], s[4:5], 0x40
	s_sub_i32 s7, 0, s11
	s_abs_i32 s16, s6
	v_rcp_iflag_f32_e32 v1, v1
	v_mul_f32_e32 v1, 0x4f7ffffe, v1
	v_cvt_u32_f32_e32 v1, v1
	v_readfirstlane_b32 s13, v1
	s_mul_i32 s7, s7, s13
	s_mul_hi_u32 s7, s13, s7
	s_add_i32 s13, s13, s7
	s_waitcnt lgkmcnt(0)
	s_cmp_eq_u64 s[2:3], 0
	s_mul_hi_u32 s17, s16, s13
	s_cbranch_scc1 .LBB189_2
; %bb.1:
	s_ashr_i32 s7, s6, 31
	s_lshl_b64 s[14:15], s[6:7], 2
	s_add_u32 s2, s2, s14
	s_addc_u32 s3, s3, s15
	s_load_dword s33, s[2:3], 0x0
.LBB189_2:
	s_load_dword s30, s[0:1], 0x0
	s_ashr_i32 s3, s12, 31
	s_load_dwordx4 s[12:15], s[4:5], 0x48
	v_lshrrev_b32_e32 v25, 2, v0
	s_ashr_i32 s2, s6, 31
	v_and_b32_e32 v26, 3, v0
	s_lshl_b32 s20, s6, 5
	v_cmp_gt_u32_e32 vcc, 32, v0
	v_lshlrev_b32_e32 v16, 2, v0
	v_lshlrev_b32_e32 v24, 2, v25
	s_and_saveexec_b64 s[0:1], vcc
	s_cbranch_execz .LBB189_4
; %bb.3:
	s_load_dwordx2 s[6:7], s[4:5], 0x8
	s_waitcnt lgkmcnt(0)
	s_mul_i32 s18, s12, s10
	s_ashr_i32 s19, s18, 31
	s_lshl_b64 s[18:19], s[18:19], 2
	v_lshl_add_u32 v2, v26, 5, v24
	s_add_u32 s12, s6, s18
	s_addc_u32 s15, s7, s19
	s_ashr_i32 s21, s20, 31
	s_lshl_b64 s[6:7], s[20:21], 2
	s_add_u32 s6, s12, s6
	s_addc_u32 s7, s15, s7
	global_load_dword v1, v16, s[6:7]
	s_waitcnt vmcnt(0)
	ds_write_b32 v2, v1
.LBB189_4:
	s_or_b64 exec, exec, s[0:1]
	s_waitcnt lgkmcnt(0)
	s_add_i32 s1, s30, 15
	s_ashr_i32 s6, s1, 31
	s_lshr_b32 s6, s6, 28
	s_add_i32 s1, s1, s6
	s_ashr_i32 s21, s1, 4
	s_xor_b32 s1, s2, s3
	s_mul_i32 s2, s17, s11
	s_sub_i32 s2, s16, s2
	s_add_i32 s3, s17, 1
	s_sub_i32 s6, s2, s11
	s_load_dwordx2 s[24:25], s[4:5], 0x28
	s_load_dword s0, s[4:5], 0x38
	s_cmp_ge_u32 s2, s11
	s_cselect_b32 s3, s3, s17
	s_cselect_b32 s2, s6, s2
	s_add_i32 s6, s3, 1
	s_cmp_ge_u32 s2, s11
	s_cselect_b32 s2, s6, s3
	v_lshrrev_b32_e32 v27, 6, v0
	s_xor_b32 s2, s2, s1
	s_waitcnt lgkmcnt(0)
	s_mul_i32 s26, s0, s10
	s_sub_i32 s12, s2, s1
	s_ashr_i32 s27, s26, 31
	v_cmp_gt_i32_e64 s[0:1], s21, v27
	v_cmp_le_i32_e32 vcc, s21, v27
	v_mbcnt_lo_u32_b32 v1, -1, 0
	s_barrier
                                        ; implicit-def: $vgpr18
                                        ; implicit-def: $vgpr20
                                        ; implicit-def: $vgpr19
	s_and_saveexec_b64 s[2:3], vcc
	s_xor_b64 s[2:3], exec, s[2:3]
; %bb.5:
	v_mbcnt_hi_u32_b32 v18, -1, v1
	v_and_b32_e32 v20, 64, v18
	v_add_u32_e32 v19, 64, v20
                                        ; implicit-def: $vgpr1
; %bb.6:
	s_or_saveexec_b64 s[6:7], s[2:3]
	s_load_dwordx2 s[22:23], s[4:5], 0x0
	s_load_dwordx2 s[28:29], s[4:5], 0x18
	s_load_dword s11, s[4:5], 0x88
	s_load_dwordx4 s[16:19], s[4:5], 0x58
	v_mov_b32_e32 v21, 0xff7fffff
	s_mul_i32 s12, s12, s14
	v_lshrrev_b32_e32 v17, 4, v0
	s_xor_b64 exec, exec, s[6:7]
	s_cbranch_execz .LBB189_60
; %bb.7:
	s_load_dwordx2 s[2:3], s[4:5], 0x10
	s_ashr_i32 s4, s12, 31
	v_bfe_u32 v2, v0, 2, 4
	v_lshlrev_b32_e32 v3, 4, v2
	v_mbcnt_hi_u32_b32 v18, -1, v1
	s_waitcnt lgkmcnt(0)
	s_add_u32 s2, s2, s12
	s_addc_u32 s3, s3, s4
	v_mov_b32_e32 v4, s3
	v_add_co_u32_e32 v3, vcc, s2, v3
	v_and_b32_e32 v20, 64, v18
	v_addc_co_u32_e32 v4, vcc, 0, v4, vcc
	v_add_u32_e32 v19, 64, v20
	v_xor_b32_e32 v1, 2, v18
	v_cmp_lt_i32_e32 vcc, v1, v19
	v_cndmask_b32_e32 v1, v18, v1, vcc
	v_lshlrev_b32_e32 v22, 2, v1
	v_xor_b32_e32 v1, 1, v18
	v_cmp_lt_i32_e32 vcc, v1, v19
	v_add_co_u32_e64 v9, s[4:5], v3, v26
	v_cndmask_b32_e32 v1, v18, v1, vcc
	v_addc_co_u32_e64 v10, s[4:5], 0, v4, s[4:5]
	v_lshlrev_b32_e32 v23, 2, v1
	s_sub_i32 s40, 1, s30
	v_lshlrev_b32_e32 v1, 2, v2
	s_lshl_b64 s[4:5], s[26:27], 2
	v_lshl_or_b32 v1, v27, 6, v1
	s_add_u32 s4, s24, s4
	v_add_u32_e32 v29, 0x90, v1
	v_and_b32_e32 v1, 60, v17
	s_addc_u32 s5, s25, s5
	v_lshlrev_b32_e32 v5, 5, v26
	v_lshl_or_b32 v28, v27, 4, v2
	v_mov_b32_e32 v2, s5
	v_add_co_u32_e64 v11, s[4:5], s4, v1
	s_load_dword s39, s[16:17], 0x0
	v_addc_co_u32_e64 v12, s[4:5], 0, v2, s[4:5]
	ds_read_b128 v[1:4], v5
	ds_read_b128 v[5:8], v5 offset:16
	s_mov_b32 s38, s13
	v_cmp_eq_u32_e32 vcc, 0, v26
	v_cmp_neq_f32_e64 s[2:3], s33, 0
	v_mov_b32_e32 v21, 0xff7fffff
	s_mov_b64 s[14:15], 0
	s_movk_i32 s41, 0x80
	s_movk_i32 s42, 0x7f
	v_bfrev_b32_e32 v30, 60
	v_mov_b32_e32 v31, v27
	s_branch .LBB189_9
.LBB189_8:                              ;   in Loop: Header=BB189_9 Depth=1
	s_or_b64 exec, exec, s[16:17]
	v_add_u32_e32 v31, 2, v31
	v_cmp_le_i32_e64 s[4:5], s21, v31
	s_or_b64 s[14:15], s[4:5], s[14:15]
	v_add_co_u32_e64 v11, s[4:5], 8, v11
	v_add_u32_e32 v28, 32, v28
	v_add_u32_e32 v29, 0x80, v29
	v_addc_co_u32_e64 v12, s[4:5], 0, v12, s[4:5]
	s_andn2_b64 exec, exec, s[14:15]
	s_cbranch_execz .LBB189_59
.LBB189_9:                              ; =>This Inner Loop Header: Depth=1
	global_load_dword v13, v[11:12], off
	v_mov_b32_e32 v32, 0
	s_waitcnt vmcnt(0) lgkmcnt(0)
	v_mad_i64_i32 v[13:14], s[4:5], v13, s38, v[9:10]
	global_load_ubyte v33, v[13:14], off
	s_waitcnt vmcnt(0)
	v_cmp_ne_u16_e64 s[4:5], 0, v33
	s_and_saveexec_b64 s[16:17], s[4:5]
	s_cbranch_execz .LBB189_15
; %bb.10:                               ;   in Loop: Header=BB189_9 Depth=1
	v_cmp_ne_u16_e64 s[4:5], s41, v33
	v_bfrev_b32_e32 v32, 1
	s_and_saveexec_b64 s[34:35], s[4:5]
	s_cbranch_execz .LBB189_14
; %bb.11:                               ;   in Loop: Header=BB189_9 Depth=1
	v_and_b32_e32 v15, 0xffff, v33
	v_and_b32_e32 v34, 0x7f, v15
	v_cmp_ne_u32_e64 s[4:5], s42, v34
	v_mov_b32_e32 v32, 0x7f800001
	s_and_saveexec_b64 s[36:37], s[4:5]
	s_cbranch_execz .LBB189_13
; %bb.12:                               ;   in Loop: Header=BB189_9 Depth=1
	v_and_b32_e32 v32, 7, v15
	v_ffbh_u32_e32 v35, v32
	v_min_u32_e32 v38, 32, v35
	v_subrev_u32_e32 v35, 28, v38
	v_lshlrev_b64 v[35:36], v35, v[15:16]
	v_lshrrev_b32_e32 v37, 3, v34
	v_sub_u32_e32 v15, 29, v38
	v_and_b32_e32 v35, 7, v35
	v_cmp_gt_u32_e64 s[4:5], 8, v34
	v_cndmask_b32_e64 v15, v37, v15, s[4:5]
	v_cndmask_b32_e64 v32, v32, v35, s[4:5]
	v_lshlrev_b32_e32 v33, 24, v33
	v_lshlrev_b32_e32 v32, 20, v32
	v_and_b32_e32 v33, 0x80000000, v33
	v_lshl_add_u32 v15, v15, 23, v30
	v_or3_b32 v32, v33, v15, v32
.LBB189_13:                             ;   in Loop: Header=BB189_9 Depth=1
	s_or_b64 exec, exec, s[36:37]
.LBB189_14:                             ;   in Loop: Header=BB189_9 Depth=1
	s_or_b64 exec, exec, s[34:35]
.LBB189_15:                             ;   in Loop: Header=BB189_9 Depth=1
	s_or_b64 exec, exec, s[16:17]
	global_load_ubyte v35, v[13:14], off offset:4
	v_mov_b32_e32 v33, 0
	v_mov_b32_e32 v34, 0
	s_waitcnt vmcnt(0)
	v_cmp_ne_u16_e64 s[4:5], 0, v35
	s_and_saveexec_b64 s[16:17], s[4:5]
	s_cbranch_execz .LBB189_21
; %bb.16:                               ;   in Loop: Header=BB189_9 Depth=1
	v_cmp_ne_u16_e64 s[4:5], s41, v35
	v_bfrev_b32_e32 v34, 1
	s_and_saveexec_b64 s[34:35], s[4:5]
	s_cbranch_execz .LBB189_20
; %bb.17:                               ;   in Loop: Header=BB189_9 Depth=1
	v_and_b32_e32 v15, 0xffff, v35
	v_and_b32_e32 v36, 0x7f, v15
	v_cmp_ne_u32_e64 s[4:5], s42, v36
	v_mov_b32_e32 v34, 0x7f800001
	s_and_saveexec_b64 s[36:37], s[4:5]
	s_cbranch_execz .LBB189_19
; %bb.18:                               ;   in Loop: Header=BB189_9 Depth=1
	v_and_b32_e32 v34, 7, v15
	v_ffbh_u32_e32 v37, v34
	v_min_u32_e32 v40, 32, v37
	v_subrev_u32_e32 v37, 28, v40
	v_lshlrev_b64 v[37:38], v37, v[15:16]
	v_lshrrev_b32_e32 v39, 3, v36
	v_sub_u32_e32 v15, 29, v40
	v_and_b32_e32 v37, 7, v37
	v_cmp_gt_u32_e64 s[4:5], 8, v36
	v_cndmask_b32_e64 v15, v39, v15, s[4:5]
	v_cndmask_b32_e64 v34, v34, v37, s[4:5]
	v_lshlrev_b32_e32 v35, 24, v35
	v_lshlrev_b32_e32 v34, 20, v34
	v_and_b32_e32 v35, 0x80000000, v35
	v_lshl_add_u32 v15, v15, 23, v30
	v_or3_b32 v34, v35, v15, v34
.LBB189_19:                             ;   in Loop: Header=BB189_9 Depth=1
	s_or_b64 exec, exec, s[36:37]
.LBB189_20:                             ;   in Loop: Header=BB189_9 Depth=1
	s_or_b64 exec, exec, s[34:35]
.LBB189_21:                             ;   in Loop: Header=BB189_9 Depth=1
	s_or_b64 exec, exec, s[16:17]
	global_load_ubyte v35, v[13:14], off offset:8
	s_waitcnt vmcnt(0)
	v_cmp_ne_u16_e64 s[4:5], 0, v35
	s_and_saveexec_b64 s[16:17], s[4:5]
	s_cbranch_execz .LBB189_27
; %bb.22:                               ;   in Loop: Header=BB189_9 Depth=1
	v_cmp_ne_u16_e64 s[4:5], s41, v35
	v_bfrev_b32_e32 v33, 1
	s_and_saveexec_b64 s[34:35], s[4:5]
	s_cbranch_execz .LBB189_26
; %bb.23:                               ;   in Loop: Header=BB189_9 Depth=1
	v_and_b32_e32 v15, 0xffff, v35
	v_and_b32_e32 v36, 0x7f, v15
	v_cmp_ne_u32_e64 s[4:5], s42, v36
	v_mov_b32_e32 v33, 0x7f800001
	s_and_saveexec_b64 s[36:37], s[4:5]
	s_cbranch_execz .LBB189_25
; %bb.24:                               ;   in Loop: Header=BB189_9 Depth=1
	v_and_b32_e32 v33, 7, v15
	v_ffbh_u32_e32 v37, v33
	v_min_u32_e32 v40, 32, v37
	v_subrev_u32_e32 v37, 28, v40
	v_lshlrev_b64 v[37:38], v37, v[15:16]
	v_lshrrev_b32_e32 v39, 3, v36
	v_sub_u32_e32 v15, 29, v40
	v_and_b32_e32 v37, 7, v37
	v_cmp_gt_u32_e64 s[4:5], 8, v36
	v_cndmask_b32_e64 v15, v39, v15, s[4:5]
	v_cndmask_b32_e64 v33, v33, v37, s[4:5]
	v_lshlrev_b32_e32 v35, 24, v35
	v_lshlrev_b32_e32 v33, 20, v33
	v_and_b32_e32 v35, 0x80000000, v35
	v_lshl_add_u32 v15, v15, 23, v30
	v_or3_b32 v33, v35, v15, v33
.LBB189_25:                             ;   in Loop: Header=BB189_9 Depth=1
	s_or_b64 exec, exec, s[36:37]
.LBB189_26:                             ;   in Loop: Header=BB189_9 Depth=1
	s_or_b64 exec, exec, s[34:35]
.LBB189_27:                             ;   in Loop: Header=BB189_9 Depth=1
	s_or_b64 exec, exec, s[16:17]
	global_load_ubyte v37, v[13:14], off offset:12
	v_mov_b32_e32 v35, 0
	v_mov_b32_e32 v36, 0
	s_waitcnt vmcnt(0)
	v_cmp_ne_u16_e64 s[4:5], 0, v37
	s_and_saveexec_b64 s[16:17], s[4:5]
	s_cbranch_execz .LBB189_33
; %bb.28:                               ;   in Loop: Header=BB189_9 Depth=1
	v_cmp_ne_u16_e64 s[4:5], s41, v37
	v_bfrev_b32_e32 v36, 1
	s_and_saveexec_b64 s[34:35], s[4:5]
	s_cbranch_execz .LBB189_32
; %bb.29:                               ;   in Loop: Header=BB189_9 Depth=1
	v_and_b32_e32 v15, 0xffff, v37
	v_and_b32_e32 v38, 0x7f, v15
	v_cmp_ne_u32_e64 s[4:5], s42, v38
	v_mov_b32_e32 v36, 0x7f800001
	s_and_saveexec_b64 s[36:37], s[4:5]
	s_cbranch_execz .LBB189_31
; %bb.30:                               ;   in Loop: Header=BB189_9 Depth=1
	v_and_b32_e32 v36, 7, v15
	v_ffbh_u32_e32 v39, v36
	v_min_u32_e32 v42, 32, v39
	v_subrev_u32_e32 v39, 28, v42
	v_lshlrev_b64 v[39:40], v39, v[15:16]
	v_lshrrev_b32_e32 v41, 3, v38
	v_sub_u32_e32 v15, 29, v42
	v_and_b32_e32 v39, 7, v39
	v_cmp_gt_u32_e64 s[4:5], 8, v38
	v_cndmask_b32_e64 v15, v41, v15, s[4:5]
	v_cndmask_b32_e64 v36, v36, v39, s[4:5]
	v_lshlrev_b32_e32 v37, 24, v37
	v_lshlrev_b32_e32 v36, 20, v36
	v_and_b32_e32 v37, 0x80000000, v37
	v_lshl_add_u32 v15, v15, 23, v30
	v_or3_b32 v36, v37, v15, v36
.LBB189_31:                             ;   in Loop: Header=BB189_9 Depth=1
	s_or_b64 exec, exec, s[36:37]
.LBB189_32:                             ;   in Loop: Header=BB189_9 Depth=1
	s_or_b64 exec, exec, s[34:35]
.LBB189_33:                             ;   in Loop: Header=BB189_9 Depth=1
	s_or_b64 exec, exec, s[16:17]
	global_load_ubyte v37, v[13:14], off offset:256
	s_waitcnt vmcnt(0)
	v_cmp_ne_u16_e64 s[4:5], 0, v37
	s_and_saveexec_b64 s[16:17], s[4:5]
	s_cbranch_execz .LBB189_39
; %bb.34:                               ;   in Loop: Header=BB189_9 Depth=1
	v_cmp_ne_u16_e64 s[4:5], s41, v37
	v_bfrev_b32_e32 v35, 1
	s_and_saveexec_b64 s[34:35], s[4:5]
	s_cbranch_execz .LBB189_38
; %bb.35:                               ;   in Loop: Header=BB189_9 Depth=1
	v_and_b32_e32 v15, 0xffff, v37
	v_and_b32_e32 v38, 0x7f, v15
	v_cmp_ne_u32_e64 s[4:5], s42, v38
	v_mov_b32_e32 v35, 0x7f800001
	s_and_saveexec_b64 s[36:37], s[4:5]
	s_cbranch_execz .LBB189_37
; %bb.36:                               ;   in Loop: Header=BB189_9 Depth=1
	v_and_b32_e32 v35, 7, v15
	v_ffbh_u32_e32 v39, v35
	v_min_u32_e32 v42, 32, v39
	v_subrev_u32_e32 v39, 28, v42
	v_lshlrev_b64 v[39:40], v39, v[15:16]
	v_lshrrev_b32_e32 v41, 3, v38
	v_sub_u32_e32 v15, 29, v42
	v_and_b32_e32 v39, 7, v39
	v_cmp_gt_u32_e64 s[4:5], 8, v38
	v_cndmask_b32_e64 v15, v41, v15, s[4:5]
	v_cndmask_b32_e64 v35, v35, v39, s[4:5]
	v_lshlrev_b32_e32 v37, 24, v37
	v_lshlrev_b32_e32 v35, 20, v35
	v_and_b32_e32 v37, 0x80000000, v37
	v_lshl_add_u32 v15, v15, 23, v30
	v_or3_b32 v35, v37, v15, v35
.LBB189_37:                             ;   in Loop: Header=BB189_9 Depth=1
	s_or_b64 exec, exec, s[36:37]
.LBB189_38:                             ;   in Loop: Header=BB189_9 Depth=1
	s_or_b64 exec, exec, s[34:35]
.LBB189_39:                             ;   in Loop: Header=BB189_9 Depth=1
	s_or_b64 exec, exec, s[16:17]
	global_load_ubyte v39, v[13:14], off offset:260
	v_mov_b32_e32 v37, 0
	v_mov_b32_e32 v38, 0
	s_waitcnt vmcnt(0)
	v_cmp_ne_u16_e64 s[4:5], 0, v39
	s_and_saveexec_b64 s[16:17], s[4:5]
	s_cbranch_execz .LBB189_45
; %bb.40:                               ;   in Loop: Header=BB189_9 Depth=1
	v_cmp_ne_u16_e64 s[4:5], s41, v39
	v_bfrev_b32_e32 v38, 1
	s_and_saveexec_b64 s[34:35], s[4:5]
	s_cbranch_execz .LBB189_44
; %bb.41:                               ;   in Loop: Header=BB189_9 Depth=1
	v_and_b32_e32 v15, 0xffff, v39
	v_and_b32_e32 v40, 0x7f, v15
	v_cmp_ne_u32_e64 s[4:5], s42, v40
	v_mov_b32_e32 v38, 0x7f800001
	s_and_saveexec_b64 s[36:37], s[4:5]
	s_cbranch_execz .LBB189_43
; %bb.42:                               ;   in Loop: Header=BB189_9 Depth=1
	v_and_b32_e32 v38, 7, v15
	v_ffbh_u32_e32 v41, v38
	v_min_u32_e32 v44, 32, v41
	v_subrev_u32_e32 v41, 28, v44
	v_lshlrev_b64 v[41:42], v41, v[15:16]
	v_lshrrev_b32_e32 v43, 3, v40
	v_sub_u32_e32 v15, 29, v44
	v_and_b32_e32 v41, 7, v41
	v_cmp_gt_u32_e64 s[4:5], 8, v40
	v_cndmask_b32_e64 v15, v43, v15, s[4:5]
	v_cndmask_b32_e64 v38, v38, v41, s[4:5]
	v_lshlrev_b32_e32 v39, 24, v39
	v_lshlrev_b32_e32 v38, 20, v38
	v_and_b32_e32 v39, 0x80000000, v39
	v_lshl_add_u32 v15, v15, 23, v30
	v_or3_b32 v38, v39, v15, v38
.LBB189_43:                             ;   in Loop: Header=BB189_9 Depth=1
	s_or_b64 exec, exec, s[36:37]
.LBB189_44:                             ;   in Loop: Header=BB189_9 Depth=1
	s_or_b64 exec, exec, s[34:35]
.LBB189_45:                             ;   in Loop: Header=BB189_9 Depth=1
	s_or_b64 exec, exec, s[16:17]
	global_load_ubyte v39, v[13:14], off offset:264
	s_waitcnt vmcnt(0)
	v_cmp_ne_u16_e64 s[4:5], 0, v39
	s_and_saveexec_b64 s[16:17], s[4:5]
	s_cbranch_execz .LBB189_51
; %bb.46:                               ;   in Loop: Header=BB189_9 Depth=1
	v_cmp_ne_u16_e64 s[4:5], s41, v39
	v_bfrev_b32_e32 v37, 1
	s_and_saveexec_b64 s[34:35], s[4:5]
	s_cbranch_execz .LBB189_50
; %bb.47:                               ;   in Loop: Header=BB189_9 Depth=1
	v_and_b32_e32 v15, 0xffff, v39
	v_and_b32_e32 v40, 0x7f, v15
	v_cmp_ne_u32_e64 s[4:5], s42, v40
	v_mov_b32_e32 v37, 0x7f800001
	s_and_saveexec_b64 s[36:37], s[4:5]
	s_cbranch_execz .LBB189_49
; %bb.48:                               ;   in Loop: Header=BB189_9 Depth=1
	v_and_b32_e32 v37, 7, v15
	v_ffbh_u32_e32 v41, v37
	v_min_u32_e32 v44, 32, v41
	v_subrev_u32_e32 v41, 28, v44
	v_lshlrev_b64 v[41:42], v41, v[15:16]
	v_lshrrev_b32_e32 v43, 3, v40
	v_sub_u32_e32 v15, 29, v44
	v_and_b32_e32 v41, 7, v41
	v_cmp_gt_u32_e64 s[4:5], 8, v40
	v_cndmask_b32_e64 v15, v43, v15, s[4:5]
	v_cndmask_b32_e64 v37, v37, v41, s[4:5]
	v_lshlrev_b32_e32 v39, 24, v39
	v_lshlrev_b32_e32 v37, 20, v37
	v_and_b32_e32 v39, 0x80000000, v39
	v_lshl_add_u32 v15, v15, 23, v30
	v_or3_b32 v37, v39, v15, v37
.LBB189_49:                             ;   in Loop: Header=BB189_9 Depth=1
	s_or_b64 exec, exec, s[36:37]
.LBB189_50:                             ;   in Loop: Header=BB189_9 Depth=1
	s_or_b64 exec, exec, s[34:35]
.LBB189_51:                             ;   in Loop: Header=BB189_9 Depth=1
	s_or_b64 exec, exec, s[16:17]
	global_load_ubyte v14, v[13:14], off offset:268
	v_mov_b32_e32 v15, 0
	s_waitcnt vmcnt(0)
	v_cmp_ne_u16_e64 s[4:5], 0, v14
	s_and_saveexec_b64 s[16:17], s[4:5]
	s_cbranch_execz .LBB189_57
; %bb.52:                               ;   in Loop: Header=BB189_9 Depth=1
	v_cmp_ne_u16_e64 s[4:5], s41, v14
	v_bfrev_b32_e32 v15, 1
	s_and_saveexec_b64 s[34:35], s[4:5]
	s_cbranch_execz .LBB189_56
; %bb.53:                               ;   in Loop: Header=BB189_9 Depth=1
	v_and_b32_e32 v13, 0xffff, v14
	v_and_b32_e32 v39, 0x7f, v13
	v_cmp_ne_u32_e64 s[4:5], s42, v39
	v_mov_b32_e32 v15, 0x7f800001
	s_and_saveexec_b64 s[36:37], s[4:5]
	s_cbranch_execz .LBB189_55
; %bb.54:                               ;   in Loop: Header=BB189_9 Depth=1
	v_and_b32_e32 v15, 7, v13
	v_ffbh_u32_e32 v40, v15
	v_min_u32_e32 v43, 32, v40
	v_subrev_u32_e32 v40, 28, v43
	v_lshlrev_b64 v[40:41], v40, v[13:14]
	v_lshrrev_b32_e32 v42, 3, v39
	v_sub_u32_e32 v13, 29, v43
	v_and_b32_e32 v40, 7, v40
	v_cmp_gt_u32_e64 s[4:5], 8, v39
	v_cndmask_b32_e64 v13, v42, v13, s[4:5]
	v_cndmask_b32_e64 v15, v15, v40, s[4:5]
	v_lshlrev_b32_e32 v14, 24, v14
	v_lshlrev_b32_e32 v15, 20, v15
	v_and_b32_e32 v14, 0x80000000, v14
	v_lshl_add_u32 v13, v13, 23, v30
	v_or3_b32 v15, v14, v13, v15
.LBB189_55:                             ;   in Loop: Header=BB189_9 Depth=1
	s_or_b64 exec, exec, s[36:37]
.LBB189_56:                             ;   in Loop: Header=BB189_9 Depth=1
	s_or_b64 exec, exec, s[34:35]
.LBB189_57:                             ;   in Loop: Header=BB189_9 Depth=1
	s_or_b64 exec, exec, s[16:17]
	s_waitcnt lgkmcnt(0)
	v_mul_f32_e32 v34, s39, v34
	v_mul_f32_e32 v32, s39, v32
	;; [unrolled: 1-line block ×4, first 2 shown]
	v_fmac_f32_e32 v34, v1, v32
	v_mul_f32_e32 v36, s39, v36
	v_fmac_f32_e32 v34, v3, v33
	v_mul_f32_e32 v35, s39, v35
	;; [unrolled: 2-line block ×5, first 2 shown]
	v_fmac_f32_e32 v34, v7, v13
	v_fmac_f32_e32 v34, v8, v15
	ds_bpermute_b32 v13, v22, v34
	s_waitcnt lgkmcnt(0)
	v_add_f32_e32 v13, v34, v13
	ds_bpermute_b32 v14, v23, v13
	s_and_saveexec_b64 s[16:17], vcc
	s_cbranch_execz .LBB189_8
; %bb.58:                               ;   in Loop: Header=BB189_9 Depth=1
	v_add_u32_e32 v15, s40, v28
	v_cvt_f32_i32_e32 v15, v15
	s_waitcnt lgkmcnt(0)
	v_add_f32_e32 v13, v13, v14
	v_cmp_gt_i32_e64 s[4:5], s30, v28
	v_max_f32_e32 v14, v21, v21
	v_mul_f32_e32 v15, s33, v15
	v_cndmask_b32_e64 v15, 0, v15, s[2:3]
	v_fmac_f32_e32 v15, s31, v13
	v_cndmask_b32_e64 v13, 0, v15, s[4:5]
	ds_write_b32 v29, v13
	v_max_f32_e32 v13, v14, v15
	v_cndmask_b32_e64 v21, v21, v13, s[4:5]
	s_branch .LBB189_8
.LBB189_59:
	s_or_b64 exec, exec, s[14:15]
.LBB189_60:
	s_or_b64 exec, exec, s[6:7]
	v_xor_b32_e32 v1, 32, v18
	v_cmp_lt_i32_e32 vcc, v1, v19
	v_cndmask_b32_e32 v1, v18, v1, vcc
	v_lshlrev_b32_e32 v1, 2, v1
	ds_bpermute_b32 v2, v1, v21
	v_xor_b32_e32 v4, 16, v18
	v_max_f32_e32 v3, v21, v21
	v_cmp_lt_i32_e32 vcc, v4, v19
	v_xor_b32_e32 v5, 8, v18
	s_waitcnt lgkmcnt(0)
	v_max_f32_e32 v2, v2, v2
	v_max_f32_e32 v3, v3, v2
	v_cndmask_b32_e32 v2, v18, v4, vcc
	v_lshlrev_b32_e32 v2, 2, v2
	ds_bpermute_b32 v4, v2, v3
	v_cmp_lt_i32_e32 vcc, v5, v19
	v_xor_b32_e32 v6, 4, v18
	v_and_b32_e32 v28, 63, v0
	s_waitcnt lgkmcnt(0)
	v_max_f32_e32 v4, v4, v4
	v_max_f32_e32 v3, v3, v4
	v_cndmask_b32_e32 v4, v18, v5, vcc
	v_lshlrev_b32_e32 v5, 2, v4
	ds_bpermute_b32 v4, v5, v3
	v_cmp_lt_i32_e32 vcc, v6, v19
	s_waitcnt lgkmcnt(0)
	v_max_f32_e32 v4, v4, v4
	v_max_f32_e32 v4, v3, v4
	v_cndmask_b32_e32 v3, v18, v6, vcc
	v_lshlrev_b32_e32 v6, 2, v3
	ds_bpermute_b32 v7, v6, v4
	v_cmp_eq_u32_e32 vcc, 0, v28
	v_lshlrev_b32_e32 v3, 2, v27
	s_and_saveexec_b64 s[2:3], vcc
	s_cbranch_execz .LBB189_62
; %bb.61:
	s_waitcnt lgkmcnt(0)
	v_max_f32_e32 v7, v7, v7
	v_max_f32_e32 v4, v4, v4
	;; [unrolled: 1-line block ×3, first 2 shown]
	ds_write_b32 v3, v4 offset:128
.LBB189_62:
	s_or_b64 exec, exec, s[2:3]
	v_cmp_gt_u32_e64 s[2:3], 2, v28
	s_waitcnt lgkmcnt(0)
	v_mov_b32_e32 v7, 0xff7fffff
	v_lshlrev_b32_e32 v4, 2, v28
	s_barrier
	s_and_saveexec_b64 s[4:5], s[2:3]
; %bb.63:
	ds_read_b32 v7, v4 offset:128
; %bb.64:
	s_or_b64 exec, exec, s[4:5]
	v_xor_b32_e32 v8, 1, v18
	v_cmp_lt_i32_e64 s[4:5], v8, v19
	v_cndmask_b32_e64 v8, v18, v8, s[4:5]
	v_lshlrev_b32_e32 v29, 2, v8
	s_waitcnt lgkmcnt(0)
	ds_bpermute_b32 v8, v29, v7
	v_max_f32_e32 v7, v7, v7
	s_lshl_b32 s4, s21, 4
	s_min_i32 s31, s4, s30
	v_cmp_gt_i32_e64 s[4:5], s31, v0
	s_waitcnt lgkmcnt(0)
	v_max_f32_e32 v8, v8, v8
	v_max_f32_e32 v7, v7, v8
	v_lshlrev_b32_e32 v8, 2, v20
	ds_bpermute_b32 v8, v8, v7
	v_mov_b32_e32 v7, 0
	s_and_saveexec_b64 s[14:15], s[4:5]
	s_cbranch_execz .LBB189_68
; %bb.65:
	v_mov_b32_e32 v7, 0x90
	v_lshl_add_u32 v9, v0, 2, v7
	v_mov_b32_e32 v7, 0
	s_mov_b64 s[16:17], 0
	v_mov_b32_e32 v10, v0
.LBB189_66:                             ; =>This Inner Loop Header: Depth=1
	ds_read_b32 v11, v9
	v_add_u32_e32 v10, 0x80, v10
	v_cmp_le_i32_e64 s[6:7], s31, v10
	s_or_b64 s[16:17], s[6:7], s[16:17]
	s_waitcnt lgkmcnt(0)
	v_sub_f32_e32 v11, v11, v8
	v_mul_f32_e32 v11, 0x3fb8aa3b, v11
	v_exp_f32_e32 v11, v11
	ds_write_b32 v9, v11
	v_add_f32_e32 v7, v7, v11
	v_add_u32_e32 v9, 0x200, v9
	s_andn2_b64 exec, exec, s[16:17]
	s_cbranch_execnz .LBB189_66
; %bb.67:
	s_or_b64 exec, exec, s[16:17]
.LBB189_68:
	s_or_b64 exec, exec, s[14:15]
	ds_bpermute_b32 v1, v1, v7
	s_waitcnt lgkmcnt(0)
	v_add_f32_e32 v1, v7, v1
	ds_bpermute_b32 v2, v2, v1
	s_waitcnt lgkmcnt(0)
	v_add_f32_e32 v1, v1, v2
	ds_bpermute_b32 v2, v5, v1
	v_xor_b32_e32 v5, 2, v18
	v_cmp_lt_i32_e64 s[6:7], v5, v19
	v_cndmask_b32_e64 v5, v18, v5, s[6:7]
	v_lshlrev_b32_e32 v30, 2, v5
	s_waitcnt lgkmcnt(0)
	v_add_f32_e32 v1, v1, v2
	ds_bpermute_b32 v2, v6, v1
	s_waitcnt lgkmcnt(0)
	v_add_f32_e32 v1, v1, v2
	ds_bpermute_b32 v2, v30, v1
	;; [unrolled: 3-line block ×3, first 2 shown]
	s_waitcnt lgkmcnt(0)
	v_add_f32_e32 v1, v1, v2
	s_and_saveexec_b64 s[6:7], vcc
; %bb.69:
	ds_write_b32 v3, v1 offset:136
; %bb.70:
	s_or_b64 exec, exec, s[6:7]
	s_waitcnt lgkmcnt(0)
	s_barrier
	s_and_saveexec_b64 s[6:7], s[2:3]
; %bb.71:
	ds_read_b32 v1, v4 offset:136
; %bb.72:
	s_or_b64 exec, exec, s[6:7]
	s_waitcnt lgkmcnt(0)
	ds_bpermute_b32 v2, v29, v1
	v_lshlrev_b32_e32 v3, 2, v18
	s_waitcnt lgkmcnt(0)
	v_add_f32_e32 v1, v1, v2
	v_and_b32_e32 v2, 0xffffff00, v3
	ds_bpermute_b32 v1, v2, v1
	s_and_saveexec_b64 s[2:3], s[4:5]
	s_cbranch_execz .LBB189_75
; %bb.73:
	s_waitcnt lgkmcnt(0)
	v_add_f32_e32 v2, 0x358637bd, v1
	v_div_scale_f32 v1, s[4:5], v2, v2, 1.0
	v_div_scale_f32 v3, vcc, 1.0, v2, 1.0
	s_mov_b64 s[4:5], 0
	v_rcp_f32_e32 v4, v1
	v_fma_f32 v5, -v1, v4, 1.0
	v_fmac_f32_e32 v4, v5, v4
	v_mul_f32_e32 v5, v3, v4
	v_fma_f32 v6, -v1, v5, v3
	v_fmac_f32_e32 v5, v6, v4
	v_fma_f32 v1, -v1, v5, v3
	v_div_fmas_f32 v3, v1, v4, v5
	v_mov_b32_e32 v1, 0x90
	v_lshl_add_u32 v1, v0, 2, v1
	v_div_fixup_f32 v2, v3, v2, 1.0
	v_mov_b32_e32 v3, v0
.LBB189_74:                             ; =>This Inner Loop Header: Depth=1
	ds_read_b32 v4, v1
	v_add_u32_e32 v3, 0x80, v3
	v_cmp_le_i32_e32 vcc, s31, v3
	s_or_b64 s[4:5], vcc, s[4:5]
	s_waitcnt lgkmcnt(0)
	v_mul_f32_e32 v4, v2, v4
	ds_write_b32 v1, v4
	v_add_u32_e32 v1, 0x200, v1
	s_andn2_b64 exec, exec, s[4:5]
	s_cbranch_execnz .LBB189_74
.LBB189_75:
	s_or_b64 exec, exec, s[2:3]
	v_mov_b32_e32 v32, 0
	v_mov_b32_e32 v33, 0
	s_waitcnt lgkmcnt(0)
	s_barrier
	s_and_saveexec_b64 s[2:3], s[0:1]
	s_cbranch_execz .LBB189_131
; %bb.76:
	s_ashr_i32 s0, s12, 31
	s_add_u32 s1, s28, s12
	v_and_b32_e32 v2, 0xfc, v16
	v_and_b32_e32 v1, 12, v16
	s_load_dword s17, s[18:19], 0x0
	s_addc_u32 s0, s29, s0
	v_add_co_u32_e32 v7, vcc, s1, v2
	v_lshlrev_b32_e32 v2, 4, v27
	s_add_i32 s19, s21, -1
	v_mov_b32_e32 v3, s0
	v_or3_b32 v31, v2, v1, 3
	v_lshlrev_b32_e32 v1, 4, v26
	s_lshl_b64 s[0:1], s[26:27], 2
	v_lshl_or_b32 v1, v27, 6, v1
	s_add_u32 s0, s24, s0
	v_addc_co_u32_e32 v8, vcc, 0, v3, vcc
	v_add_u32_e32 v34, 0x90, v1
	v_and_b32_e32 v1, 60, v17
	s_addc_u32 s1, s25, s1
	v_mov_b32_e32 v5, 0
	v_mov_b32_e32 v2, s1
	v_add_co_u32_e32 v9, vcc, s0, v1
	s_mov_b32 s16, s13
	s_waitcnt lgkmcnt(0)
	s_mov_b32 s18, s17
	v_addc_co_u32_e32 v10, vcc, 0, v2, vcc
	s_mov_b64 s[4:5], 0
	s_movk_i32 s24, 0x80
	s_movk_i32 s25, 0x7f
	s_brev_b32 s26, 1
	s_mov_b32 s27, 0xffffff
	v_bfrev_b32_e32 v35, 60
	v_bfrev_b32_e32 v6, 1
	v_mov_b32_e32 v12, 0x7f800001
	v_mov_b32_e32 v36, 7
	;; [unrolled: 1-line block ×5, first 2 shown]
	s_branch .LBB189_78
.LBB189_77:                             ;   in Loop: Header=BB189_78 Depth=1
	s_or_b64 exec, exec, s[0:1]
	s_waitcnt lgkmcnt(0)
	v_mul_f32_e32 v16, v1, v39
	v_mul_f32_e32 v1, v1, v15
	v_fmac_f32_e32 v16, v2, v38
	v_fmac_f32_e32 v1, v2, v11
	v_add_u32_e32 v27, 2, v27
	v_fmac_f32_e32 v16, v3, v23
	v_fmac_f32_e32 v1, v3, v14
	v_cmp_le_i32_e32 vcc, s21, v27
	v_fmac_f32_e32 v16, v4, v22
	v_fmac_f32_e32 v1, v4, v13
	s_or_b64 s[4:5], vcc, s[4:5]
	v_add_co_u32_e32 v9, vcc, 8, v9
	v_add_f32_e32 v32, v32, v16
	v_add_f32_e32 v33, v33, v1
	v_add_u32_e32 v31, 32, v31
	v_add_u32_e32 v34, 0x80, v34
	v_addc_co_u32_e32 v10, vcc, 0, v10, vcc
	s_andn2_b64 exec, exec, s[4:5]
	s_cbranch_execz .LBB189_130
.LBB189_78:                             ; =>This Inner Loop Header: Depth=1
	global_load_dword v1, v[9:10], off
	v_mov_b32_e32 v18, 0
	v_mov_b32_e32 v16, 0
	;; [unrolled: 1-line block ×4, first 2 shown]
	s_waitcnt vmcnt(0)
	v_mad_i64_i32 v[13:14], s[0:1], v1, s16, v[7:8]
	ds_read_b128 v[1:4], v34
	global_load_dword v15, v[13:14], off
	s_waitcnt vmcnt(0)
	v_cmp_ne_u16_sdwa s[6:7], v15, v5 src0_sel:BYTE_0 src1_sel:DWORD
	s_and_saveexec_b64 s[0:1], s[6:7]
	s_cbranch_execz .LBB189_84
; %bb.79:                               ;   in Loop: Header=BB189_78 Depth=1
	v_bfrev_b32_e32 v16, 1
	v_mov_b32_e32 v17, 0
	v_cmp_ne_u16_sdwa s[12:13], v15, s24 src0_sel:BYTE_0 src1_sel:DWORD
	s_and_saveexec_b64 s[6:7], s[12:13]
	s_cbranch_execz .LBB189_83
; %bb.80:                               ;   in Loop: Header=BB189_78 Depth=1
	v_and_b32_e32 v11, 0x7f, v15
	v_mov_b32_e32 v16, 0x7f800001
	v_mov_b32_e32 v17, 0
	v_cmp_ne_u32_e32 vcc, s25, v11
	s_and_saveexec_b64 s[12:13], vcc
	s_cbranch_execz .LBB189_82
; %bb.81:                               ;   in Loop: Header=BB189_78 Depth=1
	v_and_b32_e32 v20, 7, v15
	v_ffbh_u32_e32 v16, v20
	v_min_u32_e32 v22, 32, v16
	v_subrev_u32_e32 v16, 28, v22
	v_lshlrev_b64 v[16:17], v16, v[15:16]
	v_lshrrev_b32_e32 v21, 3, v11
	v_sub_u32_e32 v17, 29, v22
	v_and_b32_e32 v16, 7, v16
	v_cmp_gt_u32_e32 vcc, 8, v11
	v_cndmask_b32_e32 v11, v21, v17, vcc
	v_cndmask_b32_e32 v16, v20, v16, vcc
	v_lshlrev_b32_e32 v16, 20, v16
	v_and_b32_sdwa v17, sext(v15), s26 dst_sel:DWORD dst_unused:UNUSED_PAD src0_sel:BYTE_0 src1_sel:DWORD
	v_lshl_add_u32 v11, v11, 23, v35
	v_or3_b32 v16, v17, v11, v16
	v_mov_b32_e32 v17, v5
.LBB189_82:                             ;   in Loop: Header=BB189_78 Depth=1
	s_or_b64 exec, exec, s[12:13]
.LBB189_83:                             ;   in Loop: Header=BB189_78 Depth=1
	s_or_b64 exec, exec, s[6:7]
.LBB189_84:                             ;   in Loop: Header=BB189_78 Depth=1
	s_or_b64 exec, exec, s[0:1]
	v_cmp_ne_u16_sdwa s[6:7], v15, v5 src0_sel:BYTE_1 src1_sel:DWORD
	s_and_saveexec_b64 s[0:1], s[6:7]
	s_cbranch_execz .LBB189_90
; %bb.85:                               ;   in Loop: Header=BB189_78 Depth=1
	v_mov_b32_e32 v19, v6
	v_cmp_ne_u16_sdwa s[12:13], v15, s24 src0_sel:BYTE_1 src1_sel:DWORD
	v_mov_b32_e32 v18, v5
	s_and_saveexec_b64 s[6:7], s[12:13]
	s_cbranch_execz .LBB189_89
; %bb.86:                               ;   in Loop: Header=BB189_78 Depth=1
	v_and_b32_sdwa v20, v15, s25 dst_sel:DWORD dst_unused:UNUSED_PAD src0_sel:BYTE_1 src1_sel:DWORD
	v_mov_b32_e32 v11, v5
	v_mov_b32_e32 v19, v12
	v_cmp_ne_u32_e32 vcc, s25, v20
	v_mov_b32_e32 v18, v11
	s_and_saveexec_b64 s[12:13], vcc
	s_cbranch_execz .LBB189_88
; %bb.87:                               ;   in Loop: Header=BB189_78 Depth=1
	v_and_b32_sdwa v18, v15, v36 dst_sel:DWORD dst_unused:UNUSED_PAD src0_sel:BYTE_1 src1_sel:DWORD
	v_ffbh_u32_e32 v21, v18
	v_min_u32_e32 v23, 32, v21
	v_mov_b32_e32 v19, v5
	v_subrev_u32_e32 v21, 28, v23
	v_lshlrev_b64 v[21:22], v21, v[18:19]
	v_lshrrev_b32_e32 v11, 3, v20
	v_sub_u32_e32 v19, 29, v23
	v_cmp_gt_u32_e32 vcc, 8, v20
	v_and_b32_e32 v21, 7, v21
	v_cndmask_b32_e32 v11, v11, v19, vcc
	v_cndmask_b32_e32 v18, v18, v21, vcc
	v_lshlrev_b32_e32 v19, 16, v15
	v_lshl_add_u32 v11, v11, 23, v35
	v_and_or_b32 v11, v19, s26, v11
	v_lshlrev_b32_e32 v18, 20, v18
	v_or_b32_e32 v19, v11, v18
	v_mov_b32_e32 v18, v5
.LBB189_88:                             ;   in Loop: Header=BB189_78 Depth=1
	s_or_b64 exec, exec, s[12:13]
.LBB189_89:                             ;   in Loop: Header=BB189_78 Depth=1
	s_or_b64 exec, exec, s[6:7]
.LBB189_90:                             ;   in Loop: Header=BB189_78 Depth=1
	s_or_b64 exec, exec, s[0:1]
	v_lshrrev_b32_e32 v11, 16, v15
	v_mov_b32_e32 v22, 0
	v_mov_b32_e32 v20, 0
	;; [unrolled: 1-line block ×4, first 2 shown]
	v_cmp_ne_u16_sdwa s[6:7], v11, v5 src0_sel:BYTE_0 src1_sel:DWORD
	s_and_saveexec_b64 s[0:1], s[6:7]
	s_cbranch_execz .LBB189_96
; %bb.91:                               ;   in Loop: Header=BB189_78 Depth=1
	v_bfrev_b32_e32 v20, 1
	v_mov_b32_e32 v21, 0
	v_cmp_ne_u16_sdwa s[12:13], v11, s24 src0_sel:BYTE_0 src1_sel:DWORD
	s_and_saveexec_b64 s[6:7], s[12:13]
	s_cbranch_execz .LBB189_95
; %bb.92:                               ;   in Loop: Header=BB189_78 Depth=1
	v_bfe_u32 v38, v15, 16, 7
	v_mov_b32_e32 v20, 0x7f800001
	v_mov_b32_e32 v21, 0
	v_cmp_ne_u32_e32 vcc, s25, v38
	s_and_saveexec_b64 s[12:13], vcc
	s_cbranch_execz .LBB189_94
; %bb.93:                               ;   in Loop: Header=BB189_78 Depth=1
	v_and_b32_e32 v39, 7, v11
	v_ffbh_u32_e32 v20, v39
	v_min_u32_e32 v41, 32, v20
	v_subrev_u32_e32 v20, 28, v41
	v_lshlrev_b64 v[20:21], v20, v[11:12]
	v_lshrrev_b32_e32 v40, 3, v38
	v_sub_u32_e32 v21, 29, v41
	v_and_b32_e32 v20, 7, v20
	v_cmp_gt_u32_e32 vcc, 8, v38
	v_cndmask_b32_e32 v21, v40, v21, vcc
	v_cndmask_b32_e32 v20, v39, v20, vcc
	v_lshlrev_b32_e32 v20, 20, v20
	v_and_b32_sdwa v11, sext(v11), s26 dst_sel:DWORD dst_unused:UNUSED_PAD src0_sel:BYTE_0 src1_sel:DWORD
	v_lshl_add_u32 v21, v21, 23, v35
	v_or3_b32 v20, v11, v21, v20
	v_mov_b32_e32 v21, v5
.LBB189_94:                             ;   in Loop: Header=BB189_78 Depth=1
	s_or_b64 exec, exec, s[12:13]
.LBB189_95:                             ;   in Loop: Header=BB189_78 Depth=1
	s_or_b64 exec, exec, s[6:7]
.LBB189_96:                             ;   in Loop: Header=BB189_78 Depth=1
	s_or_b64 exec, exec, s[0:1]
	v_cmp_lt_u32_e32 vcc, s27, v15
	s_and_saveexec_b64 s[0:1], vcc
	s_cbranch_execz .LBB189_102
; %bb.97:                               ;   in Loop: Header=BB189_78 Depth=1
	v_mov_b32_e32 v23, v6
	v_cmp_ne_u32_sdwa s[12:13], v15, s24 src0_sel:BYTE_3 src1_sel:DWORD
	v_mov_b32_e32 v22, v5
	s_and_saveexec_b64 s[6:7], s[12:13]
	s_cbranch_execz .LBB189_101
; %bb.98:                               ;   in Loop: Header=BB189_78 Depth=1
	v_bfe_u32 v38, v15, 24, 7
	v_mov_b32_e32 v11, v5
	v_mov_b32_e32 v23, v12
	v_cmp_ne_u32_e32 vcc, s25, v38
	v_mov_b32_e32 v22, v11
	s_and_saveexec_b64 s[12:13], vcc
	s_cbranch_execz .LBB189_100
; %bb.99:                               ;   in Loop: Header=BB189_78 Depth=1
	v_and_b32_sdwa v22, v15, v36 dst_sel:DWORD dst_unused:UNUSED_PAD src0_sel:BYTE_3 src1_sel:DWORD
	v_ffbh_u32_e32 v39, v22
	v_min_u32_e32 v41, 32, v39
	v_mov_b32_e32 v23, v5
	v_subrev_u32_e32 v39, 28, v41
	v_lshlrev_b64 v[39:40], v39, v[22:23]
	v_lshrrev_b32_e32 v11, 3, v38
	v_sub_u32_e32 v23, 29, v41
	v_cmp_gt_u32_e32 vcc, 8, v38
	v_and_b32_e32 v39, 7, v39
	v_cndmask_b32_e32 v11, v11, v23, vcc
	v_cndmask_b32_e32 v22, v22, v39, vcc
	v_lshlrev_b32_sdwa v15, v37, v15 dst_sel:DWORD dst_unused:UNUSED_PAD src0_sel:DWORD src1_sel:BYTE_3
	v_lshl_add_u32 v11, v11, 23, v35
	v_and_or_b32 v11, v15, s26, v11
	v_lshlrev_b32_e32 v15, 20, v22
	v_or_b32_e32 v23, v11, v15
	v_mov_b32_e32 v22, v5
.LBB189_100:                            ;   in Loop: Header=BB189_78 Depth=1
	s_or_b64 exec, exec, s[12:13]
.LBB189_101:                            ;   in Loop: Header=BB189_78 Depth=1
	s_or_b64 exec, exec, s[6:7]
.LBB189_102:                            ;   in Loop: Header=BB189_78 Depth=1
	s_or_b64 exec, exec, s[0:1]
	v_or_b32_e32 v11, v19, v17
	v_or_b32_e32 v15, v18, v16
	v_mul_f32_e32 v38, s18, v11
	v_mul_f32_e32 v39, s17, v15
	v_or_b32_e32 v11, v23, v21
	v_or_b32_e32 v15, v22, v20
	v_add_u32_e32 v40, -3, v31
	v_cmp_eq_u32_e32 vcc, s19, v27
	v_mul_f32_e32 v23, s17, v15
	v_mul_f32_e32 v22, s18, v11
	v_add_u32_e32 v42, -2, v31
	v_add_u32_e32 v41, -1, v31
	s_and_saveexec_b64 s[6:7], vcc
; %bb.103:                              ;   in Loop: Header=BB189_78 Depth=1
	v_cmp_gt_i32_e64 s[0:1], s30, v40
	v_cndmask_b32_e64 v39, 0, v39, s[0:1]
	v_cmp_gt_i32_e64 s[0:1], s30, v42
	v_cndmask_b32_e64 v38, 0, v38, s[0:1]
	;; [unrolled: 2-line block ×4, first 2 shown]
; %bb.104:                              ;   in Loop: Header=BB189_78 Depth=1
	s_or_b64 exec, exec, s[6:7]
	global_load_dword v13, v[13:14], off offset:256
	v_mov_b32_e32 v16, 0
	v_mov_b32_e32 v14, 0
	;; [unrolled: 1-line block ×4, first 2 shown]
	s_waitcnt vmcnt(0)
	v_cmp_ne_u16_sdwa s[0:1], v13, v5 src0_sel:BYTE_0 src1_sel:DWORD
	s_and_saveexec_b64 s[6:7], s[0:1]
	s_cbranch_execz .LBB189_110
; %bb.105:                              ;   in Loop: Header=BB189_78 Depth=1
	v_bfrev_b32_e32 v14, 1
	v_mov_b32_e32 v15, 0
	v_cmp_ne_u16_sdwa s[0:1], v13, s24 src0_sel:BYTE_0 src1_sel:DWORD
	s_and_saveexec_b64 s[12:13], s[0:1]
	s_cbranch_execz .LBB189_109
; %bb.106:                              ;   in Loop: Header=BB189_78 Depth=1
	v_and_b32_e32 v11, 0x7f, v13
	v_mov_b32_e32 v14, 0x7f800001
	v_mov_b32_e32 v15, 0
	v_cmp_ne_u32_e64 s[0:1], s25, v11
	s_and_saveexec_b64 s[14:15], s[0:1]
	s_cbranch_execz .LBB189_108
; %bb.107:                              ;   in Loop: Header=BB189_78 Depth=1
	v_and_b32_e32 v18, 7, v13
	v_ffbh_u32_e32 v14, v18
	v_min_u32_e32 v20, 32, v14
	v_subrev_u32_e32 v14, 28, v20
	v_lshlrev_b64 v[14:15], v14, v[13:14]
	v_lshrrev_b32_e32 v19, 3, v11
	v_sub_u32_e32 v15, 29, v20
	v_and_b32_e32 v14, 7, v14
	v_cmp_gt_u32_e64 s[0:1], 8, v11
	v_cndmask_b32_e64 v11, v19, v15, s[0:1]
	v_cndmask_b32_e64 v14, v18, v14, s[0:1]
	v_lshlrev_b32_e32 v14, 20, v14
	v_and_b32_sdwa v15, sext(v13), s26 dst_sel:DWORD dst_unused:UNUSED_PAD src0_sel:BYTE_0 src1_sel:DWORD
	v_lshl_add_u32 v11, v11, 23, v35
	v_or3_b32 v14, v15, v11, v14
	v_mov_b32_e32 v15, v5
.LBB189_108:                            ;   in Loop: Header=BB189_78 Depth=1
	s_or_b64 exec, exec, s[14:15]
.LBB189_109:                            ;   in Loop: Header=BB189_78 Depth=1
	s_or_b64 exec, exec, s[12:13]
.LBB189_110:                            ;   in Loop: Header=BB189_78 Depth=1
	s_or_b64 exec, exec, s[6:7]
	v_cmp_ne_u16_sdwa s[0:1], v13, v5 src0_sel:BYTE_1 src1_sel:DWORD
	s_and_saveexec_b64 s[6:7], s[0:1]
	s_cbranch_execz .LBB189_116
; %bb.111:                              ;   in Loop: Header=BB189_78 Depth=1
	v_mov_b32_e32 v17, v6
	v_cmp_ne_u16_sdwa s[0:1], v13, s24 src0_sel:BYTE_1 src1_sel:DWORD
	v_mov_b32_e32 v16, v5
	s_and_saveexec_b64 s[12:13], s[0:1]
	s_cbranch_execz .LBB189_115
; %bb.112:                              ;   in Loop: Header=BB189_78 Depth=1
	v_and_b32_sdwa v18, v13, s25 dst_sel:DWORD dst_unused:UNUSED_PAD src0_sel:BYTE_1 src1_sel:DWORD
	v_mov_b32_e32 v11, v5
	v_mov_b32_e32 v17, v12
	v_cmp_ne_u32_e64 s[0:1], s25, v18
	v_mov_b32_e32 v16, v11
	s_and_saveexec_b64 s[14:15], s[0:1]
	s_cbranch_execz .LBB189_114
; %bb.113:                              ;   in Loop: Header=BB189_78 Depth=1
	v_and_b32_sdwa v16, v13, v36 dst_sel:DWORD dst_unused:UNUSED_PAD src0_sel:BYTE_1 src1_sel:DWORD
	v_ffbh_u32_e32 v19, v16
	v_min_u32_e32 v21, 32, v19
	v_mov_b32_e32 v17, v5
	v_subrev_u32_e32 v19, 28, v21
	v_lshlrev_b64 v[19:20], v19, v[16:17]
	v_lshrrev_b32_e32 v11, 3, v18
	v_sub_u32_e32 v17, 29, v21
	v_cmp_gt_u32_e64 s[0:1], 8, v18
	v_and_b32_e32 v19, 7, v19
	v_cndmask_b32_e64 v11, v11, v17, s[0:1]
	v_cndmask_b32_e64 v16, v16, v19, s[0:1]
	v_lshlrev_b32_e32 v17, 16, v13
	v_lshl_add_u32 v11, v11, 23, v35
	v_and_or_b32 v11, v17, s26, v11
	v_lshlrev_b32_e32 v16, 20, v16
	v_or_b32_e32 v17, v11, v16
	v_mov_b32_e32 v16, v5
.LBB189_114:                            ;   in Loop: Header=BB189_78 Depth=1
	s_or_b64 exec, exec, s[14:15]
.LBB189_115:                            ;   in Loop: Header=BB189_78 Depth=1
	s_or_b64 exec, exec, s[12:13]
.LBB189_116:                            ;   in Loop: Header=BB189_78 Depth=1
	s_or_b64 exec, exec, s[6:7]
	v_lshrrev_b32_e32 v11, 16, v13
	v_mov_b32_e32 v20, 0
	v_mov_b32_e32 v18, 0
	;; [unrolled: 1-line block ×4, first 2 shown]
	v_cmp_ne_u16_sdwa s[0:1], v11, v5 src0_sel:BYTE_0 src1_sel:DWORD
	s_and_saveexec_b64 s[6:7], s[0:1]
	s_cbranch_execz .LBB189_122
; %bb.117:                              ;   in Loop: Header=BB189_78 Depth=1
	v_bfrev_b32_e32 v18, 1
	v_mov_b32_e32 v19, 0
	v_cmp_ne_u16_sdwa s[0:1], v11, s24 src0_sel:BYTE_0 src1_sel:DWORD
	s_and_saveexec_b64 s[12:13], s[0:1]
	s_cbranch_execz .LBB189_121
; %bb.118:                              ;   in Loop: Header=BB189_78 Depth=1
	v_bfe_u32 v43, v13, 16, 7
	v_mov_b32_e32 v18, 0x7f800001
	v_mov_b32_e32 v19, 0
	v_cmp_ne_u32_e64 s[0:1], s25, v43
	s_and_saveexec_b64 s[14:15], s[0:1]
	s_cbranch_execz .LBB189_120
; %bb.119:                              ;   in Loop: Header=BB189_78 Depth=1
	v_and_b32_e32 v44, 7, v11
	v_ffbh_u32_e32 v18, v44
	v_min_u32_e32 v46, 32, v18
	v_subrev_u32_e32 v18, 28, v46
	v_lshlrev_b64 v[18:19], v18, v[11:12]
	v_lshrrev_b32_e32 v45, 3, v43
	v_sub_u32_e32 v19, 29, v46
	v_and_b32_e32 v18, 7, v18
	v_cmp_gt_u32_e64 s[0:1], 8, v43
	v_cndmask_b32_e64 v19, v45, v19, s[0:1]
	v_cndmask_b32_e64 v18, v44, v18, s[0:1]
	v_lshlrev_b32_e32 v18, 20, v18
	v_and_b32_sdwa v11, sext(v11), s26 dst_sel:DWORD dst_unused:UNUSED_PAD src0_sel:BYTE_0 src1_sel:DWORD
	v_lshl_add_u32 v19, v19, 23, v35
	v_or3_b32 v18, v11, v19, v18
	v_mov_b32_e32 v19, v5
.LBB189_120:                            ;   in Loop: Header=BB189_78 Depth=1
	s_or_b64 exec, exec, s[14:15]
.LBB189_121:                            ;   in Loop: Header=BB189_78 Depth=1
	s_or_b64 exec, exec, s[12:13]
.LBB189_122:                            ;   in Loop: Header=BB189_78 Depth=1
	s_or_b64 exec, exec, s[6:7]
	v_cmp_lt_u32_e64 s[0:1], s27, v13
	s_and_saveexec_b64 s[6:7], s[0:1]
	s_cbranch_execz .LBB189_128
; %bb.123:                              ;   in Loop: Header=BB189_78 Depth=1
	v_mov_b32_e32 v21, v6
	v_cmp_ne_u32_sdwa s[0:1], v13, s24 src0_sel:BYTE_3 src1_sel:DWORD
	v_mov_b32_e32 v20, v5
	s_and_saveexec_b64 s[12:13], s[0:1]
	s_cbranch_execz .LBB189_127
; %bb.124:                              ;   in Loop: Header=BB189_78 Depth=1
	v_bfe_u32 v43, v13, 24, 7
	v_mov_b32_e32 v11, v5
	v_mov_b32_e32 v21, v12
	v_cmp_ne_u32_e64 s[0:1], s25, v43
	v_mov_b32_e32 v20, v11
	s_and_saveexec_b64 s[14:15], s[0:1]
	s_cbranch_execz .LBB189_126
; %bb.125:                              ;   in Loop: Header=BB189_78 Depth=1
	v_and_b32_sdwa v20, v13, v36 dst_sel:DWORD dst_unused:UNUSED_PAD src0_sel:BYTE_3 src1_sel:DWORD
	v_ffbh_u32_e32 v44, v20
	v_min_u32_e32 v46, 32, v44
	v_mov_b32_e32 v21, v5
	v_subrev_u32_e32 v44, 28, v46
	v_lshlrev_b64 v[44:45], v44, v[20:21]
	v_lshrrev_b32_e32 v11, 3, v43
	v_sub_u32_e32 v21, 29, v46
	v_cmp_gt_u32_e64 s[0:1], 8, v43
	v_and_b32_e32 v44, 7, v44
	v_cndmask_b32_e64 v11, v11, v21, s[0:1]
	v_cndmask_b32_e64 v20, v20, v44, s[0:1]
	v_lshlrev_b32_sdwa v13, v37, v13 dst_sel:DWORD dst_unused:UNUSED_PAD src0_sel:DWORD src1_sel:BYTE_3
	v_lshl_add_u32 v11, v11, 23, v35
	v_and_or_b32 v11, v13, s26, v11
	v_lshlrev_b32_e32 v13, 20, v20
	v_or_b32_e32 v21, v11, v13
	v_mov_b32_e32 v20, v5
.LBB189_126:                            ;   in Loop: Header=BB189_78 Depth=1
	s_or_b64 exec, exec, s[14:15]
.LBB189_127:                            ;   in Loop: Header=BB189_78 Depth=1
	s_or_b64 exec, exec, s[12:13]
.LBB189_128:                            ;   in Loop: Header=BB189_78 Depth=1
	s_or_b64 exec, exec, s[6:7]
	v_or_b32_e32 v13, v16, v14
	v_or_b32_e32 v11, v17, v15
	v_mul_f32_e32 v15, s17, v13
	v_or_b32_e32 v13, v21, v19
	v_or_b32_e32 v14, v20, v18
	v_mul_f32_e32 v11, s18, v11
	v_mul_f32_e32 v14, s17, v14
	;; [unrolled: 1-line block ×3, first 2 shown]
	s_and_saveexec_b64 s[0:1], vcc
	s_cbranch_execz .LBB189_77
; %bb.129:                              ;   in Loop: Header=BB189_78 Depth=1
	v_cmp_gt_i32_e32 vcc, s30, v40
	v_cndmask_b32_e32 v15, 0, v15, vcc
	v_cmp_gt_i32_e32 vcc, s30, v42
	v_cndmask_b32_e32 v11, 0, v11, vcc
	;; [unrolled: 2-line block ×4, first 2 shown]
	s_branch .LBB189_77
.LBB189_130:
	s_or_b64 exec, exec, s[4:5]
.LBB189_131:
	s_or_b64 exec, exec, s[2:3]
	ds_bpermute_b32 v1, v30, v32
	ds_bpermute_b32 v2, v30, v33
	v_and_b32_e32 v3, 0x3c3, v0
	v_cmp_eq_u32_e32 vcc, 64, v3
	s_waitcnt lgkmcnt(0)
	v_add_f32_e32 v1, v32, v1
	v_add_f32_e32 v2, v33, v2
	ds_bpermute_b32 v4, v29, v1
	ds_bpermute_b32 v5, v29, v2
	s_waitcnt lgkmcnt(0)
	s_barrier
	v_add_f32_e32 v1, v1, v4
	v_add_f32_e32 v2, v2, v5
	s_and_saveexec_b64 s[0:1], vcc
; %bb.132:
	v_add_u32_e32 v4, 0x90, v28
	ds_write2_b32 v4, v1, v2 offset1:16
; %bb.133:
	s_or_b64 exec, exec, s[0:1]
	v_cmp_gt_u32_e32 vcc, 64, v0
	s_waitcnt lgkmcnt(0)
	s_barrier
	s_and_saveexec_b64 s[0:1], vcc
	s_cbranch_execz .LBB189_139
; %bb.134:
	v_mov_b32_e32 v0, 0x90
	v_cmp_eq_u32_e32 vcc, 0, v26
	v_lshl_add_u32 v0, v25, 2, v0
	s_and_saveexec_b64 s[2:3], vcc
	s_cbranch_execz .LBB189_136
; %bb.135:
	ds_read_b32 v4, v0
	s_waitcnt lgkmcnt(0)
	v_add_f32_e32 v1, v1, v4
.LBB189_136:
	s_or_b64 exec, exec, s[2:3]
	s_and_saveexec_b64 s[2:3], vcc
	s_cbranch_execz .LBB189_138
; %bb.137:
	ds_read_b32 v0, v0 offset:64
	s_waitcnt lgkmcnt(0)
	v_add_f32_e32 v2, v2, v0
.LBB189_138:
	s_or_b64 exec, exec, s[2:3]
.LBB189_139:
	s_or_b64 exec, exec, s[0:1]
	v_cmp_eq_u32_e32 vcc, 0, v3
	s_barrier
	s_and_saveexec_b64 s[0:1], vcc
	s_cbranch_execz .LBB189_141
; %bb.140:
	s_mul_i32 s0, s10, s11
	s_mul_i32 s0, s0, s9
	s_lshl_b32 s0, s0, 5
	s_ashr_i32 s1, s0, 31
	s_lshl_b64 s[0:1], s[0:1], 2
	s_add_u32 s2, s22, s0
	s_mul_i32 s0, s11, s20
	s_addc_u32 s3, s23, s1
	s_ashr_i32 s1, s0, 31
	s_lshl_b64 s[0:1], s[0:1], 2
	s_add_u32 s2, s2, s0
	s_addc_u32 s3, s3, s1
	s_lshl_b32 s0, s8, 5
	s_ashr_i32 s1, s0, 31
	s_lshl_b64 s[0:1], s[0:1], 2
	s_add_u32 s0, s2, s0
	s_addc_u32 s1, s3, s1
	global_store_dword v24, v1, s[0:1]
	global_store_dword v24, v2, s[0:1] offset:64
.LBB189_141:
	s_endpgm
	.section	.rodata,"a",@progbits
	.p2align	6, 0x0
	.amdhsa_kernel _ZN4vllm25paged_attention_v1_kernelIfhLi32ELi16ELi128ELNS_18Fp8KVCacheDataTypeE1ELb0EEEvPT_PKS2_PKT0_S8_ifPKiSA_iPKfiiiSC_SC_iiiii
		.amdhsa_group_segment_fixed_size 144
		.amdhsa_private_segment_fixed_size 0
		.amdhsa_kernarg_size 384
		.amdhsa_user_sgpr_count 6
		.amdhsa_user_sgpr_private_segment_buffer 1
		.amdhsa_user_sgpr_dispatch_ptr 0
		.amdhsa_user_sgpr_queue_ptr 0
		.amdhsa_user_sgpr_kernarg_segment_ptr 1
		.amdhsa_user_sgpr_dispatch_id 0
		.amdhsa_user_sgpr_flat_scratch_init 0
		.amdhsa_user_sgpr_private_segment_size 0
		.amdhsa_uses_dynamic_stack 0
		.amdhsa_system_sgpr_private_segment_wavefront_offset 0
		.amdhsa_system_sgpr_workgroup_id_x 1
		.amdhsa_system_sgpr_workgroup_id_y 1
		.amdhsa_system_sgpr_workgroup_id_z 1
		.amdhsa_system_sgpr_workgroup_info 0
		.amdhsa_system_vgpr_workitem_id 0
		.amdhsa_next_free_vgpr 47
		.amdhsa_next_free_sgpr 43
		.amdhsa_reserve_vcc 1
		.amdhsa_reserve_flat_scratch 0
		.amdhsa_float_round_mode_32 0
		.amdhsa_float_round_mode_16_64 0
		.amdhsa_float_denorm_mode_32 3
		.amdhsa_float_denorm_mode_16_64 3
		.amdhsa_dx10_clamp 1
		.amdhsa_ieee_mode 1
		.amdhsa_fp16_overflow 0
		.amdhsa_exception_fp_ieee_invalid_op 0
		.amdhsa_exception_fp_denorm_src 0
		.amdhsa_exception_fp_ieee_div_zero 0
		.amdhsa_exception_fp_ieee_overflow 0
		.amdhsa_exception_fp_ieee_underflow 0
		.amdhsa_exception_fp_ieee_inexact 0
		.amdhsa_exception_int_div_zero 0
	.end_amdhsa_kernel
	.section	.text._ZN4vllm25paged_attention_v1_kernelIfhLi32ELi16ELi128ELNS_18Fp8KVCacheDataTypeE1ELb0EEEvPT_PKS2_PKT0_S8_ifPKiSA_iPKfiiiSC_SC_iiiii,"axG",@progbits,_ZN4vllm25paged_attention_v1_kernelIfhLi32ELi16ELi128ELNS_18Fp8KVCacheDataTypeE1ELb0EEEvPT_PKS2_PKT0_S8_ifPKiSA_iPKfiiiSC_SC_iiiii,comdat
.Lfunc_end189:
	.size	_ZN4vllm25paged_attention_v1_kernelIfhLi32ELi16ELi128ELNS_18Fp8KVCacheDataTypeE1ELb0EEEvPT_PKS2_PKT0_S8_ifPKiSA_iPKfiiiSC_SC_iiiii, .Lfunc_end189-_ZN4vllm25paged_attention_v1_kernelIfhLi32ELi16ELi128ELNS_18Fp8KVCacheDataTypeE1ELb0EEEvPT_PKS2_PKT0_S8_ifPKiSA_iPKfiiiSC_SC_iiiii
                                        ; -- End function
	.set _ZN4vllm25paged_attention_v1_kernelIfhLi32ELi16ELi128ELNS_18Fp8KVCacheDataTypeE1ELb0EEEvPT_PKS2_PKT0_S8_ifPKiSA_iPKfiiiSC_SC_iiiii.num_vgpr, 47
	.set _ZN4vllm25paged_attention_v1_kernelIfhLi32ELi16ELi128ELNS_18Fp8KVCacheDataTypeE1ELb0EEEvPT_PKS2_PKT0_S8_ifPKiSA_iPKfiiiSC_SC_iiiii.num_agpr, 0
	.set _ZN4vllm25paged_attention_v1_kernelIfhLi32ELi16ELi128ELNS_18Fp8KVCacheDataTypeE1ELb0EEEvPT_PKS2_PKT0_S8_ifPKiSA_iPKfiiiSC_SC_iiiii.numbered_sgpr, 43
	.set _ZN4vllm25paged_attention_v1_kernelIfhLi32ELi16ELi128ELNS_18Fp8KVCacheDataTypeE1ELb0EEEvPT_PKS2_PKT0_S8_ifPKiSA_iPKfiiiSC_SC_iiiii.num_named_barrier, 0
	.set _ZN4vllm25paged_attention_v1_kernelIfhLi32ELi16ELi128ELNS_18Fp8KVCacheDataTypeE1ELb0EEEvPT_PKS2_PKT0_S8_ifPKiSA_iPKfiiiSC_SC_iiiii.private_seg_size, 0
	.set _ZN4vllm25paged_attention_v1_kernelIfhLi32ELi16ELi128ELNS_18Fp8KVCacheDataTypeE1ELb0EEEvPT_PKS2_PKT0_S8_ifPKiSA_iPKfiiiSC_SC_iiiii.uses_vcc, 1
	.set _ZN4vllm25paged_attention_v1_kernelIfhLi32ELi16ELi128ELNS_18Fp8KVCacheDataTypeE1ELb0EEEvPT_PKS2_PKT0_S8_ifPKiSA_iPKfiiiSC_SC_iiiii.uses_flat_scratch, 0
	.set _ZN4vllm25paged_attention_v1_kernelIfhLi32ELi16ELi128ELNS_18Fp8KVCacheDataTypeE1ELb0EEEvPT_PKS2_PKT0_S8_ifPKiSA_iPKfiiiSC_SC_iiiii.has_dyn_sized_stack, 0
	.set _ZN4vllm25paged_attention_v1_kernelIfhLi32ELi16ELi128ELNS_18Fp8KVCacheDataTypeE1ELb0EEEvPT_PKS2_PKT0_S8_ifPKiSA_iPKfiiiSC_SC_iiiii.has_recursion, 0
	.set _ZN4vllm25paged_attention_v1_kernelIfhLi32ELi16ELi128ELNS_18Fp8KVCacheDataTypeE1ELb0EEEvPT_PKS2_PKT0_S8_ifPKiSA_iPKfiiiSC_SC_iiiii.has_indirect_call, 0
	.section	.AMDGPU.csdata,"",@progbits
; Kernel info:
; codeLenInByte = 5836
; TotalNumSgprs: 47
; NumVgprs: 47
; ScratchSize: 0
; MemoryBound: 0
; FloatMode: 240
; IeeeMode: 1
; LDSByteSize: 144 bytes/workgroup (compile time only)
; SGPRBlocks: 5
; VGPRBlocks: 11
; NumSGPRsForWavesPerEU: 47
; NumVGPRsForWavesPerEU: 47
; Occupancy: 5
; WaveLimiterHint : 1
; COMPUTE_PGM_RSRC2:SCRATCH_EN: 0
; COMPUTE_PGM_RSRC2:USER_SGPR: 6
; COMPUTE_PGM_RSRC2:TRAP_HANDLER: 0
; COMPUTE_PGM_RSRC2:TGID_X_EN: 1
; COMPUTE_PGM_RSRC2:TGID_Y_EN: 1
; COMPUTE_PGM_RSRC2:TGID_Z_EN: 1
; COMPUTE_PGM_RSRC2:TIDIG_COMP_CNT: 0
	.section	.text._ZN4vllm25paged_attention_v1_kernelIfhLi64ELi16ELi128ELNS_18Fp8KVCacheDataTypeE1ELb0EEEvPT_PKS2_PKT0_S8_ifPKiSA_iPKfiiiSC_SC_iiiii,"axG",@progbits,_ZN4vllm25paged_attention_v1_kernelIfhLi64ELi16ELi128ELNS_18Fp8KVCacheDataTypeE1ELb0EEEvPT_PKS2_PKT0_S8_ifPKiSA_iPKfiiiSC_SC_iiiii,comdat
	.protected	_ZN4vllm25paged_attention_v1_kernelIfhLi64ELi16ELi128ELNS_18Fp8KVCacheDataTypeE1ELb0EEEvPT_PKS2_PKT0_S8_ifPKiSA_iPKfiiiSC_SC_iiiii ; -- Begin function _ZN4vllm25paged_attention_v1_kernelIfhLi64ELi16ELi128ELNS_18Fp8KVCacheDataTypeE1ELb0EEEvPT_PKS2_PKT0_S8_ifPKiSA_iPKfiiiSC_SC_iiiii
	.globl	_ZN4vllm25paged_attention_v1_kernelIfhLi64ELi16ELi128ELNS_18Fp8KVCacheDataTypeE1ELb0EEEvPT_PKS2_PKT0_S8_ifPKiSA_iPKfiiiSC_SC_iiiii
	.p2align	8
	.type	_ZN4vllm25paged_attention_v1_kernelIfhLi64ELi16ELi128ELNS_18Fp8KVCacheDataTypeE1ELb0EEEvPT_PKS2_PKT0_S8_ifPKiSA_iPKfiiiSC_SC_iiiii,@function
_ZN4vllm25paged_attention_v1_kernelIfhLi64ELi16ELi128ELNS_18Fp8KVCacheDataTypeE1ELb0EEEvPT_PKS2_PKT0_S8_ifPKiSA_iPKfiiiSC_SC_iiiii: ; @_ZN4vllm25paged_attention_v1_kernelIfhLi64ELi16ELi128ELNS_18Fp8KVCacheDataTypeE1ELb0EEEvPT_PKS2_PKT0_S8_ifPKiSA_iPKfiiiSC_SC_iiiii
; %bb.0:
	s_load_dword s9, s[4:5], 0x80
	s_load_dwordx2 s[0:1], s[4:5], 0x30
	s_load_dwordx2 s[10:11], s[4:5], 0x20
	s_mov_b32 s20, s7
	s_ashr_i32 s21, s7, 31
	s_lshl_b64 s[2:3], s[20:21], 2
	s_waitcnt lgkmcnt(0)
	s_add_u32 s0, s0, s2
	s_addc_u32 s1, s1, s3
	s_abs_i32 s2, s10
	v_cvt_f32_u32_e32 v1, s2
	s_xor_b32 s3, s9, s10
	s_sub_i32 s10, 0, s2
	s_abs_i32 s7, s9
	v_rcp_iflag_f32_e32 v1, v1
	s_ashr_i32 s3, s3, 31
	v_mul_f32_e32 v1, 0x4f7ffffe, v1
	v_cvt_u32_f32_e32 v1, v1
	v_readfirstlane_b32 s12, v1
	s_mul_i32 s10, s10, s12
	s_mul_hi_u32 s10, s12, s10
	s_add_i32 s12, s12, s10
	s_mul_hi_u32 s10, s7, s12
	s_mul_i32 s12, s10, s2
	s_sub_i32 s7, s7, s12
	s_add_i32 s12, s10, 1
	s_sub_i32 s13, s7, s2
	s_cmp_ge_u32 s7, s2
	s_cselect_b32 s10, s12, s10
	s_cselect_b32 s7, s13, s7
	s_add_i32 s12, s10, 1
	s_cmp_ge_u32 s7, s2
	s_cselect_b32 s2, s12, s10
	s_xor_b32 s2, s2, s3
	s_sub_i32 s12, s2, s3
	s_abs_i32 s16, s12
	v_cvt_f32_u32_e32 v1, s16
	s_load_dwordx2 s[2:3], s[4:5], 0x40
	s_sub_i32 s7, 0, s16
	s_abs_i32 s17, s6
	v_rcp_iflag_f32_e32 v1, v1
	s_mov_b32 s10, 0
	v_mul_f32_e32 v1, 0x4f7ffffe, v1
	v_cvt_u32_f32_e32 v1, v1
	v_readfirstlane_b32 s13, v1
	s_mul_i32 s7, s7, s13
	s_mul_hi_u32 s7, s13, s7
	s_add_i32 s13, s13, s7
	s_waitcnt lgkmcnt(0)
	s_cmp_eq_u64 s[2:3], 0
	s_mul_hi_u32 s18, s17, s13
	s_cbranch_scc1 .LBB190_2
; %bb.1:
	s_ashr_i32 s7, s6, 31
	s_lshl_b64 s[14:15], s[6:7], 2
	s_add_u32 s2, s2, s14
	s_addc_u32 s3, s3, s15
	s_load_dword s10, s[2:3], 0x0
.LBB190_2:
	s_load_dword s33, s[0:1], 0x0
	s_ashr_i32 s19, s12, 31
	s_load_dwordx4 s[12:15], s[4:5], 0x48
	v_lshrrev_b32_e32 v25, 2, v0
	s_ashr_i32 s7, s6, 31
	v_and_b32_e32 v26, 3, v0
	s_lshl_b32 s22, s6, 6
	v_cmp_gt_u32_e64 s[0:1], 64, v0
	v_lshlrev_b32_e32 v29, 2, v0
	v_lshlrev_b32_e32 v24, 2, v25
	s_and_saveexec_b64 s[2:3], s[0:1]
	s_cbranch_execz .LBB190_4
; %bb.3:
	s_load_dwordx2 s[24:25], s[4:5], 0x8
	s_waitcnt lgkmcnt(0)
	s_mul_i32 s26, s12, s20
	s_ashr_i32 s27, s26, 31
	s_lshl_b64 s[26:27], s[26:27], 2
	v_lshl_add_u32 v2, v26, 6, v24
	s_add_u32 s6, s24, s26
	s_addc_u32 s12, s25, s27
	s_ashr_i32 s23, s22, 31
	s_lshl_b64 s[24:25], s[22:23], 2
	s_add_u32 s24, s6, s24
	s_addc_u32 s25, s12, s25
	global_load_dword v1, v29, s[24:25]
	s_waitcnt vmcnt(0)
	ds_write_b32 v2, v1
.LBB190_4:
	s_or_b64 exec, exec, s[2:3]
	s_waitcnt lgkmcnt(0)
	s_add_i32 s3, s33, 15
	s_ashr_i32 s6, s3, 31
	s_lshr_b32 s6, s6, 28
	s_add_i32 s3, s3, s6
	s_mul_i32 s6, s18, s16
	s_sub_i32 s6, s17, s6
	s_ashr_i32 s23, s3, 4
	s_xor_b32 s3, s7, s19
	s_add_i32 s7, s18, 1
	s_sub_i32 s12, s6, s16
	s_load_dwordx2 s[26:27], s[4:5], 0x28
	s_load_dword s2, s[4:5], 0x38
	s_cmp_ge_u32 s6, s16
	s_cselect_b32 s7, s7, s18
	s_cselect_b32 s6, s12, s6
	s_add_i32 s12, s7, 1
	s_cmp_ge_u32 s6, s16
	s_cselect_b32 s6, s12, s7
	v_lshrrev_b32_e32 v27, 6, v0
	s_xor_b32 s6, s6, s3
	s_waitcnt lgkmcnt(0)
	s_mul_i32 s28, s2, s20
	s_sub_i32 s12, s6, s3
	s_ashr_i32 s29, s28, 31
	v_cmp_gt_i32_e64 s[2:3], s23, v27
	v_cmp_le_i32_e32 vcc, s23, v27
	v_mbcnt_lo_u32_b32 v1, -1, 0
	s_barrier
                                        ; implicit-def: $vgpr33
                                        ; implicit-def: $vgpr34
                                        ; implicit-def: $vgpr32
	s_and_saveexec_b64 s[6:7], vcc
	s_xor_b64 s[6:7], exec, s[6:7]
; %bb.5:
	v_mbcnt_hi_u32_b32 v33, -1, v1
	v_and_b32_e32 v34, 64, v33
	v_add_u32_e32 v32, 64, v34
                                        ; implicit-def: $vgpr1
; %bb.6:
	s_or_saveexec_b64 s[34:35], s[6:7]
	s_load_dwordx2 s[24:25], s[4:5], 0x0
	s_load_dwordx2 s[30:31], s[4:5], 0x18
	s_load_dword s21, s[4:5], 0x88
	s_load_dwordx4 s[16:19], s[4:5], 0x58
	v_mov_b32_e32 v28, 0xff7fffff
	s_mul_i32 s12, s12, s14
	v_lshrrev_b32_e32 v31, 4, v0
	s_xor_b64 exec, exec, s[34:35]
	s_cbranch_execz .LBB190_108
; %bb.7:
	s_load_dwordx2 s[4:5], s[4:5], 0x10
	s_ashr_i32 s6, s12, 31
	v_bfe_u32 v2, v0, 2, 4
	v_lshlrev_b32_e32 v3, 4, v2
	v_mbcnt_hi_u32_b32 v33, -1, v1
	s_waitcnt lgkmcnt(0)
	s_add_u32 s4, s4, s12
	s_addc_u32 s5, s5, s6
	v_mov_b32_e32 v4, s5
	v_add_co_u32_e32 v3, vcc, s4, v3
	v_and_b32_e32 v34, 64, v33
	v_addc_co_u32_e32 v4, vcc, 0, v4, vcc
	v_add_u32_e32 v32, 64, v34
	v_xor_b32_e32 v1, 2, v33
	v_cmp_lt_i32_e32 vcc, v1, v32
	v_cndmask_b32_e32 v1, v33, v1, vcc
	v_lshlrev_b32_e32 v30, 2, v1
	v_xor_b32_e32 v1, 1, v33
	v_cmp_lt_i32_e32 vcc, v1, v32
	v_add_co_u32_e64 v17, s[6:7], v3, v26
	v_cndmask_b32_e32 v1, v33, v1, vcc
	v_addc_co_u32_e64 v18, s[6:7], 0, v4, s[6:7]
	v_lshlrev_b32_e32 v35, 2, v1
	s_sub_i32 s42, 1, s33
	v_lshlrev_b32_e32 v1, 2, v2
	s_lshl_b64 s[6:7], s[28:29], 2
	v_lshl_or_b32 v1, v27, 6, v1
	s_add_u32 s6, s26, s6
	v_add_u32_e32 v37, 0x110, v1
	v_and_b32_e32 v1, 60, v31
	s_addc_u32 s7, s27, s7
	v_lshlrev_b32_e32 v13, 6, v26
	v_lshl_or_b32 v36, v27, 4, v2
	v_mov_b32_e32 v2, s7
	v_add_co_u32_e64 v19, s[6:7], s6, v1
	s_load_dword s41, s[16:17], 0x0
	v_addc_co_u32_e64 v20, s[6:7], 0, v2, s[6:7]
	ds_read_b128 v[1:4], v13
	ds_read_b128 v[5:8], v13 offset:16
	ds_read_b128 v[9:12], v13 offset:32
	;; [unrolled: 1-line block ×3, first 2 shown]
	s_mov_b32 s40, s13
	v_cmp_eq_u32_e32 vcc, 0, v26
	v_cmp_neq_f32_e64 s[4:5], s10, 0
	v_mov_b32_e32 v28, 0xff7fffff
	s_mov_b64 s[14:15], 0
	s_movk_i32 s43, 0x80
	s_movk_i32 s44, 0x7f
	v_bfrev_b32_e32 v38, 60
	v_mov_b32_e32 v39, v27
	s_branch .LBB190_9
.LBB190_8:                              ;   in Loop: Header=BB190_9 Depth=1
	s_or_b64 exec, exec, s[16:17]
	v_add_u32_e32 v39, 2, v39
	v_cmp_le_i32_e64 s[6:7], s23, v39
	s_or_b64 s[14:15], s[6:7], s[14:15]
	v_add_co_u32_e64 v19, s[6:7], 8, v19
	v_add_u32_e32 v36, 32, v36
	v_add_u32_e32 v37, 0x80, v37
	v_addc_co_u32_e64 v20, s[6:7], 0, v20, s[6:7]
	s_andn2_b64 exec, exec, s[14:15]
	s_cbranch_execz .LBB190_107
.LBB190_9:                              ; =>This Inner Loop Header: Depth=1
	global_load_dword v21, v[19:20], off
	v_mov_b32_e32 v40, 0
	s_waitcnt vmcnt(0) lgkmcnt(0)
	v_mad_i64_i32 v[21:22], s[6:7], v21, s40, v[17:18]
	global_load_ubyte v41, v[21:22], off
	s_waitcnt vmcnt(0)
	v_cmp_ne_u16_e64 s[6:7], 0, v41
	s_and_saveexec_b64 s[16:17], s[6:7]
	s_cbranch_execz .LBB190_15
; %bb.10:                               ;   in Loop: Header=BB190_9 Depth=1
	v_cmp_ne_u16_e64 s[6:7], s43, v41
	v_bfrev_b32_e32 v40, 1
	s_and_saveexec_b64 s[36:37], s[6:7]
	s_cbranch_execz .LBB190_14
; %bb.11:                               ;   in Loop: Header=BB190_9 Depth=1
	v_and_b32_e32 v23, 0xffff, v41
	v_and_b32_e32 v42, 0x7f, v23
	v_cmp_ne_u32_e64 s[6:7], s44, v42
	v_mov_b32_e32 v40, 0x7f800001
	s_and_saveexec_b64 s[38:39], s[6:7]
	s_cbranch_execz .LBB190_13
; %bb.12:                               ;   in Loop: Header=BB190_9 Depth=1
	v_and_b32_e32 v40, 7, v23
	v_ffbh_u32_e32 v43, v40
	v_min_u32_e32 v46, 32, v43
	v_subrev_u32_e32 v43, 28, v46
	v_lshlrev_b64 v[43:44], v43, v[23:24]
	v_lshrrev_b32_e32 v45, 3, v42
	v_sub_u32_e32 v23, 29, v46
	v_and_b32_e32 v43, 7, v43
	v_cmp_gt_u32_e64 s[6:7], 8, v42
	v_cndmask_b32_e64 v23, v45, v23, s[6:7]
	v_cndmask_b32_e64 v40, v40, v43, s[6:7]
	v_lshlrev_b32_e32 v41, 24, v41
	v_lshlrev_b32_e32 v40, 20, v40
	v_and_b32_e32 v41, 0x80000000, v41
	v_lshl_add_u32 v23, v23, 23, v38
	v_or3_b32 v40, v41, v23, v40
.LBB190_13:                             ;   in Loop: Header=BB190_9 Depth=1
	s_or_b64 exec, exec, s[38:39]
.LBB190_14:                             ;   in Loop: Header=BB190_9 Depth=1
	s_or_b64 exec, exec, s[36:37]
.LBB190_15:                             ;   in Loop: Header=BB190_9 Depth=1
	s_or_b64 exec, exec, s[16:17]
	global_load_ubyte v43, v[21:22], off offset:4
	v_mov_b32_e32 v41, 0
	v_mov_b32_e32 v42, 0
	s_waitcnt vmcnt(0)
	v_cmp_ne_u16_e64 s[6:7], 0, v43
	s_and_saveexec_b64 s[16:17], s[6:7]
	s_cbranch_execz .LBB190_21
; %bb.16:                               ;   in Loop: Header=BB190_9 Depth=1
	v_cmp_ne_u16_e64 s[6:7], s43, v43
	v_bfrev_b32_e32 v42, 1
	s_and_saveexec_b64 s[36:37], s[6:7]
	s_cbranch_execz .LBB190_20
; %bb.17:                               ;   in Loop: Header=BB190_9 Depth=1
	v_and_b32_e32 v23, 0xffff, v43
	v_and_b32_e32 v44, 0x7f, v23
	v_cmp_ne_u32_e64 s[6:7], s44, v44
	v_mov_b32_e32 v42, 0x7f800001
	s_and_saveexec_b64 s[38:39], s[6:7]
	s_cbranch_execz .LBB190_19
; %bb.18:                               ;   in Loop: Header=BB190_9 Depth=1
	v_and_b32_e32 v42, 7, v23
	v_ffbh_u32_e32 v45, v42
	v_min_u32_e32 v48, 32, v45
	v_subrev_u32_e32 v45, 28, v48
	v_lshlrev_b64 v[45:46], v45, v[23:24]
	v_lshrrev_b32_e32 v47, 3, v44
	v_sub_u32_e32 v23, 29, v48
	v_and_b32_e32 v45, 7, v45
	v_cmp_gt_u32_e64 s[6:7], 8, v44
	v_cndmask_b32_e64 v23, v47, v23, s[6:7]
	v_cndmask_b32_e64 v42, v42, v45, s[6:7]
	v_lshlrev_b32_e32 v43, 24, v43
	v_lshlrev_b32_e32 v42, 20, v42
	v_and_b32_e32 v43, 0x80000000, v43
	v_lshl_add_u32 v23, v23, 23, v38
	v_or3_b32 v42, v43, v23, v42
.LBB190_19:                             ;   in Loop: Header=BB190_9 Depth=1
	s_or_b64 exec, exec, s[38:39]
.LBB190_20:                             ;   in Loop: Header=BB190_9 Depth=1
	s_or_b64 exec, exec, s[36:37]
.LBB190_21:                             ;   in Loop: Header=BB190_9 Depth=1
	s_or_b64 exec, exec, s[16:17]
	global_load_ubyte v43, v[21:22], off offset:8
	s_waitcnt vmcnt(0)
	v_cmp_ne_u16_e64 s[6:7], 0, v43
	s_and_saveexec_b64 s[16:17], s[6:7]
	s_cbranch_execz .LBB190_27
; %bb.22:                               ;   in Loop: Header=BB190_9 Depth=1
	v_cmp_ne_u16_e64 s[6:7], s43, v43
	v_bfrev_b32_e32 v41, 1
	s_and_saveexec_b64 s[36:37], s[6:7]
	s_cbranch_execz .LBB190_26
; %bb.23:                               ;   in Loop: Header=BB190_9 Depth=1
	v_and_b32_e32 v23, 0xffff, v43
	v_and_b32_e32 v44, 0x7f, v23
	v_cmp_ne_u32_e64 s[6:7], s44, v44
	v_mov_b32_e32 v41, 0x7f800001
	s_and_saveexec_b64 s[38:39], s[6:7]
	s_cbranch_execz .LBB190_25
; %bb.24:                               ;   in Loop: Header=BB190_9 Depth=1
	v_and_b32_e32 v41, 7, v23
	v_ffbh_u32_e32 v45, v41
	v_min_u32_e32 v48, 32, v45
	v_subrev_u32_e32 v45, 28, v48
	v_lshlrev_b64 v[45:46], v45, v[23:24]
	v_lshrrev_b32_e32 v47, 3, v44
	v_sub_u32_e32 v23, 29, v48
	v_and_b32_e32 v45, 7, v45
	v_cmp_gt_u32_e64 s[6:7], 8, v44
	v_cndmask_b32_e64 v23, v47, v23, s[6:7]
	v_cndmask_b32_e64 v41, v41, v45, s[6:7]
	v_lshlrev_b32_e32 v43, 24, v43
	v_lshlrev_b32_e32 v41, 20, v41
	v_and_b32_e32 v43, 0x80000000, v43
	v_lshl_add_u32 v23, v23, 23, v38
	v_or3_b32 v41, v43, v23, v41
.LBB190_25:                             ;   in Loop: Header=BB190_9 Depth=1
	s_or_b64 exec, exec, s[38:39]
.LBB190_26:                             ;   in Loop: Header=BB190_9 Depth=1
	s_or_b64 exec, exec, s[36:37]
.LBB190_27:                             ;   in Loop: Header=BB190_9 Depth=1
	s_or_b64 exec, exec, s[16:17]
	global_load_ubyte v45, v[21:22], off offset:12
	v_mov_b32_e32 v43, 0
	v_mov_b32_e32 v44, 0
	s_waitcnt vmcnt(0)
	v_cmp_ne_u16_e64 s[6:7], 0, v45
	s_and_saveexec_b64 s[16:17], s[6:7]
	s_cbranch_execz .LBB190_33
; %bb.28:                               ;   in Loop: Header=BB190_9 Depth=1
	v_cmp_ne_u16_e64 s[6:7], s43, v45
	v_bfrev_b32_e32 v44, 1
	s_and_saveexec_b64 s[36:37], s[6:7]
	s_cbranch_execz .LBB190_32
; %bb.29:                               ;   in Loop: Header=BB190_9 Depth=1
	v_and_b32_e32 v23, 0xffff, v45
	v_and_b32_e32 v46, 0x7f, v23
	v_cmp_ne_u32_e64 s[6:7], s44, v46
	v_mov_b32_e32 v44, 0x7f800001
	s_and_saveexec_b64 s[38:39], s[6:7]
	s_cbranch_execz .LBB190_31
; %bb.30:                               ;   in Loop: Header=BB190_9 Depth=1
	v_and_b32_e32 v44, 7, v23
	v_ffbh_u32_e32 v47, v44
	v_min_u32_e32 v50, 32, v47
	v_subrev_u32_e32 v47, 28, v50
	v_lshlrev_b64 v[47:48], v47, v[23:24]
	v_lshrrev_b32_e32 v49, 3, v46
	v_sub_u32_e32 v23, 29, v50
	v_and_b32_e32 v47, 7, v47
	v_cmp_gt_u32_e64 s[6:7], 8, v46
	v_cndmask_b32_e64 v23, v49, v23, s[6:7]
	v_cndmask_b32_e64 v44, v44, v47, s[6:7]
	v_lshlrev_b32_e32 v45, 24, v45
	v_lshlrev_b32_e32 v44, 20, v44
	v_and_b32_e32 v45, 0x80000000, v45
	v_lshl_add_u32 v23, v23, 23, v38
	v_or3_b32 v44, v45, v23, v44
.LBB190_31:                             ;   in Loop: Header=BB190_9 Depth=1
	s_or_b64 exec, exec, s[38:39]
.LBB190_32:                             ;   in Loop: Header=BB190_9 Depth=1
	s_or_b64 exec, exec, s[36:37]
.LBB190_33:                             ;   in Loop: Header=BB190_9 Depth=1
	s_or_b64 exec, exec, s[16:17]
	global_load_ubyte v45, v[21:22], off offset:256
	s_waitcnt vmcnt(0)
	v_cmp_ne_u16_e64 s[6:7], 0, v45
	s_and_saveexec_b64 s[16:17], s[6:7]
	s_cbranch_execz .LBB190_39
; %bb.34:                               ;   in Loop: Header=BB190_9 Depth=1
	v_cmp_ne_u16_e64 s[6:7], s43, v45
	v_bfrev_b32_e32 v43, 1
	s_and_saveexec_b64 s[36:37], s[6:7]
	s_cbranch_execz .LBB190_38
; %bb.35:                               ;   in Loop: Header=BB190_9 Depth=1
	v_and_b32_e32 v23, 0xffff, v45
	v_and_b32_e32 v46, 0x7f, v23
	v_cmp_ne_u32_e64 s[6:7], s44, v46
	v_mov_b32_e32 v43, 0x7f800001
	s_and_saveexec_b64 s[38:39], s[6:7]
	s_cbranch_execz .LBB190_37
; %bb.36:                               ;   in Loop: Header=BB190_9 Depth=1
	v_and_b32_e32 v43, 7, v23
	v_ffbh_u32_e32 v47, v43
	v_min_u32_e32 v50, 32, v47
	v_subrev_u32_e32 v47, 28, v50
	v_lshlrev_b64 v[47:48], v47, v[23:24]
	v_lshrrev_b32_e32 v49, 3, v46
	v_sub_u32_e32 v23, 29, v50
	v_and_b32_e32 v47, 7, v47
	v_cmp_gt_u32_e64 s[6:7], 8, v46
	v_cndmask_b32_e64 v23, v49, v23, s[6:7]
	v_cndmask_b32_e64 v43, v43, v47, s[6:7]
	v_lshlrev_b32_e32 v45, 24, v45
	v_lshlrev_b32_e32 v43, 20, v43
	v_and_b32_e32 v45, 0x80000000, v45
	v_lshl_add_u32 v23, v23, 23, v38
	v_or3_b32 v43, v45, v23, v43
.LBB190_37:                             ;   in Loop: Header=BB190_9 Depth=1
	s_or_b64 exec, exec, s[38:39]
.LBB190_38:                             ;   in Loop: Header=BB190_9 Depth=1
	s_or_b64 exec, exec, s[36:37]
.LBB190_39:                             ;   in Loop: Header=BB190_9 Depth=1
	s_or_b64 exec, exec, s[16:17]
	global_load_ubyte v47, v[21:22], off offset:260
	v_mov_b32_e32 v45, 0
	v_mov_b32_e32 v46, 0
	s_waitcnt vmcnt(0)
	v_cmp_ne_u16_e64 s[6:7], 0, v47
	s_and_saveexec_b64 s[16:17], s[6:7]
	s_cbranch_execz .LBB190_45
; %bb.40:                               ;   in Loop: Header=BB190_9 Depth=1
	v_cmp_ne_u16_e64 s[6:7], s43, v47
	v_bfrev_b32_e32 v46, 1
	s_and_saveexec_b64 s[36:37], s[6:7]
	s_cbranch_execz .LBB190_44
; %bb.41:                               ;   in Loop: Header=BB190_9 Depth=1
	v_and_b32_e32 v23, 0xffff, v47
	v_and_b32_e32 v48, 0x7f, v23
	v_cmp_ne_u32_e64 s[6:7], s44, v48
	v_mov_b32_e32 v46, 0x7f800001
	s_and_saveexec_b64 s[38:39], s[6:7]
	s_cbranch_execz .LBB190_43
; %bb.42:                               ;   in Loop: Header=BB190_9 Depth=1
	v_and_b32_e32 v46, 7, v23
	v_ffbh_u32_e32 v49, v46
	v_min_u32_e32 v52, 32, v49
	v_subrev_u32_e32 v49, 28, v52
	v_lshlrev_b64 v[49:50], v49, v[23:24]
	v_lshrrev_b32_e32 v51, 3, v48
	v_sub_u32_e32 v23, 29, v52
	v_and_b32_e32 v49, 7, v49
	v_cmp_gt_u32_e64 s[6:7], 8, v48
	v_cndmask_b32_e64 v23, v51, v23, s[6:7]
	v_cndmask_b32_e64 v46, v46, v49, s[6:7]
	v_lshlrev_b32_e32 v47, 24, v47
	v_lshlrev_b32_e32 v46, 20, v46
	v_and_b32_e32 v47, 0x80000000, v47
	v_lshl_add_u32 v23, v23, 23, v38
	v_or3_b32 v46, v47, v23, v46
.LBB190_43:                             ;   in Loop: Header=BB190_9 Depth=1
	s_or_b64 exec, exec, s[38:39]
.LBB190_44:                             ;   in Loop: Header=BB190_9 Depth=1
	s_or_b64 exec, exec, s[36:37]
.LBB190_45:                             ;   in Loop: Header=BB190_9 Depth=1
	s_or_b64 exec, exec, s[16:17]
	global_load_ubyte v47, v[21:22], off offset:264
	s_waitcnt vmcnt(0)
	v_cmp_ne_u16_e64 s[6:7], 0, v47
	s_and_saveexec_b64 s[16:17], s[6:7]
	s_cbranch_execz .LBB190_51
; %bb.46:                               ;   in Loop: Header=BB190_9 Depth=1
	v_cmp_ne_u16_e64 s[6:7], s43, v47
	v_bfrev_b32_e32 v45, 1
	s_and_saveexec_b64 s[36:37], s[6:7]
	s_cbranch_execz .LBB190_50
; %bb.47:                               ;   in Loop: Header=BB190_9 Depth=1
	v_and_b32_e32 v23, 0xffff, v47
	v_and_b32_e32 v48, 0x7f, v23
	v_cmp_ne_u32_e64 s[6:7], s44, v48
	v_mov_b32_e32 v45, 0x7f800001
	s_and_saveexec_b64 s[38:39], s[6:7]
	s_cbranch_execz .LBB190_49
; %bb.48:                               ;   in Loop: Header=BB190_9 Depth=1
	v_and_b32_e32 v45, 7, v23
	v_ffbh_u32_e32 v49, v45
	v_min_u32_e32 v52, 32, v49
	v_subrev_u32_e32 v49, 28, v52
	v_lshlrev_b64 v[49:50], v49, v[23:24]
	v_lshrrev_b32_e32 v51, 3, v48
	v_sub_u32_e32 v23, 29, v52
	v_and_b32_e32 v49, 7, v49
	v_cmp_gt_u32_e64 s[6:7], 8, v48
	v_cndmask_b32_e64 v23, v51, v23, s[6:7]
	v_cndmask_b32_e64 v45, v45, v49, s[6:7]
	v_lshlrev_b32_e32 v47, 24, v47
	v_lshlrev_b32_e32 v45, 20, v45
	v_and_b32_e32 v47, 0x80000000, v47
	v_lshl_add_u32 v23, v23, 23, v38
	v_or3_b32 v45, v47, v23, v45
.LBB190_49:                             ;   in Loop: Header=BB190_9 Depth=1
	s_or_b64 exec, exec, s[38:39]
.LBB190_50:                             ;   in Loop: Header=BB190_9 Depth=1
	s_or_b64 exec, exec, s[36:37]
.LBB190_51:                             ;   in Loop: Header=BB190_9 Depth=1
	s_or_b64 exec, exec, s[16:17]
	global_load_ubyte v49, v[21:22], off offset:268
	v_mov_b32_e32 v47, 0
	v_mov_b32_e32 v48, 0
	s_waitcnt vmcnt(0)
	v_cmp_ne_u16_e64 s[6:7], 0, v49
	s_and_saveexec_b64 s[16:17], s[6:7]
	s_cbranch_execz .LBB190_57
; %bb.52:                               ;   in Loop: Header=BB190_9 Depth=1
	v_cmp_ne_u16_e64 s[6:7], s43, v49
	v_bfrev_b32_e32 v48, 1
	s_and_saveexec_b64 s[36:37], s[6:7]
	s_cbranch_execz .LBB190_56
; %bb.53:                               ;   in Loop: Header=BB190_9 Depth=1
	v_and_b32_e32 v23, 0xffff, v49
	v_and_b32_e32 v50, 0x7f, v23
	v_cmp_ne_u32_e64 s[6:7], s44, v50
	v_mov_b32_e32 v48, 0x7f800001
	s_and_saveexec_b64 s[38:39], s[6:7]
	s_cbranch_execz .LBB190_55
; %bb.54:                               ;   in Loop: Header=BB190_9 Depth=1
	v_and_b32_e32 v48, 7, v23
	v_ffbh_u32_e32 v51, v48
	v_min_u32_e32 v54, 32, v51
	v_subrev_u32_e32 v51, 28, v54
	v_lshlrev_b64 v[51:52], v51, v[23:24]
	v_lshrrev_b32_e32 v53, 3, v50
	v_sub_u32_e32 v23, 29, v54
	v_and_b32_e32 v51, 7, v51
	v_cmp_gt_u32_e64 s[6:7], 8, v50
	v_cndmask_b32_e64 v23, v53, v23, s[6:7]
	v_cndmask_b32_e64 v48, v48, v51, s[6:7]
	v_lshlrev_b32_e32 v49, 24, v49
	v_lshlrev_b32_e32 v48, 20, v48
	v_and_b32_e32 v49, 0x80000000, v49
	v_lshl_add_u32 v23, v23, 23, v38
	v_or3_b32 v48, v49, v23, v48
.LBB190_55:                             ;   in Loop: Header=BB190_9 Depth=1
	s_or_b64 exec, exec, s[38:39]
.LBB190_56:                             ;   in Loop: Header=BB190_9 Depth=1
	s_or_b64 exec, exec, s[36:37]
.LBB190_57:                             ;   in Loop: Header=BB190_9 Depth=1
	s_or_b64 exec, exec, s[16:17]
	global_load_ubyte v49, v[21:22], off offset:512
	s_waitcnt vmcnt(0)
	v_cmp_ne_u16_e64 s[6:7], 0, v49
	s_and_saveexec_b64 s[16:17], s[6:7]
	s_cbranch_execz .LBB190_63
; %bb.58:                               ;   in Loop: Header=BB190_9 Depth=1
	v_cmp_ne_u16_e64 s[6:7], s43, v49
	v_bfrev_b32_e32 v47, 1
	s_and_saveexec_b64 s[36:37], s[6:7]
	s_cbranch_execz .LBB190_62
; %bb.59:                               ;   in Loop: Header=BB190_9 Depth=1
	v_and_b32_e32 v23, 0xffff, v49
	v_and_b32_e32 v50, 0x7f, v23
	v_cmp_ne_u32_e64 s[6:7], s44, v50
	v_mov_b32_e32 v47, 0x7f800001
	s_and_saveexec_b64 s[38:39], s[6:7]
	s_cbranch_execz .LBB190_61
; %bb.60:                               ;   in Loop: Header=BB190_9 Depth=1
	v_and_b32_e32 v47, 7, v23
	v_ffbh_u32_e32 v51, v47
	v_min_u32_e32 v54, 32, v51
	v_subrev_u32_e32 v51, 28, v54
	v_lshlrev_b64 v[51:52], v51, v[23:24]
	v_lshrrev_b32_e32 v53, 3, v50
	v_sub_u32_e32 v23, 29, v54
	v_and_b32_e32 v51, 7, v51
	v_cmp_gt_u32_e64 s[6:7], 8, v50
	v_cndmask_b32_e64 v23, v53, v23, s[6:7]
	v_cndmask_b32_e64 v47, v47, v51, s[6:7]
	v_lshlrev_b32_e32 v49, 24, v49
	v_lshlrev_b32_e32 v47, 20, v47
	v_and_b32_e32 v49, 0x80000000, v49
	v_lshl_add_u32 v23, v23, 23, v38
	v_or3_b32 v47, v49, v23, v47
.LBB190_61:                             ;   in Loop: Header=BB190_9 Depth=1
	s_or_b64 exec, exec, s[38:39]
.LBB190_62:                             ;   in Loop: Header=BB190_9 Depth=1
	s_or_b64 exec, exec, s[36:37]
.LBB190_63:                             ;   in Loop: Header=BB190_9 Depth=1
	s_or_b64 exec, exec, s[16:17]
	global_load_ubyte v51, v[21:22], off offset:516
	v_mov_b32_e32 v49, 0
	v_mov_b32_e32 v50, 0
	s_waitcnt vmcnt(0)
	v_cmp_ne_u16_e64 s[6:7], 0, v51
	s_and_saveexec_b64 s[16:17], s[6:7]
	s_cbranch_execz .LBB190_69
; %bb.64:                               ;   in Loop: Header=BB190_9 Depth=1
	v_cmp_ne_u16_e64 s[6:7], s43, v51
	v_bfrev_b32_e32 v50, 1
	s_and_saveexec_b64 s[36:37], s[6:7]
	s_cbranch_execz .LBB190_68
; %bb.65:                               ;   in Loop: Header=BB190_9 Depth=1
	v_and_b32_e32 v23, 0xffff, v51
	v_and_b32_e32 v52, 0x7f, v23
	v_cmp_ne_u32_e64 s[6:7], s44, v52
	v_mov_b32_e32 v50, 0x7f800001
	s_and_saveexec_b64 s[38:39], s[6:7]
	s_cbranch_execz .LBB190_67
; %bb.66:                               ;   in Loop: Header=BB190_9 Depth=1
	v_and_b32_e32 v50, 7, v23
	v_ffbh_u32_e32 v53, v50
	v_min_u32_e32 v56, 32, v53
	v_subrev_u32_e32 v53, 28, v56
	v_lshlrev_b64 v[53:54], v53, v[23:24]
	v_lshrrev_b32_e32 v55, 3, v52
	v_sub_u32_e32 v23, 29, v56
	v_and_b32_e32 v53, 7, v53
	v_cmp_gt_u32_e64 s[6:7], 8, v52
	v_cndmask_b32_e64 v23, v55, v23, s[6:7]
	v_cndmask_b32_e64 v50, v50, v53, s[6:7]
	v_lshlrev_b32_e32 v51, 24, v51
	v_lshlrev_b32_e32 v50, 20, v50
	v_and_b32_e32 v51, 0x80000000, v51
	v_lshl_add_u32 v23, v23, 23, v38
	v_or3_b32 v50, v51, v23, v50
.LBB190_67:                             ;   in Loop: Header=BB190_9 Depth=1
	s_or_b64 exec, exec, s[38:39]
.LBB190_68:                             ;   in Loop: Header=BB190_9 Depth=1
	s_or_b64 exec, exec, s[36:37]
.LBB190_69:                             ;   in Loop: Header=BB190_9 Depth=1
	s_or_b64 exec, exec, s[16:17]
	global_load_ubyte v51, v[21:22], off offset:520
	s_waitcnt vmcnt(0)
	v_cmp_ne_u16_e64 s[6:7], 0, v51
	s_and_saveexec_b64 s[16:17], s[6:7]
	s_cbranch_execz .LBB190_75
; %bb.70:                               ;   in Loop: Header=BB190_9 Depth=1
	v_cmp_ne_u16_e64 s[6:7], s43, v51
	v_bfrev_b32_e32 v49, 1
	s_and_saveexec_b64 s[36:37], s[6:7]
	s_cbranch_execz .LBB190_74
; %bb.71:                               ;   in Loop: Header=BB190_9 Depth=1
	v_and_b32_e32 v23, 0xffff, v51
	v_and_b32_e32 v52, 0x7f, v23
	v_cmp_ne_u32_e64 s[6:7], s44, v52
	v_mov_b32_e32 v49, 0x7f800001
	s_and_saveexec_b64 s[38:39], s[6:7]
	s_cbranch_execz .LBB190_73
; %bb.72:                               ;   in Loop: Header=BB190_9 Depth=1
	v_and_b32_e32 v49, 7, v23
	v_ffbh_u32_e32 v53, v49
	v_min_u32_e32 v56, 32, v53
	v_subrev_u32_e32 v53, 28, v56
	v_lshlrev_b64 v[53:54], v53, v[23:24]
	v_lshrrev_b32_e32 v55, 3, v52
	v_sub_u32_e32 v23, 29, v56
	v_and_b32_e32 v53, 7, v53
	v_cmp_gt_u32_e64 s[6:7], 8, v52
	v_cndmask_b32_e64 v23, v55, v23, s[6:7]
	v_cndmask_b32_e64 v49, v49, v53, s[6:7]
	v_lshlrev_b32_e32 v51, 24, v51
	v_lshlrev_b32_e32 v49, 20, v49
	v_and_b32_e32 v51, 0x80000000, v51
	v_lshl_add_u32 v23, v23, 23, v38
	v_or3_b32 v49, v51, v23, v49
.LBB190_73:                             ;   in Loop: Header=BB190_9 Depth=1
	s_or_b64 exec, exec, s[38:39]
.LBB190_74:                             ;   in Loop: Header=BB190_9 Depth=1
	s_or_b64 exec, exec, s[36:37]
.LBB190_75:                             ;   in Loop: Header=BB190_9 Depth=1
	s_or_b64 exec, exec, s[16:17]
	global_load_ubyte v53, v[21:22], off offset:524
	v_mov_b32_e32 v51, 0
	v_mov_b32_e32 v52, 0
	s_waitcnt vmcnt(0)
	v_cmp_ne_u16_e64 s[6:7], 0, v53
	s_and_saveexec_b64 s[16:17], s[6:7]
	s_cbranch_execz .LBB190_81
; %bb.76:                               ;   in Loop: Header=BB190_9 Depth=1
	v_cmp_ne_u16_e64 s[6:7], s43, v53
	v_bfrev_b32_e32 v52, 1
	s_and_saveexec_b64 s[36:37], s[6:7]
	s_cbranch_execz .LBB190_80
; %bb.77:                               ;   in Loop: Header=BB190_9 Depth=1
	v_and_b32_e32 v23, 0xffff, v53
	v_and_b32_e32 v54, 0x7f, v23
	v_cmp_ne_u32_e64 s[6:7], s44, v54
	v_mov_b32_e32 v52, 0x7f800001
	s_and_saveexec_b64 s[38:39], s[6:7]
	s_cbranch_execz .LBB190_79
; %bb.78:                               ;   in Loop: Header=BB190_9 Depth=1
	v_and_b32_e32 v52, 7, v23
	v_ffbh_u32_e32 v55, v52
	v_min_u32_e32 v58, 32, v55
	v_subrev_u32_e32 v55, 28, v58
	v_lshlrev_b64 v[55:56], v55, v[23:24]
	v_lshrrev_b32_e32 v57, 3, v54
	v_sub_u32_e32 v23, 29, v58
	v_and_b32_e32 v55, 7, v55
	v_cmp_gt_u32_e64 s[6:7], 8, v54
	v_cndmask_b32_e64 v23, v57, v23, s[6:7]
	v_cndmask_b32_e64 v52, v52, v55, s[6:7]
	v_lshlrev_b32_e32 v53, 24, v53
	v_lshlrev_b32_e32 v52, 20, v52
	v_and_b32_e32 v53, 0x80000000, v53
	v_lshl_add_u32 v23, v23, 23, v38
	v_or3_b32 v52, v53, v23, v52
.LBB190_79:                             ;   in Loop: Header=BB190_9 Depth=1
	s_or_b64 exec, exec, s[38:39]
.LBB190_80:                             ;   in Loop: Header=BB190_9 Depth=1
	s_or_b64 exec, exec, s[36:37]
.LBB190_81:                             ;   in Loop: Header=BB190_9 Depth=1
	s_or_b64 exec, exec, s[16:17]
	global_load_ubyte v53, v[21:22], off offset:768
	s_waitcnt vmcnt(0)
	v_cmp_ne_u16_e64 s[6:7], 0, v53
	s_and_saveexec_b64 s[16:17], s[6:7]
	s_cbranch_execz .LBB190_87
; %bb.82:                               ;   in Loop: Header=BB190_9 Depth=1
	v_cmp_ne_u16_e64 s[6:7], s43, v53
	v_bfrev_b32_e32 v51, 1
	s_and_saveexec_b64 s[36:37], s[6:7]
	s_cbranch_execz .LBB190_86
; %bb.83:                               ;   in Loop: Header=BB190_9 Depth=1
	v_and_b32_e32 v23, 0xffff, v53
	v_and_b32_e32 v54, 0x7f, v23
	v_cmp_ne_u32_e64 s[6:7], s44, v54
	v_mov_b32_e32 v51, 0x7f800001
	s_and_saveexec_b64 s[38:39], s[6:7]
	s_cbranch_execz .LBB190_85
; %bb.84:                               ;   in Loop: Header=BB190_9 Depth=1
	v_and_b32_e32 v51, 7, v23
	v_ffbh_u32_e32 v55, v51
	v_min_u32_e32 v58, 32, v55
	v_subrev_u32_e32 v55, 28, v58
	v_lshlrev_b64 v[55:56], v55, v[23:24]
	v_lshrrev_b32_e32 v57, 3, v54
	v_sub_u32_e32 v23, 29, v58
	v_and_b32_e32 v55, 7, v55
	v_cmp_gt_u32_e64 s[6:7], 8, v54
	v_cndmask_b32_e64 v23, v57, v23, s[6:7]
	v_cndmask_b32_e64 v51, v51, v55, s[6:7]
	v_lshlrev_b32_e32 v53, 24, v53
	v_lshlrev_b32_e32 v51, 20, v51
	v_and_b32_e32 v53, 0x80000000, v53
	v_lshl_add_u32 v23, v23, 23, v38
	v_or3_b32 v51, v53, v23, v51
.LBB190_85:                             ;   in Loop: Header=BB190_9 Depth=1
	s_or_b64 exec, exec, s[38:39]
.LBB190_86:                             ;   in Loop: Header=BB190_9 Depth=1
	s_or_b64 exec, exec, s[36:37]
.LBB190_87:                             ;   in Loop: Header=BB190_9 Depth=1
	s_or_b64 exec, exec, s[16:17]
	global_load_ubyte v55, v[21:22], off offset:772
	v_mov_b32_e32 v53, 0
	v_mov_b32_e32 v54, 0
	s_waitcnt vmcnt(0)
	v_cmp_ne_u16_e64 s[6:7], 0, v55
	s_and_saveexec_b64 s[16:17], s[6:7]
	s_cbranch_execz .LBB190_93
; %bb.88:                               ;   in Loop: Header=BB190_9 Depth=1
	v_cmp_ne_u16_e64 s[6:7], s43, v55
	v_bfrev_b32_e32 v54, 1
	s_and_saveexec_b64 s[36:37], s[6:7]
	s_cbranch_execz .LBB190_92
; %bb.89:                               ;   in Loop: Header=BB190_9 Depth=1
	v_and_b32_e32 v23, 0xffff, v55
	v_and_b32_e32 v56, 0x7f, v23
	v_cmp_ne_u32_e64 s[6:7], s44, v56
	v_mov_b32_e32 v54, 0x7f800001
	s_and_saveexec_b64 s[38:39], s[6:7]
	s_cbranch_execz .LBB190_91
; %bb.90:                               ;   in Loop: Header=BB190_9 Depth=1
	v_and_b32_e32 v54, 7, v23
	v_ffbh_u32_e32 v57, v54
	v_min_u32_e32 v60, 32, v57
	v_subrev_u32_e32 v57, 28, v60
	v_lshlrev_b64 v[57:58], v57, v[23:24]
	v_lshrrev_b32_e32 v59, 3, v56
	v_sub_u32_e32 v23, 29, v60
	v_and_b32_e32 v57, 7, v57
	v_cmp_gt_u32_e64 s[6:7], 8, v56
	v_cndmask_b32_e64 v23, v59, v23, s[6:7]
	v_cndmask_b32_e64 v54, v54, v57, s[6:7]
	v_lshlrev_b32_e32 v55, 24, v55
	v_lshlrev_b32_e32 v54, 20, v54
	v_and_b32_e32 v55, 0x80000000, v55
	v_lshl_add_u32 v23, v23, 23, v38
	v_or3_b32 v54, v55, v23, v54
.LBB190_91:                             ;   in Loop: Header=BB190_9 Depth=1
	s_or_b64 exec, exec, s[38:39]
.LBB190_92:                             ;   in Loop: Header=BB190_9 Depth=1
	s_or_b64 exec, exec, s[36:37]
.LBB190_93:                             ;   in Loop: Header=BB190_9 Depth=1
	s_or_b64 exec, exec, s[16:17]
	global_load_ubyte v55, v[21:22], off offset:776
	s_waitcnt vmcnt(0)
	v_cmp_ne_u16_e64 s[6:7], 0, v55
	s_and_saveexec_b64 s[16:17], s[6:7]
	s_cbranch_execz .LBB190_99
; %bb.94:                               ;   in Loop: Header=BB190_9 Depth=1
	v_cmp_ne_u16_e64 s[6:7], s43, v55
	v_bfrev_b32_e32 v53, 1
	s_and_saveexec_b64 s[36:37], s[6:7]
	s_cbranch_execz .LBB190_98
; %bb.95:                               ;   in Loop: Header=BB190_9 Depth=1
	v_and_b32_e32 v23, 0xffff, v55
	v_and_b32_e32 v56, 0x7f, v23
	v_cmp_ne_u32_e64 s[6:7], s44, v56
	v_mov_b32_e32 v53, 0x7f800001
	s_and_saveexec_b64 s[38:39], s[6:7]
	s_cbranch_execz .LBB190_97
; %bb.96:                               ;   in Loop: Header=BB190_9 Depth=1
	v_and_b32_e32 v53, 7, v23
	v_ffbh_u32_e32 v57, v53
	v_min_u32_e32 v60, 32, v57
	v_subrev_u32_e32 v57, 28, v60
	v_lshlrev_b64 v[57:58], v57, v[23:24]
	v_lshrrev_b32_e32 v59, 3, v56
	v_sub_u32_e32 v23, 29, v60
	v_and_b32_e32 v57, 7, v57
	v_cmp_gt_u32_e64 s[6:7], 8, v56
	v_cndmask_b32_e64 v23, v59, v23, s[6:7]
	v_cndmask_b32_e64 v53, v53, v57, s[6:7]
	v_lshlrev_b32_e32 v55, 24, v55
	v_lshlrev_b32_e32 v53, 20, v53
	v_and_b32_e32 v55, 0x80000000, v55
	v_lshl_add_u32 v23, v23, 23, v38
	v_or3_b32 v53, v55, v23, v53
.LBB190_97:                             ;   in Loop: Header=BB190_9 Depth=1
	s_or_b64 exec, exec, s[38:39]
.LBB190_98:                             ;   in Loop: Header=BB190_9 Depth=1
	s_or_b64 exec, exec, s[36:37]
.LBB190_99:                             ;   in Loop: Header=BB190_9 Depth=1
	s_or_b64 exec, exec, s[16:17]
	global_load_ubyte v23, v[21:22], off offset:780
	v_mov_b32_e32 v22, 0
	s_waitcnt vmcnt(0)
	v_cmp_ne_u16_e64 s[6:7], 0, v23
	s_and_saveexec_b64 s[16:17], s[6:7]
	s_cbranch_execz .LBB190_105
; %bb.100:                              ;   in Loop: Header=BB190_9 Depth=1
	v_cmp_ne_u16_e64 s[6:7], s43, v23
	v_bfrev_b32_e32 v22, 1
	s_and_saveexec_b64 s[36:37], s[6:7]
	s_cbranch_execz .LBB190_104
; %bb.101:                              ;   in Loop: Header=BB190_9 Depth=1
	v_and_b32_e32 v21, 0xffff, v23
	v_and_b32_e32 v55, 0x7f, v21
	v_cmp_ne_u32_e64 s[6:7], s44, v55
	v_mov_b32_e32 v22, 0x7f800001
	s_and_saveexec_b64 s[38:39], s[6:7]
	s_cbranch_execz .LBB190_103
; %bb.102:                              ;   in Loop: Header=BB190_9 Depth=1
	v_and_b32_e32 v56, 7, v21
	v_ffbh_u32_e32 v22, v56
	v_min_u32_e32 v58, 32, v22
	v_subrev_u32_e32 v22, 28, v58
	v_lshlrev_b64 v[21:22], v22, v[21:22]
	v_lshrrev_b32_e32 v57, 3, v55
	v_sub_u32_e32 v22, 29, v58
	v_and_b32_e32 v21, 7, v21
	v_cmp_gt_u32_e64 s[6:7], 8, v55
	v_cndmask_b32_e64 v22, v57, v22, s[6:7]
	v_cndmask_b32_e64 v21, v56, v21, s[6:7]
	v_lshlrev_b32_e32 v23, 24, v23
	v_lshlrev_b32_e32 v21, 20, v21
	v_and_b32_e32 v23, 0x80000000, v23
	v_lshl_add_u32 v22, v22, 23, v38
	v_or3_b32 v22, v23, v22, v21
.LBB190_103:                            ;   in Loop: Header=BB190_9 Depth=1
	s_or_b64 exec, exec, s[38:39]
.LBB190_104:                            ;   in Loop: Header=BB190_9 Depth=1
	s_or_b64 exec, exec, s[36:37]
.LBB190_105:                            ;   in Loop: Header=BB190_9 Depth=1
	s_or_b64 exec, exec, s[16:17]
	s_waitcnt lgkmcnt(0)
	v_mul_f32_e32 v42, s41, v42
	v_mul_f32_e32 v40, s41, v40
	;; [unrolled: 1-line block ×4, first 2 shown]
	v_fmac_f32_e32 v42, v1, v40
	v_mul_f32_e32 v44, s41, v44
	v_fmac_f32_e32 v42, v3, v41
	v_mul_f32_e32 v43, s41, v43
	;; [unrolled: 2-line block ×13, first 2 shown]
	v_fmac_f32_e32 v42, v15, v21
	v_fmac_f32_e32 v42, v16, v22
	ds_bpermute_b32 v21, v30, v42
	s_waitcnt lgkmcnt(0)
	v_add_f32_e32 v21, v42, v21
	ds_bpermute_b32 v22, v35, v21
	s_and_saveexec_b64 s[16:17], vcc
	s_cbranch_execz .LBB190_8
; %bb.106:                              ;   in Loop: Header=BB190_9 Depth=1
	v_add_u32_e32 v23, s42, v36
	v_cvt_f32_i32_e32 v23, v23
	s_waitcnt lgkmcnt(0)
	v_add_f32_e32 v21, v21, v22
	v_cmp_gt_i32_e64 s[6:7], s33, v36
	v_max_f32_e32 v22, v28, v28
	v_mul_f32_e32 v23, s10, v23
	v_cndmask_b32_e64 v23, 0, v23, s[4:5]
	v_fmac_f32_e32 v23, s11, v21
	v_cndmask_b32_e64 v21, 0, v23, s[6:7]
	ds_write_b32 v37, v21
	v_max_f32_e32 v21, v22, v23
	v_cndmask_b32_e64 v28, v28, v21, s[6:7]
	s_branch .LBB190_8
.LBB190_107:
	s_or_b64 exec, exec, s[14:15]
.LBB190_108:
	s_or_b64 exec, exec, s[34:35]
	v_xor_b32_e32 v1, 32, v33
	v_cmp_lt_i32_e32 vcc, v1, v32
	v_cndmask_b32_e32 v1, v33, v1, vcc
	v_lshlrev_b32_e32 v1, 2, v1
	ds_bpermute_b32 v2, v1, v28
	v_xor_b32_e32 v4, 16, v33
	v_max_f32_e32 v3, v28, v28
	v_cmp_lt_i32_e32 vcc, v4, v32
	v_xor_b32_e32 v5, 8, v33
	s_waitcnt lgkmcnt(0)
	v_max_f32_e32 v2, v2, v2
	v_max_f32_e32 v3, v3, v2
	v_cndmask_b32_e32 v2, v33, v4, vcc
	v_lshlrev_b32_e32 v2, 2, v2
	ds_bpermute_b32 v4, v2, v3
	v_cmp_lt_i32_e32 vcc, v5, v32
	v_xor_b32_e32 v6, 4, v33
	v_and_b32_e32 v28, 63, v0
	s_waitcnt lgkmcnt(0)
	v_max_f32_e32 v4, v4, v4
	v_max_f32_e32 v3, v3, v4
	v_cndmask_b32_e32 v4, v33, v5, vcc
	v_lshlrev_b32_e32 v5, 2, v4
	ds_bpermute_b32 v4, v5, v3
	v_cmp_lt_i32_e32 vcc, v6, v32
	s_waitcnt lgkmcnt(0)
	v_max_f32_e32 v4, v4, v4
	v_max_f32_e32 v4, v3, v4
	v_cndmask_b32_e32 v3, v33, v6, vcc
	v_lshlrev_b32_e32 v6, 2, v3
	ds_bpermute_b32 v7, v6, v4
	v_cmp_eq_u32_e32 vcc, 0, v28
	v_lshlrev_b32_e32 v3, 2, v27
	s_and_saveexec_b64 s[4:5], vcc
	s_cbranch_execz .LBB190_110
; %bb.109:
	s_waitcnt lgkmcnt(0)
	v_max_f32_e32 v7, v7, v7
	v_max_f32_e32 v4, v4, v4
	;; [unrolled: 1-line block ×3, first 2 shown]
	ds_write_b32 v3, v4 offset:256
.LBB190_110:
	s_or_b64 exec, exec, s[4:5]
	v_cmp_gt_u32_e64 s[4:5], 2, v28
	s_waitcnt lgkmcnt(0)
	v_mov_b32_e32 v7, 0xff7fffff
	v_lshlrev_b32_e32 v4, 2, v28
	s_barrier
	s_and_saveexec_b64 s[6:7], s[4:5]
; %bb.111:
	ds_read_b32 v7, v4 offset:256
; %bb.112:
	s_or_b64 exec, exec, s[6:7]
	v_xor_b32_e32 v8, 1, v33
	v_cmp_lt_i32_e64 s[6:7], v8, v32
	v_cndmask_b32_e64 v8, v33, v8, s[6:7]
	v_lshlrev_b32_e32 v30, 2, v8
	s_waitcnt lgkmcnt(0)
	ds_bpermute_b32 v8, v30, v7
	v_max_f32_e32 v7, v7, v7
	s_lshl_b32 s6, s23, 4
	s_min_i32 s34, s6, s33
	v_cmp_gt_i32_e64 s[6:7], s34, v0
	s_waitcnt lgkmcnt(0)
	v_max_f32_e32 v8, v8, v8
	v_max_f32_e32 v7, v7, v8
	v_lshlrev_b32_e32 v8, 2, v34
	ds_bpermute_b32 v8, v8, v7
	v_mov_b32_e32 v7, 0
	s_and_saveexec_b64 s[14:15], s[6:7]
	s_cbranch_execz .LBB190_116
; %bb.113:
	v_mov_b32_e32 v7, 0x110
	v_lshl_add_u32 v9, v0, 2, v7
	v_mov_b32_e32 v7, 0
	s_mov_b64 s[16:17], 0
	v_mov_b32_e32 v10, v0
.LBB190_114:                            ; =>This Inner Loop Header: Depth=1
	ds_read_b32 v11, v9
	v_add_u32_e32 v10, 0x80, v10
	v_cmp_le_i32_e64 s[10:11], s34, v10
	s_or_b64 s[16:17], s[10:11], s[16:17]
	s_waitcnt lgkmcnt(0)
	v_sub_f32_e32 v11, v11, v8
	v_mul_f32_e32 v11, 0x3fb8aa3b, v11
	v_exp_f32_e32 v11, v11
	ds_write_b32 v9, v11
	v_add_f32_e32 v7, v7, v11
	v_add_u32_e32 v9, 0x200, v9
	s_andn2_b64 exec, exec, s[16:17]
	s_cbranch_execnz .LBB190_114
; %bb.115:
	s_or_b64 exec, exec, s[16:17]
.LBB190_116:
	s_or_b64 exec, exec, s[14:15]
	ds_bpermute_b32 v1, v1, v7
	s_waitcnt lgkmcnt(0)
	v_add_f32_e32 v1, v7, v1
	ds_bpermute_b32 v2, v2, v1
	s_waitcnt lgkmcnt(0)
	v_add_f32_e32 v1, v1, v2
	ds_bpermute_b32 v2, v5, v1
	v_xor_b32_e32 v5, 2, v33
	v_cmp_lt_i32_e64 s[10:11], v5, v32
	v_cndmask_b32_e64 v5, v33, v5, s[10:11]
	v_lshlrev_b32_e32 v32, 2, v5
	s_waitcnt lgkmcnt(0)
	v_add_f32_e32 v1, v1, v2
	ds_bpermute_b32 v2, v6, v1
	s_waitcnt lgkmcnt(0)
	v_add_f32_e32 v1, v1, v2
	ds_bpermute_b32 v2, v32, v1
	;; [unrolled: 3-line block ×3, first 2 shown]
	s_waitcnt lgkmcnt(0)
	v_add_f32_e32 v1, v1, v2
	s_and_saveexec_b64 s[10:11], vcc
; %bb.117:
	ds_write_b32 v3, v1 offset:264
; %bb.118:
	s_or_b64 exec, exec, s[10:11]
	s_waitcnt lgkmcnt(0)
	s_barrier
	s_and_saveexec_b64 s[10:11], s[4:5]
; %bb.119:
	ds_read_b32 v1, v4 offset:264
; %bb.120:
	s_or_b64 exec, exec, s[10:11]
	s_waitcnt lgkmcnt(0)
	ds_bpermute_b32 v2, v30, v1
	v_lshlrev_b32_e32 v3, 2, v33
	s_waitcnt lgkmcnt(0)
	v_add_f32_e32 v1, v1, v2
	v_and_b32_e32 v2, 0xffffff00, v3
	ds_bpermute_b32 v1, v2, v1
	s_and_saveexec_b64 s[4:5], s[6:7]
	s_cbranch_execz .LBB190_123
; %bb.121:
	s_waitcnt lgkmcnt(0)
	v_add_f32_e32 v2, 0x358637bd, v1
	v_div_scale_f32 v1, s[6:7], v2, v2, 1.0
	v_div_scale_f32 v3, vcc, 1.0, v2, 1.0
	s_mov_b64 s[6:7], 0
	v_rcp_f32_e32 v4, v1
	v_fma_f32 v5, -v1, v4, 1.0
	v_fmac_f32_e32 v4, v5, v4
	v_mul_f32_e32 v5, v3, v4
	v_fma_f32 v6, -v1, v5, v3
	v_fmac_f32_e32 v5, v6, v4
	v_fma_f32 v1, -v1, v5, v3
	v_div_fmas_f32 v3, v1, v4, v5
	v_mov_b32_e32 v1, 0x110
	v_lshl_add_u32 v1, v0, 2, v1
	v_div_fixup_f32 v2, v3, v2, 1.0
	v_mov_b32_e32 v3, v0
.LBB190_122:                            ; =>This Inner Loop Header: Depth=1
	ds_read_b32 v4, v1
	v_add_u32_e32 v3, 0x80, v3
	v_cmp_le_i32_e32 vcc, s34, v3
	s_or_b64 s[6:7], vcc, s[6:7]
	s_waitcnt lgkmcnt(0)
	v_mul_f32_e32 v4, v2, v4
	ds_write_b32 v1, v4
	v_add_u32_e32 v1, 0x200, v1
	s_andn2_b64 exec, exec, s[6:7]
	s_cbranch_execnz .LBB190_122
.LBB190_123:
	s_or_b64 exec, exec, s[4:5]
	v_mov_b32_e32 v35, 0
	v_mov_b32_e32 v36, 0
	;; [unrolled: 1-line block ×4, first 2 shown]
	s_waitcnt lgkmcnt(0)
	s_barrier
	s_and_saveexec_b64 s[4:5], s[2:3]
	s_cbranch_execz .LBB190_231
; %bb.124:
	s_ashr_i32 s2, s12, 31
	s_add_u32 s3, s30, s12
	v_and_b32_e32 v2, 0xfc, v29
	v_and_b32_e32 v1, 12, v29
	s_load_dword s17, s[18:19], 0x0
	s_addc_u32 s2, s31, s2
	v_add_co_u32_e32 v7, vcc, s3, v2
	v_lshlrev_b32_e32 v2, 4, v27
	s_add_i32 s19, s23, -1
	v_mov_b32_e32 v3, s2
	v_or3_b32 v29, v2, v1, 3
	v_lshlrev_b32_e32 v1, 4, v26
	s_lshl_b64 s[2:3], s[28:29], 2
	v_lshl_or_b32 v1, v27, 6, v1
	s_add_u32 s2, s26, s2
	v_addc_co_u32_e32 v8, vcc, 0, v3, vcc
	v_add_u32_e32 v37, 0x110, v1
	v_and_b32_e32 v1, 60, v31
	s_addc_u32 s3, s27, s3
	v_mov_b32_e32 v5, 0
	v_mov_b32_e32 v2, s3
	v_add_co_u32_e32 v9, vcc, s2, v1
	s_mov_b32 s16, s13
	s_waitcnt lgkmcnt(0)
	s_mov_b32 s18, s17
	v_addc_co_u32_e32 v10, vcc, 0, v2, vcc
	s_mov_b64 s[6:7], 0
	s_movk_i32 s26, 0x80
	s_movk_i32 s27, 0x7f
	s_brev_b32 s28, 1
	s_mov_b32 s29, 0xffffff
	v_bfrev_b32_e32 v31, 60
	v_bfrev_b32_e32 v6, 1
	v_mov_b32_e32 v12, 0x7f800001
	v_mov_b32_e32 v38, 7
	;; [unrolled: 1-line block ×7, first 2 shown]
	s_branch .LBB190_126
.LBB190_125:                            ;   in Loop: Header=BB190_126 Depth=1
	s_or_b64 exec, exec, s[2:3]
	s_waitcnt lgkmcnt(0)
	v_mul_f32_e32 v16, v1, v52
	v_fmac_f32_e32 v16, v2, v51
	v_fmac_f32_e32 v16, v3, v23
	;; [unrolled: 1-line block ×3, first 2 shown]
	v_add_f32_e32 v34, v34, v16
	v_mul_f32_e32 v16, v1, v50
	v_fmac_f32_e32 v16, v2, v47
	v_fmac_f32_e32 v16, v3, v49
	;; [unrolled: 1-line block ×3, first 2 shown]
	v_add_f32_e32 v36, v36, v16
	v_mul_f32_e32 v16, v1, v43
	v_mul_f32_e32 v1, v1, v15
	v_fmac_f32_e32 v16, v2, v40
	v_fmac_f32_e32 v1, v2, v11
	v_add_u32_e32 v27, 2, v27
	v_fmac_f32_e32 v16, v3, v42
	v_fmac_f32_e32 v1, v3, v14
	v_cmp_le_i32_e32 vcc, s23, v27
	v_fmac_f32_e32 v16, v4, v41
	v_fmac_f32_e32 v1, v4, v13
	s_or_b64 s[6:7], vcc, s[6:7]
	v_add_co_u32_e32 v9, vcc, 8, v9
	v_add_f32_e32 v35, v35, v16
	v_add_f32_e32 v33, v33, v1
	v_add_u32_e32 v29, 32, v29
	v_add_u32_e32 v37, 0x80, v37
	v_addc_co_u32_e32 v10, vcc, 0, v10, vcc
	s_andn2_b64 exec, exec, s[6:7]
	s_cbranch_execz .LBB190_230
.LBB190_126:                            ; =>This Inner Loop Header: Depth=1
	global_load_dword v1, v[9:10], off
	v_mov_b32_e32 v18, 0
	v_mov_b32_e32 v16, 0
	;; [unrolled: 1-line block ×4, first 2 shown]
	s_waitcnt vmcnt(0)
	v_mad_i64_i32 v[13:14], s[2:3], v1, s16, v[7:8]
	ds_read_b128 v[1:4], v37
	global_load_dword v15, v[13:14], off
	s_waitcnt vmcnt(0)
	v_cmp_ne_u16_sdwa s[10:11], v15, v5 src0_sel:BYTE_0 src1_sel:DWORD
	s_and_saveexec_b64 s[2:3], s[10:11]
	s_cbranch_execz .LBB190_132
; %bb.127:                              ;   in Loop: Header=BB190_126 Depth=1
	v_bfrev_b32_e32 v16, 1
	v_mov_b32_e32 v17, 0
	v_cmp_ne_u16_sdwa s[12:13], v15, s26 src0_sel:BYTE_0 src1_sel:DWORD
	s_and_saveexec_b64 s[10:11], s[12:13]
	s_cbranch_execz .LBB190_131
; %bb.128:                              ;   in Loop: Header=BB190_126 Depth=1
	v_and_b32_e32 v11, 0x7f, v15
	v_mov_b32_e32 v16, 0x7f800001
	v_mov_b32_e32 v17, 0
	v_cmp_ne_u32_e32 vcc, s27, v11
	s_and_saveexec_b64 s[12:13], vcc
	s_cbranch_execz .LBB190_130
; %bb.129:                              ;   in Loop: Header=BB190_126 Depth=1
	v_and_b32_e32 v20, 7, v15
	v_ffbh_u32_e32 v16, v20
	v_min_u32_e32 v22, 32, v16
	v_subrev_u32_e32 v16, 28, v22
	v_lshlrev_b64 v[16:17], v16, v[15:16]
	v_lshrrev_b32_e32 v21, 3, v11
	v_sub_u32_e32 v17, 29, v22
	v_and_b32_e32 v16, 7, v16
	v_cmp_gt_u32_e32 vcc, 8, v11
	v_cndmask_b32_e32 v11, v21, v17, vcc
	v_cndmask_b32_e32 v16, v20, v16, vcc
	v_lshlrev_b32_e32 v16, 20, v16
	v_and_b32_sdwa v17, sext(v15), s28 dst_sel:DWORD dst_unused:UNUSED_PAD src0_sel:BYTE_0 src1_sel:DWORD
	v_lshl_add_u32 v11, v11, 23, v31
	v_or3_b32 v16, v17, v11, v16
	v_mov_b32_e32 v17, v5
.LBB190_130:                            ;   in Loop: Header=BB190_126 Depth=1
	s_or_b64 exec, exec, s[12:13]
.LBB190_131:                            ;   in Loop: Header=BB190_126 Depth=1
	s_or_b64 exec, exec, s[10:11]
.LBB190_132:                            ;   in Loop: Header=BB190_126 Depth=1
	s_or_b64 exec, exec, s[2:3]
	v_cmp_ne_u16_sdwa s[10:11], v15, v5 src0_sel:BYTE_1 src1_sel:DWORD
	s_and_saveexec_b64 s[2:3], s[10:11]
	s_cbranch_execz .LBB190_138
; %bb.133:                              ;   in Loop: Header=BB190_126 Depth=1
	v_mov_b32_e32 v19, v6
	v_cmp_ne_u16_sdwa s[12:13], v15, s26 src0_sel:BYTE_1 src1_sel:DWORD
	v_mov_b32_e32 v18, v5
	s_and_saveexec_b64 s[10:11], s[12:13]
	s_cbranch_execz .LBB190_137
; %bb.134:                              ;   in Loop: Header=BB190_126 Depth=1
	v_and_b32_sdwa v20, v15, s27 dst_sel:DWORD dst_unused:UNUSED_PAD src0_sel:BYTE_1 src1_sel:DWORD
	v_mov_b32_e32 v11, v5
	v_mov_b32_e32 v19, v12
	v_cmp_ne_u32_e32 vcc, s27, v20
	v_mov_b32_e32 v18, v11
	s_and_saveexec_b64 s[12:13], vcc
	s_cbranch_execz .LBB190_136
; %bb.135:                              ;   in Loop: Header=BB190_126 Depth=1
	v_and_b32_sdwa v18, v15, v38 dst_sel:DWORD dst_unused:UNUSED_PAD src0_sel:BYTE_1 src1_sel:DWORD
	v_ffbh_u32_e32 v21, v18
	v_min_u32_e32 v23, 32, v21
	v_mov_b32_e32 v19, v5
	v_subrev_u32_e32 v21, 28, v23
	v_lshlrev_b64 v[21:22], v21, v[18:19]
	v_lshrrev_b32_e32 v11, 3, v20
	v_sub_u32_e32 v19, 29, v23
	v_cmp_gt_u32_e32 vcc, 8, v20
	v_and_b32_e32 v21, 7, v21
	v_cndmask_b32_e32 v11, v11, v19, vcc
	v_cndmask_b32_e32 v18, v18, v21, vcc
	v_lshlrev_b32_e32 v19, 16, v15
	v_lshl_add_u32 v11, v11, 23, v31
	v_and_or_b32 v11, v19, s28, v11
	v_lshlrev_b32_e32 v18, 20, v18
	v_or_b32_e32 v19, v11, v18
	v_mov_b32_e32 v18, v5
.LBB190_136:                            ;   in Loop: Header=BB190_126 Depth=1
	s_or_b64 exec, exec, s[12:13]
.LBB190_137:                            ;   in Loop: Header=BB190_126 Depth=1
	s_or_b64 exec, exec, s[10:11]
.LBB190_138:                            ;   in Loop: Header=BB190_126 Depth=1
	s_or_b64 exec, exec, s[2:3]
	v_lshrrev_b32_e32 v11, 16, v15
	v_mov_b32_e32 v22, 0
	v_mov_b32_e32 v20, 0
	;; [unrolled: 1-line block ×4, first 2 shown]
	v_cmp_ne_u16_sdwa s[10:11], v11, v5 src0_sel:BYTE_0 src1_sel:DWORD
	s_and_saveexec_b64 s[2:3], s[10:11]
	s_cbranch_execz .LBB190_144
; %bb.139:                              ;   in Loop: Header=BB190_126 Depth=1
	v_bfrev_b32_e32 v20, 1
	v_mov_b32_e32 v21, 0
	v_cmp_ne_u16_sdwa s[12:13], v11, s26 src0_sel:BYTE_0 src1_sel:DWORD
	s_and_saveexec_b64 s[10:11], s[12:13]
	s_cbranch_execz .LBB190_143
; %bb.140:                              ;   in Loop: Header=BB190_126 Depth=1
	v_bfe_u32 v40, v15, 16, 7
	v_mov_b32_e32 v20, 0x7f800001
	v_mov_b32_e32 v21, 0
	v_cmp_ne_u32_e32 vcc, s27, v40
	s_and_saveexec_b64 s[12:13], vcc
	s_cbranch_execz .LBB190_142
; %bb.141:                              ;   in Loop: Header=BB190_126 Depth=1
	v_and_b32_e32 v41, 7, v11
	v_ffbh_u32_e32 v20, v41
	v_min_u32_e32 v43, 32, v20
	v_subrev_u32_e32 v20, 28, v43
	v_lshlrev_b64 v[20:21], v20, v[11:12]
	v_lshrrev_b32_e32 v42, 3, v40
	v_sub_u32_e32 v21, 29, v43
	v_and_b32_e32 v20, 7, v20
	v_cmp_gt_u32_e32 vcc, 8, v40
	v_cndmask_b32_e32 v21, v42, v21, vcc
	v_cndmask_b32_e32 v20, v41, v20, vcc
	v_lshlrev_b32_e32 v20, 20, v20
	v_and_b32_sdwa v11, sext(v11), s28 dst_sel:DWORD dst_unused:UNUSED_PAD src0_sel:BYTE_0 src1_sel:DWORD
	v_lshl_add_u32 v21, v21, 23, v31
	v_or3_b32 v20, v11, v21, v20
	v_mov_b32_e32 v21, v5
.LBB190_142:                            ;   in Loop: Header=BB190_126 Depth=1
	s_or_b64 exec, exec, s[12:13]
.LBB190_143:                            ;   in Loop: Header=BB190_126 Depth=1
	s_or_b64 exec, exec, s[10:11]
.LBB190_144:                            ;   in Loop: Header=BB190_126 Depth=1
	s_or_b64 exec, exec, s[2:3]
	v_cmp_lt_u32_e32 vcc, s29, v15
	s_and_saveexec_b64 s[2:3], vcc
	s_cbranch_execz .LBB190_150
; %bb.145:                              ;   in Loop: Header=BB190_126 Depth=1
	v_mov_b32_e32 v23, v6
	v_cmp_ne_u32_sdwa s[12:13], v15, s26 src0_sel:BYTE_3 src1_sel:DWORD
	v_mov_b32_e32 v22, v5
	s_and_saveexec_b64 s[10:11], s[12:13]
	s_cbranch_execz .LBB190_149
; %bb.146:                              ;   in Loop: Header=BB190_126 Depth=1
	v_bfe_u32 v40, v15, 24, 7
	v_mov_b32_e32 v11, v5
	v_mov_b32_e32 v23, v12
	v_cmp_ne_u32_e32 vcc, s27, v40
	v_mov_b32_e32 v22, v11
	s_and_saveexec_b64 s[12:13], vcc
	s_cbranch_execz .LBB190_148
; %bb.147:                              ;   in Loop: Header=BB190_126 Depth=1
	v_and_b32_sdwa v22, v15, v38 dst_sel:DWORD dst_unused:UNUSED_PAD src0_sel:BYTE_3 src1_sel:DWORD
	v_ffbh_u32_e32 v41, v22
	v_min_u32_e32 v43, 32, v41
	v_mov_b32_e32 v23, v5
	v_subrev_u32_e32 v41, 28, v43
	v_lshlrev_b64 v[41:42], v41, v[22:23]
	v_lshrrev_b32_e32 v11, 3, v40
	v_sub_u32_e32 v23, 29, v43
	v_cmp_gt_u32_e32 vcc, 8, v40
	v_and_b32_e32 v41, 7, v41
	v_cndmask_b32_e32 v11, v11, v23, vcc
	v_cndmask_b32_e32 v22, v22, v41, vcc
	v_lshlrev_b32_sdwa v15, v39, v15 dst_sel:DWORD dst_unused:UNUSED_PAD src0_sel:DWORD src1_sel:BYTE_3
	v_lshl_add_u32 v11, v11, 23, v31
	v_and_or_b32 v11, v15, s28, v11
	v_lshlrev_b32_e32 v15, 20, v22
	v_or_b32_e32 v23, v11, v15
	v_mov_b32_e32 v22, v5
.LBB190_148:                            ;   in Loop: Header=BB190_126 Depth=1
	s_or_b64 exec, exec, s[12:13]
.LBB190_149:                            ;   in Loop: Header=BB190_126 Depth=1
	s_or_b64 exec, exec, s[10:11]
.LBB190_150:                            ;   in Loop: Header=BB190_126 Depth=1
	s_or_b64 exec, exec, s[2:3]
	v_or_b32_e32 v11, v19, v17
	v_or_b32_e32 v15, v18, v16
	v_mul_f32_e32 v40, s18, v11
	v_mul_f32_e32 v43, s17, v15
	v_or_b32_e32 v11, v23, v21
	v_or_b32_e32 v15, v22, v20
	v_add_u32_e32 v44, -3, v29
	v_cmp_eq_u32_e32 vcc, s19, v27
	v_mul_f32_e32 v42, s17, v15
	v_mul_f32_e32 v41, s18, v11
	v_add_u32_e32 v46, -2, v29
	v_add_u32_e32 v45, -1, v29
	s_and_saveexec_b64 s[10:11], vcc
; %bb.151:                              ;   in Loop: Header=BB190_126 Depth=1
	v_cmp_gt_i32_e64 s[2:3], s33, v44
	v_cndmask_b32_e64 v43, 0, v43, s[2:3]
	v_cmp_gt_i32_e64 s[2:3], s33, v46
	v_cndmask_b32_e64 v40, 0, v40, s[2:3]
	;; [unrolled: 2-line block ×4, first 2 shown]
; %bb.152:                              ;   in Loop: Header=BB190_126 Depth=1
	s_or_b64 exec, exec, s[10:11]
	global_load_dword v15, v[13:14], off offset:256
	v_mov_b32_e32 v18, 0
	v_mov_b32_e32 v16, 0
	;; [unrolled: 1-line block ×4, first 2 shown]
	s_waitcnt vmcnt(0)
	v_cmp_ne_u16_sdwa s[2:3], v15, v5 src0_sel:BYTE_0 src1_sel:DWORD
	s_and_saveexec_b64 s[10:11], s[2:3]
	s_cbranch_execz .LBB190_158
; %bb.153:                              ;   in Loop: Header=BB190_126 Depth=1
	v_bfrev_b32_e32 v16, 1
	v_mov_b32_e32 v17, 0
	v_cmp_ne_u16_sdwa s[2:3], v15, s26 src0_sel:BYTE_0 src1_sel:DWORD
	s_and_saveexec_b64 s[12:13], s[2:3]
	s_cbranch_execz .LBB190_157
; %bb.154:                              ;   in Loop: Header=BB190_126 Depth=1
	v_and_b32_e32 v11, 0x7f, v15
	v_mov_b32_e32 v16, 0x7f800001
	v_mov_b32_e32 v17, 0
	v_cmp_ne_u32_e64 s[2:3], s27, v11
	s_and_saveexec_b64 s[14:15], s[2:3]
	s_cbranch_execz .LBB190_156
; %bb.155:                              ;   in Loop: Header=BB190_126 Depth=1
	v_and_b32_e32 v20, 7, v15
	v_ffbh_u32_e32 v16, v20
	v_min_u32_e32 v22, 32, v16
	v_subrev_u32_e32 v16, 28, v22
	v_lshlrev_b64 v[16:17], v16, v[15:16]
	v_lshrrev_b32_e32 v21, 3, v11
	v_sub_u32_e32 v17, 29, v22
	v_and_b32_e32 v16, 7, v16
	v_cmp_gt_u32_e64 s[2:3], 8, v11
	v_cndmask_b32_e64 v11, v21, v17, s[2:3]
	v_cndmask_b32_e64 v16, v20, v16, s[2:3]
	v_lshlrev_b32_e32 v16, 20, v16
	v_and_b32_sdwa v17, sext(v15), s28 dst_sel:DWORD dst_unused:UNUSED_PAD src0_sel:BYTE_0 src1_sel:DWORD
	v_lshl_add_u32 v11, v11, 23, v31
	v_or3_b32 v16, v17, v11, v16
	v_mov_b32_e32 v17, v5
.LBB190_156:                            ;   in Loop: Header=BB190_126 Depth=1
	s_or_b64 exec, exec, s[14:15]
.LBB190_157:                            ;   in Loop: Header=BB190_126 Depth=1
	s_or_b64 exec, exec, s[12:13]
.LBB190_158:                            ;   in Loop: Header=BB190_126 Depth=1
	s_or_b64 exec, exec, s[10:11]
	v_cmp_ne_u16_sdwa s[2:3], v15, v5 src0_sel:BYTE_1 src1_sel:DWORD
	s_and_saveexec_b64 s[10:11], s[2:3]
	s_cbranch_execz .LBB190_164
; %bb.159:                              ;   in Loop: Header=BB190_126 Depth=1
	v_mov_b32_e32 v19, v6
	v_cmp_ne_u16_sdwa s[2:3], v15, s26 src0_sel:BYTE_1 src1_sel:DWORD
	v_mov_b32_e32 v18, v5
	s_and_saveexec_b64 s[12:13], s[2:3]
	s_cbranch_execz .LBB190_163
; %bb.160:                              ;   in Loop: Header=BB190_126 Depth=1
	v_and_b32_sdwa v20, v15, s27 dst_sel:DWORD dst_unused:UNUSED_PAD src0_sel:BYTE_1 src1_sel:DWORD
	v_mov_b32_e32 v11, v5
	v_mov_b32_e32 v19, v12
	v_cmp_ne_u32_e64 s[2:3], s27, v20
	v_mov_b32_e32 v18, v11
	s_and_saveexec_b64 s[14:15], s[2:3]
	s_cbranch_execz .LBB190_162
; %bb.161:                              ;   in Loop: Header=BB190_126 Depth=1
	v_and_b32_sdwa v18, v15, v38 dst_sel:DWORD dst_unused:UNUSED_PAD src0_sel:BYTE_1 src1_sel:DWORD
	v_ffbh_u32_e32 v21, v18
	v_min_u32_e32 v23, 32, v21
	v_mov_b32_e32 v19, v5
	v_subrev_u32_e32 v21, 28, v23
	v_lshlrev_b64 v[21:22], v21, v[18:19]
	v_lshrrev_b32_e32 v11, 3, v20
	v_sub_u32_e32 v19, 29, v23
	v_cmp_gt_u32_e64 s[2:3], 8, v20
	v_and_b32_e32 v21, 7, v21
	v_cndmask_b32_e64 v11, v11, v19, s[2:3]
	v_cndmask_b32_e64 v18, v18, v21, s[2:3]
	v_lshlrev_b32_e32 v19, 16, v15
	v_lshl_add_u32 v11, v11, 23, v31
	v_and_or_b32 v11, v19, s28, v11
	v_lshlrev_b32_e32 v18, 20, v18
	v_or_b32_e32 v19, v11, v18
	v_mov_b32_e32 v18, v5
.LBB190_162:                            ;   in Loop: Header=BB190_126 Depth=1
	s_or_b64 exec, exec, s[14:15]
.LBB190_163:                            ;   in Loop: Header=BB190_126 Depth=1
	s_or_b64 exec, exec, s[12:13]
.LBB190_164:                            ;   in Loop: Header=BB190_126 Depth=1
	s_or_b64 exec, exec, s[10:11]
	v_lshrrev_b32_e32 v11, 16, v15
	v_mov_b32_e32 v22, 0
	v_mov_b32_e32 v20, 0
	;; [unrolled: 1-line block ×4, first 2 shown]
	v_cmp_ne_u16_sdwa s[2:3], v11, v5 src0_sel:BYTE_0 src1_sel:DWORD
	s_and_saveexec_b64 s[10:11], s[2:3]
	s_cbranch_execz .LBB190_170
; %bb.165:                              ;   in Loop: Header=BB190_126 Depth=1
	v_bfrev_b32_e32 v20, 1
	v_mov_b32_e32 v21, 0
	v_cmp_ne_u16_sdwa s[2:3], v11, s26 src0_sel:BYTE_0 src1_sel:DWORD
	s_and_saveexec_b64 s[12:13], s[2:3]
	s_cbranch_execz .LBB190_169
; %bb.166:                              ;   in Loop: Header=BB190_126 Depth=1
	v_bfe_u32 v47, v15, 16, 7
	v_mov_b32_e32 v20, 0x7f800001
	v_mov_b32_e32 v21, 0
	v_cmp_ne_u32_e64 s[2:3], s27, v47
	s_and_saveexec_b64 s[14:15], s[2:3]
	s_cbranch_execz .LBB190_168
; %bb.167:                              ;   in Loop: Header=BB190_126 Depth=1
	v_and_b32_e32 v48, 7, v11
	v_ffbh_u32_e32 v20, v48
	v_min_u32_e32 v50, 32, v20
	v_subrev_u32_e32 v20, 28, v50
	v_lshlrev_b64 v[20:21], v20, v[11:12]
	v_lshrrev_b32_e32 v49, 3, v47
	v_sub_u32_e32 v21, 29, v50
	v_and_b32_e32 v20, 7, v20
	v_cmp_gt_u32_e64 s[2:3], 8, v47
	v_cndmask_b32_e64 v21, v49, v21, s[2:3]
	v_cndmask_b32_e64 v20, v48, v20, s[2:3]
	v_lshlrev_b32_e32 v20, 20, v20
	v_and_b32_sdwa v11, sext(v11), s28 dst_sel:DWORD dst_unused:UNUSED_PAD src0_sel:BYTE_0 src1_sel:DWORD
	v_lshl_add_u32 v21, v21, 23, v31
	v_or3_b32 v20, v11, v21, v20
	v_mov_b32_e32 v21, v5
.LBB190_168:                            ;   in Loop: Header=BB190_126 Depth=1
	s_or_b64 exec, exec, s[14:15]
.LBB190_169:                            ;   in Loop: Header=BB190_126 Depth=1
	s_or_b64 exec, exec, s[12:13]
.LBB190_170:                            ;   in Loop: Header=BB190_126 Depth=1
	s_or_b64 exec, exec, s[10:11]
	v_cmp_lt_u32_e64 s[2:3], s29, v15
	s_and_saveexec_b64 s[10:11], s[2:3]
	s_cbranch_execz .LBB190_176
; %bb.171:                              ;   in Loop: Header=BB190_126 Depth=1
	v_mov_b32_e32 v23, v6
	v_cmp_ne_u32_sdwa s[2:3], v15, s26 src0_sel:BYTE_3 src1_sel:DWORD
	v_mov_b32_e32 v22, v5
	s_and_saveexec_b64 s[12:13], s[2:3]
	s_cbranch_execz .LBB190_175
; %bb.172:                              ;   in Loop: Header=BB190_126 Depth=1
	v_bfe_u32 v47, v15, 24, 7
	v_mov_b32_e32 v11, v5
	v_mov_b32_e32 v23, v12
	v_cmp_ne_u32_e64 s[2:3], s27, v47
	v_mov_b32_e32 v22, v11
	s_and_saveexec_b64 s[14:15], s[2:3]
	s_cbranch_execz .LBB190_174
; %bb.173:                              ;   in Loop: Header=BB190_126 Depth=1
	v_and_b32_sdwa v22, v15, v38 dst_sel:DWORD dst_unused:UNUSED_PAD src0_sel:BYTE_3 src1_sel:DWORD
	v_ffbh_u32_e32 v48, v22
	v_min_u32_e32 v50, 32, v48
	v_mov_b32_e32 v23, v5
	v_subrev_u32_e32 v48, 28, v50
	v_lshlrev_b64 v[48:49], v48, v[22:23]
	v_lshrrev_b32_e32 v11, 3, v47
	v_sub_u32_e32 v23, 29, v50
	v_cmp_gt_u32_e64 s[2:3], 8, v47
	v_and_b32_e32 v48, 7, v48
	v_cndmask_b32_e64 v11, v11, v23, s[2:3]
	v_cndmask_b32_e64 v22, v22, v48, s[2:3]
	v_lshlrev_b32_sdwa v15, v39, v15 dst_sel:DWORD dst_unused:UNUSED_PAD src0_sel:DWORD src1_sel:BYTE_3
	v_lshl_add_u32 v11, v11, 23, v31
	v_and_or_b32 v11, v15, s28, v11
	v_lshlrev_b32_e32 v15, 20, v22
	v_or_b32_e32 v23, v11, v15
	v_mov_b32_e32 v22, v5
.LBB190_174:                            ;   in Loop: Header=BB190_126 Depth=1
	s_or_b64 exec, exec, s[14:15]
.LBB190_175:                            ;   in Loop: Header=BB190_126 Depth=1
	s_or_b64 exec, exec, s[12:13]
.LBB190_176:                            ;   in Loop: Header=BB190_126 Depth=1
	s_or_b64 exec, exec, s[10:11]
	v_or_b32_e32 v11, v19, v17
	v_or_b32_e32 v15, v18, v16
	v_mul_f32_e32 v47, s18, v11
	v_mul_f32_e32 v50, s17, v15
	v_or_b32_e32 v11, v23, v21
	v_or_b32_e32 v15, v22, v20
	v_mul_f32_e32 v49, s17, v15
	v_mul_f32_e32 v48, s18, v11
	s_and_saveexec_b64 s[10:11], vcc
; %bb.177:                              ;   in Loop: Header=BB190_126 Depth=1
	v_cmp_gt_i32_e64 s[2:3], s33, v44
	v_cndmask_b32_e64 v50, 0, v50, s[2:3]
	v_cmp_gt_i32_e64 s[2:3], s33, v46
	v_cndmask_b32_e64 v47, 0, v47, s[2:3]
	;; [unrolled: 2-line block ×4, first 2 shown]
; %bb.178:                              ;   in Loop: Header=BB190_126 Depth=1
	s_or_b64 exec, exec, s[10:11]
	global_load_dword v15, v[13:14], off offset:512
	v_mov_b32_e32 v18, 0
	v_mov_b32_e32 v16, 0
	;; [unrolled: 1-line block ×4, first 2 shown]
	s_waitcnt vmcnt(0)
	v_cmp_ne_u16_sdwa s[2:3], v15, v5 src0_sel:BYTE_0 src1_sel:DWORD
	s_and_saveexec_b64 s[10:11], s[2:3]
	s_cbranch_execz .LBB190_184
; %bb.179:                              ;   in Loop: Header=BB190_126 Depth=1
	v_bfrev_b32_e32 v16, 1
	v_mov_b32_e32 v17, 0
	v_cmp_ne_u16_sdwa s[2:3], v15, s26 src0_sel:BYTE_0 src1_sel:DWORD
	s_and_saveexec_b64 s[12:13], s[2:3]
	s_cbranch_execz .LBB190_183
; %bb.180:                              ;   in Loop: Header=BB190_126 Depth=1
	v_and_b32_e32 v11, 0x7f, v15
	v_mov_b32_e32 v16, 0x7f800001
	v_mov_b32_e32 v17, 0
	v_cmp_ne_u32_e64 s[2:3], s27, v11
	s_and_saveexec_b64 s[14:15], s[2:3]
	s_cbranch_execz .LBB190_182
; %bb.181:                              ;   in Loop: Header=BB190_126 Depth=1
	v_and_b32_e32 v20, 7, v15
	v_ffbh_u32_e32 v16, v20
	v_min_u32_e32 v22, 32, v16
	v_subrev_u32_e32 v16, 28, v22
	v_lshlrev_b64 v[16:17], v16, v[15:16]
	v_lshrrev_b32_e32 v21, 3, v11
	v_sub_u32_e32 v17, 29, v22
	v_and_b32_e32 v16, 7, v16
	v_cmp_gt_u32_e64 s[2:3], 8, v11
	v_cndmask_b32_e64 v11, v21, v17, s[2:3]
	v_cndmask_b32_e64 v16, v20, v16, s[2:3]
	v_lshlrev_b32_e32 v16, 20, v16
	v_and_b32_sdwa v17, sext(v15), s28 dst_sel:DWORD dst_unused:UNUSED_PAD src0_sel:BYTE_0 src1_sel:DWORD
	v_lshl_add_u32 v11, v11, 23, v31
	v_or3_b32 v16, v17, v11, v16
	v_mov_b32_e32 v17, v5
.LBB190_182:                            ;   in Loop: Header=BB190_126 Depth=1
	s_or_b64 exec, exec, s[14:15]
.LBB190_183:                            ;   in Loop: Header=BB190_126 Depth=1
	s_or_b64 exec, exec, s[12:13]
.LBB190_184:                            ;   in Loop: Header=BB190_126 Depth=1
	s_or_b64 exec, exec, s[10:11]
	v_cmp_ne_u16_sdwa s[2:3], v15, v5 src0_sel:BYTE_1 src1_sel:DWORD
	s_and_saveexec_b64 s[10:11], s[2:3]
	s_cbranch_execz .LBB190_190
; %bb.185:                              ;   in Loop: Header=BB190_126 Depth=1
	v_mov_b32_e32 v19, v6
	v_cmp_ne_u16_sdwa s[2:3], v15, s26 src0_sel:BYTE_1 src1_sel:DWORD
	v_mov_b32_e32 v18, v5
	s_and_saveexec_b64 s[12:13], s[2:3]
	s_cbranch_execz .LBB190_189
; %bb.186:                              ;   in Loop: Header=BB190_126 Depth=1
	v_and_b32_sdwa v20, v15, s27 dst_sel:DWORD dst_unused:UNUSED_PAD src0_sel:BYTE_1 src1_sel:DWORD
	v_mov_b32_e32 v11, v5
	v_mov_b32_e32 v19, v12
	v_cmp_ne_u32_e64 s[2:3], s27, v20
	v_mov_b32_e32 v18, v11
	s_and_saveexec_b64 s[14:15], s[2:3]
	s_cbranch_execz .LBB190_188
; %bb.187:                              ;   in Loop: Header=BB190_126 Depth=1
	v_and_b32_sdwa v18, v15, v38 dst_sel:DWORD dst_unused:UNUSED_PAD src0_sel:BYTE_1 src1_sel:DWORD
	v_ffbh_u32_e32 v21, v18
	v_min_u32_e32 v23, 32, v21
	v_mov_b32_e32 v19, v5
	v_subrev_u32_e32 v21, 28, v23
	v_lshlrev_b64 v[21:22], v21, v[18:19]
	v_lshrrev_b32_e32 v11, 3, v20
	v_sub_u32_e32 v19, 29, v23
	v_cmp_gt_u32_e64 s[2:3], 8, v20
	v_and_b32_e32 v21, 7, v21
	v_cndmask_b32_e64 v11, v11, v19, s[2:3]
	v_cndmask_b32_e64 v18, v18, v21, s[2:3]
	v_lshlrev_b32_e32 v19, 16, v15
	v_lshl_add_u32 v11, v11, 23, v31
	v_and_or_b32 v11, v19, s28, v11
	v_lshlrev_b32_e32 v18, 20, v18
	v_or_b32_e32 v19, v11, v18
	v_mov_b32_e32 v18, v5
.LBB190_188:                            ;   in Loop: Header=BB190_126 Depth=1
	s_or_b64 exec, exec, s[14:15]
.LBB190_189:                            ;   in Loop: Header=BB190_126 Depth=1
	s_or_b64 exec, exec, s[12:13]
.LBB190_190:                            ;   in Loop: Header=BB190_126 Depth=1
	s_or_b64 exec, exec, s[10:11]
	v_lshrrev_b32_e32 v11, 16, v15
	v_mov_b32_e32 v22, 0
	v_mov_b32_e32 v20, 0
	;; [unrolled: 1-line block ×4, first 2 shown]
	v_cmp_ne_u16_sdwa s[2:3], v11, v5 src0_sel:BYTE_0 src1_sel:DWORD
	s_and_saveexec_b64 s[10:11], s[2:3]
	s_cbranch_execz .LBB190_196
; %bb.191:                              ;   in Loop: Header=BB190_126 Depth=1
	v_bfrev_b32_e32 v20, 1
	v_mov_b32_e32 v21, 0
	v_cmp_ne_u16_sdwa s[2:3], v11, s26 src0_sel:BYTE_0 src1_sel:DWORD
	s_and_saveexec_b64 s[12:13], s[2:3]
	s_cbranch_execz .LBB190_195
; %bb.192:                              ;   in Loop: Header=BB190_126 Depth=1
	v_bfe_u32 v51, v15, 16, 7
	v_mov_b32_e32 v20, 0x7f800001
	v_mov_b32_e32 v21, 0
	v_cmp_ne_u32_e64 s[2:3], s27, v51
	s_and_saveexec_b64 s[14:15], s[2:3]
	s_cbranch_execz .LBB190_194
; %bb.193:                              ;   in Loop: Header=BB190_126 Depth=1
	v_and_b32_e32 v52, 7, v11
	v_ffbh_u32_e32 v20, v52
	v_min_u32_e32 v54, 32, v20
	v_subrev_u32_e32 v20, 28, v54
	v_lshlrev_b64 v[20:21], v20, v[11:12]
	v_lshrrev_b32_e32 v53, 3, v51
	v_sub_u32_e32 v21, 29, v54
	v_and_b32_e32 v20, 7, v20
	v_cmp_gt_u32_e64 s[2:3], 8, v51
	v_cndmask_b32_e64 v21, v53, v21, s[2:3]
	v_cndmask_b32_e64 v20, v52, v20, s[2:3]
	v_lshlrev_b32_e32 v20, 20, v20
	v_and_b32_sdwa v11, sext(v11), s28 dst_sel:DWORD dst_unused:UNUSED_PAD src0_sel:BYTE_0 src1_sel:DWORD
	v_lshl_add_u32 v21, v21, 23, v31
	v_or3_b32 v20, v11, v21, v20
	v_mov_b32_e32 v21, v5
.LBB190_194:                            ;   in Loop: Header=BB190_126 Depth=1
	s_or_b64 exec, exec, s[14:15]
.LBB190_195:                            ;   in Loop: Header=BB190_126 Depth=1
	s_or_b64 exec, exec, s[12:13]
.LBB190_196:                            ;   in Loop: Header=BB190_126 Depth=1
	s_or_b64 exec, exec, s[10:11]
	v_cmp_lt_u32_e64 s[2:3], s29, v15
	s_and_saveexec_b64 s[10:11], s[2:3]
	s_cbranch_execz .LBB190_202
; %bb.197:                              ;   in Loop: Header=BB190_126 Depth=1
	v_mov_b32_e32 v23, v6
	v_cmp_ne_u32_sdwa s[2:3], v15, s26 src0_sel:BYTE_3 src1_sel:DWORD
	v_mov_b32_e32 v22, v5
	s_and_saveexec_b64 s[12:13], s[2:3]
	s_cbranch_execz .LBB190_201
; %bb.198:                              ;   in Loop: Header=BB190_126 Depth=1
	v_bfe_u32 v51, v15, 24, 7
	v_mov_b32_e32 v11, v5
	v_mov_b32_e32 v23, v12
	v_cmp_ne_u32_e64 s[2:3], s27, v51
	v_mov_b32_e32 v22, v11
	s_and_saveexec_b64 s[14:15], s[2:3]
	s_cbranch_execz .LBB190_200
; %bb.199:                              ;   in Loop: Header=BB190_126 Depth=1
	v_and_b32_sdwa v22, v15, v38 dst_sel:DWORD dst_unused:UNUSED_PAD src0_sel:BYTE_3 src1_sel:DWORD
	v_ffbh_u32_e32 v52, v22
	v_min_u32_e32 v54, 32, v52
	v_mov_b32_e32 v23, v5
	v_subrev_u32_e32 v52, 28, v54
	v_lshlrev_b64 v[52:53], v52, v[22:23]
	v_lshrrev_b32_e32 v11, 3, v51
	v_sub_u32_e32 v23, 29, v54
	v_cmp_gt_u32_e64 s[2:3], 8, v51
	v_and_b32_e32 v52, 7, v52
	v_cndmask_b32_e64 v11, v11, v23, s[2:3]
	v_cndmask_b32_e64 v22, v22, v52, s[2:3]
	v_lshlrev_b32_sdwa v15, v39, v15 dst_sel:DWORD dst_unused:UNUSED_PAD src0_sel:DWORD src1_sel:BYTE_3
	v_lshl_add_u32 v11, v11, 23, v31
	v_and_or_b32 v11, v15, s28, v11
	v_lshlrev_b32_e32 v15, 20, v22
	v_or_b32_e32 v23, v11, v15
	v_mov_b32_e32 v22, v5
.LBB190_200:                            ;   in Loop: Header=BB190_126 Depth=1
	s_or_b64 exec, exec, s[14:15]
.LBB190_201:                            ;   in Loop: Header=BB190_126 Depth=1
	s_or_b64 exec, exec, s[12:13]
.LBB190_202:                            ;   in Loop: Header=BB190_126 Depth=1
	s_or_b64 exec, exec, s[10:11]
	v_or_b32_e32 v11, v19, v17
	v_or_b32_e32 v15, v18, v16
	v_mul_f32_e32 v51, s18, v11
	v_mul_f32_e32 v52, s17, v15
	v_or_b32_e32 v11, v23, v21
	v_or_b32_e32 v15, v22, v20
	v_mul_f32_e32 v23, s17, v15
	v_mul_f32_e32 v22, s18, v11
	s_and_saveexec_b64 s[10:11], vcc
; %bb.203:                              ;   in Loop: Header=BB190_126 Depth=1
	v_cmp_gt_i32_e64 s[2:3], s33, v44
	v_cndmask_b32_e64 v52, 0, v52, s[2:3]
	v_cmp_gt_i32_e64 s[2:3], s33, v46
	v_cndmask_b32_e64 v51, 0, v51, s[2:3]
	;; [unrolled: 2-line block ×4, first 2 shown]
; %bb.204:                              ;   in Loop: Header=BB190_126 Depth=1
	s_or_b64 exec, exec, s[10:11]
	global_load_dword v13, v[13:14], off offset:768
	v_mov_b32_e32 v16, 0
	v_mov_b32_e32 v14, 0
	;; [unrolled: 1-line block ×4, first 2 shown]
	s_waitcnt vmcnt(0)
	v_cmp_ne_u16_sdwa s[2:3], v13, v5 src0_sel:BYTE_0 src1_sel:DWORD
	s_and_saveexec_b64 s[10:11], s[2:3]
	s_cbranch_execz .LBB190_210
; %bb.205:                              ;   in Loop: Header=BB190_126 Depth=1
	v_bfrev_b32_e32 v14, 1
	v_mov_b32_e32 v15, 0
	v_cmp_ne_u16_sdwa s[2:3], v13, s26 src0_sel:BYTE_0 src1_sel:DWORD
	s_and_saveexec_b64 s[12:13], s[2:3]
	s_cbranch_execz .LBB190_209
; %bb.206:                              ;   in Loop: Header=BB190_126 Depth=1
	v_and_b32_e32 v11, 0x7f, v13
	v_mov_b32_e32 v14, 0x7f800001
	v_mov_b32_e32 v15, 0
	v_cmp_ne_u32_e64 s[2:3], s27, v11
	s_and_saveexec_b64 s[14:15], s[2:3]
	s_cbranch_execz .LBB190_208
; %bb.207:                              ;   in Loop: Header=BB190_126 Depth=1
	v_and_b32_e32 v18, 7, v13
	v_ffbh_u32_e32 v14, v18
	v_min_u32_e32 v20, 32, v14
	v_subrev_u32_e32 v14, 28, v20
	v_lshlrev_b64 v[14:15], v14, v[13:14]
	v_lshrrev_b32_e32 v19, 3, v11
	v_sub_u32_e32 v15, 29, v20
	v_and_b32_e32 v14, 7, v14
	v_cmp_gt_u32_e64 s[2:3], 8, v11
	v_cndmask_b32_e64 v11, v19, v15, s[2:3]
	v_cndmask_b32_e64 v14, v18, v14, s[2:3]
	v_lshlrev_b32_e32 v14, 20, v14
	v_and_b32_sdwa v15, sext(v13), s28 dst_sel:DWORD dst_unused:UNUSED_PAD src0_sel:BYTE_0 src1_sel:DWORD
	v_lshl_add_u32 v11, v11, 23, v31
	v_or3_b32 v14, v15, v11, v14
	v_mov_b32_e32 v15, v5
.LBB190_208:                            ;   in Loop: Header=BB190_126 Depth=1
	s_or_b64 exec, exec, s[14:15]
.LBB190_209:                            ;   in Loop: Header=BB190_126 Depth=1
	s_or_b64 exec, exec, s[12:13]
.LBB190_210:                            ;   in Loop: Header=BB190_126 Depth=1
	s_or_b64 exec, exec, s[10:11]
	v_cmp_ne_u16_sdwa s[2:3], v13, v5 src0_sel:BYTE_1 src1_sel:DWORD
	s_and_saveexec_b64 s[10:11], s[2:3]
	s_cbranch_execz .LBB190_216
; %bb.211:                              ;   in Loop: Header=BB190_126 Depth=1
	v_mov_b32_e32 v17, v6
	v_cmp_ne_u16_sdwa s[2:3], v13, s26 src0_sel:BYTE_1 src1_sel:DWORD
	v_mov_b32_e32 v16, v5
	s_and_saveexec_b64 s[12:13], s[2:3]
	s_cbranch_execz .LBB190_215
; %bb.212:                              ;   in Loop: Header=BB190_126 Depth=1
	v_and_b32_sdwa v18, v13, s27 dst_sel:DWORD dst_unused:UNUSED_PAD src0_sel:BYTE_1 src1_sel:DWORD
	v_mov_b32_e32 v11, v5
	v_mov_b32_e32 v17, v12
	v_cmp_ne_u32_e64 s[2:3], s27, v18
	v_mov_b32_e32 v16, v11
	s_and_saveexec_b64 s[14:15], s[2:3]
	s_cbranch_execz .LBB190_214
; %bb.213:                              ;   in Loop: Header=BB190_126 Depth=1
	v_and_b32_sdwa v16, v13, v38 dst_sel:DWORD dst_unused:UNUSED_PAD src0_sel:BYTE_1 src1_sel:DWORD
	v_ffbh_u32_e32 v19, v16
	v_min_u32_e32 v21, 32, v19
	v_mov_b32_e32 v17, v5
	v_subrev_u32_e32 v19, 28, v21
	v_lshlrev_b64 v[19:20], v19, v[16:17]
	v_lshrrev_b32_e32 v11, 3, v18
	v_sub_u32_e32 v17, 29, v21
	v_cmp_gt_u32_e64 s[2:3], 8, v18
	v_and_b32_e32 v19, 7, v19
	v_cndmask_b32_e64 v11, v11, v17, s[2:3]
	v_cndmask_b32_e64 v16, v16, v19, s[2:3]
	v_lshlrev_b32_e32 v17, 16, v13
	v_lshl_add_u32 v11, v11, 23, v31
	v_and_or_b32 v11, v17, s28, v11
	v_lshlrev_b32_e32 v16, 20, v16
	v_or_b32_e32 v17, v11, v16
	v_mov_b32_e32 v16, v5
.LBB190_214:                            ;   in Loop: Header=BB190_126 Depth=1
	s_or_b64 exec, exec, s[14:15]
.LBB190_215:                            ;   in Loop: Header=BB190_126 Depth=1
	s_or_b64 exec, exec, s[12:13]
.LBB190_216:                            ;   in Loop: Header=BB190_126 Depth=1
	s_or_b64 exec, exec, s[10:11]
	v_lshrrev_b32_e32 v11, 16, v13
	v_mov_b32_e32 v20, 0
	v_mov_b32_e32 v18, 0
	;; [unrolled: 1-line block ×4, first 2 shown]
	v_cmp_ne_u16_sdwa s[2:3], v11, v5 src0_sel:BYTE_0 src1_sel:DWORD
	s_and_saveexec_b64 s[10:11], s[2:3]
	s_cbranch_execz .LBB190_222
; %bb.217:                              ;   in Loop: Header=BB190_126 Depth=1
	v_bfrev_b32_e32 v18, 1
	v_mov_b32_e32 v19, 0
	v_cmp_ne_u16_sdwa s[2:3], v11, s26 src0_sel:BYTE_0 src1_sel:DWORD
	s_and_saveexec_b64 s[12:13], s[2:3]
	s_cbranch_execz .LBB190_221
; %bb.218:                              ;   in Loop: Header=BB190_126 Depth=1
	v_bfe_u32 v53, v13, 16, 7
	v_mov_b32_e32 v18, 0x7f800001
	v_mov_b32_e32 v19, 0
	v_cmp_ne_u32_e64 s[2:3], s27, v53
	s_and_saveexec_b64 s[14:15], s[2:3]
	s_cbranch_execz .LBB190_220
; %bb.219:                              ;   in Loop: Header=BB190_126 Depth=1
	v_and_b32_e32 v54, 7, v11
	v_ffbh_u32_e32 v18, v54
	v_min_u32_e32 v56, 32, v18
	v_subrev_u32_e32 v18, 28, v56
	v_lshlrev_b64 v[18:19], v18, v[11:12]
	v_lshrrev_b32_e32 v55, 3, v53
	v_sub_u32_e32 v19, 29, v56
	v_and_b32_e32 v18, 7, v18
	v_cmp_gt_u32_e64 s[2:3], 8, v53
	v_cndmask_b32_e64 v19, v55, v19, s[2:3]
	v_cndmask_b32_e64 v18, v54, v18, s[2:3]
	v_lshlrev_b32_e32 v18, 20, v18
	v_and_b32_sdwa v11, sext(v11), s28 dst_sel:DWORD dst_unused:UNUSED_PAD src0_sel:BYTE_0 src1_sel:DWORD
	v_lshl_add_u32 v19, v19, 23, v31
	v_or3_b32 v18, v11, v19, v18
	v_mov_b32_e32 v19, v5
.LBB190_220:                            ;   in Loop: Header=BB190_126 Depth=1
	s_or_b64 exec, exec, s[14:15]
.LBB190_221:                            ;   in Loop: Header=BB190_126 Depth=1
	s_or_b64 exec, exec, s[12:13]
.LBB190_222:                            ;   in Loop: Header=BB190_126 Depth=1
	s_or_b64 exec, exec, s[10:11]
	v_cmp_lt_u32_e64 s[2:3], s29, v13
	s_and_saveexec_b64 s[10:11], s[2:3]
	s_cbranch_execz .LBB190_228
; %bb.223:                              ;   in Loop: Header=BB190_126 Depth=1
	v_mov_b32_e32 v21, v6
	v_cmp_ne_u32_sdwa s[2:3], v13, s26 src0_sel:BYTE_3 src1_sel:DWORD
	v_mov_b32_e32 v20, v5
	s_and_saveexec_b64 s[12:13], s[2:3]
	s_cbranch_execz .LBB190_227
; %bb.224:                              ;   in Loop: Header=BB190_126 Depth=1
	v_bfe_u32 v53, v13, 24, 7
	v_mov_b32_e32 v11, v5
	v_mov_b32_e32 v21, v12
	v_cmp_ne_u32_e64 s[2:3], s27, v53
	v_mov_b32_e32 v20, v11
	s_and_saveexec_b64 s[14:15], s[2:3]
	s_cbranch_execz .LBB190_226
; %bb.225:                              ;   in Loop: Header=BB190_126 Depth=1
	v_and_b32_sdwa v20, v13, v38 dst_sel:DWORD dst_unused:UNUSED_PAD src0_sel:BYTE_3 src1_sel:DWORD
	v_ffbh_u32_e32 v54, v20
	v_min_u32_e32 v56, 32, v54
	v_mov_b32_e32 v21, v5
	v_subrev_u32_e32 v54, 28, v56
	v_lshlrev_b64 v[54:55], v54, v[20:21]
	v_lshrrev_b32_e32 v11, 3, v53
	v_sub_u32_e32 v21, 29, v56
	v_cmp_gt_u32_e64 s[2:3], 8, v53
	v_and_b32_e32 v54, 7, v54
	v_cndmask_b32_e64 v11, v11, v21, s[2:3]
	v_cndmask_b32_e64 v20, v20, v54, s[2:3]
	v_lshlrev_b32_sdwa v13, v39, v13 dst_sel:DWORD dst_unused:UNUSED_PAD src0_sel:DWORD src1_sel:BYTE_3
	v_lshl_add_u32 v11, v11, 23, v31
	v_and_or_b32 v11, v13, s28, v11
	v_lshlrev_b32_e32 v13, 20, v20
	v_or_b32_e32 v21, v11, v13
	v_mov_b32_e32 v20, v5
.LBB190_226:                            ;   in Loop: Header=BB190_126 Depth=1
	s_or_b64 exec, exec, s[14:15]
.LBB190_227:                            ;   in Loop: Header=BB190_126 Depth=1
	s_or_b64 exec, exec, s[12:13]
.LBB190_228:                            ;   in Loop: Header=BB190_126 Depth=1
	s_or_b64 exec, exec, s[10:11]
	v_or_b32_e32 v13, v16, v14
	v_or_b32_e32 v11, v17, v15
	v_mul_f32_e32 v15, s17, v13
	v_or_b32_e32 v13, v21, v19
	v_or_b32_e32 v14, v20, v18
	v_mul_f32_e32 v11, s18, v11
	v_mul_f32_e32 v14, s17, v14
	v_mul_f32_e32 v13, s18, v13
	s_and_saveexec_b64 s[2:3], vcc
	s_cbranch_execz .LBB190_125
; %bb.229:                              ;   in Loop: Header=BB190_126 Depth=1
	v_cmp_gt_i32_e32 vcc, s33, v44
	v_cndmask_b32_e32 v15, 0, v15, vcc
	v_cmp_gt_i32_e32 vcc, s33, v46
	v_cndmask_b32_e32 v11, 0, v11, vcc
	;; [unrolled: 2-line block ×4, first 2 shown]
	s_branch .LBB190_125
.LBB190_230:
	s_or_b64 exec, exec, s[6:7]
.LBB190_231:
	s_or_b64 exec, exec, s[4:5]
	ds_bpermute_b32 v1, v32, v35
	ds_bpermute_b32 v2, v32, v36
	;; [unrolled: 1-line block ×4, first 2 shown]
	v_and_b32_e32 v0, 0x3c3, v0
	s_waitcnt lgkmcnt(3)
	v_add_f32_e32 v1, v35, v1
	s_waitcnt lgkmcnt(2)
	v_add_f32_e32 v2, v36, v2
	;; [unrolled: 2-line block ×4, first 2 shown]
	ds_bpermute_b32 v5, v30, v1
	ds_bpermute_b32 v6, v30, v2
	;; [unrolled: 1-line block ×4, first 2 shown]
	v_cmp_eq_u32_e32 vcc, 64, v0
	s_waitcnt lgkmcnt(3)
	v_add_f32_e32 v1, v1, v5
	s_waitcnt lgkmcnt(2)
	v_add_f32_e32 v2, v2, v6
	;; [unrolled: 2-line block ×4, first 2 shown]
	s_barrier
	s_and_saveexec_b64 s[2:3], vcc
	s_cbranch_execz .LBB190_233
; %bb.232:
	v_add_u32_e32 v5, 0x110, v28
	ds_write2_b32 v5, v1, v2 offset1:16
	ds_write2_b32 v5, v3, v4 offset0:32 offset1:48
.LBB190_233:
	s_or_b64 exec, exec, s[2:3]
	s_waitcnt lgkmcnt(0)
	s_barrier
	s_and_saveexec_b64 s[2:3], s[0:1]
	s_cbranch_execz .LBB190_240
; %bb.234:
	v_mov_b32_e32 v5, 0x110
	v_cmp_eq_u32_e32 vcc, 0, v26
	v_lshl_add_u32 v5, v25, 2, v5
	s_and_saveexec_b64 s[0:1], vcc
	s_cbranch_execnz .LBB190_243
; %bb.235:
	s_or_b64 exec, exec, s[0:1]
	s_and_saveexec_b64 s[0:1], vcc
	s_cbranch_execnz .LBB190_244
.LBB190_236:
	s_or_b64 exec, exec, s[0:1]
	s_and_saveexec_b64 s[0:1], vcc
	s_cbranch_execnz .LBB190_245
.LBB190_237:
	s_or_b64 exec, exec, s[0:1]
	s_and_saveexec_b64 s[0:1], vcc
	s_cbranch_execz .LBB190_239
.LBB190_238:
	ds_read_b32 v5, v5 offset:192
	s_waitcnt lgkmcnt(0)
	v_add_f32_e32 v4, v4, v5
.LBB190_239:
	s_or_b64 exec, exec, s[0:1]
.LBB190_240:
	s_or_b64 exec, exec, s[2:3]
	v_cmp_eq_u32_e32 vcc, 0, v0
	s_barrier
	s_and_saveexec_b64 s[0:1], vcc
	s_cbranch_execz .LBB190_242
; %bb.241:
	s_mul_i32 s0, s20, s21
	s_mul_i32 s0, s0, s9
	s_lshl_b32 s0, s0, 6
	s_ashr_i32 s1, s0, 31
	s_lshl_b64 s[0:1], s[0:1], 2
	s_add_u32 s2, s24, s0
	s_mul_i32 s0, s21, s22
	s_addc_u32 s3, s25, s1
	s_ashr_i32 s1, s0, 31
	s_lshl_b64 s[0:1], s[0:1], 2
	s_add_u32 s2, s2, s0
	s_addc_u32 s3, s3, s1
	s_lshl_b32 s0, s8, 6
	s_ashr_i32 s1, s0, 31
	s_lshl_b64 s[0:1], s[0:1], 2
	s_add_u32 s0, s2, s0
	s_addc_u32 s1, s3, s1
	global_store_dword v24, v1, s[0:1]
	global_store_dword v24, v2, s[0:1] offset:64
	global_store_dword v24, v3, s[0:1] offset:128
	;; [unrolled: 1-line block ×3, first 2 shown]
.LBB190_242:
	s_endpgm
.LBB190_243:
	ds_read_b32 v6, v5
	s_waitcnt lgkmcnt(0)
	v_add_f32_e32 v1, v1, v6
	s_or_b64 exec, exec, s[0:1]
	s_and_saveexec_b64 s[0:1], vcc
	s_cbranch_execz .LBB190_236
.LBB190_244:
	ds_read_b32 v6, v5 offset:64
	s_waitcnt lgkmcnt(0)
	v_add_f32_e32 v2, v2, v6
	s_or_b64 exec, exec, s[0:1]
	s_and_saveexec_b64 s[0:1], vcc
	s_cbranch_execz .LBB190_237
.LBB190_245:
	ds_read_b32 v6, v5 offset:128
	s_waitcnt lgkmcnt(0)
	v_add_f32_e32 v3, v3, v6
	s_or_b64 exec, exec, s[0:1]
	s_and_saveexec_b64 s[0:1], vcc
	s_cbranch_execnz .LBB190_238
	s_branch .LBB190_239
	.section	.rodata,"a",@progbits
	.p2align	6, 0x0
	.amdhsa_kernel _ZN4vllm25paged_attention_v1_kernelIfhLi64ELi16ELi128ELNS_18Fp8KVCacheDataTypeE1ELb0EEEvPT_PKS2_PKT0_S8_ifPKiSA_iPKfiiiSC_SC_iiiii
		.amdhsa_group_segment_fixed_size 272
		.amdhsa_private_segment_fixed_size 0
		.amdhsa_kernarg_size 384
		.amdhsa_user_sgpr_count 6
		.amdhsa_user_sgpr_private_segment_buffer 1
		.amdhsa_user_sgpr_dispatch_ptr 0
		.amdhsa_user_sgpr_queue_ptr 0
		.amdhsa_user_sgpr_kernarg_segment_ptr 1
		.amdhsa_user_sgpr_dispatch_id 0
		.amdhsa_user_sgpr_flat_scratch_init 0
		.amdhsa_user_sgpr_private_segment_size 0
		.amdhsa_uses_dynamic_stack 0
		.amdhsa_system_sgpr_private_segment_wavefront_offset 0
		.amdhsa_system_sgpr_workgroup_id_x 1
		.amdhsa_system_sgpr_workgroup_id_y 1
		.amdhsa_system_sgpr_workgroup_id_z 1
		.amdhsa_system_sgpr_workgroup_info 0
		.amdhsa_system_vgpr_workitem_id 0
		.amdhsa_next_free_vgpr 61
		.amdhsa_next_free_sgpr 45
		.amdhsa_reserve_vcc 1
		.amdhsa_reserve_flat_scratch 0
		.amdhsa_float_round_mode_32 0
		.amdhsa_float_round_mode_16_64 0
		.amdhsa_float_denorm_mode_32 3
		.amdhsa_float_denorm_mode_16_64 3
		.amdhsa_dx10_clamp 1
		.amdhsa_ieee_mode 1
		.amdhsa_fp16_overflow 0
		.amdhsa_exception_fp_ieee_invalid_op 0
		.amdhsa_exception_fp_denorm_src 0
		.amdhsa_exception_fp_ieee_div_zero 0
		.amdhsa_exception_fp_ieee_overflow 0
		.amdhsa_exception_fp_ieee_underflow 0
		.amdhsa_exception_fp_ieee_inexact 0
		.amdhsa_exception_int_div_zero 0
	.end_amdhsa_kernel
	.section	.text._ZN4vllm25paged_attention_v1_kernelIfhLi64ELi16ELi128ELNS_18Fp8KVCacheDataTypeE1ELb0EEEvPT_PKS2_PKT0_S8_ifPKiSA_iPKfiiiSC_SC_iiiii,"axG",@progbits,_ZN4vllm25paged_attention_v1_kernelIfhLi64ELi16ELi128ELNS_18Fp8KVCacheDataTypeE1ELb0EEEvPT_PKS2_PKT0_S8_ifPKiSA_iPKfiiiSC_SC_iiiii,comdat
.Lfunc_end190:
	.size	_ZN4vllm25paged_attention_v1_kernelIfhLi64ELi16ELi128ELNS_18Fp8KVCacheDataTypeE1ELb0EEEvPT_PKS2_PKT0_S8_ifPKiSA_iPKfiiiSC_SC_iiiii, .Lfunc_end190-_ZN4vllm25paged_attention_v1_kernelIfhLi64ELi16ELi128ELNS_18Fp8KVCacheDataTypeE1ELb0EEEvPT_PKS2_PKT0_S8_ifPKiSA_iPKfiiiSC_SC_iiiii
                                        ; -- End function
	.set _ZN4vllm25paged_attention_v1_kernelIfhLi64ELi16ELi128ELNS_18Fp8KVCacheDataTypeE1ELb0EEEvPT_PKS2_PKT0_S8_ifPKiSA_iPKfiiiSC_SC_iiiii.num_vgpr, 61
	.set _ZN4vllm25paged_attention_v1_kernelIfhLi64ELi16ELi128ELNS_18Fp8KVCacheDataTypeE1ELb0EEEvPT_PKS2_PKT0_S8_ifPKiSA_iPKfiiiSC_SC_iiiii.num_agpr, 0
	.set _ZN4vllm25paged_attention_v1_kernelIfhLi64ELi16ELi128ELNS_18Fp8KVCacheDataTypeE1ELb0EEEvPT_PKS2_PKT0_S8_ifPKiSA_iPKfiiiSC_SC_iiiii.numbered_sgpr, 45
	.set _ZN4vllm25paged_attention_v1_kernelIfhLi64ELi16ELi128ELNS_18Fp8KVCacheDataTypeE1ELb0EEEvPT_PKS2_PKT0_S8_ifPKiSA_iPKfiiiSC_SC_iiiii.num_named_barrier, 0
	.set _ZN4vllm25paged_attention_v1_kernelIfhLi64ELi16ELi128ELNS_18Fp8KVCacheDataTypeE1ELb0EEEvPT_PKS2_PKT0_S8_ifPKiSA_iPKfiiiSC_SC_iiiii.private_seg_size, 0
	.set _ZN4vllm25paged_attention_v1_kernelIfhLi64ELi16ELi128ELNS_18Fp8KVCacheDataTypeE1ELb0EEEvPT_PKS2_PKT0_S8_ifPKiSA_iPKfiiiSC_SC_iiiii.uses_vcc, 1
	.set _ZN4vllm25paged_attention_v1_kernelIfhLi64ELi16ELi128ELNS_18Fp8KVCacheDataTypeE1ELb0EEEvPT_PKS2_PKT0_S8_ifPKiSA_iPKfiiiSC_SC_iiiii.uses_flat_scratch, 0
	.set _ZN4vllm25paged_attention_v1_kernelIfhLi64ELi16ELi128ELNS_18Fp8KVCacheDataTypeE1ELb0EEEvPT_PKS2_PKT0_S8_ifPKiSA_iPKfiiiSC_SC_iiiii.has_dyn_sized_stack, 0
	.set _ZN4vllm25paged_attention_v1_kernelIfhLi64ELi16ELi128ELNS_18Fp8KVCacheDataTypeE1ELb0EEEvPT_PKS2_PKT0_S8_ifPKiSA_iPKfiiiSC_SC_iiiii.has_recursion, 0
	.set _ZN4vllm25paged_attention_v1_kernelIfhLi64ELi16ELi128ELNS_18Fp8KVCacheDataTypeE1ELb0EEEvPT_PKS2_PKT0_S8_ifPKiSA_iPKfiiiSC_SC_iiiii.has_indirect_call, 0
	.section	.AMDGPU.csdata,"",@progbits
; Kernel info:
; codeLenInByte = 9520
; TotalNumSgprs: 49
; NumVgprs: 61
; ScratchSize: 0
; MemoryBound: 0
; FloatMode: 240
; IeeeMode: 1
; LDSByteSize: 272 bytes/workgroup (compile time only)
; SGPRBlocks: 6
; VGPRBlocks: 15
; NumSGPRsForWavesPerEU: 49
; NumVGPRsForWavesPerEU: 61
; Occupancy: 4
; WaveLimiterHint : 1
; COMPUTE_PGM_RSRC2:SCRATCH_EN: 0
; COMPUTE_PGM_RSRC2:USER_SGPR: 6
; COMPUTE_PGM_RSRC2:TRAP_HANDLER: 0
; COMPUTE_PGM_RSRC2:TGID_X_EN: 1
; COMPUTE_PGM_RSRC2:TGID_Y_EN: 1
; COMPUTE_PGM_RSRC2:TGID_Z_EN: 1
; COMPUTE_PGM_RSRC2:TIDIG_COMP_CNT: 0
	.section	.text._ZN4vllm25paged_attention_v1_kernelIfhLi80ELi16ELi128ELNS_18Fp8KVCacheDataTypeE1ELb0EEEvPT_PKS2_PKT0_S8_ifPKiSA_iPKfiiiSC_SC_iiiii,"axG",@progbits,_ZN4vllm25paged_attention_v1_kernelIfhLi80ELi16ELi128ELNS_18Fp8KVCacheDataTypeE1ELb0EEEvPT_PKS2_PKT0_S8_ifPKiSA_iPKfiiiSC_SC_iiiii,comdat
	.protected	_ZN4vllm25paged_attention_v1_kernelIfhLi80ELi16ELi128ELNS_18Fp8KVCacheDataTypeE1ELb0EEEvPT_PKS2_PKT0_S8_ifPKiSA_iPKfiiiSC_SC_iiiii ; -- Begin function _ZN4vllm25paged_attention_v1_kernelIfhLi80ELi16ELi128ELNS_18Fp8KVCacheDataTypeE1ELb0EEEvPT_PKS2_PKT0_S8_ifPKiSA_iPKfiiiSC_SC_iiiii
	.globl	_ZN4vllm25paged_attention_v1_kernelIfhLi80ELi16ELi128ELNS_18Fp8KVCacheDataTypeE1ELb0EEEvPT_PKS2_PKT0_S8_ifPKiSA_iPKfiiiSC_SC_iiiii
	.p2align	8
	.type	_ZN4vllm25paged_attention_v1_kernelIfhLi80ELi16ELi128ELNS_18Fp8KVCacheDataTypeE1ELb0EEEvPT_PKS2_PKT0_S8_ifPKiSA_iPKfiiiSC_SC_iiiii,@function
_ZN4vllm25paged_attention_v1_kernelIfhLi80ELi16ELi128ELNS_18Fp8KVCacheDataTypeE1ELb0EEEvPT_PKS2_PKT0_S8_ifPKiSA_iPKfiiiSC_SC_iiiii: ; @_ZN4vllm25paged_attention_v1_kernelIfhLi80ELi16ELi128ELNS_18Fp8KVCacheDataTypeE1ELb0EEEvPT_PKS2_PKT0_S8_ifPKiSA_iPKfiiiSC_SC_iiiii
; %bb.0:
	s_mov_b64 s[46:47], s[2:3]
	s_mov_b64 s[44:45], s[0:1]
	s_add_u32 s44, s44, s9
	s_load_dword s9, s[4:5], 0x80
	s_load_dwordx2 s[0:1], s[4:5], 0x30
	s_load_dwordx2 s[30:31], s[4:5], 0x20
	s_addc_u32 s45, s45, 0
	s_mov_b32 s10, s7
	s_ashr_i32 s11, s7, 31
	s_lshl_b64 s[2:3], s[10:11], 2
	s_waitcnt lgkmcnt(0)
	s_add_u32 s0, s0, s2
	s_addc_u32 s1, s1, s3
	s_abs_i32 s2, s30
	v_cvt_f32_u32_e32 v1, s2
	s_sub_i32 s11, 0, s2
	s_abs_i32 s7, s9
	s_xor_b32 s3, s9, s30
	v_rcp_iflag_f32_e32 v1, v1
	s_ashr_i32 s3, s3, 31
	s_mov_b32 s33, 0
	v_mul_f32_e32 v1, 0x4f7ffffe, v1
	v_cvt_u32_f32_e32 v1, v1
	v_readfirstlane_b32 s12, v1
	s_mul_i32 s11, s11, s12
	s_mul_hi_u32 s11, s12, s11
	s_add_i32 s12, s12, s11
	s_mul_hi_u32 s11, s7, s12
	s_mul_i32 s12, s11, s2
	s_sub_i32 s7, s7, s12
	s_add_i32 s12, s11, 1
	s_sub_i32 s13, s7, s2
	s_cmp_ge_u32 s7, s2
	s_cselect_b32 s11, s12, s11
	s_cselect_b32 s7, s13, s7
	s_add_i32 s12, s11, 1
	s_cmp_ge_u32 s7, s2
	s_cselect_b32 s2, s12, s11
	s_xor_b32 s2, s2, s3
	s_sub_i32 s12, s2, s3
	s_abs_i32 s11, s12
	v_cvt_f32_u32_e32 v1, s11
	s_load_dwordx2 s[2:3], s[4:5], 0x40
	s_sub_i32 s7, 0, s11
	s_abs_i32 s16, s6
	v_rcp_iflag_f32_e32 v1, v1
	v_mul_f32_e32 v1, 0x4f7ffffe, v1
	v_cvt_u32_f32_e32 v1, v1
	v_readfirstlane_b32 s13, v1
	s_mul_i32 s7, s7, s13
	s_mul_hi_u32 s7, s13, s7
	s_add_i32 s13, s13, s7
	s_waitcnt lgkmcnt(0)
	s_cmp_eq_u64 s[2:3], 0
	s_mul_hi_u32 s17, s16, s13
	s_cbranch_scc1 .LBB191_2
; %bb.1:
	s_ashr_i32 s7, s6, 31
	s_lshl_b64 s[14:15], s[6:7], 2
	s_add_u32 s2, s2, s14
	s_addc_u32 s3, s3, s15
	s_load_dword s33, s[2:3], 0x0
.LBB191_2:
	s_load_dword s30, s[0:1], 0x0
	s_ashr_i32 s3, s12, 31
	s_load_dwordx4 s[12:15], s[4:5], 0x48
	v_lshrrev_b32_e32 v1, 2, v0
	s_movk_i32 s7, 0x50
	s_ashr_i32 s2, s6, 31
	v_and_b32_e32 v30, 3, v0
	s_mul_i32 s20, s6, 0x50
	v_cmp_gt_u32_e32 vcc, s7, v0
	v_lshlrev_b32_e32 v12, 2, v0
	v_lshlrev_b32_e32 v3, 2, v1
	buffer_store_dword v1, off, s[44:47], 0 offset:4 ; 4-byte Folded Spill
	s_and_saveexec_b64 s[0:1], vcc
	s_cbranch_execz .LBB191_4
; %bb.3:
	s_load_dwordx2 s[18:19], s[4:5], 0x8
	s_waitcnt lgkmcnt(0)
	s_mul_i32 s22, s12, s10
	s_ashr_i32 s23, s22, 31
	s_lshl_b64 s[22:23], s[22:23], 2
	v_mad_u32_u24 v2, v30, s7, v3
	s_add_u32 s6, s18, s22
	s_addc_u32 s12, s19, s23
	s_ashr_i32 s21, s20, 31
	s_lshl_b64 s[18:19], s[20:21], 2
	s_add_u32 s18, s6, s18
	s_addc_u32 s19, s12, s19
	global_load_dword v1, v12, s[18:19]
	s_waitcnt vmcnt(0)
	ds_write_b32 v2, v1
.LBB191_4:
	s_or_b64 exec, exec, s[0:1]
	s_waitcnt lgkmcnt(0)
	s_add_i32 s1, s30, 15
	s_ashr_i32 s6, s1, 31
	s_lshr_b32 s6, s6, 28
	s_add_i32 s1, s1, s6
	s_ashr_i32 s21, s1, 4
	s_xor_b32 s1, s2, s3
	s_mul_i32 s2, s17, s11
	s_sub_i32 s2, s16, s2
	s_add_i32 s3, s17, 1
	s_sub_i32 s6, s2, s11
	s_load_dwordx2 s[24:25], s[4:5], 0x28
	s_load_dword s0, s[4:5], 0x38
	s_cmp_ge_u32 s2, s11
	s_cselect_b32 s3, s3, s17
	s_cselect_b32 s2, s6, s2
	s_add_i32 s6, s3, 1
	s_cmp_ge_u32 s2, s11
	s_cselect_b32 s2, s6, s3
	v_lshrrev_b32_e32 v31, 6, v0
	s_xor_b32 s2, s2, s1
	s_waitcnt lgkmcnt(0)
	s_mul_i32 s26, s0, s10
	s_sub_i32 s12, s2, s1
	s_ashr_i32 s27, s26, 31
	v_cmp_gt_i32_e64 s[0:1], s21, v31
	v_cmp_le_i32_e32 vcc, s21, v31
	v_mbcnt_lo_u32_b32 v1, -1, 0
	s_waitcnt vmcnt(0)
	s_barrier
                                        ; implicit-def: $vgpr34
                                        ; implicit-def: $vgpr36
                                        ; implicit-def: $vgpr35
	s_and_saveexec_b64 s[2:3], vcc
	s_xor_b64 s[2:3], exec, s[2:3]
; %bb.5:
	v_mbcnt_hi_u32_b32 v34, -1, v1
	v_and_b32_e32 v36, 64, v34
	v_add_u32_e32 v35, 64, v36
                                        ; implicit-def: $vgpr1
; %bb.6:
	s_or_saveexec_b64 s[6:7], s[2:3]
	buffer_store_dword v3, off, s[44:47], 0 ; 4-byte Folded Spill
	s_load_dwordx2 s[22:23], s[4:5], 0x0
	s_load_dwordx2 s[28:29], s[4:5], 0x18
	s_load_dword s11, s[4:5], 0x88
	s_load_dwordx4 s[16:19], s[4:5], 0x58
	v_mov_b32_e32 v37, 0xff7fffff
	s_mul_i32 s12, s12, s14
	v_lshrrev_b32_e32 v13, 4, v0
	s_xor_b64 exec, exec, s[6:7]
	s_cbranch_execz .LBB191_132
; %bb.7:
	s_load_dwordx2 s[2:3], s[4:5], 0x10
	s_ashr_i32 s4, s12, 31
	v_bfe_u32 v2, v0, 2, 4
	v_lshlrev_b32_e32 v3, 4, v2
	v_mbcnt_hi_u32_b32 v34, -1, v1
	s_waitcnt lgkmcnt(0)
	s_add_u32 s2, s2, s12
	s_addc_u32 s3, s3, s4
	v_mov_b32_e32 v4, s3
	v_add_co_u32_e32 v3, vcc, s2, v3
	v_and_b32_e32 v36, 64, v34
	v_addc_co_u32_e32 v4, vcc, 0, v4, vcc
	v_add_u32_e32 v35, 64, v36
	v_xor_b32_e32 v1, 2, v34
	v_cmp_lt_i32_e32 vcc, v1, v35
	v_cndmask_b32_e32 v1, v34, v1, vcc
	v_lshlrev_b32_e32 v38, 2, v1
	v_xor_b32_e32 v1, 1, v34
	v_cmp_lt_i32_e32 vcc, v1, v35
	v_add_co_u32_e64 v21, s[4:5], v3, v30
	v_cndmask_b32_e32 v1, v34, v1, vcc
	v_addc_co_u32_e64 v22, s[4:5], 0, v4, s[4:5]
	v_lshlrev_b32_e32 v39, 2, v1
	s_sub_i32 s40, 1, s30
	v_lshlrev_b32_e32 v1, 2, v2
	s_lshl_b64 s[4:5], s[26:27], 2
	v_lshl_or_b32 v1, v31, 6, v1
	s_add_u32 s4, s24, s4
	v_add_u32_e32 v41, 0x150, v1
	v_and_b32_e32 v1, 60, v13
	s_addc_u32 s5, s25, s5
	v_mul_u32_u24_e32 v17, 0x50, v30
	v_lshl_or_b32 v40, v31, 4, v2
	v_mov_b32_e32 v2, s5
	v_add_co_u32_e64 v23, s[4:5], s4, v1
	s_load_dword s39, s[16:17], 0x0
	v_addc_co_u32_e64 v24, s[4:5], 0, v2, s[4:5]
	ds_read_b128 v[1:4], v17
	ds_read_b128 v[5:8], v17 offset:16
	ds_read_b128 v[9:12], v17 offset:32
	;; [unrolled: 1-line block ×4, first 2 shown]
	s_mov_b32 s38, s13
	v_cmp_eq_u32_e32 vcc, 0, v30
	v_cmp_neq_f32_e64 s[2:3], s33, 0
	v_mov_b32_e32 v37, 0xff7fffff
	s_mov_b64 s[14:15], 0
	s_movk_i32 s41, 0x80
	s_movk_i32 s42, 0x7f
	v_bfrev_b32_e32 v42, 60
	v_mov_b32_e32 v43, v31
	s_branch .LBB191_9
.LBB191_8:                              ;   in Loop: Header=BB191_9 Depth=1
	s_or_b64 exec, exec, s[16:17]
	v_add_u32_e32 v43, 2, v43
	v_cmp_le_i32_e64 s[4:5], s21, v43
	s_or_b64 s[14:15], s[4:5], s[14:15]
	v_add_co_u32_e64 v23, s[4:5], 8, v23
	v_add_u32_e32 v40, 32, v40
	v_add_u32_e32 v41, 0x80, v41
	v_addc_co_u32_e64 v24, s[4:5], 0, v24, s[4:5]
	s_andn2_b64 exec, exec, s[14:15]
	s_cbranch_execz .LBB191_131
.LBB191_9:                              ; =>This Inner Loop Header: Depth=1
	global_load_dword v25, v[23:24], off
	v_mov_b32_e32 v44, 0
	s_waitcnt vmcnt(0) lgkmcnt(0)
	v_mad_i64_i32 v[25:26], s[4:5], v25, s38, v[21:22]
	global_load_ubyte v45, v[25:26], off
	s_waitcnt vmcnt(0)
	v_cmp_ne_u16_e64 s[4:5], 0, v45
	s_and_saveexec_b64 s[16:17], s[4:5]
	s_cbranch_execz .LBB191_15
; %bb.10:                               ;   in Loop: Header=BB191_9 Depth=1
	v_cmp_ne_u16_e64 s[4:5], s41, v45
	v_bfrev_b32_e32 v44, 1
	s_and_saveexec_b64 s[34:35], s[4:5]
	s_cbranch_execz .LBB191_14
; %bb.11:                               ;   in Loop: Header=BB191_9 Depth=1
	v_and_b32_e32 v27, 0xffff, v45
	v_and_b32_e32 v46, 0x7f, v27
	v_cmp_ne_u32_e64 s[4:5], s42, v46
	v_mov_b32_e32 v44, 0x7f800001
	s_and_saveexec_b64 s[36:37], s[4:5]
	s_cbranch_execz .LBB191_13
; %bb.12:                               ;   in Loop: Header=BB191_9 Depth=1
	v_and_b32_e32 v32, 7, v27
	v_ffbh_u32_e32 v44, v32
	v_min_u32_e32 v44, 32, v44
	v_subrev_u32_e32 v47, 28, v44
	v_lshlrev_b64 v[47:48], v47, v[27:28]
	v_lshrrev_b32_e32 v33, 3, v46
	v_sub_u32_e32 v27, 29, v44
	v_and_b32_e32 v44, 7, v47
	v_cmp_gt_u32_e64 s[4:5], 8, v46
	v_cndmask_b32_e64 v27, v33, v27, s[4:5]
	v_cndmask_b32_e64 v32, v32, v44, s[4:5]
	v_lshlrev_b32_e32 v33, 24, v45
	v_lshlrev_b32_e32 v32, 20, v32
	v_and_b32_e32 v33, 0x80000000, v33
	v_lshl_add_u32 v27, v27, 23, v42
	v_or3_b32 v44, v33, v27, v32
.LBB191_13:                             ;   in Loop: Header=BB191_9 Depth=1
	s_or_b64 exec, exec, s[36:37]
.LBB191_14:                             ;   in Loop: Header=BB191_9 Depth=1
	s_or_b64 exec, exec, s[34:35]
.LBB191_15:                             ;   in Loop: Header=BB191_9 Depth=1
	s_or_b64 exec, exec, s[16:17]
	global_load_ubyte v47, v[25:26], off offset:4
	v_mov_b32_e32 v45, 0
	v_mov_b32_e32 v46, 0
	s_waitcnt vmcnt(0)
	v_cmp_ne_u16_e64 s[4:5], 0, v47
	s_and_saveexec_b64 s[16:17], s[4:5]
	s_cbranch_execz .LBB191_21
; %bb.16:                               ;   in Loop: Header=BB191_9 Depth=1
	v_cmp_ne_u16_e64 s[4:5], s41, v47
	v_bfrev_b32_e32 v46, 1
	s_and_saveexec_b64 s[34:35], s[4:5]
	s_cbranch_execz .LBB191_20
; %bb.17:                               ;   in Loop: Header=BB191_9 Depth=1
	v_and_b32_e32 v27, 0xffff, v47
	v_and_b32_e32 v48, 0x7f, v27
	v_cmp_ne_u32_e64 s[4:5], s42, v48
	v_mov_b32_e32 v46, 0x7f800001
	s_and_saveexec_b64 s[36:37], s[4:5]
	s_cbranch_execz .LBB191_19
; %bb.18:                               ;   in Loop: Header=BB191_9 Depth=1
	v_and_b32_e32 v32, 7, v27
	v_ffbh_u32_e32 v46, v32
	v_min_u32_e32 v46, 32, v46
	v_subrev_u32_e32 v49, 28, v46
	v_lshlrev_b64 v[49:50], v49, v[27:28]
	v_lshrrev_b32_e32 v33, 3, v48
	v_sub_u32_e32 v27, 29, v46
	v_and_b32_e32 v46, 7, v49
	v_cmp_gt_u32_e64 s[4:5], 8, v48
	v_cndmask_b32_e64 v27, v33, v27, s[4:5]
	v_cndmask_b32_e64 v32, v32, v46, s[4:5]
	v_lshlrev_b32_e32 v33, 24, v47
	v_lshlrev_b32_e32 v32, 20, v32
	v_and_b32_e32 v33, 0x80000000, v33
	v_lshl_add_u32 v27, v27, 23, v42
	v_or3_b32 v46, v33, v27, v32
.LBB191_19:                             ;   in Loop: Header=BB191_9 Depth=1
	s_or_b64 exec, exec, s[36:37]
.LBB191_20:                             ;   in Loop: Header=BB191_9 Depth=1
	s_or_b64 exec, exec, s[34:35]
.LBB191_21:                             ;   in Loop: Header=BB191_9 Depth=1
	s_or_b64 exec, exec, s[16:17]
	global_load_ubyte v47, v[25:26], off offset:8
	s_waitcnt vmcnt(0)
	v_cmp_ne_u16_e64 s[4:5], 0, v47
	s_and_saveexec_b64 s[16:17], s[4:5]
	s_cbranch_execz .LBB191_27
; %bb.22:                               ;   in Loop: Header=BB191_9 Depth=1
	v_cmp_ne_u16_e64 s[4:5], s41, v47
	v_bfrev_b32_e32 v45, 1
	s_and_saveexec_b64 s[34:35], s[4:5]
	s_cbranch_execz .LBB191_26
; %bb.23:                               ;   in Loop: Header=BB191_9 Depth=1
	v_and_b32_e32 v27, 0xffff, v47
	v_and_b32_e32 v48, 0x7f, v27
	v_cmp_ne_u32_e64 s[4:5], s42, v48
	v_mov_b32_e32 v45, 0x7f800001
	s_and_saveexec_b64 s[36:37], s[4:5]
	s_cbranch_execz .LBB191_25
; %bb.24:                               ;   in Loop: Header=BB191_9 Depth=1
	v_and_b32_e32 v32, 7, v27
	v_ffbh_u32_e32 v45, v32
	v_min_u32_e32 v45, 32, v45
	v_subrev_u32_e32 v49, 28, v45
	v_lshlrev_b64 v[49:50], v49, v[27:28]
	v_lshrrev_b32_e32 v33, 3, v48
	v_sub_u32_e32 v27, 29, v45
	v_and_b32_e32 v45, 7, v49
	v_cmp_gt_u32_e64 s[4:5], 8, v48
	v_cndmask_b32_e64 v27, v33, v27, s[4:5]
	v_cndmask_b32_e64 v32, v32, v45, s[4:5]
	v_lshlrev_b32_e32 v33, 24, v47
	v_lshlrev_b32_e32 v32, 20, v32
	v_and_b32_e32 v33, 0x80000000, v33
	v_lshl_add_u32 v27, v27, 23, v42
	v_or3_b32 v45, v33, v27, v32
.LBB191_25:                             ;   in Loop: Header=BB191_9 Depth=1
	s_or_b64 exec, exec, s[36:37]
.LBB191_26:                             ;   in Loop: Header=BB191_9 Depth=1
	s_or_b64 exec, exec, s[34:35]
.LBB191_27:                             ;   in Loop: Header=BB191_9 Depth=1
	s_or_b64 exec, exec, s[16:17]
	global_load_ubyte v49, v[25:26], off offset:12
	v_mov_b32_e32 v47, 0
	v_mov_b32_e32 v48, 0
	s_waitcnt vmcnt(0)
	v_cmp_ne_u16_e64 s[4:5], 0, v49
	s_and_saveexec_b64 s[16:17], s[4:5]
	s_cbranch_execz .LBB191_33
; %bb.28:                               ;   in Loop: Header=BB191_9 Depth=1
	v_cmp_ne_u16_e64 s[4:5], s41, v49
	v_bfrev_b32_e32 v48, 1
	s_and_saveexec_b64 s[34:35], s[4:5]
	s_cbranch_execz .LBB191_32
; %bb.29:                               ;   in Loop: Header=BB191_9 Depth=1
	v_and_b32_e32 v27, 0xffff, v49
	v_and_b32_e32 v50, 0x7f, v27
	v_cmp_ne_u32_e64 s[4:5], s42, v50
	v_mov_b32_e32 v48, 0x7f800001
	s_and_saveexec_b64 s[36:37], s[4:5]
	s_cbranch_execz .LBB191_31
; %bb.30:                               ;   in Loop: Header=BB191_9 Depth=1
	v_and_b32_e32 v32, 7, v27
	v_ffbh_u32_e32 v48, v32
	v_min_u32_e32 v48, 32, v48
	v_subrev_u32_e32 v51, 28, v48
	v_lshlrev_b64 v[51:52], v51, v[27:28]
	v_lshrrev_b32_e32 v33, 3, v50
	v_sub_u32_e32 v27, 29, v48
	v_and_b32_e32 v48, 7, v51
	v_cmp_gt_u32_e64 s[4:5], 8, v50
	v_cndmask_b32_e64 v27, v33, v27, s[4:5]
	v_cndmask_b32_e64 v32, v32, v48, s[4:5]
	v_lshlrev_b32_e32 v33, 24, v49
	v_lshlrev_b32_e32 v32, 20, v32
	v_and_b32_e32 v33, 0x80000000, v33
	v_lshl_add_u32 v27, v27, 23, v42
	v_or3_b32 v48, v33, v27, v32
.LBB191_31:                             ;   in Loop: Header=BB191_9 Depth=1
	s_or_b64 exec, exec, s[36:37]
.LBB191_32:                             ;   in Loop: Header=BB191_9 Depth=1
	s_or_b64 exec, exec, s[34:35]
.LBB191_33:                             ;   in Loop: Header=BB191_9 Depth=1
	s_or_b64 exec, exec, s[16:17]
	global_load_ubyte v49, v[25:26], off offset:256
	s_waitcnt vmcnt(0)
	v_cmp_ne_u16_e64 s[4:5], 0, v49
	s_and_saveexec_b64 s[16:17], s[4:5]
	s_cbranch_execz .LBB191_39
; %bb.34:                               ;   in Loop: Header=BB191_9 Depth=1
	v_cmp_ne_u16_e64 s[4:5], s41, v49
	v_bfrev_b32_e32 v47, 1
	s_and_saveexec_b64 s[34:35], s[4:5]
	s_cbranch_execz .LBB191_38
; %bb.35:                               ;   in Loop: Header=BB191_9 Depth=1
	v_and_b32_e32 v27, 0xffff, v49
	v_and_b32_e32 v50, 0x7f, v27
	v_cmp_ne_u32_e64 s[4:5], s42, v50
	v_mov_b32_e32 v47, 0x7f800001
	s_and_saveexec_b64 s[36:37], s[4:5]
	s_cbranch_execz .LBB191_37
; %bb.36:                               ;   in Loop: Header=BB191_9 Depth=1
	v_and_b32_e32 v32, 7, v27
	v_ffbh_u32_e32 v47, v32
	v_min_u32_e32 v47, 32, v47
	v_subrev_u32_e32 v51, 28, v47
	v_lshlrev_b64 v[51:52], v51, v[27:28]
	v_lshrrev_b32_e32 v33, 3, v50
	v_sub_u32_e32 v27, 29, v47
	v_and_b32_e32 v47, 7, v51
	v_cmp_gt_u32_e64 s[4:5], 8, v50
	v_cndmask_b32_e64 v27, v33, v27, s[4:5]
	v_cndmask_b32_e64 v32, v32, v47, s[4:5]
	v_lshlrev_b32_e32 v33, 24, v49
	v_lshlrev_b32_e32 v32, 20, v32
	v_and_b32_e32 v33, 0x80000000, v33
	v_lshl_add_u32 v27, v27, 23, v42
	v_or3_b32 v47, v33, v27, v32
.LBB191_37:                             ;   in Loop: Header=BB191_9 Depth=1
	s_or_b64 exec, exec, s[36:37]
.LBB191_38:                             ;   in Loop: Header=BB191_9 Depth=1
	s_or_b64 exec, exec, s[34:35]
.LBB191_39:                             ;   in Loop: Header=BB191_9 Depth=1
	s_or_b64 exec, exec, s[16:17]
	global_load_ubyte v51, v[25:26], off offset:260
	v_mov_b32_e32 v49, 0
	v_mov_b32_e32 v50, 0
	s_waitcnt vmcnt(0)
	v_cmp_ne_u16_e64 s[4:5], 0, v51
	s_and_saveexec_b64 s[16:17], s[4:5]
	s_cbranch_execz .LBB191_45
; %bb.40:                               ;   in Loop: Header=BB191_9 Depth=1
	v_cmp_ne_u16_e64 s[4:5], s41, v51
	v_bfrev_b32_e32 v50, 1
	s_and_saveexec_b64 s[34:35], s[4:5]
	s_cbranch_execz .LBB191_44
; %bb.41:                               ;   in Loop: Header=BB191_9 Depth=1
	v_and_b32_e32 v27, 0xffff, v51
	v_and_b32_e32 v52, 0x7f, v27
	v_cmp_ne_u32_e64 s[4:5], s42, v52
	v_mov_b32_e32 v50, 0x7f800001
	s_and_saveexec_b64 s[36:37], s[4:5]
	s_cbranch_execz .LBB191_43
; %bb.42:                               ;   in Loop: Header=BB191_9 Depth=1
	v_and_b32_e32 v32, 7, v27
	v_ffbh_u32_e32 v50, v32
	v_min_u32_e32 v50, 32, v50
	v_subrev_u32_e32 v53, 28, v50
	v_lshlrev_b64 v[53:54], v53, v[27:28]
	v_lshrrev_b32_e32 v33, 3, v52
	v_sub_u32_e32 v27, 29, v50
	v_and_b32_e32 v50, 7, v53
	v_cmp_gt_u32_e64 s[4:5], 8, v52
	v_cndmask_b32_e64 v27, v33, v27, s[4:5]
	v_cndmask_b32_e64 v32, v32, v50, s[4:5]
	v_lshlrev_b32_e32 v33, 24, v51
	v_lshlrev_b32_e32 v32, 20, v32
	v_and_b32_e32 v33, 0x80000000, v33
	v_lshl_add_u32 v27, v27, 23, v42
	v_or3_b32 v50, v33, v27, v32
.LBB191_43:                             ;   in Loop: Header=BB191_9 Depth=1
	s_or_b64 exec, exec, s[36:37]
.LBB191_44:                             ;   in Loop: Header=BB191_9 Depth=1
	s_or_b64 exec, exec, s[34:35]
.LBB191_45:                             ;   in Loop: Header=BB191_9 Depth=1
	s_or_b64 exec, exec, s[16:17]
	global_load_ubyte v51, v[25:26], off offset:264
	s_waitcnt vmcnt(0)
	v_cmp_ne_u16_e64 s[4:5], 0, v51
	s_and_saveexec_b64 s[16:17], s[4:5]
	s_cbranch_execz .LBB191_51
; %bb.46:                               ;   in Loop: Header=BB191_9 Depth=1
	v_cmp_ne_u16_e64 s[4:5], s41, v51
	v_bfrev_b32_e32 v49, 1
	s_and_saveexec_b64 s[34:35], s[4:5]
	s_cbranch_execz .LBB191_50
; %bb.47:                               ;   in Loop: Header=BB191_9 Depth=1
	v_and_b32_e32 v27, 0xffff, v51
	v_and_b32_e32 v52, 0x7f, v27
	v_cmp_ne_u32_e64 s[4:5], s42, v52
	v_mov_b32_e32 v49, 0x7f800001
	s_and_saveexec_b64 s[36:37], s[4:5]
	s_cbranch_execz .LBB191_49
; %bb.48:                               ;   in Loop: Header=BB191_9 Depth=1
	v_and_b32_e32 v32, 7, v27
	v_ffbh_u32_e32 v49, v32
	v_min_u32_e32 v49, 32, v49
	v_subrev_u32_e32 v53, 28, v49
	v_lshlrev_b64 v[53:54], v53, v[27:28]
	v_lshrrev_b32_e32 v33, 3, v52
	v_sub_u32_e32 v27, 29, v49
	v_and_b32_e32 v49, 7, v53
	v_cmp_gt_u32_e64 s[4:5], 8, v52
	v_cndmask_b32_e64 v27, v33, v27, s[4:5]
	v_cndmask_b32_e64 v32, v32, v49, s[4:5]
	v_lshlrev_b32_e32 v33, 24, v51
	v_lshlrev_b32_e32 v32, 20, v32
	v_and_b32_e32 v33, 0x80000000, v33
	v_lshl_add_u32 v27, v27, 23, v42
	v_or3_b32 v49, v33, v27, v32
.LBB191_49:                             ;   in Loop: Header=BB191_9 Depth=1
	s_or_b64 exec, exec, s[36:37]
.LBB191_50:                             ;   in Loop: Header=BB191_9 Depth=1
	s_or_b64 exec, exec, s[34:35]
.LBB191_51:                             ;   in Loop: Header=BB191_9 Depth=1
	s_or_b64 exec, exec, s[16:17]
	global_load_ubyte v53, v[25:26], off offset:268
	v_mov_b32_e32 v51, 0
	v_mov_b32_e32 v52, 0
	s_waitcnt vmcnt(0)
	v_cmp_ne_u16_e64 s[4:5], 0, v53
	s_and_saveexec_b64 s[16:17], s[4:5]
	s_cbranch_execz .LBB191_57
; %bb.52:                               ;   in Loop: Header=BB191_9 Depth=1
	v_cmp_ne_u16_e64 s[4:5], s41, v53
	v_bfrev_b32_e32 v52, 1
	s_and_saveexec_b64 s[34:35], s[4:5]
	s_cbranch_execz .LBB191_56
; %bb.53:                               ;   in Loop: Header=BB191_9 Depth=1
	v_and_b32_e32 v27, 0xffff, v53
	v_and_b32_e32 v54, 0x7f, v27
	v_cmp_ne_u32_e64 s[4:5], s42, v54
	v_mov_b32_e32 v52, 0x7f800001
	s_and_saveexec_b64 s[36:37], s[4:5]
	s_cbranch_execz .LBB191_55
; %bb.54:                               ;   in Loop: Header=BB191_9 Depth=1
	v_and_b32_e32 v32, 7, v27
	v_ffbh_u32_e32 v52, v32
	v_min_u32_e32 v52, 32, v52
	v_subrev_u32_e32 v55, 28, v52
	v_lshlrev_b64 v[55:56], v55, v[27:28]
	v_lshrrev_b32_e32 v33, 3, v54
	v_sub_u32_e32 v27, 29, v52
	v_and_b32_e32 v52, 7, v55
	v_cmp_gt_u32_e64 s[4:5], 8, v54
	v_cndmask_b32_e64 v27, v33, v27, s[4:5]
	v_cndmask_b32_e64 v32, v32, v52, s[4:5]
	v_lshlrev_b32_e32 v33, 24, v53
	v_lshlrev_b32_e32 v32, 20, v32
	v_and_b32_e32 v33, 0x80000000, v33
	v_lshl_add_u32 v27, v27, 23, v42
	v_or3_b32 v52, v33, v27, v32
.LBB191_55:                             ;   in Loop: Header=BB191_9 Depth=1
	s_or_b64 exec, exec, s[36:37]
.LBB191_56:                             ;   in Loop: Header=BB191_9 Depth=1
	s_or_b64 exec, exec, s[34:35]
.LBB191_57:                             ;   in Loop: Header=BB191_9 Depth=1
	s_or_b64 exec, exec, s[16:17]
	global_load_ubyte v53, v[25:26], off offset:512
	s_waitcnt vmcnt(0)
	v_cmp_ne_u16_e64 s[4:5], 0, v53
	s_and_saveexec_b64 s[16:17], s[4:5]
	s_cbranch_execz .LBB191_63
; %bb.58:                               ;   in Loop: Header=BB191_9 Depth=1
	v_cmp_ne_u16_e64 s[4:5], s41, v53
	v_bfrev_b32_e32 v51, 1
	s_and_saveexec_b64 s[34:35], s[4:5]
	s_cbranch_execz .LBB191_62
; %bb.59:                               ;   in Loop: Header=BB191_9 Depth=1
	v_and_b32_e32 v27, 0xffff, v53
	v_and_b32_e32 v54, 0x7f, v27
	v_cmp_ne_u32_e64 s[4:5], s42, v54
	v_mov_b32_e32 v51, 0x7f800001
	s_and_saveexec_b64 s[36:37], s[4:5]
	s_cbranch_execz .LBB191_61
; %bb.60:                               ;   in Loop: Header=BB191_9 Depth=1
	v_and_b32_e32 v32, 7, v27
	v_ffbh_u32_e32 v51, v32
	v_min_u32_e32 v51, 32, v51
	v_subrev_u32_e32 v55, 28, v51
	v_lshlrev_b64 v[55:56], v55, v[27:28]
	v_lshrrev_b32_e32 v33, 3, v54
	v_sub_u32_e32 v27, 29, v51
	v_and_b32_e32 v51, 7, v55
	v_cmp_gt_u32_e64 s[4:5], 8, v54
	v_cndmask_b32_e64 v27, v33, v27, s[4:5]
	v_cndmask_b32_e64 v32, v32, v51, s[4:5]
	v_lshlrev_b32_e32 v33, 24, v53
	v_lshlrev_b32_e32 v32, 20, v32
	v_and_b32_e32 v33, 0x80000000, v33
	v_lshl_add_u32 v27, v27, 23, v42
	v_or3_b32 v51, v33, v27, v32
.LBB191_61:                             ;   in Loop: Header=BB191_9 Depth=1
	s_or_b64 exec, exec, s[36:37]
.LBB191_62:                             ;   in Loop: Header=BB191_9 Depth=1
	s_or_b64 exec, exec, s[34:35]
.LBB191_63:                             ;   in Loop: Header=BB191_9 Depth=1
	s_or_b64 exec, exec, s[16:17]
	global_load_ubyte v55, v[25:26], off offset:516
	v_mov_b32_e32 v53, 0
	v_mov_b32_e32 v54, 0
	s_waitcnt vmcnt(0)
	v_cmp_ne_u16_e64 s[4:5], 0, v55
	s_and_saveexec_b64 s[16:17], s[4:5]
	s_cbranch_execz .LBB191_69
; %bb.64:                               ;   in Loop: Header=BB191_9 Depth=1
	v_cmp_ne_u16_e64 s[4:5], s41, v55
	v_bfrev_b32_e32 v54, 1
	s_and_saveexec_b64 s[34:35], s[4:5]
	s_cbranch_execz .LBB191_68
; %bb.65:                               ;   in Loop: Header=BB191_9 Depth=1
	v_and_b32_e32 v27, 0xffff, v55
	v_and_b32_e32 v56, 0x7f, v27
	v_cmp_ne_u32_e64 s[4:5], s42, v56
	v_mov_b32_e32 v54, 0x7f800001
	s_and_saveexec_b64 s[36:37], s[4:5]
	s_cbranch_execz .LBB191_67
; %bb.66:                               ;   in Loop: Header=BB191_9 Depth=1
	v_and_b32_e32 v32, 7, v27
	v_ffbh_u32_e32 v54, v32
	v_min_u32_e32 v54, 32, v54
	v_subrev_u32_e32 v57, 28, v54
	v_lshlrev_b64 v[57:58], v57, v[27:28]
	v_lshrrev_b32_e32 v33, 3, v56
	v_sub_u32_e32 v27, 29, v54
	v_and_b32_e32 v54, 7, v57
	v_cmp_gt_u32_e64 s[4:5], 8, v56
	v_cndmask_b32_e64 v27, v33, v27, s[4:5]
	v_cndmask_b32_e64 v32, v32, v54, s[4:5]
	v_lshlrev_b32_e32 v33, 24, v55
	v_lshlrev_b32_e32 v32, 20, v32
	v_and_b32_e32 v33, 0x80000000, v33
	v_lshl_add_u32 v27, v27, 23, v42
	v_or3_b32 v54, v33, v27, v32
.LBB191_67:                             ;   in Loop: Header=BB191_9 Depth=1
	s_or_b64 exec, exec, s[36:37]
.LBB191_68:                             ;   in Loop: Header=BB191_9 Depth=1
	s_or_b64 exec, exec, s[34:35]
.LBB191_69:                             ;   in Loop: Header=BB191_9 Depth=1
	s_or_b64 exec, exec, s[16:17]
	global_load_ubyte v55, v[25:26], off offset:520
	s_waitcnt vmcnt(0)
	v_cmp_ne_u16_e64 s[4:5], 0, v55
	s_and_saveexec_b64 s[16:17], s[4:5]
	s_cbranch_execz .LBB191_75
; %bb.70:                               ;   in Loop: Header=BB191_9 Depth=1
	v_cmp_ne_u16_e64 s[4:5], s41, v55
	v_bfrev_b32_e32 v53, 1
	s_and_saveexec_b64 s[34:35], s[4:5]
	s_cbranch_execz .LBB191_74
; %bb.71:                               ;   in Loop: Header=BB191_9 Depth=1
	v_and_b32_e32 v27, 0xffff, v55
	v_and_b32_e32 v56, 0x7f, v27
	v_cmp_ne_u32_e64 s[4:5], s42, v56
	v_mov_b32_e32 v53, 0x7f800001
	s_and_saveexec_b64 s[36:37], s[4:5]
	s_cbranch_execz .LBB191_73
; %bb.72:                               ;   in Loop: Header=BB191_9 Depth=1
	v_and_b32_e32 v32, 7, v27
	v_ffbh_u32_e32 v53, v32
	v_min_u32_e32 v53, 32, v53
	v_subrev_u32_e32 v57, 28, v53
	v_lshlrev_b64 v[57:58], v57, v[27:28]
	v_lshrrev_b32_e32 v33, 3, v56
	v_sub_u32_e32 v27, 29, v53
	v_and_b32_e32 v53, 7, v57
	v_cmp_gt_u32_e64 s[4:5], 8, v56
	v_cndmask_b32_e64 v27, v33, v27, s[4:5]
	v_cndmask_b32_e64 v32, v32, v53, s[4:5]
	v_lshlrev_b32_e32 v33, 24, v55
	v_lshlrev_b32_e32 v32, 20, v32
	v_and_b32_e32 v33, 0x80000000, v33
	v_lshl_add_u32 v27, v27, 23, v42
	v_or3_b32 v53, v33, v27, v32
.LBB191_73:                             ;   in Loop: Header=BB191_9 Depth=1
	s_or_b64 exec, exec, s[36:37]
.LBB191_74:                             ;   in Loop: Header=BB191_9 Depth=1
	s_or_b64 exec, exec, s[34:35]
.LBB191_75:                             ;   in Loop: Header=BB191_9 Depth=1
	s_or_b64 exec, exec, s[16:17]
	global_load_ubyte v57, v[25:26], off offset:524
	v_mov_b32_e32 v55, 0
	v_mov_b32_e32 v56, 0
	s_waitcnt vmcnt(0)
	v_cmp_ne_u16_e64 s[4:5], 0, v57
	s_and_saveexec_b64 s[16:17], s[4:5]
	s_cbranch_execz .LBB191_81
; %bb.76:                               ;   in Loop: Header=BB191_9 Depth=1
	v_cmp_ne_u16_e64 s[4:5], s41, v57
	v_bfrev_b32_e32 v56, 1
	s_and_saveexec_b64 s[34:35], s[4:5]
	s_cbranch_execz .LBB191_80
; %bb.77:                               ;   in Loop: Header=BB191_9 Depth=1
	v_and_b32_e32 v27, 0xffff, v57
	v_and_b32_e32 v58, 0x7f, v27
	v_cmp_ne_u32_e64 s[4:5], s42, v58
	v_mov_b32_e32 v56, 0x7f800001
	s_and_saveexec_b64 s[36:37], s[4:5]
	s_cbranch_execz .LBB191_79
; %bb.78:                               ;   in Loop: Header=BB191_9 Depth=1
	v_and_b32_e32 v32, 7, v27
	v_ffbh_u32_e32 v56, v32
	v_min_u32_e32 v56, 32, v56
	v_subrev_u32_e32 v59, 28, v56
	v_lshlrev_b64 v[59:60], v59, v[27:28]
	v_lshrrev_b32_e32 v33, 3, v58
	v_sub_u32_e32 v27, 29, v56
	v_and_b32_e32 v56, 7, v59
	v_cmp_gt_u32_e64 s[4:5], 8, v58
	v_cndmask_b32_e64 v27, v33, v27, s[4:5]
	v_cndmask_b32_e64 v32, v32, v56, s[4:5]
	v_lshlrev_b32_e32 v33, 24, v57
	v_lshlrev_b32_e32 v32, 20, v32
	v_and_b32_e32 v33, 0x80000000, v33
	v_lshl_add_u32 v27, v27, 23, v42
	v_or3_b32 v56, v33, v27, v32
.LBB191_79:                             ;   in Loop: Header=BB191_9 Depth=1
	s_or_b64 exec, exec, s[36:37]
.LBB191_80:                             ;   in Loop: Header=BB191_9 Depth=1
	s_or_b64 exec, exec, s[34:35]
.LBB191_81:                             ;   in Loop: Header=BB191_9 Depth=1
	s_or_b64 exec, exec, s[16:17]
	global_load_ubyte v57, v[25:26], off offset:768
	s_waitcnt vmcnt(0)
	v_cmp_ne_u16_e64 s[4:5], 0, v57
	s_and_saveexec_b64 s[16:17], s[4:5]
	s_cbranch_execz .LBB191_87
; %bb.82:                               ;   in Loop: Header=BB191_9 Depth=1
	v_cmp_ne_u16_e64 s[4:5], s41, v57
	v_bfrev_b32_e32 v55, 1
	s_and_saveexec_b64 s[34:35], s[4:5]
	s_cbranch_execz .LBB191_86
; %bb.83:                               ;   in Loop: Header=BB191_9 Depth=1
	v_and_b32_e32 v27, 0xffff, v57
	v_and_b32_e32 v58, 0x7f, v27
	v_cmp_ne_u32_e64 s[4:5], s42, v58
	v_mov_b32_e32 v55, 0x7f800001
	s_and_saveexec_b64 s[36:37], s[4:5]
	s_cbranch_execz .LBB191_85
; %bb.84:                               ;   in Loop: Header=BB191_9 Depth=1
	v_and_b32_e32 v32, 7, v27
	v_ffbh_u32_e32 v55, v32
	v_min_u32_e32 v55, 32, v55
	v_subrev_u32_e32 v59, 28, v55
	v_lshlrev_b64 v[59:60], v59, v[27:28]
	v_lshrrev_b32_e32 v33, 3, v58
	v_sub_u32_e32 v27, 29, v55
	v_and_b32_e32 v55, 7, v59
	v_cmp_gt_u32_e64 s[4:5], 8, v58
	v_cndmask_b32_e64 v27, v33, v27, s[4:5]
	v_cndmask_b32_e64 v32, v32, v55, s[4:5]
	v_lshlrev_b32_e32 v33, 24, v57
	v_lshlrev_b32_e32 v32, 20, v32
	v_and_b32_e32 v33, 0x80000000, v33
	v_lshl_add_u32 v27, v27, 23, v42
	v_or3_b32 v55, v33, v27, v32
.LBB191_85:                             ;   in Loop: Header=BB191_9 Depth=1
	s_or_b64 exec, exec, s[36:37]
.LBB191_86:                             ;   in Loop: Header=BB191_9 Depth=1
	s_or_b64 exec, exec, s[34:35]
.LBB191_87:                             ;   in Loop: Header=BB191_9 Depth=1
	s_or_b64 exec, exec, s[16:17]
	global_load_ubyte v59, v[25:26], off offset:772
	v_mov_b32_e32 v57, 0
	v_mov_b32_e32 v58, 0
	s_waitcnt vmcnt(0)
	v_cmp_ne_u16_e64 s[4:5], 0, v59
	s_and_saveexec_b64 s[16:17], s[4:5]
	s_cbranch_execz .LBB191_93
; %bb.88:                               ;   in Loop: Header=BB191_9 Depth=1
	v_cmp_ne_u16_e64 s[4:5], s41, v59
	v_bfrev_b32_e32 v58, 1
	s_and_saveexec_b64 s[34:35], s[4:5]
	s_cbranch_execz .LBB191_92
; %bb.89:                               ;   in Loop: Header=BB191_9 Depth=1
	v_and_b32_e32 v27, 0xffff, v59
	v_and_b32_e32 v60, 0x7f, v27
	v_cmp_ne_u32_e64 s[4:5], s42, v60
	v_mov_b32_e32 v58, 0x7f800001
	s_and_saveexec_b64 s[36:37], s[4:5]
	s_cbranch_execz .LBB191_91
; %bb.90:                               ;   in Loop: Header=BB191_9 Depth=1
	v_and_b32_e32 v32, 7, v27
	v_ffbh_u32_e32 v58, v32
	v_min_u32_e32 v58, 32, v58
	v_lshrrev_b32_e32 v33, 3, v60
	v_cmp_gt_u32_e64 s[4:5], 8, v60
	v_subrev_u32_e32 v60, 28, v58
	v_lshlrev_b64 v[60:61], v60, v[27:28]
	v_sub_u32_e32 v27, 29, v58
	v_and_b32_e32 v58, 7, v60
	v_cndmask_b32_e64 v27, v33, v27, s[4:5]
	v_cndmask_b32_e64 v32, v32, v58, s[4:5]
	v_lshlrev_b32_e32 v33, 24, v59
	v_lshlrev_b32_e32 v32, 20, v32
	v_and_b32_e32 v33, 0x80000000, v33
	v_lshl_add_u32 v27, v27, 23, v42
	v_or3_b32 v58, v33, v27, v32
.LBB191_91:                             ;   in Loop: Header=BB191_9 Depth=1
	s_or_b64 exec, exec, s[36:37]
.LBB191_92:                             ;   in Loop: Header=BB191_9 Depth=1
	s_or_b64 exec, exec, s[34:35]
.LBB191_93:                             ;   in Loop: Header=BB191_9 Depth=1
	s_or_b64 exec, exec, s[16:17]
	global_load_ubyte v59, v[25:26], off offset:776
	s_waitcnt vmcnt(0)
	v_cmp_ne_u16_e64 s[4:5], 0, v59
	s_and_saveexec_b64 s[16:17], s[4:5]
	s_cbranch_execz .LBB191_99
; %bb.94:                               ;   in Loop: Header=BB191_9 Depth=1
	v_cmp_ne_u16_e64 s[4:5], s41, v59
	v_bfrev_b32_e32 v57, 1
	s_and_saveexec_b64 s[34:35], s[4:5]
	s_cbranch_execz .LBB191_98
; %bb.95:                               ;   in Loop: Header=BB191_9 Depth=1
	v_and_b32_e32 v27, 0xffff, v59
	v_and_b32_e32 v60, 0x7f, v27
	v_cmp_ne_u32_e64 s[4:5], s42, v60
	v_mov_b32_e32 v57, 0x7f800001
	s_and_saveexec_b64 s[36:37], s[4:5]
	s_cbranch_execz .LBB191_97
; %bb.96:                               ;   in Loop: Header=BB191_9 Depth=1
	v_and_b32_e32 v32, 7, v27
	v_ffbh_u32_e32 v57, v32
	v_min_u32_e32 v57, 32, v57
	v_lshrrev_b32_e32 v33, 3, v60
	v_cmp_gt_u32_e64 s[4:5], 8, v60
	v_subrev_u32_e32 v60, 28, v57
	v_lshlrev_b64 v[60:61], v60, v[27:28]
	v_sub_u32_e32 v27, 29, v57
	v_and_b32_e32 v57, 7, v60
	v_cndmask_b32_e64 v27, v33, v27, s[4:5]
	v_cndmask_b32_e64 v32, v32, v57, s[4:5]
	v_lshlrev_b32_e32 v33, 24, v59
	v_lshlrev_b32_e32 v32, 20, v32
	v_and_b32_e32 v33, 0x80000000, v33
	v_lshl_add_u32 v27, v27, 23, v42
	v_or3_b32 v57, v33, v27, v32
.LBB191_97:                             ;   in Loop: Header=BB191_9 Depth=1
	s_or_b64 exec, exec, s[36:37]
.LBB191_98:                             ;   in Loop: Header=BB191_9 Depth=1
	s_or_b64 exec, exec, s[34:35]
.LBB191_99:                             ;   in Loop: Header=BB191_9 Depth=1
	s_or_b64 exec, exec, s[16:17]
	global_load_ubyte v61, v[25:26], off offset:780
	v_mov_b32_e32 v59, 0
	v_mov_b32_e32 v60, 0
	s_waitcnt vmcnt(0)
	v_cmp_ne_u16_e64 s[4:5], 0, v61
	s_and_saveexec_b64 s[16:17], s[4:5]
	s_cbranch_execz .LBB191_105
; %bb.100:                              ;   in Loop: Header=BB191_9 Depth=1
	v_cmp_ne_u16_e64 s[4:5], s41, v61
	v_bfrev_b32_e32 v60, 1
	s_and_saveexec_b64 s[34:35], s[4:5]
	s_cbranch_execz .LBB191_104
; %bb.101:                              ;   in Loop: Header=BB191_9 Depth=1
	v_and_b32_e32 v27, 0xffff, v61
	v_and_b32_e32 v62, 0x7f, v27
	v_cmp_ne_u32_e64 s[4:5], s42, v62
	v_mov_b32_e32 v60, 0x7f800001
	s_and_saveexec_b64 s[36:37], s[4:5]
	s_cbranch_execz .LBB191_103
; %bb.102:                              ;   in Loop: Header=BB191_9 Depth=1
	v_and_b32_e32 v32, 7, v27
	v_ffbh_u32_e32 v60, v32
	v_min_u32_e32 v60, 32, v60
	v_lshrrev_b32_e32 v33, 3, v62
	v_cmp_gt_u32_e64 s[4:5], 8, v62
	v_subrev_u32_e32 v62, 28, v60
	v_lshlrev_b64 v[62:63], v62, v[27:28]
	v_sub_u32_e32 v27, 29, v60
	v_and_b32_e32 v60, 7, v62
	v_cndmask_b32_e64 v27, v33, v27, s[4:5]
	v_cndmask_b32_e64 v32, v32, v60, s[4:5]
	v_lshlrev_b32_e32 v33, 24, v61
	v_lshlrev_b32_e32 v32, 20, v32
	v_and_b32_e32 v33, 0x80000000, v33
	v_lshl_add_u32 v27, v27, 23, v42
	v_or3_b32 v60, v33, v27, v32
.LBB191_103:                            ;   in Loop: Header=BB191_9 Depth=1
	s_or_b64 exec, exec, s[36:37]
.LBB191_104:                            ;   in Loop: Header=BB191_9 Depth=1
	s_or_b64 exec, exec, s[34:35]
.LBB191_105:                            ;   in Loop: Header=BB191_9 Depth=1
	s_or_b64 exec, exec, s[16:17]
	global_load_ubyte v61, v[25:26], off offset:1024
	s_waitcnt vmcnt(0)
	v_cmp_ne_u16_e64 s[4:5], 0, v61
	s_and_saveexec_b64 s[16:17], s[4:5]
	s_cbranch_execz .LBB191_111
; %bb.106:                              ;   in Loop: Header=BB191_9 Depth=1
	v_cmp_ne_u16_e64 s[4:5], s41, v61
	v_bfrev_b32_e32 v59, 1
	s_and_saveexec_b64 s[34:35], s[4:5]
	s_cbranch_execz .LBB191_110
; %bb.107:                              ;   in Loop: Header=BB191_9 Depth=1
	v_and_b32_e32 v27, 0xffff, v61
	v_and_b32_e32 v62, 0x7f, v27
	v_cmp_ne_u32_e64 s[4:5], s42, v62
	v_mov_b32_e32 v59, 0x7f800001
	s_and_saveexec_b64 s[36:37], s[4:5]
	s_cbranch_execz .LBB191_109
; %bb.108:                              ;   in Loop: Header=BB191_9 Depth=1
	v_and_b32_e32 v32, 7, v27
	v_ffbh_u32_e32 v59, v32
	v_min_u32_e32 v59, 32, v59
	v_lshrrev_b32_e32 v33, 3, v62
	v_cmp_gt_u32_e64 s[4:5], 8, v62
	v_subrev_u32_e32 v62, 28, v59
	v_lshlrev_b64 v[62:63], v62, v[27:28]
	v_sub_u32_e32 v27, 29, v59
	v_and_b32_e32 v59, 7, v62
	v_cndmask_b32_e64 v27, v33, v27, s[4:5]
	v_cndmask_b32_e64 v32, v32, v59, s[4:5]
	v_lshlrev_b32_e32 v33, 24, v61
	v_lshlrev_b32_e32 v32, 20, v32
	v_and_b32_e32 v33, 0x80000000, v33
	v_lshl_add_u32 v27, v27, 23, v42
	v_or3_b32 v59, v33, v27, v32
.LBB191_109:                            ;   in Loop: Header=BB191_9 Depth=1
	s_or_b64 exec, exec, s[36:37]
.LBB191_110:                            ;   in Loop: Header=BB191_9 Depth=1
	s_or_b64 exec, exec, s[34:35]
.LBB191_111:                            ;   in Loop: Header=BB191_9 Depth=1
	s_or_b64 exec, exec, s[16:17]
	global_load_ubyte v63, v[25:26], off offset:1028
	v_mov_b32_e32 v61, 0
	v_mov_b32_e32 v62, 0
	s_waitcnt vmcnt(0)
	v_cmp_ne_u16_e64 s[4:5], 0, v63
	s_and_saveexec_b64 s[16:17], s[4:5]
	s_cbranch_execz .LBB191_117
; %bb.112:                              ;   in Loop: Header=BB191_9 Depth=1
	v_cmp_ne_u16_e64 s[4:5], s41, v63
	v_bfrev_b32_e32 v62, 1
	s_and_saveexec_b64 s[34:35], s[4:5]
	s_cbranch_execz .LBB191_116
; %bb.113:                              ;   in Loop: Header=BB191_9 Depth=1
	v_and_b32_e32 v27, 0xffff, v63
	v_and_b32_e32 v33, 0x7f, v27
	v_cmp_ne_u32_e64 s[4:5], s42, v33
	v_mov_b32_e32 v62, 0x7f800001
	s_and_saveexec_b64 s[36:37], s[4:5]
	s_cbranch_execz .LBB191_115
; %bb.114:                              ;   in Loop: Header=BB191_9 Depth=1
	v_and_b32_e32 v62, 7, v27
	v_ffbh_u32_e32 v32, v62
	v_min_u32_e32 v28, 32, v32
	v_subrev_u32_e32 v32, 28, v28
	v_lshrrev_b32_e32 v29, 3, v33
	v_cmp_gt_u32_e64 s[4:5], 8, v33
	v_lshlrev_b64 v[32:33], v32, v[27:28]
	v_sub_u32_e32 v27, 29, v28
	v_and_b32_e32 v28, 7, v32
	v_cndmask_b32_e64 v27, v29, v27, s[4:5]
	v_cndmask_b32_e64 v28, v62, v28, s[4:5]
	v_lshlrev_b32_e32 v29, 24, v63
	v_lshlrev_b32_e32 v28, 20, v28
	v_and_b32_e32 v29, 0x80000000, v29
	v_lshl_add_u32 v27, v27, 23, v42
	v_or3_b32 v62, v29, v27, v28
.LBB191_115:                            ;   in Loop: Header=BB191_9 Depth=1
	s_or_b64 exec, exec, s[36:37]
.LBB191_116:                            ;   in Loop: Header=BB191_9 Depth=1
	s_or_b64 exec, exec, s[34:35]
.LBB191_117:                            ;   in Loop: Header=BB191_9 Depth=1
	s_or_b64 exec, exec, s[16:17]
	global_load_ubyte v63, v[25:26], off offset:1032
	s_waitcnt vmcnt(0)
	v_cmp_ne_u16_e64 s[4:5], 0, v63
	s_and_saveexec_b64 s[16:17], s[4:5]
	s_cbranch_execz .LBB191_123
; %bb.118:                              ;   in Loop: Header=BB191_9 Depth=1
	v_cmp_ne_u16_e64 s[4:5], s41, v63
	v_bfrev_b32_e32 v61, 1
	s_and_saveexec_b64 s[34:35], s[4:5]
	s_cbranch_execz .LBB191_122
; %bb.119:                              ;   in Loop: Header=BB191_9 Depth=1
	v_and_b32_e32 v27, 0xffff, v63
	v_and_b32_e32 v33, 0x7f, v27
	v_cmp_ne_u32_e64 s[4:5], s42, v33
	v_mov_b32_e32 v61, 0x7f800001
	s_and_saveexec_b64 s[36:37], s[4:5]
	s_cbranch_execz .LBB191_121
; %bb.120:                              ;   in Loop: Header=BB191_9 Depth=1
	v_and_b32_e32 v28, 7, v27
	v_ffbh_u32_e32 v32, v28
	v_min_u32_e32 v61, 32, v32
	v_subrev_u32_e32 v32, 28, v61
	v_lshrrev_b32_e32 v29, 3, v33
	v_cmp_gt_u32_e64 s[4:5], 8, v33
	v_lshlrev_b64 v[32:33], v32, v[27:28]
	v_sub_u32_e32 v27, 29, v61
	v_and_b32_e32 v32, 7, v32
	v_cndmask_b32_e64 v27, v29, v27, s[4:5]
	v_cndmask_b32_e64 v28, v28, v32, s[4:5]
	v_lshlrev_b32_e32 v29, 24, v63
	v_lshlrev_b32_e32 v28, 20, v28
	v_and_b32_e32 v29, 0x80000000, v29
	v_lshl_add_u32 v27, v27, 23, v42
	v_or3_b32 v61, v29, v27, v28
.LBB191_121:                            ;   in Loop: Header=BB191_9 Depth=1
	s_or_b64 exec, exec, s[36:37]
.LBB191_122:                            ;   in Loop: Header=BB191_9 Depth=1
	s_or_b64 exec, exec, s[34:35]
.LBB191_123:                            ;   in Loop: Header=BB191_9 Depth=1
	s_or_b64 exec, exec, s[16:17]
	global_load_ubyte v27, v[25:26], off offset:1036
	v_mov_b32_e32 v26, 0
	s_waitcnt vmcnt(0)
	v_cmp_ne_u16_e64 s[4:5], 0, v27
	s_and_saveexec_b64 s[16:17], s[4:5]
	s_cbranch_execz .LBB191_129
; %bb.124:                              ;   in Loop: Header=BB191_9 Depth=1
	v_cmp_ne_u16_e64 s[4:5], s41, v27
	v_bfrev_b32_e32 v26, 1
	s_and_saveexec_b64 s[34:35], s[4:5]
	s_cbranch_execz .LBB191_128
; %bb.125:                              ;   in Loop: Header=BB191_9 Depth=1
	v_and_b32_e32 v25, 0xffff, v27
	v_and_b32_e32 v33, 0x7f, v25
	v_cmp_ne_u32_e64 s[4:5], s42, v33
	v_mov_b32_e32 v26, 0x7f800001
	s_and_saveexec_b64 s[36:37], s[4:5]
	s_cbranch_execz .LBB191_127
; %bb.126:                              ;   in Loop: Header=BB191_9 Depth=1
	v_and_b32_e32 v28, 7, v25
	v_ffbh_u32_e32 v26, v28
	v_min_u32_e32 v32, 32, v26
	v_subrev_u32_e32 v26, 28, v32
	v_lshlrev_b64 v[25:26], v26, v[25:26]
	v_lshrrev_b32_e32 v29, 3, v33
	v_cmp_gt_u32_e64 s[4:5], 8, v33
	v_sub_u32_e32 v26, 29, v32
	v_and_b32_e32 v25, 7, v25
	v_cndmask_b32_e64 v26, v29, v26, s[4:5]
	v_cndmask_b32_e64 v25, v28, v25, s[4:5]
	v_lshlrev_b32_e32 v27, 24, v27
	v_lshlrev_b32_e32 v25, 20, v25
	v_and_b32_e32 v27, 0x80000000, v27
	v_lshl_add_u32 v26, v26, 23, v42
	v_or3_b32 v26, v27, v26, v25
.LBB191_127:                            ;   in Loop: Header=BB191_9 Depth=1
	s_or_b64 exec, exec, s[36:37]
.LBB191_128:                            ;   in Loop: Header=BB191_9 Depth=1
	s_or_b64 exec, exec, s[34:35]
.LBB191_129:                            ;   in Loop: Header=BB191_9 Depth=1
	s_or_b64 exec, exec, s[16:17]
	s_waitcnt lgkmcnt(0)
	v_mul_f32_e32 v46, s39, v46
	v_mul_f32_e32 v44, s39, v44
	;; [unrolled: 1-line block ×4, first 2 shown]
	v_fmac_f32_e32 v46, v1, v44
	v_mul_f32_e32 v48, s39, v48
	v_fmac_f32_e32 v46, v3, v45
	v_mul_f32_e32 v47, s39, v47
	;; [unrolled: 2-line block ×17, first 2 shown]
	v_fmac_f32_e32 v46, v19, v25
	v_fmac_f32_e32 v46, v20, v26
	ds_bpermute_b32 v25, v38, v46
	s_waitcnt lgkmcnt(0)
	v_add_f32_e32 v25, v46, v25
	ds_bpermute_b32 v26, v39, v25
	s_and_saveexec_b64 s[16:17], vcc
	s_cbranch_execz .LBB191_8
; %bb.130:                              ;   in Loop: Header=BB191_9 Depth=1
	v_add_u32_e32 v27, s40, v40
	v_cvt_f32_i32_e32 v27, v27
	s_waitcnt lgkmcnt(0)
	v_add_f32_e32 v25, v25, v26
	v_cmp_gt_i32_e64 s[4:5], s30, v40
	v_max_f32_e32 v26, v37, v37
	v_mul_f32_e32 v27, s33, v27
	v_cndmask_b32_e64 v27, 0, v27, s[2:3]
	v_fmac_f32_e32 v27, s31, v25
	v_cndmask_b32_e64 v25, 0, v27, s[4:5]
	ds_write_b32 v41, v25
	v_max_f32_e32 v25, v26, v27
	v_cndmask_b32_e64 v37, v37, v25, s[4:5]
	s_branch .LBB191_8
.LBB191_131:
	s_or_b64 exec, exec, s[14:15]
	v_lshlrev_b32_e32 v12, 2, v0
	v_lshrrev_b32_e32 v13, 4, v0
.LBB191_132:
	s_or_b64 exec, exec, s[6:7]
	v_xor_b32_e32 v1, 32, v34
	v_cmp_lt_i32_e32 vcc, v1, v35
	v_cndmask_b32_e32 v1, v34, v1, vcc
	v_lshlrev_b32_e32 v1, 2, v1
	ds_bpermute_b32 v2, v1, v37
	v_xor_b32_e32 v4, 16, v34
	v_max_f32_e32 v3, v37, v37
	v_cmp_lt_i32_e32 vcc, v4, v35
	v_xor_b32_e32 v5, 8, v34
	s_waitcnt lgkmcnt(0)
	v_max_f32_e32 v2, v2, v2
	v_max_f32_e32 v3, v3, v2
	v_cndmask_b32_e32 v2, v34, v4, vcc
	v_lshlrev_b32_e32 v2, 2, v2
	ds_bpermute_b32 v4, v2, v3
	v_cmp_lt_i32_e32 vcc, v5, v35
	v_xor_b32_e32 v6, 4, v34
	v_and_b32_e32 v24, 63, v0
	s_waitcnt lgkmcnt(0)
	v_max_f32_e32 v4, v4, v4
	v_max_f32_e32 v3, v3, v4
	v_cndmask_b32_e32 v4, v34, v5, vcc
	v_lshlrev_b32_e32 v5, 2, v4
	ds_bpermute_b32 v4, v5, v3
	v_cmp_lt_i32_e32 vcc, v6, v35
	s_waitcnt lgkmcnt(0)
	v_max_f32_e32 v4, v4, v4
	v_max_f32_e32 v4, v3, v4
	v_cndmask_b32_e32 v3, v34, v6, vcc
	v_lshlrev_b32_e32 v6, 2, v3
	ds_bpermute_b32 v7, v6, v4
	v_cmp_eq_u32_e32 vcc, 0, v24
	v_lshlrev_b32_e32 v3, 2, v31
	s_and_saveexec_b64 s[2:3], vcc
	s_cbranch_execz .LBB191_134
; %bb.133:
	s_waitcnt lgkmcnt(0)
	v_max_f32_e32 v7, v7, v7
	v_max_f32_e32 v4, v4, v4
	;; [unrolled: 1-line block ×3, first 2 shown]
	ds_write_b32 v3, v4 offset:320
.LBB191_134:
	s_or_b64 exec, exec, s[2:3]
	v_cmp_gt_u32_e64 s[2:3], 2, v24
	s_waitcnt lgkmcnt(0)
	v_mov_b32_e32 v7, 0xff7fffff
	v_lshlrev_b32_e32 v4, 2, v24
	s_waitcnt vmcnt(0)
	s_barrier
	s_and_saveexec_b64 s[4:5], s[2:3]
; %bb.135:
	ds_read_b32 v7, v4 offset:320
; %bb.136:
	s_or_b64 exec, exec, s[4:5]
	v_xor_b32_e32 v8, 1, v34
	v_cmp_lt_i32_e64 s[4:5], v8, v35
	v_cndmask_b32_e64 v8, v34, v8, s[4:5]
	v_lshlrev_b32_e32 v25, 2, v8
	s_waitcnt lgkmcnt(0)
	ds_bpermute_b32 v8, v25, v7
	v_max_f32_e32 v7, v7, v7
	s_lshl_b32 s4, s21, 4
	s_min_i32 s31, s4, s30
	v_cmp_gt_i32_e64 s[4:5], s31, v0
	s_waitcnt lgkmcnt(0)
	v_max_f32_e32 v8, v8, v8
	v_max_f32_e32 v7, v7, v8
	v_lshlrev_b32_e32 v8, 2, v36
	ds_bpermute_b32 v8, v8, v7
	v_mov_b32_e32 v7, 0
	s_and_saveexec_b64 s[14:15], s[4:5]
	s_cbranch_execz .LBB191_140
; %bb.137:
	v_mov_b32_e32 v7, 0x150
	v_lshl_add_u32 v9, v0, 2, v7
	v_mov_b32_e32 v7, 0
	s_mov_b64 s[16:17], 0
	v_mov_b32_e32 v10, v0
.LBB191_138:                            ; =>This Inner Loop Header: Depth=1
	ds_read_b32 v11, v9
	v_add_u32_e32 v10, 0x80, v10
	v_cmp_le_i32_e64 s[6:7], s31, v10
	s_or_b64 s[16:17], s[6:7], s[16:17]
	s_waitcnt lgkmcnt(0)
	v_sub_f32_e32 v11, v11, v8
	v_mul_f32_e32 v11, 0x3fb8aa3b, v11
	v_exp_f32_e32 v11, v11
	ds_write_b32 v9, v11
	v_add_f32_e32 v7, v7, v11
	v_add_u32_e32 v9, 0x200, v9
	s_andn2_b64 exec, exec, s[16:17]
	s_cbranch_execnz .LBB191_138
; %bb.139:
	s_or_b64 exec, exec, s[16:17]
.LBB191_140:
	s_or_b64 exec, exec, s[14:15]
	ds_bpermute_b32 v1, v1, v7
	s_waitcnt lgkmcnt(0)
	v_add_f32_e32 v1, v7, v1
	ds_bpermute_b32 v2, v2, v1
	s_waitcnt lgkmcnt(0)
	v_add_f32_e32 v1, v1, v2
	ds_bpermute_b32 v2, v5, v1
	v_xor_b32_e32 v5, 2, v34
	v_cmp_lt_i32_e64 s[6:7], v5, v35
	v_cndmask_b32_e64 v5, v34, v5, s[6:7]
	v_lshlrev_b32_e32 v26, 2, v5
	s_waitcnt lgkmcnt(0)
	v_add_f32_e32 v1, v1, v2
	ds_bpermute_b32 v2, v6, v1
	s_waitcnt lgkmcnt(0)
	v_add_f32_e32 v1, v1, v2
	ds_bpermute_b32 v2, v26, v1
	;; [unrolled: 3-line block ×3, first 2 shown]
	s_waitcnt lgkmcnt(0)
	v_add_f32_e32 v1, v1, v2
	s_and_saveexec_b64 s[6:7], vcc
; %bb.141:
	ds_write_b32 v3, v1 offset:328
; %bb.142:
	s_or_b64 exec, exec, s[6:7]
	s_waitcnt lgkmcnt(0)
	s_barrier
	s_and_saveexec_b64 s[6:7], s[2:3]
; %bb.143:
	ds_read_b32 v1, v4 offset:328
; %bb.144:
	s_or_b64 exec, exec, s[6:7]
	s_waitcnt lgkmcnt(0)
	ds_bpermute_b32 v2, v25, v1
	v_lshlrev_b32_e32 v3, 2, v34
	s_waitcnt lgkmcnt(0)
	v_add_f32_e32 v1, v1, v2
	v_and_b32_e32 v2, 0xffffff00, v3
	ds_bpermute_b32 v1, v2, v1
	s_and_saveexec_b64 s[2:3], s[4:5]
	s_cbranch_execz .LBB191_147
; %bb.145:
	s_waitcnt lgkmcnt(0)
	v_add_f32_e32 v2, 0x358637bd, v1
	v_div_scale_f32 v1, s[4:5], v2, v2, 1.0
	v_div_scale_f32 v3, vcc, 1.0, v2, 1.0
	s_mov_b64 s[4:5], 0
	v_rcp_f32_e32 v4, v1
	v_fma_f32 v5, -v1, v4, 1.0
	v_fmac_f32_e32 v4, v5, v4
	v_mul_f32_e32 v5, v3, v4
	v_fma_f32 v6, -v1, v5, v3
	v_fmac_f32_e32 v5, v6, v4
	v_fma_f32 v1, -v1, v5, v3
	v_div_fmas_f32 v3, v1, v4, v5
	v_mov_b32_e32 v1, 0x150
	v_lshl_add_u32 v1, v0, 2, v1
	v_div_fixup_f32 v2, v3, v2, 1.0
	v_mov_b32_e32 v3, v0
.LBB191_146:                            ; =>This Inner Loop Header: Depth=1
	ds_read_b32 v4, v1
	v_add_u32_e32 v3, 0x80, v3
	v_cmp_le_i32_e32 vcc, s31, v3
	s_or_b64 s[4:5], vcc, s[4:5]
	s_waitcnt lgkmcnt(0)
	v_mul_f32_e32 v4, v2, v4
	ds_write_b32 v1, v4
	v_add_u32_e32 v1, 0x200, v1
	s_andn2_b64 exec, exec, s[4:5]
	s_cbranch_execnz .LBB191_146
.LBB191_147:
	s_or_b64 exec, exec, s[2:3]
	v_mov_b32_e32 v36, 0
	v_mov_b32_e32 v37, 0
	;; [unrolled: 1-line block ×5, first 2 shown]
	s_waitcnt lgkmcnt(0)
	s_barrier
	s_and_saveexec_b64 s[2:3], s[0:1]
	s_cbranch_execz .LBB191_281
; %bb.148:
	s_ashr_i32 s0, s12, 31
	s_add_u32 s1, s28, s12
	v_and_b32_e32 v2, 0xfc, v12
	v_and_b32_e32 v1, 12, v12
	s_load_dword s17, s[18:19], 0x0
	s_addc_u32 s0, s29, s0
	v_add_co_u32_e32 v7, vcc, s1, v2
	v_lshlrev_b32_e32 v2, 4, v31
	s_add_i32 s19, s21, -1
	v_mov_b32_e32 v3, s0
	v_or3_b32 v32, v2, v1, 3
	v_lshlrev_b32_e32 v1, 4, v30
	s_lshl_b64 s[0:1], s[26:27], 2
	v_lshl_or_b32 v1, v31, 6, v1
	s_add_u32 s0, s24, s0
	v_addc_co_u32_e32 v8, vcc, 0, v3, vcc
	v_add_u32_e32 v38, 0x150, v1
	v_and_b32_e32 v1, 60, v13
	s_addc_u32 s1, s25, s1
	v_mov_b32_e32 v5, 0
	v_mov_b32_e32 v2, s1
	v_add_co_u32_e32 v9, vcc, s0, v1
	s_mov_b32 s16, s13
	s_waitcnt lgkmcnt(0)
	s_mov_b32 s18, s17
	v_addc_co_u32_e32 v10, vcc, 0, v2, vcc
	s_mov_b64 s[4:5], 0
	s_movk_i32 s24, 0x80
	s_movk_i32 s25, 0x7f
	s_brev_b32 s26, 1
	s_mov_b32 s27, 0xffffff
	v_bfrev_b32_e32 v33, 60
	v_bfrev_b32_e32 v6, 1
	v_mov_b32_e32 v12, 0x7f800001
	v_mov_b32_e32 v39, 7
	;; [unrolled: 1-line block ×8, first 2 shown]
	s_branch .LBB191_150
.LBB191_149:                            ;   in Loop: Header=BB191_150 Depth=1
	s_or_b64 exec, exec, s[0:1]
	s_waitcnt lgkmcnt(0)
	v_mul_f32_e32 v16, v1, v57
	v_fmac_f32_e32 v16, v2, v56
	v_fmac_f32_e32 v16, v3, v23
	v_fmac_f32_e32 v16, v4, v22
	v_add_f32_e32 v34, v34, v16
	v_mul_f32_e32 v16, v1, v55
	v_fmac_f32_e32 v16, v2, v52
	v_fmac_f32_e32 v16, v3, v54
	v_fmac_f32_e32 v16, v4, v53
	v_add_f32_e32 v35, v35, v16
	v_mul_f32_e32 v16, v1, v51
	v_fmac_f32_e32 v16, v2, v48
	v_fmac_f32_e32 v16, v3, v50
	v_fmac_f32_e32 v16, v4, v49
	v_add_f32_e32 v37, v37, v16
	v_mul_f32_e32 v16, v1, v44
	v_mul_f32_e32 v1, v1, v15
	v_fmac_f32_e32 v16, v2, v41
	v_fmac_f32_e32 v1, v2, v11
	v_add_u32_e32 v31, 2, v31
	v_fmac_f32_e32 v16, v3, v43
	v_fmac_f32_e32 v1, v3, v14
	v_cmp_le_i32_e32 vcc, s21, v31
	v_fmac_f32_e32 v16, v4, v42
	v_fmac_f32_e32 v1, v4, v13
	s_or_b64 s[4:5], vcc, s[4:5]
	v_add_co_u32_e32 v9, vcc, 8, v9
	v_add_f32_e32 v36, v36, v16
	v_add_f32_e32 v27, v27, v1
	v_add_u32_e32 v32, 32, v32
	v_add_u32_e32 v38, 0x80, v38
	v_addc_co_u32_e32 v10, vcc, 0, v10, vcc
	s_andn2_b64 exec, exec, s[4:5]
	s_cbranch_execz .LBB191_280
.LBB191_150:                            ; =>This Inner Loop Header: Depth=1
	global_load_dword v1, v[9:10], off
	v_mov_b32_e32 v18, 0
	v_mov_b32_e32 v16, 0
	;; [unrolled: 1-line block ×4, first 2 shown]
	s_waitcnt vmcnt(0)
	v_mad_i64_i32 v[13:14], s[0:1], v1, s16, v[7:8]
	ds_read_b128 v[1:4], v38
	global_load_dword v15, v[13:14], off
	s_waitcnt vmcnt(0)
	v_cmp_ne_u16_sdwa s[6:7], v15, v5 src0_sel:BYTE_0 src1_sel:DWORD
	s_and_saveexec_b64 s[0:1], s[6:7]
	s_cbranch_execz .LBB191_156
; %bb.151:                              ;   in Loop: Header=BB191_150 Depth=1
	v_bfrev_b32_e32 v16, 1
	v_mov_b32_e32 v17, 0
	v_cmp_ne_u16_sdwa s[12:13], v15, s24 src0_sel:BYTE_0 src1_sel:DWORD
	s_and_saveexec_b64 s[6:7], s[12:13]
	s_cbranch_execz .LBB191_155
; %bb.152:                              ;   in Loop: Header=BB191_150 Depth=1
	v_and_b32_e32 v11, 0x7f, v15
	v_mov_b32_e32 v16, 0x7f800001
	v_mov_b32_e32 v17, 0
	v_cmp_ne_u32_e32 vcc, s25, v11
	s_and_saveexec_b64 s[12:13], vcc
	s_cbranch_execz .LBB191_154
; %bb.153:                              ;   in Loop: Header=BB191_150 Depth=1
	v_and_b32_e32 v20, 7, v15
	v_ffbh_u32_e32 v16, v20
	v_min_u32_e32 v22, 32, v16
	v_subrev_u32_e32 v16, 28, v22
	v_lshlrev_b64 v[16:17], v16, v[15:16]
	v_lshrrev_b32_e32 v21, 3, v11
	v_sub_u32_e32 v17, 29, v22
	v_and_b32_e32 v16, 7, v16
	v_cmp_gt_u32_e32 vcc, 8, v11
	v_cndmask_b32_e32 v11, v21, v17, vcc
	v_cndmask_b32_e32 v16, v20, v16, vcc
	v_lshlrev_b32_e32 v16, 20, v16
	v_and_b32_sdwa v17, sext(v15), s26 dst_sel:DWORD dst_unused:UNUSED_PAD src0_sel:BYTE_0 src1_sel:DWORD
	v_lshl_add_u32 v11, v11, 23, v33
	v_or3_b32 v16, v17, v11, v16
	v_mov_b32_e32 v17, v5
.LBB191_154:                            ;   in Loop: Header=BB191_150 Depth=1
	s_or_b64 exec, exec, s[12:13]
.LBB191_155:                            ;   in Loop: Header=BB191_150 Depth=1
	s_or_b64 exec, exec, s[6:7]
.LBB191_156:                            ;   in Loop: Header=BB191_150 Depth=1
	s_or_b64 exec, exec, s[0:1]
	v_cmp_ne_u16_sdwa s[6:7], v15, v5 src0_sel:BYTE_1 src1_sel:DWORD
	s_and_saveexec_b64 s[0:1], s[6:7]
	s_cbranch_execz .LBB191_162
; %bb.157:                              ;   in Loop: Header=BB191_150 Depth=1
	v_mov_b32_e32 v19, v6
	v_cmp_ne_u16_sdwa s[12:13], v15, s24 src0_sel:BYTE_1 src1_sel:DWORD
	v_mov_b32_e32 v18, v5
	s_and_saveexec_b64 s[6:7], s[12:13]
	s_cbranch_execz .LBB191_161
; %bb.158:                              ;   in Loop: Header=BB191_150 Depth=1
	v_and_b32_sdwa v20, v15, s25 dst_sel:DWORD dst_unused:UNUSED_PAD src0_sel:BYTE_1 src1_sel:DWORD
	v_mov_b32_e32 v11, v5
	v_mov_b32_e32 v19, v12
	v_cmp_ne_u32_e32 vcc, s25, v20
	v_mov_b32_e32 v18, v11
	s_and_saveexec_b64 s[12:13], vcc
	s_cbranch_execz .LBB191_160
; %bb.159:                              ;   in Loop: Header=BB191_150 Depth=1
	v_and_b32_sdwa v18, v15, v39 dst_sel:DWORD dst_unused:UNUSED_PAD src0_sel:BYTE_1 src1_sel:DWORD
	v_ffbh_u32_e32 v21, v18
	v_min_u32_e32 v23, 32, v21
	v_mov_b32_e32 v19, v5
	v_subrev_u32_e32 v21, 28, v23
	v_lshlrev_b64 v[21:22], v21, v[18:19]
	v_lshrrev_b32_e32 v11, 3, v20
	v_sub_u32_e32 v19, 29, v23
	v_cmp_gt_u32_e32 vcc, 8, v20
	v_and_b32_e32 v21, 7, v21
	v_cndmask_b32_e32 v11, v11, v19, vcc
	v_cndmask_b32_e32 v18, v18, v21, vcc
	v_lshlrev_b32_e32 v19, 16, v15
	v_lshl_add_u32 v11, v11, 23, v33
	v_and_or_b32 v11, v19, s26, v11
	v_lshlrev_b32_e32 v18, 20, v18
	v_or_b32_e32 v19, v11, v18
	v_mov_b32_e32 v18, v5
.LBB191_160:                            ;   in Loop: Header=BB191_150 Depth=1
	s_or_b64 exec, exec, s[12:13]
.LBB191_161:                            ;   in Loop: Header=BB191_150 Depth=1
	s_or_b64 exec, exec, s[6:7]
.LBB191_162:                            ;   in Loop: Header=BB191_150 Depth=1
	s_or_b64 exec, exec, s[0:1]
	v_lshrrev_b32_e32 v11, 16, v15
	v_mov_b32_e32 v22, 0
	v_mov_b32_e32 v20, 0
	;; [unrolled: 1-line block ×4, first 2 shown]
	v_cmp_ne_u16_sdwa s[6:7], v11, v5 src0_sel:BYTE_0 src1_sel:DWORD
	s_and_saveexec_b64 s[0:1], s[6:7]
	s_cbranch_execz .LBB191_168
; %bb.163:                              ;   in Loop: Header=BB191_150 Depth=1
	v_bfrev_b32_e32 v20, 1
	v_mov_b32_e32 v21, 0
	v_cmp_ne_u16_sdwa s[12:13], v11, s24 src0_sel:BYTE_0 src1_sel:DWORD
	s_and_saveexec_b64 s[6:7], s[12:13]
	s_cbranch_execz .LBB191_167
; %bb.164:                              ;   in Loop: Header=BB191_150 Depth=1
	v_bfe_u32 v41, v15, 16, 7
	v_mov_b32_e32 v20, 0x7f800001
	v_mov_b32_e32 v21, 0
	v_cmp_ne_u32_e32 vcc, s25, v41
	s_and_saveexec_b64 s[12:13], vcc
	s_cbranch_execz .LBB191_166
; %bb.165:                              ;   in Loop: Header=BB191_150 Depth=1
	v_and_b32_e32 v28, 7, v11
	v_ffbh_u32_e32 v20, v28
	v_min_u32_e32 v42, 32, v20
	v_subrev_u32_e32 v20, 28, v42
	v_lshlrev_b64 v[20:21], v20, v[11:12]
	v_lshrrev_b32_e32 v29, 3, v41
	v_sub_u32_e32 v21, 29, v42
	v_and_b32_e32 v20, 7, v20
	v_cmp_gt_u32_e32 vcc, 8, v41
	v_cndmask_b32_e32 v21, v29, v21, vcc
	v_cndmask_b32_e32 v20, v28, v20, vcc
	v_lshlrev_b32_e32 v20, 20, v20
	v_and_b32_sdwa v11, sext(v11), s26 dst_sel:DWORD dst_unused:UNUSED_PAD src0_sel:BYTE_0 src1_sel:DWORD
	v_lshl_add_u32 v21, v21, 23, v33
	v_or3_b32 v20, v11, v21, v20
	v_mov_b32_e32 v21, v5
.LBB191_166:                            ;   in Loop: Header=BB191_150 Depth=1
	s_or_b64 exec, exec, s[12:13]
.LBB191_167:                            ;   in Loop: Header=BB191_150 Depth=1
	s_or_b64 exec, exec, s[6:7]
.LBB191_168:                            ;   in Loop: Header=BB191_150 Depth=1
	s_or_b64 exec, exec, s[0:1]
	v_cmp_lt_u32_e32 vcc, s27, v15
	s_and_saveexec_b64 s[0:1], vcc
	s_cbranch_execz .LBB191_174
; %bb.169:                              ;   in Loop: Header=BB191_150 Depth=1
	v_mov_b32_e32 v23, v6
	v_cmp_ne_u32_sdwa s[12:13], v15, s24 src0_sel:BYTE_3 src1_sel:DWORD
	v_mov_b32_e32 v22, v5
	s_and_saveexec_b64 s[6:7], s[12:13]
	s_cbranch_execz .LBB191_173
; %bb.170:                              ;   in Loop: Header=BB191_150 Depth=1
	v_bfe_u32 v41, v15, 24, 7
	v_mov_b32_e32 v11, v5
	v_mov_b32_e32 v23, v12
	v_cmp_ne_u32_e32 vcc, s25, v41
	v_mov_b32_e32 v22, v11
	s_and_saveexec_b64 s[12:13], vcc
	s_cbranch_execz .LBB191_172
; %bb.171:                              ;   in Loop: Header=BB191_150 Depth=1
	v_and_b32_sdwa v22, v15, v39 dst_sel:DWORD dst_unused:UNUSED_PAD src0_sel:BYTE_3 src1_sel:DWORD
	v_ffbh_u32_e32 v28, v22
	v_min_u32_e32 v28, 32, v28
	v_mov_b32_e32 v23, v5
	v_subrev_u32_e32 v29, 28, v28
	v_lshlrev_b64 v[42:43], v29, v[22:23]
	v_lshrrev_b32_e32 v11, 3, v41
	v_sub_u32_e32 v23, 29, v28
	v_cmp_gt_u32_e32 vcc, 8, v41
	v_and_b32_e32 v28, 7, v42
	v_cndmask_b32_e32 v11, v11, v23, vcc
	v_cndmask_b32_e32 v22, v22, v28, vcc
	v_lshlrev_b32_sdwa v15, v40, v15 dst_sel:DWORD dst_unused:UNUSED_PAD src0_sel:DWORD src1_sel:BYTE_3
	v_lshl_add_u32 v11, v11, 23, v33
	v_and_or_b32 v11, v15, s26, v11
	v_lshlrev_b32_e32 v15, 20, v22
	v_or_b32_e32 v23, v11, v15
	v_mov_b32_e32 v22, v5
.LBB191_172:                            ;   in Loop: Header=BB191_150 Depth=1
	s_or_b64 exec, exec, s[12:13]
.LBB191_173:                            ;   in Loop: Header=BB191_150 Depth=1
	s_or_b64 exec, exec, s[6:7]
.LBB191_174:                            ;   in Loop: Header=BB191_150 Depth=1
	s_or_b64 exec, exec, s[0:1]
	v_or_b32_e32 v11, v19, v17
	v_or_b32_e32 v15, v18, v16
	v_mul_f32_e32 v41, s18, v11
	v_mul_f32_e32 v44, s17, v15
	v_or_b32_e32 v11, v23, v21
	v_or_b32_e32 v15, v22, v20
	v_add_u32_e32 v45, -3, v32
	v_cmp_eq_u32_e32 vcc, s19, v31
	v_mul_f32_e32 v43, s17, v15
	v_mul_f32_e32 v42, s18, v11
	v_add_u32_e32 v47, -2, v32
	v_add_u32_e32 v46, -1, v32
	s_and_saveexec_b64 s[6:7], vcc
; %bb.175:                              ;   in Loop: Header=BB191_150 Depth=1
	v_cmp_gt_i32_e64 s[0:1], s30, v45
	v_cndmask_b32_e64 v44, 0, v44, s[0:1]
	v_cmp_gt_i32_e64 s[0:1], s30, v47
	v_cndmask_b32_e64 v41, 0, v41, s[0:1]
	;; [unrolled: 2-line block ×4, first 2 shown]
; %bb.176:                              ;   in Loop: Header=BB191_150 Depth=1
	s_or_b64 exec, exec, s[6:7]
	global_load_dword v15, v[13:14], off offset:256
	v_mov_b32_e32 v18, 0
	v_mov_b32_e32 v16, 0
	;; [unrolled: 1-line block ×4, first 2 shown]
	s_waitcnt vmcnt(0)
	v_cmp_ne_u16_sdwa s[0:1], v15, v5 src0_sel:BYTE_0 src1_sel:DWORD
	s_and_saveexec_b64 s[6:7], s[0:1]
	s_cbranch_execz .LBB191_182
; %bb.177:                              ;   in Loop: Header=BB191_150 Depth=1
	v_bfrev_b32_e32 v16, 1
	v_mov_b32_e32 v17, 0
	v_cmp_ne_u16_sdwa s[0:1], v15, s24 src0_sel:BYTE_0 src1_sel:DWORD
	s_and_saveexec_b64 s[12:13], s[0:1]
	s_cbranch_execz .LBB191_181
; %bb.178:                              ;   in Loop: Header=BB191_150 Depth=1
	v_and_b32_e32 v11, 0x7f, v15
	v_mov_b32_e32 v16, 0x7f800001
	v_mov_b32_e32 v17, 0
	v_cmp_ne_u32_e64 s[0:1], s25, v11
	s_and_saveexec_b64 s[14:15], s[0:1]
	s_cbranch_execz .LBB191_180
; %bb.179:                              ;   in Loop: Header=BB191_150 Depth=1
	v_and_b32_e32 v20, 7, v15
	v_ffbh_u32_e32 v16, v20
	v_min_u32_e32 v22, 32, v16
	v_subrev_u32_e32 v16, 28, v22
	v_lshlrev_b64 v[16:17], v16, v[15:16]
	v_lshrrev_b32_e32 v21, 3, v11
	v_sub_u32_e32 v17, 29, v22
	v_and_b32_e32 v16, 7, v16
	v_cmp_gt_u32_e64 s[0:1], 8, v11
	v_cndmask_b32_e64 v11, v21, v17, s[0:1]
	v_cndmask_b32_e64 v16, v20, v16, s[0:1]
	v_lshlrev_b32_e32 v16, 20, v16
	v_and_b32_sdwa v17, sext(v15), s26 dst_sel:DWORD dst_unused:UNUSED_PAD src0_sel:BYTE_0 src1_sel:DWORD
	v_lshl_add_u32 v11, v11, 23, v33
	v_or3_b32 v16, v17, v11, v16
	v_mov_b32_e32 v17, v5
.LBB191_180:                            ;   in Loop: Header=BB191_150 Depth=1
	s_or_b64 exec, exec, s[14:15]
.LBB191_181:                            ;   in Loop: Header=BB191_150 Depth=1
	s_or_b64 exec, exec, s[12:13]
.LBB191_182:                            ;   in Loop: Header=BB191_150 Depth=1
	s_or_b64 exec, exec, s[6:7]
	v_cmp_ne_u16_sdwa s[0:1], v15, v5 src0_sel:BYTE_1 src1_sel:DWORD
	s_and_saveexec_b64 s[6:7], s[0:1]
	s_cbranch_execz .LBB191_188
; %bb.183:                              ;   in Loop: Header=BB191_150 Depth=1
	v_mov_b32_e32 v19, v6
	v_cmp_ne_u16_sdwa s[0:1], v15, s24 src0_sel:BYTE_1 src1_sel:DWORD
	v_mov_b32_e32 v18, v5
	s_and_saveexec_b64 s[12:13], s[0:1]
	s_cbranch_execz .LBB191_187
; %bb.184:                              ;   in Loop: Header=BB191_150 Depth=1
	v_and_b32_sdwa v20, v15, s25 dst_sel:DWORD dst_unused:UNUSED_PAD src0_sel:BYTE_1 src1_sel:DWORD
	v_mov_b32_e32 v11, v5
	v_mov_b32_e32 v19, v12
	v_cmp_ne_u32_e64 s[0:1], s25, v20
	v_mov_b32_e32 v18, v11
	s_and_saveexec_b64 s[14:15], s[0:1]
	s_cbranch_execz .LBB191_186
; %bb.185:                              ;   in Loop: Header=BB191_150 Depth=1
	v_and_b32_sdwa v18, v15, v39 dst_sel:DWORD dst_unused:UNUSED_PAD src0_sel:BYTE_1 src1_sel:DWORD
	v_ffbh_u32_e32 v21, v18
	v_min_u32_e32 v23, 32, v21
	v_mov_b32_e32 v19, v5
	v_subrev_u32_e32 v21, 28, v23
	v_lshlrev_b64 v[21:22], v21, v[18:19]
	v_lshrrev_b32_e32 v11, 3, v20
	v_sub_u32_e32 v19, 29, v23
	v_cmp_gt_u32_e64 s[0:1], 8, v20
	v_and_b32_e32 v21, 7, v21
	v_cndmask_b32_e64 v11, v11, v19, s[0:1]
	v_cndmask_b32_e64 v18, v18, v21, s[0:1]
	v_lshlrev_b32_e32 v19, 16, v15
	v_lshl_add_u32 v11, v11, 23, v33
	v_and_or_b32 v11, v19, s26, v11
	v_lshlrev_b32_e32 v18, 20, v18
	v_or_b32_e32 v19, v11, v18
	v_mov_b32_e32 v18, v5
.LBB191_186:                            ;   in Loop: Header=BB191_150 Depth=1
	s_or_b64 exec, exec, s[14:15]
.LBB191_187:                            ;   in Loop: Header=BB191_150 Depth=1
	s_or_b64 exec, exec, s[12:13]
.LBB191_188:                            ;   in Loop: Header=BB191_150 Depth=1
	s_or_b64 exec, exec, s[6:7]
	v_lshrrev_b32_e32 v11, 16, v15
	v_mov_b32_e32 v22, 0
	v_mov_b32_e32 v20, 0
	;; [unrolled: 1-line block ×4, first 2 shown]
	v_cmp_ne_u16_sdwa s[0:1], v11, v5 src0_sel:BYTE_0 src1_sel:DWORD
	s_and_saveexec_b64 s[6:7], s[0:1]
	s_cbranch_execz .LBB191_194
; %bb.189:                              ;   in Loop: Header=BB191_150 Depth=1
	v_bfrev_b32_e32 v20, 1
	v_mov_b32_e32 v21, 0
	v_cmp_ne_u16_sdwa s[0:1], v11, s24 src0_sel:BYTE_0 src1_sel:DWORD
	s_and_saveexec_b64 s[12:13], s[0:1]
	s_cbranch_execz .LBB191_193
; %bb.190:                              ;   in Loop: Header=BB191_150 Depth=1
	v_bfe_u32 v48, v15, 16, 7
	v_mov_b32_e32 v20, 0x7f800001
	v_mov_b32_e32 v21, 0
	v_cmp_ne_u32_e64 s[0:1], s25, v48
	s_and_saveexec_b64 s[14:15], s[0:1]
	s_cbranch_execz .LBB191_192
; %bb.191:                              ;   in Loop: Header=BB191_150 Depth=1
	v_and_b32_e32 v28, 7, v11
	v_ffbh_u32_e32 v20, v28
	v_min_u32_e32 v49, 32, v20
	v_subrev_u32_e32 v20, 28, v49
	v_lshlrev_b64 v[20:21], v20, v[11:12]
	v_lshrrev_b32_e32 v29, 3, v48
	v_sub_u32_e32 v21, 29, v49
	v_and_b32_e32 v20, 7, v20
	v_cmp_gt_u32_e64 s[0:1], 8, v48
	v_cndmask_b32_e64 v21, v29, v21, s[0:1]
	v_cndmask_b32_e64 v20, v28, v20, s[0:1]
	v_lshlrev_b32_e32 v20, 20, v20
	v_and_b32_sdwa v11, sext(v11), s26 dst_sel:DWORD dst_unused:UNUSED_PAD src0_sel:BYTE_0 src1_sel:DWORD
	v_lshl_add_u32 v21, v21, 23, v33
	v_or3_b32 v20, v11, v21, v20
	v_mov_b32_e32 v21, v5
.LBB191_192:                            ;   in Loop: Header=BB191_150 Depth=1
	s_or_b64 exec, exec, s[14:15]
.LBB191_193:                            ;   in Loop: Header=BB191_150 Depth=1
	s_or_b64 exec, exec, s[12:13]
.LBB191_194:                            ;   in Loop: Header=BB191_150 Depth=1
	s_or_b64 exec, exec, s[6:7]
	v_cmp_lt_u32_e64 s[0:1], s27, v15
	s_and_saveexec_b64 s[6:7], s[0:1]
	s_cbranch_execz .LBB191_200
; %bb.195:                              ;   in Loop: Header=BB191_150 Depth=1
	v_mov_b32_e32 v23, v6
	v_cmp_ne_u32_sdwa s[0:1], v15, s24 src0_sel:BYTE_3 src1_sel:DWORD
	v_mov_b32_e32 v22, v5
	s_and_saveexec_b64 s[12:13], s[0:1]
	s_cbranch_execz .LBB191_199
; %bb.196:                              ;   in Loop: Header=BB191_150 Depth=1
	v_bfe_u32 v48, v15, 24, 7
	v_mov_b32_e32 v11, v5
	v_mov_b32_e32 v23, v12
	v_cmp_ne_u32_e64 s[0:1], s25, v48
	v_mov_b32_e32 v22, v11
	s_and_saveexec_b64 s[14:15], s[0:1]
	s_cbranch_execz .LBB191_198
; %bb.197:                              ;   in Loop: Header=BB191_150 Depth=1
	v_and_b32_sdwa v22, v15, v39 dst_sel:DWORD dst_unused:UNUSED_PAD src0_sel:BYTE_3 src1_sel:DWORD
	v_ffbh_u32_e32 v28, v22
	v_min_u32_e32 v28, 32, v28
	v_mov_b32_e32 v23, v5
	v_subrev_u32_e32 v29, 28, v28
	v_lshlrev_b64 v[49:50], v29, v[22:23]
	v_lshrrev_b32_e32 v11, 3, v48
	v_sub_u32_e32 v23, 29, v28
	v_cmp_gt_u32_e64 s[0:1], 8, v48
	v_and_b32_e32 v28, 7, v49
	v_cndmask_b32_e64 v11, v11, v23, s[0:1]
	v_cndmask_b32_e64 v22, v22, v28, s[0:1]
	v_lshlrev_b32_sdwa v15, v40, v15 dst_sel:DWORD dst_unused:UNUSED_PAD src0_sel:DWORD src1_sel:BYTE_3
	v_lshl_add_u32 v11, v11, 23, v33
	v_and_or_b32 v11, v15, s26, v11
	v_lshlrev_b32_e32 v15, 20, v22
	v_or_b32_e32 v23, v11, v15
	v_mov_b32_e32 v22, v5
.LBB191_198:                            ;   in Loop: Header=BB191_150 Depth=1
	s_or_b64 exec, exec, s[14:15]
.LBB191_199:                            ;   in Loop: Header=BB191_150 Depth=1
	s_or_b64 exec, exec, s[12:13]
.LBB191_200:                            ;   in Loop: Header=BB191_150 Depth=1
	s_or_b64 exec, exec, s[6:7]
	v_or_b32_e32 v11, v19, v17
	v_or_b32_e32 v15, v18, v16
	v_mul_f32_e32 v48, s18, v11
	v_mul_f32_e32 v51, s17, v15
	v_or_b32_e32 v11, v23, v21
	v_or_b32_e32 v15, v22, v20
	v_mul_f32_e32 v50, s17, v15
	v_mul_f32_e32 v49, s18, v11
	s_and_saveexec_b64 s[6:7], vcc
; %bb.201:                              ;   in Loop: Header=BB191_150 Depth=1
	v_cmp_gt_i32_e64 s[0:1], s30, v45
	v_cndmask_b32_e64 v51, 0, v51, s[0:1]
	v_cmp_gt_i32_e64 s[0:1], s30, v47
	v_cndmask_b32_e64 v48, 0, v48, s[0:1]
	;; [unrolled: 2-line block ×4, first 2 shown]
; %bb.202:                              ;   in Loop: Header=BB191_150 Depth=1
	s_or_b64 exec, exec, s[6:7]
	global_load_dword v15, v[13:14], off offset:512
	v_mov_b32_e32 v18, 0
	v_mov_b32_e32 v16, 0
	;; [unrolled: 1-line block ×4, first 2 shown]
	s_waitcnt vmcnt(0)
	v_cmp_ne_u16_sdwa s[0:1], v15, v5 src0_sel:BYTE_0 src1_sel:DWORD
	s_and_saveexec_b64 s[6:7], s[0:1]
	s_cbranch_execz .LBB191_208
; %bb.203:                              ;   in Loop: Header=BB191_150 Depth=1
	v_bfrev_b32_e32 v16, 1
	v_mov_b32_e32 v17, 0
	v_cmp_ne_u16_sdwa s[0:1], v15, s24 src0_sel:BYTE_0 src1_sel:DWORD
	s_and_saveexec_b64 s[12:13], s[0:1]
	s_cbranch_execz .LBB191_207
; %bb.204:                              ;   in Loop: Header=BB191_150 Depth=1
	v_and_b32_e32 v11, 0x7f, v15
	v_mov_b32_e32 v16, 0x7f800001
	v_mov_b32_e32 v17, 0
	v_cmp_ne_u32_e64 s[0:1], s25, v11
	s_and_saveexec_b64 s[14:15], s[0:1]
	s_cbranch_execz .LBB191_206
; %bb.205:                              ;   in Loop: Header=BB191_150 Depth=1
	v_and_b32_e32 v20, 7, v15
	v_ffbh_u32_e32 v16, v20
	v_min_u32_e32 v22, 32, v16
	v_subrev_u32_e32 v16, 28, v22
	v_lshlrev_b64 v[16:17], v16, v[15:16]
	v_lshrrev_b32_e32 v21, 3, v11
	v_sub_u32_e32 v17, 29, v22
	v_and_b32_e32 v16, 7, v16
	v_cmp_gt_u32_e64 s[0:1], 8, v11
	v_cndmask_b32_e64 v11, v21, v17, s[0:1]
	v_cndmask_b32_e64 v16, v20, v16, s[0:1]
	v_lshlrev_b32_e32 v16, 20, v16
	v_and_b32_sdwa v17, sext(v15), s26 dst_sel:DWORD dst_unused:UNUSED_PAD src0_sel:BYTE_0 src1_sel:DWORD
	v_lshl_add_u32 v11, v11, 23, v33
	v_or3_b32 v16, v17, v11, v16
	v_mov_b32_e32 v17, v5
.LBB191_206:                            ;   in Loop: Header=BB191_150 Depth=1
	s_or_b64 exec, exec, s[14:15]
.LBB191_207:                            ;   in Loop: Header=BB191_150 Depth=1
	s_or_b64 exec, exec, s[12:13]
.LBB191_208:                            ;   in Loop: Header=BB191_150 Depth=1
	s_or_b64 exec, exec, s[6:7]
	v_cmp_ne_u16_sdwa s[0:1], v15, v5 src0_sel:BYTE_1 src1_sel:DWORD
	s_and_saveexec_b64 s[6:7], s[0:1]
	s_cbranch_execz .LBB191_214
; %bb.209:                              ;   in Loop: Header=BB191_150 Depth=1
	v_mov_b32_e32 v19, v6
	v_cmp_ne_u16_sdwa s[0:1], v15, s24 src0_sel:BYTE_1 src1_sel:DWORD
	v_mov_b32_e32 v18, v5
	s_and_saveexec_b64 s[12:13], s[0:1]
	s_cbranch_execz .LBB191_213
; %bb.210:                              ;   in Loop: Header=BB191_150 Depth=1
	v_and_b32_sdwa v20, v15, s25 dst_sel:DWORD dst_unused:UNUSED_PAD src0_sel:BYTE_1 src1_sel:DWORD
	v_mov_b32_e32 v11, v5
	v_mov_b32_e32 v19, v12
	v_cmp_ne_u32_e64 s[0:1], s25, v20
	v_mov_b32_e32 v18, v11
	s_and_saveexec_b64 s[14:15], s[0:1]
	s_cbranch_execz .LBB191_212
; %bb.211:                              ;   in Loop: Header=BB191_150 Depth=1
	v_and_b32_sdwa v18, v15, v39 dst_sel:DWORD dst_unused:UNUSED_PAD src0_sel:BYTE_1 src1_sel:DWORD
	v_ffbh_u32_e32 v21, v18
	v_min_u32_e32 v23, 32, v21
	v_mov_b32_e32 v19, v5
	v_subrev_u32_e32 v21, 28, v23
	v_lshlrev_b64 v[21:22], v21, v[18:19]
	v_lshrrev_b32_e32 v11, 3, v20
	v_sub_u32_e32 v19, 29, v23
	v_cmp_gt_u32_e64 s[0:1], 8, v20
	v_and_b32_e32 v21, 7, v21
	v_cndmask_b32_e64 v11, v11, v19, s[0:1]
	v_cndmask_b32_e64 v18, v18, v21, s[0:1]
	v_lshlrev_b32_e32 v19, 16, v15
	v_lshl_add_u32 v11, v11, 23, v33
	v_and_or_b32 v11, v19, s26, v11
	v_lshlrev_b32_e32 v18, 20, v18
	v_or_b32_e32 v19, v11, v18
	v_mov_b32_e32 v18, v5
.LBB191_212:                            ;   in Loop: Header=BB191_150 Depth=1
	s_or_b64 exec, exec, s[14:15]
.LBB191_213:                            ;   in Loop: Header=BB191_150 Depth=1
	s_or_b64 exec, exec, s[12:13]
.LBB191_214:                            ;   in Loop: Header=BB191_150 Depth=1
	s_or_b64 exec, exec, s[6:7]
	v_lshrrev_b32_e32 v11, 16, v15
	v_mov_b32_e32 v22, 0
	v_mov_b32_e32 v20, 0
	;; [unrolled: 1-line block ×4, first 2 shown]
	v_cmp_ne_u16_sdwa s[0:1], v11, v5 src0_sel:BYTE_0 src1_sel:DWORD
	s_and_saveexec_b64 s[6:7], s[0:1]
	s_cbranch_execz .LBB191_220
; %bb.215:                              ;   in Loop: Header=BB191_150 Depth=1
	v_bfrev_b32_e32 v20, 1
	v_mov_b32_e32 v21, 0
	v_cmp_ne_u16_sdwa s[0:1], v11, s24 src0_sel:BYTE_0 src1_sel:DWORD
	s_and_saveexec_b64 s[12:13], s[0:1]
	s_cbranch_execz .LBB191_219
; %bb.216:                              ;   in Loop: Header=BB191_150 Depth=1
	v_bfe_u32 v52, v15, 16, 7
	v_mov_b32_e32 v20, 0x7f800001
	v_mov_b32_e32 v21, 0
	v_cmp_ne_u32_e64 s[0:1], s25, v52
	s_and_saveexec_b64 s[14:15], s[0:1]
	s_cbranch_execz .LBB191_218
; %bb.217:                              ;   in Loop: Header=BB191_150 Depth=1
	v_and_b32_e32 v28, 7, v11
	v_ffbh_u32_e32 v20, v28
	v_min_u32_e32 v53, 32, v20
	v_subrev_u32_e32 v20, 28, v53
	v_lshlrev_b64 v[20:21], v20, v[11:12]
	v_lshrrev_b32_e32 v29, 3, v52
	v_sub_u32_e32 v21, 29, v53
	v_and_b32_e32 v20, 7, v20
	v_cmp_gt_u32_e64 s[0:1], 8, v52
	v_cndmask_b32_e64 v21, v29, v21, s[0:1]
	v_cndmask_b32_e64 v20, v28, v20, s[0:1]
	v_lshlrev_b32_e32 v20, 20, v20
	v_and_b32_sdwa v11, sext(v11), s26 dst_sel:DWORD dst_unused:UNUSED_PAD src0_sel:BYTE_0 src1_sel:DWORD
	v_lshl_add_u32 v21, v21, 23, v33
	v_or3_b32 v20, v11, v21, v20
	v_mov_b32_e32 v21, v5
.LBB191_218:                            ;   in Loop: Header=BB191_150 Depth=1
	s_or_b64 exec, exec, s[14:15]
.LBB191_219:                            ;   in Loop: Header=BB191_150 Depth=1
	s_or_b64 exec, exec, s[12:13]
.LBB191_220:                            ;   in Loop: Header=BB191_150 Depth=1
	s_or_b64 exec, exec, s[6:7]
	v_cmp_lt_u32_e64 s[0:1], s27, v15
	s_and_saveexec_b64 s[6:7], s[0:1]
	s_cbranch_execz .LBB191_226
; %bb.221:                              ;   in Loop: Header=BB191_150 Depth=1
	v_mov_b32_e32 v23, v6
	v_cmp_ne_u32_sdwa s[0:1], v15, s24 src0_sel:BYTE_3 src1_sel:DWORD
	v_mov_b32_e32 v22, v5
	s_and_saveexec_b64 s[12:13], s[0:1]
	s_cbranch_execz .LBB191_225
; %bb.222:                              ;   in Loop: Header=BB191_150 Depth=1
	v_bfe_u32 v52, v15, 24, 7
	v_mov_b32_e32 v11, v5
	v_mov_b32_e32 v23, v12
	v_cmp_ne_u32_e64 s[0:1], s25, v52
	v_mov_b32_e32 v22, v11
	s_and_saveexec_b64 s[14:15], s[0:1]
	s_cbranch_execz .LBB191_224
; %bb.223:                              ;   in Loop: Header=BB191_150 Depth=1
	v_and_b32_sdwa v22, v15, v39 dst_sel:DWORD dst_unused:UNUSED_PAD src0_sel:BYTE_3 src1_sel:DWORD
	v_ffbh_u32_e32 v28, v22
	v_min_u32_e32 v28, 32, v28
	v_mov_b32_e32 v23, v5
	v_subrev_u32_e32 v29, 28, v28
	v_lshlrev_b64 v[53:54], v29, v[22:23]
	v_lshrrev_b32_e32 v11, 3, v52
	v_sub_u32_e32 v23, 29, v28
	v_cmp_gt_u32_e64 s[0:1], 8, v52
	v_and_b32_e32 v28, 7, v53
	v_cndmask_b32_e64 v11, v11, v23, s[0:1]
	v_cndmask_b32_e64 v22, v22, v28, s[0:1]
	v_lshlrev_b32_sdwa v15, v40, v15 dst_sel:DWORD dst_unused:UNUSED_PAD src0_sel:DWORD src1_sel:BYTE_3
	v_lshl_add_u32 v11, v11, 23, v33
	v_and_or_b32 v11, v15, s26, v11
	v_lshlrev_b32_e32 v15, 20, v22
	v_or_b32_e32 v23, v11, v15
	v_mov_b32_e32 v22, v5
.LBB191_224:                            ;   in Loop: Header=BB191_150 Depth=1
	s_or_b64 exec, exec, s[14:15]
.LBB191_225:                            ;   in Loop: Header=BB191_150 Depth=1
	s_or_b64 exec, exec, s[12:13]
.LBB191_226:                            ;   in Loop: Header=BB191_150 Depth=1
	s_or_b64 exec, exec, s[6:7]
	v_or_b32_e32 v11, v19, v17
	v_or_b32_e32 v15, v18, v16
	v_mul_f32_e32 v52, s18, v11
	v_mul_f32_e32 v55, s17, v15
	v_or_b32_e32 v11, v23, v21
	v_or_b32_e32 v15, v22, v20
	v_mul_f32_e32 v54, s17, v15
	v_mul_f32_e32 v53, s18, v11
	s_and_saveexec_b64 s[6:7], vcc
; %bb.227:                              ;   in Loop: Header=BB191_150 Depth=1
	v_cmp_gt_i32_e64 s[0:1], s30, v45
	v_cndmask_b32_e64 v55, 0, v55, s[0:1]
	v_cmp_gt_i32_e64 s[0:1], s30, v47
	v_cndmask_b32_e64 v52, 0, v52, s[0:1]
	;; [unrolled: 2-line block ×4, first 2 shown]
; %bb.228:                              ;   in Loop: Header=BB191_150 Depth=1
	s_or_b64 exec, exec, s[6:7]
	global_load_dword v15, v[13:14], off offset:768
	v_mov_b32_e32 v18, 0
	v_mov_b32_e32 v16, 0
	;; [unrolled: 1-line block ×4, first 2 shown]
	s_waitcnt vmcnt(0)
	v_cmp_ne_u16_sdwa s[0:1], v15, v5 src0_sel:BYTE_0 src1_sel:DWORD
	s_and_saveexec_b64 s[6:7], s[0:1]
	s_cbranch_execz .LBB191_234
; %bb.229:                              ;   in Loop: Header=BB191_150 Depth=1
	v_bfrev_b32_e32 v16, 1
	v_mov_b32_e32 v17, 0
	v_cmp_ne_u16_sdwa s[0:1], v15, s24 src0_sel:BYTE_0 src1_sel:DWORD
	s_and_saveexec_b64 s[12:13], s[0:1]
	s_cbranch_execz .LBB191_233
; %bb.230:                              ;   in Loop: Header=BB191_150 Depth=1
	v_and_b32_e32 v11, 0x7f, v15
	v_mov_b32_e32 v16, 0x7f800001
	v_mov_b32_e32 v17, 0
	v_cmp_ne_u32_e64 s[0:1], s25, v11
	s_and_saveexec_b64 s[14:15], s[0:1]
	s_cbranch_execz .LBB191_232
; %bb.231:                              ;   in Loop: Header=BB191_150 Depth=1
	v_and_b32_e32 v20, 7, v15
	v_ffbh_u32_e32 v16, v20
	v_min_u32_e32 v22, 32, v16
	v_subrev_u32_e32 v16, 28, v22
	v_lshlrev_b64 v[16:17], v16, v[15:16]
	v_lshrrev_b32_e32 v21, 3, v11
	v_sub_u32_e32 v17, 29, v22
	v_and_b32_e32 v16, 7, v16
	v_cmp_gt_u32_e64 s[0:1], 8, v11
	v_cndmask_b32_e64 v11, v21, v17, s[0:1]
	v_cndmask_b32_e64 v16, v20, v16, s[0:1]
	v_lshlrev_b32_e32 v16, 20, v16
	v_and_b32_sdwa v17, sext(v15), s26 dst_sel:DWORD dst_unused:UNUSED_PAD src0_sel:BYTE_0 src1_sel:DWORD
	v_lshl_add_u32 v11, v11, 23, v33
	v_or3_b32 v16, v17, v11, v16
	v_mov_b32_e32 v17, v5
.LBB191_232:                            ;   in Loop: Header=BB191_150 Depth=1
	s_or_b64 exec, exec, s[14:15]
.LBB191_233:                            ;   in Loop: Header=BB191_150 Depth=1
	s_or_b64 exec, exec, s[12:13]
.LBB191_234:                            ;   in Loop: Header=BB191_150 Depth=1
	s_or_b64 exec, exec, s[6:7]
	v_cmp_ne_u16_sdwa s[0:1], v15, v5 src0_sel:BYTE_1 src1_sel:DWORD
	s_and_saveexec_b64 s[6:7], s[0:1]
	s_cbranch_execz .LBB191_240
; %bb.235:                              ;   in Loop: Header=BB191_150 Depth=1
	v_mov_b32_e32 v19, v6
	v_cmp_ne_u16_sdwa s[0:1], v15, s24 src0_sel:BYTE_1 src1_sel:DWORD
	v_mov_b32_e32 v18, v5
	s_and_saveexec_b64 s[12:13], s[0:1]
	s_cbranch_execz .LBB191_239
; %bb.236:                              ;   in Loop: Header=BB191_150 Depth=1
	v_and_b32_sdwa v20, v15, s25 dst_sel:DWORD dst_unused:UNUSED_PAD src0_sel:BYTE_1 src1_sel:DWORD
	v_mov_b32_e32 v11, v5
	v_mov_b32_e32 v19, v12
	v_cmp_ne_u32_e64 s[0:1], s25, v20
	v_mov_b32_e32 v18, v11
	s_and_saveexec_b64 s[14:15], s[0:1]
	s_cbranch_execz .LBB191_238
; %bb.237:                              ;   in Loop: Header=BB191_150 Depth=1
	v_and_b32_sdwa v18, v15, v39 dst_sel:DWORD dst_unused:UNUSED_PAD src0_sel:BYTE_1 src1_sel:DWORD
	v_ffbh_u32_e32 v21, v18
	v_min_u32_e32 v23, 32, v21
	v_mov_b32_e32 v19, v5
	v_subrev_u32_e32 v21, 28, v23
	v_lshlrev_b64 v[21:22], v21, v[18:19]
	v_lshrrev_b32_e32 v11, 3, v20
	v_sub_u32_e32 v19, 29, v23
	v_cmp_gt_u32_e64 s[0:1], 8, v20
	v_and_b32_e32 v21, 7, v21
	v_cndmask_b32_e64 v11, v11, v19, s[0:1]
	v_cndmask_b32_e64 v18, v18, v21, s[0:1]
	v_lshlrev_b32_e32 v19, 16, v15
	v_lshl_add_u32 v11, v11, 23, v33
	v_and_or_b32 v11, v19, s26, v11
	v_lshlrev_b32_e32 v18, 20, v18
	v_or_b32_e32 v19, v11, v18
	v_mov_b32_e32 v18, v5
.LBB191_238:                            ;   in Loop: Header=BB191_150 Depth=1
	s_or_b64 exec, exec, s[14:15]
.LBB191_239:                            ;   in Loop: Header=BB191_150 Depth=1
	s_or_b64 exec, exec, s[12:13]
.LBB191_240:                            ;   in Loop: Header=BB191_150 Depth=1
	s_or_b64 exec, exec, s[6:7]
	v_lshrrev_b32_e32 v11, 16, v15
	v_mov_b32_e32 v22, 0
	v_mov_b32_e32 v20, 0
	;; [unrolled: 1-line block ×4, first 2 shown]
	v_cmp_ne_u16_sdwa s[0:1], v11, v5 src0_sel:BYTE_0 src1_sel:DWORD
	s_and_saveexec_b64 s[6:7], s[0:1]
	s_cbranch_execz .LBB191_246
; %bb.241:                              ;   in Loop: Header=BB191_150 Depth=1
	v_bfrev_b32_e32 v20, 1
	v_mov_b32_e32 v21, 0
	v_cmp_ne_u16_sdwa s[0:1], v11, s24 src0_sel:BYTE_0 src1_sel:DWORD
	s_and_saveexec_b64 s[12:13], s[0:1]
	s_cbranch_execz .LBB191_245
; %bb.242:                              ;   in Loop: Header=BB191_150 Depth=1
	v_bfe_u32 v56, v15, 16, 7
	v_mov_b32_e32 v20, 0x7f800001
	v_mov_b32_e32 v21, 0
	v_cmp_ne_u32_e64 s[0:1], s25, v56
	s_and_saveexec_b64 s[14:15], s[0:1]
	s_cbranch_execz .LBB191_244
; %bb.243:                              ;   in Loop: Header=BB191_150 Depth=1
	v_and_b32_e32 v28, 7, v11
	v_ffbh_u32_e32 v20, v28
	v_min_u32_e32 v57, 32, v20
	v_subrev_u32_e32 v20, 28, v57
	v_lshlrev_b64 v[20:21], v20, v[11:12]
	v_lshrrev_b32_e32 v29, 3, v56
	v_sub_u32_e32 v21, 29, v57
	v_and_b32_e32 v20, 7, v20
	v_cmp_gt_u32_e64 s[0:1], 8, v56
	v_cndmask_b32_e64 v21, v29, v21, s[0:1]
	v_cndmask_b32_e64 v20, v28, v20, s[0:1]
	v_lshlrev_b32_e32 v20, 20, v20
	v_and_b32_sdwa v11, sext(v11), s26 dst_sel:DWORD dst_unused:UNUSED_PAD src0_sel:BYTE_0 src1_sel:DWORD
	v_lshl_add_u32 v21, v21, 23, v33
	v_or3_b32 v20, v11, v21, v20
	v_mov_b32_e32 v21, v5
.LBB191_244:                            ;   in Loop: Header=BB191_150 Depth=1
	s_or_b64 exec, exec, s[14:15]
.LBB191_245:                            ;   in Loop: Header=BB191_150 Depth=1
	s_or_b64 exec, exec, s[12:13]
.LBB191_246:                            ;   in Loop: Header=BB191_150 Depth=1
	s_or_b64 exec, exec, s[6:7]
	v_cmp_lt_u32_e64 s[0:1], s27, v15
	s_and_saveexec_b64 s[6:7], s[0:1]
	s_cbranch_execz .LBB191_252
; %bb.247:                              ;   in Loop: Header=BB191_150 Depth=1
	v_mov_b32_e32 v23, v6
	v_cmp_ne_u32_sdwa s[0:1], v15, s24 src0_sel:BYTE_3 src1_sel:DWORD
	v_mov_b32_e32 v22, v5
	s_and_saveexec_b64 s[12:13], s[0:1]
	s_cbranch_execz .LBB191_251
; %bb.248:                              ;   in Loop: Header=BB191_150 Depth=1
	v_bfe_u32 v56, v15, 24, 7
	v_mov_b32_e32 v11, v5
	v_mov_b32_e32 v23, v12
	v_cmp_ne_u32_e64 s[0:1], s25, v56
	v_mov_b32_e32 v22, v11
	s_and_saveexec_b64 s[14:15], s[0:1]
	s_cbranch_execz .LBB191_250
; %bb.249:                              ;   in Loop: Header=BB191_150 Depth=1
	v_and_b32_sdwa v22, v15, v39 dst_sel:DWORD dst_unused:UNUSED_PAD src0_sel:BYTE_3 src1_sel:DWORD
	v_ffbh_u32_e32 v28, v22
	v_min_u32_e32 v28, 32, v28
	v_mov_b32_e32 v23, v5
	v_subrev_u32_e32 v29, 28, v28
	v_lshlrev_b64 v[57:58], v29, v[22:23]
	v_lshrrev_b32_e32 v11, 3, v56
	v_sub_u32_e32 v23, 29, v28
	v_cmp_gt_u32_e64 s[0:1], 8, v56
	v_and_b32_e32 v28, 7, v57
	v_cndmask_b32_e64 v11, v11, v23, s[0:1]
	v_cndmask_b32_e64 v22, v22, v28, s[0:1]
	v_lshlrev_b32_sdwa v15, v40, v15 dst_sel:DWORD dst_unused:UNUSED_PAD src0_sel:DWORD src1_sel:BYTE_3
	v_lshl_add_u32 v11, v11, 23, v33
	v_and_or_b32 v11, v15, s26, v11
	v_lshlrev_b32_e32 v15, 20, v22
	v_or_b32_e32 v23, v11, v15
	v_mov_b32_e32 v22, v5
.LBB191_250:                            ;   in Loop: Header=BB191_150 Depth=1
	s_or_b64 exec, exec, s[14:15]
.LBB191_251:                            ;   in Loop: Header=BB191_150 Depth=1
	s_or_b64 exec, exec, s[12:13]
.LBB191_252:                            ;   in Loop: Header=BB191_150 Depth=1
	s_or_b64 exec, exec, s[6:7]
	v_or_b32_e32 v11, v19, v17
	v_or_b32_e32 v15, v18, v16
	v_mul_f32_e32 v56, s18, v11
	v_mul_f32_e32 v57, s17, v15
	v_or_b32_e32 v11, v23, v21
	v_or_b32_e32 v15, v22, v20
	v_mul_f32_e32 v23, s17, v15
	v_mul_f32_e32 v22, s18, v11
	s_and_saveexec_b64 s[6:7], vcc
; %bb.253:                              ;   in Loop: Header=BB191_150 Depth=1
	v_cmp_gt_i32_e64 s[0:1], s30, v45
	v_cndmask_b32_e64 v57, 0, v57, s[0:1]
	v_cmp_gt_i32_e64 s[0:1], s30, v47
	v_cndmask_b32_e64 v56, 0, v56, s[0:1]
	v_cmp_gt_i32_e64 s[0:1], s30, v46
	v_cndmask_b32_e64 v23, 0, v23, s[0:1]
	v_cmp_gt_i32_e64 s[0:1], s30, v32
	v_cndmask_b32_e64 v22, 0, v22, s[0:1]
; %bb.254:                              ;   in Loop: Header=BB191_150 Depth=1
	s_or_b64 exec, exec, s[6:7]
	global_load_dword v13, v[13:14], off offset:1024
	v_mov_b32_e32 v16, 0
	v_mov_b32_e32 v14, 0
	v_mov_b32_e32 v17, 0
	v_mov_b32_e32 v15, 0
	s_waitcnt vmcnt(0)
	v_cmp_ne_u16_sdwa s[0:1], v13, v5 src0_sel:BYTE_0 src1_sel:DWORD
	s_and_saveexec_b64 s[6:7], s[0:1]
	s_cbranch_execz .LBB191_260
; %bb.255:                              ;   in Loop: Header=BB191_150 Depth=1
	v_bfrev_b32_e32 v14, 1
	v_mov_b32_e32 v15, 0
	v_cmp_ne_u16_sdwa s[0:1], v13, s24 src0_sel:BYTE_0 src1_sel:DWORD
	s_and_saveexec_b64 s[12:13], s[0:1]
	s_cbranch_execz .LBB191_259
; %bb.256:                              ;   in Loop: Header=BB191_150 Depth=1
	v_and_b32_e32 v11, 0x7f, v13
	v_mov_b32_e32 v14, 0x7f800001
	v_mov_b32_e32 v15, 0
	v_cmp_ne_u32_e64 s[0:1], s25, v11
	s_and_saveexec_b64 s[14:15], s[0:1]
	s_cbranch_execz .LBB191_258
; %bb.257:                              ;   in Loop: Header=BB191_150 Depth=1
	v_and_b32_e32 v18, 7, v13
	v_ffbh_u32_e32 v14, v18
	v_min_u32_e32 v20, 32, v14
	v_subrev_u32_e32 v14, 28, v20
	v_lshlrev_b64 v[14:15], v14, v[13:14]
	v_lshrrev_b32_e32 v19, 3, v11
	v_sub_u32_e32 v15, 29, v20
	v_and_b32_e32 v14, 7, v14
	v_cmp_gt_u32_e64 s[0:1], 8, v11
	v_cndmask_b32_e64 v11, v19, v15, s[0:1]
	v_cndmask_b32_e64 v14, v18, v14, s[0:1]
	v_lshlrev_b32_e32 v14, 20, v14
	v_and_b32_sdwa v15, sext(v13), s26 dst_sel:DWORD dst_unused:UNUSED_PAD src0_sel:BYTE_0 src1_sel:DWORD
	v_lshl_add_u32 v11, v11, 23, v33
	v_or3_b32 v14, v15, v11, v14
	v_mov_b32_e32 v15, v5
.LBB191_258:                            ;   in Loop: Header=BB191_150 Depth=1
	s_or_b64 exec, exec, s[14:15]
.LBB191_259:                            ;   in Loop: Header=BB191_150 Depth=1
	s_or_b64 exec, exec, s[12:13]
.LBB191_260:                            ;   in Loop: Header=BB191_150 Depth=1
	s_or_b64 exec, exec, s[6:7]
	v_cmp_ne_u16_sdwa s[0:1], v13, v5 src0_sel:BYTE_1 src1_sel:DWORD
	s_and_saveexec_b64 s[6:7], s[0:1]
	s_cbranch_execz .LBB191_266
; %bb.261:                              ;   in Loop: Header=BB191_150 Depth=1
	v_mov_b32_e32 v17, v6
	v_cmp_ne_u16_sdwa s[0:1], v13, s24 src0_sel:BYTE_1 src1_sel:DWORD
	v_mov_b32_e32 v16, v5
	s_and_saveexec_b64 s[12:13], s[0:1]
	s_cbranch_execz .LBB191_265
; %bb.262:                              ;   in Loop: Header=BB191_150 Depth=1
	v_and_b32_sdwa v18, v13, s25 dst_sel:DWORD dst_unused:UNUSED_PAD src0_sel:BYTE_1 src1_sel:DWORD
	v_mov_b32_e32 v11, v5
	v_mov_b32_e32 v17, v12
	v_cmp_ne_u32_e64 s[0:1], s25, v18
	v_mov_b32_e32 v16, v11
	s_and_saveexec_b64 s[14:15], s[0:1]
	s_cbranch_execz .LBB191_264
; %bb.263:                              ;   in Loop: Header=BB191_150 Depth=1
	v_and_b32_sdwa v16, v13, v39 dst_sel:DWORD dst_unused:UNUSED_PAD src0_sel:BYTE_1 src1_sel:DWORD
	v_ffbh_u32_e32 v19, v16
	v_min_u32_e32 v21, 32, v19
	v_mov_b32_e32 v17, v5
	v_subrev_u32_e32 v19, 28, v21
	v_lshlrev_b64 v[19:20], v19, v[16:17]
	v_lshrrev_b32_e32 v11, 3, v18
	v_sub_u32_e32 v17, 29, v21
	v_cmp_gt_u32_e64 s[0:1], 8, v18
	v_and_b32_e32 v19, 7, v19
	v_cndmask_b32_e64 v11, v11, v17, s[0:1]
	v_cndmask_b32_e64 v16, v16, v19, s[0:1]
	v_lshlrev_b32_e32 v17, 16, v13
	v_lshl_add_u32 v11, v11, 23, v33
	v_and_or_b32 v11, v17, s26, v11
	v_lshlrev_b32_e32 v16, 20, v16
	v_or_b32_e32 v17, v11, v16
	v_mov_b32_e32 v16, v5
.LBB191_264:                            ;   in Loop: Header=BB191_150 Depth=1
	s_or_b64 exec, exec, s[14:15]
.LBB191_265:                            ;   in Loop: Header=BB191_150 Depth=1
	s_or_b64 exec, exec, s[12:13]
.LBB191_266:                            ;   in Loop: Header=BB191_150 Depth=1
	s_or_b64 exec, exec, s[6:7]
	v_lshrrev_b32_e32 v11, 16, v13
	v_mov_b32_e32 v20, 0
	v_mov_b32_e32 v18, 0
	;; [unrolled: 1-line block ×4, first 2 shown]
	v_cmp_ne_u16_sdwa s[0:1], v11, v5 src0_sel:BYTE_0 src1_sel:DWORD
	s_and_saveexec_b64 s[6:7], s[0:1]
	s_cbranch_execz .LBB191_272
; %bb.267:                              ;   in Loop: Header=BB191_150 Depth=1
	v_bfrev_b32_e32 v18, 1
	v_mov_b32_e32 v19, 0
	v_cmp_ne_u16_sdwa s[0:1], v11, s24 src0_sel:BYTE_0 src1_sel:DWORD
	s_and_saveexec_b64 s[12:13], s[0:1]
	s_cbranch_execz .LBB191_271
; %bb.268:                              ;   in Loop: Header=BB191_150 Depth=1
	v_bfe_u32 v58, v13, 16, 7
	v_mov_b32_e32 v18, 0x7f800001
	v_mov_b32_e32 v19, 0
	v_cmp_ne_u32_e64 s[0:1], s25, v58
	s_and_saveexec_b64 s[14:15], s[0:1]
	s_cbranch_execz .LBB191_270
; %bb.269:                              ;   in Loop: Header=BB191_150 Depth=1
	v_and_b32_e32 v28, 7, v11
	v_ffbh_u32_e32 v18, v28
	v_min_u32_e32 v59, 32, v18
	v_subrev_u32_e32 v18, 28, v59
	v_lshlrev_b64 v[18:19], v18, v[11:12]
	v_lshrrev_b32_e32 v29, 3, v58
	v_sub_u32_e32 v19, 29, v59
	v_and_b32_e32 v18, 7, v18
	v_cmp_gt_u32_e64 s[0:1], 8, v58
	v_cndmask_b32_e64 v19, v29, v19, s[0:1]
	v_cndmask_b32_e64 v18, v28, v18, s[0:1]
	v_lshlrev_b32_e32 v18, 20, v18
	v_and_b32_sdwa v11, sext(v11), s26 dst_sel:DWORD dst_unused:UNUSED_PAD src0_sel:BYTE_0 src1_sel:DWORD
	v_lshl_add_u32 v19, v19, 23, v33
	v_or3_b32 v18, v11, v19, v18
	v_mov_b32_e32 v19, v5
.LBB191_270:                            ;   in Loop: Header=BB191_150 Depth=1
	s_or_b64 exec, exec, s[14:15]
.LBB191_271:                            ;   in Loop: Header=BB191_150 Depth=1
	s_or_b64 exec, exec, s[12:13]
.LBB191_272:                            ;   in Loop: Header=BB191_150 Depth=1
	s_or_b64 exec, exec, s[6:7]
	v_cmp_lt_u32_e64 s[0:1], s27, v13
	s_and_saveexec_b64 s[6:7], s[0:1]
	s_cbranch_execz .LBB191_278
; %bb.273:                              ;   in Loop: Header=BB191_150 Depth=1
	v_mov_b32_e32 v21, v6
	v_cmp_ne_u32_sdwa s[0:1], v13, s24 src0_sel:BYTE_3 src1_sel:DWORD
	v_mov_b32_e32 v20, v5
	s_and_saveexec_b64 s[12:13], s[0:1]
	s_cbranch_execz .LBB191_277
; %bb.274:                              ;   in Loop: Header=BB191_150 Depth=1
	v_bfe_u32 v58, v13, 24, 7
	v_mov_b32_e32 v11, v5
	v_mov_b32_e32 v21, v12
	v_cmp_ne_u32_e64 s[0:1], s25, v58
	v_mov_b32_e32 v20, v11
	s_and_saveexec_b64 s[14:15], s[0:1]
	s_cbranch_execz .LBB191_276
; %bb.275:                              ;   in Loop: Header=BB191_150 Depth=1
	v_and_b32_sdwa v20, v13, v39 dst_sel:DWORD dst_unused:UNUSED_PAD src0_sel:BYTE_3 src1_sel:DWORD
	v_ffbh_u32_e32 v28, v20
	v_min_u32_e32 v28, 32, v28
	v_mov_b32_e32 v21, v5
	v_subrev_u32_e32 v29, 28, v28
	v_lshlrev_b64 v[59:60], v29, v[20:21]
	v_lshrrev_b32_e32 v11, 3, v58
	v_sub_u32_e32 v21, 29, v28
	v_cmp_gt_u32_e64 s[0:1], 8, v58
	v_and_b32_e32 v28, 7, v59
	v_cndmask_b32_e64 v11, v11, v21, s[0:1]
	v_cndmask_b32_e64 v20, v20, v28, s[0:1]
	v_lshlrev_b32_sdwa v13, v40, v13 dst_sel:DWORD dst_unused:UNUSED_PAD src0_sel:DWORD src1_sel:BYTE_3
	v_lshl_add_u32 v11, v11, 23, v33
	v_and_or_b32 v11, v13, s26, v11
	v_lshlrev_b32_e32 v13, 20, v20
	v_or_b32_e32 v21, v11, v13
	v_mov_b32_e32 v20, v5
.LBB191_276:                            ;   in Loop: Header=BB191_150 Depth=1
	s_or_b64 exec, exec, s[14:15]
.LBB191_277:                            ;   in Loop: Header=BB191_150 Depth=1
	s_or_b64 exec, exec, s[12:13]
.LBB191_278:                            ;   in Loop: Header=BB191_150 Depth=1
	s_or_b64 exec, exec, s[6:7]
	v_or_b32_e32 v13, v16, v14
	v_or_b32_e32 v11, v17, v15
	v_mul_f32_e32 v15, s17, v13
	v_or_b32_e32 v13, v21, v19
	v_or_b32_e32 v14, v20, v18
	v_mul_f32_e32 v11, s18, v11
	v_mul_f32_e32 v14, s17, v14
	;; [unrolled: 1-line block ×3, first 2 shown]
	s_and_saveexec_b64 s[0:1], vcc
	s_cbranch_execz .LBB191_149
; %bb.279:                              ;   in Loop: Header=BB191_150 Depth=1
	v_cmp_gt_i32_e32 vcc, s30, v45
	v_cndmask_b32_e32 v15, 0, v15, vcc
	v_cmp_gt_i32_e32 vcc, s30, v47
	v_cndmask_b32_e32 v11, 0, v11, vcc
	;; [unrolled: 2-line block ×4, first 2 shown]
	s_branch .LBB191_149
.LBB191_280:
	s_or_b64 exec, exec, s[4:5]
.LBB191_281:
	s_or_b64 exec, exec, s[2:3]
	ds_bpermute_b32 v2, v26, v37
	ds_bpermute_b32 v1, v26, v36
	ds_bpermute_b32 v3, v26, v35
	ds_bpermute_b32 v4, v26, v34
	ds_bpermute_b32 v7, v26, v27
	s_waitcnt lgkmcnt(4)
	v_add_f32_e32 v2, v37, v2
	s_waitcnt lgkmcnt(3)
	v_add_f32_e32 v1, v36, v1
	ds_bpermute_b32 v6, v25, v2
	s_waitcnt lgkmcnt(3)
	v_add_f32_e32 v3, v35, v3
	s_waitcnt lgkmcnt(2)
	v_add_f32_e32 v4, v34, v4
	s_waitcnt lgkmcnt(1)
	v_add_f32_e32 v7, v27, v7
	ds_bpermute_b32 v5, v25, v1
	ds_bpermute_b32 v8, v25, v3
	;; [unrolled: 1-line block ×4, first 2 shown]
	s_waitcnt lgkmcnt(4)
	v_add_f32_e32 v2, v2, v6
	v_and_b32_e32 v6, 0x3c3, v0
	s_waitcnt lgkmcnt(3)
	v_add_f32_e32 v1, v1, v5
	s_waitcnt lgkmcnt(2)
	v_add_f32_e32 v3, v3, v8
	;; [unrolled: 2-line block ×4, first 2 shown]
	v_cmp_eq_u32_e32 vcc, 64, v6
	s_barrier
	s_and_saveexec_b64 s[0:1], vcc
	s_cbranch_execz .LBB191_283
; %bb.282:
	v_add_u32_e32 v7, 0x150, v24
	ds_write2_b32 v7, v1, v2 offset1:16
	ds_write2_b32 v7, v3, v4 offset0:32 offset1:48
	ds_write_b32 v7, v5 offset:256
.LBB191_283:
	s_or_b64 exec, exec, s[0:1]
	v_cmp_gt_u32_e32 vcc, 64, v0
	s_waitcnt lgkmcnt(0)
	s_barrier
	s_and_saveexec_b64 s[0:1], vcc
	s_cbranch_execz .LBB191_291
; %bb.284:
	buffer_load_dword v7, off, s[44:47], 0 offset:4 ; 4-byte Folded Reload
	v_mov_b32_e32 v0, 0x150
	v_cmp_eq_u32_e32 vcc, 0, v30
	s_waitcnt vmcnt(0)
	v_lshl_add_u32 v0, v7, 2, v0
	s_and_saveexec_b64 s[2:3], vcc
	s_cbranch_execnz .LBB191_294
; %bb.285:
	s_or_b64 exec, exec, s[2:3]
	s_and_saveexec_b64 s[2:3], vcc
	s_cbranch_execnz .LBB191_295
.LBB191_286:
	s_or_b64 exec, exec, s[2:3]
	s_and_saveexec_b64 s[2:3], vcc
	s_cbranch_execnz .LBB191_296
.LBB191_287:
	s_or_b64 exec, exec, s[2:3]
	s_and_saveexec_b64 s[2:3], vcc
	s_cbranch_execnz .LBB191_297
.LBB191_288:
	s_or_b64 exec, exec, s[2:3]
	s_and_saveexec_b64 s[2:3], vcc
	s_cbranch_execz .LBB191_290
.LBB191_289:
	ds_read_b32 v0, v0 offset:256
	s_waitcnt lgkmcnt(0)
	v_add_f32_e32 v5, v5, v0
.LBB191_290:
	s_or_b64 exec, exec, s[2:3]
.LBB191_291:
	s_or_b64 exec, exec, s[0:1]
	v_cmp_eq_u32_e32 vcc, 0, v6
	s_barrier
	s_and_saveexec_b64 s[0:1], vcc
	s_cbranch_execz .LBB191_293
; %bb.292:
	buffer_load_dword v0, off, s[44:47], 0  ; 4-byte Folded Reload
	s_mul_i32 s0, s10, s11
	s_mul_i32 s0, s0, s9
	s_mulk_i32 s0, 0x50
	s_ashr_i32 s1, s0, 31
	s_lshl_b64 s[0:1], s[0:1], 2
	s_add_u32 s2, s22, s0
	s_mul_i32 s0, s11, s20
	s_addc_u32 s3, s23, s1
	s_ashr_i32 s1, s0, 31
	s_lshl_b64 s[0:1], s[0:1], 2
	s_add_u32 s2, s2, s0
	s_mul_i32 s0, s8, 0x50
	s_addc_u32 s3, s3, s1
	s_ashr_i32 s1, s0, 31
	s_lshl_b64 s[0:1], s[0:1], 2
	s_add_u32 s0, s2, s0
	s_addc_u32 s1, s3, s1
	s_waitcnt vmcnt(0)
	global_store_dword v0, v1, s[0:1]
	global_store_dword v0, v2, s[0:1] offset:64
	global_store_dword v0, v3, s[0:1] offset:128
	;; [unrolled: 1-line block ×4, first 2 shown]
.LBB191_293:
	s_endpgm
.LBB191_294:
	ds_read_b32 v7, v0
	s_waitcnt lgkmcnt(0)
	v_add_f32_e32 v1, v1, v7
	s_or_b64 exec, exec, s[2:3]
	s_and_saveexec_b64 s[2:3], vcc
	s_cbranch_execz .LBB191_286
.LBB191_295:
	ds_read_b32 v7, v0 offset:64
	s_waitcnt lgkmcnt(0)
	v_add_f32_e32 v2, v2, v7
	s_or_b64 exec, exec, s[2:3]
	s_and_saveexec_b64 s[2:3], vcc
	s_cbranch_execz .LBB191_287
.LBB191_296:
	ds_read_b32 v7, v0 offset:128
	s_waitcnt lgkmcnt(0)
	v_add_f32_e32 v3, v3, v7
	s_or_b64 exec, exec, s[2:3]
	s_and_saveexec_b64 s[2:3], vcc
	s_cbranch_execz .LBB191_288
.LBB191_297:
	ds_read_b32 v7, v0 offset:192
	s_waitcnt lgkmcnt(0)
	v_add_f32_e32 v4, v4, v7
	s_or_b64 exec, exec, s[2:3]
	s_and_saveexec_b64 s[2:3], vcc
	s_cbranch_execnz .LBB191_289
	s_branch .LBB191_290
	.section	.rodata,"a",@progbits
	.p2align	6, 0x0
	.amdhsa_kernel _ZN4vllm25paged_attention_v1_kernelIfhLi80ELi16ELi128ELNS_18Fp8KVCacheDataTypeE1ELb0EEEvPT_PKS2_PKT0_S8_ifPKiSA_iPKfiiiSC_SC_iiiii
		.amdhsa_group_segment_fixed_size 336
		.amdhsa_private_segment_fixed_size 12
		.amdhsa_kernarg_size 384
		.amdhsa_user_sgpr_count 6
		.amdhsa_user_sgpr_private_segment_buffer 1
		.amdhsa_user_sgpr_dispatch_ptr 0
		.amdhsa_user_sgpr_queue_ptr 0
		.amdhsa_user_sgpr_kernarg_segment_ptr 1
		.amdhsa_user_sgpr_dispatch_id 0
		.amdhsa_user_sgpr_flat_scratch_init 0
		.amdhsa_user_sgpr_private_segment_size 0
		.amdhsa_uses_dynamic_stack 0
		.amdhsa_system_sgpr_private_segment_wavefront_offset 1
		.amdhsa_system_sgpr_workgroup_id_x 1
		.amdhsa_system_sgpr_workgroup_id_y 1
		.amdhsa_system_sgpr_workgroup_id_z 1
		.amdhsa_system_sgpr_workgroup_info 0
		.amdhsa_system_vgpr_workitem_id 0
		.amdhsa_next_free_vgpr 64
		.amdhsa_next_free_sgpr 48
		.amdhsa_reserve_vcc 1
		.amdhsa_reserve_flat_scratch 0
		.amdhsa_float_round_mode_32 0
		.amdhsa_float_round_mode_16_64 0
		.amdhsa_float_denorm_mode_32 3
		.amdhsa_float_denorm_mode_16_64 3
		.amdhsa_dx10_clamp 1
		.amdhsa_ieee_mode 1
		.amdhsa_fp16_overflow 0
		.amdhsa_exception_fp_ieee_invalid_op 0
		.amdhsa_exception_fp_denorm_src 0
		.amdhsa_exception_fp_ieee_div_zero 0
		.amdhsa_exception_fp_ieee_overflow 0
		.amdhsa_exception_fp_ieee_underflow 0
		.amdhsa_exception_fp_ieee_inexact 0
		.amdhsa_exception_int_div_zero 0
	.end_amdhsa_kernel
	.section	.text._ZN4vllm25paged_attention_v1_kernelIfhLi80ELi16ELi128ELNS_18Fp8KVCacheDataTypeE1ELb0EEEvPT_PKS2_PKT0_S8_ifPKiSA_iPKfiiiSC_SC_iiiii,"axG",@progbits,_ZN4vllm25paged_attention_v1_kernelIfhLi80ELi16ELi128ELNS_18Fp8KVCacheDataTypeE1ELb0EEEvPT_PKS2_PKT0_S8_ifPKiSA_iPKfiiiSC_SC_iiiii,comdat
.Lfunc_end191:
	.size	_ZN4vllm25paged_attention_v1_kernelIfhLi80ELi16ELi128ELNS_18Fp8KVCacheDataTypeE1ELb0EEEvPT_PKS2_PKT0_S8_ifPKiSA_iPKfiiiSC_SC_iiiii, .Lfunc_end191-_ZN4vllm25paged_attention_v1_kernelIfhLi80ELi16ELi128ELNS_18Fp8KVCacheDataTypeE1ELb0EEEvPT_PKS2_PKT0_S8_ifPKiSA_iPKfiiiSC_SC_iiiii
                                        ; -- End function
	.set _ZN4vllm25paged_attention_v1_kernelIfhLi80ELi16ELi128ELNS_18Fp8KVCacheDataTypeE1ELb0EEEvPT_PKS2_PKT0_S8_ifPKiSA_iPKfiiiSC_SC_iiiii.num_vgpr, 64
	.set _ZN4vllm25paged_attention_v1_kernelIfhLi80ELi16ELi128ELNS_18Fp8KVCacheDataTypeE1ELb0EEEvPT_PKS2_PKT0_S8_ifPKiSA_iPKfiiiSC_SC_iiiii.num_agpr, 0
	.set _ZN4vllm25paged_attention_v1_kernelIfhLi80ELi16ELi128ELNS_18Fp8KVCacheDataTypeE1ELb0EEEvPT_PKS2_PKT0_S8_ifPKiSA_iPKfiiiSC_SC_iiiii.numbered_sgpr, 48
	.set _ZN4vllm25paged_attention_v1_kernelIfhLi80ELi16ELi128ELNS_18Fp8KVCacheDataTypeE1ELb0EEEvPT_PKS2_PKT0_S8_ifPKiSA_iPKfiiiSC_SC_iiiii.num_named_barrier, 0
	.set _ZN4vllm25paged_attention_v1_kernelIfhLi80ELi16ELi128ELNS_18Fp8KVCacheDataTypeE1ELb0EEEvPT_PKS2_PKT0_S8_ifPKiSA_iPKfiiiSC_SC_iiiii.private_seg_size, 12
	.set _ZN4vllm25paged_attention_v1_kernelIfhLi80ELi16ELi128ELNS_18Fp8KVCacheDataTypeE1ELb0EEEvPT_PKS2_PKT0_S8_ifPKiSA_iPKfiiiSC_SC_iiiii.uses_vcc, 1
	.set _ZN4vllm25paged_attention_v1_kernelIfhLi80ELi16ELi128ELNS_18Fp8KVCacheDataTypeE1ELb0EEEvPT_PKS2_PKT0_S8_ifPKiSA_iPKfiiiSC_SC_iiiii.uses_flat_scratch, 0
	.set _ZN4vllm25paged_attention_v1_kernelIfhLi80ELi16ELi128ELNS_18Fp8KVCacheDataTypeE1ELb0EEEvPT_PKS2_PKT0_S8_ifPKiSA_iPKfiiiSC_SC_iiiii.has_dyn_sized_stack, 0
	.set _ZN4vllm25paged_attention_v1_kernelIfhLi80ELi16ELi128ELNS_18Fp8KVCacheDataTypeE1ELb0EEEvPT_PKS2_PKT0_S8_ifPKiSA_iPKfiiiSC_SC_iiiii.has_recursion, 0
	.set _ZN4vllm25paged_attention_v1_kernelIfhLi80ELi16ELi128ELNS_18Fp8KVCacheDataTypeE1ELb0EEEvPT_PKS2_PKT0_S8_ifPKiSA_iPKfiiiSC_SC_iiiii.has_indirect_call, 0
	.section	.AMDGPU.csdata,"",@progbits
; Kernel info:
; codeLenInByte = 11440
; TotalNumSgprs: 52
; NumVgprs: 64
; ScratchSize: 12
; MemoryBound: 0
; FloatMode: 240
; IeeeMode: 1
; LDSByteSize: 336 bytes/workgroup (compile time only)
; SGPRBlocks: 6
; VGPRBlocks: 15
; NumSGPRsForWavesPerEU: 52
; NumVGPRsForWavesPerEU: 64
; Occupancy: 4
; WaveLimiterHint : 1
; COMPUTE_PGM_RSRC2:SCRATCH_EN: 1
; COMPUTE_PGM_RSRC2:USER_SGPR: 6
; COMPUTE_PGM_RSRC2:TRAP_HANDLER: 0
; COMPUTE_PGM_RSRC2:TGID_X_EN: 1
; COMPUTE_PGM_RSRC2:TGID_Y_EN: 1
; COMPUTE_PGM_RSRC2:TGID_Z_EN: 1
; COMPUTE_PGM_RSRC2:TIDIG_COMP_CNT: 0
	.section	.text._ZN4vllm25paged_attention_v1_kernelIfhLi96ELi16ELi128ELNS_18Fp8KVCacheDataTypeE1ELb0EEEvPT_PKS2_PKT0_S8_ifPKiSA_iPKfiiiSC_SC_iiiii,"axG",@progbits,_ZN4vllm25paged_attention_v1_kernelIfhLi96ELi16ELi128ELNS_18Fp8KVCacheDataTypeE1ELb0EEEvPT_PKS2_PKT0_S8_ifPKiSA_iPKfiiiSC_SC_iiiii,comdat
	.protected	_ZN4vllm25paged_attention_v1_kernelIfhLi96ELi16ELi128ELNS_18Fp8KVCacheDataTypeE1ELb0EEEvPT_PKS2_PKT0_S8_ifPKiSA_iPKfiiiSC_SC_iiiii ; -- Begin function _ZN4vllm25paged_attention_v1_kernelIfhLi96ELi16ELi128ELNS_18Fp8KVCacheDataTypeE1ELb0EEEvPT_PKS2_PKT0_S8_ifPKiSA_iPKfiiiSC_SC_iiiii
	.globl	_ZN4vllm25paged_attention_v1_kernelIfhLi96ELi16ELi128ELNS_18Fp8KVCacheDataTypeE1ELb0EEEvPT_PKS2_PKT0_S8_ifPKiSA_iPKfiiiSC_SC_iiiii
	.p2align	8
	.type	_ZN4vllm25paged_attention_v1_kernelIfhLi96ELi16ELi128ELNS_18Fp8KVCacheDataTypeE1ELb0EEEvPT_PKS2_PKT0_S8_ifPKiSA_iPKfiiiSC_SC_iiiii,@function
_ZN4vllm25paged_attention_v1_kernelIfhLi96ELi16ELi128ELNS_18Fp8KVCacheDataTypeE1ELb0EEEvPT_PKS2_PKT0_S8_ifPKiSA_iPKfiiiSC_SC_iiiii: ; @_ZN4vllm25paged_attention_v1_kernelIfhLi96ELi16ELi128ELNS_18Fp8KVCacheDataTypeE1ELb0EEEvPT_PKS2_PKT0_S8_ifPKiSA_iPKfiiiSC_SC_iiiii
; %bb.0:
	s_mov_b64 s[46:47], s[2:3]
	s_mov_b64 s[44:45], s[0:1]
	s_add_u32 s44, s44, s9
	s_load_dword s9, s[4:5], 0x80
	s_load_dwordx2 s[0:1], s[4:5], 0x30
	s_load_dwordx2 s[30:31], s[4:5], 0x20
	s_addc_u32 s45, s45, 0
	s_mov_b32 s10, s7
	s_ashr_i32 s11, s7, 31
	s_lshl_b64 s[2:3], s[10:11], 2
	s_waitcnt lgkmcnt(0)
	s_add_u32 s0, s0, s2
	s_addc_u32 s1, s1, s3
	s_abs_i32 s2, s30
	v_mov_b32_e32 v11, v0
	v_cvt_f32_u32_e32 v0, s2
	s_sub_i32 s11, 0, s2
	s_abs_i32 s7, s9
	s_xor_b32 s3, s9, s30
	v_rcp_iflag_f32_e32 v0, v0
	s_ashr_i32 s3, s3, 31
	s_mov_b32 s33, 0
	v_mul_f32_e32 v0, 0x4f7ffffe, v0
	v_cvt_u32_f32_e32 v0, v0
	v_readfirstlane_b32 s12, v0
	s_mul_i32 s11, s11, s12
	s_mul_hi_u32 s11, s12, s11
	s_add_i32 s12, s12, s11
	s_mul_hi_u32 s11, s7, s12
	s_mul_i32 s12, s11, s2
	s_sub_i32 s7, s7, s12
	s_add_i32 s12, s11, 1
	s_sub_i32 s13, s7, s2
	s_cmp_ge_u32 s7, s2
	s_cselect_b32 s11, s12, s11
	s_cselect_b32 s7, s13, s7
	s_add_i32 s12, s11, 1
	s_cmp_ge_u32 s7, s2
	s_cselect_b32 s2, s12, s11
	s_xor_b32 s2, s2, s3
	s_sub_i32 s12, s2, s3
	s_abs_i32 s11, s12
	v_cvt_f32_u32_e32 v0, s11
	s_load_dwordx2 s[2:3], s[4:5], 0x40
	s_sub_i32 s7, 0, s11
	s_abs_i32 s16, s6
	v_rcp_iflag_f32_e32 v0, v0
	v_mul_f32_e32 v0, 0x4f7ffffe, v0
	v_cvt_u32_f32_e32 v0, v0
	v_readfirstlane_b32 s13, v0
	s_mul_i32 s7, s7, s13
	s_mul_hi_u32 s7, s13, s7
	s_add_i32 s13, s13, s7
	s_waitcnt lgkmcnt(0)
	s_cmp_eq_u64 s[2:3], 0
	s_mul_hi_u32 s17, s16, s13
	s_cbranch_scc1 .LBB192_2
; %bb.1:
	s_ashr_i32 s7, s6, 31
	s_lshl_b64 s[14:15], s[6:7], 2
	s_add_u32 s2, s2, s14
	s_addc_u32 s3, s3, s15
	s_load_dword s33, s[2:3], 0x0
.LBB192_2:
	s_load_dword s30, s[0:1], 0x0
	s_ashr_i32 s3, s12, 31
	s_load_dwordx4 s[12:15], s[4:5], 0x48
	v_lshrrev_b32_e32 v0, 2, v11
	s_movk_i32 s7, 0x60
	s_ashr_i32 s2, s6, 31
	v_and_b32_e32 v1, 3, v11
	s_mul_i32 s20, s6, 0x60
	v_cmp_gt_u32_e32 vcc, s7, v11
	v_lshlrev_b32_e32 v12, 2, v11
	v_lshlrev_b32_e32 v2, 2, v0
	buffer_store_dword v1, off, s[44:47], 0 offset:20 ; 4-byte Folded Spill
	buffer_store_dword v0, off, s[44:47], 0 offset:28 ; 4-byte Folded Spill
	s_and_saveexec_b64 s[0:1], vcc
	s_cbranch_execz .LBB192_4
; %bb.3:
	s_load_dwordx2 s[18:19], s[4:5], 0x8
	s_waitcnt lgkmcnt(0)
	s_mul_i32 s22, s12, s10
	s_ashr_i32 s23, s22, 31
	s_lshl_b64 s[22:23], s[22:23], 2
	v_and_b32_e32 v1, 3, v11
	s_add_u32 s6, s18, s22
	s_addc_u32 s12, s19, s23
	s_ashr_i32 s21, s20, 31
	s_lshl_b64 s[18:19], s[20:21], 2
	s_add_u32 s18, s6, s18
	s_addc_u32 s19, s12, s19
	global_load_dword v0, v12, s[18:19]
	v_mad_u32_u24 v1, v1, s7, v2
	s_waitcnt vmcnt(0)
	ds_write_b32 v1, v0
.LBB192_4:
	s_or_b64 exec, exec, s[0:1]
	s_waitcnt lgkmcnt(0)
	s_add_i32 s1, s30, 15
	s_ashr_i32 s6, s1, 31
	s_lshr_b32 s6, s6, 28
	s_add_i32 s1, s1, s6
	s_ashr_i32 s21, s1, 4
	s_xor_b32 s1, s2, s3
	s_mul_i32 s2, s17, s11
	s_sub_i32 s2, s16, s2
	s_add_i32 s3, s17, 1
	s_sub_i32 s6, s2, s11
	s_load_dwordx2 s[24:25], s[4:5], 0x28
	s_load_dword s0, s[4:5], 0x38
	s_cmp_ge_u32 s2, s11
	s_cselect_b32 s3, s3, s17
	s_cselect_b32 s2, s6, s2
	s_add_i32 s6, s3, 1
	s_cmp_ge_u32 s2, s11
	s_cselect_b32 s2, s6, s3
	v_lshrrev_b32_e32 v35, 6, v11
	s_xor_b32 s2, s2, s1
	s_waitcnt lgkmcnt(0)
	s_mul_i32 s26, s0, s10
	s_sub_i32 s12, s2, s1
	s_ashr_i32 s27, s26, 31
	v_cmp_gt_i32_e64 s[0:1], s21, v35
	v_cmp_le_i32_e32 vcc, s21, v35
	v_mbcnt_lo_u32_b32 v1, -1, 0
	s_waitcnt vmcnt(0)
	s_barrier
                                        ; implicit-def: $vgpr14
                                        ; implicit-def: $vgpr8
                                        ; implicit-def: $vgpr15
	s_and_saveexec_b64 s[2:3], vcc
	s_xor_b64 s[2:3], exec, s[2:3]
; %bb.5:
	v_mbcnt_hi_u32_b32 v14, -1, v1
	v_and_b32_e32 v8, 64, v14
	v_add_u32_e32 v15, 64, v8
                                        ; implicit-def: $vgpr1
; %bb.6:
	s_or_saveexec_b64 s[6:7], s[2:3]
	buffer_store_dword v2, off, s[44:47], 0 offset:24 ; 4-byte Folded Spill
	s_load_dwordx2 s[22:23], s[4:5], 0x0
	s_load_dwordx2 s[28:29], s[4:5], 0x18
	s_load_dword s11, s[4:5], 0x88
	s_load_dwordx4 s[16:19], s[4:5], 0x58
	v_mov_b32_e32 v41, 0xff7fffff
	s_mul_i32 s12, s12, s14
	v_lshrrev_b32_e32 v13, 4, v11
	buffer_store_dword v11, off, s[44:47], 0 offset:16 ; 4-byte Folded Spill
	s_xor_b64 exec, exec, s[6:7]
	s_cbranch_execz .LBB192_156
; %bb.7:
	buffer_load_dword v4, off, s[44:47], 0 offset:20 ; 4-byte Folded Reload
	s_load_dwordx2 s[2:3], s[4:5], 0x10
	s_ashr_i32 s4, s12, 31
	v_bfe_u32 v0, v11, 2, 4
	v_lshlrev_b32_e32 v2, 4, v0
	v_mbcnt_hi_u32_b32 v5, -1, v1
	s_waitcnt lgkmcnt(0)
	s_add_u32 s2, s2, s12
	s_addc_u32 s3, s3, s4
	v_mov_b32_e32 v3, s3
	v_add_co_u32_e32 v2, vcc, s2, v2
	v_and_b32_e32 v1, 64, v5
	v_addc_co_u32_e32 v3, vcc, 0, v3, vcc
	buffer_store_dword v1, off, s[44:47], 0 offset:44 ; 4-byte Folded Spill
	v_add_u32_e32 v6, 64, v1
	v_xor_b32_e32 v1, 2, v5
	v_cmp_lt_i32_e32 vcc, v1, v6
	v_cndmask_b32_e32 v1, v5, v1, vcc
	v_lshlrev_b32_e32 v1, 2, v1
	buffer_store_dword v1, off, s[44:47], 0 ; 4-byte Folded Spill
	v_xor_b32_e32 v1, 1, v5
	v_cmp_lt_i32_e32 vcc, v1, v6
	v_cndmask_b32_e32 v1, v5, v1, vcc
	v_lshlrev_b32_e32 v1, 2, v1
	buffer_store_dword v1, off, s[44:47], 0 offset:4 ; 4-byte Folded Spill
	s_sub_i32 s40, 1, s30
	v_lshl_or_b32 v44, v35, 4, v0
	v_lshlrev_b32_e32 v0, 2, v0
	v_lshl_or_b32 v0, v35, 6, v0
	buffer_store_dword v12, off, s[44:47], 0 offset:32 ; 4-byte Folded Spill
	buffer_store_dword v5, off, s[44:47], 0 offset:40 ; 4-byte Folded Spill
	s_load_dword s39, s[16:17], 0x0
	v_add_u32_e32 v45, 0x190, v0
	v_and_b32_e32 v0, 60, v13
	s_mov_b32 s38, s13
	v_cmp_neq_f32_e64 s[2:3], s33, 0
	v_mov_b32_e32 v41, 0xff7fffff
	s_mov_b64 s[14:15], 0
	s_movk_i32 s41, 0x80
	s_movk_i32 s42, 0x7f
	v_bfrev_b32_e32 v46, 60
	v_mov_b32_e32 v47, v35
	s_waitcnt vmcnt(5)
	v_add_co_u32_e64 v1, s[4:5], v2, v4
	v_addc_co_u32_e64 v2, s[4:5], 0, v3, s[4:5]
	s_lshl_b64 s[4:5], s[26:27], 2
	s_add_u32 s4, s24, s4
	buffer_store_dword v1, off, s[44:47], 0 offset:8 ; 4-byte Folded Spill
	s_nop 0
	buffer_store_dword v2, off, s[44:47], 0 offset:12 ; 4-byte Folded Spill
	s_addc_u32 s5, s25, s5
	v_mul_u32_u24_e32 v21, 0x60, v4
	buffer_store_dword v13, off, s[44:47], 0 offset:36 ; 4-byte Folded Spill
	v_mov_b32_e32 v1, s5
	v_add_co_u32_e64 v27, s[4:5], s4, v0
	v_cmp_eq_u32_e32 vcc, 0, v4
	v_addc_co_u32_e64 v28, s[4:5], 0, v1, s[4:5]
	ds_read_b128 v[1:4], v21
	ds_read_b128 v[5:8], v21 offset:16
	ds_read_b128 v[9:12], v21 offset:32
	;; [unrolled: 1-line block ×5, first 2 shown]
	s_branch .LBB192_9
.LBB192_8:                              ;   in Loop: Header=BB192_9 Depth=1
	s_or_b64 exec, exec, s[16:17]
	v_add_u32_e32 v47, 2, v47
	v_cmp_le_i32_e64 s[4:5], s21, v47
	s_or_b64 s[14:15], s[4:5], s[14:15]
	v_add_co_u32_e64 v27, s[4:5], 8, v27
	v_add_u32_e32 v44, 32, v44
	v_add_u32_e32 v45, 0x80, v45
	v_addc_co_u32_e64 v28, s[4:5], 0, v28, s[4:5]
	s_andn2_b64 exec, exec, s[14:15]
	s_cbranch_execz .LBB192_155
.LBB192_9:                              ; =>This Inner Loop Header: Depth=1
	global_load_dword v0, v[27:28], off
	buffer_load_dword v25, off, s[44:47], 0 offset:8 ; 4-byte Folded Reload
	buffer_load_dword v26, off, s[44:47], 0 offset:12 ; 4-byte Folded Reload
	v_mov_b32_e32 v48, 0
	s_waitcnt vmcnt(0) lgkmcnt(0)
	v_mad_i64_i32 v[29:30], s[4:5], v0, s38, v[25:26]
	global_load_ubyte v0, v[29:30], off
	s_waitcnt vmcnt(0)
	v_cmp_ne_u16_e64 s[4:5], 0, v0
	s_and_saveexec_b64 s[16:17], s[4:5]
	s_cbranch_execz .LBB192_15
; %bb.10:                               ;   in Loop: Header=BB192_9 Depth=1
	v_cmp_ne_u16_e64 s[4:5], s41, v0
	v_bfrev_b32_e32 v48, 1
	s_and_saveexec_b64 s[34:35], s[4:5]
	s_cbranch_execz .LBB192_14
; %bb.11:                               ;   in Loop: Header=BB192_9 Depth=1
	v_and_b32_e32 v31, 0xffff, v0
	v_and_b32_e32 v32, 0x7f, v31
	v_cmp_ne_u32_e64 s[4:5], s42, v32
	v_mov_b32_e32 v48, 0x7f800001
	s_and_saveexec_b64 s[36:37], s[4:5]
	s_cbranch_execz .LBB192_13
; %bb.12:                               ;   in Loop: Header=BB192_9 Depth=1
	v_and_b32_e32 v36, 7, v31
	v_ffbh_u32_e32 v33, v36
	v_min_u32_e32 v38, 32, v33
	v_subrev_u32_e32 v33, 28, v38
	v_lshlrev_b64 v[33:34], v33, v[31:32]
	v_lshrrev_b32_e32 v37, 3, v32
	v_sub_u32_e32 v31, 29, v38
	v_and_b32_e32 v33, 7, v33
	v_cmp_gt_u32_e64 s[4:5], 8, v32
	v_cndmask_b32_e64 v31, v37, v31, s[4:5]
	v_cndmask_b32_e64 v32, v36, v33, s[4:5]
	v_lshlrev_b32_e32 v0, 24, v0
	v_lshlrev_b32_e32 v32, 20, v32
	v_and_b32_e32 v0, 0x80000000, v0
	v_lshl_add_u32 v31, v31, 23, v46
	v_or3_b32 v48, v0, v31, v32
.LBB192_13:                             ;   in Loop: Header=BB192_9 Depth=1
	s_or_b64 exec, exec, s[36:37]
.LBB192_14:                             ;   in Loop: Header=BB192_9 Depth=1
	s_or_b64 exec, exec, s[34:35]
.LBB192_15:                             ;   in Loop: Header=BB192_9 Depth=1
	s_or_b64 exec, exec, s[16:17]
	global_load_ubyte v0, v[29:30], off offset:4
	v_mov_b32_e32 v49, 0
	v_mov_b32_e32 v50, 0
	s_waitcnt vmcnt(0)
	v_cmp_ne_u16_e64 s[4:5], 0, v0
	s_and_saveexec_b64 s[16:17], s[4:5]
	s_cbranch_execz .LBB192_21
; %bb.16:                               ;   in Loop: Header=BB192_9 Depth=1
	v_cmp_ne_u16_e64 s[4:5], s41, v0
	v_bfrev_b32_e32 v50, 1
	s_and_saveexec_b64 s[34:35], s[4:5]
	s_cbranch_execz .LBB192_20
; %bb.17:                               ;   in Loop: Header=BB192_9 Depth=1
	v_and_b32_e32 v31, 0xffff, v0
	v_and_b32_e32 v32, 0x7f, v31
	v_cmp_ne_u32_e64 s[4:5], s42, v32
	v_mov_b32_e32 v50, 0x7f800001
	s_and_saveexec_b64 s[36:37], s[4:5]
	s_cbranch_execz .LBB192_19
; %bb.18:                               ;   in Loop: Header=BB192_9 Depth=1
	v_and_b32_e32 v36, 7, v31
	v_ffbh_u32_e32 v33, v36
	v_min_u32_e32 v38, 32, v33
	v_subrev_u32_e32 v33, 28, v38
	v_lshlrev_b64 v[33:34], v33, v[31:32]
	v_lshrrev_b32_e32 v37, 3, v32
	v_sub_u32_e32 v31, 29, v38
	v_and_b32_e32 v33, 7, v33
	v_cmp_gt_u32_e64 s[4:5], 8, v32
	v_cndmask_b32_e64 v31, v37, v31, s[4:5]
	v_cndmask_b32_e64 v32, v36, v33, s[4:5]
	v_lshlrev_b32_e32 v0, 24, v0
	v_lshlrev_b32_e32 v32, 20, v32
	v_and_b32_e32 v0, 0x80000000, v0
	v_lshl_add_u32 v31, v31, 23, v46
	v_or3_b32 v50, v0, v31, v32
.LBB192_19:                             ;   in Loop: Header=BB192_9 Depth=1
	s_or_b64 exec, exec, s[36:37]
.LBB192_20:                             ;   in Loop: Header=BB192_9 Depth=1
	s_or_b64 exec, exec, s[34:35]
.LBB192_21:                             ;   in Loop: Header=BB192_9 Depth=1
	s_or_b64 exec, exec, s[16:17]
	global_load_ubyte v0, v[29:30], off offset:8
	s_waitcnt vmcnt(0)
	v_cmp_ne_u16_e64 s[4:5], 0, v0
	s_and_saveexec_b64 s[16:17], s[4:5]
	s_cbranch_execz .LBB192_27
; %bb.22:                               ;   in Loop: Header=BB192_9 Depth=1
	v_cmp_ne_u16_e64 s[4:5], s41, v0
	v_bfrev_b32_e32 v49, 1
	s_and_saveexec_b64 s[34:35], s[4:5]
	s_cbranch_execz .LBB192_26
; %bb.23:                               ;   in Loop: Header=BB192_9 Depth=1
	v_and_b32_e32 v31, 0xffff, v0
	v_and_b32_e32 v32, 0x7f, v31
	v_cmp_ne_u32_e64 s[4:5], s42, v32
	v_mov_b32_e32 v49, 0x7f800001
	s_and_saveexec_b64 s[36:37], s[4:5]
	s_cbranch_execz .LBB192_25
; %bb.24:                               ;   in Loop: Header=BB192_9 Depth=1
	v_and_b32_e32 v36, 7, v31
	v_ffbh_u32_e32 v33, v36
	v_min_u32_e32 v38, 32, v33
	v_subrev_u32_e32 v33, 28, v38
	v_lshlrev_b64 v[33:34], v33, v[31:32]
	v_lshrrev_b32_e32 v37, 3, v32
	v_sub_u32_e32 v31, 29, v38
	v_and_b32_e32 v33, 7, v33
	v_cmp_gt_u32_e64 s[4:5], 8, v32
	v_cndmask_b32_e64 v31, v37, v31, s[4:5]
	v_cndmask_b32_e64 v32, v36, v33, s[4:5]
	v_lshlrev_b32_e32 v0, 24, v0
	v_lshlrev_b32_e32 v32, 20, v32
	v_and_b32_e32 v0, 0x80000000, v0
	v_lshl_add_u32 v31, v31, 23, v46
	v_or3_b32 v49, v0, v31, v32
.LBB192_25:                             ;   in Loop: Header=BB192_9 Depth=1
	s_or_b64 exec, exec, s[36:37]
.LBB192_26:                             ;   in Loop: Header=BB192_9 Depth=1
	s_or_b64 exec, exec, s[34:35]
.LBB192_27:                             ;   in Loop: Header=BB192_9 Depth=1
	s_or_b64 exec, exec, s[16:17]
	global_load_ubyte v0, v[29:30], off offset:12
	v_mov_b32_e32 v51, 0
	v_mov_b32_e32 v52, 0
	s_waitcnt vmcnt(0)
	v_cmp_ne_u16_e64 s[4:5], 0, v0
	s_and_saveexec_b64 s[16:17], s[4:5]
	s_cbranch_execz .LBB192_33
; %bb.28:                               ;   in Loop: Header=BB192_9 Depth=1
	v_cmp_ne_u16_e64 s[4:5], s41, v0
	v_bfrev_b32_e32 v52, 1
	s_and_saveexec_b64 s[34:35], s[4:5]
	s_cbranch_execz .LBB192_32
; %bb.29:                               ;   in Loop: Header=BB192_9 Depth=1
	v_and_b32_e32 v31, 0xffff, v0
	v_and_b32_e32 v32, 0x7f, v31
	v_cmp_ne_u32_e64 s[4:5], s42, v32
	v_mov_b32_e32 v52, 0x7f800001
	s_and_saveexec_b64 s[36:37], s[4:5]
	s_cbranch_execz .LBB192_31
; %bb.30:                               ;   in Loop: Header=BB192_9 Depth=1
	v_and_b32_e32 v36, 7, v31
	v_ffbh_u32_e32 v33, v36
	v_min_u32_e32 v38, 32, v33
	v_subrev_u32_e32 v33, 28, v38
	v_lshlrev_b64 v[33:34], v33, v[31:32]
	v_lshrrev_b32_e32 v37, 3, v32
	v_sub_u32_e32 v31, 29, v38
	v_and_b32_e32 v33, 7, v33
	v_cmp_gt_u32_e64 s[4:5], 8, v32
	v_cndmask_b32_e64 v31, v37, v31, s[4:5]
	v_cndmask_b32_e64 v32, v36, v33, s[4:5]
	v_lshlrev_b32_e32 v0, 24, v0
	v_lshlrev_b32_e32 v32, 20, v32
	v_and_b32_e32 v0, 0x80000000, v0
	v_lshl_add_u32 v31, v31, 23, v46
	v_or3_b32 v52, v0, v31, v32
.LBB192_31:                             ;   in Loop: Header=BB192_9 Depth=1
	s_or_b64 exec, exec, s[36:37]
.LBB192_32:                             ;   in Loop: Header=BB192_9 Depth=1
	s_or_b64 exec, exec, s[34:35]
.LBB192_33:                             ;   in Loop: Header=BB192_9 Depth=1
	s_or_b64 exec, exec, s[16:17]
	global_load_ubyte v0, v[29:30], off offset:256
	s_waitcnt vmcnt(0)
	v_cmp_ne_u16_e64 s[4:5], 0, v0
	s_and_saveexec_b64 s[16:17], s[4:5]
	s_cbranch_execz .LBB192_39
; %bb.34:                               ;   in Loop: Header=BB192_9 Depth=1
	v_cmp_ne_u16_e64 s[4:5], s41, v0
	v_bfrev_b32_e32 v51, 1
	s_and_saveexec_b64 s[34:35], s[4:5]
	s_cbranch_execz .LBB192_38
; %bb.35:                               ;   in Loop: Header=BB192_9 Depth=1
	v_and_b32_e32 v31, 0xffff, v0
	v_and_b32_e32 v32, 0x7f, v31
	v_cmp_ne_u32_e64 s[4:5], s42, v32
	v_mov_b32_e32 v51, 0x7f800001
	s_and_saveexec_b64 s[36:37], s[4:5]
	s_cbranch_execz .LBB192_37
; %bb.36:                               ;   in Loop: Header=BB192_9 Depth=1
	v_and_b32_e32 v36, 7, v31
	v_ffbh_u32_e32 v33, v36
	v_min_u32_e32 v38, 32, v33
	v_subrev_u32_e32 v33, 28, v38
	v_lshlrev_b64 v[33:34], v33, v[31:32]
	v_lshrrev_b32_e32 v37, 3, v32
	v_sub_u32_e32 v31, 29, v38
	v_and_b32_e32 v33, 7, v33
	v_cmp_gt_u32_e64 s[4:5], 8, v32
	v_cndmask_b32_e64 v31, v37, v31, s[4:5]
	v_cndmask_b32_e64 v32, v36, v33, s[4:5]
	v_lshlrev_b32_e32 v0, 24, v0
	v_lshlrev_b32_e32 v32, 20, v32
	v_and_b32_e32 v0, 0x80000000, v0
	v_lshl_add_u32 v31, v31, 23, v46
	v_or3_b32 v51, v0, v31, v32
.LBB192_37:                             ;   in Loop: Header=BB192_9 Depth=1
	s_or_b64 exec, exec, s[36:37]
.LBB192_38:                             ;   in Loop: Header=BB192_9 Depth=1
	s_or_b64 exec, exec, s[34:35]
.LBB192_39:                             ;   in Loop: Header=BB192_9 Depth=1
	s_or_b64 exec, exec, s[16:17]
	global_load_ubyte v0, v[29:30], off offset:260
	v_mov_b32_e32 v53, 0
	v_mov_b32_e32 v54, 0
	s_waitcnt vmcnt(0)
	v_cmp_ne_u16_e64 s[4:5], 0, v0
	s_and_saveexec_b64 s[16:17], s[4:5]
	s_cbranch_execz .LBB192_45
; %bb.40:                               ;   in Loop: Header=BB192_9 Depth=1
	v_cmp_ne_u16_e64 s[4:5], s41, v0
	v_bfrev_b32_e32 v54, 1
	s_and_saveexec_b64 s[34:35], s[4:5]
	s_cbranch_execz .LBB192_44
; %bb.41:                               ;   in Loop: Header=BB192_9 Depth=1
	v_and_b32_e32 v31, 0xffff, v0
	v_and_b32_e32 v32, 0x7f, v31
	v_cmp_ne_u32_e64 s[4:5], s42, v32
	v_mov_b32_e32 v54, 0x7f800001
	s_and_saveexec_b64 s[36:37], s[4:5]
	s_cbranch_execz .LBB192_43
; %bb.42:                               ;   in Loop: Header=BB192_9 Depth=1
	v_and_b32_e32 v36, 7, v31
	v_ffbh_u32_e32 v33, v36
	v_min_u32_e32 v38, 32, v33
	v_subrev_u32_e32 v33, 28, v38
	v_lshlrev_b64 v[33:34], v33, v[31:32]
	v_lshrrev_b32_e32 v37, 3, v32
	v_sub_u32_e32 v31, 29, v38
	v_and_b32_e32 v33, 7, v33
	v_cmp_gt_u32_e64 s[4:5], 8, v32
	v_cndmask_b32_e64 v31, v37, v31, s[4:5]
	v_cndmask_b32_e64 v32, v36, v33, s[4:5]
	v_lshlrev_b32_e32 v0, 24, v0
	v_lshlrev_b32_e32 v32, 20, v32
	v_and_b32_e32 v0, 0x80000000, v0
	v_lshl_add_u32 v31, v31, 23, v46
	v_or3_b32 v54, v0, v31, v32
.LBB192_43:                             ;   in Loop: Header=BB192_9 Depth=1
	s_or_b64 exec, exec, s[36:37]
.LBB192_44:                             ;   in Loop: Header=BB192_9 Depth=1
	s_or_b64 exec, exec, s[34:35]
.LBB192_45:                             ;   in Loop: Header=BB192_9 Depth=1
	s_or_b64 exec, exec, s[16:17]
	global_load_ubyte v0, v[29:30], off offset:264
	s_waitcnt vmcnt(0)
	v_cmp_ne_u16_e64 s[4:5], 0, v0
	s_and_saveexec_b64 s[16:17], s[4:5]
	s_cbranch_execz .LBB192_51
; %bb.46:                               ;   in Loop: Header=BB192_9 Depth=1
	v_cmp_ne_u16_e64 s[4:5], s41, v0
	v_bfrev_b32_e32 v53, 1
	s_and_saveexec_b64 s[34:35], s[4:5]
	s_cbranch_execz .LBB192_50
; %bb.47:                               ;   in Loop: Header=BB192_9 Depth=1
	v_and_b32_e32 v31, 0xffff, v0
	v_and_b32_e32 v32, 0x7f, v31
	v_cmp_ne_u32_e64 s[4:5], s42, v32
	v_mov_b32_e32 v53, 0x7f800001
	s_and_saveexec_b64 s[36:37], s[4:5]
	s_cbranch_execz .LBB192_49
; %bb.48:                               ;   in Loop: Header=BB192_9 Depth=1
	v_and_b32_e32 v36, 7, v31
	v_ffbh_u32_e32 v33, v36
	v_min_u32_e32 v38, 32, v33
	v_subrev_u32_e32 v33, 28, v38
	v_lshlrev_b64 v[33:34], v33, v[31:32]
	v_lshrrev_b32_e32 v37, 3, v32
	v_sub_u32_e32 v31, 29, v38
	v_and_b32_e32 v33, 7, v33
	v_cmp_gt_u32_e64 s[4:5], 8, v32
	v_cndmask_b32_e64 v31, v37, v31, s[4:5]
	v_cndmask_b32_e64 v32, v36, v33, s[4:5]
	v_lshlrev_b32_e32 v0, 24, v0
	v_lshlrev_b32_e32 v32, 20, v32
	v_and_b32_e32 v0, 0x80000000, v0
	v_lshl_add_u32 v31, v31, 23, v46
	v_or3_b32 v53, v0, v31, v32
.LBB192_49:                             ;   in Loop: Header=BB192_9 Depth=1
	s_or_b64 exec, exec, s[36:37]
.LBB192_50:                             ;   in Loop: Header=BB192_9 Depth=1
	s_or_b64 exec, exec, s[34:35]
.LBB192_51:                             ;   in Loop: Header=BB192_9 Depth=1
	s_or_b64 exec, exec, s[16:17]
	global_load_ubyte v0, v[29:30], off offset:268
	v_mov_b32_e32 v55, 0
	v_mov_b32_e32 v56, 0
	s_waitcnt vmcnt(0)
	v_cmp_ne_u16_e64 s[4:5], 0, v0
	s_and_saveexec_b64 s[16:17], s[4:5]
	s_cbranch_execz .LBB192_57
; %bb.52:                               ;   in Loop: Header=BB192_9 Depth=1
	v_cmp_ne_u16_e64 s[4:5], s41, v0
	v_bfrev_b32_e32 v56, 1
	s_and_saveexec_b64 s[34:35], s[4:5]
	s_cbranch_execz .LBB192_56
; %bb.53:                               ;   in Loop: Header=BB192_9 Depth=1
	v_and_b32_e32 v31, 0xffff, v0
	v_and_b32_e32 v32, 0x7f, v31
	v_cmp_ne_u32_e64 s[4:5], s42, v32
	v_mov_b32_e32 v56, 0x7f800001
	s_and_saveexec_b64 s[36:37], s[4:5]
	s_cbranch_execz .LBB192_55
; %bb.54:                               ;   in Loop: Header=BB192_9 Depth=1
	v_and_b32_e32 v36, 7, v31
	v_ffbh_u32_e32 v33, v36
	v_min_u32_e32 v38, 32, v33
	v_subrev_u32_e32 v33, 28, v38
	v_lshlrev_b64 v[33:34], v33, v[31:32]
	v_lshrrev_b32_e32 v37, 3, v32
	v_sub_u32_e32 v31, 29, v38
	v_and_b32_e32 v33, 7, v33
	v_cmp_gt_u32_e64 s[4:5], 8, v32
	v_cndmask_b32_e64 v31, v37, v31, s[4:5]
	v_cndmask_b32_e64 v32, v36, v33, s[4:5]
	v_lshlrev_b32_e32 v0, 24, v0
	v_lshlrev_b32_e32 v32, 20, v32
	v_and_b32_e32 v0, 0x80000000, v0
	v_lshl_add_u32 v31, v31, 23, v46
	v_or3_b32 v56, v0, v31, v32
.LBB192_55:                             ;   in Loop: Header=BB192_9 Depth=1
	s_or_b64 exec, exec, s[36:37]
.LBB192_56:                             ;   in Loop: Header=BB192_9 Depth=1
	s_or_b64 exec, exec, s[34:35]
.LBB192_57:                             ;   in Loop: Header=BB192_9 Depth=1
	s_or_b64 exec, exec, s[16:17]
	global_load_ubyte v0, v[29:30], off offset:512
	s_waitcnt vmcnt(0)
	v_cmp_ne_u16_e64 s[4:5], 0, v0
	s_and_saveexec_b64 s[16:17], s[4:5]
	s_cbranch_execz .LBB192_63
; %bb.58:                               ;   in Loop: Header=BB192_9 Depth=1
	v_cmp_ne_u16_e64 s[4:5], s41, v0
	v_bfrev_b32_e32 v55, 1
	s_and_saveexec_b64 s[34:35], s[4:5]
	s_cbranch_execz .LBB192_62
; %bb.59:                               ;   in Loop: Header=BB192_9 Depth=1
	v_and_b32_e32 v31, 0xffff, v0
	v_and_b32_e32 v32, 0x7f, v31
	v_cmp_ne_u32_e64 s[4:5], s42, v32
	v_mov_b32_e32 v55, 0x7f800001
	s_and_saveexec_b64 s[36:37], s[4:5]
	s_cbranch_execz .LBB192_61
; %bb.60:                               ;   in Loop: Header=BB192_9 Depth=1
	v_and_b32_e32 v36, 7, v31
	v_ffbh_u32_e32 v33, v36
	v_min_u32_e32 v38, 32, v33
	v_subrev_u32_e32 v33, 28, v38
	v_lshlrev_b64 v[33:34], v33, v[31:32]
	v_lshrrev_b32_e32 v37, 3, v32
	v_sub_u32_e32 v31, 29, v38
	v_and_b32_e32 v33, 7, v33
	v_cmp_gt_u32_e64 s[4:5], 8, v32
	v_cndmask_b32_e64 v31, v37, v31, s[4:5]
	v_cndmask_b32_e64 v32, v36, v33, s[4:5]
	v_lshlrev_b32_e32 v0, 24, v0
	v_lshlrev_b32_e32 v32, 20, v32
	v_and_b32_e32 v0, 0x80000000, v0
	v_lshl_add_u32 v31, v31, 23, v46
	v_or3_b32 v55, v0, v31, v32
.LBB192_61:                             ;   in Loop: Header=BB192_9 Depth=1
	s_or_b64 exec, exec, s[36:37]
.LBB192_62:                             ;   in Loop: Header=BB192_9 Depth=1
	s_or_b64 exec, exec, s[34:35]
.LBB192_63:                             ;   in Loop: Header=BB192_9 Depth=1
	s_or_b64 exec, exec, s[16:17]
	global_load_ubyte v32, v[29:30], off offset:516
	v_mov_b32_e32 v57, 0
	v_mov_b32_e32 v58, 0
	s_waitcnt vmcnt(0)
	v_cmp_ne_u16_e64 s[4:5], 0, v32
	s_and_saveexec_b64 s[16:17], s[4:5]
	s_cbranch_execz .LBB192_69
; %bb.64:                               ;   in Loop: Header=BB192_9 Depth=1
	v_cmp_ne_u16_e64 s[4:5], s41, v32
	v_bfrev_b32_e32 v58, 1
	s_and_saveexec_b64 s[34:35], s[4:5]
	s_cbranch_execz .LBB192_68
; %bb.65:                               ;   in Loop: Header=BB192_9 Depth=1
	v_and_b32_e32 v31, 0xffff, v32
	v_and_b32_e32 v0, 0x7f, v31
	v_cmp_ne_u32_e64 s[4:5], s42, v0
	v_mov_b32_e32 v58, 0x7f800001
	s_and_saveexec_b64 s[36:37], s[4:5]
	s_cbranch_execz .LBB192_67
; %bb.66:                               ;   in Loop: Header=BB192_9 Depth=1
	v_and_b32_e32 v36, 7, v31
	v_lshrrev_b32_e32 v37, 3, v0
	v_cmp_gt_u32_e64 s[4:5], 8, v0
	v_ffbh_u32_e32 v0, v36
	v_min_u32_e32 v0, 32, v0
	v_subrev_u32_e32 v33, 28, v0
	v_lshlrev_b64 v[33:34], v33, v[31:32]
	v_sub_u32_e32 v0, 29, v0
	v_and_b32_e32 v31, 7, v33
	v_cndmask_b32_e64 v0, v37, v0, s[4:5]
	v_cndmask_b32_e64 v31, v36, v31, s[4:5]
	v_lshlrev_b32_e32 v32, 24, v32
	v_lshlrev_b32_e32 v31, 20, v31
	v_and_b32_e32 v32, 0x80000000, v32
	v_lshl_add_u32 v0, v0, 23, v46
	v_or3_b32 v58, v32, v0, v31
.LBB192_67:                             ;   in Loop: Header=BB192_9 Depth=1
	s_or_b64 exec, exec, s[36:37]
.LBB192_68:                             ;   in Loop: Header=BB192_9 Depth=1
	s_or_b64 exec, exec, s[34:35]
.LBB192_69:                             ;   in Loop: Header=BB192_9 Depth=1
	s_or_b64 exec, exec, s[16:17]
	global_load_ubyte v0, v[29:30], off offset:520
	s_waitcnt vmcnt(0)
	v_cmp_ne_u16_e64 s[4:5], 0, v0
	s_and_saveexec_b64 s[16:17], s[4:5]
	s_cbranch_execz .LBB192_75
; %bb.70:                               ;   in Loop: Header=BB192_9 Depth=1
	v_cmp_ne_u16_e64 s[4:5], s41, v0
	v_bfrev_b32_e32 v57, 1
	s_and_saveexec_b64 s[34:35], s[4:5]
	s_cbranch_execz .LBB192_74
; %bb.71:                               ;   in Loop: Header=BB192_9 Depth=1
	v_and_b32_e32 v31, 0xffff, v0
	v_and_b32_e32 v32, 0x7f, v31
	v_cmp_ne_u32_e64 s[4:5], s42, v32
	v_mov_b32_e32 v57, 0x7f800001
	s_and_saveexec_b64 s[36:37], s[4:5]
	s_cbranch_execz .LBB192_73
; %bb.72:                               ;   in Loop: Header=BB192_9 Depth=1
	v_and_b32_e32 v33, 7, v31
	v_lshrrev_b32_e32 v34, 3, v32
	v_cmp_gt_u32_e64 s[4:5], 8, v32
	v_ffbh_u32_e32 v32, v33
	v_min_u32_e32 v36, 32, v32
	v_subrev_u32_e32 v32, 28, v36
	v_lshlrev_b64 v[31:32], v32, v[31:32]
	v_sub_u32_e32 v32, 29, v36
	v_and_b32_e32 v31, 7, v31
	v_cndmask_b32_e64 v32, v34, v32, s[4:5]
	v_cndmask_b32_e64 v31, v33, v31, s[4:5]
	v_lshlrev_b32_e32 v0, 24, v0
	v_lshlrev_b32_e32 v31, 20, v31
	v_and_b32_e32 v0, 0x80000000, v0
	v_lshl_add_u32 v32, v32, 23, v46
	v_or3_b32 v57, v0, v32, v31
.LBB192_73:                             ;   in Loop: Header=BB192_9 Depth=1
	s_or_b64 exec, exec, s[36:37]
.LBB192_74:                             ;   in Loop: Header=BB192_9 Depth=1
	s_or_b64 exec, exec, s[34:35]
.LBB192_75:                             ;   in Loop: Header=BB192_9 Depth=1
	s_or_b64 exec, exec, s[16:17]
	global_load_ubyte v32, v[29:30], off offset:524
	v_mov_b32_e32 v59, 0
	v_mov_b32_e32 v60, 0
	s_waitcnt vmcnt(0)
	v_cmp_ne_u16_e64 s[4:5], 0, v32
	s_and_saveexec_b64 s[16:17], s[4:5]
	s_cbranch_execz .LBB192_81
; %bb.76:                               ;   in Loop: Header=BB192_9 Depth=1
	v_cmp_ne_u16_e64 s[4:5], s41, v32
	v_bfrev_b32_e32 v60, 1
	s_and_saveexec_b64 s[34:35], s[4:5]
	s_cbranch_execz .LBB192_80
; %bb.77:                               ;   in Loop: Header=BB192_9 Depth=1
	v_and_b32_e32 v31, 0xffff, v32
	v_and_b32_e32 v0, 0x7f, v31
	v_cmp_ne_u32_e64 s[4:5], s42, v0
	v_mov_b32_e32 v60, 0x7f800001
	s_and_saveexec_b64 s[36:37], s[4:5]
	s_cbranch_execz .LBB192_79
; %bb.78:                               ;   in Loop: Header=BB192_9 Depth=1
	v_and_b32_e32 v36, 7, v31
	v_lshrrev_b32_e32 v37, 3, v0
	v_cmp_gt_u32_e64 s[4:5], 8, v0
	v_ffbh_u32_e32 v0, v36
	v_min_u32_e32 v0, 32, v0
	v_subrev_u32_e32 v33, 28, v0
	v_lshlrev_b64 v[33:34], v33, v[31:32]
	v_sub_u32_e32 v0, 29, v0
	v_and_b32_e32 v31, 7, v33
	v_cndmask_b32_e64 v0, v37, v0, s[4:5]
	v_cndmask_b32_e64 v31, v36, v31, s[4:5]
	v_lshlrev_b32_e32 v32, 24, v32
	v_lshlrev_b32_e32 v31, 20, v31
	v_and_b32_e32 v32, 0x80000000, v32
	v_lshl_add_u32 v0, v0, 23, v46
	v_or3_b32 v60, v32, v0, v31
.LBB192_79:                             ;   in Loop: Header=BB192_9 Depth=1
	s_or_b64 exec, exec, s[36:37]
.LBB192_80:                             ;   in Loop: Header=BB192_9 Depth=1
	s_or_b64 exec, exec, s[34:35]
.LBB192_81:                             ;   in Loop: Header=BB192_9 Depth=1
	s_or_b64 exec, exec, s[16:17]
	global_load_ubyte v0, v[29:30], off offset:768
	s_waitcnt vmcnt(0)
	v_cmp_ne_u16_e64 s[4:5], 0, v0
	s_and_saveexec_b64 s[16:17], s[4:5]
	s_cbranch_execz .LBB192_87
; %bb.82:                               ;   in Loop: Header=BB192_9 Depth=1
	v_cmp_ne_u16_e64 s[4:5], s41, v0
	v_bfrev_b32_e32 v59, 1
	s_and_saveexec_b64 s[34:35], s[4:5]
	s_cbranch_execz .LBB192_86
; %bb.83:                               ;   in Loop: Header=BB192_9 Depth=1
	v_and_b32_e32 v31, 0xffff, v0
	v_and_b32_e32 v32, 0x7f, v31
	v_cmp_ne_u32_e64 s[4:5], s42, v32
	v_mov_b32_e32 v59, 0x7f800001
	s_and_saveexec_b64 s[36:37], s[4:5]
	s_cbranch_execz .LBB192_85
; %bb.84:                               ;   in Loop: Header=BB192_9 Depth=1
	v_and_b32_e32 v33, 7, v31
	v_lshrrev_b32_e32 v34, 3, v32
	v_cmp_gt_u32_e64 s[4:5], 8, v32
	v_ffbh_u32_e32 v32, v33
	v_min_u32_e32 v36, 32, v32
	v_subrev_u32_e32 v32, 28, v36
	v_lshlrev_b64 v[31:32], v32, v[31:32]
	v_sub_u32_e32 v32, 29, v36
	v_and_b32_e32 v31, 7, v31
	v_cndmask_b32_e64 v32, v34, v32, s[4:5]
	v_cndmask_b32_e64 v31, v33, v31, s[4:5]
	v_lshlrev_b32_e32 v0, 24, v0
	v_lshlrev_b32_e32 v31, 20, v31
	v_and_b32_e32 v0, 0x80000000, v0
	v_lshl_add_u32 v32, v32, 23, v46
	v_or3_b32 v59, v0, v32, v31
.LBB192_85:                             ;   in Loop: Header=BB192_9 Depth=1
	s_or_b64 exec, exec, s[36:37]
.LBB192_86:                             ;   in Loop: Header=BB192_9 Depth=1
	s_or_b64 exec, exec, s[34:35]
.LBB192_87:                             ;   in Loop: Header=BB192_9 Depth=1
	s_or_b64 exec, exec, s[16:17]
	global_load_ubyte v32, v[29:30], off offset:772
	v_mov_b32_e32 v61, 0
	v_mov_b32_e32 v62, 0
	s_waitcnt vmcnt(0)
	v_cmp_ne_u16_e64 s[4:5], 0, v32
	s_and_saveexec_b64 s[16:17], s[4:5]
	s_cbranch_execz .LBB192_93
; %bb.88:                               ;   in Loop: Header=BB192_9 Depth=1
	v_cmp_ne_u16_e64 s[4:5], s41, v32
	v_bfrev_b32_e32 v62, 1
	s_and_saveexec_b64 s[34:35], s[4:5]
	s_cbranch_execz .LBB192_92
; %bb.89:                               ;   in Loop: Header=BB192_9 Depth=1
	v_and_b32_e32 v31, 0xffff, v32
	v_and_b32_e32 v0, 0x7f, v31
	v_cmp_ne_u32_e64 s[4:5], s42, v0
	v_mov_b32_e32 v62, 0x7f800001
	s_and_saveexec_b64 s[36:37], s[4:5]
	s_cbranch_execz .LBB192_91
; %bb.90:                               ;   in Loop: Header=BB192_9 Depth=1
	v_and_b32_e32 v36, 7, v31
	v_lshrrev_b32_e32 v37, 3, v0
	v_cmp_gt_u32_e64 s[4:5], 8, v0
	v_ffbh_u32_e32 v0, v36
	v_min_u32_e32 v0, 32, v0
	v_subrev_u32_e32 v33, 28, v0
	v_lshlrev_b64 v[33:34], v33, v[31:32]
	v_sub_u32_e32 v0, 29, v0
	v_and_b32_e32 v31, 7, v33
	v_cndmask_b32_e64 v0, v37, v0, s[4:5]
	v_cndmask_b32_e64 v31, v36, v31, s[4:5]
	v_lshlrev_b32_e32 v32, 24, v32
	v_lshlrev_b32_e32 v31, 20, v31
	v_and_b32_e32 v32, 0x80000000, v32
	v_lshl_add_u32 v0, v0, 23, v46
	v_or3_b32 v62, v32, v0, v31
.LBB192_91:                             ;   in Loop: Header=BB192_9 Depth=1
	s_or_b64 exec, exec, s[36:37]
.LBB192_92:                             ;   in Loop: Header=BB192_9 Depth=1
	s_or_b64 exec, exec, s[34:35]
.LBB192_93:                             ;   in Loop: Header=BB192_9 Depth=1
	s_or_b64 exec, exec, s[16:17]
	global_load_ubyte v0, v[29:30], off offset:776
	s_waitcnt vmcnt(0)
	v_cmp_ne_u16_e64 s[4:5], 0, v0
	s_and_saveexec_b64 s[16:17], s[4:5]
	s_cbranch_execz .LBB192_99
; %bb.94:                               ;   in Loop: Header=BB192_9 Depth=1
	v_cmp_ne_u16_e64 s[4:5], s41, v0
	v_bfrev_b32_e32 v61, 1
	s_and_saveexec_b64 s[34:35], s[4:5]
	s_cbranch_execz .LBB192_98
; %bb.95:                               ;   in Loop: Header=BB192_9 Depth=1
	v_and_b32_e32 v31, 0xffff, v0
	v_and_b32_e32 v32, 0x7f, v31
	v_cmp_ne_u32_e64 s[4:5], s42, v32
	v_mov_b32_e32 v61, 0x7f800001
	s_and_saveexec_b64 s[36:37], s[4:5]
	s_cbranch_execz .LBB192_97
; %bb.96:                               ;   in Loop: Header=BB192_9 Depth=1
	v_and_b32_e32 v33, 7, v31
	v_lshrrev_b32_e32 v34, 3, v32
	v_cmp_gt_u32_e64 s[4:5], 8, v32
	v_ffbh_u32_e32 v32, v33
	v_min_u32_e32 v36, 32, v32
	v_subrev_u32_e32 v32, 28, v36
	v_lshlrev_b64 v[31:32], v32, v[31:32]
	v_sub_u32_e32 v32, 29, v36
	v_and_b32_e32 v31, 7, v31
	v_cndmask_b32_e64 v32, v34, v32, s[4:5]
	v_cndmask_b32_e64 v31, v33, v31, s[4:5]
	v_lshlrev_b32_e32 v0, 24, v0
	v_lshlrev_b32_e32 v31, 20, v31
	v_and_b32_e32 v0, 0x80000000, v0
	v_lshl_add_u32 v32, v32, 23, v46
	v_or3_b32 v61, v0, v32, v31
.LBB192_97:                             ;   in Loop: Header=BB192_9 Depth=1
	s_or_b64 exec, exec, s[36:37]
.LBB192_98:                             ;   in Loop: Header=BB192_9 Depth=1
	s_or_b64 exec, exec, s[34:35]
.LBB192_99:                             ;   in Loop: Header=BB192_9 Depth=1
	s_or_b64 exec, exec, s[16:17]
	global_load_ubyte v32, v[29:30], off offset:780
	v_mov_b32_e32 v63, 0
	v_mov_b32_e32 v37, 0
	s_waitcnt vmcnt(0)
	v_cmp_ne_u16_e64 s[4:5], 0, v32
	s_and_saveexec_b64 s[16:17], s[4:5]
	s_cbranch_execz .LBB192_105
; %bb.100:                              ;   in Loop: Header=BB192_9 Depth=1
	v_cmp_ne_u16_e64 s[4:5], s41, v32
	v_bfrev_b32_e32 v37, 1
	s_and_saveexec_b64 s[34:35], s[4:5]
	s_cbranch_execz .LBB192_104
; %bb.101:                              ;   in Loop: Header=BB192_9 Depth=1
	v_and_b32_e32 v31, 0xffff, v32
	v_and_b32_e32 v0, 0x7f, v31
	v_cmp_ne_u32_e64 s[4:5], s42, v0
	v_mov_b32_e32 v37, 0x7f800001
	s_and_saveexec_b64 s[36:37], s[4:5]
	s_cbranch_execz .LBB192_103
; %bb.102:                              ;   in Loop: Header=BB192_9 Depth=1
	v_and_b32_e32 v36, 7, v31
	v_lshrrev_b32_e32 v37, 3, v0
	v_cmp_gt_u32_e64 s[4:5], 8, v0
	v_ffbh_u32_e32 v0, v36
	v_min_u32_e32 v0, 32, v0
	v_subrev_u32_e32 v33, 28, v0
	v_lshlrev_b64 v[33:34], v33, v[31:32]
	v_sub_u32_e32 v0, 29, v0
	v_and_b32_e32 v31, 7, v33
	v_cndmask_b32_e64 v0, v37, v0, s[4:5]
	v_cndmask_b32_e64 v31, v36, v31, s[4:5]
	v_lshlrev_b32_e32 v32, 24, v32
	v_lshlrev_b32_e32 v31, 20, v31
	v_and_b32_e32 v32, 0x80000000, v32
	v_lshl_add_u32 v0, v0, 23, v46
	v_or3_b32 v37, v32, v0, v31
.LBB192_103:                            ;   in Loop: Header=BB192_9 Depth=1
	s_or_b64 exec, exec, s[36:37]
.LBB192_104:                            ;   in Loop: Header=BB192_9 Depth=1
	s_or_b64 exec, exec, s[34:35]
.LBB192_105:                            ;   in Loop: Header=BB192_9 Depth=1
	s_or_b64 exec, exec, s[16:17]
	global_load_ubyte v0, v[29:30], off offset:1024
	s_waitcnt vmcnt(0)
	v_cmp_ne_u16_e64 s[4:5], 0, v0
	s_and_saveexec_b64 s[16:17], s[4:5]
	s_cbranch_execz .LBB192_111
; %bb.106:                              ;   in Loop: Header=BB192_9 Depth=1
	v_cmp_ne_u16_e64 s[4:5], s41, v0
	v_bfrev_b32_e32 v63, 1
	s_and_saveexec_b64 s[34:35], s[4:5]
	s_cbranch_execz .LBB192_110
; %bb.107:                              ;   in Loop: Header=BB192_9 Depth=1
	v_and_b32_e32 v31, 0xffff, v0
	v_and_b32_e32 v32, 0x7f, v31
	v_cmp_ne_u32_e64 s[4:5], s42, v32
	v_mov_b32_e32 v63, 0x7f800001
	s_and_saveexec_b64 s[36:37], s[4:5]
	s_cbranch_execz .LBB192_109
; %bb.108:                              ;   in Loop: Header=BB192_9 Depth=1
	v_and_b32_e32 v33, 7, v31
	v_lshrrev_b32_e32 v34, 3, v32
	v_cmp_gt_u32_e64 s[4:5], 8, v32
	v_ffbh_u32_e32 v32, v33
	v_min_u32_e32 v36, 32, v32
	v_subrev_u32_e32 v32, 28, v36
	v_lshlrev_b64 v[31:32], v32, v[31:32]
	v_sub_u32_e32 v32, 29, v36
	v_and_b32_e32 v31, 7, v31
	v_cndmask_b32_e64 v32, v34, v32, s[4:5]
	v_cndmask_b32_e64 v31, v33, v31, s[4:5]
	v_lshlrev_b32_e32 v0, 24, v0
	v_lshlrev_b32_e32 v31, 20, v31
	v_and_b32_e32 v0, 0x80000000, v0
	v_lshl_add_u32 v32, v32, 23, v46
	v_or3_b32 v63, v0, v32, v31
.LBB192_109:                            ;   in Loop: Header=BB192_9 Depth=1
	s_or_b64 exec, exec, s[36:37]
.LBB192_110:                            ;   in Loop: Header=BB192_9 Depth=1
	s_or_b64 exec, exec, s[34:35]
.LBB192_111:                            ;   in Loop: Header=BB192_9 Depth=1
	s_or_b64 exec, exec, s[16:17]
	global_load_ubyte v32, v[29:30], off offset:1028
	v_mov_b32_e32 v36, 0
	v_mov_b32_e32 v33, 0
	s_waitcnt vmcnt(0)
	v_cmp_ne_u16_e64 s[4:5], 0, v32
	s_and_saveexec_b64 s[16:17], s[4:5]
	s_cbranch_execz .LBB192_117
; %bb.112:                              ;   in Loop: Header=BB192_9 Depth=1
	v_cmp_ne_u16_e64 s[4:5], s41, v32
	v_bfrev_b32_e32 v33, 1
	s_and_saveexec_b64 s[34:35], s[4:5]
	s_cbranch_execz .LBB192_116
; %bb.113:                              ;   in Loop: Header=BB192_9 Depth=1
	v_and_b32_e32 v31, 0xffff, v32
	v_and_b32_e32 v0, 0x7f, v31
	v_cmp_ne_u32_e64 s[4:5], s42, v0
	v_mov_b32_e32 v33, 0x7f800001
	s_and_saveexec_b64 s[36:37], s[4:5]
	s_cbranch_execz .LBB192_115
; %bb.114:                              ;   in Loop: Header=BB192_9 Depth=1
	v_and_b32_e32 v38, 7, v31
	v_lshrrev_b32_e32 v39, 3, v0
	v_cmp_gt_u32_e64 s[4:5], 8, v0
	v_ffbh_u32_e32 v0, v38
	v_min_u32_e32 v0, 32, v0
	v_subrev_u32_e32 v33, 28, v0
	v_lshlrev_b64 v[33:34], v33, v[31:32]
	v_sub_u32_e32 v0, 29, v0
	v_and_b32_e32 v31, 7, v33
	v_cndmask_b32_e64 v0, v39, v0, s[4:5]
	v_cndmask_b32_e64 v31, v38, v31, s[4:5]
	v_lshlrev_b32_e32 v32, 24, v32
	v_lshlrev_b32_e32 v31, 20, v31
	v_and_b32_e32 v32, 0x80000000, v32
	v_lshl_add_u32 v0, v0, 23, v46
	v_or3_b32 v33, v32, v0, v31
.LBB192_115:                            ;   in Loop: Header=BB192_9 Depth=1
	s_or_b64 exec, exec, s[36:37]
.LBB192_116:                            ;   in Loop: Header=BB192_9 Depth=1
	s_or_b64 exec, exec, s[34:35]
.LBB192_117:                            ;   in Loop: Header=BB192_9 Depth=1
	s_or_b64 exec, exec, s[16:17]
	global_load_ubyte v0, v[29:30], off offset:1032
	s_waitcnt vmcnt(0)
	v_cmp_ne_u16_e64 s[4:5], 0, v0
	s_and_saveexec_b64 s[16:17], s[4:5]
	s_cbranch_execz .LBB192_123
; %bb.118:                              ;   in Loop: Header=BB192_9 Depth=1
	v_cmp_ne_u16_e64 s[4:5], s41, v0
	v_bfrev_b32_e32 v36, 1
	s_and_saveexec_b64 s[34:35], s[4:5]
	s_cbranch_execz .LBB192_122
; %bb.119:                              ;   in Loop: Header=BB192_9 Depth=1
	v_and_b32_e32 v31, 0xffff, v0
	v_and_b32_e32 v32, 0x7f, v31
	v_cmp_ne_u32_e64 s[4:5], s42, v32
	v_mov_b32_e32 v36, 0x7f800001
	s_and_saveexec_b64 s[36:37], s[4:5]
	s_cbranch_execz .LBB192_121
; %bb.120:                              ;   in Loop: Header=BB192_9 Depth=1
	v_and_b32_e32 v34, 7, v31
	v_lshrrev_b32_e32 v36, 3, v32
	v_cmp_gt_u32_e64 s[4:5], 8, v32
	v_ffbh_u32_e32 v32, v34
	v_min_u32_e32 v38, 32, v32
	v_subrev_u32_e32 v32, 28, v38
	v_lshlrev_b64 v[31:32], v32, v[31:32]
	v_sub_u32_e32 v32, 29, v38
	v_and_b32_e32 v31, 7, v31
	v_cndmask_b32_e64 v32, v36, v32, s[4:5]
	v_cndmask_b32_e64 v31, v34, v31, s[4:5]
	v_lshlrev_b32_e32 v0, 24, v0
	v_lshlrev_b32_e32 v31, 20, v31
	v_and_b32_e32 v0, 0x80000000, v0
	v_lshl_add_u32 v32, v32, 23, v46
	v_or3_b32 v36, v0, v32, v31
.LBB192_121:                            ;   in Loop: Header=BB192_9 Depth=1
	s_or_b64 exec, exec, s[36:37]
.LBB192_122:                            ;   in Loop: Header=BB192_9 Depth=1
	s_or_b64 exec, exec, s[34:35]
.LBB192_123:                            ;   in Loop: Header=BB192_9 Depth=1
	s_or_b64 exec, exec, s[16:17]
	global_load_ubyte v39, v[29:30], off offset:1036
	v_mov_b32_e32 v34, 0
	v_mov_b32_e32 v32, 0
	s_waitcnt vmcnt(0)
	v_cmp_ne_u16_e64 s[4:5], 0, v39
	s_and_saveexec_b64 s[16:17], s[4:5]
	s_cbranch_execz .LBB192_129
; %bb.124:                              ;   in Loop: Header=BB192_9 Depth=1
	v_cmp_ne_u16_e64 s[4:5], s41, v39
	v_bfrev_b32_e32 v32, 1
	s_and_saveexec_b64 s[34:35], s[4:5]
	s_cbranch_execz .LBB192_128
; %bb.125:                              ;   in Loop: Header=BB192_9 Depth=1
	v_and_b32_e32 v31, 0xffff, v39
	v_and_b32_e32 v0, 0x7f, v31
	v_cmp_ne_u32_e64 s[4:5], s42, v0
	v_mov_b32_e32 v32, 0x7f800001
	s_and_saveexec_b64 s[36:37], s[4:5]
	s_cbranch_execz .LBB192_127
; %bb.126:                              ;   in Loop: Header=BB192_9 Depth=1
	v_and_b32_e32 v38, 7, v31
	v_lshrrev_b32_e32 v40, 3, v0
	v_cmp_gt_u32_e64 s[4:5], 8, v0
	v_ffbh_u32_e32 v0, v38
	v_min_u32_e32 v0, 32, v0
	v_subrev_u32_e32 v32, 28, v0
	v_lshlrev_b64 v[31:32], v32, v[31:32]
	v_sub_u32_e32 v0, 29, v0
	v_and_b32_e32 v31, 7, v31
	v_cndmask_b32_e64 v0, v40, v0, s[4:5]
	v_cndmask_b32_e64 v31, v38, v31, s[4:5]
	v_lshlrev_b32_e32 v32, 24, v39
	v_lshlrev_b32_e32 v31, 20, v31
	v_and_b32_e32 v32, 0x80000000, v32
	v_lshl_add_u32 v0, v0, 23, v46
	v_or3_b32 v32, v32, v0, v31
.LBB192_127:                            ;   in Loop: Header=BB192_9 Depth=1
	s_or_b64 exec, exec, s[36:37]
.LBB192_128:                            ;   in Loop: Header=BB192_9 Depth=1
	s_or_b64 exec, exec, s[34:35]
.LBB192_129:                            ;   in Loop: Header=BB192_9 Depth=1
	s_or_b64 exec, exec, s[16:17]
	global_load_ubyte v0, v[29:30], off offset:1280
	s_waitcnt vmcnt(0)
	v_cmp_ne_u16_e64 s[4:5], 0, v0
	s_and_saveexec_b64 s[16:17], s[4:5]
	s_cbranch_execz .LBB192_135
; %bb.130:                              ;   in Loop: Header=BB192_9 Depth=1
	v_cmp_ne_u16_e64 s[4:5], s41, v0
	v_bfrev_b32_e32 v34, 1
	s_and_saveexec_b64 s[34:35], s[4:5]
	s_cbranch_execz .LBB192_134
; %bb.131:                              ;   in Loop: Header=BB192_9 Depth=1
	v_and_b32_e32 v31, 0xffff, v0
	v_and_b32_e32 v39, 0x7f, v31
	v_cmp_ne_u32_e64 s[4:5], s42, v39
	v_mov_b32_e32 v34, 0x7f800001
	s_and_saveexec_b64 s[36:37], s[4:5]
	s_cbranch_execz .LBB192_133
; %bb.132:                              ;   in Loop: Header=BB192_9 Depth=1
	v_and_b32_e32 v34, 7, v31
	v_ffbh_u32_e32 v38, v34
	v_min_u32_e32 v42, 32, v38
	v_subrev_u32_e32 v38, 28, v42
	v_lshrrev_b32_e32 v40, 3, v39
	v_cmp_gt_u32_e64 s[4:5], 8, v39
	v_lshlrev_b64 v[38:39], v38, v[31:32]
	v_sub_u32_e32 v31, 29, v42
	v_and_b32_e32 v38, 7, v38
	v_cndmask_b32_e64 v31, v40, v31, s[4:5]
	v_cndmask_b32_e64 v34, v34, v38, s[4:5]
	v_lshlrev_b32_e32 v0, 24, v0
	v_lshlrev_b32_e32 v34, 20, v34
	v_and_b32_e32 v0, 0x80000000, v0
	v_lshl_add_u32 v31, v31, 23, v46
	v_or3_b32 v34, v0, v31, v34
.LBB192_133:                            ;   in Loop: Header=BB192_9 Depth=1
	s_or_b64 exec, exec, s[36:37]
.LBB192_134:                            ;   in Loop: Header=BB192_9 Depth=1
	s_or_b64 exec, exec, s[34:35]
.LBB192_135:                            ;   in Loop: Header=BB192_9 Depth=1
	s_or_b64 exec, exec, s[16:17]
	global_load_ubyte v0, v[29:30], off offset:1284
	v_mov_b32_e32 v40, 0
	v_mov_b32_e32 v39, 0
	s_waitcnt vmcnt(0)
	v_cmp_ne_u16_e64 s[4:5], 0, v0
	s_and_saveexec_b64 s[16:17], s[4:5]
	s_cbranch_execz .LBB192_141
; %bb.136:                              ;   in Loop: Header=BB192_9 Depth=1
	v_cmp_ne_u16_e64 s[4:5], s41, v0
	v_bfrev_b32_e32 v39, 1
	s_and_saveexec_b64 s[34:35], s[4:5]
	s_cbranch_execz .LBB192_140
; %bb.137:                              ;   in Loop: Header=BB192_9 Depth=1
	v_and_b32_e32 v31, 0xffff, v0
	v_and_b32_e32 v38, 0x7f, v31
	v_cmp_ne_u32_e64 s[4:5], s42, v38
	v_mov_b32_e32 v39, 0x7f800001
	s_and_saveexec_b64 s[36:37], s[4:5]
	s_cbranch_execz .LBB192_139
; %bb.138:                              ;   in Loop: Header=BB192_9 Depth=1
	v_and_b32_e32 v42, 7, v31
	v_lshrrev_b32_e32 v43, 3, v38
	v_cmp_gt_u32_e64 s[4:5], 8, v38
	v_ffbh_u32_e32 v38, v42
	v_min_u32_e32 v25, 32, v38
	v_subrev_u32_e32 v26, 28, v25
	v_lshlrev_b64 v[38:39], v26, v[31:32]
	v_sub_u32_e32 v25, 29, v25
	v_and_b32_e32 v26, 7, v38
	v_cndmask_b32_e64 v25, v43, v25, s[4:5]
	v_cndmask_b32_e64 v26, v42, v26, s[4:5]
	v_lshlrev_b32_e32 v0, 24, v0
	v_lshlrev_b32_e32 v26, 20, v26
	v_and_b32_e32 v0, 0x80000000, v0
	v_lshl_add_u32 v25, v25, 23, v46
	v_or3_b32 v39, v0, v25, v26
.LBB192_139:                            ;   in Loop: Header=BB192_9 Depth=1
	s_or_b64 exec, exec, s[36:37]
.LBB192_140:                            ;   in Loop: Header=BB192_9 Depth=1
	s_or_b64 exec, exec, s[34:35]
.LBB192_141:                            ;   in Loop: Header=BB192_9 Depth=1
	s_or_b64 exec, exec, s[16:17]
	global_load_ubyte v0, v[29:30], off offset:1288
	s_waitcnt vmcnt(0)
	v_cmp_ne_u16_e64 s[4:5], 0, v0
	s_and_saveexec_b64 s[16:17], s[4:5]
	s_cbranch_execz .LBB192_147
; %bb.142:                              ;   in Loop: Header=BB192_9 Depth=1
	v_cmp_ne_u16_e64 s[4:5], s41, v0
	v_bfrev_b32_e32 v40, 1
	s_and_saveexec_b64 s[34:35], s[4:5]
	s_cbranch_execz .LBB192_146
; %bb.143:                              ;   in Loop: Header=BB192_9 Depth=1
	v_and_b32_e32 v31, 0xffff, v0
	v_and_b32_e32 v38, 0x7f, v31
	v_cmp_ne_u32_e64 s[4:5], s42, v38
	v_mov_b32_e32 v40, 0x7f800001
	s_and_saveexec_b64 s[36:37], s[4:5]
	s_cbranch_execz .LBB192_145
; %bb.144:                              ;   in Loop: Header=BB192_9 Depth=1
	v_and_b32_e32 v25, 7, v31
	v_lshrrev_b32_e32 v26, 3, v38
	v_cmp_gt_u32_e64 s[4:5], 8, v38
	v_ffbh_u32_e32 v38, v25
	v_min_u32_e32 v38, 32, v38
	v_subrev_u32_e32 v40, 28, v38
	v_lshlrev_b64 v[42:43], v40, v[31:32]
	v_sub_u32_e32 v31, 29, v38
	v_and_b32_e32 v38, 7, v42
	v_cndmask_b32_e64 v26, v26, v31, s[4:5]
	v_cndmask_b32_e64 v25, v25, v38, s[4:5]
	v_lshlrev_b32_e32 v0, 24, v0
	v_lshlrev_b32_e32 v25, 20, v25
	v_and_b32_e32 v0, 0x80000000, v0
	v_lshl_add_u32 v26, v26, 23, v46
	v_or3_b32 v40, v0, v26, v25
.LBB192_145:                            ;   in Loop: Header=BB192_9 Depth=1
	s_or_b64 exec, exec, s[36:37]
.LBB192_146:                            ;   in Loop: Header=BB192_9 Depth=1
	s_or_b64 exec, exec, s[34:35]
.LBB192_147:                            ;   in Loop: Header=BB192_9 Depth=1
	s_or_b64 exec, exec, s[16:17]
	global_load_ubyte v0, v[29:30], off offset:1292
	v_mov_b32_e32 v30, 0
	s_waitcnt vmcnt(0)
	v_cmp_ne_u16_e64 s[4:5], 0, v0
	s_and_saveexec_b64 s[16:17], s[4:5]
	s_cbranch_execz .LBB192_153
; %bb.148:                              ;   in Loop: Header=BB192_9 Depth=1
	v_cmp_ne_u16_e64 s[4:5], s41, v0
	v_bfrev_b32_e32 v30, 1
	s_and_saveexec_b64 s[34:35], s[4:5]
	s_cbranch_execz .LBB192_152
; %bb.149:                              ;   in Loop: Header=BB192_9 Depth=1
	v_and_b32_e32 v29, 0xffff, v0
	v_and_b32_e32 v31, 0x7f, v29
	v_cmp_ne_u32_e64 s[4:5], s42, v31
	v_mov_b32_e32 v30, 0x7f800001
	s_and_saveexec_b64 s[36:37], s[4:5]
	s_cbranch_execz .LBB192_151
; %bb.150:                              ;   in Loop: Header=BB192_9 Depth=1
	v_and_b32_e32 v25, 7, v29
	v_ffbh_u32_e32 v30, v25
	v_lshrrev_b32_e32 v26, 3, v31
	v_cmp_gt_u32_e64 s[4:5], 8, v31
	v_min_u32_e32 v31, 32, v30
	v_subrev_u32_e32 v30, 28, v31
	v_lshlrev_b64 v[29:30], v30, v[29:30]
	v_sub_u32_e32 v30, 29, v31
	v_and_b32_e32 v29, 7, v29
	v_cndmask_b32_e64 v26, v26, v30, s[4:5]
	v_cndmask_b32_e64 v25, v25, v29, s[4:5]
	v_lshlrev_b32_e32 v0, 24, v0
	v_lshlrev_b32_e32 v25, 20, v25
	v_and_b32_e32 v0, 0x80000000, v0
	v_lshl_add_u32 v26, v26, 23, v46
	v_or3_b32 v30, v0, v26, v25
.LBB192_151:                            ;   in Loop: Header=BB192_9 Depth=1
	s_or_b64 exec, exec, s[36:37]
.LBB192_152:                            ;   in Loop: Header=BB192_9 Depth=1
	s_or_b64 exec, exec, s[34:35]
.LBB192_153:                            ;   in Loop: Header=BB192_9 Depth=1
	s_or_b64 exec, exec, s[16:17]
	s_waitcnt lgkmcnt(0)
	v_mul_f32_e32 v50, s39, v50
	v_mul_f32_e32 v48, s39, v48
	;; [unrolled: 1-line block ×4, first 2 shown]
	v_fmac_f32_e32 v50, v1, v48
	v_mul_f32_e32 v52, s39, v52
	v_fmac_f32_e32 v50, v3, v49
	v_mul_f32_e32 v51, s39, v51
	;; [unrolled: 2-line block ×5, first 2 shown]
	v_mul_f32_e32 v55, s39, v56
	v_fmac_f32_e32 v50, v7, v53
	v_fmac_f32_e32 v50, v8, v55
	v_mul_f32_e32 v42, s39, v58
	v_fmac_f32_e32 v50, v9, v43
	v_mul_f32_e32 v0, s39, v40
	v_mul_f32_e32 v40, s39, v57
	v_fmac_f32_e32 v50, v10, v42
	v_mul_f32_e32 v25, s39, v39
	;; [unrolled: 3-line block ×3, first 2 shown]
	v_fmac_f32_e32 v50, v12, v39
	v_mul_f32_e32 v26, s39, v34
	v_mul_f32_e32 v34, s39, v37
	;; [unrolled: 1-line block ×3, first 2 shown]
	v_fmac_f32_e32 v50, v13, v38
	v_mul_f32_e32 v31, s39, v36
	v_mul_f32_e32 v36, s39, v61
	v_fmac_f32_e32 v50, v14, v37
	v_fmac_f32_e32 v50, v15, v36
	v_mul_f32_e32 v29, s39, v32
	v_mul_f32_e32 v32, s39, v33
	;; [unrolled: 1-line block ×3, first 2 shown]
	v_fmac_f32_e32 v50, v16, v34
	v_fmac_f32_e32 v50, v17, v33
	;; [unrolled: 1-line block ×8, first 2 shown]
	buffer_load_dword v0, off, s[44:47], 0  ; 4-byte Folded Reload
	buffer_load_dword v25, off, s[44:47], 0 offset:4 ; 4-byte Folded Reload
	v_mul_f32_e32 v30, s39, v30
	v_fmac_f32_e32 v50, v24, v30
	s_waitcnt vmcnt(1)
	ds_bpermute_b32 v0, v0, v50
	s_waitcnt lgkmcnt(0)
	v_add_f32_e32 v0, v50, v0
	s_waitcnt vmcnt(0)
	ds_bpermute_b32 v29, v25, v0
	s_and_saveexec_b64 s[16:17], vcc
	s_cbranch_execz .LBB192_8
; %bb.154:                              ;   in Loop: Header=BB192_9 Depth=1
	v_add_u32_e32 v25, s40, v44
	v_cvt_f32_i32_e32 v25, v25
	s_waitcnt lgkmcnt(0)
	v_add_f32_e32 v0, v0, v29
	v_cmp_gt_i32_e64 s[4:5], s30, v44
	v_max_f32_e32 v26, v41, v41
	v_mul_f32_e32 v25, s33, v25
	v_cndmask_b32_e64 v25, 0, v25, s[2:3]
	v_fmac_f32_e32 v25, s31, v0
	v_cndmask_b32_e64 v0, 0, v25, s[4:5]
	ds_write_b32 v45, v0
	v_max_f32_e32 v0, v26, v25
	v_cndmask_b32_e64 v41, v41, v0, s[4:5]
	s_branch .LBB192_8
.LBB192_155:
	s_or_b64 exec, exec, s[14:15]
	buffer_load_dword v11, off, s[44:47], 0 offset:16 ; 4-byte Folded Reload
	buffer_load_dword v12, off, s[44:47], 0 offset:32 ; 4-byte Folded Reload
	;; [unrolled: 1-line block ×5, first 2 shown]
	s_waitcnt vmcnt(0)
	v_add_u32_e32 v15, 64, v8
.LBB192_156:
	s_or_b64 exec, exec, s[6:7]
	v_xor_b32_e32 v0, 32, v14
	v_cmp_lt_i32_e32 vcc, v0, v15
	v_cndmask_b32_e32 v0, v14, v0, vcc
	v_lshlrev_b32_e32 v1, 2, v0
	ds_bpermute_b32 v0, v1, v41
	v_xor_b32_e32 v3, 16, v14
	v_max_f32_e32 v2, v41, v41
	v_cmp_lt_i32_e32 vcc, v3, v15
	v_xor_b32_e32 v4, 8, v14
	s_waitcnt lgkmcnt(0)
	v_max_f32_e32 v0, v0, v0
	v_max_f32_e32 v0, v2, v0
	v_cndmask_b32_e32 v2, v14, v3, vcc
	v_lshlrev_b32_e32 v2, 2, v2
	ds_bpermute_b32 v3, v2, v0
	v_cmp_lt_i32_e32 vcc, v4, v15
	v_and_b32_e32 v24, 63, v11
	s_waitcnt lgkmcnt(0)
	v_max_f32_e32 v3, v3, v3
	v_max_f32_e32 v0, v0, v3
	v_cndmask_b32_e32 v3, v14, v4, vcc
	v_lshlrev_b32_e32 v5, 2, v3
	ds_bpermute_b32 v3, v5, v0
	v_xor_b32_e32 v4, 4, v14
	v_cmp_lt_i32_e32 vcc, v4, v15
	s_waitcnt lgkmcnt(0)
	v_max_f32_e32 v3, v3, v3
	v_max_f32_e32 v0, v0, v3
	v_cndmask_b32_e32 v3, v14, v4, vcc
	v_lshlrev_b32_e32 v6, 2, v3
	ds_bpermute_b32 v4, v6, v0
	v_cmp_eq_u32_e32 vcc, 0, v24
	v_lshlrev_b32_e32 v3, 2, v35
	s_and_saveexec_b64 s[2:3], vcc
	s_cbranch_execz .LBB192_158
; %bb.157:
	s_waitcnt lgkmcnt(0)
	v_max_f32_e32 v4, v4, v4
	v_max_f32_e32 v0, v0, v0
	;; [unrolled: 1-line block ×3, first 2 shown]
	ds_write_b32 v3, v0 offset:384
.LBB192_158:
	s_or_b64 exec, exec, s[2:3]
	v_cmp_gt_u32_e64 s[2:3], 2, v24
	v_mov_b32_e32 v0, 0xff7fffff
	s_waitcnt lgkmcnt(0)
	v_lshlrev_b32_e32 v4, 2, v24
	s_waitcnt vmcnt(0)
	s_barrier
	s_and_saveexec_b64 s[4:5], s[2:3]
; %bb.159:
	ds_read_b32 v0, v4 offset:384
; %bb.160:
	s_or_b64 exec, exec, s[4:5]
	v_xor_b32_e32 v7, 1, v14
	v_cmp_lt_i32_e64 s[4:5], v7, v15
	v_cndmask_b32_e64 v7, v14, v7, s[4:5]
	v_lshlrev_b32_e32 v25, 2, v7
	s_waitcnt lgkmcnt(0)
	ds_bpermute_b32 v7, v25, v0
	v_max_f32_e32 v0, v0, v0
	s_lshl_b32 s4, s21, 4
	s_min_i32 s31, s4, s30
	v_cmp_gt_i32_e64 s[4:5], s31, v11
	s_waitcnt lgkmcnt(0)
	v_max_f32_e32 v7, v7, v7
	v_max_f32_e32 v0, v0, v7
	v_lshlrev_b32_e32 v7, 2, v8
	ds_bpermute_b32 v0, v7, v0
	v_mov_b32_e32 v7, 0
	s_and_saveexec_b64 s[14:15], s[4:5]
	s_cbranch_execz .LBB192_164
; %bb.161:
	v_mov_b32_e32 v7, 0x190
	v_lshl_add_u32 v8, v11, 2, v7
	v_mov_b32_e32 v7, 0
	s_mov_b64 s[16:17], 0
	v_mov_b32_e32 v9, v11
.LBB192_162:                            ; =>This Inner Loop Header: Depth=1
	ds_read_b32 v10, v8
	v_add_u32_e32 v9, 0x80, v9
	v_cmp_le_i32_e64 s[6:7], s31, v9
	s_or_b64 s[16:17], s[6:7], s[16:17]
	s_waitcnt lgkmcnt(0)
	v_sub_f32_e32 v10, v10, v0
	v_mul_f32_e32 v10, 0x3fb8aa3b, v10
	v_exp_f32_e32 v10, v10
	ds_write_b32 v8, v10
	v_add_f32_e32 v7, v7, v10
	v_add_u32_e32 v8, 0x200, v8
	s_andn2_b64 exec, exec, s[16:17]
	s_cbranch_execnz .LBB192_162
; %bb.163:
	s_or_b64 exec, exec, s[16:17]
.LBB192_164:
	s_or_b64 exec, exec, s[14:15]
	s_waitcnt lgkmcnt(0)
	ds_bpermute_b32 v0, v1, v7
	s_waitcnt lgkmcnt(0)
	v_add_f32_e32 v0, v7, v0
	ds_bpermute_b32 v1, v2, v0
	v_xor_b32_e32 v2, 2, v14
	v_cmp_lt_i32_e64 s[6:7], v2, v15
	v_cndmask_b32_e64 v2, v14, v2, s[6:7]
	v_lshlrev_b32_e32 v26, 2, v2
	s_waitcnt lgkmcnt(0)
	v_add_f32_e32 v0, v0, v1
	ds_bpermute_b32 v1, v5, v0
	s_waitcnt lgkmcnt(0)
	v_add_f32_e32 v0, v0, v1
	ds_bpermute_b32 v1, v6, v0
	;; [unrolled: 3-line block ×4, first 2 shown]
	s_waitcnt lgkmcnt(0)
	v_add_f32_e32 v0, v0, v1
	s_and_saveexec_b64 s[6:7], vcc
; %bb.165:
	ds_write_b32 v3, v0 offset:392
; %bb.166:
	s_or_b64 exec, exec, s[6:7]
	s_waitcnt lgkmcnt(0)
	s_barrier
	s_and_saveexec_b64 s[6:7], s[2:3]
; %bb.167:
	ds_read_b32 v0, v4 offset:392
; %bb.168:
	s_or_b64 exec, exec, s[6:7]
	s_waitcnt lgkmcnt(0)
	ds_bpermute_b32 v1, v25, v0
	v_lshlrev_b32_e32 v2, 2, v14
	s_waitcnt lgkmcnt(0)
	v_add_f32_e32 v0, v0, v1
	v_and_b32_e32 v1, 0xffffff00, v2
	ds_bpermute_b32 v0, v1, v0
	s_and_saveexec_b64 s[2:3], s[4:5]
	s_cbranch_execz .LBB192_171
; %bb.169:
	s_waitcnt lgkmcnt(0)
	v_add_f32_e32 v1, 0x358637bd, v0
	v_div_scale_f32 v0, s[4:5], v1, v1, 1.0
	v_div_scale_f32 v2, vcc, 1.0, v1, 1.0
	s_mov_b64 s[4:5], 0
	v_rcp_f32_e32 v3, v0
	v_fma_f32 v4, -v0, v3, 1.0
	v_fmac_f32_e32 v3, v4, v3
	v_mul_f32_e32 v4, v2, v3
	v_fma_f32 v5, -v0, v4, v2
	v_fmac_f32_e32 v4, v5, v3
	v_fma_f32 v0, -v0, v4, v2
	v_div_fmas_f32 v2, v0, v3, v4
	v_mov_b32_e32 v0, 0x190
	v_lshl_add_u32 v0, v11, 2, v0
	v_div_fixup_f32 v1, v2, v1, 1.0
.LBB192_170:                            ; =>This Inner Loop Header: Depth=1
	ds_read_b32 v3, v0
	v_add_u32_e32 v11, 0x80, v11
	v_cmp_le_i32_e32 vcc, s31, v11
	s_or_b64 s[4:5], vcc, s[4:5]
	s_waitcnt lgkmcnt(0)
	v_mul_f32_e32 v3, v1, v3
	ds_write_b32 v0, v3
	v_add_u32_e32 v0, 0x200, v0
	s_andn2_b64 exec, exec, s[4:5]
	s_cbranch_execnz .LBB192_170
.LBB192_171:
	s_or_b64 exec, exec, s[2:3]
	v_mov_b32_e32 v38, 0
	v_mov_b32_e32 v31, 0
	;; [unrolled: 1-line block ×6, first 2 shown]
	s_waitcnt lgkmcnt(0)
	s_barrier
	s_and_saveexec_b64 s[2:3], s[0:1]
	s_cbranch_execz .LBB192_331
; %bb.172:
	s_ashr_i32 s0, s12, 31
	s_add_u32 s1, s28, s12
	v_and_b32_e32 v1, 0xfc, v12
	v_and_b32_e32 v0, 12, v12
	v_add_co_u32_e32 v7, vcc, s1, v1
	v_lshlrev_b32_e32 v1, 4, v35
	v_or3_b32 v36, v1, v0, 3
	buffer_load_dword v0, off, s[44:47], 0 offset:20 ; 4-byte Folded Reload
	s_load_dword s17, s[18:19], 0x0
	s_addc_u32 s0, s29, s0
	s_add_i32 s19, s21, -1
	v_mov_b32_e32 v2, s0
	s_lshl_b64 s[0:1], s[26:27], 2
	s_add_u32 s0, s24, s0
	v_addc_co_u32_e32 v8, vcc, 0, v2, vcc
	s_addc_u32 s1, s25, s1
	v_mov_b32_e32 v5, 0
	v_mov_b32_e32 v1, s1
	s_mov_b32 s16, s13
	s_waitcnt lgkmcnt(0)
	s_mov_b32 s18, s17
	s_mov_b64 s[4:5], 0
	s_movk_i32 s24, 0x80
	s_movk_i32 s25, 0x7f
	s_brev_b32 s26, 1
	s_mov_b32 s27, 0xffffff
	v_bfrev_b32_e32 v37, 60
	v_bfrev_b32_e32 v6, 1
	v_mov_b32_e32 v12, 0x7f800001
	v_mov_b32_e32 v40, 7
	;; [unrolled: 1-line block ×9, first 2 shown]
	s_waitcnt vmcnt(0)
	v_lshlrev_b32_e32 v0, 4, v0
	v_lshl_or_b32 v0, v35, 6, v0
	v_add_u32_e32 v39, 0x190, v0
	v_and_b32_e32 v0, 60, v13
	v_add_co_u32_e32 v9, vcc, s0, v0
	v_addc_co_u32_e32 v10, vcc, 0, v1, vcc
	s_branch .LBB192_174
.LBB192_173:                            ;   in Loop: Header=BB192_174 Depth=1
	s_or_b64 exec, exec, s[0:1]
	s_waitcnt lgkmcnt(0)
	v_mul_f32_e32 v15, v1, v61
	v_fmac_f32_e32 v15, v2, v33
	v_fmac_f32_e32 v15, v3, v23
	v_fmac_f32_e32 v15, v4, v22
	v_add_f32_e32 v28, v28, v15
	v_mul_f32_e32 v15, v1, v60
	v_fmac_f32_e32 v15, v2, v57
	v_fmac_f32_e32 v15, v3, v59
	v_fmac_f32_e32 v15, v4, v58
	v_add_f32_e32 v29, v29, v15
	;; [unrolled: 5-line block ×4, first 2 shown]
	v_mul_f32_e32 v15, v1, v45
	v_mul_f32_e32 v1, v1, v14
	v_fmac_f32_e32 v15, v2, v42
	v_fmac_f32_e32 v1, v2, v0
	v_add_u32_e32 v35, 2, v35
	v_fmac_f32_e32 v15, v3, v44
	v_fmac_f32_e32 v1, v3, v13
	v_cmp_le_i32_e32 vcc, s21, v35
	v_fmac_f32_e32 v15, v4, v43
	v_fmac_f32_e32 v1, v4, v11
	s_or_b64 s[4:5], vcc, s[4:5]
	v_add_co_u32_e32 v9, vcc, 8, v9
	v_add_f32_e32 v38, v38, v15
	v_add_f32_e32 v27, v27, v1
	v_add_u32_e32 v36, 32, v36
	v_add_u32_e32 v39, 0x80, v39
	v_addc_co_u32_e32 v10, vcc, 0, v10, vcc
	s_andn2_b64 exec, exec, s[4:5]
	s_cbranch_execz .LBB192_330
.LBB192_174:                            ; =>This Inner Loop Header: Depth=1
	global_load_dword v0, v[9:10], off
	ds_read_b128 v[1:4], v39
	v_mov_b32_e32 v18, 0
	v_mov_b32_e32 v16, 0
	;; [unrolled: 1-line block ×4, first 2 shown]
	s_waitcnt vmcnt(0)
	v_mad_i64_i32 v[13:14], s[0:1], v0, s16, v[7:8]
	global_load_dword v15, v[13:14], off
	s_waitcnt vmcnt(0)
	v_cmp_ne_u16_sdwa s[6:7], v15, v5 src0_sel:BYTE_0 src1_sel:DWORD
	s_and_saveexec_b64 s[0:1], s[6:7]
	s_cbranch_execz .LBB192_180
; %bb.175:                              ;   in Loop: Header=BB192_174 Depth=1
	v_bfrev_b32_e32 v16, 1
	v_mov_b32_e32 v17, 0
	v_cmp_ne_u16_sdwa s[12:13], v15, s24 src0_sel:BYTE_0 src1_sel:DWORD
	s_and_saveexec_b64 s[6:7], s[12:13]
	s_cbranch_execz .LBB192_179
; %bb.176:                              ;   in Loop: Header=BB192_174 Depth=1
	v_and_b32_e32 v0, 0x7f, v15
	v_mov_b32_e32 v16, 0x7f800001
	v_mov_b32_e32 v17, 0
	v_cmp_ne_u32_e32 vcc, s25, v0
	s_and_saveexec_b64 s[12:13], vcc
	s_cbranch_execz .LBB192_178
; %bb.177:                              ;   in Loop: Header=BB192_174 Depth=1
	v_and_b32_e32 v11, 7, v15
	v_ffbh_u32_e32 v16, v11
	v_min_u32_e32 v21, 32, v16
	v_subrev_u32_e32 v16, 28, v21
	v_lshlrev_b64 v[16:17], v16, v[15:16]
	v_lshrrev_b32_e32 v20, 3, v0
	v_sub_u32_e32 v17, 29, v21
	v_and_b32_e32 v16, 7, v16
	v_cmp_gt_u32_e32 vcc, 8, v0
	v_cndmask_b32_e32 v0, v20, v17, vcc
	v_cndmask_b32_e32 v11, v11, v16, vcc
	v_lshlrev_b32_e32 v11, 20, v11
	v_and_b32_sdwa v16, sext(v15), s26 dst_sel:DWORD dst_unused:UNUSED_PAD src0_sel:BYTE_0 src1_sel:DWORD
	v_lshl_add_u32 v0, v0, 23, v37
	v_or3_b32 v16, v16, v0, v11
	v_mov_b32_e32 v17, v5
.LBB192_178:                            ;   in Loop: Header=BB192_174 Depth=1
	s_or_b64 exec, exec, s[12:13]
.LBB192_179:                            ;   in Loop: Header=BB192_174 Depth=1
	s_or_b64 exec, exec, s[6:7]
.LBB192_180:                            ;   in Loop: Header=BB192_174 Depth=1
	s_or_b64 exec, exec, s[0:1]
	v_cmp_ne_u16_sdwa s[6:7], v15, v5 src0_sel:BYTE_1 src1_sel:DWORD
	s_and_saveexec_b64 s[0:1], s[6:7]
	s_cbranch_execz .LBB192_186
; %bb.181:                              ;   in Loop: Header=BB192_174 Depth=1
	v_mov_b32_e32 v19, v6
	v_cmp_ne_u16_sdwa s[12:13], v15, s24 src0_sel:BYTE_1 src1_sel:DWORD
	v_mov_b32_e32 v18, v5
	s_and_saveexec_b64 s[6:7], s[12:13]
	s_cbranch_execz .LBB192_185
; %bb.182:                              ;   in Loop: Header=BB192_174 Depth=1
	v_and_b32_sdwa v0, v15, s25 dst_sel:DWORD dst_unused:UNUSED_PAD src0_sel:BYTE_1 src1_sel:DWORD
	v_mov_b32_e32 v11, v5
	v_mov_b32_e32 v19, v12
	v_cmp_ne_u32_e32 vcc, s25, v0
	v_mov_b32_e32 v18, v11
	s_and_saveexec_b64 s[12:13], vcc
	s_cbranch_execz .LBB192_184
; %bb.183:                              ;   in Loop: Header=BB192_174 Depth=1
	v_and_b32_sdwa v18, v15, v40 dst_sel:DWORD dst_unused:UNUSED_PAD src0_sel:BYTE_1 src1_sel:DWORD
	v_ffbh_u32_e32 v20, v18
	v_min_u32_e32 v21, 32, v20
	v_mov_b32_e32 v19, v5
	v_subrev_u32_e32 v20, 28, v21
	v_lshlrev_b64 v[19:20], v20, v[18:19]
	v_lshrrev_b32_e32 v11, 3, v0
	v_sub_u32_e32 v20, 29, v21
	v_cmp_gt_u32_e32 vcc, 8, v0
	v_and_b32_e32 v19, 7, v19
	v_cndmask_b32_e32 v0, v11, v20, vcc
	v_cndmask_b32_e32 v11, v18, v19, vcc
	v_lshlrev_b32_e32 v18, 16, v15
	v_lshl_add_u32 v0, v0, 23, v37
	v_and_or_b32 v0, v18, s26, v0
	v_lshlrev_b32_e32 v11, 20, v11
	v_or_b32_e32 v19, v0, v11
	v_mov_b32_e32 v18, v5
.LBB192_184:                            ;   in Loop: Header=BB192_174 Depth=1
	s_or_b64 exec, exec, s[12:13]
.LBB192_185:                            ;   in Loop: Header=BB192_174 Depth=1
	s_or_b64 exec, exec, s[6:7]
.LBB192_186:                            ;   in Loop: Header=BB192_174 Depth=1
	s_or_b64 exec, exec, s[0:1]
	v_lshrrev_b32_e32 v11, 16, v15
	v_mov_b32_e32 v22, 0
	v_mov_b32_e32 v20, 0
	;; [unrolled: 1-line block ×4, first 2 shown]
	v_cmp_ne_u16_sdwa s[6:7], v11, v5 src0_sel:BYTE_0 src1_sel:DWORD
	s_and_saveexec_b64 s[0:1], s[6:7]
	s_cbranch_execz .LBB192_192
; %bb.187:                              ;   in Loop: Header=BB192_174 Depth=1
	v_bfrev_b32_e32 v20, 1
	v_mov_b32_e32 v21, 0
	v_cmp_ne_u16_sdwa s[12:13], v11, s24 src0_sel:BYTE_0 src1_sel:DWORD
	s_and_saveexec_b64 s[6:7], s[12:13]
	s_cbranch_execz .LBB192_191
; %bb.188:                              ;   in Loop: Header=BB192_174 Depth=1
	v_bfe_u32 v0, v15, 16, 7
	v_mov_b32_e32 v20, 0x7f800001
	v_mov_b32_e32 v21, 0
	v_cmp_ne_u32_e32 vcc, s25, v0
	s_and_saveexec_b64 s[12:13], vcc
	s_cbranch_execz .LBB192_190
; %bb.189:                              ;   in Loop: Header=BB192_174 Depth=1
	v_and_b32_e32 v32, 7, v11
	v_ffbh_u32_e32 v20, v32
	v_min_u32_e32 v34, 32, v20
	v_subrev_u32_e32 v20, 28, v34
	v_lshlrev_b64 v[20:21], v20, v[11:12]
	v_lshrrev_b32_e32 v33, 3, v0
	v_sub_u32_e32 v21, 29, v34
	v_and_b32_e32 v20, 7, v20
	v_cmp_gt_u32_e32 vcc, 8, v0
	v_cndmask_b32_e32 v0, v33, v21, vcc
	v_cndmask_b32_e32 v20, v32, v20, vcc
	v_lshlrev_b32_e32 v20, 20, v20
	v_and_b32_sdwa v11, sext(v11), s26 dst_sel:DWORD dst_unused:UNUSED_PAD src0_sel:BYTE_0 src1_sel:DWORD
	v_lshl_add_u32 v0, v0, 23, v37
	v_or3_b32 v20, v11, v0, v20
	v_mov_b32_e32 v21, v5
.LBB192_190:                            ;   in Loop: Header=BB192_174 Depth=1
	s_or_b64 exec, exec, s[12:13]
.LBB192_191:                            ;   in Loop: Header=BB192_174 Depth=1
	s_or_b64 exec, exec, s[6:7]
.LBB192_192:                            ;   in Loop: Header=BB192_174 Depth=1
	s_or_b64 exec, exec, s[0:1]
	v_cmp_lt_u32_e32 vcc, s27, v15
	s_and_saveexec_b64 s[0:1], vcc
	s_cbranch_execz .LBB192_198
; %bb.193:                              ;   in Loop: Header=BB192_174 Depth=1
	v_mov_b32_e32 v23, v6
	v_cmp_ne_u32_sdwa s[12:13], v15, s24 src0_sel:BYTE_3 src1_sel:DWORD
	v_mov_b32_e32 v22, v5
	s_and_saveexec_b64 s[6:7], s[12:13]
	s_cbranch_execz .LBB192_197
; %bb.194:                              ;   in Loop: Header=BB192_174 Depth=1
	v_bfe_u32 v0, v15, 24, 7
	v_mov_b32_e32 v11, v5
	v_mov_b32_e32 v23, v12
	v_cmp_ne_u32_e32 vcc, s25, v0
	v_mov_b32_e32 v22, v11
	s_and_saveexec_b64 s[12:13], vcc
	s_cbranch_execz .LBB192_196
; %bb.195:                              ;   in Loop: Header=BB192_174 Depth=1
	v_and_b32_sdwa v22, v15, v40 dst_sel:DWORD dst_unused:UNUSED_PAD src0_sel:BYTE_3 src1_sel:DWORD
	v_ffbh_u32_e32 v32, v22
	v_min_u32_e32 v34, 32, v32
	v_mov_b32_e32 v23, v5
	v_subrev_u32_e32 v32, 28, v34
	v_lshlrev_b64 v[32:33], v32, v[22:23]
	v_lshrrev_b32_e32 v11, 3, v0
	v_sub_u32_e32 v23, 29, v34
	v_cmp_gt_u32_e32 vcc, 8, v0
	v_and_b32_e32 v32, 7, v32
	v_cndmask_b32_e32 v0, v11, v23, vcc
	v_cndmask_b32_e32 v11, v22, v32, vcc
	v_lshlrev_b32_sdwa v15, v41, v15 dst_sel:DWORD dst_unused:UNUSED_PAD src0_sel:DWORD src1_sel:BYTE_3
	v_lshl_add_u32 v0, v0, 23, v37
	v_and_or_b32 v0, v15, s26, v0
	v_lshlrev_b32_e32 v11, 20, v11
	v_or_b32_e32 v23, v0, v11
	v_mov_b32_e32 v22, v5
.LBB192_196:                            ;   in Loop: Header=BB192_174 Depth=1
	s_or_b64 exec, exec, s[12:13]
.LBB192_197:                            ;   in Loop: Header=BB192_174 Depth=1
	s_or_b64 exec, exec, s[6:7]
.LBB192_198:                            ;   in Loop: Header=BB192_174 Depth=1
	s_or_b64 exec, exec, s[0:1]
	v_or_b32_e32 v0, v19, v17
	v_or_b32_e32 v11, v18, v16
	v_mul_f32_e32 v42, s18, v0
	v_mul_f32_e32 v45, s17, v11
	v_or_b32_e32 v0, v23, v21
	v_or_b32_e32 v11, v22, v20
	v_add_u32_e32 v46, -3, v36
	v_cmp_eq_u32_e32 vcc, s19, v35
	v_mul_f32_e32 v44, s17, v11
	v_mul_f32_e32 v43, s18, v0
	v_add_u32_e32 v48, -2, v36
	v_add_u32_e32 v47, -1, v36
	s_and_saveexec_b64 s[6:7], vcc
; %bb.199:                              ;   in Loop: Header=BB192_174 Depth=1
	v_cmp_gt_i32_e64 s[0:1], s30, v46
	v_cndmask_b32_e64 v45, 0, v45, s[0:1]
	v_cmp_gt_i32_e64 s[0:1], s30, v48
	v_cndmask_b32_e64 v42, 0, v42, s[0:1]
	;; [unrolled: 2-line block ×4, first 2 shown]
; %bb.200:                              ;   in Loop: Header=BB192_174 Depth=1
	s_or_b64 exec, exec, s[6:7]
	global_load_dword v15, v[13:14], off offset:256
	v_mov_b32_e32 v18, 0
	v_mov_b32_e32 v16, 0
	;; [unrolled: 1-line block ×4, first 2 shown]
	s_waitcnt vmcnt(0)
	v_cmp_ne_u16_sdwa s[0:1], v15, v5 src0_sel:BYTE_0 src1_sel:DWORD
	s_and_saveexec_b64 s[6:7], s[0:1]
	s_cbranch_execz .LBB192_206
; %bb.201:                              ;   in Loop: Header=BB192_174 Depth=1
	v_bfrev_b32_e32 v16, 1
	v_mov_b32_e32 v17, 0
	v_cmp_ne_u16_sdwa s[0:1], v15, s24 src0_sel:BYTE_0 src1_sel:DWORD
	s_and_saveexec_b64 s[12:13], s[0:1]
	s_cbranch_execz .LBB192_205
; %bb.202:                              ;   in Loop: Header=BB192_174 Depth=1
	v_and_b32_e32 v0, 0x7f, v15
	v_mov_b32_e32 v16, 0x7f800001
	v_mov_b32_e32 v17, 0
	v_cmp_ne_u32_e64 s[0:1], s25, v0
	s_and_saveexec_b64 s[14:15], s[0:1]
	s_cbranch_execz .LBB192_204
; %bb.203:                              ;   in Loop: Header=BB192_174 Depth=1
	v_and_b32_e32 v11, 7, v15
	v_ffbh_u32_e32 v16, v11
	v_min_u32_e32 v21, 32, v16
	v_subrev_u32_e32 v16, 28, v21
	v_lshlrev_b64 v[16:17], v16, v[15:16]
	v_lshrrev_b32_e32 v20, 3, v0
	v_sub_u32_e32 v17, 29, v21
	v_and_b32_e32 v16, 7, v16
	v_cmp_gt_u32_e64 s[0:1], 8, v0
	v_cndmask_b32_e64 v0, v20, v17, s[0:1]
	v_cndmask_b32_e64 v11, v11, v16, s[0:1]
	v_lshlrev_b32_e32 v11, 20, v11
	v_and_b32_sdwa v16, sext(v15), s26 dst_sel:DWORD dst_unused:UNUSED_PAD src0_sel:BYTE_0 src1_sel:DWORD
	v_lshl_add_u32 v0, v0, 23, v37
	v_or3_b32 v16, v16, v0, v11
	v_mov_b32_e32 v17, v5
.LBB192_204:                            ;   in Loop: Header=BB192_174 Depth=1
	s_or_b64 exec, exec, s[14:15]
.LBB192_205:                            ;   in Loop: Header=BB192_174 Depth=1
	s_or_b64 exec, exec, s[12:13]
.LBB192_206:                            ;   in Loop: Header=BB192_174 Depth=1
	s_or_b64 exec, exec, s[6:7]
	v_cmp_ne_u16_sdwa s[0:1], v15, v5 src0_sel:BYTE_1 src1_sel:DWORD
	s_and_saveexec_b64 s[6:7], s[0:1]
	s_cbranch_execz .LBB192_212
; %bb.207:                              ;   in Loop: Header=BB192_174 Depth=1
	v_mov_b32_e32 v19, v6
	v_cmp_ne_u16_sdwa s[0:1], v15, s24 src0_sel:BYTE_1 src1_sel:DWORD
	v_mov_b32_e32 v18, v5
	s_and_saveexec_b64 s[12:13], s[0:1]
	s_cbranch_execz .LBB192_211
; %bb.208:                              ;   in Loop: Header=BB192_174 Depth=1
	v_and_b32_sdwa v0, v15, s25 dst_sel:DWORD dst_unused:UNUSED_PAD src0_sel:BYTE_1 src1_sel:DWORD
	v_mov_b32_e32 v11, v5
	v_mov_b32_e32 v19, v12
	v_cmp_ne_u32_e64 s[0:1], s25, v0
	v_mov_b32_e32 v18, v11
	s_and_saveexec_b64 s[14:15], s[0:1]
	s_cbranch_execz .LBB192_210
; %bb.209:                              ;   in Loop: Header=BB192_174 Depth=1
	v_and_b32_sdwa v18, v15, v40 dst_sel:DWORD dst_unused:UNUSED_PAD src0_sel:BYTE_1 src1_sel:DWORD
	v_ffbh_u32_e32 v20, v18
	v_min_u32_e32 v21, 32, v20
	v_mov_b32_e32 v19, v5
	v_subrev_u32_e32 v20, 28, v21
	v_lshlrev_b64 v[19:20], v20, v[18:19]
	v_lshrrev_b32_e32 v11, 3, v0
	v_sub_u32_e32 v20, 29, v21
	v_cmp_gt_u32_e64 s[0:1], 8, v0
	v_and_b32_e32 v19, 7, v19
	v_cndmask_b32_e64 v0, v11, v20, s[0:1]
	v_cndmask_b32_e64 v11, v18, v19, s[0:1]
	v_lshlrev_b32_e32 v18, 16, v15
	v_lshl_add_u32 v0, v0, 23, v37
	v_and_or_b32 v0, v18, s26, v0
	v_lshlrev_b32_e32 v11, 20, v11
	v_or_b32_e32 v19, v0, v11
	v_mov_b32_e32 v18, v5
.LBB192_210:                            ;   in Loop: Header=BB192_174 Depth=1
	s_or_b64 exec, exec, s[14:15]
.LBB192_211:                            ;   in Loop: Header=BB192_174 Depth=1
	s_or_b64 exec, exec, s[12:13]
.LBB192_212:                            ;   in Loop: Header=BB192_174 Depth=1
	s_or_b64 exec, exec, s[6:7]
	v_lshrrev_b32_e32 v11, 16, v15
	v_mov_b32_e32 v22, 0
	v_mov_b32_e32 v20, 0
	;; [unrolled: 1-line block ×4, first 2 shown]
	v_cmp_ne_u16_sdwa s[0:1], v11, v5 src0_sel:BYTE_0 src1_sel:DWORD
	s_and_saveexec_b64 s[6:7], s[0:1]
	s_cbranch_execz .LBB192_218
; %bb.213:                              ;   in Loop: Header=BB192_174 Depth=1
	v_bfrev_b32_e32 v20, 1
	v_mov_b32_e32 v21, 0
	v_cmp_ne_u16_sdwa s[0:1], v11, s24 src0_sel:BYTE_0 src1_sel:DWORD
	s_and_saveexec_b64 s[12:13], s[0:1]
	s_cbranch_execz .LBB192_217
; %bb.214:                              ;   in Loop: Header=BB192_174 Depth=1
	v_bfe_u32 v0, v15, 16, 7
	v_mov_b32_e32 v20, 0x7f800001
	v_mov_b32_e32 v21, 0
	v_cmp_ne_u32_e64 s[0:1], s25, v0
	s_and_saveexec_b64 s[14:15], s[0:1]
	s_cbranch_execz .LBB192_216
; %bb.215:                              ;   in Loop: Header=BB192_174 Depth=1
	v_and_b32_e32 v32, 7, v11
	v_ffbh_u32_e32 v20, v32
	v_min_u32_e32 v34, 32, v20
	v_subrev_u32_e32 v20, 28, v34
	v_lshlrev_b64 v[20:21], v20, v[11:12]
	v_lshrrev_b32_e32 v33, 3, v0
	v_sub_u32_e32 v21, 29, v34
	v_and_b32_e32 v20, 7, v20
	v_cmp_gt_u32_e64 s[0:1], 8, v0
	v_cndmask_b32_e64 v0, v33, v21, s[0:1]
	v_cndmask_b32_e64 v20, v32, v20, s[0:1]
	v_lshlrev_b32_e32 v20, 20, v20
	v_and_b32_sdwa v11, sext(v11), s26 dst_sel:DWORD dst_unused:UNUSED_PAD src0_sel:BYTE_0 src1_sel:DWORD
	v_lshl_add_u32 v0, v0, 23, v37
	v_or3_b32 v20, v11, v0, v20
	v_mov_b32_e32 v21, v5
.LBB192_216:                            ;   in Loop: Header=BB192_174 Depth=1
	s_or_b64 exec, exec, s[14:15]
.LBB192_217:                            ;   in Loop: Header=BB192_174 Depth=1
	s_or_b64 exec, exec, s[12:13]
.LBB192_218:                            ;   in Loop: Header=BB192_174 Depth=1
	s_or_b64 exec, exec, s[6:7]
	v_cmp_lt_u32_e64 s[0:1], s27, v15
	s_and_saveexec_b64 s[6:7], s[0:1]
	s_cbranch_execz .LBB192_224
; %bb.219:                              ;   in Loop: Header=BB192_174 Depth=1
	v_mov_b32_e32 v23, v6
	v_cmp_ne_u32_sdwa s[0:1], v15, s24 src0_sel:BYTE_3 src1_sel:DWORD
	v_mov_b32_e32 v22, v5
	s_and_saveexec_b64 s[12:13], s[0:1]
	s_cbranch_execz .LBB192_223
; %bb.220:                              ;   in Loop: Header=BB192_174 Depth=1
	v_bfe_u32 v0, v15, 24, 7
	v_mov_b32_e32 v11, v5
	v_mov_b32_e32 v23, v12
	v_cmp_ne_u32_e64 s[0:1], s25, v0
	v_mov_b32_e32 v22, v11
	s_and_saveexec_b64 s[14:15], s[0:1]
	s_cbranch_execz .LBB192_222
; %bb.221:                              ;   in Loop: Header=BB192_174 Depth=1
	v_and_b32_sdwa v22, v15, v40 dst_sel:DWORD dst_unused:UNUSED_PAD src0_sel:BYTE_3 src1_sel:DWORD
	v_ffbh_u32_e32 v32, v22
	v_min_u32_e32 v34, 32, v32
	v_mov_b32_e32 v23, v5
	v_subrev_u32_e32 v32, 28, v34
	v_lshlrev_b64 v[32:33], v32, v[22:23]
	v_lshrrev_b32_e32 v11, 3, v0
	v_sub_u32_e32 v23, 29, v34
	v_cmp_gt_u32_e64 s[0:1], 8, v0
	v_and_b32_e32 v32, 7, v32
	v_cndmask_b32_e64 v0, v11, v23, s[0:1]
	v_cndmask_b32_e64 v11, v22, v32, s[0:1]
	v_lshlrev_b32_sdwa v15, v41, v15 dst_sel:DWORD dst_unused:UNUSED_PAD src0_sel:DWORD src1_sel:BYTE_3
	v_lshl_add_u32 v0, v0, 23, v37
	v_and_or_b32 v0, v15, s26, v0
	v_lshlrev_b32_e32 v11, 20, v11
	v_or_b32_e32 v23, v0, v11
	v_mov_b32_e32 v22, v5
.LBB192_222:                            ;   in Loop: Header=BB192_174 Depth=1
	s_or_b64 exec, exec, s[14:15]
.LBB192_223:                            ;   in Loop: Header=BB192_174 Depth=1
	s_or_b64 exec, exec, s[12:13]
.LBB192_224:                            ;   in Loop: Header=BB192_174 Depth=1
	s_or_b64 exec, exec, s[6:7]
	v_or_b32_e32 v0, v19, v17
	v_or_b32_e32 v11, v18, v16
	v_mul_f32_e32 v49, s18, v0
	v_mul_f32_e32 v52, s17, v11
	v_or_b32_e32 v0, v23, v21
	v_or_b32_e32 v11, v22, v20
	v_mul_f32_e32 v51, s17, v11
	v_mul_f32_e32 v50, s18, v0
	s_and_saveexec_b64 s[6:7], vcc
; %bb.225:                              ;   in Loop: Header=BB192_174 Depth=1
	v_cmp_gt_i32_e64 s[0:1], s30, v46
	v_cndmask_b32_e64 v52, 0, v52, s[0:1]
	v_cmp_gt_i32_e64 s[0:1], s30, v48
	v_cndmask_b32_e64 v49, 0, v49, s[0:1]
	;; [unrolled: 2-line block ×4, first 2 shown]
; %bb.226:                              ;   in Loop: Header=BB192_174 Depth=1
	s_or_b64 exec, exec, s[6:7]
	global_load_dword v15, v[13:14], off offset:512
	v_mov_b32_e32 v18, 0
	v_mov_b32_e32 v16, 0
	;; [unrolled: 1-line block ×4, first 2 shown]
	s_waitcnt vmcnt(0)
	v_cmp_ne_u16_sdwa s[0:1], v15, v5 src0_sel:BYTE_0 src1_sel:DWORD
	s_and_saveexec_b64 s[6:7], s[0:1]
	s_cbranch_execz .LBB192_232
; %bb.227:                              ;   in Loop: Header=BB192_174 Depth=1
	v_bfrev_b32_e32 v16, 1
	v_mov_b32_e32 v17, 0
	v_cmp_ne_u16_sdwa s[0:1], v15, s24 src0_sel:BYTE_0 src1_sel:DWORD
	s_and_saveexec_b64 s[12:13], s[0:1]
	s_cbranch_execz .LBB192_231
; %bb.228:                              ;   in Loop: Header=BB192_174 Depth=1
	v_and_b32_e32 v0, 0x7f, v15
	v_mov_b32_e32 v16, 0x7f800001
	v_mov_b32_e32 v17, 0
	v_cmp_ne_u32_e64 s[0:1], s25, v0
	s_and_saveexec_b64 s[14:15], s[0:1]
	s_cbranch_execz .LBB192_230
; %bb.229:                              ;   in Loop: Header=BB192_174 Depth=1
	v_and_b32_e32 v11, 7, v15
	v_ffbh_u32_e32 v16, v11
	v_min_u32_e32 v21, 32, v16
	v_subrev_u32_e32 v16, 28, v21
	v_lshlrev_b64 v[16:17], v16, v[15:16]
	v_lshrrev_b32_e32 v20, 3, v0
	v_sub_u32_e32 v17, 29, v21
	v_and_b32_e32 v16, 7, v16
	v_cmp_gt_u32_e64 s[0:1], 8, v0
	v_cndmask_b32_e64 v0, v20, v17, s[0:1]
	v_cndmask_b32_e64 v11, v11, v16, s[0:1]
	v_lshlrev_b32_e32 v11, 20, v11
	v_and_b32_sdwa v16, sext(v15), s26 dst_sel:DWORD dst_unused:UNUSED_PAD src0_sel:BYTE_0 src1_sel:DWORD
	v_lshl_add_u32 v0, v0, 23, v37
	v_or3_b32 v16, v16, v0, v11
	v_mov_b32_e32 v17, v5
.LBB192_230:                            ;   in Loop: Header=BB192_174 Depth=1
	s_or_b64 exec, exec, s[14:15]
.LBB192_231:                            ;   in Loop: Header=BB192_174 Depth=1
	s_or_b64 exec, exec, s[12:13]
.LBB192_232:                            ;   in Loop: Header=BB192_174 Depth=1
	s_or_b64 exec, exec, s[6:7]
	v_cmp_ne_u16_sdwa s[0:1], v15, v5 src0_sel:BYTE_1 src1_sel:DWORD
	s_and_saveexec_b64 s[6:7], s[0:1]
	s_cbranch_execz .LBB192_238
; %bb.233:                              ;   in Loop: Header=BB192_174 Depth=1
	v_mov_b32_e32 v19, v6
	v_cmp_ne_u16_sdwa s[0:1], v15, s24 src0_sel:BYTE_1 src1_sel:DWORD
	v_mov_b32_e32 v18, v5
	s_and_saveexec_b64 s[12:13], s[0:1]
	s_cbranch_execz .LBB192_237
; %bb.234:                              ;   in Loop: Header=BB192_174 Depth=1
	v_and_b32_sdwa v0, v15, s25 dst_sel:DWORD dst_unused:UNUSED_PAD src0_sel:BYTE_1 src1_sel:DWORD
	v_mov_b32_e32 v11, v5
	v_mov_b32_e32 v19, v12
	v_cmp_ne_u32_e64 s[0:1], s25, v0
	v_mov_b32_e32 v18, v11
	s_and_saveexec_b64 s[14:15], s[0:1]
	s_cbranch_execz .LBB192_236
; %bb.235:                              ;   in Loop: Header=BB192_174 Depth=1
	v_and_b32_sdwa v18, v15, v40 dst_sel:DWORD dst_unused:UNUSED_PAD src0_sel:BYTE_1 src1_sel:DWORD
	v_ffbh_u32_e32 v20, v18
	v_min_u32_e32 v21, 32, v20
	v_mov_b32_e32 v19, v5
	v_subrev_u32_e32 v20, 28, v21
	v_lshlrev_b64 v[19:20], v20, v[18:19]
	v_lshrrev_b32_e32 v11, 3, v0
	v_sub_u32_e32 v20, 29, v21
	v_cmp_gt_u32_e64 s[0:1], 8, v0
	v_and_b32_e32 v19, 7, v19
	v_cndmask_b32_e64 v0, v11, v20, s[0:1]
	v_cndmask_b32_e64 v11, v18, v19, s[0:1]
	v_lshlrev_b32_e32 v18, 16, v15
	v_lshl_add_u32 v0, v0, 23, v37
	v_and_or_b32 v0, v18, s26, v0
	v_lshlrev_b32_e32 v11, 20, v11
	v_or_b32_e32 v19, v0, v11
	v_mov_b32_e32 v18, v5
.LBB192_236:                            ;   in Loop: Header=BB192_174 Depth=1
	s_or_b64 exec, exec, s[14:15]
.LBB192_237:                            ;   in Loop: Header=BB192_174 Depth=1
	s_or_b64 exec, exec, s[12:13]
.LBB192_238:                            ;   in Loop: Header=BB192_174 Depth=1
	s_or_b64 exec, exec, s[6:7]
	v_lshrrev_b32_e32 v11, 16, v15
	v_mov_b32_e32 v22, 0
	v_mov_b32_e32 v20, 0
	;; [unrolled: 1-line block ×4, first 2 shown]
	v_cmp_ne_u16_sdwa s[0:1], v11, v5 src0_sel:BYTE_0 src1_sel:DWORD
	s_and_saveexec_b64 s[6:7], s[0:1]
	s_cbranch_execz .LBB192_244
; %bb.239:                              ;   in Loop: Header=BB192_174 Depth=1
	v_bfrev_b32_e32 v20, 1
	v_mov_b32_e32 v21, 0
	v_cmp_ne_u16_sdwa s[0:1], v11, s24 src0_sel:BYTE_0 src1_sel:DWORD
	s_and_saveexec_b64 s[12:13], s[0:1]
	s_cbranch_execz .LBB192_243
; %bb.240:                              ;   in Loop: Header=BB192_174 Depth=1
	v_bfe_u32 v0, v15, 16, 7
	v_mov_b32_e32 v20, 0x7f800001
	v_mov_b32_e32 v21, 0
	v_cmp_ne_u32_e64 s[0:1], s25, v0
	s_and_saveexec_b64 s[14:15], s[0:1]
	s_cbranch_execz .LBB192_242
; %bb.241:                              ;   in Loop: Header=BB192_174 Depth=1
	v_and_b32_e32 v32, 7, v11
	v_ffbh_u32_e32 v20, v32
	v_min_u32_e32 v34, 32, v20
	v_subrev_u32_e32 v20, 28, v34
	v_lshlrev_b64 v[20:21], v20, v[11:12]
	v_lshrrev_b32_e32 v33, 3, v0
	v_sub_u32_e32 v21, 29, v34
	v_and_b32_e32 v20, 7, v20
	v_cmp_gt_u32_e64 s[0:1], 8, v0
	v_cndmask_b32_e64 v0, v33, v21, s[0:1]
	v_cndmask_b32_e64 v20, v32, v20, s[0:1]
	v_lshlrev_b32_e32 v20, 20, v20
	v_and_b32_sdwa v11, sext(v11), s26 dst_sel:DWORD dst_unused:UNUSED_PAD src0_sel:BYTE_0 src1_sel:DWORD
	v_lshl_add_u32 v0, v0, 23, v37
	v_or3_b32 v20, v11, v0, v20
	v_mov_b32_e32 v21, v5
.LBB192_242:                            ;   in Loop: Header=BB192_174 Depth=1
	s_or_b64 exec, exec, s[14:15]
.LBB192_243:                            ;   in Loop: Header=BB192_174 Depth=1
	s_or_b64 exec, exec, s[12:13]
.LBB192_244:                            ;   in Loop: Header=BB192_174 Depth=1
	s_or_b64 exec, exec, s[6:7]
	v_cmp_lt_u32_e64 s[0:1], s27, v15
	s_and_saveexec_b64 s[6:7], s[0:1]
	s_cbranch_execz .LBB192_250
; %bb.245:                              ;   in Loop: Header=BB192_174 Depth=1
	v_mov_b32_e32 v23, v6
	v_cmp_ne_u32_sdwa s[0:1], v15, s24 src0_sel:BYTE_3 src1_sel:DWORD
	v_mov_b32_e32 v22, v5
	s_and_saveexec_b64 s[12:13], s[0:1]
	s_cbranch_execz .LBB192_249
; %bb.246:                              ;   in Loop: Header=BB192_174 Depth=1
	v_bfe_u32 v0, v15, 24, 7
	v_mov_b32_e32 v11, v5
	v_mov_b32_e32 v23, v12
	v_cmp_ne_u32_e64 s[0:1], s25, v0
	v_mov_b32_e32 v22, v11
	s_and_saveexec_b64 s[14:15], s[0:1]
	s_cbranch_execz .LBB192_248
; %bb.247:                              ;   in Loop: Header=BB192_174 Depth=1
	v_and_b32_sdwa v22, v15, v40 dst_sel:DWORD dst_unused:UNUSED_PAD src0_sel:BYTE_3 src1_sel:DWORD
	v_ffbh_u32_e32 v32, v22
	v_min_u32_e32 v34, 32, v32
	v_mov_b32_e32 v23, v5
	v_subrev_u32_e32 v32, 28, v34
	v_lshlrev_b64 v[32:33], v32, v[22:23]
	v_lshrrev_b32_e32 v11, 3, v0
	v_sub_u32_e32 v23, 29, v34
	v_cmp_gt_u32_e64 s[0:1], 8, v0
	v_and_b32_e32 v32, 7, v32
	v_cndmask_b32_e64 v0, v11, v23, s[0:1]
	v_cndmask_b32_e64 v11, v22, v32, s[0:1]
	v_lshlrev_b32_sdwa v15, v41, v15 dst_sel:DWORD dst_unused:UNUSED_PAD src0_sel:DWORD src1_sel:BYTE_3
	v_lshl_add_u32 v0, v0, 23, v37
	v_and_or_b32 v0, v15, s26, v0
	v_lshlrev_b32_e32 v11, 20, v11
	v_or_b32_e32 v23, v0, v11
	v_mov_b32_e32 v22, v5
.LBB192_248:                            ;   in Loop: Header=BB192_174 Depth=1
	s_or_b64 exec, exec, s[14:15]
.LBB192_249:                            ;   in Loop: Header=BB192_174 Depth=1
	s_or_b64 exec, exec, s[12:13]
.LBB192_250:                            ;   in Loop: Header=BB192_174 Depth=1
	s_or_b64 exec, exec, s[6:7]
	v_or_b32_e32 v0, v19, v17
	v_or_b32_e32 v11, v18, v16
	v_mul_f32_e32 v53, s18, v0
	v_mul_f32_e32 v56, s17, v11
	v_or_b32_e32 v0, v23, v21
	v_or_b32_e32 v11, v22, v20
	v_mul_f32_e32 v55, s17, v11
	v_mul_f32_e32 v54, s18, v0
	s_and_saveexec_b64 s[6:7], vcc
; %bb.251:                              ;   in Loop: Header=BB192_174 Depth=1
	v_cmp_gt_i32_e64 s[0:1], s30, v46
	v_cndmask_b32_e64 v56, 0, v56, s[0:1]
	v_cmp_gt_i32_e64 s[0:1], s30, v48
	v_cndmask_b32_e64 v53, 0, v53, s[0:1]
	;; [unrolled: 2-line block ×4, first 2 shown]
; %bb.252:                              ;   in Loop: Header=BB192_174 Depth=1
	s_or_b64 exec, exec, s[6:7]
	global_load_dword v15, v[13:14], off offset:768
	v_mov_b32_e32 v18, 0
	v_mov_b32_e32 v16, 0
	;; [unrolled: 1-line block ×4, first 2 shown]
	s_waitcnt vmcnt(0)
	v_cmp_ne_u16_sdwa s[0:1], v15, v5 src0_sel:BYTE_0 src1_sel:DWORD
	s_and_saveexec_b64 s[6:7], s[0:1]
	s_cbranch_execz .LBB192_258
; %bb.253:                              ;   in Loop: Header=BB192_174 Depth=1
	v_bfrev_b32_e32 v16, 1
	v_mov_b32_e32 v17, 0
	v_cmp_ne_u16_sdwa s[0:1], v15, s24 src0_sel:BYTE_0 src1_sel:DWORD
	s_and_saveexec_b64 s[12:13], s[0:1]
	s_cbranch_execz .LBB192_257
; %bb.254:                              ;   in Loop: Header=BB192_174 Depth=1
	v_and_b32_e32 v0, 0x7f, v15
	v_mov_b32_e32 v16, 0x7f800001
	v_mov_b32_e32 v17, 0
	v_cmp_ne_u32_e64 s[0:1], s25, v0
	s_and_saveexec_b64 s[14:15], s[0:1]
	s_cbranch_execz .LBB192_256
; %bb.255:                              ;   in Loop: Header=BB192_174 Depth=1
	v_and_b32_e32 v11, 7, v15
	v_ffbh_u32_e32 v16, v11
	v_min_u32_e32 v21, 32, v16
	v_subrev_u32_e32 v16, 28, v21
	v_lshlrev_b64 v[16:17], v16, v[15:16]
	v_lshrrev_b32_e32 v20, 3, v0
	v_sub_u32_e32 v17, 29, v21
	v_and_b32_e32 v16, 7, v16
	v_cmp_gt_u32_e64 s[0:1], 8, v0
	v_cndmask_b32_e64 v0, v20, v17, s[0:1]
	v_cndmask_b32_e64 v11, v11, v16, s[0:1]
	v_lshlrev_b32_e32 v11, 20, v11
	v_and_b32_sdwa v16, sext(v15), s26 dst_sel:DWORD dst_unused:UNUSED_PAD src0_sel:BYTE_0 src1_sel:DWORD
	v_lshl_add_u32 v0, v0, 23, v37
	v_or3_b32 v16, v16, v0, v11
	v_mov_b32_e32 v17, v5
.LBB192_256:                            ;   in Loop: Header=BB192_174 Depth=1
	s_or_b64 exec, exec, s[14:15]
.LBB192_257:                            ;   in Loop: Header=BB192_174 Depth=1
	s_or_b64 exec, exec, s[12:13]
.LBB192_258:                            ;   in Loop: Header=BB192_174 Depth=1
	s_or_b64 exec, exec, s[6:7]
	v_cmp_ne_u16_sdwa s[0:1], v15, v5 src0_sel:BYTE_1 src1_sel:DWORD
	s_and_saveexec_b64 s[6:7], s[0:1]
	s_cbranch_execz .LBB192_264
; %bb.259:                              ;   in Loop: Header=BB192_174 Depth=1
	v_mov_b32_e32 v19, v6
	v_cmp_ne_u16_sdwa s[0:1], v15, s24 src0_sel:BYTE_1 src1_sel:DWORD
	v_mov_b32_e32 v18, v5
	s_and_saveexec_b64 s[12:13], s[0:1]
	s_cbranch_execz .LBB192_263
; %bb.260:                              ;   in Loop: Header=BB192_174 Depth=1
	v_and_b32_sdwa v0, v15, s25 dst_sel:DWORD dst_unused:UNUSED_PAD src0_sel:BYTE_1 src1_sel:DWORD
	v_mov_b32_e32 v11, v5
	v_mov_b32_e32 v19, v12
	v_cmp_ne_u32_e64 s[0:1], s25, v0
	v_mov_b32_e32 v18, v11
	s_and_saveexec_b64 s[14:15], s[0:1]
	s_cbranch_execz .LBB192_262
; %bb.261:                              ;   in Loop: Header=BB192_174 Depth=1
	v_and_b32_sdwa v18, v15, v40 dst_sel:DWORD dst_unused:UNUSED_PAD src0_sel:BYTE_1 src1_sel:DWORD
	v_ffbh_u32_e32 v20, v18
	v_min_u32_e32 v21, 32, v20
	v_mov_b32_e32 v19, v5
	v_subrev_u32_e32 v20, 28, v21
	v_lshlrev_b64 v[19:20], v20, v[18:19]
	v_lshrrev_b32_e32 v11, 3, v0
	v_sub_u32_e32 v20, 29, v21
	v_cmp_gt_u32_e64 s[0:1], 8, v0
	v_and_b32_e32 v19, 7, v19
	v_cndmask_b32_e64 v0, v11, v20, s[0:1]
	v_cndmask_b32_e64 v11, v18, v19, s[0:1]
	v_lshlrev_b32_e32 v18, 16, v15
	v_lshl_add_u32 v0, v0, 23, v37
	v_and_or_b32 v0, v18, s26, v0
	v_lshlrev_b32_e32 v11, 20, v11
	v_or_b32_e32 v19, v0, v11
	v_mov_b32_e32 v18, v5
.LBB192_262:                            ;   in Loop: Header=BB192_174 Depth=1
	s_or_b64 exec, exec, s[14:15]
.LBB192_263:                            ;   in Loop: Header=BB192_174 Depth=1
	s_or_b64 exec, exec, s[12:13]
.LBB192_264:                            ;   in Loop: Header=BB192_174 Depth=1
	s_or_b64 exec, exec, s[6:7]
	v_lshrrev_b32_e32 v11, 16, v15
	v_mov_b32_e32 v22, 0
	v_mov_b32_e32 v20, 0
	;; [unrolled: 1-line block ×4, first 2 shown]
	v_cmp_ne_u16_sdwa s[0:1], v11, v5 src0_sel:BYTE_0 src1_sel:DWORD
	s_and_saveexec_b64 s[6:7], s[0:1]
	s_cbranch_execz .LBB192_270
; %bb.265:                              ;   in Loop: Header=BB192_174 Depth=1
	v_bfrev_b32_e32 v20, 1
	v_mov_b32_e32 v21, 0
	v_cmp_ne_u16_sdwa s[0:1], v11, s24 src0_sel:BYTE_0 src1_sel:DWORD
	s_and_saveexec_b64 s[12:13], s[0:1]
	s_cbranch_execz .LBB192_269
; %bb.266:                              ;   in Loop: Header=BB192_174 Depth=1
	v_bfe_u32 v0, v15, 16, 7
	v_mov_b32_e32 v20, 0x7f800001
	v_mov_b32_e32 v21, 0
	v_cmp_ne_u32_e64 s[0:1], s25, v0
	s_and_saveexec_b64 s[14:15], s[0:1]
	s_cbranch_execz .LBB192_268
; %bb.267:                              ;   in Loop: Header=BB192_174 Depth=1
	v_and_b32_e32 v32, 7, v11
	v_ffbh_u32_e32 v20, v32
	v_min_u32_e32 v34, 32, v20
	v_subrev_u32_e32 v20, 28, v34
	v_lshlrev_b64 v[20:21], v20, v[11:12]
	v_lshrrev_b32_e32 v33, 3, v0
	v_sub_u32_e32 v21, 29, v34
	v_and_b32_e32 v20, 7, v20
	v_cmp_gt_u32_e64 s[0:1], 8, v0
	v_cndmask_b32_e64 v0, v33, v21, s[0:1]
	v_cndmask_b32_e64 v20, v32, v20, s[0:1]
	v_lshlrev_b32_e32 v20, 20, v20
	v_and_b32_sdwa v11, sext(v11), s26 dst_sel:DWORD dst_unused:UNUSED_PAD src0_sel:BYTE_0 src1_sel:DWORD
	v_lshl_add_u32 v0, v0, 23, v37
	v_or3_b32 v20, v11, v0, v20
	v_mov_b32_e32 v21, v5
.LBB192_268:                            ;   in Loop: Header=BB192_174 Depth=1
	s_or_b64 exec, exec, s[14:15]
.LBB192_269:                            ;   in Loop: Header=BB192_174 Depth=1
	s_or_b64 exec, exec, s[12:13]
.LBB192_270:                            ;   in Loop: Header=BB192_174 Depth=1
	s_or_b64 exec, exec, s[6:7]
	v_cmp_lt_u32_e64 s[0:1], s27, v15
	s_and_saveexec_b64 s[6:7], s[0:1]
	s_cbranch_execz .LBB192_276
; %bb.271:                              ;   in Loop: Header=BB192_174 Depth=1
	v_mov_b32_e32 v23, v6
	v_cmp_ne_u32_sdwa s[0:1], v15, s24 src0_sel:BYTE_3 src1_sel:DWORD
	v_mov_b32_e32 v22, v5
	s_and_saveexec_b64 s[12:13], s[0:1]
	s_cbranch_execz .LBB192_275
; %bb.272:                              ;   in Loop: Header=BB192_174 Depth=1
	v_bfe_u32 v0, v15, 24, 7
	v_mov_b32_e32 v11, v5
	v_mov_b32_e32 v23, v12
	v_cmp_ne_u32_e64 s[0:1], s25, v0
	v_mov_b32_e32 v22, v11
	s_and_saveexec_b64 s[14:15], s[0:1]
	s_cbranch_execz .LBB192_274
; %bb.273:                              ;   in Loop: Header=BB192_174 Depth=1
	v_and_b32_sdwa v22, v15, v40 dst_sel:DWORD dst_unused:UNUSED_PAD src0_sel:BYTE_3 src1_sel:DWORD
	v_ffbh_u32_e32 v32, v22
	v_min_u32_e32 v34, 32, v32
	v_mov_b32_e32 v23, v5
	v_subrev_u32_e32 v32, 28, v34
	v_lshlrev_b64 v[32:33], v32, v[22:23]
	v_lshrrev_b32_e32 v11, 3, v0
	v_sub_u32_e32 v23, 29, v34
	v_cmp_gt_u32_e64 s[0:1], 8, v0
	v_and_b32_e32 v32, 7, v32
	v_cndmask_b32_e64 v0, v11, v23, s[0:1]
	v_cndmask_b32_e64 v11, v22, v32, s[0:1]
	v_lshlrev_b32_sdwa v15, v41, v15 dst_sel:DWORD dst_unused:UNUSED_PAD src0_sel:DWORD src1_sel:BYTE_3
	v_lshl_add_u32 v0, v0, 23, v37
	v_and_or_b32 v0, v15, s26, v0
	v_lshlrev_b32_e32 v11, 20, v11
	v_or_b32_e32 v23, v0, v11
	v_mov_b32_e32 v22, v5
.LBB192_274:                            ;   in Loop: Header=BB192_174 Depth=1
	s_or_b64 exec, exec, s[14:15]
.LBB192_275:                            ;   in Loop: Header=BB192_174 Depth=1
	s_or_b64 exec, exec, s[12:13]
.LBB192_276:                            ;   in Loop: Header=BB192_174 Depth=1
	s_or_b64 exec, exec, s[6:7]
	v_or_b32_e32 v0, v19, v17
	v_or_b32_e32 v11, v18, v16
	v_mul_f32_e32 v57, s18, v0
	v_mul_f32_e32 v60, s17, v11
	v_or_b32_e32 v0, v23, v21
	v_or_b32_e32 v11, v22, v20
	v_mul_f32_e32 v59, s17, v11
	v_mul_f32_e32 v58, s18, v0
	s_and_saveexec_b64 s[6:7], vcc
; %bb.277:                              ;   in Loop: Header=BB192_174 Depth=1
	v_cmp_gt_i32_e64 s[0:1], s30, v46
	v_cndmask_b32_e64 v60, 0, v60, s[0:1]
	v_cmp_gt_i32_e64 s[0:1], s30, v48
	v_cndmask_b32_e64 v57, 0, v57, s[0:1]
	;; [unrolled: 2-line block ×4, first 2 shown]
; %bb.278:                              ;   in Loop: Header=BB192_174 Depth=1
	s_or_b64 exec, exec, s[6:7]
	global_load_dword v15, v[13:14], off offset:1024
	v_mov_b32_e32 v18, 0
	v_mov_b32_e32 v16, 0
	;; [unrolled: 1-line block ×4, first 2 shown]
	s_waitcnt vmcnt(0)
	v_cmp_ne_u16_sdwa s[0:1], v15, v5 src0_sel:BYTE_0 src1_sel:DWORD
	s_and_saveexec_b64 s[6:7], s[0:1]
	s_cbranch_execz .LBB192_284
; %bb.279:                              ;   in Loop: Header=BB192_174 Depth=1
	v_bfrev_b32_e32 v16, 1
	v_mov_b32_e32 v17, 0
	v_cmp_ne_u16_sdwa s[0:1], v15, s24 src0_sel:BYTE_0 src1_sel:DWORD
	s_and_saveexec_b64 s[12:13], s[0:1]
	s_cbranch_execz .LBB192_283
; %bb.280:                              ;   in Loop: Header=BB192_174 Depth=1
	v_and_b32_e32 v0, 0x7f, v15
	v_mov_b32_e32 v16, 0x7f800001
	v_mov_b32_e32 v17, 0
	v_cmp_ne_u32_e64 s[0:1], s25, v0
	s_and_saveexec_b64 s[14:15], s[0:1]
	s_cbranch_execz .LBB192_282
; %bb.281:                              ;   in Loop: Header=BB192_174 Depth=1
	v_and_b32_e32 v11, 7, v15
	v_ffbh_u32_e32 v16, v11
	v_min_u32_e32 v21, 32, v16
	v_subrev_u32_e32 v16, 28, v21
	v_lshlrev_b64 v[16:17], v16, v[15:16]
	v_lshrrev_b32_e32 v20, 3, v0
	v_sub_u32_e32 v17, 29, v21
	v_and_b32_e32 v16, 7, v16
	v_cmp_gt_u32_e64 s[0:1], 8, v0
	v_cndmask_b32_e64 v0, v20, v17, s[0:1]
	v_cndmask_b32_e64 v11, v11, v16, s[0:1]
	v_lshlrev_b32_e32 v11, 20, v11
	v_and_b32_sdwa v16, sext(v15), s26 dst_sel:DWORD dst_unused:UNUSED_PAD src0_sel:BYTE_0 src1_sel:DWORD
	v_lshl_add_u32 v0, v0, 23, v37
	v_or3_b32 v16, v16, v0, v11
	v_mov_b32_e32 v17, v5
.LBB192_282:                            ;   in Loop: Header=BB192_174 Depth=1
	s_or_b64 exec, exec, s[14:15]
.LBB192_283:                            ;   in Loop: Header=BB192_174 Depth=1
	s_or_b64 exec, exec, s[12:13]
.LBB192_284:                            ;   in Loop: Header=BB192_174 Depth=1
	s_or_b64 exec, exec, s[6:7]
	v_cmp_ne_u16_sdwa s[0:1], v15, v5 src0_sel:BYTE_1 src1_sel:DWORD
	s_and_saveexec_b64 s[6:7], s[0:1]
	s_cbranch_execz .LBB192_290
; %bb.285:                              ;   in Loop: Header=BB192_174 Depth=1
	v_mov_b32_e32 v19, v6
	v_cmp_ne_u16_sdwa s[0:1], v15, s24 src0_sel:BYTE_1 src1_sel:DWORD
	v_mov_b32_e32 v18, v5
	s_and_saveexec_b64 s[12:13], s[0:1]
	s_cbranch_execz .LBB192_289
; %bb.286:                              ;   in Loop: Header=BB192_174 Depth=1
	v_and_b32_sdwa v0, v15, s25 dst_sel:DWORD dst_unused:UNUSED_PAD src0_sel:BYTE_1 src1_sel:DWORD
	v_mov_b32_e32 v11, v5
	v_mov_b32_e32 v19, v12
	v_cmp_ne_u32_e64 s[0:1], s25, v0
	v_mov_b32_e32 v18, v11
	s_and_saveexec_b64 s[14:15], s[0:1]
	s_cbranch_execz .LBB192_288
; %bb.287:                              ;   in Loop: Header=BB192_174 Depth=1
	v_and_b32_sdwa v18, v15, v40 dst_sel:DWORD dst_unused:UNUSED_PAD src0_sel:BYTE_1 src1_sel:DWORD
	v_ffbh_u32_e32 v20, v18
	v_min_u32_e32 v21, 32, v20
	v_mov_b32_e32 v19, v5
	v_subrev_u32_e32 v20, 28, v21
	v_lshlrev_b64 v[19:20], v20, v[18:19]
	v_lshrrev_b32_e32 v11, 3, v0
	v_sub_u32_e32 v20, 29, v21
	v_cmp_gt_u32_e64 s[0:1], 8, v0
	v_and_b32_e32 v19, 7, v19
	v_cndmask_b32_e64 v0, v11, v20, s[0:1]
	v_cndmask_b32_e64 v11, v18, v19, s[0:1]
	v_lshlrev_b32_e32 v18, 16, v15
	v_lshl_add_u32 v0, v0, 23, v37
	v_and_or_b32 v0, v18, s26, v0
	v_lshlrev_b32_e32 v11, 20, v11
	v_or_b32_e32 v19, v0, v11
	v_mov_b32_e32 v18, v5
.LBB192_288:                            ;   in Loop: Header=BB192_174 Depth=1
	s_or_b64 exec, exec, s[14:15]
.LBB192_289:                            ;   in Loop: Header=BB192_174 Depth=1
	s_or_b64 exec, exec, s[12:13]
.LBB192_290:                            ;   in Loop: Header=BB192_174 Depth=1
	s_or_b64 exec, exec, s[6:7]
	v_lshrrev_b32_e32 v11, 16, v15
	v_mov_b32_e32 v22, 0
	v_mov_b32_e32 v20, 0
	;; [unrolled: 1-line block ×4, first 2 shown]
	v_cmp_ne_u16_sdwa s[0:1], v11, v5 src0_sel:BYTE_0 src1_sel:DWORD
	s_and_saveexec_b64 s[6:7], s[0:1]
	s_cbranch_execz .LBB192_296
; %bb.291:                              ;   in Loop: Header=BB192_174 Depth=1
	v_bfrev_b32_e32 v20, 1
	v_mov_b32_e32 v21, 0
	v_cmp_ne_u16_sdwa s[0:1], v11, s24 src0_sel:BYTE_0 src1_sel:DWORD
	s_and_saveexec_b64 s[12:13], s[0:1]
	s_cbranch_execz .LBB192_295
; %bb.292:                              ;   in Loop: Header=BB192_174 Depth=1
	v_bfe_u32 v0, v15, 16, 7
	v_mov_b32_e32 v20, 0x7f800001
	v_mov_b32_e32 v21, 0
	v_cmp_ne_u32_e64 s[0:1], s25, v0
	s_and_saveexec_b64 s[14:15], s[0:1]
	s_cbranch_execz .LBB192_294
; %bb.293:                              ;   in Loop: Header=BB192_174 Depth=1
	v_and_b32_e32 v32, 7, v11
	v_lshrrev_b32_e32 v33, 3, v0
	v_cmp_gt_u32_e64 s[0:1], 8, v0
	v_ffbh_u32_e32 v0, v32
	v_min_u32_e32 v0, 32, v0
	v_subrev_u32_e32 v20, 28, v0
	v_lshlrev_b64 v[20:21], v20, v[11:12]
	v_sub_u32_e32 v0, 29, v0
	v_and_b32_e32 v20, 7, v20
	v_cndmask_b32_e64 v0, v33, v0, s[0:1]
	v_cndmask_b32_e64 v20, v32, v20, s[0:1]
	v_lshlrev_b32_e32 v20, 20, v20
	v_and_b32_sdwa v11, sext(v11), s26 dst_sel:DWORD dst_unused:UNUSED_PAD src0_sel:BYTE_0 src1_sel:DWORD
	v_lshl_add_u32 v0, v0, 23, v37
	v_or3_b32 v20, v11, v0, v20
	v_mov_b32_e32 v21, v5
.LBB192_294:                            ;   in Loop: Header=BB192_174 Depth=1
	s_or_b64 exec, exec, s[14:15]
.LBB192_295:                            ;   in Loop: Header=BB192_174 Depth=1
	s_or_b64 exec, exec, s[12:13]
.LBB192_296:                            ;   in Loop: Header=BB192_174 Depth=1
	s_or_b64 exec, exec, s[6:7]
	v_cmp_lt_u32_e64 s[0:1], s27, v15
	s_and_saveexec_b64 s[6:7], s[0:1]
	s_cbranch_execz .LBB192_302
; %bb.297:                              ;   in Loop: Header=BB192_174 Depth=1
	v_mov_b32_e32 v23, v6
	v_cmp_ne_u32_sdwa s[0:1], v15, s24 src0_sel:BYTE_3 src1_sel:DWORD
	v_mov_b32_e32 v22, v5
	s_and_saveexec_b64 s[12:13], s[0:1]
	s_cbranch_execz .LBB192_301
; %bb.298:                              ;   in Loop: Header=BB192_174 Depth=1
	v_bfe_u32 v0, v15, 24, 7
	v_mov_b32_e32 v11, v5
	v_mov_b32_e32 v23, v12
	v_cmp_ne_u32_e64 s[0:1], s25, v0
	v_mov_b32_e32 v22, v11
	s_and_saveexec_b64 s[14:15], s[0:1]
	s_cbranch_execz .LBB192_300
; %bb.299:                              ;   in Loop: Header=BB192_174 Depth=1
	v_and_b32_sdwa v22, v15, v40 dst_sel:DWORD dst_unused:UNUSED_PAD src0_sel:BYTE_3 src1_sel:DWORD
	v_lshrrev_b32_e32 v11, 3, v0
	v_cmp_gt_u32_e64 s[0:1], 8, v0
	v_ffbh_u32_e32 v0, v22
	v_min_u32_e32 v0, 32, v0
	v_mov_b32_e32 v23, v5
	v_subrev_u32_e32 v32, 28, v0
	v_lshlrev_b64 v[32:33], v32, v[22:23]
	v_sub_u32_e32 v0, 29, v0
	v_and_b32_e32 v23, 7, v32
	v_cndmask_b32_e64 v0, v11, v0, s[0:1]
	v_cndmask_b32_e64 v11, v22, v23, s[0:1]
	v_lshlrev_b32_sdwa v15, v41, v15 dst_sel:DWORD dst_unused:UNUSED_PAD src0_sel:DWORD src1_sel:BYTE_3
	v_lshl_add_u32 v0, v0, 23, v37
	v_and_or_b32 v0, v15, s26, v0
	v_lshlrev_b32_e32 v11, 20, v11
	v_or_b32_e32 v23, v0, v11
	v_mov_b32_e32 v22, v5
.LBB192_300:                            ;   in Loop: Header=BB192_174 Depth=1
	s_or_b64 exec, exec, s[14:15]
.LBB192_301:                            ;   in Loop: Header=BB192_174 Depth=1
	s_or_b64 exec, exec, s[12:13]
.LBB192_302:                            ;   in Loop: Header=BB192_174 Depth=1
	s_or_b64 exec, exec, s[6:7]
	v_or_b32_e32 v0, v19, v17
	v_or_b32_e32 v11, v18, v16
	v_mul_f32_e32 v33, s18, v0
	v_mul_f32_e32 v61, s17, v11
	v_or_b32_e32 v0, v23, v21
	v_or_b32_e32 v11, v22, v20
	v_mul_f32_e32 v23, s17, v11
	v_mul_f32_e32 v22, s18, v0
	s_and_saveexec_b64 s[6:7], vcc
; %bb.303:                              ;   in Loop: Header=BB192_174 Depth=1
	v_cmp_gt_i32_e64 s[0:1], s30, v46
	v_cndmask_b32_e64 v61, 0, v61, s[0:1]
	v_cmp_gt_i32_e64 s[0:1], s30, v48
	v_cndmask_b32_e64 v33, 0, v33, s[0:1]
	;; [unrolled: 2-line block ×4, first 2 shown]
; %bb.304:                              ;   in Loop: Header=BB192_174 Depth=1
	s_or_b64 exec, exec, s[6:7]
	global_load_dword v13, v[13:14], off offset:1280
	v_mov_b32_e32 v16, 0
	v_mov_b32_e32 v14, 0
	;; [unrolled: 1-line block ×4, first 2 shown]
	s_waitcnt vmcnt(0)
	v_cmp_ne_u16_sdwa s[0:1], v13, v5 src0_sel:BYTE_0 src1_sel:DWORD
	s_and_saveexec_b64 s[6:7], s[0:1]
	s_cbranch_execz .LBB192_310
; %bb.305:                              ;   in Loop: Header=BB192_174 Depth=1
	v_bfrev_b32_e32 v14, 1
	v_mov_b32_e32 v15, 0
	v_cmp_ne_u16_sdwa s[0:1], v13, s24 src0_sel:BYTE_0 src1_sel:DWORD
	s_and_saveexec_b64 s[12:13], s[0:1]
	s_cbranch_execz .LBB192_309
; %bb.306:                              ;   in Loop: Header=BB192_174 Depth=1
	v_and_b32_e32 v0, 0x7f, v13
	v_mov_b32_e32 v14, 0x7f800001
	v_mov_b32_e32 v15, 0
	v_cmp_ne_u32_e64 s[0:1], s25, v0
	s_and_saveexec_b64 s[14:15], s[0:1]
	s_cbranch_execz .LBB192_308
; %bb.307:                              ;   in Loop: Header=BB192_174 Depth=1
	v_and_b32_e32 v11, 7, v13
	v_ffbh_u32_e32 v14, v11
	v_min_u32_e32 v19, 32, v14
	v_subrev_u32_e32 v14, 28, v19
	v_lshlrev_b64 v[14:15], v14, v[13:14]
	v_lshrrev_b32_e32 v18, 3, v0
	v_sub_u32_e32 v15, 29, v19
	v_and_b32_e32 v14, 7, v14
	v_cmp_gt_u32_e64 s[0:1], 8, v0
	v_cndmask_b32_e64 v0, v18, v15, s[0:1]
	v_cndmask_b32_e64 v11, v11, v14, s[0:1]
	v_lshlrev_b32_e32 v11, 20, v11
	v_and_b32_sdwa v14, sext(v13), s26 dst_sel:DWORD dst_unused:UNUSED_PAD src0_sel:BYTE_0 src1_sel:DWORD
	v_lshl_add_u32 v0, v0, 23, v37
	v_or3_b32 v14, v14, v0, v11
	v_mov_b32_e32 v15, v5
.LBB192_308:                            ;   in Loop: Header=BB192_174 Depth=1
	s_or_b64 exec, exec, s[14:15]
.LBB192_309:                            ;   in Loop: Header=BB192_174 Depth=1
	s_or_b64 exec, exec, s[12:13]
.LBB192_310:                            ;   in Loop: Header=BB192_174 Depth=1
	s_or_b64 exec, exec, s[6:7]
	v_cmp_ne_u16_sdwa s[0:1], v13, v5 src0_sel:BYTE_1 src1_sel:DWORD
	s_and_saveexec_b64 s[6:7], s[0:1]
	s_cbranch_execz .LBB192_316
; %bb.311:                              ;   in Loop: Header=BB192_174 Depth=1
	v_mov_b32_e32 v17, v6
	v_cmp_ne_u16_sdwa s[0:1], v13, s24 src0_sel:BYTE_1 src1_sel:DWORD
	v_mov_b32_e32 v16, v5
	s_and_saveexec_b64 s[12:13], s[0:1]
	s_cbranch_execz .LBB192_315
; %bb.312:                              ;   in Loop: Header=BB192_174 Depth=1
	v_and_b32_sdwa v0, v13, s25 dst_sel:DWORD dst_unused:UNUSED_PAD src0_sel:BYTE_1 src1_sel:DWORD
	v_mov_b32_e32 v11, v5
	v_mov_b32_e32 v17, v12
	v_cmp_ne_u32_e64 s[0:1], s25, v0
	v_mov_b32_e32 v16, v11
	s_and_saveexec_b64 s[14:15], s[0:1]
	s_cbranch_execz .LBB192_314
; %bb.313:                              ;   in Loop: Header=BB192_174 Depth=1
	v_and_b32_sdwa v16, v13, v40 dst_sel:DWORD dst_unused:UNUSED_PAD src0_sel:BYTE_1 src1_sel:DWORD
	v_ffbh_u32_e32 v18, v16
	v_min_u32_e32 v19, 32, v18
	v_mov_b32_e32 v17, v5
	v_subrev_u32_e32 v18, 28, v19
	v_lshlrev_b64 v[17:18], v18, v[16:17]
	v_lshrrev_b32_e32 v11, 3, v0
	v_sub_u32_e32 v18, 29, v19
	v_cmp_gt_u32_e64 s[0:1], 8, v0
	v_and_b32_e32 v17, 7, v17
	v_cndmask_b32_e64 v0, v11, v18, s[0:1]
	v_cndmask_b32_e64 v11, v16, v17, s[0:1]
	v_lshlrev_b32_e32 v16, 16, v13
	v_lshl_add_u32 v0, v0, 23, v37
	v_and_or_b32 v0, v16, s26, v0
	v_lshlrev_b32_e32 v11, 20, v11
	v_or_b32_e32 v17, v0, v11
	v_mov_b32_e32 v16, v5
.LBB192_314:                            ;   in Loop: Header=BB192_174 Depth=1
	s_or_b64 exec, exec, s[14:15]
.LBB192_315:                            ;   in Loop: Header=BB192_174 Depth=1
	s_or_b64 exec, exec, s[12:13]
.LBB192_316:                            ;   in Loop: Header=BB192_174 Depth=1
	s_or_b64 exec, exec, s[6:7]
	v_lshrrev_b32_e32 v11, 16, v13
	v_mov_b32_e32 v20, 0
	v_mov_b32_e32 v18, 0
	;; [unrolled: 1-line block ×4, first 2 shown]
	v_cmp_ne_u16_sdwa s[0:1], v11, v5 src0_sel:BYTE_0 src1_sel:DWORD
	s_and_saveexec_b64 s[6:7], s[0:1]
	s_cbranch_execz .LBB192_322
; %bb.317:                              ;   in Loop: Header=BB192_174 Depth=1
	v_bfrev_b32_e32 v18, 1
	v_mov_b32_e32 v19, 0
	v_cmp_ne_u16_sdwa s[0:1], v11, s24 src0_sel:BYTE_0 src1_sel:DWORD
	s_and_saveexec_b64 s[12:13], s[0:1]
	s_cbranch_execz .LBB192_321
; %bb.318:                              ;   in Loop: Header=BB192_174 Depth=1
	v_bfe_u32 v0, v13, 16, 7
	v_mov_b32_e32 v18, 0x7f800001
	v_mov_b32_e32 v19, 0
	v_cmp_ne_u32_e64 s[0:1], s25, v0
	s_and_saveexec_b64 s[14:15], s[0:1]
	s_cbranch_execz .LBB192_320
; %bb.319:                              ;   in Loop: Header=BB192_174 Depth=1
	v_and_b32_e32 v32, 7, v11
	v_lshrrev_b32_e32 v34, 3, v0
	v_cmp_gt_u32_e64 s[0:1], 8, v0
	v_ffbh_u32_e32 v0, v32
	v_min_u32_e32 v0, 32, v0
	v_subrev_u32_e32 v18, 28, v0
	v_lshlrev_b64 v[18:19], v18, v[11:12]
	v_sub_u32_e32 v0, 29, v0
	v_and_b32_e32 v18, 7, v18
	v_cndmask_b32_e64 v0, v34, v0, s[0:1]
	v_cndmask_b32_e64 v18, v32, v18, s[0:1]
	v_lshlrev_b32_e32 v18, 20, v18
	v_and_b32_sdwa v11, sext(v11), s26 dst_sel:DWORD dst_unused:UNUSED_PAD src0_sel:BYTE_0 src1_sel:DWORD
	v_lshl_add_u32 v0, v0, 23, v37
	v_or3_b32 v18, v11, v0, v18
	v_mov_b32_e32 v19, v5
.LBB192_320:                            ;   in Loop: Header=BB192_174 Depth=1
	s_or_b64 exec, exec, s[14:15]
.LBB192_321:                            ;   in Loop: Header=BB192_174 Depth=1
	s_or_b64 exec, exec, s[12:13]
.LBB192_322:                            ;   in Loop: Header=BB192_174 Depth=1
	s_or_b64 exec, exec, s[6:7]
	v_cmp_lt_u32_e64 s[0:1], s27, v13
	s_and_saveexec_b64 s[6:7], s[0:1]
	s_cbranch_execz .LBB192_328
; %bb.323:                              ;   in Loop: Header=BB192_174 Depth=1
	v_mov_b32_e32 v21, v6
	v_cmp_ne_u32_sdwa s[0:1], v13, s24 src0_sel:BYTE_3 src1_sel:DWORD
	v_mov_b32_e32 v20, v5
	s_and_saveexec_b64 s[12:13], s[0:1]
	s_cbranch_execz .LBB192_327
; %bb.324:                              ;   in Loop: Header=BB192_174 Depth=1
	v_bfe_u32 v0, v13, 24, 7
	v_mov_b32_e32 v11, v5
	v_mov_b32_e32 v21, v12
	v_cmp_ne_u32_e64 s[0:1], s25, v0
	v_mov_b32_e32 v20, v11
	s_and_saveexec_b64 s[14:15], s[0:1]
	s_cbranch_execz .LBB192_326
; %bb.325:                              ;   in Loop: Header=BB192_174 Depth=1
	v_and_b32_sdwa v20, v13, v40 dst_sel:DWORD dst_unused:UNUSED_PAD src0_sel:BYTE_3 src1_sel:DWORD
	v_lshrrev_b32_e32 v11, 3, v0
	v_cmp_gt_u32_e64 s[0:1], 8, v0
	v_ffbh_u32_e32 v0, v20
	v_min_u32_e32 v0, 32, v0
	v_mov_b32_e32 v21, v5
	v_subrev_u32_e32 v32, 28, v0
	v_lshlrev_b64 v[62:63], v32, v[20:21]
	v_sub_u32_e32 v0, 29, v0
	v_and_b32_e32 v21, 7, v62
	v_cndmask_b32_e64 v0, v11, v0, s[0:1]
	v_cndmask_b32_e64 v11, v20, v21, s[0:1]
	v_lshlrev_b32_sdwa v13, v41, v13 dst_sel:DWORD dst_unused:UNUSED_PAD src0_sel:DWORD src1_sel:BYTE_3
	v_lshl_add_u32 v0, v0, 23, v37
	v_and_or_b32 v0, v13, s26, v0
	v_lshlrev_b32_e32 v11, 20, v11
	v_or_b32_e32 v21, v0, v11
	v_mov_b32_e32 v20, v5
.LBB192_326:                            ;   in Loop: Header=BB192_174 Depth=1
	s_or_b64 exec, exec, s[14:15]
.LBB192_327:                            ;   in Loop: Header=BB192_174 Depth=1
	s_or_b64 exec, exec, s[12:13]
.LBB192_328:                            ;   in Loop: Header=BB192_174 Depth=1
	s_or_b64 exec, exec, s[6:7]
	v_or_b32_e32 v11, v16, v14
	v_or_b32_e32 v0, v17, v15
	v_mul_f32_e32 v14, s17, v11
	v_or_b32_e32 v11, v21, v19
	v_or_b32_e32 v13, v20, v18
	v_mul_f32_e32 v0, s18, v0
	v_mul_f32_e32 v13, s17, v13
	v_mul_f32_e32 v11, s18, v11
	s_and_saveexec_b64 s[0:1], vcc
	s_cbranch_execz .LBB192_173
; %bb.329:                              ;   in Loop: Header=BB192_174 Depth=1
	v_cmp_gt_i32_e32 vcc, s30, v46
	v_cndmask_b32_e32 v14, 0, v14, vcc
	v_cmp_gt_i32_e32 vcc, s30, v48
	v_cndmask_b32_e32 v0, 0, v0, vcc
	;; [unrolled: 2-line block ×4, first 2 shown]
	s_branch .LBB192_173
.LBB192_330:
	s_or_b64 exec, exec, s[4:5]
.LBB192_331:
	s_or_b64 exec, exec, s[2:3]
	ds_bpermute_b32 v0, v26, v38
	ds_bpermute_b32 v2, v26, v30
	;; [unrolled: 1-line block ×4, first 2 shown]
	s_waitcnt lgkmcnt(0)
	v_add_f32_e32 v0, v38, v0
	v_add_f32_e32 v7, v30, v2
	ds_bpermute_b32 v5, v25, v0
	ds_bpermute_b32 v8, v25, v7
	v_add_f32_e32 v6, v31, v1
	s_waitcnt lgkmcnt(0)
	s_barrier
	v_add_f32_e32 v1, v0, v5
	v_add_f32_e32 v5, v29, v3
	v_add_f32_e32 v3, v7, v8
	buffer_load_dword v8, off, s[44:47], 0 offset:16 ; 4-byte Folded Reload
	ds_bpermute_b32 v0, v26, v27
	ds_bpermute_b32 v4, v26, v28
	;; [unrolled: 1-line block ×4, first 2 shown]
	s_waitcnt lgkmcnt(3)
	v_add_f32_e32 v0, v27, v0
	s_waitcnt lgkmcnt(2)
	v_add_f32_e32 v10, v28, v4
	ds_bpermute_b32 v12, v25, v0
	ds_bpermute_b32 v11, v25, v10
	s_waitcnt lgkmcnt(3)
	v_add_f32_e32 v2, v6, v2
	s_waitcnt lgkmcnt(2)
	v_add_f32_e32 v4, v5, v9
	;; [unrolled: 2-line block ×4, first 2 shown]
	s_waitcnt vmcnt(0)
	v_and_b32_e32 v0, 0x3c3, v8
	v_cmp_eq_u32_e32 vcc, 64, v0
	s_and_saveexec_b64 s[0:1], vcc
	s_cbranch_execz .LBB192_333
; %bb.332:
	v_add_u32_e32 v7, 0x190, v24
	ds_write2_b32 v7, v1, v2 offset1:16
	ds_write2_b32 v7, v3, v4 offset0:32 offset1:48
	ds_write2_b32 v7, v5, v6 offset0:64 offset1:80
.LBB192_333:
	s_or_b64 exec, exec, s[0:1]
	v_cmp_gt_u32_e32 vcc, 64, v8
	s_waitcnt lgkmcnt(0)
	s_barrier
	s_and_saveexec_b64 s[0:1], vcc
	s_cbranch_execz .LBB192_342
; %bb.334:
	buffer_load_dword v7, off, s[44:47], 0 offset:20 ; 4-byte Folded Reload
	buffer_load_dword v8, off, s[44:47], 0 offset:28 ; 4-byte Folded Reload
	s_waitcnt vmcnt(1)
	v_cmp_eq_u32_e32 vcc, 0, v7
	v_mov_b32_e32 v7, 0x190
	s_waitcnt vmcnt(0)
	v_lshl_add_u32 v7, v8, 2, v7
	s_and_saveexec_b64 s[2:3], vcc
	s_cbranch_execnz .LBB192_345
; %bb.335:
	s_or_b64 exec, exec, s[2:3]
	s_and_saveexec_b64 s[2:3], vcc
	s_cbranch_execnz .LBB192_346
.LBB192_336:
	s_or_b64 exec, exec, s[2:3]
	s_and_saveexec_b64 s[2:3], vcc
	s_cbranch_execnz .LBB192_347
.LBB192_337:
	s_or_b64 exec, exec, s[2:3]
	s_and_saveexec_b64 s[2:3], vcc
	s_cbranch_execnz .LBB192_348
.LBB192_338:
	s_or_b64 exec, exec, s[2:3]
	s_and_saveexec_b64 s[2:3], vcc
	s_cbranch_execnz .LBB192_349
.LBB192_339:
	s_or_b64 exec, exec, s[2:3]
	s_and_saveexec_b64 s[2:3], vcc
	s_cbranch_execz .LBB192_341
.LBB192_340:
	ds_read_b32 v7, v7 offset:320
	s_waitcnt lgkmcnt(0)
	v_add_f32_e32 v6, v6, v7
.LBB192_341:
	s_or_b64 exec, exec, s[2:3]
.LBB192_342:
	s_or_b64 exec, exec, s[0:1]
	v_cmp_eq_u32_e32 vcc, 0, v0
	s_barrier
	s_and_saveexec_b64 s[0:1], vcc
	s_cbranch_execz .LBB192_344
; %bb.343:
	buffer_load_dword v0, off, s[44:47], 0 offset:24 ; 4-byte Folded Reload
	s_mul_i32 s0, s10, s11
	s_mul_i32 s0, s0, s9
	s_mulk_i32 s0, 0x60
	s_ashr_i32 s1, s0, 31
	s_lshl_b64 s[0:1], s[0:1], 2
	s_add_u32 s2, s22, s0
	s_mul_i32 s0, s11, s20
	s_addc_u32 s3, s23, s1
	s_ashr_i32 s1, s0, 31
	s_lshl_b64 s[0:1], s[0:1], 2
	s_add_u32 s2, s2, s0
	s_mul_i32 s0, s8, 0x60
	s_addc_u32 s3, s3, s1
	s_ashr_i32 s1, s0, 31
	s_lshl_b64 s[0:1], s[0:1], 2
	s_add_u32 s0, s2, s0
	s_addc_u32 s1, s3, s1
	s_waitcnt vmcnt(0)
	global_store_dword v0, v1, s[0:1]
	global_store_dword v0, v2, s[0:1] offset:64
	global_store_dword v0, v3, s[0:1] offset:128
	;; [unrolled: 1-line block ×5, first 2 shown]
.LBB192_344:
	s_endpgm
.LBB192_345:
	ds_read_b32 v8, v7
	s_waitcnt lgkmcnt(0)
	v_add_f32_e32 v1, v1, v8
	s_or_b64 exec, exec, s[2:3]
	s_and_saveexec_b64 s[2:3], vcc
	s_cbranch_execz .LBB192_336
.LBB192_346:
	ds_read_b32 v8, v7 offset:64
	s_waitcnt lgkmcnt(0)
	v_add_f32_e32 v2, v2, v8
	s_or_b64 exec, exec, s[2:3]
	s_and_saveexec_b64 s[2:3], vcc
	s_cbranch_execz .LBB192_337
.LBB192_347:
	ds_read_b32 v8, v7 offset:128
	s_waitcnt lgkmcnt(0)
	v_add_f32_e32 v3, v3, v8
	s_or_b64 exec, exec, s[2:3]
	s_and_saveexec_b64 s[2:3], vcc
	s_cbranch_execz .LBB192_338
.LBB192_348:
	ds_read_b32 v8, v7 offset:192
	s_waitcnt lgkmcnt(0)
	v_add_f32_e32 v4, v4, v8
	s_or_b64 exec, exec, s[2:3]
	s_and_saveexec_b64 s[2:3], vcc
	s_cbranch_execz .LBB192_339
.LBB192_349:
	ds_read_b32 v8, v7 offset:256
	s_waitcnt lgkmcnt(0)
	v_add_f32_e32 v5, v5, v8
	s_or_b64 exec, exec, s[2:3]
	s_and_saveexec_b64 s[2:3], vcc
	s_cbranch_execnz .LBB192_340
	s_branch .LBB192_341
	.section	.rodata,"a",@progbits
	.p2align	6, 0x0
	.amdhsa_kernel _ZN4vllm25paged_attention_v1_kernelIfhLi96ELi16ELi128ELNS_18Fp8KVCacheDataTypeE1ELb0EEEvPT_PKS2_PKT0_S8_ifPKiSA_iPKfiiiSC_SC_iiiii
		.amdhsa_group_segment_fixed_size 400
		.amdhsa_private_segment_fixed_size 52
		.amdhsa_kernarg_size 384
		.amdhsa_user_sgpr_count 6
		.amdhsa_user_sgpr_private_segment_buffer 1
		.amdhsa_user_sgpr_dispatch_ptr 0
		.amdhsa_user_sgpr_queue_ptr 0
		.amdhsa_user_sgpr_kernarg_segment_ptr 1
		.amdhsa_user_sgpr_dispatch_id 0
		.amdhsa_user_sgpr_flat_scratch_init 0
		.amdhsa_user_sgpr_private_segment_size 0
		.amdhsa_uses_dynamic_stack 0
		.amdhsa_system_sgpr_private_segment_wavefront_offset 1
		.amdhsa_system_sgpr_workgroup_id_x 1
		.amdhsa_system_sgpr_workgroup_id_y 1
		.amdhsa_system_sgpr_workgroup_id_z 1
		.amdhsa_system_sgpr_workgroup_info 0
		.amdhsa_system_vgpr_workitem_id 0
		.amdhsa_next_free_vgpr 64
		.amdhsa_next_free_sgpr 48
		.amdhsa_reserve_vcc 1
		.amdhsa_reserve_flat_scratch 0
		.amdhsa_float_round_mode_32 0
		.amdhsa_float_round_mode_16_64 0
		.amdhsa_float_denorm_mode_32 3
		.amdhsa_float_denorm_mode_16_64 3
		.amdhsa_dx10_clamp 1
		.amdhsa_ieee_mode 1
		.amdhsa_fp16_overflow 0
		.amdhsa_exception_fp_ieee_invalid_op 0
		.amdhsa_exception_fp_denorm_src 0
		.amdhsa_exception_fp_ieee_div_zero 0
		.amdhsa_exception_fp_ieee_overflow 0
		.amdhsa_exception_fp_ieee_underflow 0
		.amdhsa_exception_fp_ieee_inexact 0
		.amdhsa_exception_int_div_zero 0
	.end_amdhsa_kernel
	.section	.text._ZN4vllm25paged_attention_v1_kernelIfhLi96ELi16ELi128ELNS_18Fp8KVCacheDataTypeE1ELb0EEEvPT_PKS2_PKT0_S8_ifPKiSA_iPKfiiiSC_SC_iiiii,"axG",@progbits,_ZN4vllm25paged_attention_v1_kernelIfhLi96ELi16ELi128ELNS_18Fp8KVCacheDataTypeE1ELb0EEEvPT_PKS2_PKT0_S8_ifPKiSA_iPKfiiiSC_SC_iiiii,comdat
.Lfunc_end192:
	.size	_ZN4vllm25paged_attention_v1_kernelIfhLi96ELi16ELi128ELNS_18Fp8KVCacheDataTypeE1ELb0EEEvPT_PKS2_PKT0_S8_ifPKiSA_iPKfiiiSC_SC_iiiii, .Lfunc_end192-_ZN4vllm25paged_attention_v1_kernelIfhLi96ELi16ELi128ELNS_18Fp8KVCacheDataTypeE1ELb0EEEvPT_PKS2_PKT0_S8_ifPKiSA_iPKfiiiSC_SC_iiiii
                                        ; -- End function
	.set _ZN4vllm25paged_attention_v1_kernelIfhLi96ELi16ELi128ELNS_18Fp8KVCacheDataTypeE1ELb0EEEvPT_PKS2_PKT0_S8_ifPKiSA_iPKfiiiSC_SC_iiiii.num_vgpr, 64
	.set _ZN4vllm25paged_attention_v1_kernelIfhLi96ELi16ELi128ELNS_18Fp8KVCacheDataTypeE1ELb0EEEvPT_PKS2_PKT0_S8_ifPKiSA_iPKfiiiSC_SC_iiiii.num_agpr, 0
	.set _ZN4vllm25paged_attention_v1_kernelIfhLi96ELi16ELi128ELNS_18Fp8KVCacheDataTypeE1ELb0EEEvPT_PKS2_PKT0_S8_ifPKiSA_iPKfiiiSC_SC_iiiii.numbered_sgpr, 48
	.set _ZN4vllm25paged_attention_v1_kernelIfhLi96ELi16ELi128ELNS_18Fp8KVCacheDataTypeE1ELb0EEEvPT_PKS2_PKT0_S8_ifPKiSA_iPKfiiiSC_SC_iiiii.num_named_barrier, 0
	.set _ZN4vllm25paged_attention_v1_kernelIfhLi96ELi16ELi128ELNS_18Fp8KVCacheDataTypeE1ELb0EEEvPT_PKS2_PKT0_S8_ifPKiSA_iPKfiiiSC_SC_iiiii.private_seg_size, 52
	.set _ZN4vllm25paged_attention_v1_kernelIfhLi96ELi16ELi128ELNS_18Fp8KVCacheDataTypeE1ELb0EEEvPT_PKS2_PKT0_S8_ifPKiSA_iPKfiiiSC_SC_iiiii.uses_vcc, 1
	.set _ZN4vllm25paged_attention_v1_kernelIfhLi96ELi16ELi128ELNS_18Fp8KVCacheDataTypeE1ELb0EEEvPT_PKS2_PKT0_S8_ifPKiSA_iPKfiiiSC_SC_iiiii.uses_flat_scratch, 0
	.set _ZN4vllm25paged_attention_v1_kernelIfhLi96ELi16ELi128ELNS_18Fp8KVCacheDataTypeE1ELb0EEEvPT_PKS2_PKT0_S8_ifPKiSA_iPKfiiiSC_SC_iiiii.has_dyn_sized_stack, 0
	.set _ZN4vllm25paged_attention_v1_kernelIfhLi96ELi16ELi128ELNS_18Fp8KVCacheDataTypeE1ELb0EEEvPT_PKS2_PKT0_S8_ifPKiSA_iPKfiiiSC_SC_iiiii.has_recursion, 0
	.set _ZN4vllm25paged_attention_v1_kernelIfhLi96ELi16ELi128ELNS_18Fp8KVCacheDataTypeE1ELb0EEEvPT_PKS2_PKT0_S8_ifPKiSA_iPKfiiiSC_SC_iiiii.has_indirect_call, 0
	.section	.AMDGPU.csdata,"",@progbits
; Kernel info:
; codeLenInByte = 13468
; TotalNumSgprs: 52
; NumVgprs: 64
; ScratchSize: 52
; MemoryBound: 0
; FloatMode: 240
; IeeeMode: 1
; LDSByteSize: 400 bytes/workgroup (compile time only)
; SGPRBlocks: 6
; VGPRBlocks: 15
; NumSGPRsForWavesPerEU: 52
; NumVGPRsForWavesPerEU: 64
; Occupancy: 4
; WaveLimiterHint : 1
; COMPUTE_PGM_RSRC2:SCRATCH_EN: 1
; COMPUTE_PGM_RSRC2:USER_SGPR: 6
; COMPUTE_PGM_RSRC2:TRAP_HANDLER: 0
; COMPUTE_PGM_RSRC2:TGID_X_EN: 1
; COMPUTE_PGM_RSRC2:TGID_Y_EN: 1
; COMPUTE_PGM_RSRC2:TGID_Z_EN: 1
; COMPUTE_PGM_RSRC2:TIDIG_COMP_CNT: 0
	.section	.text._ZN4vllm25paged_attention_v1_kernelIfhLi112ELi16ELi128ELNS_18Fp8KVCacheDataTypeE1ELb0EEEvPT_PKS2_PKT0_S8_ifPKiSA_iPKfiiiSC_SC_iiiii,"axG",@progbits,_ZN4vllm25paged_attention_v1_kernelIfhLi112ELi16ELi128ELNS_18Fp8KVCacheDataTypeE1ELb0EEEvPT_PKS2_PKT0_S8_ifPKiSA_iPKfiiiSC_SC_iiiii,comdat
	.protected	_ZN4vllm25paged_attention_v1_kernelIfhLi112ELi16ELi128ELNS_18Fp8KVCacheDataTypeE1ELb0EEEvPT_PKS2_PKT0_S8_ifPKiSA_iPKfiiiSC_SC_iiiii ; -- Begin function _ZN4vllm25paged_attention_v1_kernelIfhLi112ELi16ELi128ELNS_18Fp8KVCacheDataTypeE1ELb0EEEvPT_PKS2_PKT0_S8_ifPKiSA_iPKfiiiSC_SC_iiiii
	.globl	_ZN4vllm25paged_attention_v1_kernelIfhLi112ELi16ELi128ELNS_18Fp8KVCacheDataTypeE1ELb0EEEvPT_PKS2_PKT0_S8_ifPKiSA_iPKfiiiSC_SC_iiiii
	.p2align	8
	.type	_ZN4vllm25paged_attention_v1_kernelIfhLi112ELi16ELi128ELNS_18Fp8KVCacheDataTypeE1ELb0EEEvPT_PKS2_PKT0_S8_ifPKiSA_iPKfiiiSC_SC_iiiii,@function
_ZN4vllm25paged_attention_v1_kernelIfhLi112ELi16ELi128ELNS_18Fp8KVCacheDataTypeE1ELb0EEEvPT_PKS2_PKT0_S8_ifPKiSA_iPKfiiiSC_SC_iiiii: ; @_ZN4vllm25paged_attention_v1_kernelIfhLi112ELi16ELi128ELNS_18Fp8KVCacheDataTypeE1ELb0EEEvPT_PKS2_PKT0_S8_ifPKiSA_iPKfiiiSC_SC_iiiii
; %bb.0:
	s_mov_b64 s[46:47], s[2:3]
	s_mov_b64 s[44:45], s[0:1]
	s_add_u32 s44, s44, s9
	s_load_dword s9, s[4:5], 0x80
	s_load_dwordx2 s[0:1], s[4:5], 0x30
	s_load_dwordx2 s[30:31], s[4:5], 0x20
	s_addc_u32 s45, s45, 0
	s_mov_b32 s10, s7
	s_ashr_i32 s11, s7, 31
	s_lshl_b64 s[2:3], s[10:11], 2
	s_waitcnt lgkmcnt(0)
	s_add_u32 s0, s0, s2
	s_addc_u32 s1, s1, s3
	s_abs_i32 s2, s30
	v_mov_b32_e32 v11, v0
	v_cvt_f32_u32_e32 v0, s2
	s_sub_i32 s11, 0, s2
	s_abs_i32 s7, s9
	s_xor_b32 s3, s9, s30
	v_rcp_iflag_f32_e32 v0, v0
	s_ashr_i32 s3, s3, 31
	s_mov_b32 s33, 0
	v_mul_f32_e32 v0, 0x4f7ffffe, v0
	v_cvt_u32_f32_e32 v0, v0
	v_readfirstlane_b32 s12, v0
	s_mul_i32 s11, s11, s12
	s_mul_hi_u32 s11, s12, s11
	s_add_i32 s12, s12, s11
	s_mul_hi_u32 s11, s7, s12
	s_mul_i32 s12, s11, s2
	s_sub_i32 s7, s7, s12
	s_add_i32 s12, s11, 1
	s_sub_i32 s13, s7, s2
	s_cmp_ge_u32 s7, s2
	s_cselect_b32 s11, s12, s11
	s_cselect_b32 s7, s13, s7
	s_add_i32 s12, s11, 1
	s_cmp_ge_u32 s7, s2
	s_cselect_b32 s2, s12, s11
	s_xor_b32 s2, s2, s3
	s_sub_i32 s12, s2, s3
	s_abs_i32 s11, s12
	v_cvt_f32_u32_e32 v0, s11
	s_load_dwordx2 s[2:3], s[4:5], 0x40
	s_sub_i32 s7, 0, s11
	s_abs_i32 s16, s6
	v_rcp_iflag_f32_e32 v0, v0
	v_mul_f32_e32 v0, 0x4f7ffffe, v0
	v_cvt_u32_f32_e32 v0, v0
	v_readfirstlane_b32 s13, v0
	s_mul_i32 s7, s7, s13
	s_mul_hi_u32 s7, s13, s7
	s_add_i32 s13, s13, s7
	s_waitcnt lgkmcnt(0)
	s_cmp_eq_u64 s[2:3], 0
	s_mul_hi_u32 s17, s16, s13
	s_cbranch_scc1 .LBB193_2
; %bb.1:
	s_ashr_i32 s7, s6, 31
	s_lshl_b64 s[14:15], s[6:7], 2
	s_add_u32 s2, s2, s14
	s_addc_u32 s3, s3, s15
	s_load_dword s33, s[2:3], 0x0
.LBB193_2:
	s_load_dword s30, s[0:1], 0x0
	s_ashr_i32 s3, s12, 31
	s_load_dwordx4 s[12:15], s[4:5], 0x48
	v_lshrrev_b32_e32 v0, 2, v11
	s_movk_i32 s7, 0x70
	s_ashr_i32 s2, s6, 31
	v_and_b32_e32 v1, 3, v11
	s_mul_i32 s20, s6, 0x70
	v_cmp_gt_u32_e32 vcc, s7, v11
	v_lshlrev_b32_e32 v12, 2, v11
	v_lshlrev_b32_e32 v2, 2, v0
	buffer_store_dword v1, off, s[44:47], 0 offset:44 ; 4-byte Folded Spill
	buffer_store_dword v0, off, s[44:47], 0 offset:52 ; 4-byte Folded Spill
	s_and_saveexec_b64 s[0:1], vcc
	s_cbranch_execz .LBB193_4
; %bb.3:
	s_load_dwordx2 s[18:19], s[4:5], 0x8
	s_waitcnt lgkmcnt(0)
	s_mul_i32 s22, s12, s10
	s_ashr_i32 s23, s22, 31
	s_lshl_b64 s[22:23], s[22:23], 2
	v_and_b32_e32 v1, 3, v11
	s_add_u32 s6, s18, s22
	s_addc_u32 s12, s19, s23
	s_ashr_i32 s21, s20, 31
	s_lshl_b64 s[18:19], s[20:21], 2
	s_add_u32 s18, s6, s18
	s_addc_u32 s19, s12, s19
	global_load_dword v0, v12, s[18:19]
	v_mad_u32_u24 v1, v1, s7, v2
	s_waitcnt vmcnt(0)
	ds_write_b32 v1, v0
.LBB193_4:
	s_or_b64 exec, exec, s[0:1]
	s_waitcnt lgkmcnt(0)
	s_add_i32 s1, s30, 15
	s_ashr_i32 s6, s1, 31
	s_lshr_b32 s6, s6, 28
	s_add_i32 s1, s1, s6
	s_ashr_i32 s21, s1, 4
	s_xor_b32 s1, s2, s3
	s_mul_i32 s2, s17, s11
	s_sub_i32 s2, s16, s2
	s_add_i32 s3, s17, 1
	s_sub_i32 s6, s2, s11
	s_load_dwordx2 s[24:25], s[4:5], 0x28
	s_load_dword s0, s[4:5], 0x38
	s_cmp_ge_u32 s2, s11
	s_cselect_b32 s3, s3, s17
	s_cselect_b32 s2, s6, s2
	s_add_i32 s6, s3, 1
	s_cmp_ge_u32 s2, s11
	s_cselect_b32 s2, s6, s3
	v_lshrrev_b32_e32 v0, 6, v11
	s_xor_b32 s2, s2, s1
	s_waitcnt lgkmcnt(0)
	s_mul_i32 s26, s0, s10
	s_sub_i32 s12, s2, s1
	s_waitcnt vmcnt(0)
	s_barrier
	s_ashr_i32 s27, s26, 31
	v_cmp_gt_i32_e64 s[0:1], s21, v0
	buffer_store_dword v0, off, s[44:47], 0 ; 4-byte Folded Spill
	v_cmp_le_i32_e32 vcc, s21, v0
	v_mbcnt_lo_u32_b32 v0, -1, 0
                                        ; implicit-def: $vgpr15
                                        ; implicit-def: $vgpr8
                                        ; implicit-def: $vgpr16
	s_and_saveexec_b64 s[2:3], vcc
	s_xor_b64 s[2:3], exec, s[2:3]
; %bb.5:
	v_mbcnt_hi_u32_b32 v15, -1, v0
	v_and_b32_e32 v8, 64, v15
	v_add_u32_e32 v16, 64, v8
                                        ; implicit-def: $vgpr0
; %bb.6:
	s_or_saveexec_b64 s[6:7], s[2:3]
	buffer_store_dword v2, off, s[44:47], 0 offset:48 ; 4-byte Folded Spill
	s_load_dwordx2 s[22:23], s[4:5], 0x0
	s_load_dwordx2 s[28:29], s[4:5], 0x18
	s_load_dword s11, s[4:5], 0x88
	s_load_dwordx4 s[16:19], s[4:5], 0x58
	v_mov_b32_e32 v2, 0xff7fffff
	s_mul_i32 s12, s12, s14
	v_lshrrev_b32_e32 v14, 4, v11
	buffer_store_dword v11, off, s[44:47], 0 offset:40 ; 4-byte Folded Spill
	s_xor_b64 exec, exec, s[6:7]
	s_cbranch_execz .LBB193_180
; %bb.7:
	buffer_load_dword v4, off, s[44:47], 0 offset:44 ; 4-byte Folded Reload
	s_load_dwordx2 s[2:3], s[4:5], 0x10
	s_ashr_i32 s4, s12, 31
	v_bfe_u32 v1, v11, 2, 4
	v_lshlrev_b32_e32 v2, 4, v1
	v_mbcnt_hi_u32_b32 v5, -1, v0
	s_waitcnt lgkmcnt(0)
	s_add_u32 s2, s2, s12
	s_addc_u32 s3, s3, s4
	v_mov_b32_e32 v3, s3
	v_add_co_u32_e32 v2, vcc, s2, v2
	v_and_b32_e32 v0, 64, v5
	v_addc_co_u32_e32 v3, vcc, 0, v3, vcc
	buffer_store_dword v0, off, s[44:47], 0 offset:68 ; 4-byte Folded Spill
	v_add_u32_e32 v6, 64, v0
	v_xor_b32_e32 v0, 2, v5
	v_cmp_lt_i32_e32 vcc, v0, v6
	v_cndmask_b32_e32 v0, v5, v0, vcc
	v_lshlrev_b32_e32 v0, 2, v0
	buffer_store_dword v0, off, s[44:47], 0 offset:8 ; 4-byte Folded Spill
	v_xor_b32_e32 v0, 1, v5
	v_cmp_lt_i32_e32 vcc, v0, v6
	v_cndmask_b32_e32 v0, v5, v0, vcc
	v_lshlrev_b32_e32 v0, 2, v0
	buffer_store_dword v12, off, s[44:47], 0 offset:56 ; 4-byte Folded Spill
	buffer_store_dword v5, off, s[44:47], 0 offset:64 ; 4-byte Folded Spill
	;; [unrolled: 1-line block ×3, first 2 shown]
	s_load_dword s39, s[16:17], 0x0
	s_sub_i32 s40, 1, s30
	v_lshlrev_b32_e32 v0, 2, v1
	s_mov_b32 s38, s13
	v_cmp_neq_f32_e64 s[2:3], s33, 0
	s_mov_b64 s[14:15], 0
	s_movk_i32 s41, 0x80
	s_movk_i32 s42, 0x7f
	s_waitcnt vmcnt(5)
	v_add_co_u32_e64 v2, s[4:5], v2, v4
	v_addc_co_u32_e64 v3, s[4:5], 0, v3, s[4:5]
	buffer_store_dword v2, off, s[44:47], 0 offset:16 ; 4-byte Folded Spill
	s_nop 0
	buffer_store_dword v3, off, s[44:47], 0 offset:20 ; 4-byte Folded Spill
	buffer_load_dword v51, off, s[44:47], 0 ; 4-byte Folded Reload
	s_lshl_b64 s[4:5], s[26:27], 2
	s_add_u32 s4, s24, s4
	s_addc_u32 s5, s25, s5
	v_mul_u32_u24_e32 v25, 0x70, v4
	buffer_store_dword v14, off, s[44:47], 0 offset:60 ; 4-byte Folded Spill
	v_cmp_eq_u32_e32 vcc, 0, v4
	s_waitcnt vmcnt(1)
	v_lshl_or_b32 v0, v51, 6, v0
	v_add_u32_e32 v49, 0x1d0, v0
	v_and_b32_e32 v0, 60, v14
	v_lshl_or_b32 v48, v51, 4, v1
	v_mov_b32_e32 v1, s5
	v_add_co_u32_e64 v31, s[4:5], s4, v0
	v_mov_b32_e32 v0, 0xff7fffff
	v_addc_co_u32_e64 v32, s[4:5], 0, v1, s[4:5]
	buffer_store_dword v0, off, s[44:47], 0 offset:4 ; 4-byte Folded Spill
	ds_read_b128 v[0:3], v25
	s_waitcnt lgkmcnt(0)
	buffer_store_dword v0, off, s[44:47], 0 offset:24 ; 4-byte Folded Spill
	s_nop 0
	buffer_store_dword v1, off, s[44:47], 0 offset:28 ; 4-byte Folded Spill
	buffer_store_dword v2, off, s[44:47], 0 offset:32 ; 4-byte Folded Spill
	;; [unrolled: 1-line block ×3, first 2 shown]
	ds_read_b128 v[5:8], v25 offset:16
	ds_read_b128 v[9:12], v25 offset:32
	;; [unrolled: 1-line block ×6, first 2 shown]
	s_branch .LBB193_9
.LBB193_8:                              ;   in Loop: Header=BB193_9 Depth=1
	s_or_b64 exec, exec, s[16:17]
	v_add_u32_e32 v51, 2, v51
	v_cmp_le_i32_e64 s[4:5], s21, v51
	s_or_b64 s[14:15], s[4:5], s[14:15]
	v_add_co_u32_e64 v31, s[4:5], 8, v31
	v_add_u32_e32 v48, 32, v48
	v_add_u32_e32 v49, 0x80, v49
	v_addc_co_u32_e64 v32, s[4:5], 0, v32, s[4:5]
	s_andn2_b64 exec, exec, s[14:15]
	s_cbranch_execz .LBB193_179
.LBB193_9:                              ; =>This Inner Loop Header: Depth=1
	global_load_dword v0, v[31:32], off
	s_waitcnt lgkmcnt(0)
	buffer_load_dword v29, off, s[44:47], 0 offset:16 ; 4-byte Folded Reload
	buffer_load_dword v30, off, s[44:47], 0 offset:20 ; 4-byte Folded Reload
	v_mov_b32_e32 v39, 0
	s_waitcnt vmcnt(0)
	v_mad_i64_i32 v[33:34], s[4:5], v0, s38, v[29:30]
	global_load_ubyte v0, v[33:34], off
	s_waitcnt vmcnt(0)
	v_cmp_ne_u16_e64 s[4:5], 0, v0
	s_and_saveexec_b64 s[16:17], s[4:5]
	s_cbranch_execz .LBB193_15
; %bb.10:                               ;   in Loop: Header=BB193_9 Depth=1
	v_cmp_ne_u16_e64 s[4:5], s41, v0
	v_bfrev_b32_e32 v39, 1
	s_and_saveexec_b64 s[34:35], s[4:5]
	s_cbranch_execz .LBB193_14
; %bb.11:                               ;   in Loop: Header=BB193_9 Depth=1
	v_and_b32_e32 v35, 0xffff, v0
	v_and_b32_e32 v29, 0x7f, v35
	v_cmp_ne_u32_e64 s[4:5], s42, v29
	v_mov_b32_e32 v39, 0x7f800001
	s_and_saveexec_b64 s[36:37], s[4:5]
	s_cbranch_execz .LBB193_13
; %bb.12:                               ;   in Loop: Header=BB193_9 Depth=1
	v_and_b32_e32 v30, 7, v35
	v_ffbh_u32_e32 v36, v30
	v_min_u32_e32 v38, 32, v36
	v_subrev_u32_e32 v36, 28, v38
	v_lshlrev_b64 v[35:36], v36, v[35:36]
	v_lshrrev_b32_e32 v37, 3, v29
	v_sub_u32_e32 v36, 29, v38
	v_and_b32_e32 v35, 7, v35
	v_cmp_gt_u32_e64 s[4:5], 8, v29
	v_cndmask_b32_e64 v29, v37, v36, s[4:5]
	v_cndmask_b32_e64 v30, v30, v35, s[4:5]
	v_lshlrev_b32_e32 v0, 24, v0
	v_bfrev_b32_e32 v35, 60
	v_lshlrev_b32_e32 v30, 20, v30
	v_and_b32_e32 v0, 0x80000000, v0
	v_lshl_add_u32 v29, v29, 23, v35
	v_or3_b32 v39, v0, v29, v30
.LBB193_13:                             ;   in Loop: Header=BB193_9 Depth=1
	s_or_b64 exec, exec, s[36:37]
.LBB193_14:                             ;   in Loop: Header=BB193_9 Depth=1
	s_or_b64 exec, exec, s[34:35]
.LBB193_15:                             ;   in Loop: Header=BB193_9 Depth=1
	s_or_b64 exec, exec, s[16:17]
	global_load_ubyte v0, v[33:34], off offset:4
	v_mov_b32_e32 v2, 0
	v_mov_b32_e32 v1, 0
	s_waitcnt vmcnt(0)
	v_cmp_ne_u16_e64 s[4:5], 0, v0
	s_and_saveexec_b64 s[16:17], s[4:5]
	s_cbranch_execz .LBB193_21
; %bb.16:                               ;   in Loop: Header=BB193_9 Depth=1
	v_cmp_ne_u16_e64 s[4:5], s41, v0
	v_bfrev_b32_e32 v1, 1
	s_and_saveexec_b64 s[34:35], s[4:5]
	s_cbranch_execz .LBB193_20
; %bb.17:                               ;   in Loop: Header=BB193_9 Depth=1
	v_and_b32_e32 v35, 0xffff, v0
	v_and_b32_e32 v29, 0x7f, v35
	v_cmp_ne_u32_e64 s[4:5], s42, v29
	v_mov_b32_e32 v1, 0x7f800001
	s_and_saveexec_b64 s[36:37], s[4:5]
	s_cbranch_execz .LBB193_19
; %bb.18:                               ;   in Loop: Header=BB193_9 Depth=1
	v_and_b32_e32 v30, 7, v35
	v_ffbh_u32_e32 v36, v30
	v_min_u32_e32 v38, 32, v36
	v_subrev_u32_e32 v36, 28, v38
	v_lshlrev_b64 v[35:36], v36, v[35:36]
	v_lshrrev_b32_e32 v37, 3, v29
	v_sub_u32_e32 v36, 29, v38
	v_and_b32_e32 v35, 7, v35
	v_cmp_gt_u32_e64 s[4:5], 8, v29
	v_cndmask_b32_e64 v29, v37, v36, s[4:5]
	v_cndmask_b32_e64 v30, v30, v35, s[4:5]
	v_lshlrev_b32_e32 v0, 24, v0
	v_bfrev_b32_e32 v35, 60
	v_lshlrev_b32_e32 v30, 20, v30
	v_and_b32_e32 v0, 0x80000000, v0
	v_lshl_add_u32 v29, v29, 23, v35
	v_or3_b32 v1, v0, v29, v30
.LBB193_19:                             ;   in Loop: Header=BB193_9 Depth=1
	s_or_b64 exec, exec, s[36:37]
.LBB193_20:                             ;   in Loop: Header=BB193_9 Depth=1
	s_or_b64 exec, exec, s[34:35]
.LBB193_21:                             ;   in Loop: Header=BB193_9 Depth=1
	s_or_b64 exec, exec, s[16:17]
	global_load_ubyte v0, v[33:34], off offset:8
	s_waitcnt vmcnt(0)
	v_cmp_ne_u16_e64 s[4:5], 0, v0
	s_and_saveexec_b64 s[16:17], s[4:5]
	s_cbranch_execz .LBB193_27
; %bb.22:                               ;   in Loop: Header=BB193_9 Depth=1
	v_cmp_ne_u16_e64 s[4:5], s41, v0
	v_bfrev_b32_e32 v2, 1
	s_and_saveexec_b64 s[34:35], s[4:5]
	s_cbranch_execz .LBB193_26
; %bb.23:                               ;   in Loop: Header=BB193_9 Depth=1
	v_and_b32_e32 v35, 0xffff, v0
	v_and_b32_e32 v29, 0x7f, v35
	v_cmp_ne_u32_e64 s[4:5], s42, v29
	v_mov_b32_e32 v2, 0x7f800001
	s_and_saveexec_b64 s[36:37], s[4:5]
	s_cbranch_execz .LBB193_25
; %bb.24:                               ;   in Loop: Header=BB193_9 Depth=1
	v_and_b32_e32 v30, 7, v35
	v_ffbh_u32_e32 v36, v30
	v_min_u32_e32 v38, 32, v36
	v_subrev_u32_e32 v36, 28, v38
	v_lshlrev_b64 v[35:36], v36, v[35:36]
	v_lshrrev_b32_e32 v37, 3, v29
	v_sub_u32_e32 v36, 29, v38
	v_and_b32_e32 v35, 7, v35
	v_cmp_gt_u32_e64 s[4:5], 8, v29
	v_cndmask_b32_e64 v29, v37, v36, s[4:5]
	v_cndmask_b32_e64 v30, v30, v35, s[4:5]
	v_lshlrev_b32_e32 v0, 24, v0
	v_bfrev_b32_e32 v35, 60
	v_lshlrev_b32_e32 v30, 20, v30
	v_and_b32_e32 v0, 0x80000000, v0
	v_lshl_add_u32 v29, v29, 23, v35
	v_or3_b32 v2, v0, v29, v30
.LBB193_25:                             ;   in Loop: Header=BB193_9 Depth=1
	s_or_b64 exec, exec, s[36:37]
.LBB193_26:                             ;   in Loop: Header=BB193_9 Depth=1
	s_or_b64 exec, exec, s[34:35]
.LBB193_27:                             ;   in Loop: Header=BB193_9 Depth=1
	s_or_b64 exec, exec, s[16:17]
	global_load_ubyte v0, v[33:34], off offset:12
	v_mov_b32_e32 v3, 0
	v_mov_b32_e32 v4, 0
	s_waitcnt vmcnt(0)
	v_cmp_ne_u16_e64 s[4:5], 0, v0
	s_and_saveexec_b64 s[16:17], s[4:5]
	s_cbranch_execz .LBB193_33
; %bb.28:                               ;   in Loop: Header=BB193_9 Depth=1
	v_cmp_ne_u16_e64 s[4:5], s41, v0
	v_bfrev_b32_e32 v4, 1
	s_and_saveexec_b64 s[34:35], s[4:5]
	s_cbranch_execz .LBB193_32
; %bb.29:                               ;   in Loop: Header=BB193_9 Depth=1
	v_and_b32_e32 v35, 0xffff, v0
	v_and_b32_e32 v29, 0x7f, v35
	v_cmp_ne_u32_e64 s[4:5], s42, v29
	v_mov_b32_e32 v4, 0x7f800001
	s_and_saveexec_b64 s[36:37], s[4:5]
	s_cbranch_execz .LBB193_31
; %bb.30:                               ;   in Loop: Header=BB193_9 Depth=1
	v_and_b32_e32 v30, 7, v35
	v_ffbh_u32_e32 v36, v30
	v_min_u32_e32 v38, 32, v36
	v_subrev_u32_e32 v36, 28, v38
	v_lshlrev_b64 v[35:36], v36, v[35:36]
	v_lshrrev_b32_e32 v37, 3, v29
	v_sub_u32_e32 v36, 29, v38
	v_and_b32_e32 v35, 7, v35
	v_cmp_gt_u32_e64 s[4:5], 8, v29
	v_cndmask_b32_e64 v29, v37, v36, s[4:5]
	v_cndmask_b32_e64 v30, v30, v35, s[4:5]
	v_lshlrev_b32_e32 v0, 24, v0
	v_bfrev_b32_e32 v35, 60
	v_lshlrev_b32_e32 v30, 20, v30
	v_and_b32_e32 v0, 0x80000000, v0
	v_lshl_add_u32 v29, v29, 23, v35
	v_or3_b32 v4, v0, v29, v30
.LBB193_31:                             ;   in Loop: Header=BB193_9 Depth=1
	s_or_b64 exec, exec, s[36:37]
.LBB193_32:                             ;   in Loop: Header=BB193_9 Depth=1
	s_or_b64 exec, exec, s[34:35]
.LBB193_33:                             ;   in Loop: Header=BB193_9 Depth=1
	s_or_b64 exec, exec, s[16:17]
	global_load_ubyte v0, v[33:34], off offset:256
	s_waitcnt vmcnt(0)
	v_cmp_ne_u16_e64 s[4:5], 0, v0
	s_and_saveexec_b64 s[16:17], s[4:5]
	s_cbranch_execz .LBB193_39
; %bb.34:                               ;   in Loop: Header=BB193_9 Depth=1
	v_cmp_ne_u16_e64 s[4:5], s41, v0
	v_bfrev_b32_e32 v3, 1
	s_and_saveexec_b64 s[34:35], s[4:5]
	s_cbranch_execz .LBB193_38
; %bb.35:                               ;   in Loop: Header=BB193_9 Depth=1
	v_and_b32_e32 v35, 0xffff, v0
	v_and_b32_e32 v29, 0x7f, v35
	v_cmp_ne_u32_e64 s[4:5], s42, v29
	v_mov_b32_e32 v3, 0x7f800001
	s_and_saveexec_b64 s[36:37], s[4:5]
	s_cbranch_execz .LBB193_37
; %bb.36:                               ;   in Loop: Header=BB193_9 Depth=1
	v_and_b32_e32 v30, 7, v35
	v_ffbh_u32_e32 v36, v30
	v_min_u32_e32 v38, 32, v36
	v_subrev_u32_e32 v36, 28, v38
	v_lshlrev_b64 v[35:36], v36, v[35:36]
	v_lshrrev_b32_e32 v37, 3, v29
	v_sub_u32_e32 v36, 29, v38
	v_and_b32_e32 v35, 7, v35
	v_cmp_gt_u32_e64 s[4:5], 8, v29
	v_cndmask_b32_e64 v29, v37, v36, s[4:5]
	v_cndmask_b32_e64 v30, v30, v35, s[4:5]
	v_lshlrev_b32_e32 v0, 24, v0
	v_bfrev_b32_e32 v35, 60
	v_lshlrev_b32_e32 v30, 20, v30
	v_and_b32_e32 v0, 0x80000000, v0
	v_lshl_add_u32 v29, v29, 23, v35
	v_or3_b32 v3, v0, v29, v30
.LBB193_37:                             ;   in Loop: Header=BB193_9 Depth=1
	s_or_b64 exec, exec, s[36:37]
.LBB193_38:                             ;   in Loop: Header=BB193_9 Depth=1
	s_or_b64 exec, exec, s[34:35]
.LBB193_39:                             ;   in Loop: Header=BB193_9 Depth=1
	s_or_b64 exec, exec, s[16:17]
	global_load_ubyte v0, v[33:34], off offset:260
	v_mov_b32_e32 v57, 0
	v_mov_b32_e32 v58, 0
	s_waitcnt vmcnt(0)
	v_cmp_ne_u16_e64 s[4:5], 0, v0
	s_and_saveexec_b64 s[16:17], s[4:5]
	s_cbranch_execz .LBB193_45
; %bb.40:                               ;   in Loop: Header=BB193_9 Depth=1
	v_cmp_ne_u16_e64 s[4:5], s41, v0
	v_bfrev_b32_e32 v58, 1
	s_and_saveexec_b64 s[34:35], s[4:5]
	s_cbranch_execz .LBB193_44
; %bb.41:                               ;   in Loop: Header=BB193_9 Depth=1
	v_and_b32_e32 v35, 0xffff, v0
	v_and_b32_e32 v29, 0x7f, v35
	v_cmp_ne_u32_e64 s[4:5], s42, v29
	v_mov_b32_e32 v58, 0x7f800001
	s_and_saveexec_b64 s[36:37], s[4:5]
	s_cbranch_execz .LBB193_43
; %bb.42:                               ;   in Loop: Header=BB193_9 Depth=1
	v_and_b32_e32 v36, 7, v35
	v_lshrrev_b32_e32 v37, 3, v29
	v_cmp_gt_u32_e64 s[4:5], 8, v29
	v_ffbh_u32_e32 v29, v36
	v_min_u32_e32 v38, 32, v29
	v_subrev_u32_e32 v29, 28, v38
	v_lshlrev_b64 v[29:30], v29, v[35:36]
	v_sub_u32_e32 v30, 29, v38
	v_and_b32_e32 v29, 7, v29
	v_cndmask_b32_e64 v30, v37, v30, s[4:5]
	v_cndmask_b32_e64 v29, v36, v29, s[4:5]
	v_lshlrev_b32_e32 v0, 24, v0
	v_bfrev_b32_e32 v35, 60
	v_lshlrev_b32_e32 v29, 20, v29
	v_and_b32_e32 v0, 0x80000000, v0
	v_lshl_add_u32 v30, v30, 23, v35
	v_or3_b32 v58, v0, v30, v29
.LBB193_43:                             ;   in Loop: Header=BB193_9 Depth=1
	s_or_b64 exec, exec, s[36:37]
.LBB193_44:                             ;   in Loop: Header=BB193_9 Depth=1
	s_or_b64 exec, exec, s[34:35]
.LBB193_45:                             ;   in Loop: Header=BB193_9 Depth=1
	s_or_b64 exec, exec, s[16:17]
	global_load_ubyte v0, v[33:34], off offset:264
	s_waitcnt vmcnt(0)
	v_cmp_ne_u16_e64 s[4:5], 0, v0
	s_and_saveexec_b64 s[16:17], s[4:5]
	s_cbranch_execz .LBB193_51
; %bb.46:                               ;   in Loop: Header=BB193_9 Depth=1
	v_cmp_ne_u16_e64 s[4:5], s41, v0
	v_bfrev_b32_e32 v57, 1
	s_and_saveexec_b64 s[34:35], s[4:5]
	s_cbranch_execz .LBB193_50
; %bb.47:                               ;   in Loop: Header=BB193_9 Depth=1
	v_and_b32_e32 v35, 0xffff, v0
	v_and_b32_e32 v29, 0x7f, v35
	v_cmp_ne_u32_e64 s[4:5], s42, v29
	v_mov_b32_e32 v57, 0x7f800001
	s_and_saveexec_b64 s[36:37], s[4:5]
	s_cbranch_execz .LBB193_49
; %bb.48:                               ;   in Loop: Header=BB193_9 Depth=1
	v_and_b32_e32 v36, 7, v35
	v_lshrrev_b32_e32 v37, 3, v29
	v_cmp_gt_u32_e64 s[4:5], 8, v29
	v_ffbh_u32_e32 v29, v36
	v_min_u32_e32 v38, 32, v29
	v_subrev_u32_e32 v29, 28, v38
	v_lshlrev_b64 v[29:30], v29, v[35:36]
	v_sub_u32_e32 v30, 29, v38
	v_and_b32_e32 v29, 7, v29
	v_cndmask_b32_e64 v30, v37, v30, s[4:5]
	v_cndmask_b32_e64 v29, v36, v29, s[4:5]
	v_lshlrev_b32_e32 v0, 24, v0
	v_bfrev_b32_e32 v35, 60
	v_lshlrev_b32_e32 v29, 20, v29
	v_and_b32_e32 v0, 0x80000000, v0
	v_lshl_add_u32 v30, v30, 23, v35
	v_or3_b32 v57, v0, v30, v29
.LBB193_49:                             ;   in Loop: Header=BB193_9 Depth=1
	s_or_b64 exec, exec, s[36:37]
.LBB193_50:                             ;   in Loop: Header=BB193_9 Depth=1
	s_or_b64 exec, exec, s[34:35]
.LBB193_51:                             ;   in Loop: Header=BB193_9 Depth=1
	s_or_b64 exec, exec, s[16:17]
	global_load_ubyte v0, v[33:34], off offset:268
	v_mov_b32_e32 v59, 0
	v_mov_b32_e32 v60, 0
	s_waitcnt vmcnt(0)
	v_cmp_ne_u16_e64 s[4:5], 0, v0
	s_and_saveexec_b64 s[16:17], s[4:5]
	s_cbranch_execz .LBB193_57
; %bb.52:                               ;   in Loop: Header=BB193_9 Depth=1
	v_cmp_ne_u16_e64 s[4:5], s41, v0
	v_bfrev_b32_e32 v60, 1
	s_and_saveexec_b64 s[34:35], s[4:5]
	s_cbranch_execz .LBB193_56
; %bb.53:                               ;   in Loop: Header=BB193_9 Depth=1
	v_and_b32_e32 v35, 0xffff, v0
	v_and_b32_e32 v29, 0x7f, v35
	v_cmp_ne_u32_e64 s[4:5], s42, v29
	v_mov_b32_e32 v60, 0x7f800001
	s_and_saveexec_b64 s[36:37], s[4:5]
	s_cbranch_execz .LBB193_55
; %bb.54:                               ;   in Loop: Header=BB193_9 Depth=1
	v_and_b32_e32 v36, 7, v35
	v_lshrrev_b32_e32 v37, 3, v29
	v_cmp_gt_u32_e64 s[4:5], 8, v29
	v_ffbh_u32_e32 v29, v36
	v_min_u32_e32 v38, 32, v29
	v_subrev_u32_e32 v29, 28, v38
	v_lshlrev_b64 v[29:30], v29, v[35:36]
	v_sub_u32_e32 v30, 29, v38
	v_and_b32_e32 v29, 7, v29
	v_cndmask_b32_e64 v30, v37, v30, s[4:5]
	v_cndmask_b32_e64 v29, v36, v29, s[4:5]
	v_lshlrev_b32_e32 v0, 24, v0
	v_bfrev_b32_e32 v35, 60
	v_lshlrev_b32_e32 v29, 20, v29
	v_and_b32_e32 v0, 0x80000000, v0
	v_lshl_add_u32 v30, v30, 23, v35
	v_or3_b32 v60, v0, v30, v29
.LBB193_55:                             ;   in Loop: Header=BB193_9 Depth=1
	s_or_b64 exec, exec, s[36:37]
.LBB193_56:                             ;   in Loop: Header=BB193_9 Depth=1
	s_or_b64 exec, exec, s[34:35]
.LBB193_57:                             ;   in Loop: Header=BB193_9 Depth=1
	s_or_b64 exec, exec, s[16:17]
	global_load_ubyte v0, v[33:34], off offset:512
	s_waitcnt vmcnt(0)
	v_cmp_ne_u16_e64 s[4:5], 0, v0
	s_and_saveexec_b64 s[16:17], s[4:5]
	s_cbranch_execz .LBB193_63
; %bb.58:                               ;   in Loop: Header=BB193_9 Depth=1
	v_cmp_ne_u16_e64 s[4:5], s41, v0
	v_bfrev_b32_e32 v59, 1
	s_and_saveexec_b64 s[34:35], s[4:5]
	s_cbranch_execz .LBB193_62
; %bb.59:                               ;   in Loop: Header=BB193_9 Depth=1
	v_and_b32_e32 v35, 0xffff, v0
	v_and_b32_e32 v29, 0x7f, v35
	v_cmp_ne_u32_e64 s[4:5], s42, v29
	v_mov_b32_e32 v59, 0x7f800001
	s_and_saveexec_b64 s[36:37], s[4:5]
	s_cbranch_execz .LBB193_61
; %bb.60:                               ;   in Loop: Header=BB193_9 Depth=1
	v_and_b32_e32 v36, 7, v35
	v_lshrrev_b32_e32 v37, 3, v29
	v_cmp_gt_u32_e64 s[4:5], 8, v29
	v_ffbh_u32_e32 v29, v36
	v_min_u32_e32 v38, 32, v29
	v_subrev_u32_e32 v29, 28, v38
	v_lshlrev_b64 v[29:30], v29, v[35:36]
	v_sub_u32_e32 v30, 29, v38
	v_and_b32_e32 v29, 7, v29
	v_cndmask_b32_e64 v30, v37, v30, s[4:5]
	v_cndmask_b32_e64 v29, v36, v29, s[4:5]
	v_lshlrev_b32_e32 v0, 24, v0
	v_bfrev_b32_e32 v35, 60
	v_lshlrev_b32_e32 v29, 20, v29
	v_and_b32_e32 v0, 0x80000000, v0
	v_lshl_add_u32 v30, v30, 23, v35
	v_or3_b32 v59, v0, v30, v29
.LBB193_61:                             ;   in Loop: Header=BB193_9 Depth=1
	s_or_b64 exec, exec, s[36:37]
.LBB193_62:                             ;   in Loop: Header=BB193_9 Depth=1
	s_or_b64 exec, exec, s[34:35]
.LBB193_63:                             ;   in Loop: Header=BB193_9 Depth=1
	s_or_b64 exec, exec, s[16:17]
	global_load_ubyte v0, v[33:34], off offset:516
	v_mov_b32_e32 v61, 0
	v_mov_b32_e32 v62, 0
	s_waitcnt vmcnt(0)
	v_cmp_ne_u16_e64 s[4:5], 0, v0
	s_and_saveexec_b64 s[16:17], s[4:5]
	s_cbranch_execz .LBB193_69
; %bb.64:                               ;   in Loop: Header=BB193_9 Depth=1
	v_cmp_ne_u16_e64 s[4:5], s41, v0
	v_bfrev_b32_e32 v62, 1
	s_and_saveexec_b64 s[34:35], s[4:5]
	s_cbranch_execz .LBB193_68
; %bb.65:                               ;   in Loop: Header=BB193_9 Depth=1
	v_and_b32_e32 v35, 0xffff, v0
	v_and_b32_e32 v29, 0x7f, v35
	v_cmp_ne_u32_e64 s[4:5], s42, v29
	v_mov_b32_e32 v62, 0x7f800001
	s_and_saveexec_b64 s[36:37], s[4:5]
	s_cbranch_execz .LBB193_67
; %bb.66:                               ;   in Loop: Header=BB193_9 Depth=1
	v_and_b32_e32 v36, 7, v35
	v_lshrrev_b32_e32 v37, 3, v29
	v_cmp_gt_u32_e64 s[4:5], 8, v29
	v_ffbh_u32_e32 v29, v36
	v_min_u32_e32 v38, 32, v29
	v_subrev_u32_e32 v29, 28, v38
	v_lshlrev_b64 v[29:30], v29, v[35:36]
	v_sub_u32_e32 v30, 29, v38
	v_and_b32_e32 v29, 7, v29
	v_cndmask_b32_e64 v30, v37, v30, s[4:5]
	v_cndmask_b32_e64 v29, v36, v29, s[4:5]
	v_lshlrev_b32_e32 v0, 24, v0
	v_bfrev_b32_e32 v35, 60
	v_lshlrev_b32_e32 v29, 20, v29
	v_and_b32_e32 v0, 0x80000000, v0
	v_lshl_add_u32 v30, v30, 23, v35
	v_or3_b32 v62, v0, v30, v29
.LBB193_67:                             ;   in Loop: Header=BB193_9 Depth=1
	s_or_b64 exec, exec, s[36:37]
.LBB193_68:                             ;   in Loop: Header=BB193_9 Depth=1
	s_or_b64 exec, exec, s[34:35]
.LBB193_69:                             ;   in Loop: Header=BB193_9 Depth=1
	s_or_b64 exec, exec, s[16:17]
	global_load_ubyte v0, v[33:34], off offset:520
	s_waitcnt vmcnt(0)
	v_cmp_ne_u16_e64 s[4:5], 0, v0
	s_and_saveexec_b64 s[16:17], s[4:5]
	s_cbranch_execz .LBB193_75
; %bb.70:                               ;   in Loop: Header=BB193_9 Depth=1
	v_cmp_ne_u16_e64 s[4:5], s41, v0
	v_bfrev_b32_e32 v61, 1
	s_and_saveexec_b64 s[34:35], s[4:5]
	s_cbranch_execz .LBB193_74
; %bb.71:                               ;   in Loop: Header=BB193_9 Depth=1
	v_and_b32_e32 v35, 0xffff, v0
	v_and_b32_e32 v29, 0x7f, v35
	v_cmp_ne_u32_e64 s[4:5], s42, v29
	v_mov_b32_e32 v61, 0x7f800001
	s_and_saveexec_b64 s[36:37], s[4:5]
	s_cbranch_execz .LBB193_73
; %bb.72:                               ;   in Loop: Header=BB193_9 Depth=1
	v_and_b32_e32 v36, 7, v35
	v_lshrrev_b32_e32 v37, 3, v29
	v_cmp_gt_u32_e64 s[4:5], 8, v29
	v_ffbh_u32_e32 v29, v36
	v_min_u32_e32 v38, 32, v29
	v_subrev_u32_e32 v29, 28, v38
	v_lshlrev_b64 v[29:30], v29, v[35:36]
	v_sub_u32_e32 v30, 29, v38
	v_and_b32_e32 v29, 7, v29
	v_cndmask_b32_e64 v30, v37, v30, s[4:5]
	v_cndmask_b32_e64 v29, v36, v29, s[4:5]
	v_lshlrev_b32_e32 v0, 24, v0
	v_bfrev_b32_e32 v35, 60
	v_lshlrev_b32_e32 v29, 20, v29
	v_and_b32_e32 v0, 0x80000000, v0
	v_lshl_add_u32 v30, v30, 23, v35
	v_or3_b32 v61, v0, v30, v29
.LBB193_73:                             ;   in Loop: Header=BB193_9 Depth=1
	s_or_b64 exec, exec, s[36:37]
.LBB193_74:                             ;   in Loop: Header=BB193_9 Depth=1
	s_or_b64 exec, exec, s[34:35]
.LBB193_75:                             ;   in Loop: Header=BB193_9 Depth=1
	s_or_b64 exec, exec, s[16:17]
	global_load_ubyte v0, v[33:34], off offset:524
	v_mov_b32_e32 v63, 0
	v_mov_b32_e32 v41, 0
	s_waitcnt vmcnt(0)
	v_cmp_ne_u16_e64 s[4:5], 0, v0
	s_and_saveexec_b64 s[16:17], s[4:5]
	s_cbranch_execz .LBB193_81
; %bb.76:                               ;   in Loop: Header=BB193_9 Depth=1
	v_cmp_ne_u16_e64 s[4:5], s41, v0
	v_bfrev_b32_e32 v41, 1
	s_and_saveexec_b64 s[34:35], s[4:5]
	s_cbranch_execz .LBB193_80
; %bb.77:                               ;   in Loop: Header=BB193_9 Depth=1
	v_and_b32_e32 v35, 0xffff, v0
	v_and_b32_e32 v29, 0x7f, v35
	v_cmp_ne_u32_e64 s[4:5], s42, v29
	v_mov_b32_e32 v41, 0x7f800001
	s_and_saveexec_b64 s[36:37], s[4:5]
	s_cbranch_execz .LBB193_79
; %bb.78:                               ;   in Loop: Header=BB193_9 Depth=1
	v_and_b32_e32 v36, 7, v35
	v_lshrrev_b32_e32 v37, 3, v29
	v_cmp_gt_u32_e64 s[4:5], 8, v29
	v_ffbh_u32_e32 v29, v36
	v_min_u32_e32 v38, 32, v29
	v_subrev_u32_e32 v29, 28, v38
	v_lshlrev_b64 v[29:30], v29, v[35:36]
	v_sub_u32_e32 v30, 29, v38
	v_and_b32_e32 v29, 7, v29
	v_cndmask_b32_e64 v30, v37, v30, s[4:5]
	v_cndmask_b32_e64 v29, v36, v29, s[4:5]
	v_lshlrev_b32_e32 v0, 24, v0
	v_bfrev_b32_e32 v35, 60
	v_lshlrev_b32_e32 v29, 20, v29
	v_and_b32_e32 v0, 0x80000000, v0
	v_lshl_add_u32 v30, v30, 23, v35
	v_or3_b32 v41, v0, v30, v29
.LBB193_79:                             ;   in Loop: Header=BB193_9 Depth=1
	s_or_b64 exec, exec, s[36:37]
.LBB193_80:                             ;   in Loop: Header=BB193_9 Depth=1
	s_or_b64 exec, exec, s[34:35]
.LBB193_81:                             ;   in Loop: Header=BB193_9 Depth=1
	s_or_b64 exec, exec, s[16:17]
	global_load_ubyte v0, v[33:34], off offset:768
	s_waitcnt vmcnt(0)
	v_cmp_ne_u16_e64 s[4:5], 0, v0
	s_and_saveexec_b64 s[16:17], s[4:5]
	s_cbranch_execz .LBB193_87
; %bb.82:                               ;   in Loop: Header=BB193_9 Depth=1
	v_cmp_ne_u16_e64 s[4:5], s41, v0
	v_bfrev_b32_e32 v63, 1
	s_and_saveexec_b64 s[34:35], s[4:5]
	s_cbranch_execz .LBB193_86
; %bb.83:                               ;   in Loop: Header=BB193_9 Depth=1
	v_and_b32_e32 v35, 0xffff, v0
	v_and_b32_e32 v29, 0x7f, v35
	v_cmp_ne_u32_e64 s[4:5], s42, v29
	v_mov_b32_e32 v63, 0x7f800001
	s_and_saveexec_b64 s[36:37], s[4:5]
	s_cbranch_execz .LBB193_85
; %bb.84:                               ;   in Loop: Header=BB193_9 Depth=1
	v_and_b32_e32 v36, 7, v35
	v_lshrrev_b32_e32 v37, 3, v29
	v_cmp_gt_u32_e64 s[4:5], 8, v29
	v_ffbh_u32_e32 v29, v36
	v_min_u32_e32 v38, 32, v29
	v_subrev_u32_e32 v29, 28, v38
	v_lshlrev_b64 v[29:30], v29, v[35:36]
	v_sub_u32_e32 v30, 29, v38
	v_and_b32_e32 v29, 7, v29
	v_cndmask_b32_e64 v30, v37, v30, s[4:5]
	v_cndmask_b32_e64 v29, v36, v29, s[4:5]
	v_lshlrev_b32_e32 v0, 24, v0
	v_bfrev_b32_e32 v35, 60
	v_lshlrev_b32_e32 v29, 20, v29
	v_and_b32_e32 v0, 0x80000000, v0
	v_lshl_add_u32 v30, v30, 23, v35
	v_or3_b32 v63, v0, v30, v29
.LBB193_85:                             ;   in Loop: Header=BB193_9 Depth=1
	s_or_b64 exec, exec, s[36:37]
.LBB193_86:                             ;   in Loop: Header=BB193_9 Depth=1
	s_or_b64 exec, exec, s[34:35]
.LBB193_87:                             ;   in Loop: Header=BB193_9 Depth=1
	s_or_b64 exec, exec, s[16:17]
	global_load_ubyte v0, v[33:34], off offset:772
	v_mov_b32_e32 v40, 0
	v_mov_b32_e32 v37, 0
	s_waitcnt vmcnt(0)
	v_cmp_ne_u16_e64 s[4:5], 0, v0
	s_and_saveexec_b64 s[16:17], s[4:5]
	s_cbranch_execz .LBB193_93
; %bb.88:                               ;   in Loop: Header=BB193_9 Depth=1
	v_cmp_ne_u16_e64 s[4:5], s41, v0
	v_bfrev_b32_e32 v37, 1
	s_and_saveexec_b64 s[34:35], s[4:5]
	s_cbranch_execz .LBB193_92
; %bb.89:                               ;   in Loop: Header=BB193_9 Depth=1
	v_and_b32_e32 v35, 0xffff, v0
	v_and_b32_e32 v29, 0x7f, v35
	v_cmp_ne_u32_e64 s[4:5], s42, v29
	v_mov_b32_e32 v37, 0x7f800001
	s_and_saveexec_b64 s[36:37], s[4:5]
	s_cbranch_execz .LBB193_91
; %bb.90:                               ;   in Loop: Header=BB193_9 Depth=1
	v_and_b32_e32 v36, 7, v35
	v_lshrrev_b32_e32 v37, 3, v29
	v_cmp_gt_u32_e64 s[4:5], 8, v29
	v_ffbh_u32_e32 v29, v36
	v_min_u32_e32 v38, 32, v29
	v_subrev_u32_e32 v29, 28, v38
	v_lshlrev_b64 v[29:30], v29, v[35:36]
	v_sub_u32_e32 v30, 29, v38
	v_and_b32_e32 v29, 7, v29
	v_cndmask_b32_e64 v30, v37, v30, s[4:5]
	v_cndmask_b32_e64 v29, v36, v29, s[4:5]
	v_lshlrev_b32_e32 v0, 24, v0
	v_bfrev_b32_e32 v35, 60
	v_lshlrev_b32_e32 v29, 20, v29
	v_and_b32_e32 v0, 0x80000000, v0
	v_lshl_add_u32 v30, v30, 23, v35
	v_or3_b32 v37, v0, v30, v29
.LBB193_91:                             ;   in Loop: Header=BB193_9 Depth=1
	s_or_b64 exec, exec, s[36:37]
.LBB193_92:                             ;   in Loop: Header=BB193_9 Depth=1
	s_or_b64 exec, exec, s[34:35]
.LBB193_93:                             ;   in Loop: Header=BB193_9 Depth=1
	s_or_b64 exec, exec, s[16:17]
	global_load_ubyte v0, v[33:34], off offset:776
	s_waitcnt vmcnt(0)
	v_cmp_ne_u16_e64 s[4:5], 0, v0
	s_and_saveexec_b64 s[16:17], s[4:5]
	s_cbranch_execz .LBB193_99
; %bb.94:                               ;   in Loop: Header=BB193_9 Depth=1
	v_cmp_ne_u16_e64 s[4:5], s41, v0
	v_bfrev_b32_e32 v40, 1
	s_and_saveexec_b64 s[34:35], s[4:5]
	s_cbranch_execz .LBB193_98
; %bb.95:                               ;   in Loop: Header=BB193_9 Depth=1
	v_and_b32_e32 v35, 0xffff, v0
	v_and_b32_e32 v29, 0x7f, v35
	v_cmp_ne_u32_e64 s[4:5], s42, v29
	v_mov_b32_e32 v40, 0x7f800001
	s_and_saveexec_b64 s[36:37], s[4:5]
	s_cbranch_execz .LBB193_97
; %bb.96:                               ;   in Loop: Header=BB193_9 Depth=1
	v_and_b32_e32 v36, 7, v35
	v_lshrrev_b32_e32 v38, 3, v29
	v_cmp_gt_u32_e64 s[4:5], 8, v29
	v_ffbh_u32_e32 v29, v36
	v_min_u32_e32 v40, 32, v29
	v_subrev_u32_e32 v29, 28, v40
	v_lshlrev_b64 v[29:30], v29, v[35:36]
	v_sub_u32_e32 v30, 29, v40
	v_and_b32_e32 v29, 7, v29
	v_cndmask_b32_e64 v30, v38, v30, s[4:5]
	v_cndmask_b32_e64 v29, v36, v29, s[4:5]
	v_lshlrev_b32_e32 v0, 24, v0
	v_bfrev_b32_e32 v35, 60
	v_lshlrev_b32_e32 v29, 20, v29
	v_and_b32_e32 v0, 0x80000000, v0
	v_lshl_add_u32 v30, v30, 23, v35
	v_or3_b32 v40, v0, v30, v29
.LBB193_97:                             ;   in Loop: Header=BB193_9 Depth=1
	s_or_b64 exec, exec, s[36:37]
.LBB193_98:                             ;   in Loop: Header=BB193_9 Depth=1
	s_or_b64 exec, exec, s[34:35]
.LBB193_99:                             ;   in Loop: Header=BB193_9 Depth=1
	s_or_b64 exec, exec, s[16:17]
	global_load_ubyte v0, v[33:34], off offset:780
	v_mov_b32_e32 v38, 0
	v_mov_b32_e32 v36, 0
	s_waitcnt vmcnt(0)
	v_cmp_ne_u16_e64 s[4:5], 0, v0
	s_and_saveexec_b64 s[16:17], s[4:5]
	s_cbranch_execz .LBB193_105
; %bb.100:                              ;   in Loop: Header=BB193_9 Depth=1
	v_cmp_ne_u16_e64 s[4:5], s41, v0
	v_bfrev_b32_e32 v36, 1
	s_and_saveexec_b64 s[34:35], s[4:5]
	s_cbranch_execz .LBB193_104
; %bb.101:                              ;   in Loop: Header=BB193_9 Depth=1
	v_and_b32_e32 v35, 0xffff, v0
	v_and_b32_e32 v29, 0x7f, v35
	v_cmp_ne_u32_e64 s[4:5], s42, v29
	v_mov_b32_e32 v36, 0x7f800001
	s_and_saveexec_b64 s[36:37], s[4:5]
	s_cbranch_execz .LBB193_103
; %bb.102:                              ;   in Loop: Header=BB193_9 Depth=1
	v_and_b32_e32 v36, 7, v35
	v_lshrrev_b32_e32 v42, 3, v29
	v_cmp_gt_u32_e64 s[4:5], 8, v29
	v_ffbh_u32_e32 v29, v36
	v_min_u32_e32 v43, 32, v29
	v_subrev_u32_e32 v29, 28, v43
	v_lshlrev_b64 v[29:30], v29, v[35:36]
	v_sub_u32_e32 v30, 29, v43
	v_and_b32_e32 v29, 7, v29
	v_cndmask_b32_e64 v30, v42, v30, s[4:5]
	v_cndmask_b32_e64 v29, v36, v29, s[4:5]
	v_lshlrev_b32_e32 v0, 24, v0
	v_bfrev_b32_e32 v35, 60
	v_lshlrev_b32_e32 v29, 20, v29
	v_and_b32_e32 v0, 0x80000000, v0
	v_lshl_add_u32 v30, v30, 23, v35
	v_or3_b32 v36, v0, v30, v29
.LBB193_103:                            ;   in Loop: Header=BB193_9 Depth=1
	s_or_b64 exec, exec, s[36:37]
.LBB193_104:                            ;   in Loop: Header=BB193_9 Depth=1
	s_or_b64 exec, exec, s[34:35]
.LBB193_105:                            ;   in Loop: Header=BB193_9 Depth=1
	s_or_b64 exec, exec, s[16:17]
	global_load_ubyte v0, v[33:34], off offset:1024
	s_waitcnt vmcnt(0)
	v_cmp_ne_u16_e64 s[4:5], 0, v0
	s_and_saveexec_b64 s[16:17], s[4:5]
	s_cbranch_execz .LBB193_111
; %bb.106:                              ;   in Loop: Header=BB193_9 Depth=1
	v_cmp_ne_u16_e64 s[4:5], s41, v0
	v_bfrev_b32_e32 v38, 1
	s_and_saveexec_b64 s[34:35], s[4:5]
	s_cbranch_execz .LBB193_110
; %bb.107:                              ;   in Loop: Header=BB193_9 Depth=1
	v_and_b32_e32 v35, 0xffff, v0
	v_and_b32_e32 v29, 0x7f, v35
	v_cmp_ne_u32_e64 s[4:5], s42, v29
	v_mov_b32_e32 v38, 0x7f800001
	s_and_saveexec_b64 s[36:37], s[4:5]
	s_cbranch_execz .LBB193_109
; %bb.108:                              ;   in Loop: Header=BB193_9 Depth=1
	v_and_b32_e32 v38, 7, v35
	v_lshrrev_b32_e32 v42, 3, v29
	v_cmp_gt_u32_e64 s[4:5], 8, v29
	v_ffbh_u32_e32 v29, v38
	v_min_u32_e32 v43, 32, v29
	v_subrev_u32_e32 v29, 28, v43
	v_lshlrev_b64 v[29:30], v29, v[35:36]
	v_sub_u32_e32 v30, 29, v43
	v_and_b32_e32 v29, 7, v29
	v_cndmask_b32_e64 v30, v42, v30, s[4:5]
	v_cndmask_b32_e64 v29, v38, v29, s[4:5]
	v_lshlrev_b32_e32 v0, 24, v0
	v_bfrev_b32_e32 v35, 60
	v_lshlrev_b32_e32 v29, 20, v29
	v_and_b32_e32 v0, 0x80000000, v0
	v_lshl_add_u32 v30, v30, 23, v35
	v_or3_b32 v38, v0, v30, v29
.LBB193_109:                            ;   in Loop: Header=BB193_9 Depth=1
	s_or_b64 exec, exec, s[36:37]
.LBB193_110:                            ;   in Loop: Header=BB193_9 Depth=1
	s_or_b64 exec, exec, s[34:35]
.LBB193_111:                            ;   in Loop: Header=BB193_9 Depth=1
	s_or_b64 exec, exec, s[16:17]
	global_load_ubyte v0, v[33:34], off offset:1028
	v_mov_b32_e32 v44, 0
	v_mov_b32_e32 v43, 0
	s_waitcnt vmcnt(0)
	v_cmp_ne_u16_e64 s[4:5], 0, v0
	s_and_saveexec_b64 s[16:17], s[4:5]
	s_cbranch_execz .LBB193_117
; %bb.112:                              ;   in Loop: Header=BB193_9 Depth=1
	v_cmp_ne_u16_e64 s[4:5], s41, v0
	v_bfrev_b32_e32 v43, 1
	s_and_saveexec_b64 s[34:35], s[4:5]
	s_cbranch_execz .LBB193_116
; %bb.113:                              ;   in Loop: Header=BB193_9 Depth=1
	v_and_b32_e32 v35, 0xffff, v0
	v_and_b32_e32 v29, 0x7f, v35
	v_cmp_ne_u32_e64 s[4:5], s42, v29
	v_mov_b32_e32 v43, 0x7f800001
	s_and_saveexec_b64 s[36:37], s[4:5]
	s_cbranch_execz .LBB193_115
; %bb.114:                              ;   in Loop: Header=BB193_9 Depth=1
	v_and_b32_e32 v42, 7, v35
	v_lshrrev_b32_e32 v43, 3, v29
	v_cmp_gt_u32_e64 s[4:5], 8, v29
	v_ffbh_u32_e32 v29, v42
	v_min_u32_e32 v45, 32, v29
	v_subrev_u32_e32 v29, 28, v45
	v_lshlrev_b64 v[29:30], v29, v[35:36]
	v_sub_u32_e32 v30, 29, v45
	v_and_b32_e32 v29, 7, v29
	v_cndmask_b32_e64 v30, v43, v30, s[4:5]
	v_cndmask_b32_e64 v29, v42, v29, s[4:5]
	v_lshlrev_b32_e32 v0, 24, v0
	v_bfrev_b32_e32 v35, 60
	v_lshlrev_b32_e32 v29, 20, v29
	v_and_b32_e32 v0, 0x80000000, v0
	v_lshl_add_u32 v30, v30, 23, v35
	v_or3_b32 v43, v0, v30, v29
.LBB193_115:                            ;   in Loop: Header=BB193_9 Depth=1
	s_or_b64 exec, exec, s[36:37]
.LBB193_116:                            ;   in Loop: Header=BB193_9 Depth=1
	s_or_b64 exec, exec, s[34:35]
.LBB193_117:                            ;   in Loop: Header=BB193_9 Depth=1
	s_or_b64 exec, exec, s[16:17]
	global_load_ubyte v0, v[33:34], off offset:1032
	s_waitcnt vmcnt(0)
	v_cmp_ne_u16_e64 s[4:5], 0, v0
	s_and_saveexec_b64 s[16:17], s[4:5]
	s_cbranch_execz .LBB193_123
; %bb.118:                              ;   in Loop: Header=BB193_9 Depth=1
	v_cmp_ne_u16_e64 s[4:5], s41, v0
	v_bfrev_b32_e32 v44, 1
	s_and_saveexec_b64 s[34:35], s[4:5]
	s_cbranch_execz .LBB193_122
; %bb.119:                              ;   in Loop: Header=BB193_9 Depth=1
	v_and_b32_e32 v35, 0xffff, v0
	v_and_b32_e32 v29, 0x7f, v35
	v_cmp_ne_u32_e64 s[4:5], s42, v29
	v_mov_b32_e32 v44, 0x7f800001
	s_and_saveexec_b64 s[36:37], s[4:5]
	s_cbranch_execz .LBB193_121
; %bb.120:                              ;   in Loop: Header=BB193_9 Depth=1
	v_and_b32_e32 v42, 7, v35
	v_lshrrev_b32_e32 v44, 3, v29
	v_cmp_gt_u32_e64 s[4:5], 8, v29
	v_ffbh_u32_e32 v29, v42
	v_min_u32_e32 v45, 32, v29
	v_subrev_u32_e32 v29, 28, v45
	v_lshlrev_b64 v[29:30], v29, v[35:36]
	v_sub_u32_e32 v30, 29, v45
	v_and_b32_e32 v29, 7, v29
	v_cndmask_b32_e64 v30, v44, v30, s[4:5]
	v_cndmask_b32_e64 v29, v42, v29, s[4:5]
	v_lshlrev_b32_e32 v0, 24, v0
	v_bfrev_b32_e32 v35, 60
	v_lshlrev_b32_e32 v29, 20, v29
	v_and_b32_e32 v0, 0x80000000, v0
	v_lshl_add_u32 v30, v30, 23, v35
	v_or3_b32 v44, v0, v30, v29
.LBB193_121:                            ;   in Loop: Header=BB193_9 Depth=1
	s_or_b64 exec, exec, s[36:37]
.LBB193_122:                            ;   in Loop: Header=BB193_9 Depth=1
	s_or_b64 exec, exec, s[34:35]
.LBB193_123:                            ;   in Loop: Header=BB193_9 Depth=1
	s_or_b64 exec, exec, s[16:17]
	global_load_ubyte v29, v[33:34], off offset:1036
	v_mov_b32_e32 v0, 0
	v_mov_b32_e32 v42, 0
	s_waitcnt vmcnt(0)
	v_cmp_ne_u16_e64 s[4:5], 0, v29
	s_and_saveexec_b64 s[16:17], s[4:5]
	s_cbranch_execz .LBB193_129
; %bb.124:                              ;   in Loop: Header=BB193_9 Depth=1
	v_cmp_ne_u16_e64 s[4:5], s41, v29
	v_bfrev_b32_e32 v42, 1
	s_and_saveexec_b64 s[34:35], s[4:5]
	s_cbranch_execz .LBB193_128
; %bb.125:                              ;   in Loop: Header=BB193_9 Depth=1
	v_and_b32_e32 v35, 0xffff, v29
	v_and_b32_e32 v30, 0x7f, v35
	v_cmp_ne_u32_e64 s[4:5], s42, v30
	v_mov_b32_e32 v42, 0x7f800001
	s_and_saveexec_b64 s[36:37], s[4:5]
	s_cbranch_execz .LBB193_127
; %bb.126:                              ;   in Loop: Header=BB193_9 Depth=1
	v_and_b32_e32 v42, 7, v35
	v_lshrrev_b32_e32 v47, 3, v30
	v_cmp_gt_u32_e64 s[4:5], 8, v30
	v_ffbh_u32_e32 v30, v42
	v_min_u32_e32 v30, 32, v30
	v_subrev_u32_e32 v45, 28, v30
	v_lshlrev_b64 v[45:46], v45, v[35:36]
	v_sub_u32_e32 v30, 29, v30
	v_and_b32_e32 v35, 7, v45
	v_cndmask_b32_e64 v30, v47, v30, s[4:5]
	v_cndmask_b32_e64 v35, v42, v35, s[4:5]
	v_lshlrev_b32_e32 v29, 24, v29
	v_bfrev_b32_e32 v42, 60
	v_lshlrev_b32_e32 v35, 20, v35
	v_and_b32_e32 v29, 0x80000000, v29
	v_lshl_add_u32 v30, v30, 23, v42
	v_or3_b32 v42, v29, v30, v35
.LBB193_127:                            ;   in Loop: Header=BB193_9 Depth=1
	s_or_b64 exec, exec, s[36:37]
.LBB193_128:                            ;   in Loop: Header=BB193_9 Depth=1
	s_or_b64 exec, exec, s[34:35]
.LBB193_129:                            ;   in Loop: Header=BB193_9 Depth=1
	s_or_b64 exec, exec, s[16:17]
	global_load_ubyte v29, v[33:34], off offset:1280
	s_waitcnt vmcnt(0)
	v_cmp_ne_u16_e64 s[4:5], 0, v29
	s_and_saveexec_b64 s[16:17], s[4:5]
	s_cbranch_execz .LBB193_135
; %bb.130:                              ;   in Loop: Header=BB193_9 Depth=1
	v_cmp_ne_u16_e64 s[4:5], s41, v29
	v_bfrev_b32_e32 v0, 1
	s_and_saveexec_b64 s[34:35], s[4:5]
	s_cbranch_execz .LBB193_134
; %bb.131:                              ;   in Loop: Header=BB193_9 Depth=1
	v_and_b32_e32 v35, 0xffff, v29
	v_and_b32_e32 v30, 0x7f, v35
	v_cmp_ne_u32_e64 s[4:5], s42, v30
	v_mov_b32_e32 v0, 0x7f800001
	s_and_saveexec_b64 s[36:37], s[4:5]
	s_cbranch_execz .LBB193_133
; %bb.132:                              ;   in Loop: Header=BB193_9 Depth=1
	v_and_b32_e32 v0, 7, v35
	v_lshrrev_b32_e32 v47, 3, v30
	v_cmp_gt_u32_e64 s[4:5], 8, v30
	v_ffbh_u32_e32 v30, v0
	v_min_u32_e32 v30, 32, v30
	v_subrev_u32_e32 v45, 28, v30
	v_lshlrev_b64 v[45:46], v45, v[35:36]
	v_sub_u32_e32 v30, 29, v30
	v_and_b32_e32 v35, 7, v45
	v_cndmask_b32_e64 v30, v47, v30, s[4:5]
	v_cndmask_b32_e64 v0, v0, v35, s[4:5]
	v_lshlrev_b32_e32 v29, 24, v29
	v_bfrev_b32_e32 v35, 60
	v_lshlrev_b32_e32 v0, 20, v0
	v_and_b32_e32 v29, 0x80000000, v29
	v_lshl_add_u32 v30, v30, 23, v35
	v_or3_b32 v0, v29, v30, v0
.LBB193_133:                            ;   in Loop: Header=BB193_9 Depth=1
	s_or_b64 exec, exec, s[36:37]
.LBB193_134:                            ;   in Loop: Header=BB193_9 Depth=1
	s_or_b64 exec, exec, s[34:35]
.LBB193_135:                            ;   in Loop: Header=BB193_9 Depth=1
	s_or_b64 exec, exec, s[16:17]
	global_load_ubyte v29, v[33:34], off offset:1284
	v_mov_b32_e32 v46, 0
	v_mov_b32_e32 v47, 0
	s_waitcnt vmcnt(0)
	v_cmp_ne_u16_e64 s[4:5], 0, v29
	s_and_saveexec_b64 s[16:17], s[4:5]
	s_cbranch_execz .LBB193_141
; %bb.136:                              ;   in Loop: Header=BB193_9 Depth=1
	v_cmp_ne_u16_e64 s[4:5], s41, v29
	v_bfrev_b32_e32 v47, 1
	s_and_saveexec_b64 s[34:35], s[4:5]
	s_cbranch_execz .LBB193_140
; %bb.137:                              ;   in Loop: Header=BB193_9 Depth=1
	v_and_b32_e32 v35, 0xffff, v29
	v_and_b32_e32 v30, 0x7f, v35
	v_cmp_ne_u32_e64 s[4:5], s42, v30
	v_mov_b32_e32 v47, 0x7f800001
	s_and_saveexec_b64 s[36:37], s[4:5]
	s_cbranch_execz .LBB193_139
; %bb.138:                              ;   in Loop: Header=BB193_9 Depth=1
	v_and_b32_e32 v45, 7, v35
	v_lshrrev_b32_e32 v47, 3, v30
	v_cmp_gt_u32_e64 s[4:5], 8, v30
	v_ffbh_u32_e32 v30, v45
	v_min_u32_e32 v30, 32, v30
	v_subrev_u32_e32 v50, 28, v30
	v_lshlrev_b64 v[52:53], v50, v[35:36]
	v_sub_u32_e32 v30, 29, v30
	v_and_b32_e32 v35, 7, v52
	v_cndmask_b32_e64 v30, v47, v30, s[4:5]
	v_cndmask_b32_e64 v35, v45, v35, s[4:5]
	v_lshlrev_b32_e32 v29, 24, v29
	v_bfrev_b32_e32 v45, 60
	v_lshlrev_b32_e32 v35, 20, v35
	v_and_b32_e32 v29, 0x80000000, v29
	v_lshl_add_u32 v30, v30, 23, v45
	v_or3_b32 v47, v29, v30, v35
.LBB193_139:                            ;   in Loop: Header=BB193_9 Depth=1
	s_or_b64 exec, exec, s[36:37]
.LBB193_140:                            ;   in Loop: Header=BB193_9 Depth=1
	s_or_b64 exec, exec, s[34:35]
.LBB193_141:                            ;   in Loop: Header=BB193_9 Depth=1
	s_or_b64 exec, exec, s[16:17]
	global_load_ubyte v29, v[33:34], off offset:1288
	s_waitcnt vmcnt(0)
	v_cmp_ne_u16_e64 s[4:5], 0, v29
	s_and_saveexec_b64 s[16:17], s[4:5]
	s_cbranch_execz .LBB193_147
; %bb.142:                              ;   in Loop: Header=BB193_9 Depth=1
	v_cmp_ne_u16_e64 s[4:5], s41, v29
	v_bfrev_b32_e32 v46, 1
	s_and_saveexec_b64 s[34:35], s[4:5]
	s_cbranch_execz .LBB193_146
; %bb.143:                              ;   in Loop: Header=BB193_9 Depth=1
	v_and_b32_e32 v35, 0xffff, v29
	v_and_b32_e32 v30, 0x7f, v35
	v_cmp_ne_u32_e64 s[4:5], s42, v30
	v_mov_b32_e32 v46, 0x7f800001
	s_and_saveexec_b64 s[36:37], s[4:5]
	s_cbranch_execz .LBB193_145
; %bb.144:                              ;   in Loop: Header=BB193_9 Depth=1
	v_and_b32_e32 v50, 7, v35
	v_lshrrev_b32_e32 v52, 3, v30
	v_cmp_gt_u32_e64 s[4:5], 8, v30
	v_ffbh_u32_e32 v30, v50
	v_min_u32_e32 v30, 32, v30
	v_subrev_u32_e32 v45, 28, v30
	v_lshlrev_b64 v[45:46], v45, v[35:36]
	v_sub_u32_e32 v30, 29, v30
	v_and_b32_e32 v35, 7, v45
	v_cndmask_b32_e64 v30, v52, v30, s[4:5]
	v_cndmask_b32_e64 v35, v50, v35, s[4:5]
	v_lshlrev_b32_e32 v29, 24, v29
	v_bfrev_b32_e32 v45, 60
	v_lshlrev_b32_e32 v35, 20, v35
	v_and_b32_e32 v29, 0x80000000, v29
	v_lshl_add_u32 v30, v30, 23, v45
	v_or3_b32 v46, v29, v30, v35
.LBB193_145:                            ;   in Loop: Header=BB193_9 Depth=1
	s_or_b64 exec, exec, s[36:37]
.LBB193_146:                            ;   in Loop: Header=BB193_9 Depth=1
	s_or_b64 exec, exec, s[34:35]
.LBB193_147:                            ;   in Loop: Header=BB193_9 Depth=1
	s_or_b64 exec, exec, s[16:17]
	global_load_ubyte v45, v[33:34], off offset:1292
	v_mov_b32_e32 v29, 0
	v_mov_b32_e32 v30, 0
	s_waitcnt vmcnt(0)
	v_cmp_ne_u16_e64 s[4:5], 0, v45
	s_and_saveexec_b64 s[16:17], s[4:5]
	s_cbranch_execz .LBB193_153
; %bb.148:                              ;   in Loop: Header=BB193_9 Depth=1
	v_cmp_ne_u16_e64 s[4:5], s41, v45
	v_bfrev_b32_e32 v30, 1
	s_and_saveexec_b64 s[34:35], s[4:5]
	s_cbranch_execz .LBB193_152
; %bb.149:                              ;   in Loop: Header=BB193_9 Depth=1
	v_and_b32_e32 v35, 0xffff, v45
	v_and_b32_e32 v50, 0x7f, v35
	v_cmp_ne_u32_e64 s[4:5], s42, v50
	v_mov_b32_e32 v30, 0x7f800001
	s_and_saveexec_b64 s[36:37], s[4:5]
	s_cbranch_execz .LBB193_151
; %bb.150:                              ;   in Loop: Header=BB193_9 Depth=1
	v_and_b32_e32 v30, 7, v35
	v_lshrrev_b32_e32 v54, 3, v50
	v_cmp_gt_u32_e64 s[4:5], 8, v50
	v_ffbh_u32_e32 v50, v30
	v_min_u32_e32 v50, 32, v50
	v_subrev_u32_e32 v52, 28, v50
	v_lshlrev_b64 v[52:53], v52, v[35:36]
	v_sub_u32_e32 v35, 29, v50
	v_and_b32_e32 v50, 7, v52
	v_cndmask_b32_e64 v35, v54, v35, s[4:5]
	v_cndmask_b32_e64 v30, v30, v50, s[4:5]
	v_lshlrev_b32_e32 v45, 24, v45
	v_bfrev_b32_e32 v50, 60
	v_lshlrev_b32_e32 v30, 20, v30
	v_and_b32_e32 v45, 0x80000000, v45
	v_lshl_add_u32 v35, v35, 23, v50
	v_or3_b32 v30, v45, v35, v30
.LBB193_151:                            ;   in Loop: Header=BB193_9 Depth=1
	s_or_b64 exec, exec, s[36:37]
.LBB193_152:                            ;   in Loop: Header=BB193_9 Depth=1
	s_or_b64 exec, exec, s[34:35]
.LBB193_153:                            ;   in Loop: Header=BB193_9 Depth=1
	s_or_b64 exec, exec, s[16:17]
	global_load_ubyte v45, v[33:34], off offset:1536
	s_waitcnt vmcnt(0)
	v_cmp_ne_u16_e64 s[4:5], 0, v45
	s_and_saveexec_b64 s[16:17], s[4:5]
	s_cbranch_execz .LBB193_159
; %bb.154:                              ;   in Loop: Header=BB193_9 Depth=1
	v_cmp_ne_u16_e64 s[4:5], s41, v45
	v_bfrev_b32_e32 v29, 1
	s_and_saveexec_b64 s[34:35], s[4:5]
	s_cbranch_execz .LBB193_158
; %bb.155:                              ;   in Loop: Header=BB193_9 Depth=1
	v_and_b32_e32 v35, 0xffff, v45
	v_and_b32_e32 v50, 0x7f, v35
	v_cmp_ne_u32_e64 s[4:5], s42, v50
	v_mov_b32_e32 v29, 0x7f800001
	s_and_saveexec_b64 s[36:37], s[4:5]
	s_cbranch_execz .LBB193_157
; %bb.156:                              ;   in Loop: Header=BB193_9 Depth=1
	v_and_b32_e32 v29, 7, v35
	v_lshrrev_b32_e32 v54, 3, v50
	v_cmp_gt_u32_e64 s[4:5], 8, v50
	v_ffbh_u32_e32 v50, v29
	v_min_u32_e32 v50, 32, v50
	v_subrev_u32_e32 v52, 28, v50
	v_lshlrev_b64 v[52:53], v52, v[35:36]
	v_sub_u32_e32 v35, 29, v50
	v_and_b32_e32 v50, 7, v52
	v_cndmask_b32_e64 v35, v54, v35, s[4:5]
	v_cndmask_b32_e64 v29, v29, v50, s[4:5]
	v_lshlrev_b32_e32 v45, 24, v45
	v_bfrev_b32_e32 v50, 60
	v_lshlrev_b32_e32 v29, 20, v29
	v_and_b32_e32 v45, 0x80000000, v45
	v_lshl_add_u32 v35, v35, 23, v50
	v_or3_b32 v29, v45, v35, v29
.LBB193_157:                            ;   in Loop: Header=BB193_9 Depth=1
	s_or_b64 exec, exec, s[36:37]
.LBB193_158:                            ;   in Loop: Header=BB193_9 Depth=1
	s_or_b64 exec, exec, s[34:35]
.LBB193_159:                            ;   in Loop: Header=BB193_9 Depth=1
	s_or_b64 exec, exec, s[16:17]
	global_load_ubyte v52, v[33:34], off offset:1540
	v_mov_b32_e32 v45, 0
	v_mov_b32_e32 v50, 0
	s_waitcnt vmcnt(0)
	v_cmp_ne_u16_e64 s[4:5], 0, v52
	s_and_saveexec_b64 s[16:17], s[4:5]
	s_cbranch_execz .LBB193_165
; %bb.160:                              ;   in Loop: Header=BB193_9 Depth=1
	v_cmp_ne_u16_e64 s[4:5], s41, v52
	v_bfrev_b32_e32 v50, 1
	s_and_saveexec_b64 s[34:35], s[4:5]
	s_cbranch_execz .LBB193_164
; %bb.161:                              ;   in Loop: Header=BB193_9 Depth=1
	v_and_b32_e32 v35, 0xffff, v52
	v_and_b32_e32 v53, 0x7f, v35
	v_cmp_ne_u32_e64 s[4:5], s42, v53
	v_mov_b32_e32 v50, 0x7f800001
	s_and_saveexec_b64 s[36:37], s[4:5]
	s_cbranch_execz .LBB193_163
; %bb.162:                              ;   in Loop: Header=BB193_9 Depth=1
	v_and_b32_e32 v50, 7, v35
	v_lshrrev_b32_e32 v55, 3, v53
	v_cmp_gt_u32_e64 s[4:5], 8, v53
	v_ffbh_u32_e32 v53, v50
	v_min_u32_e32 v56, 32, v53
	v_subrev_u32_e32 v53, 28, v56
	v_lshlrev_b64 v[53:54], v53, v[35:36]
	v_sub_u32_e32 v35, 29, v56
	v_and_b32_e32 v53, 7, v53
	v_cndmask_b32_e64 v35, v55, v35, s[4:5]
	v_cndmask_b32_e64 v50, v50, v53, s[4:5]
	v_lshlrev_b32_e32 v52, 24, v52
	v_bfrev_b32_e32 v53, 60
	v_lshlrev_b32_e32 v50, 20, v50
	v_and_b32_e32 v52, 0x80000000, v52
	v_lshl_add_u32 v35, v35, 23, v53
	v_or3_b32 v50, v52, v35, v50
.LBB193_163:                            ;   in Loop: Header=BB193_9 Depth=1
	s_or_b64 exec, exec, s[36:37]
.LBB193_164:                            ;   in Loop: Header=BB193_9 Depth=1
	s_or_b64 exec, exec, s[34:35]
.LBB193_165:                            ;   in Loop: Header=BB193_9 Depth=1
	s_or_b64 exec, exec, s[16:17]
	global_load_ubyte v52, v[33:34], off offset:1544
	s_waitcnt vmcnt(0)
	v_cmp_ne_u16_e64 s[4:5], 0, v52
	s_and_saveexec_b64 s[16:17], s[4:5]
	s_cbranch_execz .LBB193_171
; %bb.166:                              ;   in Loop: Header=BB193_9 Depth=1
	v_cmp_ne_u16_e64 s[4:5], s41, v52
	v_bfrev_b32_e32 v45, 1
	s_and_saveexec_b64 s[34:35], s[4:5]
	s_cbranch_execz .LBB193_170
; %bb.167:                              ;   in Loop: Header=BB193_9 Depth=1
	v_and_b32_e32 v35, 0xffff, v52
	v_and_b32_e32 v53, 0x7f, v35
	v_cmp_ne_u32_e64 s[4:5], s42, v53
	v_mov_b32_e32 v45, 0x7f800001
	s_and_saveexec_b64 s[36:37], s[4:5]
	s_cbranch_execz .LBB193_169
; %bb.168:                              ;   in Loop: Header=BB193_9 Depth=1
	v_and_b32_e32 v45, 7, v35
	v_lshrrev_b32_e32 v55, 3, v53
	v_cmp_gt_u32_e64 s[4:5], 8, v53
	v_ffbh_u32_e32 v53, v45
	v_min_u32_e32 v56, 32, v53
	v_subrev_u32_e32 v53, 28, v56
	v_lshlrev_b64 v[53:54], v53, v[35:36]
	v_sub_u32_e32 v35, 29, v56
	v_and_b32_e32 v53, 7, v53
	v_cndmask_b32_e64 v35, v55, v35, s[4:5]
	v_cndmask_b32_e64 v45, v45, v53, s[4:5]
	v_lshlrev_b32_e32 v52, 24, v52
	v_bfrev_b32_e32 v53, 60
	v_lshlrev_b32_e32 v45, 20, v45
	v_and_b32_e32 v52, 0x80000000, v52
	v_lshl_add_u32 v35, v35, 23, v53
	v_or3_b32 v45, v52, v35, v45
.LBB193_169:                            ;   in Loop: Header=BB193_9 Depth=1
	s_or_b64 exec, exec, s[36:37]
.LBB193_170:                            ;   in Loop: Header=BB193_9 Depth=1
	s_or_b64 exec, exec, s[34:35]
.LBB193_171:                            ;   in Loop: Header=BB193_9 Depth=1
	s_or_b64 exec, exec, s[16:17]
	global_load_ubyte v34, v[33:34], off offset:1548
	v_mov_b32_e32 v35, 0
	s_waitcnt vmcnt(0)
	v_cmp_ne_u16_e64 s[4:5], 0, v34
	s_and_saveexec_b64 s[16:17], s[4:5]
	s_cbranch_execz .LBB193_177
; %bb.172:                              ;   in Loop: Header=BB193_9 Depth=1
	v_cmp_ne_u16_e64 s[4:5], s41, v34
	v_bfrev_b32_e32 v35, 1
	s_and_saveexec_b64 s[34:35], s[4:5]
	s_cbranch_execz .LBB193_176
; %bb.173:                              ;   in Loop: Header=BB193_9 Depth=1
	v_and_b32_e32 v33, 0xffff, v34
	v_and_b32_e32 v52, 0x7f, v33
	v_cmp_ne_u32_e64 s[4:5], s42, v52
	v_mov_b32_e32 v35, 0x7f800001
	s_and_saveexec_b64 s[36:37], s[4:5]
	s_cbranch_execz .LBB193_175
; %bb.174:                              ;   in Loop: Header=BB193_9 Depth=1
	v_and_b32_e32 v35, 7, v33
	v_lshrrev_b32_e32 v54, 3, v52
	v_cmp_gt_u32_e64 s[4:5], 8, v52
	v_ffbh_u32_e32 v52, v35
	v_min_u32_e32 v55, 32, v52
	v_subrev_u32_e32 v52, 28, v55
	v_lshlrev_b64 v[52:53], v52, v[33:34]
	v_sub_u32_e32 v33, 29, v55
	v_and_b32_e32 v52, 7, v52
	v_cndmask_b32_e64 v33, v54, v33, s[4:5]
	v_cndmask_b32_e64 v35, v35, v52, s[4:5]
	v_lshlrev_b32_e32 v34, 24, v34
	v_bfrev_b32_e32 v52, 60
	v_lshlrev_b32_e32 v35, 20, v35
	v_and_b32_e32 v34, 0x80000000, v34
	v_lshl_add_u32 v33, v33, 23, v52
	v_or3_b32 v35, v34, v33, v35
.LBB193_175:                            ;   in Loop: Header=BB193_9 Depth=1
	s_or_b64 exec, exec, s[36:37]
.LBB193_176:                            ;   in Loop: Header=BB193_9 Depth=1
	s_or_b64 exec, exec, s[34:35]
.LBB193_177:                            ;   in Loop: Header=BB193_9 Depth=1
	s_or_b64 exec, exec, s[16:17]
	v_mul_f32_e32 v53, s39, v59
	v_mul_f32_e32 v54, s39, v60
	;; [unrolled: 1-line block ×8, first 2 shown]
	buffer_load_dword v1, off, s[44:47], 0 offset:24 ; 4-byte Folded Reload
	buffer_load_dword v2, off, s[44:47], 0 offset:28 ; 4-byte Folded Reload
	buffer_load_dword v3, off, s[44:47], 0 offset:32 ; 4-byte Folded Reload
	buffer_load_dword v4, off, s[44:47], 0 offset:36 ; 4-byte Folded Reload
	v_mul_f32_e32 v34, s39, v50
	v_mul_f32_e32 v50, s39, v61
	;; [unrolled: 1-line block ×20, first 2 shown]
	s_waitcnt vmcnt(2)
	v_mul_f32_e32 v60, v2, v60
	v_fmac_f32_e32 v60, v1, v61
	s_waitcnt vmcnt(1)
	v_fmac_f32_e32 v60, v3, v59
	s_waitcnt vmcnt(0)
	v_fmac_f32_e32 v60, v4, v58
	s_waitcnt lgkmcnt(5)
	v_fmac_f32_e32 v60, v5, v57
	v_fmac_f32_e32 v60, v6, v56
	v_fmac_f32_e32 v60, v7, v55
	v_fmac_f32_e32 v60, v8, v54
	s_waitcnt lgkmcnt(4)
	v_fmac_f32_e32 v60, v9, v53
	v_fmac_f32_e32 v60, v10, v52
	v_fmac_f32_e32 v60, v11, v50
	;; [unrolled: 5-line block ×4, first 2 shown]
	v_fmac_f32_e32 v60, v20, v42
	s_waitcnt lgkmcnt(1)
	v_fmac_f32_e32 v60, v21, v0
	buffer_load_dword v0, off, s[44:47], 0 offset:8 ; 4-byte Folded Reload
	v_fmac_f32_e32 v60, v22, v46
	v_fmac_f32_e32 v60, v23, v45
	;; [unrolled: 1-line block ×3, first 2 shown]
	s_waitcnt lgkmcnt(0)
	v_fmac_f32_e32 v60, v25, v29
	buffer_load_dword v29, off, s[44:47], 0 offset:12 ; 4-byte Folded Reload
	v_fmac_f32_e32 v60, v26, v34
	v_fmac_f32_e32 v60, v27, v33
	v_fmac_f32_e32 v60, v28, v35
	s_waitcnt vmcnt(1)
	ds_bpermute_b32 v0, v0, v60
	s_waitcnt lgkmcnt(0)
	v_add_f32_e32 v0, v60, v0
	s_waitcnt vmcnt(0)
	ds_bpermute_b32 v29, v29, v0
	s_and_saveexec_b64 s[16:17], vcc
	s_cbranch_execz .LBB193_8
; %bb.178:                              ;   in Loop: Header=BB193_9 Depth=1
	buffer_load_dword v33, off, s[44:47], 0 offset:4 ; 4-byte Folded Reload
	v_add_u32_e32 v30, s40, v48
	v_cvt_f32_i32_e32 v30, v30
	s_waitcnt lgkmcnt(0)
	v_add_f32_e32 v0, v0, v29
	v_cmp_gt_i32_e64 s[4:5], s30, v48
	v_mul_f32_e32 v30, s33, v30
	v_cndmask_b32_e64 v30, 0, v30, s[2:3]
	v_fmac_f32_e32 v30, s31, v0
	v_cndmask_b32_e64 v0, 0, v30, s[4:5]
	ds_write_b32 v49, v0
	s_waitcnt vmcnt(0)
	v_max_f32_e32 v29, v33, v33
	v_max_f32_e32 v0, v29, v30
	v_cndmask_b32_e64 v33, v33, v0, s[4:5]
	buffer_store_dword v33, off, s[44:47], 0 offset:4 ; 4-byte Folded Spill
	s_branch .LBB193_8
.LBB193_179:
	s_or_b64 exec, exec, s[14:15]
	buffer_load_dword v11, off, s[44:47], 0 offset:40 ; 4-byte Folded Reload
	buffer_load_dword v12, off, s[44:47], 0 offset:56 ; 4-byte Folded Reload
	;; [unrolled: 1-line block ×6, first 2 shown]
	s_waitcnt vmcnt(1)
	v_add_u32_e32 v16, 64, v8
.LBB193_180:
	s_or_b64 exec, exec, s[6:7]
	v_xor_b32_e32 v0, 32, v15
	v_cmp_lt_i32_e32 vcc, v0, v16
	v_cndmask_b32_e32 v0, v15, v0, vcc
	v_lshlrev_b32_e32 v0, 2, v0
	s_waitcnt vmcnt(0)
	ds_bpermute_b32 v1, v0, v2
	v_xor_b32_e32 v3, 16, v15
	v_max_f32_e32 v2, v2, v2
	v_cmp_lt_i32_e32 vcc, v3, v16
	v_xor_b32_e32 v4, 8, v15
	s_waitcnt lgkmcnt(0)
	v_max_f32_e32 v1, v1, v1
	v_max_f32_e32 v2, v2, v1
	v_cndmask_b32_e32 v1, v15, v3, vcc
	v_lshlrev_b32_e32 v1, 2, v1
	ds_bpermute_b32 v3, v1, v2
	v_cmp_lt_i32_e32 vcc, v4, v16
	v_xor_b32_e32 v5, 4, v15
	v_and_b32_e32 v13, 63, v11
	s_waitcnt lgkmcnt(0)
	v_max_f32_e32 v3, v3, v3
	v_max_f32_e32 v2, v2, v3
	v_cndmask_b32_e32 v3, v15, v4, vcc
	v_lshlrev_b32_e32 v4, 2, v3
	ds_bpermute_b32 v3, v4, v2
	v_cmp_lt_i32_e32 vcc, v5, v16
	s_waitcnt lgkmcnt(0)
	v_max_f32_e32 v3, v3, v3
	v_max_f32_e32 v3, v2, v3
	v_cndmask_b32_e32 v2, v15, v5, vcc
	v_lshlrev_b32_e32 v5, 2, v2
	buffer_load_dword v2, off, s[44:47], 0  ; 4-byte Folded Reload
	ds_bpermute_b32 v6, v5, v3
	v_cmp_eq_u32_e32 vcc, 0, v13
	s_waitcnt vmcnt(0)
	v_lshlrev_b32_e32 v2, 2, v2
	s_and_saveexec_b64 s[2:3], vcc
	s_cbranch_execz .LBB193_182
; %bb.181:
	s_waitcnt lgkmcnt(0)
	v_max_f32_e32 v6, v6, v6
	v_max_f32_e32 v3, v3, v3
	;; [unrolled: 1-line block ×3, first 2 shown]
	ds_write_b32 v2, v3 offset:448
.LBB193_182:
	s_or_b64 exec, exec, s[2:3]
	v_cmp_gt_u32_e64 s[2:3], 2, v13
	s_waitcnt lgkmcnt(0)
	v_mov_b32_e32 v6, 0xff7fffff
	v_lshlrev_b32_e32 v3, 2, v13
	s_barrier
	s_and_saveexec_b64 s[4:5], s[2:3]
; %bb.183:
	ds_read_b32 v6, v3 offset:448
; %bb.184:
	s_or_b64 exec, exec, s[4:5]
	v_xor_b32_e32 v7, 1, v15
	v_cmp_lt_i32_e64 s[4:5], v7, v16
	v_cndmask_b32_e64 v7, v15, v7, s[4:5]
	v_lshlrev_b32_e32 v42, 2, v7
	s_waitcnt lgkmcnt(0)
	ds_bpermute_b32 v7, v42, v6
	v_max_f32_e32 v6, v6, v6
	s_lshl_b32 s4, s21, 4
	s_min_i32 s31, s4, s30
	v_cmp_gt_i32_e64 s[4:5], s31, v11
	s_waitcnt lgkmcnt(0)
	v_max_f32_e32 v7, v7, v7
	v_max_f32_e32 v6, v6, v7
	v_lshlrev_b32_e32 v7, 2, v8
	ds_bpermute_b32 v7, v7, v6
	v_mov_b32_e32 v6, 0
	s_and_saveexec_b64 s[14:15], s[4:5]
	s_cbranch_execz .LBB193_188
; %bb.185:
	v_mov_b32_e32 v6, 0x1d0
	v_lshl_add_u32 v8, v11, 2, v6
	v_mov_b32_e32 v6, 0
	s_mov_b64 s[16:17], 0
	v_mov_b32_e32 v9, v11
.LBB193_186:                            ; =>This Inner Loop Header: Depth=1
	ds_read_b32 v10, v8
	v_add_u32_e32 v9, 0x80, v9
	v_cmp_le_i32_e64 s[6:7], s31, v9
	s_or_b64 s[16:17], s[6:7], s[16:17]
	s_waitcnt lgkmcnt(0)
	v_sub_f32_e32 v10, v10, v7
	v_mul_f32_e32 v10, 0x3fb8aa3b, v10
	v_exp_f32_e32 v10, v10
	ds_write_b32 v8, v10
	v_add_f32_e32 v6, v6, v10
	v_add_u32_e32 v8, 0x200, v8
	s_andn2_b64 exec, exec, s[16:17]
	s_cbranch_execnz .LBB193_186
; %bb.187:
	s_or_b64 exec, exec, s[16:17]
.LBB193_188:
	s_or_b64 exec, exec, s[14:15]
	ds_bpermute_b32 v0, v0, v6
	s_waitcnt lgkmcnt(0)
	v_add_f32_e32 v0, v6, v0
	ds_bpermute_b32 v1, v1, v0
	s_waitcnt lgkmcnt(0)
	v_add_f32_e32 v0, v0, v1
	ds_bpermute_b32 v1, v4, v0
	v_xor_b32_e32 v4, 2, v15
	v_cmp_lt_i32_e64 s[6:7], v4, v16
	v_cndmask_b32_e64 v4, v15, v4, s[6:7]
	v_lshlrev_b32_e32 v8, 2, v4
	s_waitcnt lgkmcnt(0)
	v_add_f32_e32 v0, v0, v1
	ds_bpermute_b32 v1, v5, v0
	s_waitcnt lgkmcnt(0)
	v_add_f32_e32 v0, v0, v1
	ds_bpermute_b32 v1, v8, v0
	;; [unrolled: 3-line block ×3, first 2 shown]
	s_waitcnt lgkmcnt(0)
	v_add_f32_e32 v0, v0, v1
	s_and_saveexec_b64 s[6:7], vcc
; %bb.189:
	ds_write_b32 v2, v0 offset:456
; %bb.190:
	s_or_b64 exec, exec, s[6:7]
	s_waitcnt lgkmcnt(0)
	s_barrier
	s_and_saveexec_b64 s[6:7], s[2:3]
; %bb.191:
	ds_read_b32 v0, v3 offset:456
; %bb.192:
	s_or_b64 exec, exec, s[6:7]
	s_waitcnt lgkmcnt(0)
	ds_bpermute_b32 v1, v42, v0
	v_lshlrev_b32_e32 v2, 2, v15
	s_waitcnt lgkmcnt(0)
	v_add_f32_e32 v0, v0, v1
	v_and_b32_e32 v1, 0xffffff00, v2
	ds_bpermute_b32 v0, v1, v0
	s_and_saveexec_b64 s[2:3], s[4:5]
	s_cbranch_execz .LBB193_195
; %bb.193:
	s_waitcnt lgkmcnt(0)
	v_add_f32_e32 v1, 0x358637bd, v0
	v_div_scale_f32 v0, s[4:5], v1, v1, 1.0
	v_div_scale_f32 v2, vcc, 1.0, v1, 1.0
	s_mov_b64 s[4:5], 0
	v_rcp_f32_e32 v3, v0
	v_fma_f32 v4, -v0, v3, 1.0
	v_fmac_f32_e32 v3, v4, v3
	v_mul_f32_e32 v4, v2, v3
	v_fma_f32 v5, -v0, v4, v2
	v_fmac_f32_e32 v4, v5, v3
	v_fma_f32 v0, -v0, v4, v2
	v_div_fmas_f32 v2, v0, v3, v4
	v_mov_b32_e32 v0, 0x1d0
	v_lshl_add_u32 v0, v11, 2, v0
	v_div_fixup_f32 v1, v2, v1, 1.0
.LBB193_194:                            ; =>This Inner Loop Header: Depth=1
	ds_read_b32 v3, v0
	v_add_u32_e32 v11, 0x80, v11
	v_cmp_le_i32_e32 vcc, s31, v11
	s_or_b64 s[4:5], vcc, s[4:5]
	s_waitcnt lgkmcnt(0)
	v_mul_f32_e32 v3, v1, v3
	ds_write_b32 v0, v3
	v_add_u32_e32 v0, 0x200, v0
	s_andn2_b64 exec, exec, s[4:5]
	s_cbranch_execnz .LBB193_194
.LBB193_195:
	s_or_b64 exec, exec, s[2:3]
	v_mov_b32_e32 v32, 0
	v_mov_b32_e32 v33, 0
	;; [unrolled: 1-line block ×7, first 2 shown]
	s_waitcnt lgkmcnt(0)
	s_barrier
	s_and_saveexec_b64 s[2:3], s[0:1]
	s_cbranch_execz .LBB193_381
; %bb.196:
	s_ashr_i32 s0, s12, 31
	s_add_u32 s1, s28, s12
	s_addc_u32 s0, s29, s0
	v_and_b32_e32 v1, 0xfc, v12
	buffer_store_dword v8, off, s[44:47], 0 offset:8 ; 4-byte Folded Spill
	buffer_store_dword v13, off, s[44:47], 0 offset:4 ; 4-byte Folded Spill
	v_mov_b32_e32 v2, s0
	v_add_co_u32_e32 v7, vcc, s1, v1
	v_addc_co_u32_e32 v8, vcc, 0, v2, vcc
	buffer_load_dword v2, off, s[44:47], 0  ; 4-byte Folded Reload
	v_and_b32_e32 v0, 12, v12
	s_load_dword s17, s[18:19], 0x0
	s_add_i32 s19, s21, -1
	s_lshl_b64 s[0:1], s[26:27], 2
	s_add_u32 s0, s24, s0
	s_addc_u32 s1, s25, s1
	v_mov_b32_e32 v5, 0
	s_mov_b32 s16, s13
	s_waitcnt lgkmcnt(0)
	s_mov_b32 s18, s17
	s_mov_b64 s[4:5], 0
	s_movk_i32 s24, 0x80
	s_movk_i32 s25, 0x7f
	s_brev_b32 s26, 1
	s_mov_b32 s27, 0xffffff
	v_bfrev_b32_e32 v40, 60
	v_bfrev_b32_e32 v6, 1
	v_mov_b32_e32 v12, 0x7f800001
	v_mov_b32_e32 v41, 7
	;; [unrolled: 1-line block ×10, first 2 shown]
	s_waitcnt vmcnt(0)
	v_lshlrev_b32_e32 v1, 4, v2
	v_or3_b32 v34, v1, v0, 3
	buffer_load_dword v0, off, s[44:47], 0 offset:44 ; 4-byte Folded Reload
	v_mov_b32_e32 v1, s1
	s_waitcnt vmcnt(0)
	v_lshlrev_b32_e32 v0, 4, v0
	v_lshl_or_b32 v0, v2, 6, v0
	v_add_u32_e32 v35, 0x1d0, v0
	v_and_b32_e32 v0, 60, v14
	v_add_co_u32_e32 v9, vcc, s0, v0
	v_addc_co_u32_e32 v10, vcc, 0, v1, vcc
	s_branch .LBB193_198
.LBB193_197:                            ;   in Loop: Header=BB193_198 Depth=1
	s_or_b64 exec, exec, s[0:1]
	s_waitcnt lgkmcnt(0)
	v_mul_f32_e32 v16, v1, v63
	v_fmac_f32_e32 v16, v2, v62
	v_fmac_f32_e32 v16, v3, v23
	;; [unrolled: 1-line block ×3, first 2 shown]
	v_add_f32_e32 v28, v28, v16
	v_mul_f32_e32 v16, v1, v38
	v_fmac_f32_e32 v16, v2, v0
	v_mul_f32_e32 v0, v1, v61
	v_fmac_f32_e32 v0, v2, v58
	v_fmac_f32_e32 v0, v3, v60
	v_fmac_f32_e32 v0, v4, v59
	v_add_f32_e32 v30, v30, v0
	v_mul_f32_e32 v0, v1, v57
	v_fmac_f32_e32 v0, v2, v54
	v_fmac_f32_e32 v0, v3, v56
	v_fmac_f32_e32 v0, v4, v55
	v_add_f32_e32 v31, v31, v0
	;; [unrolled: 5-line block ×5, first 2 shown]
	buffer_load_dword v0, off, s[44:47], 0  ; 4-byte Folded Reload
	v_fmac_f32_e32 v16, v3, v37
	v_fmac_f32_e32 v16, v4, v36
	v_add_f32_e32 v29, v29, v16
	v_add_u32_e32 v34, 32, v34
	v_add_u32_e32 v35, 0x80, v35
	s_waitcnt vmcnt(0)
	v_add_u32_e32 v0, 2, v0
	v_cmp_le_i32_e32 vcc, s21, v0
	s_or_b64 s[4:5], vcc, s[4:5]
	v_add_co_u32_e32 v9, vcc, 8, v9
	v_addc_co_u32_e32 v10, vcc, 0, v10, vcc
	buffer_store_dword v0, off, s[44:47], 0 ; 4-byte Folded Spill
	s_andn2_b64 exec, exec, s[4:5]
	s_cbranch_execz .LBB193_380
.LBB193_198:                            ; =>This Inner Loop Header: Depth=1
	global_load_dword v0, v[9:10], off
	ds_read_b128 v[1:4], v35
	v_mov_b32_e32 v18, 0
	v_mov_b32_e32 v16, 0
	;; [unrolled: 1-line block ×4, first 2 shown]
	s_waitcnt vmcnt(0)
	v_mad_i64_i32 v[13:14], s[0:1], v0, s16, v[7:8]
	global_load_dword v15, v[13:14], off
	s_waitcnt vmcnt(0)
	v_cmp_ne_u16_sdwa s[6:7], v15, v5 src0_sel:BYTE_0 src1_sel:DWORD
	s_and_saveexec_b64 s[0:1], s[6:7]
	s_cbranch_execz .LBB193_204
; %bb.199:                              ;   in Loop: Header=BB193_198 Depth=1
	v_bfrev_b32_e32 v16, 1
	v_mov_b32_e32 v17, 0
	v_cmp_ne_u16_sdwa s[12:13], v15, s24 src0_sel:BYTE_0 src1_sel:DWORD
	s_and_saveexec_b64 s[6:7], s[12:13]
	s_cbranch_execz .LBB193_203
; %bb.200:                              ;   in Loop: Header=BB193_198 Depth=1
	v_and_b32_e32 v0, 0x7f, v15
	v_mov_b32_e32 v16, 0x7f800001
	v_mov_b32_e32 v17, 0
	v_cmp_ne_u32_e32 vcc, s25, v0
	s_and_saveexec_b64 s[12:13], vcc
	s_cbranch_execz .LBB193_202
; %bb.201:                              ;   in Loop: Header=BB193_198 Depth=1
	v_and_b32_e32 v11, 7, v15
	v_ffbh_u32_e32 v16, v11
	v_min_u32_e32 v21, 32, v16
	v_subrev_u32_e32 v16, 28, v21
	v_lshlrev_b64 v[16:17], v16, v[15:16]
	v_lshrrev_b32_e32 v20, 3, v0
	v_sub_u32_e32 v17, 29, v21
	v_and_b32_e32 v16, 7, v16
	v_cmp_gt_u32_e32 vcc, 8, v0
	v_cndmask_b32_e32 v0, v20, v17, vcc
	v_cndmask_b32_e32 v11, v11, v16, vcc
	v_lshlrev_b32_e32 v11, 20, v11
	v_and_b32_sdwa v16, sext(v15), s26 dst_sel:DWORD dst_unused:UNUSED_PAD src0_sel:BYTE_0 src1_sel:DWORD
	v_lshl_add_u32 v0, v0, 23, v40
	v_or3_b32 v16, v16, v0, v11
	v_mov_b32_e32 v17, v5
.LBB193_202:                            ;   in Loop: Header=BB193_198 Depth=1
	s_or_b64 exec, exec, s[12:13]
.LBB193_203:                            ;   in Loop: Header=BB193_198 Depth=1
	s_or_b64 exec, exec, s[6:7]
.LBB193_204:                            ;   in Loop: Header=BB193_198 Depth=1
	s_or_b64 exec, exec, s[0:1]
	v_cmp_ne_u16_sdwa s[6:7], v15, v5 src0_sel:BYTE_1 src1_sel:DWORD
	s_and_saveexec_b64 s[0:1], s[6:7]
	s_cbranch_execz .LBB193_210
; %bb.205:                              ;   in Loop: Header=BB193_198 Depth=1
	v_mov_b32_e32 v19, v6
	v_cmp_ne_u16_sdwa s[12:13], v15, s24 src0_sel:BYTE_1 src1_sel:DWORD
	v_mov_b32_e32 v18, v5
	s_and_saveexec_b64 s[6:7], s[12:13]
	s_cbranch_execz .LBB193_209
; %bb.206:                              ;   in Loop: Header=BB193_198 Depth=1
	v_and_b32_sdwa v0, v15, s25 dst_sel:DWORD dst_unused:UNUSED_PAD src0_sel:BYTE_1 src1_sel:DWORD
	v_mov_b32_e32 v11, v5
	v_mov_b32_e32 v19, v12
	v_cmp_ne_u32_e32 vcc, s25, v0
	v_mov_b32_e32 v18, v11
	s_and_saveexec_b64 s[12:13], vcc
	s_cbranch_execz .LBB193_208
; %bb.207:                              ;   in Loop: Header=BB193_198 Depth=1
	v_and_b32_sdwa v18, v15, v41 dst_sel:DWORD dst_unused:UNUSED_PAD src0_sel:BYTE_1 src1_sel:DWORD
	v_ffbh_u32_e32 v20, v18
	v_min_u32_e32 v21, 32, v20
	v_mov_b32_e32 v19, v5
	v_subrev_u32_e32 v20, 28, v21
	v_lshlrev_b64 v[19:20], v20, v[18:19]
	v_lshrrev_b32_e32 v11, 3, v0
	v_sub_u32_e32 v20, 29, v21
	v_cmp_gt_u32_e32 vcc, 8, v0
	v_and_b32_e32 v19, 7, v19
	v_cndmask_b32_e32 v0, v11, v20, vcc
	v_cndmask_b32_e32 v11, v18, v19, vcc
	v_lshlrev_b32_e32 v18, 16, v15
	v_lshl_add_u32 v0, v0, 23, v40
	v_and_or_b32 v0, v18, s26, v0
	v_lshlrev_b32_e32 v11, 20, v11
	v_or_b32_e32 v19, v0, v11
	v_mov_b32_e32 v18, v5
.LBB193_208:                            ;   in Loop: Header=BB193_198 Depth=1
	s_or_b64 exec, exec, s[12:13]
.LBB193_209:                            ;   in Loop: Header=BB193_198 Depth=1
	s_or_b64 exec, exec, s[6:7]
.LBB193_210:                            ;   in Loop: Header=BB193_198 Depth=1
	s_or_b64 exec, exec, s[0:1]
	v_lshrrev_b32_e32 v11, 16, v15
	v_mov_b32_e32 v22, 0
	v_mov_b32_e32 v20, 0
	;; [unrolled: 1-line block ×4, first 2 shown]
	v_cmp_ne_u16_sdwa s[6:7], v11, v5 src0_sel:BYTE_0 src1_sel:DWORD
	s_and_saveexec_b64 s[0:1], s[6:7]
	s_cbranch_execz .LBB193_216
; %bb.211:                              ;   in Loop: Header=BB193_198 Depth=1
	v_bfrev_b32_e32 v20, 1
	v_mov_b32_e32 v21, 0
	v_cmp_ne_u16_sdwa s[12:13], v11, s24 src0_sel:BYTE_0 src1_sel:DWORD
	s_and_saveexec_b64 s[6:7], s[12:13]
	s_cbranch_execz .LBB193_215
; %bb.212:                              ;   in Loop: Header=BB193_198 Depth=1
	v_bfe_u32 v0, v15, 16, 7
	v_mov_b32_e32 v20, 0x7f800001
	v_mov_b32_e32 v21, 0
	v_cmp_ne_u32_e32 vcc, s25, v0
	s_and_saveexec_b64 s[12:13], vcc
	s_cbranch_execz .LBB193_214
; %bb.213:                              ;   in Loop: Header=BB193_198 Depth=1
	v_and_b32_e32 v24, 7, v11
	v_ffbh_u32_e32 v20, v24
	v_min_u32_e32 v36, 32, v20
	v_subrev_u32_e32 v20, 28, v36
	v_lshlrev_b64 v[20:21], v20, v[11:12]
	v_lshrrev_b32_e32 v25, 3, v0
	v_sub_u32_e32 v21, 29, v36
	v_and_b32_e32 v20, 7, v20
	v_cmp_gt_u32_e32 vcc, 8, v0
	v_cndmask_b32_e32 v0, v25, v21, vcc
	v_cndmask_b32_e32 v20, v24, v20, vcc
	v_lshlrev_b32_e32 v20, 20, v20
	v_and_b32_sdwa v11, sext(v11), s26 dst_sel:DWORD dst_unused:UNUSED_PAD src0_sel:BYTE_0 src1_sel:DWORD
	v_lshl_add_u32 v0, v0, 23, v40
	v_or3_b32 v20, v11, v0, v20
	v_mov_b32_e32 v21, v5
.LBB193_214:                            ;   in Loop: Header=BB193_198 Depth=1
	s_or_b64 exec, exec, s[12:13]
.LBB193_215:                            ;   in Loop: Header=BB193_198 Depth=1
	s_or_b64 exec, exec, s[6:7]
.LBB193_216:                            ;   in Loop: Header=BB193_198 Depth=1
	s_or_b64 exec, exec, s[0:1]
	v_cmp_lt_u32_e32 vcc, s27, v15
	s_and_saveexec_b64 s[0:1], vcc
	s_cbranch_execz .LBB193_222
; %bb.217:                              ;   in Loop: Header=BB193_198 Depth=1
	v_mov_b32_e32 v23, v6
	v_cmp_ne_u32_sdwa s[12:13], v15, s24 src0_sel:BYTE_3 src1_sel:DWORD
	v_mov_b32_e32 v22, v5
	s_and_saveexec_b64 s[6:7], s[12:13]
	s_cbranch_execz .LBB193_221
; %bb.218:                              ;   in Loop: Header=BB193_198 Depth=1
	v_bfe_u32 v0, v15, 24, 7
	v_mov_b32_e32 v11, v5
	v_mov_b32_e32 v23, v12
	v_cmp_ne_u32_e32 vcc, s25, v0
	v_mov_b32_e32 v22, v11
	s_and_saveexec_b64 s[12:13], vcc
	s_cbranch_execz .LBB193_220
; %bb.219:                              ;   in Loop: Header=BB193_198 Depth=1
	v_and_b32_sdwa v22, v15, v41 dst_sel:DWORD dst_unused:UNUSED_PAD src0_sel:BYTE_3 src1_sel:DWORD
	v_ffbh_u32_e32 v24, v22
	v_min_u32_e32 v25, 32, v24
	v_mov_b32_e32 v23, v5
	v_subrev_u32_e32 v24, 28, v25
	v_lshlrev_b64 v[23:24], v24, v[22:23]
	v_lshrrev_b32_e32 v11, 3, v0
	v_sub_u32_e32 v24, 29, v25
	v_cmp_gt_u32_e32 vcc, 8, v0
	v_and_b32_e32 v23, 7, v23
	v_cndmask_b32_e32 v0, v11, v24, vcc
	v_cndmask_b32_e32 v11, v22, v23, vcc
	v_lshlrev_b32_sdwa v15, v26, v15 dst_sel:DWORD dst_unused:UNUSED_PAD src0_sel:DWORD src1_sel:BYTE_3
	v_lshl_add_u32 v0, v0, 23, v40
	v_and_or_b32 v0, v15, s26, v0
	v_lshlrev_b32_e32 v11, 20, v11
	v_or_b32_e32 v23, v0, v11
	v_mov_b32_e32 v22, v5
.LBB193_220:                            ;   in Loop: Header=BB193_198 Depth=1
	s_or_b64 exec, exec, s[12:13]
.LBB193_221:                            ;   in Loop: Header=BB193_198 Depth=1
	s_or_b64 exec, exec, s[6:7]
.LBB193_222:                            ;   in Loop: Header=BB193_198 Depth=1
	s_or_b64 exec, exec, s[0:1]
	buffer_load_dword v0, off, s[44:47], 0  ; 4-byte Folded Reload
	v_or_b32_e32 v11, v18, v16
	v_mul_f32_e32 v46, s17, v11
	v_or_b32_e32 v11, v22, v20
	v_add_u32_e32 v47, -3, v34
	v_mul_f32_e32 v45, s17, v11
	v_add_u32_e32 v49, -2, v34
	v_add_u32_e32 v48, -1, v34
	s_waitcnt vmcnt(0)
	v_cmp_eq_u32_e32 vcc, s19, v0
	v_or_b32_e32 v0, v19, v17
	v_mul_f32_e32 v43, s18, v0
	v_or_b32_e32 v0, v23, v21
	v_mul_f32_e32 v44, s18, v0
	s_and_saveexec_b64 s[6:7], vcc
; %bb.223:                              ;   in Loop: Header=BB193_198 Depth=1
	v_cmp_gt_i32_e64 s[0:1], s30, v47
	v_cndmask_b32_e64 v46, 0, v46, s[0:1]
	v_cmp_gt_i32_e64 s[0:1], s30, v49
	v_cndmask_b32_e64 v43, 0, v43, s[0:1]
	;; [unrolled: 2-line block ×4, first 2 shown]
; %bb.224:                              ;   in Loop: Header=BB193_198 Depth=1
	s_or_b64 exec, exec, s[6:7]
	global_load_dword v15, v[13:14], off offset:256
	v_mov_b32_e32 v18, 0
	v_mov_b32_e32 v16, 0
	;; [unrolled: 1-line block ×4, first 2 shown]
	s_waitcnt vmcnt(0)
	v_cmp_ne_u16_sdwa s[0:1], v15, v5 src0_sel:BYTE_0 src1_sel:DWORD
	s_and_saveexec_b64 s[6:7], s[0:1]
	s_cbranch_execz .LBB193_230
; %bb.225:                              ;   in Loop: Header=BB193_198 Depth=1
	v_bfrev_b32_e32 v16, 1
	v_mov_b32_e32 v17, 0
	v_cmp_ne_u16_sdwa s[0:1], v15, s24 src0_sel:BYTE_0 src1_sel:DWORD
	s_and_saveexec_b64 s[12:13], s[0:1]
	s_cbranch_execz .LBB193_229
; %bb.226:                              ;   in Loop: Header=BB193_198 Depth=1
	v_and_b32_e32 v0, 0x7f, v15
	v_mov_b32_e32 v16, 0x7f800001
	v_mov_b32_e32 v17, 0
	v_cmp_ne_u32_e64 s[0:1], s25, v0
	s_and_saveexec_b64 s[14:15], s[0:1]
	s_cbranch_execz .LBB193_228
; %bb.227:                              ;   in Loop: Header=BB193_198 Depth=1
	v_and_b32_e32 v11, 7, v15
	v_ffbh_u32_e32 v16, v11
	v_min_u32_e32 v21, 32, v16
	v_subrev_u32_e32 v16, 28, v21
	v_lshlrev_b64 v[16:17], v16, v[15:16]
	v_lshrrev_b32_e32 v20, 3, v0
	v_sub_u32_e32 v17, 29, v21
	v_and_b32_e32 v16, 7, v16
	v_cmp_gt_u32_e64 s[0:1], 8, v0
	v_cndmask_b32_e64 v0, v20, v17, s[0:1]
	v_cndmask_b32_e64 v11, v11, v16, s[0:1]
	v_lshlrev_b32_e32 v11, 20, v11
	v_and_b32_sdwa v16, sext(v15), s26 dst_sel:DWORD dst_unused:UNUSED_PAD src0_sel:BYTE_0 src1_sel:DWORD
	v_lshl_add_u32 v0, v0, 23, v40
	v_or3_b32 v16, v16, v0, v11
	v_mov_b32_e32 v17, v5
.LBB193_228:                            ;   in Loop: Header=BB193_198 Depth=1
	s_or_b64 exec, exec, s[14:15]
.LBB193_229:                            ;   in Loop: Header=BB193_198 Depth=1
	s_or_b64 exec, exec, s[12:13]
.LBB193_230:                            ;   in Loop: Header=BB193_198 Depth=1
	s_or_b64 exec, exec, s[6:7]
	v_cmp_ne_u16_sdwa s[0:1], v15, v5 src0_sel:BYTE_1 src1_sel:DWORD
	s_and_saveexec_b64 s[6:7], s[0:1]
	s_cbranch_execz .LBB193_236
; %bb.231:                              ;   in Loop: Header=BB193_198 Depth=1
	v_mov_b32_e32 v19, v6
	v_cmp_ne_u16_sdwa s[0:1], v15, s24 src0_sel:BYTE_1 src1_sel:DWORD
	v_mov_b32_e32 v18, v5
	s_and_saveexec_b64 s[12:13], s[0:1]
	s_cbranch_execz .LBB193_235
; %bb.232:                              ;   in Loop: Header=BB193_198 Depth=1
	v_and_b32_sdwa v0, v15, s25 dst_sel:DWORD dst_unused:UNUSED_PAD src0_sel:BYTE_1 src1_sel:DWORD
	v_mov_b32_e32 v11, v5
	v_mov_b32_e32 v19, v12
	v_cmp_ne_u32_e64 s[0:1], s25, v0
	v_mov_b32_e32 v18, v11
	s_and_saveexec_b64 s[14:15], s[0:1]
	s_cbranch_execz .LBB193_234
; %bb.233:                              ;   in Loop: Header=BB193_198 Depth=1
	v_and_b32_sdwa v18, v15, v41 dst_sel:DWORD dst_unused:UNUSED_PAD src0_sel:BYTE_1 src1_sel:DWORD
	v_ffbh_u32_e32 v20, v18
	v_min_u32_e32 v21, 32, v20
	v_mov_b32_e32 v19, v5
	v_subrev_u32_e32 v20, 28, v21
	v_lshlrev_b64 v[19:20], v20, v[18:19]
	v_lshrrev_b32_e32 v11, 3, v0
	v_sub_u32_e32 v20, 29, v21
	v_cmp_gt_u32_e64 s[0:1], 8, v0
	v_and_b32_e32 v19, 7, v19
	v_cndmask_b32_e64 v0, v11, v20, s[0:1]
	v_cndmask_b32_e64 v11, v18, v19, s[0:1]
	v_lshlrev_b32_e32 v18, 16, v15
	v_lshl_add_u32 v0, v0, 23, v40
	v_and_or_b32 v0, v18, s26, v0
	v_lshlrev_b32_e32 v11, 20, v11
	v_or_b32_e32 v19, v0, v11
	v_mov_b32_e32 v18, v5
.LBB193_234:                            ;   in Loop: Header=BB193_198 Depth=1
	s_or_b64 exec, exec, s[14:15]
.LBB193_235:                            ;   in Loop: Header=BB193_198 Depth=1
	s_or_b64 exec, exec, s[12:13]
.LBB193_236:                            ;   in Loop: Header=BB193_198 Depth=1
	s_or_b64 exec, exec, s[6:7]
	v_lshrrev_b32_e32 v11, 16, v15
	v_mov_b32_e32 v22, 0
	v_mov_b32_e32 v20, 0
	;; [unrolled: 1-line block ×4, first 2 shown]
	v_cmp_ne_u16_sdwa s[0:1], v11, v5 src0_sel:BYTE_0 src1_sel:DWORD
	s_and_saveexec_b64 s[6:7], s[0:1]
	s_cbranch_execz .LBB193_242
; %bb.237:                              ;   in Loop: Header=BB193_198 Depth=1
	v_bfrev_b32_e32 v20, 1
	v_mov_b32_e32 v21, 0
	v_cmp_ne_u16_sdwa s[0:1], v11, s24 src0_sel:BYTE_0 src1_sel:DWORD
	s_and_saveexec_b64 s[12:13], s[0:1]
	s_cbranch_execz .LBB193_241
; %bb.238:                              ;   in Loop: Header=BB193_198 Depth=1
	v_bfe_u32 v0, v15, 16, 7
	v_mov_b32_e32 v20, 0x7f800001
	v_mov_b32_e32 v21, 0
	v_cmp_ne_u32_e64 s[0:1], s25, v0
	s_and_saveexec_b64 s[14:15], s[0:1]
	s_cbranch_execz .LBB193_240
; %bb.239:                              ;   in Loop: Header=BB193_198 Depth=1
	v_and_b32_e32 v24, 7, v11
	v_ffbh_u32_e32 v20, v24
	v_min_u32_e32 v36, 32, v20
	v_subrev_u32_e32 v20, 28, v36
	v_lshlrev_b64 v[20:21], v20, v[11:12]
	v_lshrrev_b32_e32 v25, 3, v0
	v_sub_u32_e32 v21, 29, v36
	v_and_b32_e32 v20, 7, v20
	v_cmp_gt_u32_e64 s[0:1], 8, v0
	v_cndmask_b32_e64 v0, v25, v21, s[0:1]
	v_cndmask_b32_e64 v20, v24, v20, s[0:1]
	v_lshlrev_b32_e32 v20, 20, v20
	v_and_b32_sdwa v11, sext(v11), s26 dst_sel:DWORD dst_unused:UNUSED_PAD src0_sel:BYTE_0 src1_sel:DWORD
	v_lshl_add_u32 v0, v0, 23, v40
	v_or3_b32 v20, v11, v0, v20
	v_mov_b32_e32 v21, v5
.LBB193_240:                            ;   in Loop: Header=BB193_198 Depth=1
	s_or_b64 exec, exec, s[14:15]
.LBB193_241:                            ;   in Loop: Header=BB193_198 Depth=1
	s_or_b64 exec, exec, s[12:13]
.LBB193_242:                            ;   in Loop: Header=BB193_198 Depth=1
	s_or_b64 exec, exec, s[6:7]
	v_cmp_lt_u32_e64 s[0:1], s27, v15
	s_and_saveexec_b64 s[6:7], s[0:1]
	s_cbranch_execz .LBB193_248
; %bb.243:                              ;   in Loop: Header=BB193_198 Depth=1
	v_mov_b32_e32 v23, v6
	v_cmp_ne_u32_sdwa s[0:1], v15, s24 src0_sel:BYTE_3 src1_sel:DWORD
	v_mov_b32_e32 v22, v5
	s_and_saveexec_b64 s[12:13], s[0:1]
	s_cbranch_execz .LBB193_247
; %bb.244:                              ;   in Loop: Header=BB193_198 Depth=1
	v_bfe_u32 v0, v15, 24, 7
	v_mov_b32_e32 v11, v5
	v_mov_b32_e32 v23, v12
	v_cmp_ne_u32_e64 s[0:1], s25, v0
	v_mov_b32_e32 v22, v11
	s_and_saveexec_b64 s[14:15], s[0:1]
	s_cbranch_execz .LBB193_246
; %bb.245:                              ;   in Loop: Header=BB193_198 Depth=1
	v_and_b32_sdwa v22, v15, v41 dst_sel:DWORD dst_unused:UNUSED_PAD src0_sel:BYTE_3 src1_sel:DWORD
	v_ffbh_u32_e32 v24, v22
	v_min_u32_e32 v25, 32, v24
	v_mov_b32_e32 v23, v5
	v_subrev_u32_e32 v24, 28, v25
	v_lshlrev_b64 v[23:24], v24, v[22:23]
	v_lshrrev_b32_e32 v11, 3, v0
	v_sub_u32_e32 v24, 29, v25
	v_cmp_gt_u32_e64 s[0:1], 8, v0
	v_and_b32_e32 v23, 7, v23
	v_cndmask_b32_e64 v0, v11, v24, s[0:1]
	v_cndmask_b32_e64 v11, v22, v23, s[0:1]
	v_lshlrev_b32_sdwa v15, v26, v15 dst_sel:DWORD dst_unused:UNUSED_PAD src0_sel:DWORD src1_sel:BYTE_3
	v_lshl_add_u32 v0, v0, 23, v40
	v_and_or_b32 v0, v15, s26, v0
	v_lshlrev_b32_e32 v11, 20, v11
	v_or_b32_e32 v23, v0, v11
	v_mov_b32_e32 v22, v5
.LBB193_246:                            ;   in Loop: Header=BB193_198 Depth=1
	s_or_b64 exec, exec, s[14:15]
.LBB193_247:                            ;   in Loop: Header=BB193_198 Depth=1
	s_or_b64 exec, exec, s[12:13]
.LBB193_248:                            ;   in Loop: Header=BB193_198 Depth=1
	s_or_b64 exec, exec, s[6:7]
	v_or_b32_e32 v0, v19, v17
	v_or_b32_e32 v11, v18, v16
	v_mul_f32_e32 v50, s18, v0
	v_mul_f32_e32 v53, s17, v11
	v_or_b32_e32 v0, v23, v21
	v_or_b32_e32 v11, v22, v20
	v_mul_f32_e32 v52, s17, v11
	v_mul_f32_e32 v51, s18, v0
	s_and_saveexec_b64 s[6:7], vcc
; %bb.249:                              ;   in Loop: Header=BB193_198 Depth=1
	v_cmp_gt_i32_e64 s[0:1], s30, v47
	v_cndmask_b32_e64 v53, 0, v53, s[0:1]
	v_cmp_gt_i32_e64 s[0:1], s30, v49
	v_cndmask_b32_e64 v50, 0, v50, s[0:1]
	;; [unrolled: 2-line block ×4, first 2 shown]
; %bb.250:                              ;   in Loop: Header=BB193_198 Depth=1
	s_or_b64 exec, exec, s[6:7]
	global_load_dword v15, v[13:14], off offset:512
	v_mov_b32_e32 v18, 0
	v_mov_b32_e32 v16, 0
	;; [unrolled: 1-line block ×4, first 2 shown]
	s_waitcnt vmcnt(0)
	v_cmp_ne_u16_sdwa s[0:1], v15, v5 src0_sel:BYTE_0 src1_sel:DWORD
	s_and_saveexec_b64 s[6:7], s[0:1]
	s_cbranch_execz .LBB193_256
; %bb.251:                              ;   in Loop: Header=BB193_198 Depth=1
	v_bfrev_b32_e32 v16, 1
	v_mov_b32_e32 v17, 0
	v_cmp_ne_u16_sdwa s[0:1], v15, s24 src0_sel:BYTE_0 src1_sel:DWORD
	s_and_saveexec_b64 s[12:13], s[0:1]
	s_cbranch_execz .LBB193_255
; %bb.252:                              ;   in Loop: Header=BB193_198 Depth=1
	v_and_b32_e32 v0, 0x7f, v15
	v_mov_b32_e32 v16, 0x7f800001
	v_mov_b32_e32 v17, 0
	v_cmp_ne_u32_e64 s[0:1], s25, v0
	s_and_saveexec_b64 s[14:15], s[0:1]
	s_cbranch_execz .LBB193_254
; %bb.253:                              ;   in Loop: Header=BB193_198 Depth=1
	v_and_b32_e32 v11, 7, v15
	v_ffbh_u32_e32 v16, v11
	v_min_u32_e32 v21, 32, v16
	v_subrev_u32_e32 v16, 28, v21
	v_lshlrev_b64 v[16:17], v16, v[15:16]
	v_lshrrev_b32_e32 v20, 3, v0
	v_sub_u32_e32 v17, 29, v21
	v_and_b32_e32 v16, 7, v16
	v_cmp_gt_u32_e64 s[0:1], 8, v0
	v_cndmask_b32_e64 v0, v20, v17, s[0:1]
	v_cndmask_b32_e64 v11, v11, v16, s[0:1]
	v_lshlrev_b32_e32 v11, 20, v11
	v_and_b32_sdwa v16, sext(v15), s26 dst_sel:DWORD dst_unused:UNUSED_PAD src0_sel:BYTE_0 src1_sel:DWORD
	v_lshl_add_u32 v0, v0, 23, v40
	v_or3_b32 v16, v16, v0, v11
	v_mov_b32_e32 v17, v5
.LBB193_254:                            ;   in Loop: Header=BB193_198 Depth=1
	s_or_b64 exec, exec, s[14:15]
.LBB193_255:                            ;   in Loop: Header=BB193_198 Depth=1
	s_or_b64 exec, exec, s[12:13]
.LBB193_256:                            ;   in Loop: Header=BB193_198 Depth=1
	s_or_b64 exec, exec, s[6:7]
	v_cmp_ne_u16_sdwa s[0:1], v15, v5 src0_sel:BYTE_1 src1_sel:DWORD
	s_and_saveexec_b64 s[6:7], s[0:1]
	s_cbranch_execz .LBB193_262
; %bb.257:                              ;   in Loop: Header=BB193_198 Depth=1
	v_mov_b32_e32 v19, v6
	v_cmp_ne_u16_sdwa s[0:1], v15, s24 src0_sel:BYTE_1 src1_sel:DWORD
	v_mov_b32_e32 v18, v5
	s_and_saveexec_b64 s[12:13], s[0:1]
	s_cbranch_execz .LBB193_261
; %bb.258:                              ;   in Loop: Header=BB193_198 Depth=1
	v_and_b32_sdwa v0, v15, s25 dst_sel:DWORD dst_unused:UNUSED_PAD src0_sel:BYTE_1 src1_sel:DWORD
	v_mov_b32_e32 v11, v5
	v_mov_b32_e32 v19, v12
	v_cmp_ne_u32_e64 s[0:1], s25, v0
	v_mov_b32_e32 v18, v11
	s_and_saveexec_b64 s[14:15], s[0:1]
	s_cbranch_execz .LBB193_260
; %bb.259:                              ;   in Loop: Header=BB193_198 Depth=1
	v_and_b32_sdwa v18, v15, v41 dst_sel:DWORD dst_unused:UNUSED_PAD src0_sel:BYTE_1 src1_sel:DWORD
	v_ffbh_u32_e32 v20, v18
	v_min_u32_e32 v21, 32, v20
	v_mov_b32_e32 v19, v5
	v_subrev_u32_e32 v20, 28, v21
	v_lshlrev_b64 v[19:20], v20, v[18:19]
	v_lshrrev_b32_e32 v11, 3, v0
	v_sub_u32_e32 v20, 29, v21
	v_cmp_gt_u32_e64 s[0:1], 8, v0
	v_and_b32_e32 v19, 7, v19
	v_cndmask_b32_e64 v0, v11, v20, s[0:1]
	v_cndmask_b32_e64 v11, v18, v19, s[0:1]
	v_lshlrev_b32_e32 v18, 16, v15
	v_lshl_add_u32 v0, v0, 23, v40
	v_and_or_b32 v0, v18, s26, v0
	v_lshlrev_b32_e32 v11, 20, v11
	v_or_b32_e32 v19, v0, v11
	v_mov_b32_e32 v18, v5
.LBB193_260:                            ;   in Loop: Header=BB193_198 Depth=1
	s_or_b64 exec, exec, s[14:15]
.LBB193_261:                            ;   in Loop: Header=BB193_198 Depth=1
	s_or_b64 exec, exec, s[12:13]
.LBB193_262:                            ;   in Loop: Header=BB193_198 Depth=1
	s_or_b64 exec, exec, s[6:7]
	v_lshrrev_b32_e32 v11, 16, v15
	v_mov_b32_e32 v22, 0
	v_mov_b32_e32 v20, 0
	;; [unrolled: 1-line block ×4, first 2 shown]
	v_cmp_ne_u16_sdwa s[0:1], v11, v5 src0_sel:BYTE_0 src1_sel:DWORD
	s_and_saveexec_b64 s[6:7], s[0:1]
	s_cbranch_execz .LBB193_268
; %bb.263:                              ;   in Loop: Header=BB193_198 Depth=1
	v_bfrev_b32_e32 v20, 1
	v_mov_b32_e32 v21, 0
	v_cmp_ne_u16_sdwa s[0:1], v11, s24 src0_sel:BYTE_0 src1_sel:DWORD
	s_and_saveexec_b64 s[12:13], s[0:1]
	s_cbranch_execz .LBB193_267
; %bb.264:                              ;   in Loop: Header=BB193_198 Depth=1
	v_bfe_u32 v0, v15, 16, 7
	v_mov_b32_e32 v20, 0x7f800001
	v_mov_b32_e32 v21, 0
	v_cmp_ne_u32_e64 s[0:1], s25, v0
	s_and_saveexec_b64 s[14:15], s[0:1]
	s_cbranch_execz .LBB193_266
; %bb.265:                              ;   in Loop: Header=BB193_198 Depth=1
	v_and_b32_e32 v24, 7, v11
	v_ffbh_u32_e32 v20, v24
	v_min_u32_e32 v36, 32, v20
	v_subrev_u32_e32 v20, 28, v36
	v_lshlrev_b64 v[20:21], v20, v[11:12]
	v_lshrrev_b32_e32 v25, 3, v0
	v_sub_u32_e32 v21, 29, v36
	v_and_b32_e32 v20, 7, v20
	v_cmp_gt_u32_e64 s[0:1], 8, v0
	v_cndmask_b32_e64 v0, v25, v21, s[0:1]
	v_cndmask_b32_e64 v20, v24, v20, s[0:1]
	v_lshlrev_b32_e32 v20, 20, v20
	v_and_b32_sdwa v11, sext(v11), s26 dst_sel:DWORD dst_unused:UNUSED_PAD src0_sel:BYTE_0 src1_sel:DWORD
	v_lshl_add_u32 v0, v0, 23, v40
	v_or3_b32 v20, v11, v0, v20
	v_mov_b32_e32 v21, v5
.LBB193_266:                            ;   in Loop: Header=BB193_198 Depth=1
	s_or_b64 exec, exec, s[14:15]
.LBB193_267:                            ;   in Loop: Header=BB193_198 Depth=1
	s_or_b64 exec, exec, s[12:13]
.LBB193_268:                            ;   in Loop: Header=BB193_198 Depth=1
	s_or_b64 exec, exec, s[6:7]
	v_cmp_lt_u32_e64 s[0:1], s27, v15
	s_and_saveexec_b64 s[6:7], s[0:1]
	s_cbranch_execz .LBB193_274
; %bb.269:                              ;   in Loop: Header=BB193_198 Depth=1
	v_mov_b32_e32 v23, v6
	v_cmp_ne_u32_sdwa s[0:1], v15, s24 src0_sel:BYTE_3 src1_sel:DWORD
	v_mov_b32_e32 v22, v5
	s_and_saveexec_b64 s[12:13], s[0:1]
	s_cbranch_execz .LBB193_273
; %bb.270:                              ;   in Loop: Header=BB193_198 Depth=1
	v_bfe_u32 v0, v15, 24, 7
	v_mov_b32_e32 v11, v5
	v_mov_b32_e32 v23, v12
	v_cmp_ne_u32_e64 s[0:1], s25, v0
	v_mov_b32_e32 v22, v11
	s_and_saveexec_b64 s[14:15], s[0:1]
	s_cbranch_execz .LBB193_272
; %bb.271:                              ;   in Loop: Header=BB193_198 Depth=1
	v_and_b32_sdwa v22, v15, v41 dst_sel:DWORD dst_unused:UNUSED_PAD src0_sel:BYTE_3 src1_sel:DWORD
	v_ffbh_u32_e32 v24, v22
	v_min_u32_e32 v25, 32, v24
	v_mov_b32_e32 v23, v5
	v_subrev_u32_e32 v24, 28, v25
	v_lshlrev_b64 v[23:24], v24, v[22:23]
	v_lshrrev_b32_e32 v11, 3, v0
	v_sub_u32_e32 v24, 29, v25
	v_cmp_gt_u32_e64 s[0:1], 8, v0
	v_and_b32_e32 v23, 7, v23
	v_cndmask_b32_e64 v0, v11, v24, s[0:1]
	v_cndmask_b32_e64 v11, v22, v23, s[0:1]
	v_lshlrev_b32_sdwa v15, v26, v15 dst_sel:DWORD dst_unused:UNUSED_PAD src0_sel:DWORD src1_sel:BYTE_3
	v_lshl_add_u32 v0, v0, 23, v40
	v_and_or_b32 v0, v15, s26, v0
	v_lshlrev_b32_e32 v11, 20, v11
	v_or_b32_e32 v23, v0, v11
	v_mov_b32_e32 v22, v5
.LBB193_272:                            ;   in Loop: Header=BB193_198 Depth=1
	s_or_b64 exec, exec, s[14:15]
.LBB193_273:                            ;   in Loop: Header=BB193_198 Depth=1
	s_or_b64 exec, exec, s[12:13]
.LBB193_274:                            ;   in Loop: Header=BB193_198 Depth=1
	s_or_b64 exec, exec, s[6:7]
	v_or_b32_e32 v0, v19, v17
	v_or_b32_e32 v11, v18, v16
	v_mul_f32_e32 v54, s18, v0
	v_mul_f32_e32 v57, s17, v11
	v_or_b32_e32 v0, v23, v21
	v_or_b32_e32 v11, v22, v20
	v_mul_f32_e32 v56, s17, v11
	v_mul_f32_e32 v55, s18, v0
	s_and_saveexec_b64 s[6:7], vcc
; %bb.275:                              ;   in Loop: Header=BB193_198 Depth=1
	v_cmp_gt_i32_e64 s[0:1], s30, v47
	v_cndmask_b32_e64 v57, 0, v57, s[0:1]
	v_cmp_gt_i32_e64 s[0:1], s30, v49
	v_cndmask_b32_e64 v54, 0, v54, s[0:1]
	;; [unrolled: 2-line block ×4, first 2 shown]
; %bb.276:                              ;   in Loop: Header=BB193_198 Depth=1
	s_or_b64 exec, exec, s[6:7]
	global_load_dword v15, v[13:14], off offset:768
	v_mov_b32_e32 v18, 0
	v_mov_b32_e32 v16, 0
	;; [unrolled: 1-line block ×4, first 2 shown]
	s_waitcnt vmcnt(0)
	v_cmp_ne_u16_sdwa s[0:1], v15, v5 src0_sel:BYTE_0 src1_sel:DWORD
	s_and_saveexec_b64 s[6:7], s[0:1]
	s_cbranch_execz .LBB193_282
; %bb.277:                              ;   in Loop: Header=BB193_198 Depth=1
	v_bfrev_b32_e32 v16, 1
	v_mov_b32_e32 v17, 0
	v_cmp_ne_u16_sdwa s[0:1], v15, s24 src0_sel:BYTE_0 src1_sel:DWORD
	s_and_saveexec_b64 s[12:13], s[0:1]
	s_cbranch_execz .LBB193_281
; %bb.278:                              ;   in Loop: Header=BB193_198 Depth=1
	v_and_b32_e32 v0, 0x7f, v15
	v_mov_b32_e32 v16, 0x7f800001
	v_mov_b32_e32 v17, 0
	v_cmp_ne_u32_e64 s[0:1], s25, v0
	s_and_saveexec_b64 s[14:15], s[0:1]
	s_cbranch_execz .LBB193_280
; %bb.279:                              ;   in Loop: Header=BB193_198 Depth=1
	v_and_b32_e32 v11, 7, v15
	v_ffbh_u32_e32 v16, v11
	v_min_u32_e32 v21, 32, v16
	v_subrev_u32_e32 v16, 28, v21
	v_lshlrev_b64 v[16:17], v16, v[15:16]
	v_lshrrev_b32_e32 v20, 3, v0
	v_sub_u32_e32 v17, 29, v21
	v_and_b32_e32 v16, 7, v16
	v_cmp_gt_u32_e64 s[0:1], 8, v0
	v_cndmask_b32_e64 v0, v20, v17, s[0:1]
	v_cndmask_b32_e64 v11, v11, v16, s[0:1]
	v_lshlrev_b32_e32 v11, 20, v11
	v_and_b32_sdwa v16, sext(v15), s26 dst_sel:DWORD dst_unused:UNUSED_PAD src0_sel:BYTE_0 src1_sel:DWORD
	v_lshl_add_u32 v0, v0, 23, v40
	v_or3_b32 v16, v16, v0, v11
	v_mov_b32_e32 v17, v5
.LBB193_280:                            ;   in Loop: Header=BB193_198 Depth=1
	s_or_b64 exec, exec, s[14:15]
.LBB193_281:                            ;   in Loop: Header=BB193_198 Depth=1
	s_or_b64 exec, exec, s[12:13]
.LBB193_282:                            ;   in Loop: Header=BB193_198 Depth=1
	s_or_b64 exec, exec, s[6:7]
	v_cmp_ne_u16_sdwa s[0:1], v15, v5 src0_sel:BYTE_1 src1_sel:DWORD
	s_and_saveexec_b64 s[6:7], s[0:1]
	s_cbranch_execz .LBB193_288
; %bb.283:                              ;   in Loop: Header=BB193_198 Depth=1
	v_mov_b32_e32 v19, v6
	v_cmp_ne_u16_sdwa s[0:1], v15, s24 src0_sel:BYTE_1 src1_sel:DWORD
	v_mov_b32_e32 v18, v5
	s_and_saveexec_b64 s[12:13], s[0:1]
	s_cbranch_execz .LBB193_287
; %bb.284:                              ;   in Loop: Header=BB193_198 Depth=1
	v_and_b32_sdwa v0, v15, s25 dst_sel:DWORD dst_unused:UNUSED_PAD src0_sel:BYTE_1 src1_sel:DWORD
	v_mov_b32_e32 v11, v5
	v_mov_b32_e32 v19, v12
	v_cmp_ne_u32_e64 s[0:1], s25, v0
	v_mov_b32_e32 v18, v11
	s_and_saveexec_b64 s[14:15], s[0:1]
	s_cbranch_execz .LBB193_286
; %bb.285:                              ;   in Loop: Header=BB193_198 Depth=1
	v_and_b32_sdwa v18, v15, v41 dst_sel:DWORD dst_unused:UNUSED_PAD src0_sel:BYTE_1 src1_sel:DWORD
	v_ffbh_u32_e32 v20, v18
	v_min_u32_e32 v21, 32, v20
	v_mov_b32_e32 v19, v5
	v_subrev_u32_e32 v20, 28, v21
	v_lshlrev_b64 v[19:20], v20, v[18:19]
	v_lshrrev_b32_e32 v11, 3, v0
	v_sub_u32_e32 v20, 29, v21
	v_cmp_gt_u32_e64 s[0:1], 8, v0
	v_and_b32_e32 v19, 7, v19
	v_cndmask_b32_e64 v0, v11, v20, s[0:1]
	v_cndmask_b32_e64 v11, v18, v19, s[0:1]
	v_lshlrev_b32_e32 v18, 16, v15
	v_lshl_add_u32 v0, v0, 23, v40
	v_and_or_b32 v0, v18, s26, v0
	v_lshlrev_b32_e32 v11, 20, v11
	v_or_b32_e32 v19, v0, v11
	v_mov_b32_e32 v18, v5
.LBB193_286:                            ;   in Loop: Header=BB193_198 Depth=1
	s_or_b64 exec, exec, s[14:15]
.LBB193_287:                            ;   in Loop: Header=BB193_198 Depth=1
	s_or_b64 exec, exec, s[12:13]
.LBB193_288:                            ;   in Loop: Header=BB193_198 Depth=1
	s_or_b64 exec, exec, s[6:7]
	v_lshrrev_b32_e32 v11, 16, v15
	v_mov_b32_e32 v22, 0
	v_mov_b32_e32 v20, 0
	;; [unrolled: 1-line block ×4, first 2 shown]
	v_cmp_ne_u16_sdwa s[0:1], v11, v5 src0_sel:BYTE_0 src1_sel:DWORD
	s_and_saveexec_b64 s[6:7], s[0:1]
	s_cbranch_execz .LBB193_294
; %bb.289:                              ;   in Loop: Header=BB193_198 Depth=1
	v_bfrev_b32_e32 v20, 1
	v_mov_b32_e32 v21, 0
	v_cmp_ne_u16_sdwa s[0:1], v11, s24 src0_sel:BYTE_0 src1_sel:DWORD
	s_and_saveexec_b64 s[12:13], s[0:1]
	s_cbranch_execz .LBB193_293
; %bb.290:                              ;   in Loop: Header=BB193_198 Depth=1
	v_bfe_u32 v0, v15, 16, 7
	v_mov_b32_e32 v20, 0x7f800001
	v_mov_b32_e32 v21, 0
	v_cmp_ne_u32_e64 s[0:1], s25, v0
	s_and_saveexec_b64 s[14:15], s[0:1]
	s_cbranch_execz .LBB193_292
; %bb.291:                              ;   in Loop: Header=BB193_198 Depth=1
	v_and_b32_e32 v24, 7, v11
	v_ffbh_u32_e32 v20, v24
	v_min_u32_e32 v36, 32, v20
	v_subrev_u32_e32 v20, 28, v36
	v_lshlrev_b64 v[20:21], v20, v[11:12]
	v_lshrrev_b32_e32 v25, 3, v0
	v_sub_u32_e32 v21, 29, v36
	v_and_b32_e32 v20, 7, v20
	v_cmp_gt_u32_e64 s[0:1], 8, v0
	v_cndmask_b32_e64 v0, v25, v21, s[0:1]
	v_cndmask_b32_e64 v20, v24, v20, s[0:1]
	v_lshlrev_b32_e32 v20, 20, v20
	v_and_b32_sdwa v11, sext(v11), s26 dst_sel:DWORD dst_unused:UNUSED_PAD src0_sel:BYTE_0 src1_sel:DWORD
	v_lshl_add_u32 v0, v0, 23, v40
	v_or3_b32 v20, v11, v0, v20
	v_mov_b32_e32 v21, v5
.LBB193_292:                            ;   in Loop: Header=BB193_198 Depth=1
	s_or_b64 exec, exec, s[14:15]
.LBB193_293:                            ;   in Loop: Header=BB193_198 Depth=1
	s_or_b64 exec, exec, s[12:13]
.LBB193_294:                            ;   in Loop: Header=BB193_198 Depth=1
	s_or_b64 exec, exec, s[6:7]
	v_cmp_lt_u32_e64 s[0:1], s27, v15
	s_and_saveexec_b64 s[6:7], s[0:1]
	s_cbranch_execz .LBB193_300
; %bb.295:                              ;   in Loop: Header=BB193_198 Depth=1
	v_mov_b32_e32 v23, v6
	v_cmp_ne_u32_sdwa s[0:1], v15, s24 src0_sel:BYTE_3 src1_sel:DWORD
	v_mov_b32_e32 v22, v5
	s_and_saveexec_b64 s[12:13], s[0:1]
	s_cbranch_execz .LBB193_299
; %bb.296:                              ;   in Loop: Header=BB193_198 Depth=1
	v_bfe_u32 v0, v15, 24, 7
	v_mov_b32_e32 v11, v5
	v_mov_b32_e32 v23, v12
	v_cmp_ne_u32_e64 s[0:1], s25, v0
	v_mov_b32_e32 v22, v11
	s_and_saveexec_b64 s[14:15], s[0:1]
	s_cbranch_execz .LBB193_298
; %bb.297:                              ;   in Loop: Header=BB193_198 Depth=1
	v_and_b32_sdwa v22, v15, v41 dst_sel:DWORD dst_unused:UNUSED_PAD src0_sel:BYTE_3 src1_sel:DWORD
	v_ffbh_u32_e32 v24, v22
	v_min_u32_e32 v25, 32, v24
	v_mov_b32_e32 v23, v5
	v_subrev_u32_e32 v24, 28, v25
	v_lshlrev_b64 v[23:24], v24, v[22:23]
	v_lshrrev_b32_e32 v11, 3, v0
	v_sub_u32_e32 v24, 29, v25
	v_cmp_gt_u32_e64 s[0:1], 8, v0
	v_and_b32_e32 v23, 7, v23
	v_cndmask_b32_e64 v0, v11, v24, s[0:1]
	v_cndmask_b32_e64 v11, v22, v23, s[0:1]
	v_lshlrev_b32_sdwa v15, v26, v15 dst_sel:DWORD dst_unused:UNUSED_PAD src0_sel:DWORD src1_sel:BYTE_3
	v_lshl_add_u32 v0, v0, 23, v40
	v_and_or_b32 v0, v15, s26, v0
	v_lshlrev_b32_e32 v11, 20, v11
	v_or_b32_e32 v23, v0, v11
	v_mov_b32_e32 v22, v5
.LBB193_298:                            ;   in Loop: Header=BB193_198 Depth=1
	s_or_b64 exec, exec, s[14:15]
.LBB193_299:                            ;   in Loop: Header=BB193_198 Depth=1
	s_or_b64 exec, exec, s[12:13]
.LBB193_300:                            ;   in Loop: Header=BB193_198 Depth=1
	s_or_b64 exec, exec, s[6:7]
	v_or_b32_e32 v0, v19, v17
	v_or_b32_e32 v11, v18, v16
	v_mul_f32_e32 v58, s18, v0
	v_mul_f32_e32 v61, s17, v11
	v_or_b32_e32 v0, v23, v21
	v_or_b32_e32 v11, v22, v20
	v_mul_f32_e32 v60, s17, v11
	v_mul_f32_e32 v59, s18, v0
	s_and_saveexec_b64 s[6:7], vcc
; %bb.301:                              ;   in Loop: Header=BB193_198 Depth=1
	v_cmp_gt_i32_e64 s[0:1], s30, v47
	v_cndmask_b32_e64 v61, 0, v61, s[0:1]
	v_cmp_gt_i32_e64 s[0:1], s30, v49
	v_cndmask_b32_e64 v58, 0, v58, s[0:1]
	;; [unrolled: 2-line block ×4, first 2 shown]
; %bb.302:                              ;   in Loop: Header=BB193_198 Depth=1
	s_or_b64 exec, exec, s[6:7]
	global_load_dword v15, v[13:14], off offset:1024
	v_mov_b32_e32 v18, 0
	v_mov_b32_e32 v16, 0
	;; [unrolled: 1-line block ×4, first 2 shown]
	s_waitcnt vmcnt(0)
	v_cmp_ne_u16_sdwa s[0:1], v15, v5 src0_sel:BYTE_0 src1_sel:DWORD
	s_and_saveexec_b64 s[6:7], s[0:1]
	s_cbranch_execz .LBB193_308
; %bb.303:                              ;   in Loop: Header=BB193_198 Depth=1
	v_bfrev_b32_e32 v16, 1
	v_mov_b32_e32 v17, 0
	v_cmp_ne_u16_sdwa s[0:1], v15, s24 src0_sel:BYTE_0 src1_sel:DWORD
	s_and_saveexec_b64 s[12:13], s[0:1]
	s_cbranch_execz .LBB193_307
; %bb.304:                              ;   in Loop: Header=BB193_198 Depth=1
	v_and_b32_e32 v0, 0x7f, v15
	v_mov_b32_e32 v16, 0x7f800001
	v_mov_b32_e32 v17, 0
	v_cmp_ne_u32_e64 s[0:1], s25, v0
	s_and_saveexec_b64 s[14:15], s[0:1]
	s_cbranch_execz .LBB193_306
; %bb.305:                              ;   in Loop: Header=BB193_198 Depth=1
	v_and_b32_e32 v11, 7, v15
	v_ffbh_u32_e32 v16, v11
	v_min_u32_e32 v21, 32, v16
	v_subrev_u32_e32 v16, 28, v21
	v_lshlrev_b64 v[16:17], v16, v[15:16]
	v_lshrrev_b32_e32 v20, 3, v0
	v_sub_u32_e32 v17, 29, v21
	v_and_b32_e32 v16, 7, v16
	v_cmp_gt_u32_e64 s[0:1], 8, v0
	v_cndmask_b32_e64 v0, v20, v17, s[0:1]
	v_cndmask_b32_e64 v11, v11, v16, s[0:1]
	v_lshlrev_b32_e32 v11, 20, v11
	v_and_b32_sdwa v16, sext(v15), s26 dst_sel:DWORD dst_unused:UNUSED_PAD src0_sel:BYTE_0 src1_sel:DWORD
	v_lshl_add_u32 v0, v0, 23, v40
	v_or3_b32 v16, v16, v0, v11
	v_mov_b32_e32 v17, v5
.LBB193_306:                            ;   in Loop: Header=BB193_198 Depth=1
	s_or_b64 exec, exec, s[14:15]
.LBB193_307:                            ;   in Loop: Header=BB193_198 Depth=1
	s_or_b64 exec, exec, s[12:13]
.LBB193_308:                            ;   in Loop: Header=BB193_198 Depth=1
	s_or_b64 exec, exec, s[6:7]
	v_cmp_ne_u16_sdwa s[0:1], v15, v5 src0_sel:BYTE_1 src1_sel:DWORD
	s_and_saveexec_b64 s[6:7], s[0:1]
	s_cbranch_execz .LBB193_314
; %bb.309:                              ;   in Loop: Header=BB193_198 Depth=1
	v_mov_b32_e32 v19, v6
	v_cmp_ne_u16_sdwa s[0:1], v15, s24 src0_sel:BYTE_1 src1_sel:DWORD
	v_mov_b32_e32 v18, v5
	s_and_saveexec_b64 s[12:13], s[0:1]
	s_cbranch_execz .LBB193_313
; %bb.310:                              ;   in Loop: Header=BB193_198 Depth=1
	v_and_b32_sdwa v0, v15, s25 dst_sel:DWORD dst_unused:UNUSED_PAD src0_sel:BYTE_1 src1_sel:DWORD
	v_mov_b32_e32 v11, v5
	v_mov_b32_e32 v19, v12
	v_cmp_ne_u32_e64 s[0:1], s25, v0
	v_mov_b32_e32 v18, v11
	s_and_saveexec_b64 s[14:15], s[0:1]
	s_cbranch_execz .LBB193_312
; %bb.311:                              ;   in Loop: Header=BB193_198 Depth=1
	v_and_b32_sdwa v18, v15, v41 dst_sel:DWORD dst_unused:UNUSED_PAD src0_sel:BYTE_1 src1_sel:DWORD
	v_ffbh_u32_e32 v20, v18
	v_min_u32_e32 v21, 32, v20
	v_mov_b32_e32 v19, v5
	v_subrev_u32_e32 v20, 28, v21
	v_lshlrev_b64 v[19:20], v20, v[18:19]
	v_lshrrev_b32_e32 v11, 3, v0
	v_sub_u32_e32 v20, 29, v21
	v_cmp_gt_u32_e64 s[0:1], 8, v0
	v_and_b32_e32 v19, 7, v19
	v_cndmask_b32_e64 v0, v11, v20, s[0:1]
	v_cndmask_b32_e64 v11, v18, v19, s[0:1]
	v_lshlrev_b32_e32 v18, 16, v15
	v_lshl_add_u32 v0, v0, 23, v40
	v_and_or_b32 v0, v18, s26, v0
	v_lshlrev_b32_e32 v11, 20, v11
	v_or_b32_e32 v19, v0, v11
	v_mov_b32_e32 v18, v5
.LBB193_312:                            ;   in Loop: Header=BB193_198 Depth=1
	s_or_b64 exec, exec, s[14:15]
.LBB193_313:                            ;   in Loop: Header=BB193_198 Depth=1
	s_or_b64 exec, exec, s[12:13]
.LBB193_314:                            ;   in Loop: Header=BB193_198 Depth=1
	s_or_b64 exec, exec, s[6:7]
	v_lshrrev_b32_e32 v11, 16, v15
	v_mov_b32_e32 v22, 0
	v_mov_b32_e32 v20, 0
	;; [unrolled: 1-line block ×4, first 2 shown]
	v_cmp_ne_u16_sdwa s[0:1], v11, v5 src0_sel:BYTE_0 src1_sel:DWORD
	s_and_saveexec_b64 s[6:7], s[0:1]
	s_cbranch_execz .LBB193_320
; %bb.315:                              ;   in Loop: Header=BB193_198 Depth=1
	v_bfrev_b32_e32 v20, 1
	v_mov_b32_e32 v21, 0
	v_cmp_ne_u16_sdwa s[0:1], v11, s24 src0_sel:BYTE_0 src1_sel:DWORD
	s_and_saveexec_b64 s[12:13], s[0:1]
	s_cbranch_execz .LBB193_319
; %bb.316:                              ;   in Loop: Header=BB193_198 Depth=1
	v_bfe_u32 v0, v15, 16, 7
	v_mov_b32_e32 v20, 0x7f800001
	v_mov_b32_e32 v21, 0
	v_cmp_ne_u32_e64 s[0:1], s25, v0
	s_and_saveexec_b64 s[14:15], s[0:1]
	s_cbranch_execz .LBB193_318
; %bb.317:                              ;   in Loop: Header=BB193_198 Depth=1
	v_and_b32_e32 v24, 7, v11
	v_lshrrev_b32_e32 v25, 3, v0
	v_cmp_gt_u32_e64 s[0:1], 8, v0
	v_ffbh_u32_e32 v0, v24
	v_min_u32_e32 v0, 32, v0
	v_subrev_u32_e32 v20, 28, v0
	v_lshlrev_b64 v[20:21], v20, v[11:12]
	v_sub_u32_e32 v0, 29, v0
	v_and_b32_e32 v20, 7, v20
	v_cndmask_b32_e64 v0, v25, v0, s[0:1]
	v_cndmask_b32_e64 v20, v24, v20, s[0:1]
	v_lshlrev_b32_e32 v20, 20, v20
	v_and_b32_sdwa v11, sext(v11), s26 dst_sel:DWORD dst_unused:UNUSED_PAD src0_sel:BYTE_0 src1_sel:DWORD
	v_lshl_add_u32 v0, v0, 23, v40
	v_or3_b32 v20, v11, v0, v20
	v_mov_b32_e32 v21, v5
.LBB193_318:                            ;   in Loop: Header=BB193_198 Depth=1
	s_or_b64 exec, exec, s[14:15]
.LBB193_319:                            ;   in Loop: Header=BB193_198 Depth=1
	s_or_b64 exec, exec, s[12:13]
.LBB193_320:                            ;   in Loop: Header=BB193_198 Depth=1
	s_or_b64 exec, exec, s[6:7]
	v_cmp_lt_u32_e64 s[0:1], s27, v15
	s_and_saveexec_b64 s[6:7], s[0:1]
	s_cbranch_execz .LBB193_326
; %bb.321:                              ;   in Loop: Header=BB193_198 Depth=1
	v_mov_b32_e32 v23, v6
	v_cmp_ne_u32_sdwa s[0:1], v15, s24 src0_sel:BYTE_3 src1_sel:DWORD
	v_mov_b32_e32 v22, v5
	s_and_saveexec_b64 s[12:13], s[0:1]
	s_cbranch_execz .LBB193_325
; %bb.322:                              ;   in Loop: Header=BB193_198 Depth=1
	v_bfe_u32 v0, v15, 24, 7
	v_mov_b32_e32 v11, v5
	v_mov_b32_e32 v23, v12
	v_cmp_ne_u32_e64 s[0:1], s25, v0
	v_mov_b32_e32 v22, v11
	s_and_saveexec_b64 s[14:15], s[0:1]
	s_cbranch_execz .LBB193_324
; %bb.323:                              ;   in Loop: Header=BB193_198 Depth=1
	v_and_b32_sdwa v22, v15, v41 dst_sel:DWORD dst_unused:UNUSED_PAD src0_sel:BYTE_3 src1_sel:DWORD
	v_lshrrev_b32_e32 v11, 3, v0
	v_cmp_gt_u32_e64 s[0:1], 8, v0
	v_ffbh_u32_e32 v0, v22
	v_min_u32_e32 v0, 32, v0
	v_mov_b32_e32 v23, v5
	v_subrev_u32_e32 v24, 28, v0
	v_lshlrev_b64 v[23:24], v24, v[22:23]
	v_sub_u32_e32 v0, 29, v0
	v_and_b32_e32 v23, 7, v23
	v_cndmask_b32_e64 v0, v11, v0, s[0:1]
	v_cndmask_b32_e64 v11, v22, v23, s[0:1]
	v_lshlrev_b32_sdwa v15, v26, v15 dst_sel:DWORD dst_unused:UNUSED_PAD src0_sel:DWORD src1_sel:BYTE_3
	v_lshl_add_u32 v0, v0, 23, v40
	v_and_or_b32 v0, v15, s26, v0
	v_lshlrev_b32_e32 v11, 20, v11
	v_or_b32_e32 v23, v0, v11
	v_mov_b32_e32 v22, v5
.LBB193_324:                            ;   in Loop: Header=BB193_198 Depth=1
	s_or_b64 exec, exec, s[14:15]
.LBB193_325:                            ;   in Loop: Header=BB193_198 Depth=1
	s_or_b64 exec, exec, s[12:13]
.LBB193_326:                            ;   in Loop: Header=BB193_198 Depth=1
	s_or_b64 exec, exec, s[6:7]
	v_or_b32_e32 v11, v18, v16
	v_or_b32_e32 v0, v19, v17
	v_mul_f32_e32 v38, s17, v11
	v_or_b32_e32 v11, v23, v21
	v_or_b32_e32 v15, v22, v20
	v_mul_f32_e32 v0, s18, v0
	v_mul_f32_e32 v37, s17, v15
	v_mul_f32_e32 v36, s18, v11
	s_and_saveexec_b64 s[6:7], vcc
; %bb.327:                              ;   in Loop: Header=BB193_198 Depth=1
	v_cmp_gt_i32_e64 s[0:1], s30, v47
	v_cndmask_b32_e64 v38, 0, v38, s[0:1]
	v_cmp_gt_i32_e64 s[0:1], s30, v49
	v_cndmask_b32_e64 v0, 0, v0, s[0:1]
	;; [unrolled: 2-line block ×4, first 2 shown]
; %bb.328:                              ;   in Loop: Header=BB193_198 Depth=1
	s_or_b64 exec, exec, s[6:7]
	global_load_dword v15, v[13:14], off offset:1280
	v_mov_b32_e32 v18, 0
	v_mov_b32_e32 v16, 0
	;; [unrolled: 1-line block ×4, first 2 shown]
	s_waitcnt vmcnt(0)
	v_cmp_ne_u16_sdwa s[0:1], v15, v5 src0_sel:BYTE_0 src1_sel:DWORD
	s_and_saveexec_b64 s[6:7], s[0:1]
	s_cbranch_execz .LBB193_334
; %bb.329:                              ;   in Loop: Header=BB193_198 Depth=1
	v_bfrev_b32_e32 v16, 1
	v_mov_b32_e32 v17, 0
	v_cmp_ne_u16_sdwa s[0:1], v15, s24 src0_sel:BYTE_0 src1_sel:DWORD
	s_and_saveexec_b64 s[12:13], s[0:1]
	s_cbranch_execz .LBB193_333
; %bb.330:                              ;   in Loop: Header=BB193_198 Depth=1
	v_and_b32_e32 v11, 0x7f, v15
	v_mov_b32_e32 v16, 0x7f800001
	v_mov_b32_e32 v17, 0
	v_cmp_ne_u32_e64 s[0:1], s25, v11
	s_and_saveexec_b64 s[14:15], s[0:1]
	s_cbranch_execz .LBB193_332
; %bb.331:                              ;   in Loop: Header=BB193_198 Depth=1
	v_and_b32_e32 v20, 7, v15
	v_lshrrev_b32_e32 v21, 3, v11
	v_cmp_gt_u32_e64 s[0:1], 8, v11
	v_ffbh_u32_e32 v11, v20
	v_min_u32_e32 v11, 32, v11
	v_subrev_u32_e32 v16, 28, v11
	v_lshlrev_b64 v[16:17], v16, v[15:16]
	v_sub_u32_e32 v11, 29, v11
	v_and_b32_e32 v16, 7, v16
	v_cndmask_b32_e64 v11, v21, v11, s[0:1]
	v_cndmask_b32_e64 v16, v20, v16, s[0:1]
	v_lshlrev_b32_e32 v16, 20, v16
	v_and_b32_sdwa v17, sext(v15), s26 dst_sel:DWORD dst_unused:UNUSED_PAD src0_sel:BYTE_0 src1_sel:DWORD
	v_lshl_add_u32 v11, v11, 23, v40
	v_or3_b32 v16, v17, v11, v16
	v_mov_b32_e32 v17, v5
.LBB193_332:                            ;   in Loop: Header=BB193_198 Depth=1
	s_or_b64 exec, exec, s[14:15]
.LBB193_333:                            ;   in Loop: Header=BB193_198 Depth=1
	s_or_b64 exec, exec, s[12:13]
.LBB193_334:                            ;   in Loop: Header=BB193_198 Depth=1
	s_or_b64 exec, exec, s[6:7]
	v_cmp_ne_u16_sdwa s[0:1], v15, v5 src0_sel:BYTE_1 src1_sel:DWORD
	s_and_saveexec_b64 s[6:7], s[0:1]
	s_cbranch_execz .LBB193_340
; %bb.335:                              ;   in Loop: Header=BB193_198 Depth=1
	v_mov_b32_e32 v19, v6
	v_cmp_ne_u16_sdwa s[0:1], v15, s24 src0_sel:BYTE_1 src1_sel:DWORD
	v_mov_b32_e32 v18, v5
	s_and_saveexec_b64 s[12:13], s[0:1]
	s_cbranch_execz .LBB193_339
; %bb.336:                              ;   in Loop: Header=BB193_198 Depth=1
	v_and_b32_sdwa v20, v15, s25 dst_sel:DWORD dst_unused:UNUSED_PAD src0_sel:BYTE_1 src1_sel:DWORD
	v_mov_b32_e32 v11, v5
	v_mov_b32_e32 v19, v12
	v_cmp_ne_u32_e64 s[0:1], s25, v20
	v_mov_b32_e32 v18, v11
	s_and_saveexec_b64 s[14:15], s[0:1]
	s_cbranch_execz .LBB193_338
; %bb.337:                              ;   in Loop: Header=BB193_198 Depth=1
	v_and_b32_sdwa v18, v15, v41 dst_sel:DWORD dst_unused:UNUSED_PAD src0_sel:BYTE_1 src1_sel:DWORD
	v_lshrrev_b32_e32 v11, 3, v20
	v_cmp_gt_u32_e64 s[0:1], 8, v20
	v_ffbh_u32_e32 v20, v18
	v_min_u32_e32 v21, 32, v20
	v_mov_b32_e32 v19, v5
	v_subrev_u32_e32 v20, 28, v21
	v_lshlrev_b64 v[19:20], v20, v[18:19]
	v_sub_u32_e32 v20, 29, v21
	v_and_b32_e32 v19, 7, v19
	v_cndmask_b32_e64 v11, v11, v20, s[0:1]
	v_cndmask_b32_e64 v18, v18, v19, s[0:1]
	v_lshlrev_b32_e32 v19, 16, v15
	v_lshl_add_u32 v11, v11, 23, v40
	v_and_or_b32 v11, v19, s26, v11
	v_lshlrev_b32_e32 v18, 20, v18
	v_or_b32_e32 v19, v11, v18
	v_mov_b32_e32 v18, v5
.LBB193_338:                            ;   in Loop: Header=BB193_198 Depth=1
	s_or_b64 exec, exec, s[14:15]
.LBB193_339:                            ;   in Loop: Header=BB193_198 Depth=1
	s_or_b64 exec, exec, s[12:13]
.LBB193_340:                            ;   in Loop: Header=BB193_198 Depth=1
	s_or_b64 exec, exec, s[6:7]
	v_lshrrev_b32_e32 v11, 16, v15
	v_mov_b32_e32 v22, 0
	v_mov_b32_e32 v20, 0
	;; [unrolled: 1-line block ×4, first 2 shown]
	v_cmp_ne_u16_sdwa s[0:1], v11, v5 src0_sel:BYTE_0 src1_sel:DWORD
	s_and_saveexec_b64 s[6:7], s[0:1]
	s_cbranch_execz .LBB193_346
; %bb.341:                              ;   in Loop: Header=BB193_198 Depth=1
	v_bfrev_b32_e32 v20, 1
	v_mov_b32_e32 v21, 0
	v_cmp_ne_u16_sdwa s[0:1], v11, s24 src0_sel:BYTE_0 src1_sel:DWORD
	s_and_saveexec_b64 s[12:13], s[0:1]
	s_cbranch_execz .LBB193_345
; %bb.342:                              ;   in Loop: Header=BB193_198 Depth=1
	v_bfe_u32 v24, v15, 16, 7
	v_mov_b32_e32 v20, 0x7f800001
	v_mov_b32_e32 v21, 0
	v_cmp_ne_u32_e64 s[0:1], s25, v24
	s_and_saveexec_b64 s[14:15], s[0:1]
	s_cbranch_execz .LBB193_344
; %bb.343:                              ;   in Loop: Header=BB193_198 Depth=1
	v_and_b32_e32 v25, 7, v11
	v_ffbh_u32_e32 v20, v25
	v_lshrrev_b32_e32 v62, 3, v24
	v_cmp_gt_u32_e64 s[0:1], 8, v24
	v_min_u32_e32 v24, 32, v20
	v_subrev_u32_e32 v20, 28, v24
	v_lshlrev_b64 v[20:21], v20, v[11:12]
	v_sub_u32_e32 v21, 29, v24
	v_and_b32_e32 v20, 7, v20
	v_cndmask_b32_e64 v21, v62, v21, s[0:1]
	v_cndmask_b32_e64 v20, v25, v20, s[0:1]
	v_lshlrev_b32_e32 v20, 20, v20
	v_and_b32_sdwa v11, sext(v11), s26 dst_sel:DWORD dst_unused:UNUSED_PAD src0_sel:BYTE_0 src1_sel:DWORD
	v_lshl_add_u32 v21, v21, 23, v40
	v_or3_b32 v20, v11, v21, v20
	v_mov_b32_e32 v21, v5
.LBB193_344:                            ;   in Loop: Header=BB193_198 Depth=1
	s_or_b64 exec, exec, s[14:15]
.LBB193_345:                            ;   in Loop: Header=BB193_198 Depth=1
	s_or_b64 exec, exec, s[12:13]
.LBB193_346:                            ;   in Loop: Header=BB193_198 Depth=1
	s_or_b64 exec, exec, s[6:7]
	v_cmp_lt_u32_e64 s[0:1], s27, v15
	s_and_saveexec_b64 s[6:7], s[0:1]
	s_cbranch_execz .LBB193_352
; %bb.347:                              ;   in Loop: Header=BB193_198 Depth=1
	v_mov_b32_e32 v23, v6
	v_cmp_ne_u32_sdwa s[0:1], v15, s24 src0_sel:BYTE_3 src1_sel:DWORD
	v_mov_b32_e32 v22, v5
	s_and_saveexec_b64 s[12:13], s[0:1]
	s_cbranch_execz .LBB193_351
; %bb.348:                              ;   in Loop: Header=BB193_198 Depth=1
	v_bfe_u32 v62, v15, 24, 7
	v_mov_b32_e32 v11, v5
	v_mov_b32_e32 v23, v12
	v_cmp_ne_u32_e64 s[0:1], s25, v62
	v_mov_b32_e32 v22, v11
	s_and_saveexec_b64 s[14:15], s[0:1]
	s_cbranch_execz .LBB193_350
; %bb.349:                              ;   in Loop: Header=BB193_198 Depth=1
	v_and_b32_sdwa v22, v15, v41 dst_sel:DWORD dst_unused:UNUSED_PAD src0_sel:BYTE_3 src1_sel:DWORD
	v_ffbh_u32_e32 v24, v22
	v_min_u32_e32 v25, 32, v24
	v_mov_b32_e32 v23, v5
	v_subrev_u32_e32 v24, 28, v25
	v_lshlrev_b64 v[23:24], v24, v[22:23]
	v_lshrrev_b32_e32 v11, 3, v62
	v_cmp_gt_u32_e64 s[0:1], 8, v62
	v_sub_u32_e32 v24, 29, v25
	v_and_b32_e32 v23, 7, v23
	v_cndmask_b32_e64 v11, v11, v24, s[0:1]
	v_cndmask_b32_e64 v22, v22, v23, s[0:1]
	v_lshlrev_b32_sdwa v15, v26, v15 dst_sel:DWORD dst_unused:UNUSED_PAD src0_sel:DWORD src1_sel:BYTE_3
	v_lshl_add_u32 v11, v11, 23, v40
	v_and_or_b32 v11, v15, s26, v11
	v_lshlrev_b32_e32 v15, 20, v22
	v_or_b32_e32 v23, v11, v15
	v_mov_b32_e32 v22, v5
.LBB193_350:                            ;   in Loop: Header=BB193_198 Depth=1
	s_or_b64 exec, exec, s[14:15]
.LBB193_351:                            ;   in Loop: Header=BB193_198 Depth=1
	s_or_b64 exec, exec, s[12:13]
.LBB193_352:                            ;   in Loop: Header=BB193_198 Depth=1
	s_or_b64 exec, exec, s[6:7]
	v_or_b32_e32 v11, v19, v17
	v_or_b32_e32 v15, v18, v16
	v_mul_f32_e32 v62, s18, v11
	v_mul_f32_e32 v63, s17, v15
	v_or_b32_e32 v11, v23, v21
	v_or_b32_e32 v15, v22, v20
	v_mul_f32_e32 v23, s17, v15
	v_mul_f32_e32 v22, s18, v11
	s_and_saveexec_b64 s[6:7], vcc
; %bb.353:                              ;   in Loop: Header=BB193_198 Depth=1
	v_cmp_gt_i32_e64 s[0:1], s30, v47
	v_cndmask_b32_e64 v63, 0, v63, s[0:1]
	v_cmp_gt_i32_e64 s[0:1], s30, v49
	v_cndmask_b32_e64 v62, 0, v62, s[0:1]
	;; [unrolled: 2-line block ×4, first 2 shown]
; %bb.354:                              ;   in Loop: Header=BB193_198 Depth=1
	s_or_b64 exec, exec, s[6:7]
	global_load_dword v13, v[13:14], off offset:1536
	v_mov_b32_e32 v16, 0
	v_mov_b32_e32 v14, 0
	;; [unrolled: 1-line block ×4, first 2 shown]
	s_waitcnt vmcnt(0)
	v_cmp_ne_u16_sdwa s[0:1], v13, v5 src0_sel:BYTE_0 src1_sel:DWORD
	s_and_saveexec_b64 s[6:7], s[0:1]
	s_cbranch_execz .LBB193_360
; %bb.355:                              ;   in Loop: Header=BB193_198 Depth=1
	v_bfrev_b32_e32 v14, 1
	v_mov_b32_e32 v15, 0
	v_cmp_ne_u16_sdwa s[0:1], v13, s24 src0_sel:BYTE_0 src1_sel:DWORD
	s_and_saveexec_b64 s[12:13], s[0:1]
	s_cbranch_execz .LBB193_359
; %bb.356:                              ;   in Loop: Header=BB193_198 Depth=1
	v_and_b32_e32 v11, 0x7f, v13
	v_mov_b32_e32 v14, 0x7f800001
	v_mov_b32_e32 v15, 0
	v_cmp_ne_u32_e64 s[0:1], s25, v11
	s_and_saveexec_b64 s[14:15], s[0:1]
	s_cbranch_execz .LBB193_358
; %bb.357:                              ;   in Loop: Header=BB193_198 Depth=1
	v_and_b32_e32 v18, 7, v13
	v_lshrrev_b32_e32 v19, 3, v11
	v_cmp_gt_u32_e64 s[0:1], 8, v11
	v_ffbh_u32_e32 v11, v18
	v_min_u32_e32 v11, 32, v11
	v_subrev_u32_e32 v14, 28, v11
	v_lshlrev_b64 v[14:15], v14, v[13:14]
	v_sub_u32_e32 v11, 29, v11
	v_and_b32_e32 v14, 7, v14
	v_cndmask_b32_e64 v11, v19, v11, s[0:1]
	v_cndmask_b32_e64 v14, v18, v14, s[0:1]
	v_lshlrev_b32_e32 v14, 20, v14
	v_and_b32_sdwa v15, sext(v13), s26 dst_sel:DWORD dst_unused:UNUSED_PAD src0_sel:BYTE_0 src1_sel:DWORD
	v_lshl_add_u32 v11, v11, 23, v40
	v_or3_b32 v14, v15, v11, v14
	v_mov_b32_e32 v15, v5
.LBB193_358:                            ;   in Loop: Header=BB193_198 Depth=1
	s_or_b64 exec, exec, s[14:15]
.LBB193_359:                            ;   in Loop: Header=BB193_198 Depth=1
	s_or_b64 exec, exec, s[12:13]
.LBB193_360:                            ;   in Loop: Header=BB193_198 Depth=1
	s_or_b64 exec, exec, s[6:7]
	v_cmp_ne_u16_sdwa s[0:1], v13, v5 src0_sel:BYTE_1 src1_sel:DWORD
	s_and_saveexec_b64 s[6:7], s[0:1]
	s_cbranch_execz .LBB193_366
; %bb.361:                              ;   in Loop: Header=BB193_198 Depth=1
	v_mov_b32_e32 v17, v6
	v_cmp_ne_u16_sdwa s[0:1], v13, s24 src0_sel:BYTE_1 src1_sel:DWORD
	v_mov_b32_e32 v16, v5
	s_and_saveexec_b64 s[12:13], s[0:1]
	s_cbranch_execz .LBB193_365
; %bb.362:                              ;   in Loop: Header=BB193_198 Depth=1
	v_and_b32_sdwa v18, v13, s25 dst_sel:DWORD dst_unused:UNUSED_PAD src0_sel:BYTE_1 src1_sel:DWORD
	v_mov_b32_e32 v11, v5
	v_mov_b32_e32 v17, v12
	v_cmp_ne_u32_e64 s[0:1], s25, v18
	v_mov_b32_e32 v16, v11
	s_and_saveexec_b64 s[14:15], s[0:1]
	s_cbranch_execz .LBB193_364
; %bb.363:                              ;   in Loop: Header=BB193_198 Depth=1
	v_and_b32_sdwa v16, v13, v41 dst_sel:DWORD dst_unused:UNUSED_PAD src0_sel:BYTE_1 src1_sel:DWORD
	v_lshrrev_b32_e32 v11, 3, v18
	v_cmp_gt_u32_e64 s[0:1], 8, v18
	v_ffbh_u32_e32 v18, v16
	v_min_u32_e32 v19, 32, v18
	v_mov_b32_e32 v17, v5
	v_subrev_u32_e32 v18, 28, v19
	v_lshlrev_b64 v[17:18], v18, v[16:17]
	v_sub_u32_e32 v18, 29, v19
	v_and_b32_e32 v17, 7, v17
	v_cndmask_b32_e64 v11, v11, v18, s[0:1]
	v_cndmask_b32_e64 v16, v16, v17, s[0:1]
	v_lshlrev_b32_e32 v17, 16, v13
	v_lshl_add_u32 v11, v11, 23, v40
	v_and_or_b32 v11, v17, s26, v11
	v_lshlrev_b32_e32 v16, 20, v16
	v_or_b32_e32 v17, v11, v16
	v_mov_b32_e32 v16, v5
.LBB193_364:                            ;   in Loop: Header=BB193_198 Depth=1
	s_or_b64 exec, exec, s[14:15]
.LBB193_365:                            ;   in Loop: Header=BB193_198 Depth=1
	s_or_b64 exec, exec, s[12:13]
.LBB193_366:                            ;   in Loop: Header=BB193_198 Depth=1
	s_or_b64 exec, exec, s[6:7]
	v_lshrrev_b32_e32 v11, 16, v13
	v_mov_b32_e32 v20, 0
	v_mov_b32_e32 v18, 0
	;; [unrolled: 1-line block ×4, first 2 shown]
	v_cmp_ne_u16_sdwa s[0:1], v11, v5 src0_sel:BYTE_0 src1_sel:DWORD
	s_and_saveexec_b64 s[6:7], s[0:1]
	s_cbranch_execz .LBB193_372
; %bb.367:                              ;   in Loop: Header=BB193_198 Depth=1
	v_bfrev_b32_e32 v18, 1
	v_mov_b32_e32 v19, 0
	v_cmp_ne_u16_sdwa s[0:1], v11, s24 src0_sel:BYTE_0 src1_sel:DWORD
	s_and_saveexec_b64 s[12:13], s[0:1]
	s_cbranch_execz .LBB193_371
; %bb.368:                              ;   in Loop: Header=BB193_198 Depth=1
	v_bfe_u32 v24, v13, 16, 7
	v_mov_b32_e32 v18, 0x7f800001
	v_mov_b32_e32 v19, 0
	v_cmp_ne_u32_e64 s[0:1], s25, v24
	s_and_saveexec_b64 s[14:15], s[0:1]
	s_cbranch_execz .LBB193_370
; %bb.369:                              ;   in Loop: Header=BB193_198 Depth=1
	v_and_b32_e32 v25, 7, v11
	v_ffbh_u32_e32 v18, v25
	v_lshrrev_b32_e32 v26, 3, v24
	v_cmp_gt_u32_e64 s[0:1], 8, v24
	v_min_u32_e32 v24, 32, v18
	v_subrev_u32_e32 v18, 28, v24
	v_lshlrev_b64 v[18:19], v18, v[11:12]
	v_sub_u32_e32 v19, 29, v24
	v_and_b32_e32 v18, 7, v18
	v_cndmask_b32_e64 v19, v26, v19, s[0:1]
	v_cndmask_b32_e64 v18, v25, v18, s[0:1]
	v_lshlrev_b32_e32 v18, 20, v18
	v_and_b32_sdwa v11, sext(v11), s26 dst_sel:DWORD dst_unused:UNUSED_PAD src0_sel:BYTE_0 src1_sel:DWORD
	v_lshl_add_u32 v19, v19, 23, v40
	v_mov_b32_e32 v26, 24
	v_or3_b32 v18, v11, v19, v18
	v_mov_b32_e32 v19, v5
.LBB193_370:                            ;   in Loop: Header=BB193_198 Depth=1
	s_or_b64 exec, exec, s[14:15]
.LBB193_371:                            ;   in Loop: Header=BB193_198 Depth=1
	s_or_b64 exec, exec, s[12:13]
.LBB193_372:                            ;   in Loop: Header=BB193_198 Depth=1
	s_or_b64 exec, exec, s[6:7]
	v_cmp_lt_u32_e64 s[0:1], s27, v13
	s_and_saveexec_b64 s[6:7], s[0:1]
	s_cbranch_execz .LBB193_378
; %bb.373:                              ;   in Loop: Header=BB193_198 Depth=1
	v_mov_b32_e32 v21, v6
	v_cmp_ne_u32_sdwa s[0:1], v13, s24 src0_sel:BYTE_3 src1_sel:DWORD
	v_mov_b32_e32 v20, v5
	s_and_saveexec_b64 s[12:13], s[0:1]
	s_cbranch_execz .LBB193_377
; %bb.374:                              ;   in Loop: Header=BB193_198 Depth=1
	v_bfe_u32 v24, v13, 24, 7
	v_mov_b32_e32 v11, v5
	v_mov_b32_e32 v21, v12
	v_cmp_ne_u32_e64 s[0:1], s25, v24
	v_mov_b32_e32 v20, v11
	s_and_saveexec_b64 s[14:15], s[0:1]
	s_cbranch_execz .LBB193_376
; %bb.375:                              ;   in Loop: Header=BB193_198 Depth=1
	v_and_b32_sdwa v20, v13, v41 dst_sel:DWORD dst_unused:UNUSED_PAD src0_sel:BYTE_3 src1_sel:DWORD
	v_lshrrev_b32_e32 v11, 3, v24
	v_cmp_gt_u32_e64 s[0:1], 8, v24
	v_ffbh_u32_e32 v24, v20
	v_min_u32_e32 v26, 32, v24
	v_mov_b32_e32 v21, v5
	v_subrev_u32_e32 v24, 28, v26
	v_lshlrev_b64 v[24:25], v24, v[20:21]
	v_sub_u32_e32 v21, 29, v26
	v_mov_b32_e32 v26, 24
	v_and_b32_e32 v24, 7, v24
	v_cndmask_b32_e64 v11, v11, v21, s[0:1]
	v_cndmask_b32_e64 v20, v20, v24, s[0:1]
	v_lshlrev_b32_sdwa v13, v26, v13 dst_sel:DWORD dst_unused:UNUSED_PAD src0_sel:DWORD src1_sel:BYTE_3
	v_lshl_add_u32 v11, v11, 23, v40
	v_and_or_b32 v11, v13, s26, v11
	v_lshlrev_b32_e32 v13, 20, v20
	v_or_b32_e32 v21, v11, v13
	v_mov_b32_e32 v20, v5
.LBB193_376:                            ;   in Loop: Header=BB193_198 Depth=1
	s_or_b64 exec, exec, s[14:15]
.LBB193_377:                            ;   in Loop: Header=BB193_198 Depth=1
	s_or_b64 exec, exec, s[12:13]
.LBB193_378:                            ;   in Loop: Header=BB193_198 Depth=1
	s_or_b64 exec, exec, s[6:7]
	v_or_b32_e32 v13, v16, v14
	v_or_b32_e32 v11, v17, v15
	v_mul_f32_e32 v15, s17, v13
	v_or_b32_e32 v13, v21, v19
	v_or_b32_e32 v14, v20, v18
	v_mul_f32_e32 v11, s18, v11
	v_mul_f32_e32 v14, s17, v14
	;; [unrolled: 1-line block ×3, first 2 shown]
	s_and_saveexec_b64 s[0:1], vcc
	s_cbranch_execz .LBB193_197
; %bb.379:                              ;   in Loop: Header=BB193_198 Depth=1
	v_cmp_gt_i32_e32 vcc, s30, v47
	v_cndmask_b32_e32 v15, 0, v15, vcc
	v_cmp_gt_i32_e32 vcc, s30, v49
	v_cndmask_b32_e32 v11, 0, v11, vcc
	;; [unrolled: 2-line block ×4, first 2 shown]
	s_branch .LBB193_197
.LBB193_380:
	s_or_b64 exec, exec, s[4:5]
	buffer_load_dword v13, off, s[44:47], 0 offset:4 ; 4-byte Folded Reload
	buffer_load_dword v8, off, s[44:47], 0 offset:8 ; 4-byte Folded Reload
.LBB193_381:
	s_or_b64 exec, exec, s[2:3]
	s_waitcnt vmcnt(0)
	ds_bpermute_b32 v0, v8, v32
	ds_bpermute_b32 v1, v8, v33
	ds_bpermute_b32 v5, v8, v30
	s_waitcnt lgkmcnt(0)
	s_barrier
	v_add_f32_e32 v0, v32, v0
	ds_bpermute_b32 v3, v42, v0
	v_add_f32_e32 v1, v33, v1
	ds_bpermute_b32 v4, v42, v1
	s_waitcnt lgkmcnt(0)
	ds_bpermute_b32 v2, v8, v31
	v_add_f32_e32 v0, v0, v3
	ds_bpermute_b32 v3, v8, v29
	v_add_f32_e32 v1, v1, v4
	v_add_f32_e32 v4, v30, v5
	ds_bpermute_b32 v7, v42, v4
	ds_bpermute_b32 v5, v8, v28
	s_waitcnt lgkmcnt(2)
	v_add_f32_e32 v9, v29, v3
	ds_bpermute_b32 v10, v42, v9
	ds_bpermute_b32 v8, v8, v27
	s_waitcnt lgkmcnt(3)
	v_add_f32_e32 v3, v4, v7
	v_add_f32_e32 v2, v31, v2
	s_waitcnt lgkmcnt(2)
	v_add_f32_e32 v5, v28, v5
	s_waitcnt lgkmcnt(1)
	v_add_f32_e32 v4, v9, v10
	buffer_load_dword v9, off, s[44:47], 0 offset:40 ; 4-byte Folded Reload
	s_waitcnt lgkmcnt(0)
	v_add_f32_e32 v8, v27, v8
	ds_bpermute_b32 v6, v42, v2
	ds_bpermute_b32 v11, v42, v5
	;; [unrolled: 1-line block ×3, first 2 shown]
	s_waitcnt lgkmcnt(2)
	v_add_f32_e32 v2, v2, v6
	s_waitcnt lgkmcnt(1)
	v_add_f32_e32 v5, v5, v11
	;; [unrolled: 2-line block ×3, first 2 shown]
	s_waitcnt vmcnt(0)
	v_and_b32_e32 v7, 0x3c3, v9
	v_cmp_eq_u32_e32 vcc, 64, v7
	s_and_saveexec_b64 s[0:1], vcc
	s_cbranch_execz .LBB193_383
; %bb.382:
	v_add_u32_e32 v8, 0x1d0, v13
	ds_write2_b32 v8, v0, v1 offset1:16
	ds_write2_b32 v8, v2, v3 offset0:32 offset1:48
	ds_write2_b32 v8, v4, v5 offset0:64 offset1:80
	ds_write_b32 v8, v6 offset:384
.LBB193_383:
	s_or_b64 exec, exec, s[0:1]
	v_cmp_gt_u32_e32 vcc, 64, v9
	s_waitcnt lgkmcnt(0)
	s_barrier
	s_and_saveexec_b64 s[0:1], vcc
	s_cbranch_execz .LBB193_393
; %bb.384:
	buffer_load_dword v8, off, s[44:47], 0 offset:44 ; 4-byte Folded Reload
	buffer_load_dword v9, off, s[44:47], 0 offset:52 ; 4-byte Folded Reload
	s_waitcnt vmcnt(1)
	v_cmp_eq_u32_e32 vcc, 0, v8
	v_mov_b32_e32 v8, 0x1d0
	s_waitcnt vmcnt(0)
	v_lshl_add_u32 v8, v9, 2, v8
	s_and_saveexec_b64 s[2:3], vcc
	s_cbranch_execnz .LBB193_396
; %bb.385:
	s_or_b64 exec, exec, s[2:3]
	s_and_saveexec_b64 s[2:3], vcc
	s_cbranch_execnz .LBB193_397
.LBB193_386:
	s_or_b64 exec, exec, s[2:3]
	s_and_saveexec_b64 s[2:3], vcc
	s_cbranch_execnz .LBB193_398
.LBB193_387:
	s_or_b64 exec, exec, s[2:3]
	s_and_saveexec_b64 s[2:3], vcc
	s_cbranch_execnz .LBB193_399
.LBB193_388:
	s_or_b64 exec, exec, s[2:3]
	s_and_saveexec_b64 s[2:3], vcc
	s_cbranch_execnz .LBB193_400
.LBB193_389:
	s_or_b64 exec, exec, s[2:3]
	s_and_saveexec_b64 s[2:3], vcc
	s_cbranch_execnz .LBB193_401
.LBB193_390:
	s_or_b64 exec, exec, s[2:3]
	s_and_saveexec_b64 s[2:3], vcc
	s_cbranch_execz .LBB193_392
.LBB193_391:
	ds_read_b32 v8, v8 offset:384
	s_waitcnt lgkmcnt(0)
	v_add_f32_e32 v6, v6, v8
.LBB193_392:
	s_or_b64 exec, exec, s[2:3]
.LBB193_393:
	s_or_b64 exec, exec, s[0:1]
	v_cmp_eq_u32_e32 vcc, 0, v7
	s_barrier
	s_and_saveexec_b64 s[0:1], vcc
	s_cbranch_execz .LBB193_395
; %bb.394:
	buffer_load_dword v7, off, s[44:47], 0 offset:48 ; 4-byte Folded Reload
	s_mul_i32 s0, s10, s11
	s_mul_i32 s0, s0, s9
	s_mulk_i32 s0, 0x70
	s_ashr_i32 s1, s0, 31
	s_lshl_b64 s[0:1], s[0:1], 2
	s_add_u32 s2, s22, s0
	s_mul_i32 s0, s11, s20
	s_addc_u32 s3, s23, s1
	s_ashr_i32 s1, s0, 31
	s_lshl_b64 s[0:1], s[0:1], 2
	s_add_u32 s2, s2, s0
	s_mul_i32 s0, s8, 0x70
	s_addc_u32 s3, s3, s1
	s_ashr_i32 s1, s0, 31
	s_lshl_b64 s[0:1], s[0:1], 2
	s_add_u32 s0, s2, s0
	s_addc_u32 s1, s3, s1
	s_waitcnt vmcnt(0)
	global_store_dword v7, v0, s[0:1]
	global_store_dword v7, v1, s[0:1] offset:64
	global_store_dword v7, v2, s[0:1] offset:128
	;; [unrolled: 1-line block ×6, first 2 shown]
.LBB193_395:
	s_endpgm
.LBB193_396:
	ds_read_b32 v9, v8
	s_waitcnt lgkmcnt(0)
	v_add_f32_e32 v0, v0, v9
	s_or_b64 exec, exec, s[2:3]
	s_and_saveexec_b64 s[2:3], vcc
	s_cbranch_execz .LBB193_386
.LBB193_397:
	ds_read_b32 v9, v8 offset:64
	s_waitcnt lgkmcnt(0)
	v_add_f32_e32 v1, v1, v9
	s_or_b64 exec, exec, s[2:3]
	s_and_saveexec_b64 s[2:3], vcc
	s_cbranch_execz .LBB193_387
.LBB193_398:
	ds_read_b32 v9, v8 offset:128
	s_waitcnt lgkmcnt(0)
	v_add_f32_e32 v2, v2, v9
	s_or_b64 exec, exec, s[2:3]
	s_and_saveexec_b64 s[2:3], vcc
	s_cbranch_execz .LBB193_388
.LBB193_399:
	ds_read_b32 v9, v8 offset:192
	s_waitcnt lgkmcnt(0)
	v_add_f32_e32 v3, v3, v9
	s_or_b64 exec, exec, s[2:3]
	s_and_saveexec_b64 s[2:3], vcc
	s_cbranch_execz .LBB193_389
.LBB193_400:
	ds_read_b32 v9, v8 offset:256
	s_waitcnt lgkmcnt(0)
	v_add_f32_e32 v4, v4, v9
	s_or_b64 exec, exec, s[2:3]
	s_and_saveexec_b64 s[2:3], vcc
	s_cbranch_execz .LBB193_390
.LBB193_401:
	ds_read_b32 v9, v8 offset:320
	s_waitcnt lgkmcnt(0)
	v_add_f32_e32 v5, v5, v9
	s_or_b64 exec, exec, s[2:3]
	s_and_saveexec_b64 s[2:3], vcc
	s_cbranch_execnz .LBB193_391
	s_branch .LBB193_392
	.section	.rodata,"a",@progbits
	.p2align	6, 0x0
	.amdhsa_kernel _ZN4vllm25paged_attention_v1_kernelIfhLi112ELi16ELi128ELNS_18Fp8KVCacheDataTypeE1ELb0EEEvPT_PKS2_PKT0_S8_ifPKiSA_iPKfiiiSC_SC_iiiii
		.amdhsa_group_segment_fixed_size 464
		.amdhsa_private_segment_fixed_size 76
		.amdhsa_kernarg_size 384
		.amdhsa_user_sgpr_count 6
		.amdhsa_user_sgpr_private_segment_buffer 1
		.amdhsa_user_sgpr_dispatch_ptr 0
		.amdhsa_user_sgpr_queue_ptr 0
		.amdhsa_user_sgpr_kernarg_segment_ptr 1
		.amdhsa_user_sgpr_dispatch_id 0
		.amdhsa_user_sgpr_flat_scratch_init 0
		.amdhsa_user_sgpr_private_segment_size 0
		.amdhsa_uses_dynamic_stack 0
		.amdhsa_system_sgpr_private_segment_wavefront_offset 1
		.amdhsa_system_sgpr_workgroup_id_x 1
		.amdhsa_system_sgpr_workgroup_id_y 1
		.amdhsa_system_sgpr_workgroup_id_z 1
		.amdhsa_system_sgpr_workgroup_info 0
		.amdhsa_system_vgpr_workitem_id 0
		.amdhsa_next_free_vgpr 64
		.amdhsa_next_free_sgpr 48
		.amdhsa_reserve_vcc 1
		.amdhsa_reserve_flat_scratch 0
		.amdhsa_float_round_mode_32 0
		.amdhsa_float_round_mode_16_64 0
		.amdhsa_float_denorm_mode_32 3
		.amdhsa_float_denorm_mode_16_64 3
		.amdhsa_dx10_clamp 1
		.amdhsa_ieee_mode 1
		.amdhsa_fp16_overflow 0
		.amdhsa_exception_fp_ieee_invalid_op 0
		.amdhsa_exception_fp_denorm_src 0
		.amdhsa_exception_fp_ieee_div_zero 0
		.amdhsa_exception_fp_ieee_overflow 0
		.amdhsa_exception_fp_ieee_underflow 0
		.amdhsa_exception_fp_ieee_inexact 0
		.amdhsa_exception_int_div_zero 0
	.end_amdhsa_kernel
	.section	.text._ZN4vllm25paged_attention_v1_kernelIfhLi112ELi16ELi128ELNS_18Fp8KVCacheDataTypeE1ELb0EEEvPT_PKS2_PKT0_S8_ifPKiSA_iPKfiiiSC_SC_iiiii,"axG",@progbits,_ZN4vllm25paged_attention_v1_kernelIfhLi112ELi16ELi128ELNS_18Fp8KVCacheDataTypeE1ELb0EEEvPT_PKS2_PKT0_S8_ifPKiSA_iPKfiiiSC_SC_iiiii,comdat
.Lfunc_end193:
	.size	_ZN4vllm25paged_attention_v1_kernelIfhLi112ELi16ELi128ELNS_18Fp8KVCacheDataTypeE1ELb0EEEvPT_PKS2_PKT0_S8_ifPKiSA_iPKfiiiSC_SC_iiiii, .Lfunc_end193-_ZN4vllm25paged_attention_v1_kernelIfhLi112ELi16ELi128ELNS_18Fp8KVCacheDataTypeE1ELb0EEEvPT_PKS2_PKT0_S8_ifPKiSA_iPKfiiiSC_SC_iiiii
                                        ; -- End function
	.set _ZN4vllm25paged_attention_v1_kernelIfhLi112ELi16ELi128ELNS_18Fp8KVCacheDataTypeE1ELb0EEEvPT_PKS2_PKT0_S8_ifPKiSA_iPKfiiiSC_SC_iiiii.num_vgpr, 64
	.set _ZN4vllm25paged_attention_v1_kernelIfhLi112ELi16ELi128ELNS_18Fp8KVCacheDataTypeE1ELb0EEEvPT_PKS2_PKT0_S8_ifPKiSA_iPKfiiiSC_SC_iiiii.num_agpr, 0
	.set _ZN4vllm25paged_attention_v1_kernelIfhLi112ELi16ELi128ELNS_18Fp8KVCacheDataTypeE1ELb0EEEvPT_PKS2_PKT0_S8_ifPKiSA_iPKfiiiSC_SC_iiiii.numbered_sgpr, 48
	.set _ZN4vllm25paged_attention_v1_kernelIfhLi112ELi16ELi128ELNS_18Fp8KVCacheDataTypeE1ELb0EEEvPT_PKS2_PKT0_S8_ifPKiSA_iPKfiiiSC_SC_iiiii.num_named_barrier, 0
	.set _ZN4vllm25paged_attention_v1_kernelIfhLi112ELi16ELi128ELNS_18Fp8KVCacheDataTypeE1ELb0EEEvPT_PKS2_PKT0_S8_ifPKiSA_iPKfiiiSC_SC_iiiii.private_seg_size, 76
	.set _ZN4vllm25paged_attention_v1_kernelIfhLi112ELi16ELi128ELNS_18Fp8KVCacheDataTypeE1ELb0EEEvPT_PKS2_PKT0_S8_ifPKiSA_iPKfiiiSC_SC_iiiii.uses_vcc, 1
	.set _ZN4vllm25paged_attention_v1_kernelIfhLi112ELi16ELi128ELNS_18Fp8KVCacheDataTypeE1ELb0EEEvPT_PKS2_PKT0_S8_ifPKiSA_iPKfiiiSC_SC_iiiii.uses_flat_scratch, 0
	.set _ZN4vllm25paged_attention_v1_kernelIfhLi112ELi16ELi128ELNS_18Fp8KVCacheDataTypeE1ELb0EEEvPT_PKS2_PKT0_S8_ifPKiSA_iPKfiiiSC_SC_iiiii.has_dyn_sized_stack, 0
	.set _ZN4vllm25paged_attention_v1_kernelIfhLi112ELi16ELi128ELNS_18Fp8KVCacheDataTypeE1ELb0EEEvPT_PKS2_PKT0_S8_ifPKiSA_iPKfiiiSC_SC_iiiii.has_recursion, 0
	.set _ZN4vllm25paged_attention_v1_kernelIfhLi112ELi16ELi128ELNS_18Fp8KVCacheDataTypeE1ELb0EEEvPT_PKS2_PKT0_S8_ifPKiSA_iPKfiiiSC_SC_iiiii.has_indirect_call, 0
	.section	.AMDGPU.csdata,"",@progbits
; Kernel info:
; codeLenInByte = 15664
; TotalNumSgprs: 52
; NumVgprs: 64
; ScratchSize: 76
; MemoryBound: 0
; FloatMode: 240
; IeeeMode: 1
; LDSByteSize: 464 bytes/workgroup (compile time only)
; SGPRBlocks: 6
; VGPRBlocks: 15
; NumSGPRsForWavesPerEU: 52
; NumVGPRsForWavesPerEU: 64
; Occupancy: 4
; WaveLimiterHint : 1
; COMPUTE_PGM_RSRC2:SCRATCH_EN: 1
; COMPUTE_PGM_RSRC2:USER_SGPR: 6
; COMPUTE_PGM_RSRC2:TRAP_HANDLER: 0
; COMPUTE_PGM_RSRC2:TGID_X_EN: 1
; COMPUTE_PGM_RSRC2:TGID_Y_EN: 1
; COMPUTE_PGM_RSRC2:TGID_Z_EN: 1
; COMPUTE_PGM_RSRC2:TIDIG_COMP_CNT: 0
	.section	.text._ZN4vllm25paged_attention_v1_kernelIfhLi120ELi16ELi128ELNS_18Fp8KVCacheDataTypeE1ELb0EEEvPT_PKS2_PKT0_S8_ifPKiSA_iPKfiiiSC_SC_iiiii,"axG",@progbits,_ZN4vllm25paged_attention_v1_kernelIfhLi120ELi16ELi128ELNS_18Fp8KVCacheDataTypeE1ELb0EEEvPT_PKS2_PKT0_S8_ifPKiSA_iPKfiiiSC_SC_iiiii,comdat
	.protected	_ZN4vllm25paged_attention_v1_kernelIfhLi120ELi16ELi128ELNS_18Fp8KVCacheDataTypeE1ELb0EEEvPT_PKS2_PKT0_S8_ifPKiSA_iPKfiiiSC_SC_iiiii ; -- Begin function _ZN4vllm25paged_attention_v1_kernelIfhLi120ELi16ELi128ELNS_18Fp8KVCacheDataTypeE1ELb0EEEvPT_PKS2_PKT0_S8_ifPKiSA_iPKfiiiSC_SC_iiiii
	.globl	_ZN4vllm25paged_attention_v1_kernelIfhLi120ELi16ELi128ELNS_18Fp8KVCacheDataTypeE1ELb0EEEvPT_PKS2_PKT0_S8_ifPKiSA_iPKfiiiSC_SC_iiiii
	.p2align	8
	.type	_ZN4vllm25paged_attention_v1_kernelIfhLi120ELi16ELi128ELNS_18Fp8KVCacheDataTypeE1ELb0EEEvPT_PKS2_PKT0_S8_ifPKiSA_iPKfiiiSC_SC_iiiii,@function
_ZN4vllm25paged_attention_v1_kernelIfhLi120ELi16ELi128ELNS_18Fp8KVCacheDataTypeE1ELb0EEEvPT_PKS2_PKT0_S8_ifPKiSA_iPKfiiiSC_SC_iiiii: ; @_ZN4vllm25paged_attention_v1_kernelIfhLi120ELi16ELi128ELNS_18Fp8KVCacheDataTypeE1ELb0EEEvPT_PKS2_PKT0_S8_ifPKiSA_iPKfiiiSC_SC_iiiii
; %bb.0:
	s_mov_b64 s[46:47], s[2:3]
	s_mov_b64 s[44:45], s[0:1]
	s_add_u32 s44, s44, s9
	s_load_dword s9, s[4:5], 0x80
	s_load_dwordx2 s[0:1], s[4:5], 0x30
	s_load_dwordx2 s[30:31], s[4:5], 0x20
	s_addc_u32 s45, s45, 0
	s_mov_b32 s10, s7
	s_ashr_i32 s11, s7, 31
	s_lshl_b64 s[2:3], s[10:11], 2
	s_waitcnt lgkmcnt(0)
	s_add_u32 s0, s0, s2
	s_addc_u32 s1, s1, s3
	s_abs_i32 s2, s30
	v_mov_b32_e32 v12, v0
	v_cvt_f32_u32_e32 v0, s2
	s_sub_i32 s11, 0, s2
	s_abs_i32 s7, s9
	s_xor_b32 s3, s9, s30
	v_rcp_iflag_f32_e32 v0, v0
	s_ashr_i32 s3, s3, 31
	s_mov_b32 s33, 0
	v_mul_f32_e32 v0, 0x4f7ffffe, v0
	v_cvt_u32_f32_e32 v0, v0
	v_readfirstlane_b32 s12, v0
	s_mul_i32 s11, s11, s12
	s_mul_hi_u32 s11, s12, s11
	s_add_i32 s12, s12, s11
	s_mul_hi_u32 s11, s7, s12
	s_mul_i32 s12, s11, s2
	s_sub_i32 s7, s7, s12
	s_add_i32 s12, s11, 1
	s_sub_i32 s13, s7, s2
	s_cmp_ge_u32 s7, s2
	s_cselect_b32 s11, s12, s11
	s_cselect_b32 s7, s13, s7
	s_add_i32 s12, s11, 1
	s_cmp_ge_u32 s7, s2
	s_cselect_b32 s2, s12, s11
	s_xor_b32 s2, s2, s3
	s_sub_i32 s12, s2, s3
	s_abs_i32 s11, s12
	v_cvt_f32_u32_e32 v0, s11
	s_load_dwordx2 s[2:3], s[4:5], 0x40
	s_sub_i32 s7, 0, s11
	s_abs_i32 s16, s6
	v_rcp_iflag_f32_e32 v0, v0
	v_mul_f32_e32 v0, 0x4f7ffffe, v0
	v_cvt_u32_f32_e32 v0, v0
	v_readfirstlane_b32 s13, v0
	s_mul_i32 s7, s7, s13
	s_mul_hi_u32 s7, s13, s7
	s_add_i32 s13, s13, s7
	s_waitcnt lgkmcnt(0)
	s_cmp_eq_u64 s[2:3], 0
	s_mul_hi_u32 s17, s16, s13
	s_cbranch_scc1 .LBB194_2
; %bb.1:
	s_ashr_i32 s7, s6, 31
	s_lshl_b64 s[14:15], s[6:7], 2
	s_add_u32 s2, s2, s14
	s_addc_u32 s3, s3, s15
	s_load_dword s33, s[2:3], 0x0
.LBB194_2:
	s_load_dword s30, s[0:1], 0x0
	s_ashr_i32 s3, s12, 31
	s_load_dwordx4 s[12:15], s[4:5], 0x48
	v_lshrrev_b32_e32 v0, 2, v12
	v_and_b32_e32 v1, 3, v12
	s_movk_i32 s7, 0x78
	s_ashr_i32 s2, s6, 31
	buffer_store_dword v1, off, s[44:47], 0 offset:76 ; 4-byte Folded Spill
	s_mul_i32 s20, s6, 0x78
	v_cmp_gt_u32_e32 vcc, s7, v12
	v_lshlrev_b32_e32 v13, 2, v12
	v_lshlrev_b32_e32 v1, 2, v0
	s_and_saveexec_b64 s[0:1], vcc
	s_cbranch_execz .LBB194_4
; %bb.3:
	s_load_dwordx2 s[18:19], s[4:5], 0x8
	s_waitcnt lgkmcnt(0)
	s_mul_i32 s22, s12, s10
	s_ashr_i32 s23, s22, 31
	s_lshl_b64 s[22:23], s[22:23], 2
	v_and_b32_e32 v2, 3, v12
	s_add_u32 s6, s18, s22
	s_addc_u32 s12, s19, s23
	s_ashr_i32 s21, s20, 31
	s_lshl_b64 s[18:19], s[20:21], 2
	s_add_u32 s18, s6, s18
	s_addc_u32 s19, s12, s19
	global_load_dword v0, v13, s[18:19]
	v_mad_u32_u24 v1, v2, s7, v1
	s_waitcnt vmcnt(0)
	ds_write_b32 v1, v0
.LBB194_4:
	s_or_b64 exec, exec, s[0:1]
	s_waitcnt lgkmcnt(0)
	s_add_i32 s1, s30, 15
	s_ashr_i32 s6, s1, 31
	s_lshr_b32 s6, s6, 28
	s_add_i32 s1, s1, s6
	s_ashr_i32 s21, s1, 4
	s_xor_b32 s1, s2, s3
	s_mul_i32 s2, s17, s11
	s_sub_i32 s2, s16, s2
	s_add_i32 s3, s17, 1
	s_sub_i32 s6, s2, s11
	s_load_dwordx2 s[24:25], s[4:5], 0x28
	s_load_dword s0, s[4:5], 0x38
	s_cmp_ge_u32 s2, s11
	s_cselect_b32 s3, s3, s17
	s_cselect_b32 s2, s6, s2
	s_add_i32 s6, s3, 1
	s_cmp_ge_u32 s2, s11
	s_cselect_b32 s2, s6, s3
	v_lshrrev_b32_e32 v53, 6, v12
	s_xor_b32 s2, s2, s1
	s_waitcnt lgkmcnt(0)
	s_mul_i32 s26, s0, s10
	s_sub_i32 s12, s2, s1
	s_ashr_i32 s27, s26, 31
	v_cmp_le_i32_e64 s[0:1], s21, v53
	v_mbcnt_lo_u32_b32 v0, -1, 0
	s_waitcnt vmcnt(0)
	s_barrier
                                        ; implicit-def: $vgpr15
                                        ; implicit-def: $vgpr9
                                        ; implicit-def: $vgpr17
	s_and_saveexec_b64 s[2:3], s[0:1]
	s_xor_b64 s[2:3], exec, s[2:3]
; %bb.5:
	v_mbcnt_hi_u32_b32 v15, -1, v0
	v_and_b32_e32 v9, 64, v15
	v_add_u32_e32 v17, 64, v9
                                        ; implicit-def: $vgpr0
; %bb.6:
	s_or_saveexec_b64 s[6:7], s[2:3]
	s_load_dwordx2 s[22:23], s[4:5], 0x0
	s_load_dwordx2 s[28:29], s[4:5], 0x18
	s_load_dword s11, s[4:5], 0x88
	s_load_dwordx4 s[16:19], s[4:5], 0x58
	v_mov_b32_e32 v2, 0xff7fffff
	s_mul_i32 s12, s12, s14
	v_lshrrev_b32_e32 v16, 4, v12
	buffer_store_dword v12, off, s[44:47], 0 offset:80 ; 4-byte Folded Spill
	s_xor_b64 exec, exec, s[6:7]
	s_cbranch_execz .LBB194_192
; %bb.7:
	buffer_load_dword v4, off, s[44:47], 0 offset:76 ; 4-byte Folded Reload
	s_load_dwordx2 s[2:3], s[4:5], 0x10
	s_ashr_i32 s4, s12, 31
	v_bfe_u32 v1, v12, 2, 4
	v_lshlrev_b32_e32 v2, 4, v1
	v_mbcnt_hi_u32_b32 v5, -1, v0
	s_waitcnt lgkmcnt(0)
	s_add_u32 s2, s2, s12
	s_addc_u32 s3, s3, s4
	v_mov_b32_e32 v3, s3
	v_add_co_u32_e32 v2, vcc, s2, v2
	v_and_b32_e32 v0, 64, v5
	v_addc_co_u32_e32 v3, vcc, 0, v3, vcc
	buffer_store_dword v0, off, s[44:47], 0 offset:100 ; 4-byte Folded Spill
	v_add_u32_e32 v6, 64, v0
	v_xor_b32_e32 v0, 2, v5
	v_cmp_lt_i32_e32 vcc, v0, v6
	v_cndmask_b32_e32 v0, v5, v0, vcc
	v_lshlrev_b32_e32 v0, 2, v0
	buffer_store_dword v0, off, s[44:47], 0 offset:20 ; 4-byte Folded Spill
	v_xor_b32_e32 v0, 1, v5
	v_cmp_lt_i32_e32 vcc, v0, v6
	v_cndmask_b32_e32 v0, v5, v0, vcc
	v_lshlrev_b32_e32 v0, 2, v0
	buffer_store_dword v0, off, s[44:47], 0 offset:24 ; 4-byte Folded Spill
	s_sub_i32 s40, 1, s30
	v_lshlrev_b32_e32 v0, 2, v1
	v_lshl_or_b32 v0, v53, 6, v0
	v_add_u32_e32 v51, 0x1f0, v0
	v_and_b32_e32 v0, 60, v16
	buffer_store_dword v13, off, s[44:47], 0 offset:88 ; 4-byte Folded Spill
	buffer_store_dword v5, off, s[44:47], 0 offset:96 ; 4-byte Folded Spill
	s_load_dword s39, s[16:17], 0x0
	v_lshl_or_b32 v50, v53, 4, v1
	s_mov_b32 s38, s13
	v_cmp_neq_f32_e64 s[2:3], s33, 0
	s_mov_b64 s[14:15], 0
	s_movk_i32 s41, 0x80
	s_movk_i32 s42, 0x7f
	s_waitcnt vmcnt(5)
	v_add_co_u32_e64 v2, s[4:5], v2, v4
	v_addc_co_u32_e64 v3, s[4:5], 0, v3, s[4:5]
	s_lshl_b64 s[4:5], s[26:27], 2
	s_add_u32 s4, s24, s4
	s_addc_u32 s5, s25, s5
	v_mul_u32_u24_e32 v25, 0x78, v4
	buffer_store_dword v2, off, s[44:47], 0 offset:28 ; 4-byte Folded Spill
	s_nop 0
	buffer_store_dword v3, off, s[44:47], 0 offset:32 ; 4-byte Folded Spill
	v_mov_b32_e32 v1, s5
	v_add_co_u32_e64 v31, s[4:5], s4, v0
	v_mov_b32_e32 v0, 0xff7fffff
	v_addc_co_u32_e64 v32, s[4:5], 0, v1, s[4:5]
	buffer_store_dword v0, off, s[44:47], 0 offset:16 ; 4-byte Folded Spill
	ds_read_b64 v[0:1], v25 offset:112
	buffer_store_dword v16, off, s[44:47], 0 offset:92 ; 4-byte Folded Spill
	s_waitcnt lgkmcnt(0)
	buffer_store_dword v0, off, s[44:47], 0 offset:36 ; 4-byte Folded Spill
	s_nop 0
	buffer_store_dword v1, off, s[44:47], 0 offset:40 ; 4-byte Folded Spill
	ds_read2_b64 v[0:3], v25 offset0:12 offset1:13
	s_waitcnt lgkmcnt(0)
	buffer_store_dword v0, off, s[44:47], 0 offset:44 ; 4-byte Folded Spill
	s_nop 0
	buffer_store_dword v1, off, s[44:47], 0 offset:48 ; 4-byte Folded Spill
	buffer_store_dword v2, off, s[44:47], 0 offset:52 ; 4-byte Folded Spill
	;; [unrolled: 1-line block ×3, first 2 shown]
	ds_read2_b64 v[0:3], v25 offset1:1
	s_waitcnt lgkmcnt(0)
	buffer_store_dword v0, off, s[44:47], 0 offset:60 ; 4-byte Folded Spill
	s_nop 0
	buffer_store_dword v1, off, s[44:47], 0 offset:64 ; 4-byte Folded Spill
	buffer_store_dword v2, off, s[44:47], 0 offset:68 ; 4-byte Folded Spill
	;; [unrolled: 1-line block ×3, first 2 shown]
	ds_read2_b64 v[9:12], v25 offset0:2 offset1:3
	ds_read2_b64 v[13:16], v25 offset0:4 offset1:5
	;; [unrolled: 1-line block ×5, first 2 shown]
	v_cmp_eq_u32_e32 vcc, 0, v4
	buffer_store_dword v53, off, s[44:47], 0 offset:84 ; 4-byte Folded Spill
	s_branch .LBB194_9
.LBB194_8:                              ;   in Loop: Header=BB194_9 Depth=1
	s_or_b64 exec, exec, s[16:17]
	v_add_u32_e32 v53, 2, v53
	v_cmp_le_i32_e64 s[4:5], s21, v53
	s_or_b64 s[14:15], s[4:5], s[14:15]
	v_add_co_u32_e64 v31, s[4:5], 8, v31
	v_add_u32_e32 v50, 32, v50
	v_add_u32_e32 v51, 0x80, v51
	v_addc_co_u32_e64 v32, s[4:5], 0, v32, s[4:5]
	s_andn2_b64 exec, exec, s[14:15]
	s_cbranch_execz .LBB194_191
.LBB194_9:                              ; =>This Inner Loop Header: Depth=1
	global_load_dword v0, v[31:32], off
	s_waitcnt lgkmcnt(0)
	buffer_load_dword v29, off, s[44:47], 0 offset:28 ; 4-byte Folded Reload
	buffer_load_dword v30, off, s[44:47], 0 offset:32 ; 4-byte Folded Reload
	s_waitcnt vmcnt(0)
	v_mad_i64_i32 v[35:36], s[4:5], v0, s38, v[29:30]
	v_mov_b32_e32 v29, 0
	buffer_store_dword v29, off, s[44:47], 0 ; 4-byte Folded Spill
	global_load_ubyte v0, v[35:36], off
	s_waitcnt vmcnt(0)
	v_cmp_ne_u16_e64 s[4:5], 0, v0
	s_and_saveexec_b64 s[16:17], s[4:5]
	s_cbranch_execz .LBB194_15
; %bb.10:                               ;   in Loop: Header=BB194_9 Depth=1
	v_cmp_ne_u16_e64 s[4:5], s41, v0
	v_bfrev_b32_e32 v29, 1
	buffer_store_dword v29, off, s[44:47], 0 ; 4-byte Folded Spill
	s_and_saveexec_b64 s[34:35], s[4:5]
	s_cbranch_execz .LBB194_14
; %bb.11:                               ;   in Loop: Header=BB194_9 Depth=1
	v_and_b32_e32 v37, 0xffff, v0
	v_and_b32_e32 v29, 0x7f, v37
	v_cmp_ne_u32_e64 s[4:5], s42, v29
	v_mov_b32_e32 v30, 0x7f800001
	buffer_store_dword v30, off, s[44:47], 0 ; 4-byte Folded Spill
	s_and_saveexec_b64 s[36:37], s[4:5]
	s_cbranch_execz .LBB194_13
; %bb.12:                               ;   in Loop: Header=BB194_9 Depth=1
	v_and_b32_e32 v30, 7, v37
	v_ffbh_u32_e32 v33, v30
	v_min_u32_e32 v39, 32, v33
	v_lshrrev_b32_e32 v38, 3, v29
	v_subrev_u32_e32 v33, 28, v39
	v_lshlrev_b64 v[33:34], v33, v[37:38]
	v_sub_u32_e32 v34, 29, v39
	v_and_b32_e32 v33, 7, v33
	v_cmp_gt_u32_e64 s[4:5], 8, v29
	v_cndmask_b32_e64 v29, v38, v34, s[4:5]
	v_cndmask_b32_e64 v30, v30, v33, s[4:5]
	v_lshlrev_b32_e32 v0, 24, v0
	v_bfrev_b32_e32 v33, 60
	v_lshlrev_b32_e32 v30, 20, v30
	v_and_b32_e32 v0, 0x80000000, v0
	v_lshl_add_u32 v29, v29, 23, v33
	v_or3_b32 v0, v0, v29, v30
	buffer_store_dword v0, off, s[44:47], 0 ; 4-byte Folded Spill
.LBB194_13:                             ;   in Loop: Header=BB194_9 Depth=1
	s_or_b64 exec, exec, s[36:37]
.LBB194_14:                             ;   in Loop: Header=BB194_9 Depth=1
	s_or_b64 exec, exec, s[34:35]
.LBB194_15:                             ;   in Loop: Header=BB194_9 Depth=1
	s_or_b64 exec, exec, s[16:17]
	global_load_ubyte v0, v[35:36], off offset:4
	v_mov_b32_e32 v29, 0
	v_mov_b32_e32 v58, 0
	buffer_store_dword v29, off, s[44:47], 0 offset:8 ; 4-byte Folded Spill
	s_waitcnt vmcnt(1)
	v_cmp_ne_u16_e64 s[4:5], 0, v0
	s_and_saveexec_b64 s[16:17], s[4:5]
	s_cbranch_execz .LBB194_21
; %bb.16:                               ;   in Loop: Header=BB194_9 Depth=1
	v_cmp_ne_u16_e64 s[4:5], s41, v0
	v_bfrev_b32_e32 v58, 1
	s_and_saveexec_b64 s[34:35], s[4:5]
	s_cbranch_execz .LBB194_20
; %bb.17:                               ;   in Loop: Header=BB194_9 Depth=1
	v_and_b32_e32 v37, 0xffff, v0
	v_and_b32_e32 v29, 0x7f, v37
	v_cmp_ne_u32_e64 s[4:5], s42, v29
	v_mov_b32_e32 v58, 0x7f800001
	s_and_saveexec_b64 s[36:37], s[4:5]
	s_cbranch_execz .LBB194_19
; %bb.18:                               ;   in Loop: Header=BB194_9 Depth=1
	v_and_b32_e32 v30, 7, v37
	v_ffbh_u32_e32 v33, v30
	v_min_u32_e32 v39, 32, v33
	v_lshrrev_b32_e32 v38, 3, v29
	v_subrev_u32_e32 v33, 28, v39
	v_lshlrev_b64 v[33:34], v33, v[37:38]
	v_sub_u32_e32 v34, 29, v39
	v_and_b32_e32 v33, 7, v33
	v_cmp_gt_u32_e64 s[4:5], 8, v29
	v_cndmask_b32_e64 v29, v38, v34, s[4:5]
	v_cndmask_b32_e64 v30, v30, v33, s[4:5]
	v_lshlrev_b32_e32 v0, 24, v0
	v_bfrev_b32_e32 v33, 60
	v_lshlrev_b32_e32 v30, 20, v30
	v_and_b32_e32 v0, 0x80000000, v0
	v_lshl_add_u32 v29, v29, 23, v33
	v_or3_b32 v58, v0, v29, v30
.LBB194_19:                             ;   in Loop: Header=BB194_9 Depth=1
	s_or_b64 exec, exec, s[36:37]
.LBB194_20:                             ;   in Loop: Header=BB194_9 Depth=1
	s_or_b64 exec, exec, s[34:35]
.LBB194_21:                             ;   in Loop: Header=BB194_9 Depth=1
	s_or_b64 exec, exec, s[16:17]
	global_load_ubyte v0, v[35:36], off offset:8
	s_waitcnt vmcnt(0)
	v_cmp_ne_u16_e64 s[4:5], 0, v0
	s_and_saveexec_b64 s[16:17], s[4:5]
	s_cbranch_execz .LBB194_27
; %bb.22:                               ;   in Loop: Header=BB194_9 Depth=1
	v_cmp_ne_u16_e64 s[4:5], s41, v0
	v_bfrev_b32_e32 v29, 1
	buffer_store_dword v29, off, s[44:47], 0 offset:8 ; 4-byte Folded Spill
	s_and_saveexec_b64 s[34:35], s[4:5]
	s_cbranch_execz .LBB194_26
; %bb.23:                               ;   in Loop: Header=BB194_9 Depth=1
	v_and_b32_e32 v37, 0xffff, v0
	v_and_b32_e32 v29, 0x7f, v37
	v_cmp_ne_u32_e64 s[4:5], s42, v29
	v_mov_b32_e32 v30, 0x7f800001
	buffer_store_dword v30, off, s[44:47], 0 offset:8 ; 4-byte Folded Spill
	s_and_saveexec_b64 s[36:37], s[4:5]
	s_cbranch_execz .LBB194_25
; %bb.24:                               ;   in Loop: Header=BB194_9 Depth=1
	v_and_b32_e32 v30, 7, v37
	v_ffbh_u32_e32 v33, v30
	v_min_u32_e32 v39, 32, v33
	v_lshrrev_b32_e32 v38, 3, v29
	v_subrev_u32_e32 v33, 28, v39
	v_lshlrev_b64 v[33:34], v33, v[37:38]
	v_sub_u32_e32 v34, 29, v39
	v_and_b32_e32 v33, 7, v33
	v_cmp_gt_u32_e64 s[4:5], 8, v29
	v_cndmask_b32_e64 v29, v38, v34, s[4:5]
	v_cndmask_b32_e64 v30, v30, v33, s[4:5]
	v_lshlrev_b32_e32 v0, 24, v0
	v_bfrev_b32_e32 v33, 60
	v_lshlrev_b32_e32 v30, 20, v30
	v_and_b32_e32 v0, 0x80000000, v0
	v_lshl_add_u32 v29, v29, 23, v33
	v_or3_b32 v0, v0, v29, v30
	buffer_store_dword v0, off, s[44:47], 0 offset:8 ; 4-byte Folded Spill
.LBB194_25:                             ;   in Loop: Header=BB194_9 Depth=1
	s_or_b64 exec, exec, s[36:37]
.LBB194_26:                             ;   in Loop: Header=BB194_9 Depth=1
	s_or_b64 exec, exec, s[34:35]
.LBB194_27:                             ;   in Loop: Header=BB194_9 Depth=1
	s_or_b64 exec, exec, s[16:17]
	global_load_ubyte v0, v[35:36], off offset:12
	v_mov_b32_e32 v29, 0
	v_mov_b32_e32 v59, 0
	buffer_store_dword v29, off, s[44:47], 0 offset:12 ; 4-byte Folded Spill
	s_waitcnt vmcnt(1)
	v_cmp_ne_u16_e64 s[4:5], 0, v0
	s_and_saveexec_b64 s[16:17], s[4:5]
	s_cbranch_execz .LBB194_33
; %bb.28:                               ;   in Loop: Header=BB194_9 Depth=1
	v_cmp_ne_u16_e64 s[4:5], s41, v0
	v_bfrev_b32_e32 v59, 1
	s_and_saveexec_b64 s[34:35], s[4:5]
	s_cbranch_execz .LBB194_32
; %bb.29:                               ;   in Loop: Header=BB194_9 Depth=1
	v_and_b32_e32 v37, 0xffff, v0
	v_and_b32_e32 v29, 0x7f, v37
	v_cmp_ne_u32_e64 s[4:5], s42, v29
	v_mov_b32_e32 v59, 0x7f800001
	s_and_saveexec_b64 s[36:37], s[4:5]
	s_cbranch_execz .LBB194_31
; %bb.30:                               ;   in Loop: Header=BB194_9 Depth=1
	v_and_b32_e32 v33, 7, v37
	v_lshrrev_b32_e32 v34, 3, v29
	v_cmp_gt_u32_e64 s[4:5], 8, v29
	v_ffbh_u32_e32 v29, v33
	v_min_u32_e32 v38, 32, v29
	v_subrev_u32_e32 v29, 28, v38
	v_lshlrev_b64 v[29:30], v29, v[37:38]
	v_sub_u32_e32 v30, 29, v38
	v_and_b32_e32 v29, 7, v29
	v_cndmask_b32_e64 v30, v34, v30, s[4:5]
	v_cndmask_b32_e64 v29, v33, v29, s[4:5]
	v_lshlrev_b32_e32 v0, 24, v0
	v_bfrev_b32_e32 v33, 60
	v_lshlrev_b32_e32 v29, 20, v29
	v_and_b32_e32 v0, 0x80000000, v0
	v_lshl_add_u32 v30, v30, 23, v33
	v_or3_b32 v59, v0, v30, v29
.LBB194_31:                             ;   in Loop: Header=BB194_9 Depth=1
	s_or_b64 exec, exec, s[36:37]
.LBB194_32:                             ;   in Loop: Header=BB194_9 Depth=1
	s_or_b64 exec, exec, s[34:35]
.LBB194_33:                             ;   in Loop: Header=BB194_9 Depth=1
	s_or_b64 exec, exec, s[16:17]
	global_load_ubyte v0, v[35:36], off offset:256
	s_waitcnt vmcnt(0)
	v_cmp_ne_u16_e64 s[4:5], 0, v0
	s_and_saveexec_b64 s[16:17], s[4:5]
	s_cbranch_execz .LBB194_39
; %bb.34:                               ;   in Loop: Header=BB194_9 Depth=1
	v_cmp_ne_u16_e64 s[4:5], s41, v0
	v_bfrev_b32_e32 v29, 1
	buffer_store_dword v29, off, s[44:47], 0 offset:12 ; 4-byte Folded Spill
	s_and_saveexec_b64 s[34:35], s[4:5]
	s_cbranch_execz .LBB194_38
; %bb.35:                               ;   in Loop: Header=BB194_9 Depth=1
	v_and_b32_e32 v37, 0xffff, v0
	v_and_b32_e32 v29, 0x7f, v37
	v_cmp_ne_u32_e64 s[4:5], s42, v29
	v_mov_b32_e32 v30, 0x7f800001
	buffer_store_dword v30, off, s[44:47], 0 offset:12 ; 4-byte Folded Spill
	s_and_saveexec_b64 s[36:37], s[4:5]
	s_cbranch_execz .LBB194_37
; %bb.36:                               ;   in Loop: Header=BB194_9 Depth=1
	v_and_b32_e32 v33, 7, v37
	v_lshrrev_b32_e32 v34, 3, v29
	v_cmp_gt_u32_e64 s[4:5], 8, v29
	v_ffbh_u32_e32 v29, v33
	v_min_u32_e32 v38, 32, v29
	v_subrev_u32_e32 v29, 28, v38
	v_lshlrev_b64 v[29:30], v29, v[37:38]
	v_sub_u32_e32 v30, 29, v38
	v_and_b32_e32 v29, 7, v29
	v_cndmask_b32_e64 v30, v34, v30, s[4:5]
	v_cndmask_b32_e64 v29, v33, v29, s[4:5]
	v_lshlrev_b32_e32 v0, 24, v0
	v_bfrev_b32_e32 v33, 60
	v_lshlrev_b32_e32 v29, 20, v29
	v_and_b32_e32 v0, 0x80000000, v0
	v_lshl_add_u32 v30, v30, 23, v33
	v_or3_b32 v0, v0, v30, v29
	buffer_store_dword v0, off, s[44:47], 0 offset:12 ; 4-byte Folded Spill
.LBB194_37:                             ;   in Loop: Header=BB194_9 Depth=1
	s_or_b64 exec, exec, s[36:37]
.LBB194_38:                             ;   in Loop: Header=BB194_9 Depth=1
	s_or_b64 exec, exec, s[34:35]
.LBB194_39:                             ;   in Loop: Header=BB194_9 Depth=1
	s_or_b64 exec, exec, s[16:17]
	global_load_ubyte v0, v[35:36], off offset:260
	v_mov_b32_e32 v57, 0
	v_mov_b32_e32 v3, 0
	s_waitcnt vmcnt(0)
	v_cmp_ne_u16_e64 s[4:5], 0, v0
	s_and_saveexec_b64 s[16:17], s[4:5]
	s_cbranch_execz .LBB194_45
; %bb.40:                               ;   in Loop: Header=BB194_9 Depth=1
	v_cmp_ne_u16_e64 s[4:5], s41, v0
	v_bfrev_b32_e32 v3, 1
	s_and_saveexec_b64 s[34:35], s[4:5]
	s_cbranch_execz .LBB194_44
; %bb.41:                               ;   in Loop: Header=BB194_9 Depth=1
	v_and_b32_e32 v37, 0xffff, v0
	v_and_b32_e32 v29, 0x7f, v37
	v_cmp_ne_u32_e64 s[4:5], s42, v29
	v_mov_b32_e32 v3, 0x7f800001
	s_and_saveexec_b64 s[36:37], s[4:5]
	s_cbranch_execz .LBB194_43
; %bb.42:                               ;   in Loop: Header=BB194_9 Depth=1
	v_and_b32_e32 v33, 7, v37
	v_lshrrev_b32_e32 v34, 3, v29
	v_cmp_gt_u32_e64 s[4:5], 8, v29
	v_ffbh_u32_e32 v29, v33
	v_min_u32_e32 v38, 32, v29
	v_subrev_u32_e32 v29, 28, v38
	v_lshlrev_b64 v[29:30], v29, v[37:38]
	v_sub_u32_e32 v30, 29, v38
	v_and_b32_e32 v29, 7, v29
	v_cndmask_b32_e64 v30, v34, v30, s[4:5]
	v_cndmask_b32_e64 v29, v33, v29, s[4:5]
	v_lshlrev_b32_e32 v0, 24, v0
	v_bfrev_b32_e32 v33, 60
	v_lshlrev_b32_e32 v29, 20, v29
	v_and_b32_e32 v0, 0x80000000, v0
	v_lshl_add_u32 v30, v30, 23, v33
	v_or3_b32 v3, v0, v30, v29
.LBB194_43:                             ;   in Loop: Header=BB194_9 Depth=1
	s_or_b64 exec, exec, s[36:37]
.LBB194_44:                             ;   in Loop: Header=BB194_9 Depth=1
	s_or_b64 exec, exec, s[34:35]
.LBB194_45:                             ;   in Loop: Header=BB194_9 Depth=1
	s_or_b64 exec, exec, s[16:17]
	global_load_ubyte v0, v[35:36], off offset:264
	s_waitcnt vmcnt(0)
	v_cmp_ne_u16_e64 s[4:5], 0, v0
	s_and_saveexec_b64 s[16:17], s[4:5]
	s_cbranch_execz .LBB194_51
; %bb.46:                               ;   in Loop: Header=BB194_9 Depth=1
	v_cmp_ne_u16_e64 s[4:5], s41, v0
	v_bfrev_b32_e32 v57, 1
	s_and_saveexec_b64 s[34:35], s[4:5]
	s_cbranch_execz .LBB194_50
; %bb.47:                               ;   in Loop: Header=BB194_9 Depth=1
	v_and_b32_e32 v37, 0xffff, v0
	v_and_b32_e32 v29, 0x7f, v37
	v_cmp_ne_u32_e64 s[4:5], s42, v29
	v_mov_b32_e32 v57, 0x7f800001
	s_and_saveexec_b64 s[36:37], s[4:5]
	s_cbranch_execz .LBB194_49
; %bb.48:                               ;   in Loop: Header=BB194_9 Depth=1
	v_and_b32_e32 v33, 7, v37
	v_lshrrev_b32_e32 v34, 3, v29
	v_cmp_gt_u32_e64 s[4:5], 8, v29
	v_ffbh_u32_e32 v29, v33
	v_min_u32_e32 v38, 32, v29
	v_subrev_u32_e32 v29, 28, v38
	v_lshlrev_b64 v[29:30], v29, v[37:38]
	v_sub_u32_e32 v30, 29, v38
	v_and_b32_e32 v29, 7, v29
	v_cndmask_b32_e64 v30, v34, v30, s[4:5]
	v_cndmask_b32_e64 v29, v33, v29, s[4:5]
	v_lshlrev_b32_e32 v0, 24, v0
	v_bfrev_b32_e32 v33, 60
	v_lshlrev_b32_e32 v29, 20, v29
	v_and_b32_e32 v0, 0x80000000, v0
	v_lshl_add_u32 v30, v30, 23, v33
	v_or3_b32 v57, v0, v30, v29
.LBB194_49:                             ;   in Loop: Header=BB194_9 Depth=1
	s_or_b64 exec, exec, s[36:37]
.LBB194_50:                             ;   in Loop: Header=BB194_9 Depth=1
	s_or_b64 exec, exec, s[34:35]
.LBB194_51:                             ;   in Loop: Header=BB194_9 Depth=1
	s_or_b64 exec, exec, s[16:17]
	global_load_ubyte v0, v[35:36], off offset:268
	v_mov_b32_e32 v62, 0
	v_mov_b32_e32 v61, 0
	s_waitcnt vmcnt(0)
	v_cmp_ne_u16_e64 s[4:5], 0, v0
	s_and_saveexec_b64 s[16:17], s[4:5]
	s_cbranch_execz .LBB194_57
; %bb.52:                               ;   in Loop: Header=BB194_9 Depth=1
	v_cmp_ne_u16_e64 s[4:5], s41, v0
	v_bfrev_b32_e32 v61, 1
	s_and_saveexec_b64 s[34:35], s[4:5]
	s_cbranch_execz .LBB194_56
; %bb.53:                               ;   in Loop: Header=BB194_9 Depth=1
	v_and_b32_e32 v37, 0xffff, v0
	v_and_b32_e32 v29, 0x7f, v37
	v_cmp_ne_u32_e64 s[4:5], s42, v29
	v_mov_b32_e32 v61, 0x7f800001
	s_and_saveexec_b64 s[36:37], s[4:5]
	s_cbranch_execz .LBB194_55
; %bb.54:                               ;   in Loop: Header=BB194_9 Depth=1
	v_and_b32_e32 v33, 7, v37
	v_lshrrev_b32_e32 v34, 3, v29
	v_cmp_gt_u32_e64 s[4:5], 8, v29
	v_ffbh_u32_e32 v29, v33
	v_min_u32_e32 v38, 32, v29
	v_subrev_u32_e32 v29, 28, v38
	v_lshlrev_b64 v[29:30], v29, v[37:38]
	v_sub_u32_e32 v30, 29, v38
	v_and_b32_e32 v29, 7, v29
	v_cndmask_b32_e64 v30, v34, v30, s[4:5]
	v_cndmask_b32_e64 v29, v33, v29, s[4:5]
	v_lshlrev_b32_e32 v0, 24, v0
	v_bfrev_b32_e32 v33, 60
	v_lshlrev_b32_e32 v29, 20, v29
	v_and_b32_e32 v0, 0x80000000, v0
	v_lshl_add_u32 v30, v30, 23, v33
	v_or3_b32 v61, v0, v30, v29
.LBB194_55:                             ;   in Loop: Header=BB194_9 Depth=1
	s_or_b64 exec, exec, s[36:37]
.LBB194_56:                             ;   in Loop: Header=BB194_9 Depth=1
	s_or_b64 exec, exec, s[34:35]
.LBB194_57:                             ;   in Loop: Header=BB194_9 Depth=1
	s_or_b64 exec, exec, s[16:17]
	global_load_ubyte v0, v[35:36], off offset:512
	s_waitcnt vmcnt(0)
	v_cmp_ne_u16_e64 s[4:5], 0, v0
	s_and_saveexec_b64 s[16:17], s[4:5]
	s_cbranch_execz .LBB194_63
; %bb.58:                               ;   in Loop: Header=BB194_9 Depth=1
	v_cmp_ne_u16_e64 s[4:5], s41, v0
	v_bfrev_b32_e32 v62, 1
	s_and_saveexec_b64 s[34:35], s[4:5]
	s_cbranch_execz .LBB194_62
; %bb.59:                               ;   in Loop: Header=BB194_9 Depth=1
	v_and_b32_e32 v37, 0xffff, v0
	v_and_b32_e32 v29, 0x7f, v37
	v_cmp_ne_u32_e64 s[4:5], s42, v29
	v_mov_b32_e32 v62, 0x7f800001
	s_and_saveexec_b64 s[36:37], s[4:5]
	s_cbranch_execz .LBB194_61
; %bb.60:                               ;   in Loop: Header=BB194_9 Depth=1
	v_and_b32_e32 v33, 7, v37
	v_lshrrev_b32_e32 v34, 3, v29
	v_cmp_gt_u32_e64 s[4:5], 8, v29
	v_ffbh_u32_e32 v29, v33
	v_min_u32_e32 v38, 32, v29
	v_subrev_u32_e32 v29, 28, v38
	v_lshlrev_b64 v[29:30], v29, v[37:38]
	v_sub_u32_e32 v30, 29, v38
	v_and_b32_e32 v29, 7, v29
	v_cndmask_b32_e64 v30, v34, v30, s[4:5]
	v_cndmask_b32_e64 v29, v33, v29, s[4:5]
	v_lshlrev_b32_e32 v0, 24, v0
	v_bfrev_b32_e32 v33, 60
	v_lshlrev_b32_e32 v29, 20, v29
	v_and_b32_e32 v0, 0x80000000, v0
	v_lshl_add_u32 v30, v30, 23, v33
	v_or3_b32 v62, v0, v30, v29
.LBB194_61:                             ;   in Loop: Header=BB194_9 Depth=1
	s_or_b64 exec, exec, s[36:37]
.LBB194_62:                             ;   in Loop: Header=BB194_9 Depth=1
	s_or_b64 exec, exec, s[34:35]
.LBB194_63:                             ;   in Loop: Header=BB194_9 Depth=1
	s_or_b64 exec, exec, s[16:17]
	global_load_ubyte v0, v[35:36], off offset:516
	v_mov_b32_e32 v63, 0
	v_mov_b32_e32 v40, 0
	s_waitcnt vmcnt(0)
	v_cmp_ne_u16_e64 s[4:5], 0, v0
	s_and_saveexec_b64 s[16:17], s[4:5]
	s_cbranch_execz .LBB194_69
; %bb.64:                               ;   in Loop: Header=BB194_9 Depth=1
	v_cmp_ne_u16_e64 s[4:5], s41, v0
	v_bfrev_b32_e32 v40, 1
	s_and_saveexec_b64 s[34:35], s[4:5]
	s_cbranch_execz .LBB194_68
; %bb.65:                               ;   in Loop: Header=BB194_9 Depth=1
	v_and_b32_e32 v37, 0xffff, v0
	v_and_b32_e32 v29, 0x7f, v37
	v_cmp_ne_u32_e64 s[4:5], s42, v29
	v_mov_b32_e32 v40, 0x7f800001
	s_and_saveexec_b64 s[36:37], s[4:5]
	s_cbranch_execz .LBB194_67
; %bb.66:                               ;   in Loop: Header=BB194_9 Depth=1
	v_and_b32_e32 v33, 7, v37
	v_lshrrev_b32_e32 v34, 3, v29
	v_cmp_gt_u32_e64 s[4:5], 8, v29
	v_ffbh_u32_e32 v29, v33
	v_min_u32_e32 v38, 32, v29
	v_subrev_u32_e32 v29, 28, v38
	v_lshlrev_b64 v[29:30], v29, v[37:38]
	v_sub_u32_e32 v30, 29, v38
	v_and_b32_e32 v29, 7, v29
	v_cndmask_b32_e64 v30, v34, v30, s[4:5]
	v_cndmask_b32_e64 v29, v33, v29, s[4:5]
	v_lshlrev_b32_e32 v0, 24, v0
	v_bfrev_b32_e32 v33, 60
	v_lshlrev_b32_e32 v29, 20, v29
	v_and_b32_e32 v0, 0x80000000, v0
	v_lshl_add_u32 v30, v30, 23, v33
	v_or3_b32 v40, v0, v30, v29
.LBB194_67:                             ;   in Loop: Header=BB194_9 Depth=1
	s_or_b64 exec, exec, s[36:37]
.LBB194_68:                             ;   in Loop: Header=BB194_9 Depth=1
	s_or_b64 exec, exec, s[34:35]
.LBB194_69:                             ;   in Loop: Header=BB194_9 Depth=1
	s_or_b64 exec, exec, s[16:17]
	global_load_ubyte v0, v[35:36], off offset:520
	s_waitcnt vmcnt(0)
	v_cmp_ne_u16_e64 s[4:5], 0, v0
	s_and_saveexec_b64 s[16:17], s[4:5]
	s_cbranch_execz .LBB194_75
; %bb.70:                               ;   in Loop: Header=BB194_9 Depth=1
	v_cmp_ne_u16_e64 s[4:5], s41, v0
	v_bfrev_b32_e32 v63, 1
	s_and_saveexec_b64 s[34:35], s[4:5]
	s_cbranch_execz .LBB194_74
; %bb.71:                               ;   in Loop: Header=BB194_9 Depth=1
	v_and_b32_e32 v37, 0xffff, v0
	v_and_b32_e32 v29, 0x7f, v37
	v_cmp_ne_u32_e64 s[4:5], s42, v29
	v_mov_b32_e32 v63, 0x7f800001
	s_and_saveexec_b64 s[36:37], s[4:5]
	s_cbranch_execz .LBB194_73
; %bb.72:                               ;   in Loop: Header=BB194_9 Depth=1
	v_and_b32_e32 v33, 7, v37
	v_lshrrev_b32_e32 v34, 3, v29
	v_cmp_gt_u32_e64 s[4:5], 8, v29
	v_ffbh_u32_e32 v29, v33
	v_min_u32_e32 v38, 32, v29
	v_subrev_u32_e32 v29, 28, v38
	v_lshlrev_b64 v[29:30], v29, v[37:38]
	v_sub_u32_e32 v30, 29, v38
	v_and_b32_e32 v29, 7, v29
	v_cndmask_b32_e64 v30, v34, v30, s[4:5]
	v_cndmask_b32_e64 v29, v33, v29, s[4:5]
	v_lshlrev_b32_e32 v0, 24, v0
	v_bfrev_b32_e32 v33, 60
	v_lshlrev_b32_e32 v29, 20, v29
	v_and_b32_e32 v0, 0x80000000, v0
	v_lshl_add_u32 v30, v30, 23, v33
	v_or3_b32 v63, v0, v30, v29
.LBB194_73:                             ;   in Loop: Header=BB194_9 Depth=1
	s_or_b64 exec, exec, s[36:37]
.LBB194_74:                             ;   in Loop: Header=BB194_9 Depth=1
	s_or_b64 exec, exec, s[34:35]
.LBB194_75:                             ;   in Loop: Header=BB194_9 Depth=1
	s_or_b64 exec, exec, s[16:17]
	global_load_ubyte v0, v[35:36], off offset:524
	v_mov_b32_e32 v38, 0
	v_mov_b32_e32 v42, 0
	s_waitcnt vmcnt(0)
	v_cmp_ne_u16_e64 s[4:5], 0, v0
	s_and_saveexec_b64 s[16:17], s[4:5]
	s_cbranch_execz .LBB194_81
; %bb.76:                               ;   in Loop: Header=BB194_9 Depth=1
	v_cmp_ne_u16_e64 s[4:5], s41, v0
	v_bfrev_b32_e32 v42, 1
	s_and_saveexec_b64 s[34:35], s[4:5]
	s_cbranch_execz .LBB194_80
; %bb.77:                               ;   in Loop: Header=BB194_9 Depth=1
	v_and_b32_e32 v37, 0xffff, v0
	v_and_b32_e32 v29, 0x7f, v37
	v_cmp_ne_u32_e64 s[4:5], s42, v29
	v_mov_b32_e32 v42, 0x7f800001
	s_and_saveexec_b64 s[36:37], s[4:5]
	s_cbranch_execz .LBB194_79
; %bb.78:                               ;   in Loop: Header=BB194_9 Depth=1
	v_and_b32_e32 v33, 7, v37
	v_lshrrev_b32_e32 v34, 3, v29
	v_cmp_gt_u32_e64 s[4:5], 8, v29
	v_ffbh_u32_e32 v29, v33
	v_min_u32_e32 v39, 32, v29
	v_subrev_u32_e32 v29, 28, v39
	v_lshlrev_b64 v[29:30], v29, v[37:38]
	v_sub_u32_e32 v30, 29, v39
	v_and_b32_e32 v29, 7, v29
	v_cndmask_b32_e64 v30, v34, v30, s[4:5]
	v_cndmask_b32_e64 v29, v33, v29, s[4:5]
	v_lshlrev_b32_e32 v0, 24, v0
	v_bfrev_b32_e32 v33, 60
	v_lshlrev_b32_e32 v29, 20, v29
	v_and_b32_e32 v0, 0x80000000, v0
	v_lshl_add_u32 v30, v30, 23, v33
	v_or3_b32 v42, v0, v30, v29
.LBB194_79:                             ;   in Loop: Header=BB194_9 Depth=1
	s_or_b64 exec, exec, s[36:37]
.LBB194_80:                             ;   in Loop: Header=BB194_9 Depth=1
	s_or_b64 exec, exec, s[34:35]
.LBB194_81:                             ;   in Loop: Header=BB194_9 Depth=1
	s_or_b64 exec, exec, s[16:17]
	global_load_ubyte v0, v[35:36], off offset:768
	s_waitcnt vmcnt(0)
	v_cmp_ne_u16_e64 s[4:5], 0, v0
	s_and_saveexec_b64 s[16:17], s[4:5]
	s_cbranch_execz .LBB194_87
; %bb.82:                               ;   in Loop: Header=BB194_9 Depth=1
	v_cmp_ne_u16_e64 s[4:5], s41, v0
	v_bfrev_b32_e32 v38, 1
	s_and_saveexec_b64 s[34:35], s[4:5]
	s_cbranch_execz .LBB194_86
; %bb.83:                               ;   in Loop: Header=BB194_9 Depth=1
	v_and_b32_e32 v37, 0xffff, v0
	v_and_b32_e32 v29, 0x7f, v37
	v_cmp_ne_u32_e64 s[4:5], s42, v29
	v_mov_b32_e32 v38, 0x7f800001
	s_and_saveexec_b64 s[36:37], s[4:5]
	s_cbranch_execz .LBB194_85
; %bb.84:                               ;   in Loop: Header=BB194_9 Depth=1
	v_and_b32_e32 v33, 7, v37
	v_lshrrev_b32_e32 v34, 3, v29
	v_cmp_gt_u32_e64 s[4:5], 8, v29
	v_ffbh_u32_e32 v29, v33
	v_min_u32_e32 v38, 32, v29
	v_subrev_u32_e32 v29, 28, v38
	v_lshlrev_b64 v[29:30], v29, v[37:38]
	v_sub_u32_e32 v30, 29, v38
	v_and_b32_e32 v29, 7, v29
	v_cndmask_b32_e64 v30, v34, v30, s[4:5]
	v_cndmask_b32_e64 v29, v33, v29, s[4:5]
	v_lshlrev_b32_e32 v0, 24, v0
	v_bfrev_b32_e32 v33, 60
	v_lshlrev_b32_e32 v29, 20, v29
	v_and_b32_e32 v0, 0x80000000, v0
	v_lshl_add_u32 v30, v30, 23, v33
	v_or3_b32 v38, v0, v30, v29
.LBB194_85:                             ;   in Loop: Header=BB194_9 Depth=1
	s_or_b64 exec, exec, s[36:37]
.LBB194_86:                             ;   in Loop: Header=BB194_9 Depth=1
	s_or_b64 exec, exec, s[34:35]
.LBB194_87:                             ;   in Loop: Header=BB194_9 Depth=1
	s_or_b64 exec, exec, s[16:17]
	global_load_ubyte v0, v[35:36], off offset:772
	v_mov_b32_e32 v45, 0
	v_mov_b32_e32 v46, 0
	s_waitcnt vmcnt(0)
	v_cmp_ne_u16_e64 s[4:5], 0, v0
	s_and_saveexec_b64 s[16:17], s[4:5]
	s_cbranch_execz .LBB194_93
; %bb.88:                               ;   in Loop: Header=BB194_9 Depth=1
	v_cmp_ne_u16_e64 s[4:5], s41, v0
	v_bfrev_b32_e32 v46, 1
	s_and_saveexec_b64 s[34:35], s[4:5]
	s_cbranch_execz .LBB194_92
; %bb.89:                               ;   in Loop: Header=BB194_9 Depth=1
	v_and_b32_e32 v37, 0xffff, v0
	v_and_b32_e32 v29, 0x7f, v37
	v_cmp_ne_u32_e64 s[4:5], s42, v29
	v_mov_b32_e32 v46, 0x7f800001
	s_and_saveexec_b64 s[36:37], s[4:5]
	s_cbranch_execz .LBB194_91
; %bb.90:                               ;   in Loop: Header=BB194_9 Depth=1
	v_and_b32_e32 v33, 7, v37
	v_lshrrev_b32_e32 v34, 3, v29
	v_cmp_gt_u32_e64 s[4:5], 8, v29
	v_ffbh_u32_e32 v29, v33
	v_min_u32_e32 v39, 32, v29
	v_subrev_u32_e32 v29, 28, v39
	v_lshlrev_b64 v[29:30], v29, v[37:38]
	v_sub_u32_e32 v30, 29, v39
	v_and_b32_e32 v29, 7, v29
	v_cndmask_b32_e64 v30, v34, v30, s[4:5]
	v_cndmask_b32_e64 v29, v33, v29, s[4:5]
	v_lshlrev_b32_e32 v0, 24, v0
	v_bfrev_b32_e32 v33, 60
	v_lshlrev_b32_e32 v29, 20, v29
	v_and_b32_e32 v0, 0x80000000, v0
	v_lshl_add_u32 v30, v30, 23, v33
	v_or3_b32 v46, v0, v30, v29
.LBB194_91:                             ;   in Loop: Header=BB194_9 Depth=1
	s_or_b64 exec, exec, s[36:37]
.LBB194_92:                             ;   in Loop: Header=BB194_9 Depth=1
	s_or_b64 exec, exec, s[34:35]
.LBB194_93:                             ;   in Loop: Header=BB194_9 Depth=1
	s_or_b64 exec, exec, s[16:17]
	global_load_ubyte v0, v[35:36], off offset:776
	s_waitcnt vmcnt(0)
	v_cmp_ne_u16_e64 s[4:5], 0, v0
	s_and_saveexec_b64 s[16:17], s[4:5]
	s_cbranch_execz .LBB194_99
; %bb.94:                               ;   in Loop: Header=BB194_9 Depth=1
	v_cmp_ne_u16_e64 s[4:5], s41, v0
	v_bfrev_b32_e32 v45, 1
	s_and_saveexec_b64 s[34:35], s[4:5]
	s_cbranch_execz .LBB194_98
; %bb.95:                               ;   in Loop: Header=BB194_9 Depth=1
	v_and_b32_e32 v37, 0xffff, v0
	v_and_b32_e32 v29, 0x7f, v37
	v_cmp_ne_u32_e64 s[4:5], s42, v29
	v_mov_b32_e32 v45, 0x7f800001
	s_and_saveexec_b64 s[36:37], s[4:5]
	s_cbranch_execz .LBB194_97
; %bb.96:                               ;   in Loop: Header=BB194_9 Depth=1
	v_and_b32_e32 v33, 7, v37
	v_lshrrev_b32_e32 v34, 3, v29
	v_cmp_gt_u32_e64 s[4:5], 8, v29
	v_ffbh_u32_e32 v29, v33
	v_min_u32_e32 v39, 32, v29
	v_subrev_u32_e32 v29, 28, v39
	v_lshlrev_b64 v[29:30], v29, v[37:38]
	v_sub_u32_e32 v30, 29, v39
	v_and_b32_e32 v29, 7, v29
	v_cndmask_b32_e64 v30, v34, v30, s[4:5]
	v_cndmask_b32_e64 v29, v33, v29, s[4:5]
	v_lshlrev_b32_e32 v0, 24, v0
	v_bfrev_b32_e32 v33, 60
	v_lshlrev_b32_e32 v29, 20, v29
	v_and_b32_e32 v0, 0x80000000, v0
	v_lshl_add_u32 v30, v30, 23, v33
	v_or3_b32 v45, v0, v30, v29
.LBB194_97:                             ;   in Loop: Header=BB194_9 Depth=1
	s_or_b64 exec, exec, s[36:37]
.LBB194_98:                             ;   in Loop: Header=BB194_9 Depth=1
	s_or_b64 exec, exec, s[34:35]
.LBB194_99:                             ;   in Loop: Header=BB194_9 Depth=1
	s_or_b64 exec, exec, s[16:17]
	global_load_ubyte v29, v[35:36], off offset:780
	v_mov_b32_e32 v0, 0
	v_mov_b32_e32 v39, 0
	s_waitcnt vmcnt(0)
	v_cmp_ne_u16_e64 s[4:5], 0, v29
	s_and_saveexec_b64 s[16:17], s[4:5]
	s_cbranch_execz .LBB194_105
; %bb.100:                              ;   in Loop: Header=BB194_9 Depth=1
	v_cmp_ne_u16_e64 s[4:5], s41, v29
	v_bfrev_b32_e32 v39, 1
	s_and_saveexec_b64 s[34:35], s[4:5]
	s_cbranch_execz .LBB194_104
; %bb.101:                              ;   in Loop: Header=BB194_9 Depth=1
	v_and_b32_e32 v37, 0xffff, v29
	v_and_b32_e32 v30, 0x7f, v37
	v_cmp_ne_u32_e64 s[4:5], s42, v30
	v_mov_b32_e32 v39, 0x7f800001
	s_and_saveexec_b64 s[36:37], s[4:5]
	s_cbranch_execz .LBB194_103
; %bb.102:                              ;   in Loop: Header=BB194_9 Depth=1
	v_and_b32_e32 v39, 7, v37
	v_lshrrev_b32_e32 v43, 3, v30
	v_cmp_gt_u32_e64 s[4:5], 8, v30
	v_ffbh_u32_e32 v30, v39
	v_min_u32_e32 v30, 32, v30
	v_subrev_u32_e32 v33, 28, v30
	v_lshlrev_b64 v[33:34], v33, v[37:38]
	v_sub_u32_e32 v30, 29, v30
	v_and_b32_e32 v33, 7, v33
	v_cndmask_b32_e64 v30, v43, v30, s[4:5]
	v_cndmask_b32_e64 v33, v39, v33, s[4:5]
	v_lshlrev_b32_e32 v29, 24, v29
	v_bfrev_b32_e32 v34, 60
	v_lshlrev_b32_e32 v33, 20, v33
	v_and_b32_e32 v29, 0x80000000, v29
	v_lshl_add_u32 v30, v30, 23, v34
	v_or3_b32 v39, v29, v30, v33
.LBB194_103:                            ;   in Loop: Header=BB194_9 Depth=1
	s_or_b64 exec, exec, s[36:37]
.LBB194_104:                            ;   in Loop: Header=BB194_9 Depth=1
	s_or_b64 exec, exec, s[34:35]
.LBB194_105:                            ;   in Loop: Header=BB194_9 Depth=1
	s_or_b64 exec, exec, s[16:17]
	global_load_ubyte v29, v[35:36], off offset:1024
	s_waitcnt vmcnt(0)
	v_cmp_ne_u16_e64 s[4:5], 0, v29
	s_and_saveexec_b64 s[16:17], s[4:5]
	s_cbranch_execz .LBB194_111
; %bb.106:                              ;   in Loop: Header=BB194_9 Depth=1
	v_cmp_ne_u16_e64 s[4:5], s41, v29
	v_bfrev_b32_e32 v0, 1
	s_and_saveexec_b64 s[34:35], s[4:5]
	s_cbranch_execz .LBB194_110
; %bb.107:                              ;   in Loop: Header=BB194_9 Depth=1
	v_and_b32_e32 v37, 0xffff, v29
	v_and_b32_e32 v30, 0x7f, v37
	v_cmp_ne_u32_e64 s[4:5], s42, v30
	v_mov_b32_e32 v0, 0x7f800001
	s_and_saveexec_b64 s[36:37], s[4:5]
	s_cbranch_execz .LBB194_109
; %bb.108:                              ;   in Loop: Header=BB194_9 Depth=1
	v_and_b32_e32 v0, 7, v37
	v_lshrrev_b32_e32 v43, 3, v30
	v_cmp_gt_u32_e64 s[4:5], 8, v30
	v_ffbh_u32_e32 v30, v0
	v_min_u32_e32 v30, 32, v30
	v_subrev_u32_e32 v33, 28, v30
	v_lshlrev_b64 v[33:34], v33, v[37:38]
	v_sub_u32_e32 v30, 29, v30
	v_and_b32_e32 v33, 7, v33
	v_cndmask_b32_e64 v30, v43, v30, s[4:5]
	v_cndmask_b32_e64 v0, v0, v33, s[4:5]
	v_lshlrev_b32_e32 v29, 24, v29
	v_bfrev_b32_e32 v33, 60
	v_lshlrev_b32_e32 v0, 20, v0
	v_and_b32_e32 v29, 0x80000000, v29
	v_lshl_add_u32 v30, v30, 23, v33
	v_or3_b32 v0, v29, v30, v0
.LBB194_109:                            ;   in Loop: Header=BB194_9 Depth=1
	s_or_b64 exec, exec, s[36:37]
.LBB194_110:                            ;   in Loop: Header=BB194_9 Depth=1
	s_or_b64 exec, exec, s[34:35]
.LBB194_111:                            ;   in Loop: Header=BB194_9 Depth=1
	s_or_b64 exec, exec, s[16:17]
	global_load_ubyte v29, v[35:36], off offset:1028
	v_mov_b32_e32 v44, 0
	v_mov_b32_e32 v43, 0
	s_waitcnt vmcnt(0)
	v_cmp_ne_u16_e64 s[4:5], 0, v29
	s_and_saveexec_b64 s[16:17], s[4:5]
	s_cbranch_execz .LBB194_117
; %bb.112:                              ;   in Loop: Header=BB194_9 Depth=1
	v_cmp_ne_u16_e64 s[4:5], s41, v29
	v_bfrev_b32_e32 v43, 1
	s_and_saveexec_b64 s[34:35], s[4:5]
	s_cbranch_execz .LBB194_116
; %bb.113:                              ;   in Loop: Header=BB194_9 Depth=1
	v_and_b32_e32 v37, 0xffff, v29
	v_and_b32_e32 v30, 0x7f, v37
	v_cmp_ne_u32_e64 s[4:5], s42, v30
	v_mov_b32_e32 v43, 0x7f800001
	s_and_saveexec_b64 s[36:37], s[4:5]
	s_cbranch_execz .LBB194_115
; %bb.114:                              ;   in Loop: Header=BB194_9 Depth=1
	v_and_b32_e32 v43, 7, v37
	v_lshrrev_b32_e32 v47, 3, v30
	v_cmp_gt_u32_e64 s[4:5], 8, v30
	v_ffbh_u32_e32 v30, v43
	v_min_u32_e32 v30, 32, v30
	v_subrev_u32_e32 v33, 28, v30
	v_lshlrev_b64 v[33:34], v33, v[37:38]
	v_sub_u32_e32 v30, 29, v30
	v_and_b32_e32 v33, 7, v33
	v_cndmask_b32_e64 v30, v47, v30, s[4:5]
	v_cndmask_b32_e64 v33, v43, v33, s[4:5]
	v_lshlrev_b32_e32 v29, 24, v29
	v_bfrev_b32_e32 v34, 60
	v_lshlrev_b32_e32 v33, 20, v33
	v_and_b32_e32 v29, 0x80000000, v29
	v_lshl_add_u32 v30, v30, 23, v34
	v_or3_b32 v43, v29, v30, v33
.LBB194_115:                            ;   in Loop: Header=BB194_9 Depth=1
	s_or_b64 exec, exec, s[36:37]
.LBB194_116:                            ;   in Loop: Header=BB194_9 Depth=1
	s_or_b64 exec, exec, s[34:35]
.LBB194_117:                            ;   in Loop: Header=BB194_9 Depth=1
	s_or_b64 exec, exec, s[16:17]
	global_load_ubyte v29, v[35:36], off offset:1032
	s_waitcnt vmcnt(0)
	v_cmp_ne_u16_e64 s[4:5], 0, v29
	s_and_saveexec_b64 s[16:17], s[4:5]
	s_cbranch_execz .LBB194_123
; %bb.118:                              ;   in Loop: Header=BB194_9 Depth=1
	v_cmp_ne_u16_e64 s[4:5], s41, v29
	v_bfrev_b32_e32 v44, 1
	s_and_saveexec_b64 s[34:35], s[4:5]
	s_cbranch_execz .LBB194_122
; %bb.119:                              ;   in Loop: Header=BB194_9 Depth=1
	v_and_b32_e32 v37, 0xffff, v29
	v_and_b32_e32 v30, 0x7f, v37
	v_cmp_ne_u32_e64 s[4:5], s42, v30
	v_mov_b32_e32 v44, 0x7f800001
	s_and_saveexec_b64 s[36:37], s[4:5]
	s_cbranch_execz .LBB194_121
; %bb.120:                              ;   in Loop: Header=BB194_9 Depth=1
	v_and_b32_e32 v44, 7, v37
	v_lshrrev_b32_e32 v47, 3, v30
	v_cmp_gt_u32_e64 s[4:5], 8, v30
	v_ffbh_u32_e32 v30, v44
	v_min_u32_e32 v30, 32, v30
	v_subrev_u32_e32 v33, 28, v30
	v_lshlrev_b64 v[33:34], v33, v[37:38]
	v_sub_u32_e32 v30, 29, v30
	v_and_b32_e32 v33, 7, v33
	v_cndmask_b32_e64 v30, v47, v30, s[4:5]
	v_cndmask_b32_e64 v33, v44, v33, s[4:5]
	v_lshlrev_b32_e32 v29, 24, v29
	v_bfrev_b32_e32 v34, 60
	v_lshlrev_b32_e32 v33, 20, v33
	v_and_b32_e32 v29, 0x80000000, v29
	v_lshl_add_u32 v30, v30, 23, v34
	v_or3_b32 v44, v29, v30, v33
.LBB194_121:                            ;   in Loop: Header=BB194_9 Depth=1
	s_or_b64 exec, exec, s[36:37]
.LBB194_122:                            ;   in Loop: Header=BB194_9 Depth=1
	s_or_b64 exec, exec, s[34:35]
.LBB194_123:                            ;   in Loop: Header=BB194_9 Depth=1
	s_or_b64 exec, exec, s[16:17]
	global_load_ubyte v29, v[35:36], off offset:1036
	v_mov_b32_e32 v48, 0
	v_mov_b32_e32 v49, 0
	s_waitcnt vmcnt(0)
	v_cmp_ne_u16_e64 s[4:5], 0, v29
	s_and_saveexec_b64 s[16:17], s[4:5]
	s_cbranch_execz .LBB194_129
; %bb.124:                              ;   in Loop: Header=BB194_9 Depth=1
	v_cmp_ne_u16_e64 s[4:5], s41, v29
	v_bfrev_b32_e32 v49, 1
	s_and_saveexec_b64 s[34:35], s[4:5]
	s_cbranch_execz .LBB194_128
; %bb.125:                              ;   in Loop: Header=BB194_9 Depth=1
	v_and_b32_e32 v37, 0xffff, v29
	v_and_b32_e32 v30, 0x7f, v37
	v_cmp_ne_u32_e64 s[4:5], s42, v30
	v_mov_b32_e32 v49, 0x7f800001
	s_and_saveexec_b64 s[36:37], s[4:5]
	s_cbranch_execz .LBB194_127
; %bb.126:                              ;   in Loop: Header=BB194_9 Depth=1
	v_and_b32_e32 v47, 7, v37
	v_lshrrev_b32_e32 v49, 3, v30
	v_cmp_gt_u32_e64 s[4:5], 8, v30
	v_ffbh_u32_e32 v30, v47
	v_min_u32_e32 v30, 32, v30
	v_subrev_u32_e32 v33, 28, v30
	v_lshlrev_b64 v[33:34], v33, v[37:38]
	v_sub_u32_e32 v30, 29, v30
	v_and_b32_e32 v33, 7, v33
	v_cndmask_b32_e64 v30, v49, v30, s[4:5]
	v_cndmask_b32_e64 v33, v47, v33, s[4:5]
	v_lshlrev_b32_e32 v29, 24, v29
	v_bfrev_b32_e32 v34, 60
	v_lshlrev_b32_e32 v33, 20, v33
	v_and_b32_e32 v29, 0x80000000, v29
	v_lshl_add_u32 v30, v30, 23, v34
	v_or3_b32 v49, v29, v30, v33
.LBB194_127:                            ;   in Loop: Header=BB194_9 Depth=1
	s_or_b64 exec, exec, s[36:37]
.LBB194_128:                            ;   in Loop: Header=BB194_9 Depth=1
	s_or_b64 exec, exec, s[34:35]
.LBB194_129:                            ;   in Loop: Header=BB194_9 Depth=1
	s_or_b64 exec, exec, s[16:17]
	global_load_ubyte v29, v[35:36], off offset:1280
	s_waitcnt vmcnt(0)
	v_cmp_ne_u16_e64 s[4:5], 0, v29
	s_and_saveexec_b64 s[16:17], s[4:5]
	s_cbranch_execz .LBB194_135
; %bb.130:                              ;   in Loop: Header=BB194_9 Depth=1
	v_cmp_ne_u16_e64 s[4:5], s41, v29
	v_bfrev_b32_e32 v48, 1
	s_and_saveexec_b64 s[34:35], s[4:5]
	s_cbranch_execz .LBB194_134
; %bb.131:                              ;   in Loop: Header=BB194_9 Depth=1
	v_and_b32_e32 v37, 0xffff, v29
	v_and_b32_e32 v30, 0x7f, v37
	v_cmp_ne_u32_e64 s[4:5], s42, v30
	v_mov_b32_e32 v48, 0x7f800001
	s_and_saveexec_b64 s[36:37], s[4:5]
	s_cbranch_execz .LBB194_133
; %bb.132:                              ;   in Loop: Header=BB194_9 Depth=1
	v_and_b32_e32 v47, 7, v37
	v_lshrrev_b32_e32 v48, 3, v30
	v_cmp_gt_u32_e64 s[4:5], 8, v30
	v_ffbh_u32_e32 v30, v47
	v_min_u32_e32 v30, 32, v30
	v_subrev_u32_e32 v33, 28, v30
	v_lshlrev_b64 v[33:34], v33, v[37:38]
	v_sub_u32_e32 v30, 29, v30
	v_and_b32_e32 v33, 7, v33
	v_cndmask_b32_e64 v30, v48, v30, s[4:5]
	v_cndmask_b32_e64 v33, v47, v33, s[4:5]
	v_lshlrev_b32_e32 v29, 24, v29
	v_bfrev_b32_e32 v34, 60
	v_lshlrev_b32_e32 v33, 20, v33
	v_and_b32_e32 v29, 0x80000000, v29
	v_lshl_add_u32 v30, v30, 23, v34
	v_or3_b32 v48, v29, v30, v33
.LBB194_133:                            ;   in Loop: Header=BB194_9 Depth=1
	s_or_b64 exec, exec, s[36:37]
.LBB194_134:                            ;   in Loop: Header=BB194_9 Depth=1
	s_or_b64 exec, exec, s[34:35]
.LBB194_135:                            ;   in Loop: Header=BB194_9 Depth=1
	s_or_b64 exec, exec, s[16:17]
	global_load_ubyte v33, v[35:36], off offset:1284
	v_mov_b32_e32 v29, 0
	v_mov_b32_e32 v30, 0
	s_waitcnt vmcnt(0)
	v_cmp_ne_u16_e64 s[4:5], 0, v33
	s_and_saveexec_b64 s[16:17], s[4:5]
	s_cbranch_execz .LBB194_141
; %bb.136:                              ;   in Loop: Header=BB194_9 Depth=1
	v_cmp_ne_u16_e64 s[4:5], s41, v33
	v_bfrev_b32_e32 v30, 1
	s_and_saveexec_b64 s[34:35], s[4:5]
	s_cbranch_execz .LBB194_140
; %bb.137:                              ;   in Loop: Header=BB194_9 Depth=1
	v_and_b32_e32 v37, 0xffff, v33
	v_and_b32_e32 v34, 0x7f, v37
	v_cmp_ne_u32_e64 s[4:5], s42, v34
	v_mov_b32_e32 v30, 0x7f800001
	s_and_saveexec_b64 s[36:37], s[4:5]
	s_cbranch_execz .LBB194_139
; %bb.138:                              ;   in Loop: Header=BB194_9 Depth=1
	v_and_b32_e32 v30, 7, v37
	v_lshrrev_b32_e32 v47, 3, v34
	v_cmp_gt_u32_e64 s[4:5], 8, v34
	v_ffbh_u32_e32 v34, v30
	v_min_u32_e32 v34, 32, v34
	v_subrev_u32_e32 v52, 28, v34
	v_lshlrev_b64 v[54:55], v52, v[37:38]
	v_sub_u32_e32 v34, 29, v34
	v_and_b32_e32 v37, 7, v54
	v_cndmask_b32_e64 v34, v47, v34, s[4:5]
	v_cndmask_b32_e64 v30, v30, v37, s[4:5]
	v_lshlrev_b32_e32 v33, 24, v33
	v_bfrev_b32_e32 v37, 60
	v_lshlrev_b32_e32 v30, 20, v30
	v_and_b32_e32 v33, 0x80000000, v33
	v_lshl_add_u32 v34, v34, 23, v37
	v_or3_b32 v30, v33, v34, v30
.LBB194_139:                            ;   in Loop: Header=BB194_9 Depth=1
	s_or_b64 exec, exec, s[36:37]
.LBB194_140:                            ;   in Loop: Header=BB194_9 Depth=1
	s_or_b64 exec, exec, s[34:35]
.LBB194_141:                            ;   in Loop: Header=BB194_9 Depth=1
	s_or_b64 exec, exec, s[16:17]
	global_load_ubyte v33, v[35:36], off offset:1288
	s_waitcnt vmcnt(0)
	v_cmp_ne_u16_e64 s[4:5], 0, v33
	s_and_saveexec_b64 s[16:17], s[4:5]
	s_cbranch_execz .LBB194_147
; %bb.142:                              ;   in Loop: Header=BB194_9 Depth=1
	v_cmp_ne_u16_e64 s[4:5], s41, v33
	v_bfrev_b32_e32 v29, 1
	s_and_saveexec_b64 s[34:35], s[4:5]
	s_cbranch_execz .LBB194_146
; %bb.143:                              ;   in Loop: Header=BB194_9 Depth=1
	v_and_b32_e32 v37, 0xffff, v33
	v_and_b32_e32 v34, 0x7f, v37
	v_cmp_ne_u32_e64 s[4:5], s42, v34
	v_mov_b32_e32 v29, 0x7f800001
	s_and_saveexec_b64 s[36:37], s[4:5]
	s_cbranch_execz .LBB194_145
; %bb.144:                              ;   in Loop: Header=BB194_9 Depth=1
	v_and_b32_e32 v29, 7, v37
	v_lshrrev_b32_e32 v47, 3, v34
	v_cmp_gt_u32_e64 s[4:5], 8, v34
	v_ffbh_u32_e32 v34, v29
	v_min_u32_e32 v34, 32, v34
	v_subrev_u32_e32 v52, 28, v34
	v_lshlrev_b64 v[54:55], v52, v[37:38]
	v_sub_u32_e32 v34, 29, v34
	v_and_b32_e32 v37, 7, v54
	v_cndmask_b32_e64 v34, v47, v34, s[4:5]
	v_cndmask_b32_e64 v29, v29, v37, s[4:5]
	v_lshlrev_b32_e32 v33, 24, v33
	v_bfrev_b32_e32 v37, 60
	v_lshlrev_b32_e32 v29, 20, v29
	v_and_b32_e32 v33, 0x80000000, v33
	v_lshl_add_u32 v34, v34, 23, v37
	v_or3_b32 v29, v33, v34, v29
.LBB194_145:                            ;   in Loop: Header=BB194_9 Depth=1
	s_or_b64 exec, exec, s[36:37]
.LBB194_146:                            ;   in Loop: Header=BB194_9 Depth=1
	s_or_b64 exec, exec, s[34:35]
.LBB194_147:                            ;   in Loop: Header=BB194_9 Depth=1
	s_or_b64 exec, exec, s[16:17]
	global_load_ubyte v33, v[35:36], off offset:1292
	v_mov_b32_e32 v47, 0
	v_mov_b32_e32 v52, 0
	s_waitcnt vmcnt(0)
	v_cmp_ne_u16_e64 s[4:5], 0, v33
	s_and_saveexec_b64 s[16:17], s[4:5]
	s_cbranch_execz .LBB194_153
; %bb.148:                              ;   in Loop: Header=BB194_9 Depth=1
	v_cmp_ne_u16_e64 s[4:5], s41, v33
	v_bfrev_b32_e32 v52, 1
	s_and_saveexec_b64 s[34:35], s[4:5]
	s_cbranch_execz .LBB194_152
; %bb.149:                              ;   in Loop: Header=BB194_9 Depth=1
	v_and_b32_e32 v37, 0xffff, v33
	v_and_b32_e32 v34, 0x7f, v37
	v_cmp_ne_u32_e64 s[4:5], s42, v34
	v_mov_b32_e32 v52, 0x7f800001
	s_and_saveexec_b64 s[36:37], s[4:5]
	s_cbranch_execz .LBB194_151
; %bb.150:                              ;   in Loop: Header=BB194_9 Depth=1
	v_and_b32_e32 v52, 7, v37
	v_lshrrev_b32_e32 v56, 3, v34
	v_cmp_gt_u32_e64 s[4:5], 8, v34
	v_ffbh_u32_e32 v34, v52
	v_min_u32_e32 v34, 32, v34
	v_subrev_u32_e32 v54, 28, v34
	v_lshlrev_b64 v[54:55], v54, v[37:38]
	v_sub_u32_e32 v34, 29, v34
	v_and_b32_e32 v37, 7, v54
	v_cndmask_b32_e64 v34, v56, v34, s[4:5]
	v_cndmask_b32_e64 v37, v52, v37, s[4:5]
	v_lshlrev_b32_e32 v33, 24, v33
	v_bfrev_b32_e32 v41, 60
	v_lshlrev_b32_e32 v37, 20, v37
	v_and_b32_e32 v33, 0x80000000, v33
	v_lshl_add_u32 v34, v34, 23, v41
	v_or3_b32 v52, v33, v34, v37
.LBB194_151:                            ;   in Loop: Header=BB194_9 Depth=1
	s_or_b64 exec, exec, s[36:37]
.LBB194_152:                            ;   in Loop: Header=BB194_9 Depth=1
	s_or_b64 exec, exec, s[34:35]
.LBB194_153:                            ;   in Loop: Header=BB194_9 Depth=1
	s_or_b64 exec, exec, s[16:17]
	global_load_ubyte v33, v[35:36], off offset:1536
	s_waitcnt vmcnt(0)
	v_cmp_ne_u16_e64 s[4:5], 0, v33
	s_and_saveexec_b64 s[16:17], s[4:5]
	s_cbranch_execz .LBB194_159
; %bb.154:                              ;   in Loop: Header=BB194_9 Depth=1
	v_cmp_ne_u16_e64 s[4:5], s41, v33
	v_bfrev_b32_e32 v47, 1
	s_and_saveexec_b64 s[34:35], s[4:5]
	s_cbranch_execz .LBB194_158
; %bb.155:                              ;   in Loop: Header=BB194_9 Depth=1
	v_and_b32_e32 v37, 0xffff, v33
	v_and_b32_e32 v34, 0x7f, v37
	v_cmp_ne_u32_e64 s[4:5], s42, v34
	v_mov_b32_e32 v47, 0x7f800001
	s_and_saveexec_b64 s[36:37], s[4:5]
	s_cbranch_execz .LBB194_157
; %bb.156:                              ;   in Loop: Header=BB194_9 Depth=1
	v_and_b32_e32 v47, 7, v37
	v_lshrrev_b32_e32 v56, 3, v34
	v_cmp_gt_u32_e64 s[4:5], 8, v34
	v_ffbh_u32_e32 v34, v47
	v_min_u32_e32 v34, 32, v34
	v_subrev_u32_e32 v54, 28, v34
	v_lshlrev_b64 v[54:55], v54, v[37:38]
	v_sub_u32_e32 v34, 29, v34
	v_and_b32_e32 v37, 7, v54
	v_cndmask_b32_e64 v34, v56, v34, s[4:5]
	v_cndmask_b32_e64 v37, v47, v37, s[4:5]
	v_lshlrev_b32_e32 v33, 24, v33
	v_bfrev_b32_e32 v41, 60
	v_lshlrev_b32_e32 v37, 20, v37
	v_and_b32_e32 v33, 0x80000000, v33
	v_lshl_add_u32 v34, v34, 23, v41
	v_or3_b32 v47, v33, v34, v37
.LBB194_157:                            ;   in Loop: Header=BB194_9 Depth=1
	s_or_b64 exec, exec, s[36:37]
.LBB194_158:                            ;   in Loop: Header=BB194_9 Depth=1
	s_or_b64 exec, exec, s[34:35]
.LBB194_159:                            ;   in Loop: Header=BB194_9 Depth=1
	s_or_b64 exec, exec, s[16:17]
	global_load_ubyte v54, v[35:36], off offset:1540
	v_mov_b32_e32 v33, 0
	v_mov_b32_e32 v34, 0
	s_waitcnt vmcnt(0)
	v_cmp_ne_u16_e64 s[4:5], 0, v54
	s_and_saveexec_b64 s[16:17], s[4:5]
	s_cbranch_execz .LBB194_165
; %bb.160:                              ;   in Loop: Header=BB194_9 Depth=1
	v_cmp_ne_u16_e64 s[4:5], s41, v54
	v_bfrev_b32_e32 v34, 1
	s_and_saveexec_b64 s[34:35], s[4:5]
	s_cbranch_execz .LBB194_164
; %bb.161:                              ;   in Loop: Header=BB194_9 Depth=1
	v_and_b32_e32 v37, 0xffff, v54
	v_and_b32_e32 v55, 0x7f, v37
	v_cmp_ne_u32_e64 s[4:5], s42, v55
	v_mov_b32_e32 v34, 0x7f800001
	s_and_saveexec_b64 s[36:37], s[4:5]
	s_cbranch_execz .LBB194_163
; %bb.162:                              ;   in Loop: Header=BB194_9 Depth=1
	v_and_b32_e32 v34, 7, v37
	v_mov_b32_e32 v60, v57
	v_lshrrev_b32_e32 v57, 3, v55
	v_cmp_gt_u32_e64 s[4:5], 8, v55
	v_ffbh_u32_e32 v55, v34
	v_mov_b32_e32 v41, v58
	v_min_u32_e32 v58, 32, v55
	v_subrev_u32_e32 v55, 28, v58
	v_lshlrev_b64 v[55:56], v55, v[37:38]
	v_sub_u32_e32 v37, 29, v58
	v_and_b32_e32 v55, 7, v55
	v_mov_b32_e32 v58, v41
	v_cndmask_b32_e64 v37, v57, v37, s[4:5]
	v_cndmask_b32_e64 v34, v34, v55, s[4:5]
	v_lshlrev_b32_e32 v54, 24, v54
	v_bfrev_b32_e32 v41, 60
	v_lshlrev_b32_e32 v34, 20, v34
	v_and_b32_e32 v54, 0x80000000, v54
	v_lshl_add_u32 v37, v37, 23, v41
	v_mov_b32_e32 v57, v60
	v_or3_b32 v34, v54, v37, v34
.LBB194_163:                            ;   in Loop: Header=BB194_9 Depth=1
	s_or_b64 exec, exec, s[36:37]
.LBB194_164:                            ;   in Loop: Header=BB194_9 Depth=1
	s_or_b64 exec, exec, s[34:35]
.LBB194_165:                            ;   in Loop: Header=BB194_9 Depth=1
	s_or_b64 exec, exec, s[16:17]
	global_load_ubyte v54, v[35:36], off offset:1544
	s_waitcnt vmcnt(0)
	v_cmp_ne_u16_e64 s[4:5], 0, v54
	s_and_saveexec_b64 s[16:17], s[4:5]
	s_cbranch_execz .LBB194_171
; %bb.166:                              ;   in Loop: Header=BB194_9 Depth=1
	v_cmp_ne_u16_e64 s[4:5], s41, v54
	v_bfrev_b32_e32 v33, 1
	s_and_saveexec_b64 s[34:35], s[4:5]
	s_cbranch_execz .LBB194_170
; %bb.167:                              ;   in Loop: Header=BB194_9 Depth=1
	v_and_b32_e32 v37, 0xffff, v54
	v_and_b32_e32 v55, 0x7f, v37
	v_cmp_ne_u32_e64 s[4:5], s42, v55
	v_mov_b32_e32 v33, 0x7f800001
	s_and_saveexec_b64 s[36:37], s[4:5]
	s_cbranch_execz .LBB194_169
; %bb.168:                              ;   in Loop: Header=BB194_9 Depth=1
	v_and_b32_e32 v33, 7, v37
	v_mov_b32_e32 v60, v57
	v_lshrrev_b32_e32 v57, 3, v55
	v_cmp_gt_u32_e64 s[4:5], 8, v55
	v_ffbh_u32_e32 v55, v33
	v_mov_b32_e32 v41, v58
	v_min_u32_e32 v58, 32, v55
	v_subrev_u32_e32 v55, 28, v58
	v_lshlrev_b64 v[55:56], v55, v[37:38]
	v_sub_u32_e32 v37, 29, v58
	v_and_b32_e32 v55, 7, v55
	v_mov_b32_e32 v58, v41
	v_cndmask_b32_e64 v37, v57, v37, s[4:5]
	v_cndmask_b32_e64 v33, v33, v55, s[4:5]
	v_lshlrev_b32_e32 v54, 24, v54
	v_bfrev_b32_e32 v41, 60
	v_lshlrev_b32_e32 v33, 20, v33
	v_and_b32_e32 v54, 0x80000000, v54
	v_lshl_add_u32 v37, v37, 23, v41
	v_mov_b32_e32 v57, v60
	v_or3_b32 v33, v54, v37, v33
.LBB194_169:                            ;   in Loop: Header=BB194_9 Depth=1
	s_or_b64 exec, exec, s[36:37]
.LBB194_170:                            ;   in Loop: Header=BB194_9 Depth=1
	s_or_b64 exec, exec, s[34:35]
.LBB194_171:                            ;   in Loop: Header=BB194_9 Depth=1
	s_or_b64 exec, exec, s[16:17]
	global_load_ubyte v56, v[35:36], off offset:1548
	v_mov_b32_e32 v54, 0
	v_mov_b32_e32 v55, 0
	s_waitcnt vmcnt(0)
	v_cmp_ne_u16_e64 s[4:5], 0, v56
	s_and_saveexec_b64 s[16:17], s[4:5]
	s_cbranch_execz .LBB194_177
; %bb.172:                              ;   in Loop: Header=BB194_9 Depth=1
	v_cmp_ne_u16_e64 s[4:5], s41, v56
	v_bfrev_b32_e32 v55, 1
	s_and_saveexec_b64 s[34:35], s[4:5]
	s_cbranch_execz .LBB194_176
; %bb.173:                              ;   in Loop: Header=BB194_9 Depth=1
	v_and_b32_e32 v37, 0xffff, v56
	v_mov_b32_e32 v60, v57
	v_and_b32_e32 v57, 0x7f, v37
	v_cmp_ne_u32_e64 s[4:5], s42, v57
	v_mov_b32_e32 v55, 0x7f800001
	s_and_saveexec_b64 s[36:37], s[4:5]
	s_cbranch_execz .LBB194_175
; %bb.174:                              ;   in Loop: Header=BB194_9 Depth=1
	v_and_b32_e32 v55, 7, v37
	v_lshrrev_b32_e32 v41, 3, v57
	v_cmp_gt_u32_e64 s[4:5], 8, v57
	v_ffbh_u32_e32 v57, v55
	v_mov_b32_e32 v1, v59
	v_min_u32_e32 v59, 32, v57
	v_subrev_u32_e32 v57, 28, v59
	v_mov_b32_e32 v2, v58
	v_lshlrev_b64 v[57:58], v57, v[37:38]
	v_sub_u32_e32 v37, 29, v59
	v_and_b32_e32 v57, 7, v57
	v_cndmask_b32_e64 v37, v41, v37, s[4:5]
	v_cndmask_b32_e64 v41, v55, v57, s[4:5]
	v_lshlrev_b32_e32 v55, 24, v56
	v_bfrev_b32_e32 v56, 60
	v_lshlrev_b32_e32 v41, 20, v41
	v_and_b32_e32 v55, 0x80000000, v55
	v_lshl_add_u32 v37, v37, 23, v56
	v_mov_b32_e32 v58, v2
	v_mov_b32_e32 v59, v1
	v_or3_b32 v55, v55, v37, v41
.LBB194_175:                            ;   in Loop: Header=BB194_9 Depth=1
	s_or_b64 exec, exec, s[36:37]
	v_mov_b32_e32 v57, v60
.LBB194_176:                            ;   in Loop: Header=BB194_9 Depth=1
	s_or_b64 exec, exec, s[34:35]
.LBB194_177:                            ;   in Loop: Header=BB194_9 Depth=1
	s_or_b64 exec, exec, s[16:17]
	global_load_ubyte v56, v[35:36], off offset:1792
	s_waitcnt vmcnt(0)
	v_cmp_ne_u16_e64 s[4:5], 0, v56
	s_and_saveexec_b64 s[16:17], s[4:5]
	s_cbranch_execz .LBB194_183
; %bb.178:                              ;   in Loop: Header=BB194_9 Depth=1
	v_cmp_ne_u16_e64 s[4:5], s41, v56
	v_bfrev_b32_e32 v54, 1
	s_and_saveexec_b64 s[34:35], s[4:5]
	s_cbranch_execz .LBB194_182
; %bb.179:                              ;   in Loop: Header=BB194_9 Depth=1
	v_and_b32_e32 v37, 0xffff, v56
	v_mov_b32_e32 v60, v57
	v_and_b32_e32 v57, 0x7f, v37
	v_cmp_ne_u32_e64 s[4:5], s42, v57
	v_mov_b32_e32 v54, 0x7f800001
	s_and_saveexec_b64 s[36:37], s[4:5]
	s_cbranch_execz .LBB194_181
; %bb.180:                              ;   in Loop: Header=BB194_9 Depth=1
	v_and_b32_e32 v41, 7, v37
	v_lshrrev_b32_e32 v54, 3, v57
	v_cmp_gt_u32_e64 s[4:5], 8, v57
	v_ffbh_u32_e32 v57, v41
	v_mov_b32_e32 v1, v59
	v_min_u32_e32 v59, 32, v57
	v_subrev_u32_e32 v57, 28, v59
	v_mov_b32_e32 v2, v58
	v_lshlrev_b64 v[57:58], v57, v[37:38]
	v_sub_u32_e32 v37, 29, v59
	v_and_b32_e32 v57, 7, v57
	v_cndmask_b32_e64 v37, v54, v37, s[4:5]
	v_cndmask_b32_e64 v41, v41, v57, s[4:5]
	v_lshlrev_b32_e32 v54, 24, v56
	v_bfrev_b32_e32 v56, 60
	v_lshlrev_b32_e32 v41, 20, v41
	v_and_b32_e32 v54, 0x80000000, v54
	v_lshl_add_u32 v37, v37, 23, v56
	v_mov_b32_e32 v58, v2
	v_mov_b32_e32 v59, v1
	v_or3_b32 v54, v54, v37, v41
.LBB194_181:                            ;   in Loop: Header=BB194_9 Depth=1
	s_or_b64 exec, exec, s[36:37]
	v_mov_b32_e32 v57, v60
.LBB194_182:                            ;   in Loop: Header=BB194_9 Depth=1
	s_or_b64 exec, exec, s[34:35]
.LBB194_183:                            ;   in Loop: Header=BB194_9 Depth=1
	s_or_b64 exec, exec, s[16:17]
	global_load_ubyte v36, v[35:36], off offset:1796
	v_mov_b32_e32 v60, v59
	v_mov_b32_e32 v37, 0
	s_waitcnt vmcnt(0)
	v_cmp_ne_u16_e64 s[4:5], 0, v36
	s_and_saveexec_b64 s[16:17], s[4:5]
	s_cbranch_execz .LBB194_189
; %bb.184:                              ;   in Loop: Header=BB194_9 Depth=1
	v_cmp_ne_u16_e64 s[4:5], s41, v36
	v_bfrev_b32_e32 v37, 1
	s_and_saveexec_b64 s[34:35], s[4:5]
	s_cbranch_execz .LBB194_188
; %bb.185:                              ;   in Loop: Header=BB194_9 Depth=1
	v_and_b32_e32 v35, 0xffff, v36
	v_and_b32_e32 v56, 0x7f, v35
	v_cmp_ne_u32_e64 s[4:5], s42, v56
	v_mov_b32_e32 v37, 0x7f800001
	s_and_saveexec_b64 s[36:37], s[4:5]
	s_cbranch_execz .LBB194_187
; %bb.186:                              ;   in Loop: Header=BB194_9 Depth=1
	v_and_b32_e32 v37, 7, v35
	s_waitcnt lgkmcnt(1)
	v_mov_b32_e32 v26, v24
	v_lshrrev_b32_e32 v41, 3, v56
	v_cmp_gt_u32_e64 s[4:5], 8, v56
	v_ffbh_u32_e32 v56, v37
	v_mov_b32_e32 v25, v23
	v_mov_b32_e32 v24, v22
	;; [unrolled: 1-line block ×5, first 2 shown]
	v_min_u32_e32 v58, 32, v56
	v_mov_b32_e32 v21, v19
	v_mov_b32_e32 v20, v18
	;; [unrolled: 1-line block ×4, first 2 shown]
	v_subrev_u32_e32 v56, 28, v58
	v_mov_b32_e32 v27, v61
	v_mov_b32_e32 v61, v3
	s_waitcnt lgkmcnt(0)
	v_mov_b32_e32 v1, v5
	v_mov_b32_e32 v17, v15
	;; [unrolled: 1-line block ×11, first 2 shown]
	v_lshlrev_b64 v[5:6], v56, v[35:36]
	v_mov_b32_e32 v9, v11
	v_sub_u32_e32 v35, 29, v58
	v_and_b32_e32 v56, 7, v5
	v_mov_b32_e32 v10, v12
	v_mov_b32_e32 v11, v13
	;; [unrolled: 1-line block ×8, first 2 shown]
	v_cndmask_b32_e64 v35, v41, v35, s[4:5]
	v_cndmask_b32_e64 v37, v37, v56, s[4:5]
	v_lshlrev_b32_e32 v36, 24, v36
	v_bfrev_b32_e32 v41, 60
	v_mov_b32_e32 v18, v20
	v_mov_b32_e32 v19, v21
	;; [unrolled: 1-line block ×5, first 2 shown]
	v_lshlrev_b32_e32 v37, 20, v37
	v_and_b32_e32 v36, 0x80000000, v36
	v_lshl_add_u32 v35, v35, 23, v41
	v_mov_b32_e32 v58, v59
	v_mov_b32_e32 v22, v24
	;; [unrolled: 1-line block ×9, first 2 shown]
	v_or3_b32 v37, v36, v35, v37
.LBB194_187:                            ;   in Loop: Header=BB194_9 Depth=1
	s_or_b64 exec, exec, s[36:37]
.LBB194_188:                            ;   in Loop: Header=BB194_9 Depth=1
	s_or_b64 exec, exec, s[34:35]
.LBB194_189:                            ;   in Loop: Header=BB194_9 Depth=1
	s_or_b64 exec, exec, s[16:17]
	buffer_load_dword v36, off, s[44:47], 0 ; 4-byte Folded Reload
	buffer_load_dword v25, off, s[44:47], 0 offset:60 ; 4-byte Folded Reload
	buffer_load_dword v26, off, s[44:47], 0 offset:64 ; 4-byte Folded Reload
	;; [unrolled: 1-line block ×4, first 2 shown]
	v_mul_f32_e32 v35, s39, v58
	v_mul_f32_e32 v60, s39, v60
	;; [unrolled: 1-line block ×25, first 2 shown]
	buffer_load_dword v59, off, s[44:47], 0 offset:12 ; 4-byte Folded Reload
	s_waitcnt vmcnt(3)
	v_mul_f32_e32 v35, v26, v35
	v_mul_f32_e32 v36, s39, v36
	v_fmac_f32_e32 v35, v25, v36
	buffer_load_dword v36, off, s[44:47], 0 offset:8 ; 4-byte Folded Reload
	s_waitcnt vmcnt(1)
	v_mul_f32_e32 v59, s39, v59
	s_waitcnt vmcnt(0)
	v_mul_f32_e32 v36, s39, v36
	v_fmac_f32_e32 v35, v27, v36
	v_fmac_f32_e32 v35, v28, v60
	s_waitcnt lgkmcnt(4)
	v_fmac_f32_e32 v35, v9, v59
	v_fmac_f32_e32 v35, v10, v58
	v_fmac_f32_e32 v35, v11, v57
	v_fmac_f32_e32 v35, v12, v56
	s_waitcnt lgkmcnt(3)
	v_fmac_f32_e32 v35, v13, v55
	v_mul_f32_e32 v36, s39, v54
	v_mul_f32_e32 v54, s39, v63
	v_fmac_f32_e32 v35, v14, v40
	v_fmac_f32_e32 v35, v15, v54
	v_fmac_f32_e32 v35, v16, v42
	s_waitcnt lgkmcnt(2)
	v_fmac_f32_e32 v35, v17, v38
	v_fmac_f32_e32 v35, v18, v46
	v_fmac_f32_e32 v35, v19, v45
	v_fmac_f32_e32 v35, v20, v39
	s_waitcnt lgkmcnt(1)
	v_fmac_f32_e32 v35, v21, v0
	v_fmac_f32_e32 v35, v22, v43
	;; [unrolled: 1-line block ×3, first 2 shown]
	buffer_load_dword v0, off, s[44:47], 0 offset:44 ; 4-byte Folded Reload
	buffer_load_dword v1, off, s[44:47], 0 offset:48 ; 4-byte Folded Reload
	;; [unrolled: 1-line block ×4, first 2 shown]
	v_fmac_f32_e32 v35, v24, v49
	s_waitcnt lgkmcnt(0)
	v_fmac_f32_e32 v35, v5, v48
	v_fmac_f32_e32 v35, v6, v30
	;; [unrolled: 1-line block ×3, first 2 shown]
	buffer_load_dword v29, off, s[44:47], 0 offset:36 ; 4-byte Folded Reload
	buffer_load_dword v30, off, s[44:47], 0 offset:40 ; 4-byte Folded Reload
	v_fmac_f32_e32 v35, v8, v52
	s_waitcnt vmcnt(5)
	v_fmac_f32_e32 v35, v0, v47
	buffer_load_dword v0, off, s[44:47], 0 offset:20 ; 4-byte Folded Reload
	s_waitcnt vmcnt(5)
	v_fmac_f32_e32 v35, v1, v34
	s_waitcnt vmcnt(4)
	v_fmac_f32_e32 v35, v2, v33
	;; [unrolled: 2-line block ×4, first 2 shown]
	buffer_load_dword v29, off, s[44:47], 0 offset:24 ; 4-byte Folded Reload
	s_waitcnt vmcnt(2)
	v_fmac_f32_e32 v35, v30, v37
	s_waitcnt vmcnt(1)
	ds_bpermute_b32 v0, v0, v35
	s_waitcnt lgkmcnt(0)
	v_add_f32_e32 v0, v35, v0
	s_waitcnt vmcnt(0)
	ds_bpermute_b32 v29, v29, v0
	s_and_saveexec_b64 s[16:17], vcc
	s_cbranch_execz .LBB194_8
; %bb.190:                              ;   in Loop: Header=BB194_9 Depth=1
	buffer_load_dword v33, off, s[44:47], 0 offset:16 ; 4-byte Folded Reload
	v_add_u32_e32 v30, s40, v50
	v_cvt_f32_i32_e32 v30, v30
	s_waitcnt lgkmcnt(0)
	v_add_f32_e32 v0, v0, v29
	v_cmp_gt_i32_e64 s[4:5], s30, v50
	v_mul_f32_e32 v30, s33, v30
	v_cndmask_b32_e64 v30, 0, v30, s[2:3]
	v_fmac_f32_e32 v30, s31, v0
	v_cndmask_b32_e64 v0, 0, v30, s[4:5]
	ds_write_b32 v51, v0
	s_waitcnt vmcnt(0)
	v_max_f32_e32 v29, v33, v33
	v_max_f32_e32 v0, v29, v30
	v_cndmask_b32_e64 v33, v33, v0, s[4:5]
	buffer_store_dword v33, off, s[44:47], 0 offset:16 ; 4-byte Folded Spill
	s_branch .LBB194_8
.LBB194_191:
	s_or_b64 exec, exec, s[14:15]
	buffer_load_dword v12, off, s[44:47], 0 offset:80 ; 4-byte Folded Reload
	buffer_load_dword v53, off, s[44:47], 0 offset:84 ; 4-byte Folded Reload
	;; [unrolled: 1-line block ×7, first 2 shown]
	s_waitcnt vmcnt(1)
	v_add_u32_e32 v17, 64, v9
.LBB194_192:
	s_or_b64 exec, exec, s[6:7]
	v_xor_b32_e32 v0, 32, v15
	v_cmp_lt_i32_e32 vcc, v0, v17
	v_cndmask_b32_e32 v0, v15, v0, vcc
	v_lshlrev_b32_e32 v1, 2, v0
	s_waitcnt vmcnt(0)
	ds_bpermute_b32 v0, v1, v2
	v_xor_b32_e32 v3, 16, v15
	v_max_f32_e32 v2, v2, v2
	v_cmp_lt_i32_e32 vcc, v3, v17
	v_xor_b32_e32 v4, 8, v15
	s_waitcnt lgkmcnt(0)
	v_max_f32_e32 v0, v0, v0
	v_max_f32_e32 v0, v2, v0
	v_cndmask_b32_e32 v2, v15, v3, vcc
	v_lshlrev_b32_e32 v2, 2, v2
	ds_bpermute_b32 v3, v2, v0
	v_cmp_lt_i32_e32 vcc, v4, v17
	v_xor_b32_e32 v6, 4, v15
	s_waitcnt lgkmcnt(0)
	v_max_f32_e32 v3, v3, v3
	v_max_f32_e32 v0, v0, v3
	v_cndmask_b32_e32 v3, v15, v4, vcc
	v_lshlrev_b32_e32 v5, 2, v3
	ds_bpermute_b32 v3, v5, v0
	v_cmp_lt_i32_e32 vcc, v6, v17
	s_waitcnt lgkmcnt(0)
	v_max_f32_e32 v3, v3, v3
	v_max_f32_e32 v4, v0, v3
	v_cndmask_b32_e32 v0, v15, v6, vcc
	v_lshlrev_b32_e32 v6, 2, v0
	ds_bpermute_b32 v7, v6, v4
	v_and_b32_e32 v0, 63, v12
	v_cmp_eq_u32_e32 vcc, 0, v0
	v_lshlrev_b32_e32 v3, 2, v53
	s_and_saveexec_b64 s[2:3], vcc
	s_cbranch_execz .LBB194_194
; %bb.193:
	s_waitcnt lgkmcnt(0)
	v_max_f32_e32 v7, v7, v7
	v_max_f32_e32 v4, v4, v4
	;; [unrolled: 1-line block ×3, first 2 shown]
	ds_write_b32 v3, v4 offset:480
.LBB194_194:
	s_or_b64 exec, exec, s[2:3]
	v_cmp_gt_u32_e64 s[2:3], 2, v0
	s_waitcnt lgkmcnt(0)
	v_mov_b32_e32 v7, 0xff7fffff
	v_lshlrev_b32_e32 v4, 2, v0
	s_barrier
	s_and_saveexec_b64 s[4:5], s[2:3]
; %bb.195:
	ds_read_b32 v7, v4 offset:480
; %bb.196:
	s_or_b64 exec, exec, s[4:5]
	v_xor_b32_e32 v8, 1, v15
	v_cmp_lt_i32_e64 s[4:5], v8, v17
	v_cndmask_b32_e64 v8, v15, v8, s[4:5]
	v_lshlrev_b32_e32 v14, 2, v8
	s_waitcnt lgkmcnt(0)
	ds_bpermute_b32 v8, v14, v7
	v_max_f32_e32 v7, v7, v7
	s_lshl_b32 s4, s21, 4
	s_min_i32 s31, s4, s30
	v_cmp_gt_i32_e64 s[4:5], s31, v12
	s_waitcnt lgkmcnt(0)
	v_max_f32_e32 v8, v8, v8
	v_max_f32_e32 v7, v7, v8
	v_lshlrev_b32_e32 v8, 2, v9
	ds_bpermute_b32 v8, v8, v7
	v_mov_b32_e32 v7, 0
	s_and_saveexec_b64 s[14:15], s[4:5]
	s_cbranch_execz .LBB194_200
; %bb.197:
	v_mov_b32_e32 v7, 0x1f0
	v_lshl_add_u32 v9, v12, 2, v7
	v_mov_b32_e32 v7, 0
	s_mov_b64 s[16:17], 0
	v_mov_b32_e32 v10, v12
.LBB194_198:                            ; =>This Inner Loop Header: Depth=1
	ds_read_b32 v11, v9
	v_add_u32_e32 v10, 0x80, v10
	v_cmp_le_i32_e64 s[6:7], s31, v10
	s_or_b64 s[16:17], s[6:7], s[16:17]
	s_waitcnt lgkmcnt(0)
	v_sub_f32_e32 v11, v11, v8
	v_mul_f32_e32 v11, 0x3fb8aa3b, v11
	v_exp_f32_e32 v11, v11
	ds_write_b32 v9, v11
	v_add_f32_e32 v7, v7, v11
	v_add_u32_e32 v9, 0x200, v9
	s_andn2_b64 exec, exec, s[16:17]
	s_cbranch_execnz .LBB194_198
; %bb.199:
	s_or_b64 exec, exec, s[16:17]
.LBB194_200:
	s_or_b64 exec, exec, s[14:15]
	ds_bpermute_b32 v1, v1, v7
	s_waitcnt lgkmcnt(0)
	v_add_f32_e32 v1, v7, v1
	ds_bpermute_b32 v2, v2, v1
	s_waitcnt lgkmcnt(0)
	v_add_f32_e32 v1, v1, v2
	ds_bpermute_b32 v2, v5, v1
	v_xor_b32_e32 v5, 2, v15
	v_cmp_lt_i32_e64 s[6:7], v5, v17
	v_cndmask_b32_e64 v5, v15, v5, s[6:7]
	v_lshlrev_b32_e32 v9, 2, v5
	s_waitcnt lgkmcnt(0)
	v_add_f32_e32 v1, v1, v2
	ds_bpermute_b32 v2, v6, v1
	s_waitcnt lgkmcnt(0)
	v_add_f32_e32 v1, v1, v2
	ds_bpermute_b32 v2, v9, v1
	;; [unrolled: 3-line block ×3, first 2 shown]
	s_waitcnt lgkmcnt(0)
	v_add_f32_e32 v1, v1, v2
	s_and_saveexec_b64 s[6:7], vcc
; %bb.201:
	ds_write_b32 v3, v1 offset:488
; %bb.202:
	s_or_b64 exec, exec, s[6:7]
	s_waitcnt lgkmcnt(0)
	s_barrier
	s_and_saveexec_b64 s[6:7], s[2:3]
; %bb.203:
	ds_read_b32 v1, v4 offset:488
; %bb.204:
	s_or_b64 exec, exec, s[6:7]
	s_waitcnt lgkmcnt(0)
	ds_bpermute_b32 v2, v14, v1
	v_lshlrev_b32_e32 v3, 2, v15
	s_waitcnt lgkmcnt(0)
	v_add_f32_e32 v1, v1, v2
	v_and_b32_e32 v2, 0xffffff00, v3
	ds_bpermute_b32 v1, v2, v1
	s_and_saveexec_b64 s[2:3], s[4:5]
	s_cbranch_execz .LBB194_207
; %bb.205:
	s_waitcnt lgkmcnt(0)
	v_add_f32_e32 v2, 0x358637bd, v1
	v_div_scale_f32 v1, s[4:5], v2, v2, 1.0
	v_div_scale_f32 v3, vcc, 1.0, v2, 1.0
	s_mov_b64 s[4:5], 0
	v_rcp_f32_e32 v4, v1
	v_fma_f32 v5, -v1, v4, 1.0
	v_fmac_f32_e32 v4, v5, v4
	v_mul_f32_e32 v5, v3, v4
	v_fma_f32 v6, -v1, v5, v3
	v_fmac_f32_e32 v5, v6, v4
	v_fma_f32 v1, -v1, v5, v3
	v_div_fmas_f32 v3, v1, v4, v5
	v_mov_b32_e32 v1, 0x1f0
	v_lshl_add_u32 v1, v12, 2, v1
	v_div_fixup_f32 v2, v3, v2, 1.0
.LBB194_206:                            ; =>This Inner Loop Header: Depth=1
	ds_read_b32 v4, v1
	v_add_u32_e32 v12, 0x80, v12
	v_cmp_le_i32_e32 vcc, s31, v12
	s_or_b64 s[4:5], vcc, s[4:5]
	s_waitcnt lgkmcnt(0)
	v_mul_f32_e32 v4, v2, v4
	ds_write_b32 v1, v4
	v_add_u32_e32 v1, 0x200, v1
	s_andn2_b64 exec, exec, s[4:5]
	s_cbranch_execnz .LBB194_206
.LBB194_207:
	s_or_b64 exec, exec, s[2:3]
	v_lshrrev_b32_e32 v15, 2, v0
	s_waitcnt lgkmcnt(0)
	s_barrier
	s_and_saveexec_b64 s[2:3], s[0:1]
	s_xor_b64 s[0:1], exec, s[2:3]
; %bb.208:
	v_lshrrev_b32_e32 v15, 2, v0
                                        ; implicit-def: $vgpr53
                                        ; implicit-def: $vgpr13
                                        ; implicit-def: $vgpr16
; %bb.209:
	s_or_saveexec_b64 s[4:5], s[0:1]
	v_mov_b32_e32 v35, 0
	v_mov_b32_e32 v36, 0
	;; [unrolled: 1-line block ×8, first 2 shown]
	s_xor_b64 exec, exec, s[4:5]
	s_cbranch_execz .LBB194_423
; %bb.210:
	s_ashr_i32 s0, s12, 31
	s_add_u32 s2, s28, s12
	v_and_b32_e32 v0, 12, v13
	s_addc_u32 s3, s29, s0
	v_or_b32_e32 v1, 0x70, v15
	s_movk_i32 s0, 0x78
	buffer_store_dword v9, off, s[44:47], 0 offset:20 ; 4-byte Folded Spill
	buffer_store_dword v14, off, s[44:47], 0 offset:16 ; 4-byte Folded Spill
	v_cmp_gt_u32_e32 vcc, s0, v1
	v_lshl_or_b32 v46, v1, 4, v0
	v_lshlrev_b32_e32 v1, 4, v53
	v_lshl_or_b32 v41, v15, 4, v0
	v_or3_b32 v43, v1, v0, 3
	buffer_load_dword v0, off, s[44:47], 0 offset:76 ; 4-byte Folded Reload
	s_load_dword s28, s[18:19], 0x0
	s_add_i32 s29, s21, -1
	s_lshl_b64 s[0:1], s[26:27], 2
	s_add_u32 s0, s24, s0
	s_addc_u32 s1, s25, s1
	v_mov_b32_e32 v1, s1
	v_mov_b32_e32 v5, 0
	s_mov_b32 s31, s13
	s_waitcnt lgkmcnt(0)
	s_mov_b32 s33, s28
	s_mov_b64 s[6:7], 0
	s_movk_i32 s24, 0x80
	s_movk_i32 s25, 0x7f
	s_brev_b32 s26, 1
	s_mov_b32 s27, 0xffffff
	v_bfrev_b32_e32 v45, 60
	v_bfrev_b32_e32 v6, 1
	v_mov_b32_e32 v12, 0x7f800001
	v_mov_b32_e32 v30, v5
	;; [unrolled: 1-line block ×9, first 2 shown]
	buffer_store_dword v15, off, s[44:47], 0 offset:24 ; 4-byte Folded Spill
	s_waitcnt vmcnt(1)
	v_lshlrev_b32_e32 v0, 4, v0
	v_lshl_or_b32 v0, v53, 6, v0
	v_add_u32_e32 v44, 0x1f0, v0
	v_and_b32_e32 v0, 60, v16
	v_add_co_u32_e64 v7, s[0:1], s0, v0
	v_addc_co_u32_e64 v8, s[0:1], 0, v1, s[0:1]
	v_mov_b32_e32 v0, s2
	v_mov_b32_e32 v1, s3
	buffer_store_dword v0, off, s[44:47], 0 ; 4-byte Folded Spill
	s_nop 0
	buffer_store_dword v1, off, s[44:47], 0 offset:4 ; 4-byte Folded Spill
	buffer_store_dword v41, off, s[44:47], 0 offset:12 ; 4-byte Folded Spill
	;; [unrolled: 1-line block ×3, first 2 shown]
	s_branch .LBB194_213
.LBB194_211:                            ;   in Loop: Header=BB194_213 Depth=1
	s_or_b64 exec, exec, s[2:3]
	s_waitcnt lgkmcnt(0)
	v_mul_f32_e32 v9, v1, v15
	v_fmac_f32_e32 v9, v2, v11
	v_fmac_f32_e32 v9, v3, v14
	;; [unrolled: 1-line block ×3, first 2 shown]
	v_add_f32_e32 v30, v30, v9
.LBB194_212:                            ;   in Loop: Header=BB194_213 Depth=1
	s_or_b64 exec, exec, s[12:13]
	s_waitcnt lgkmcnt(0)
	v_mul_f32_e32 v9, v1, v26
	v_fmac_f32_e32 v9, v2, v27
	v_fmac_f32_e32 v9, v3, v23
	;; [unrolled: 1-line block ×3, first 2 shown]
	v_add_f32_e32 v29, v29, v9
	v_mul_f32_e32 v9, v1, v42
	v_fmac_f32_e32 v9, v2, v0
	v_mul_f32_e32 v0, v1, v47
	v_fmac_f32_e32 v0, v2, v38
	v_fmac_f32_e32 v0, v3, v39
	v_fmac_f32_e32 v0, v4, v28
	v_add_f32_e32 v32, v32, v0
	v_mul_f32_e32 v0, v1, v63
	v_fmac_f32_e32 v0, v2, v40
	v_fmac_f32_e32 v0, v3, v62
	v_fmac_f32_e32 v0, v4, v61
	v_add_f32_e32 v33, v33, v0
	;; [unrolled: 5-line block ×4, first 2 shown]
	v_mul_f32_e32 v0, v1, v51
	v_mov_b32_e32 v53, v37
	v_fmac_f32_e32 v0, v2, v48
	v_add_u32_e32 v53, 2, v53
	v_fmac_f32_e32 v9, v3, v25
	v_fmac_f32_e32 v0, v3, v50
	v_cmp_le_i32_e64 s[0:1], s21, v53
	v_fmac_f32_e32 v9, v4, v24
	v_fmac_f32_e32 v0, v4, v49
	s_or_b64 s[6:7], s[0:1], s[6:7]
	v_add_co_u32_e64 v7, s[0:1], 8, v7
	v_add_f32_e32 v31, v31, v9
	v_add_f32_e32 v35, v35, v0
	v_add_u32_e32 v43, 32, v43
	v_add_u32_e32 v44, 0x80, v44
	v_addc_co_u32_e64 v8, s[0:1], 0, v8, s[0:1]
	s_andn2_b64 exec, exec, s[6:7]
	s_cbranch_execz .LBB194_422
.LBB194_213:                            ; =>This Inner Loop Header: Depth=1
	global_load_dword v0, v[7:8], off
	buffer_load_dword v1, off, s[44:47], 0  ; 4-byte Folded Reload
	buffer_load_dword v2, off, s[44:47], 0 offset:4 ; 4-byte Folded Reload
	v_mov_b32_e32 v20, 0
	v_mov_b32_e32 v18, 0
	;; [unrolled: 1-line block ×4, first 2 shown]
	s_waitcnt vmcnt(0)
	v_mad_i64_i32 v[13:14], s[0:1], v0, s31, v[1:2]
	ds_read_b128 v[1:4], v44
	v_add_co_u32_e64 v15, s[0:1], v13, v41
	v_addc_co_u32_e64 v16, s[0:1], 0, v14, s[0:1]
	global_load_dword v17, v[15:16], off
	s_waitcnt vmcnt(0)
	v_cmp_ne_u16_sdwa s[0:1], v17, v5 src0_sel:BYTE_0 src1_sel:DWORD
	s_and_saveexec_b64 s[2:3], s[0:1]
	s_cbranch_execz .LBB194_219
; %bb.214:                              ;   in Loop: Header=BB194_213 Depth=1
	v_bfrev_b32_e32 v18, 1
	v_mov_b32_e32 v19, 0
	v_cmp_ne_u16_sdwa s[0:1], v17, s24 src0_sel:BYTE_0 src1_sel:DWORD
	s_and_saveexec_b64 s[12:13], s[0:1]
	s_cbranch_execz .LBB194_218
; %bb.215:                              ;   in Loop: Header=BB194_213 Depth=1
	v_and_b32_e32 v0, 0x7f, v17
	v_mov_b32_e32 v18, 0x7f800001
	v_mov_b32_e32 v19, 0
	v_cmp_ne_u32_e64 s[0:1], s25, v0
	s_and_saveexec_b64 s[14:15], s[0:1]
	s_cbranch_execz .LBB194_217
; %bb.216:                              ;   in Loop: Header=BB194_213 Depth=1
	v_and_b32_e32 v9, 7, v17
	v_ffbh_u32_e32 v11, v9
	v_min_u32_e32 v11, 32, v11
	v_subrev_u32_e32 v18, 28, v11
	v_lshlrev_b64 v[18:19], v18, v[17:18]
	v_lshrrev_b32_e32 v10, 3, v0
	v_sub_u32_e32 v11, 29, v11
	v_and_b32_e32 v18, 7, v18
	v_cmp_gt_u32_e64 s[0:1], 8, v0
	v_cndmask_b32_e64 v0, v10, v11, s[0:1]
	v_cndmask_b32_e64 v9, v9, v18, s[0:1]
	v_lshlrev_b32_e32 v9, 20, v9
	v_and_b32_sdwa v10, sext(v17), s26 dst_sel:DWORD dst_unused:UNUSED_PAD src0_sel:BYTE_0 src1_sel:DWORD
	v_lshl_add_u32 v0, v0, 23, v45
	v_or3_b32 v18, v10, v0, v9
	v_mov_b32_e32 v19, v5
.LBB194_217:                            ;   in Loop: Header=BB194_213 Depth=1
	s_or_b64 exec, exec, s[14:15]
.LBB194_218:                            ;   in Loop: Header=BB194_213 Depth=1
	s_or_b64 exec, exec, s[12:13]
.LBB194_219:                            ;   in Loop: Header=BB194_213 Depth=1
	s_or_b64 exec, exec, s[2:3]
	v_cmp_ne_u16_sdwa s[0:1], v17, v5 src0_sel:BYTE_1 src1_sel:DWORD
	s_and_saveexec_b64 s[2:3], s[0:1]
	s_cbranch_execz .LBB194_225
; %bb.220:                              ;   in Loop: Header=BB194_213 Depth=1
	v_mov_b32_e32 v21, v6
	v_cmp_ne_u16_sdwa s[0:1], v17, s24 src0_sel:BYTE_1 src1_sel:DWORD
	v_mov_b32_e32 v20, v5
	s_and_saveexec_b64 s[12:13], s[0:1]
	s_cbranch_execz .LBB194_224
; %bb.221:                              ;   in Loop: Header=BB194_213 Depth=1
	v_and_b32_sdwa v0, v17, s25 dst_sel:DWORD dst_unused:UNUSED_PAD src0_sel:BYTE_1 src1_sel:DWORD
	v_mov_b32_e32 v11, v5
	v_mov_b32_e32 v21, v12
	v_cmp_ne_u32_e64 s[0:1], s25, v0
	v_mov_b32_e32 v20, v11
	s_and_saveexec_b64 s[14:15], s[0:1]
	s_cbranch_execz .LBB194_223
; %bb.222:                              ;   in Loop: Header=BB194_213 Depth=1
	v_mov_b32_e32 v9, 7
	v_and_b32_sdwa v20, v17, v9 dst_sel:DWORD dst_unused:UNUSED_PAD src0_sel:BYTE_1 src1_sel:DWORD
	v_ffbh_u32_e32 v10, v20
	v_min_u32_e32 v10, 32, v10
	v_mov_b32_e32 v21, v5
	v_subrev_u32_e32 v11, 28, v10
	v_lshlrev_b64 v[21:22], v11, v[20:21]
	v_lshrrev_b32_e32 v9, 3, v0
	v_sub_u32_e32 v10, 29, v10
	v_cmp_gt_u32_e64 s[0:1], 8, v0
	v_and_b32_e32 v11, 7, v21
	v_cndmask_b32_e64 v0, v9, v10, s[0:1]
	v_cndmask_b32_e64 v9, v20, v11, s[0:1]
	v_lshlrev_b32_e32 v10, 16, v17
	v_lshl_add_u32 v0, v0, 23, v45
	v_and_or_b32 v0, v10, s26, v0
	v_lshlrev_b32_e32 v9, 20, v9
	v_or_b32_e32 v21, v0, v9
	v_mov_b32_e32 v20, v5
.LBB194_223:                            ;   in Loop: Header=BB194_213 Depth=1
	s_or_b64 exec, exec, s[14:15]
.LBB194_224:                            ;   in Loop: Header=BB194_213 Depth=1
	s_or_b64 exec, exec, s[12:13]
.LBB194_225:                            ;   in Loop: Header=BB194_213 Depth=1
	s_or_b64 exec, exec, s[2:3]
	v_lshrrev_b32_e32 v11, 16, v17
	v_mov_b32_e32 v24, 0
	v_mov_b32_e32 v22, 0
	;; [unrolled: 1-line block ×4, first 2 shown]
	v_cmp_ne_u16_sdwa s[0:1], v11, v5 src0_sel:BYTE_0 src1_sel:DWORD
	s_and_saveexec_b64 s[2:3], s[0:1]
	s_cbranch_execz .LBB194_231
; %bb.226:                              ;   in Loop: Header=BB194_213 Depth=1
	v_bfrev_b32_e32 v22, 1
	v_mov_b32_e32 v23, 0
	v_cmp_ne_u16_sdwa s[0:1], v11, s24 src0_sel:BYTE_0 src1_sel:DWORD
	s_and_saveexec_b64 s[12:13], s[0:1]
	s_cbranch_execz .LBB194_230
; %bb.227:                              ;   in Loop: Header=BB194_213 Depth=1
	v_bfe_u32 v0, v17, 16, 7
	v_mov_b32_e32 v22, 0x7f800001
	v_mov_b32_e32 v23, 0
	v_cmp_ne_u32_e64 s[0:1], s25, v0
	s_and_saveexec_b64 s[14:15], s[0:1]
	s_cbranch_execz .LBB194_229
; %bb.228:                              ;   in Loop: Header=BB194_213 Depth=1
	v_and_b32_e32 v9, 7, v11
	v_ffbh_u32_e32 v22, v9
	v_min_u32_e32 v26, 32, v22
	v_subrev_u32_e32 v22, 28, v26
	v_lshlrev_b64 v[22:23], v22, v[11:12]
	v_lshrrev_b32_e32 v10, 3, v0
	v_sub_u32_e32 v23, 29, v26
	v_and_b32_e32 v22, 7, v22
	v_cmp_gt_u32_e64 s[0:1], 8, v0
	v_cndmask_b32_e64 v0, v10, v23, s[0:1]
	v_cndmask_b32_e64 v9, v9, v22, s[0:1]
	v_lshlrev_b32_e32 v9, 20, v9
	v_and_b32_sdwa v10, sext(v11), s26 dst_sel:DWORD dst_unused:UNUSED_PAD src0_sel:BYTE_0 src1_sel:DWORD
	v_lshl_add_u32 v0, v0, 23, v45
	v_or3_b32 v22, v10, v0, v9
	v_mov_b32_e32 v23, v5
.LBB194_229:                            ;   in Loop: Header=BB194_213 Depth=1
	s_or_b64 exec, exec, s[14:15]
.LBB194_230:                            ;   in Loop: Header=BB194_213 Depth=1
	s_or_b64 exec, exec, s[12:13]
.LBB194_231:                            ;   in Loop: Header=BB194_213 Depth=1
	s_or_b64 exec, exec, s[2:3]
	v_cmp_lt_u32_e64 s[0:1], s27, v17
	s_and_saveexec_b64 s[2:3], s[0:1]
	s_cbranch_execz .LBB194_237
; %bb.232:                              ;   in Loop: Header=BB194_213 Depth=1
	v_mov_b32_e32 v25, v6
	v_cmp_ne_u32_sdwa s[0:1], v17, s24 src0_sel:BYTE_3 src1_sel:DWORD
	v_mov_b32_e32 v24, v5
	s_and_saveexec_b64 s[12:13], s[0:1]
	s_cbranch_execz .LBB194_236
; %bb.233:                              ;   in Loop: Header=BB194_213 Depth=1
	v_bfe_u32 v0, v17, 24, 7
	v_mov_b32_e32 v11, v5
	v_mov_b32_e32 v25, v12
	v_cmp_ne_u32_e64 s[0:1], s25, v0
	v_mov_b32_e32 v24, v11
	s_and_saveexec_b64 s[14:15], s[0:1]
	s_cbranch_execz .LBB194_235
; %bb.234:                              ;   in Loop: Header=BB194_213 Depth=1
	v_mov_b32_e32 v9, 7
	v_and_b32_sdwa v24, v17, v9 dst_sel:DWORD dst_unused:UNUSED_PAD src0_sel:BYTE_3 src1_sel:DWORD
	v_ffbh_u32_e32 v10, v24
	v_min_u32_e32 v10, 32, v10
	v_mov_b32_e32 v25, v5
	v_subrev_u32_e32 v11, 28, v10
	v_lshlrev_b64 v[25:26], v11, v[24:25]
	v_lshrrev_b32_e32 v9, 3, v0
	v_sub_u32_e32 v10, 29, v10
	v_cmp_gt_u32_e64 s[0:1], 8, v0
	v_and_b32_e32 v11, 7, v25
	v_cndmask_b32_e64 v0, v9, v10, s[0:1]
	v_mov_b32_e32 v10, 24
	v_cndmask_b32_e64 v9, v24, v11, s[0:1]
	v_lshlrev_b32_sdwa v10, v10, v17 dst_sel:DWORD dst_unused:UNUSED_PAD src0_sel:DWORD src1_sel:BYTE_3
	v_lshl_add_u32 v0, v0, 23, v45
	v_and_or_b32 v0, v10, s26, v0
	v_lshlrev_b32_e32 v9, 20, v9
	v_or_b32_e32 v25, v0, v9
	v_mov_b32_e32 v24, v5
.LBB194_235:                            ;   in Loop: Header=BB194_213 Depth=1
	s_or_b64 exec, exec, s[14:15]
.LBB194_236:                            ;   in Loop: Header=BB194_213 Depth=1
	s_or_b64 exec, exec, s[12:13]
.LBB194_237:                            ;   in Loop: Header=BB194_213 Depth=1
	s_or_b64 exec, exec, s[2:3]
	v_or_b32_e32 v0, v21, v19
	v_or_b32_e32 v9, v20, v18
	v_mul_f32_e32 v48, s33, v0
	v_mul_f32_e32 v51, s28, v9
	v_or_b32_e32 v0, v25, v23
	v_or_b32_e32 v9, v24, v22
	v_add_u32_e32 v52, -3, v43
	v_mov_b32_e32 v37, v53
	v_cmp_eq_u32_e64 s[0:1], s29, v53
	v_mul_f32_e32 v50, s28, v9
	v_mul_f32_e32 v49, s33, v0
	s_and_saveexec_b64 s[12:13], s[0:1]
	s_cbranch_execz .LBB194_239
; %bb.238:                              ;   in Loop: Header=BB194_213 Depth=1
	v_cmp_gt_i32_e64 s[2:3], s30, v52
	v_add_u32_e32 v0, -2, v43
	v_cndmask_b32_e64 v51, 0, v51, s[2:3]
	v_cmp_gt_i32_e64 s[2:3], s30, v0
	v_add_u32_e32 v0, -1, v43
	v_cndmask_b32_e64 v48, 0, v48, s[2:3]
	v_cmp_gt_i32_e64 s[2:3], s30, v0
	v_cndmask_b32_e64 v50, 0, v50, s[2:3]
	v_cmp_gt_i32_e64 s[2:3], s30, v43
	v_cndmask_b32_e64 v49, 0, v49, s[2:3]
.LBB194_239:                            ;   in Loop: Header=BB194_213 Depth=1
	s_or_b64 exec, exec, s[12:13]
	global_load_dword v17, v[15:16], off offset:256
	v_mov_b32_e32 v20, 0
	v_mov_b32_e32 v18, 0
	v_mov_b32_e32 v21, 0
	v_mov_b32_e32 v19, 0
	s_waitcnt vmcnt(0)
	v_cmp_ne_u16_sdwa s[2:3], v17, v5 src0_sel:BYTE_0 src1_sel:DWORD
	s_and_saveexec_b64 s[12:13], s[2:3]
	s_cbranch_execz .LBB194_245
; %bb.240:                              ;   in Loop: Header=BB194_213 Depth=1
	v_bfrev_b32_e32 v18, 1
	v_mov_b32_e32 v19, 0
	v_cmp_ne_u16_sdwa s[2:3], v17, s24 src0_sel:BYTE_0 src1_sel:DWORD
	s_and_saveexec_b64 s[14:15], s[2:3]
	s_cbranch_execz .LBB194_244
; %bb.241:                              ;   in Loop: Header=BB194_213 Depth=1
	v_and_b32_e32 v0, 0x7f, v17
	v_mov_b32_e32 v18, 0x7f800001
	v_mov_b32_e32 v19, 0
	v_cmp_ne_u32_e64 s[2:3], s25, v0
	s_and_saveexec_b64 s[16:17], s[2:3]
	s_cbranch_execz .LBB194_243
; %bb.242:                              ;   in Loop: Header=BB194_213 Depth=1
	v_and_b32_e32 v9, 7, v17
	v_ffbh_u32_e32 v11, v9
	v_min_u32_e32 v11, 32, v11
	v_subrev_u32_e32 v18, 28, v11
	v_lshlrev_b64 v[18:19], v18, v[17:18]
	v_lshrrev_b32_e32 v10, 3, v0
	v_sub_u32_e32 v11, 29, v11
	v_and_b32_e32 v18, 7, v18
	v_cmp_gt_u32_e64 s[2:3], 8, v0
	v_cndmask_b32_e64 v0, v10, v11, s[2:3]
	v_cndmask_b32_e64 v9, v9, v18, s[2:3]
	v_lshlrev_b32_e32 v9, 20, v9
	v_and_b32_sdwa v10, sext(v17), s26 dst_sel:DWORD dst_unused:UNUSED_PAD src0_sel:BYTE_0 src1_sel:DWORD
	v_lshl_add_u32 v0, v0, 23, v45
	v_or3_b32 v18, v10, v0, v9
	v_mov_b32_e32 v19, v5
.LBB194_243:                            ;   in Loop: Header=BB194_213 Depth=1
	s_or_b64 exec, exec, s[16:17]
.LBB194_244:                            ;   in Loop: Header=BB194_213 Depth=1
	s_or_b64 exec, exec, s[14:15]
.LBB194_245:                            ;   in Loop: Header=BB194_213 Depth=1
	s_or_b64 exec, exec, s[12:13]
	v_cmp_ne_u16_sdwa s[2:3], v17, v5 src0_sel:BYTE_1 src1_sel:DWORD
	s_and_saveexec_b64 s[12:13], s[2:3]
	s_cbranch_execz .LBB194_251
; %bb.246:                              ;   in Loop: Header=BB194_213 Depth=1
	v_mov_b32_e32 v21, v6
	v_cmp_ne_u16_sdwa s[2:3], v17, s24 src0_sel:BYTE_1 src1_sel:DWORD
	v_mov_b32_e32 v20, v5
	s_and_saveexec_b64 s[14:15], s[2:3]
	s_cbranch_execz .LBB194_250
; %bb.247:                              ;   in Loop: Header=BB194_213 Depth=1
	v_and_b32_sdwa v0, v17, s25 dst_sel:DWORD dst_unused:UNUSED_PAD src0_sel:BYTE_1 src1_sel:DWORD
	v_mov_b32_e32 v11, v5
	v_mov_b32_e32 v21, v12
	v_cmp_ne_u32_e64 s[2:3], s25, v0
	v_mov_b32_e32 v20, v11
	s_and_saveexec_b64 s[16:17], s[2:3]
	s_cbranch_execz .LBB194_249
; %bb.248:                              ;   in Loop: Header=BB194_213 Depth=1
	v_mov_b32_e32 v9, 7
	v_and_b32_sdwa v20, v17, v9 dst_sel:DWORD dst_unused:UNUSED_PAD src0_sel:BYTE_1 src1_sel:DWORD
	v_ffbh_u32_e32 v10, v20
	v_min_u32_e32 v10, 32, v10
	v_mov_b32_e32 v21, v5
	v_subrev_u32_e32 v11, 28, v10
	v_lshlrev_b64 v[21:22], v11, v[20:21]
	v_lshrrev_b32_e32 v9, 3, v0
	v_sub_u32_e32 v10, 29, v10
	v_cmp_gt_u32_e64 s[2:3], 8, v0
	v_and_b32_e32 v11, 7, v21
	v_cndmask_b32_e64 v0, v9, v10, s[2:3]
	v_cndmask_b32_e64 v9, v20, v11, s[2:3]
	v_lshlrev_b32_e32 v10, 16, v17
	v_lshl_add_u32 v0, v0, 23, v45
	v_and_or_b32 v0, v10, s26, v0
	v_lshlrev_b32_e32 v9, 20, v9
	v_or_b32_e32 v21, v0, v9
	v_mov_b32_e32 v20, v5
.LBB194_249:                            ;   in Loop: Header=BB194_213 Depth=1
	s_or_b64 exec, exec, s[16:17]
.LBB194_250:                            ;   in Loop: Header=BB194_213 Depth=1
	s_or_b64 exec, exec, s[14:15]
.LBB194_251:                            ;   in Loop: Header=BB194_213 Depth=1
	s_or_b64 exec, exec, s[12:13]
	v_lshrrev_b32_e32 v11, 16, v17
	v_mov_b32_e32 v24, 0
	v_mov_b32_e32 v22, 0
	;; [unrolled: 1-line block ×4, first 2 shown]
	v_cmp_ne_u16_sdwa s[2:3], v11, v5 src0_sel:BYTE_0 src1_sel:DWORD
	s_and_saveexec_b64 s[12:13], s[2:3]
	s_cbranch_execz .LBB194_257
; %bb.252:                              ;   in Loop: Header=BB194_213 Depth=1
	v_bfrev_b32_e32 v22, 1
	v_mov_b32_e32 v23, 0
	v_cmp_ne_u16_sdwa s[2:3], v11, s24 src0_sel:BYTE_0 src1_sel:DWORD
	s_and_saveexec_b64 s[14:15], s[2:3]
	s_cbranch_execz .LBB194_256
; %bb.253:                              ;   in Loop: Header=BB194_213 Depth=1
	v_bfe_u32 v0, v17, 16, 7
	v_mov_b32_e32 v22, 0x7f800001
	v_mov_b32_e32 v23, 0
	v_cmp_ne_u32_e64 s[2:3], s25, v0
	s_and_saveexec_b64 s[16:17], s[2:3]
	s_cbranch_execz .LBB194_255
; %bb.254:                              ;   in Loop: Header=BB194_213 Depth=1
	v_and_b32_e32 v9, 7, v11
	v_ffbh_u32_e32 v22, v9
	v_min_u32_e32 v26, 32, v22
	v_subrev_u32_e32 v22, 28, v26
	v_lshlrev_b64 v[22:23], v22, v[11:12]
	v_lshrrev_b32_e32 v10, 3, v0
	v_sub_u32_e32 v23, 29, v26
	v_and_b32_e32 v22, 7, v22
	v_cmp_gt_u32_e64 s[2:3], 8, v0
	v_cndmask_b32_e64 v0, v10, v23, s[2:3]
	v_cndmask_b32_e64 v9, v9, v22, s[2:3]
	v_lshlrev_b32_e32 v9, 20, v9
	v_and_b32_sdwa v10, sext(v11), s26 dst_sel:DWORD dst_unused:UNUSED_PAD src0_sel:BYTE_0 src1_sel:DWORD
	v_lshl_add_u32 v0, v0, 23, v45
	v_or3_b32 v22, v10, v0, v9
	v_mov_b32_e32 v23, v5
.LBB194_255:                            ;   in Loop: Header=BB194_213 Depth=1
	s_or_b64 exec, exec, s[16:17]
.LBB194_256:                            ;   in Loop: Header=BB194_213 Depth=1
	s_or_b64 exec, exec, s[14:15]
.LBB194_257:                            ;   in Loop: Header=BB194_213 Depth=1
	s_or_b64 exec, exec, s[12:13]
	v_cmp_lt_u32_e64 s[2:3], s27, v17
	s_and_saveexec_b64 s[12:13], s[2:3]
	s_cbranch_execz .LBB194_263
; %bb.258:                              ;   in Loop: Header=BB194_213 Depth=1
	v_mov_b32_e32 v25, v6
	v_cmp_ne_u32_sdwa s[2:3], v17, s24 src0_sel:BYTE_3 src1_sel:DWORD
	v_mov_b32_e32 v24, v5
	s_and_saveexec_b64 s[14:15], s[2:3]
	s_cbranch_execz .LBB194_262
; %bb.259:                              ;   in Loop: Header=BB194_213 Depth=1
	v_bfe_u32 v0, v17, 24, 7
	v_mov_b32_e32 v11, v5
	v_mov_b32_e32 v25, v12
	v_cmp_ne_u32_e64 s[2:3], s25, v0
	v_mov_b32_e32 v24, v11
	s_and_saveexec_b64 s[16:17], s[2:3]
	s_cbranch_execz .LBB194_261
; %bb.260:                              ;   in Loop: Header=BB194_213 Depth=1
	v_mov_b32_e32 v9, 7
	v_and_b32_sdwa v24, v17, v9 dst_sel:DWORD dst_unused:UNUSED_PAD src0_sel:BYTE_3 src1_sel:DWORD
	v_ffbh_u32_e32 v10, v24
	v_min_u32_e32 v10, 32, v10
	v_mov_b32_e32 v25, v5
	v_subrev_u32_e32 v11, 28, v10
	v_lshlrev_b64 v[25:26], v11, v[24:25]
	v_lshrrev_b32_e32 v9, 3, v0
	v_sub_u32_e32 v10, 29, v10
	v_cmp_gt_u32_e64 s[2:3], 8, v0
	v_and_b32_e32 v11, 7, v25
	v_cndmask_b32_e64 v0, v9, v10, s[2:3]
	v_mov_b32_e32 v10, 24
	v_cndmask_b32_e64 v9, v24, v11, s[2:3]
	v_lshlrev_b32_sdwa v10, v10, v17 dst_sel:DWORD dst_unused:UNUSED_PAD src0_sel:DWORD src1_sel:BYTE_3
	v_lshl_add_u32 v0, v0, 23, v45
	v_and_or_b32 v0, v10, s26, v0
	v_lshlrev_b32_e32 v9, 20, v9
	v_or_b32_e32 v25, v0, v9
	v_mov_b32_e32 v24, v5
.LBB194_261:                            ;   in Loop: Header=BB194_213 Depth=1
	s_or_b64 exec, exec, s[16:17]
.LBB194_262:                            ;   in Loop: Header=BB194_213 Depth=1
	s_or_b64 exec, exec, s[14:15]
.LBB194_263:                            ;   in Loop: Header=BB194_213 Depth=1
	s_or_b64 exec, exec, s[12:13]
	v_or_b32_e32 v0, v21, v19
	v_or_b32_e32 v9, v20, v18
	v_mul_f32_e32 v53, s33, v0
	v_mul_f32_e32 v56, s28, v9
	v_or_b32_e32 v0, v25, v23
	v_or_b32_e32 v9, v24, v22
	v_mul_f32_e32 v55, s28, v9
	v_mul_f32_e32 v54, s33, v0
	s_and_saveexec_b64 s[12:13], s[0:1]
	s_cbranch_execz .LBB194_265
; %bb.264:                              ;   in Loop: Header=BB194_213 Depth=1
	v_cmp_gt_i32_e64 s[2:3], s30, v52
	v_add_u32_e32 v0, -2, v43
	v_cndmask_b32_e64 v56, 0, v56, s[2:3]
	v_cmp_gt_i32_e64 s[2:3], s30, v0
	v_add_u32_e32 v0, -1, v43
	v_cndmask_b32_e64 v53, 0, v53, s[2:3]
	v_cmp_gt_i32_e64 s[2:3], s30, v0
	v_cndmask_b32_e64 v55, 0, v55, s[2:3]
	v_cmp_gt_i32_e64 s[2:3], s30, v43
	v_cndmask_b32_e64 v54, 0, v54, s[2:3]
.LBB194_265:                            ;   in Loop: Header=BB194_213 Depth=1
	s_or_b64 exec, exec, s[12:13]
	global_load_dword v17, v[15:16], off offset:512
	v_mov_b32_e32 v20, 0
	v_mov_b32_e32 v18, 0
	;; [unrolled: 1-line block ×4, first 2 shown]
	s_waitcnt vmcnt(0)
	v_cmp_ne_u16_sdwa s[2:3], v17, v5 src0_sel:BYTE_0 src1_sel:DWORD
	s_and_saveexec_b64 s[12:13], s[2:3]
	s_cbranch_execz .LBB194_271
; %bb.266:                              ;   in Loop: Header=BB194_213 Depth=1
	v_bfrev_b32_e32 v18, 1
	v_mov_b32_e32 v19, 0
	v_cmp_ne_u16_sdwa s[2:3], v17, s24 src0_sel:BYTE_0 src1_sel:DWORD
	s_and_saveexec_b64 s[14:15], s[2:3]
	s_cbranch_execz .LBB194_270
; %bb.267:                              ;   in Loop: Header=BB194_213 Depth=1
	v_and_b32_e32 v0, 0x7f, v17
	v_mov_b32_e32 v18, 0x7f800001
	v_mov_b32_e32 v19, 0
	v_cmp_ne_u32_e64 s[2:3], s25, v0
	s_and_saveexec_b64 s[16:17], s[2:3]
	s_cbranch_execz .LBB194_269
; %bb.268:                              ;   in Loop: Header=BB194_213 Depth=1
	v_and_b32_e32 v9, 7, v17
	v_ffbh_u32_e32 v11, v9
	v_min_u32_e32 v11, 32, v11
	v_subrev_u32_e32 v18, 28, v11
	v_lshlrev_b64 v[18:19], v18, v[17:18]
	v_lshrrev_b32_e32 v10, 3, v0
	v_sub_u32_e32 v11, 29, v11
	v_and_b32_e32 v18, 7, v18
	v_cmp_gt_u32_e64 s[2:3], 8, v0
	v_cndmask_b32_e64 v0, v10, v11, s[2:3]
	v_cndmask_b32_e64 v9, v9, v18, s[2:3]
	v_lshlrev_b32_e32 v9, 20, v9
	v_and_b32_sdwa v10, sext(v17), s26 dst_sel:DWORD dst_unused:UNUSED_PAD src0_sel:BYTE_0 src1_sel:DWORD
	v_lshl_add_u32 v0, v0, 23, v45
	v_or3_b32 v18, v10, v0, v9
	v_mov_b32_e32 v19, v5
.LBB194_269:                            ;   in Loop: Header=BB194_213 Depth=1
	s_or_b64 exec, exec, s[16:17]
.LBB194_270:                            ;   in Loop: Header=BB194_213 Depth=1
	s_or_b64 exec, exec, s[14:15]
.LBB194_271:                            ;   in Loop: Header=BB194_213 Depth=1
	s_or_b64 exec, exec, s[12:13]
	v_cmp_ne_u16_sdwa s[2:3], v17, v5 src0_sel:BYTE_1 src1_sel:DWORD
	s_and_saveexec_b64 s[12:13], s[2:3]
	s_cbranch_execz .LBB194_277
; %bb.272:                              ;   in Loop: Header=BB194_213 Depth=1
	v_mov_b32_e32 v21, v6
	v_cmp_ne_u16_sdwa s[2:3], v17, s24 src0_sel:BYTE_1 src1_sel:DWORD
	v_mov_b32_e32 v20, v5
	s_and_saveexec_b64 s[14:15], s[2:3]
	s_cbranch_execz .LBB194_276
; %bb.273:                              ;   in Loop: Header=BB194_213 Depth=1
	v_and_b32_sdwa v0, v17, s25 dst_sel:DWORD dst_unused:UNUSED_PAD src0_sel:BYTE_1 src1_sel:DWORD
	v_mov_b32_e32 v11, v5
	v_mov_b32_e32 v21, v12
	v_cmp_ne_u32_e64 s[2:3], s25, v0
	v_mov_b32_e32 v20, v11
	s_and_saveexec_b64 s[16:17], s[2:3]
	s_cbranch_execz .LBB194_275
; %bb.274:                              ;   in Loop: Header=BB194_213 Depth=1
	v_mov_b32_e32 v9, 7
	v_and_b32_sdwa v20, v17, v9 dst_sel:DWORD dst_unused:UNUSED_PAD src0_sel:BYTE_1 src1_sel:DWORD
	v_ffbh_u32_e32 v10, v20
	v_min_u32_e32 v10, 32, v10
	v_mov_b32_e32 v21, v5
	v_subrev_u32_e32 v11, 28, v10
	v_lshlrev_b64 v[21:22], v11, v[20:21]
	v_lshrrev_b32_e32 v9, 3, v0
	v_sub_u32_e32 v10, 29, v10
	v_cmp_gt_u32_e64 s[2:3], 8, v0
	v_and_b32_e32 v11, 7, v21
	v_cndmask_b32_e64 v0, v9, v10, s[2:3]
	v_cndmask_b32_e64 v9, v20, v11, s[2:3]
	v_lshlrev_b32_e32 v10, 16, v17
	v_lshl_add_u32 v0, v0, 23, v45
	v_and_or_b32 v0, v10, s26, v0
	v_lshlrev_b32_e32 v9, 20, v9
	v_or_b32_e32 v21, v0, v9
	v_mov_b32_e32 v20, v5
.LBB194_275:                            ;   in Loop: Header=BB194_213 Depth=1
	s_or_b64 exec, exec, s[16:17]
.LBB194_276:                            ;   in Loop: Header=BB194_213 Depth=1
	s_or_b64 exec, exec, s[14:15]
.LBB194_277:                            ;   in Loop: Header=BB194_213 Depth=1
	s_or_b64 exec, exec, s[12:13]
	v_lshrrev_b32_e32 v11, 16, v17
	v_mov_b32_e32 v24, 0
	v_mov_b32_e32 v22, 0
	;; [unrolled: 1-line block ×4, first 2 shown]
	v_cmp_ne_u16_sdwa s[2:3], v11, v5 src0_sel:BYTE_0 src1_sel:DWORD
	s_and_saveexec_b64 s[12:13], s[2:3]
	s_cbranch_execz .LBB194_283
; %bb.278:                              ;   in Loop: Header=BB194_213 Depth=1
	v_bfrev_b32_e32 v22, 1
	v_mov_b32_e32 v23, 0
	v_cmp_ne_u16_sdwa s[2:3], v11, s24 src0_sel:BYTE_0 src1_sel:DWORD
	s_and_saveexec_b64 s[14:15], s[2:3]
	s_cbranch_execz .LBB194_282
; %bb.279:                              ;   in Loop: Header=BB194_213 Depth=1
	v_bfe_u32 v0, v17, 16, 7
	v_mov_b32_e32 v22, 0x7f800001
	v_mov_b32_e32 v23, 0
	v_cmp_ne_u32_e64 s[2:3], s25, v0
	s_and_saveexec_b64 s[16:17], s[2:3]
	s_cbranch_execz .LBB194_281
; %bb.280:                              ;   in Loop: Header=BB194_213 Depth=1
	v_and_b32_e32 v9, 7, v11
	v_ffbh_u32_e32 v22, v9
	v_min_u32_e32 v26, 32, v22
	v_subrev_u32_e32 v22, 28, v26
	v_lshlrev_b64 v[22:23], v22, v[11:12]
	v_lshrrev_b32_e32 v10, 3, v0
	v_sub_u32_e32 v23, 29, v26
	v_and_b32_e32 v22, 7, v22
	v_cmp_gt_u32_e64 s[2:3], 8, v0
	v_cndmask_b32_e64 v0, v10, v23, s[2:3]
	v_cndmask_b32_e64 v9, v9, v22, s[2:3]
	v_lshlrev_b32_e32 v9, 20, v9
	v_and_b32_sdwa v10, sext(v11), s26 dst_sel:DWORD dst_unused:UNUSED_PAD src0_sel:BYTE_0 src1_sel:DWORD
	v_lshl_add_u32 v0, v0, 23, v45
	v_or3_b32 v22, v10, v0, v9
	v_mov_b32_e32 v23, v5
.LBB194_281:                            ;   in Loop: Header=BB194_213 Depth=1
	s_or_b64 exec, exec, s[16:17]
.LBB194_282:                            ;   in Loop: Header=BB194_213 Depth=1
	s_or_b64 exec, exec, s[14:15]
.LBB194_283:                            ;   in Loop: Header=BB194_213 Depth=1
	s_or_b64 exec, exec, s[12:13]
	v_cmp_lt_u32_e64 s[2:3], s27, v17
	s_and_saveexec_b64 s[12:13], s[2:3]
	s_cbranch_execz .LBB194_289
; %bb.284:                              ;   in Loop: Header=BB194_213 Depth=1
	v_mov_b32_e32 v25, v6
	v_cmp_ne_u32_sdwa s[2:3], v17, s24 src0_sel:BYTE_3 src1_sel:DWORD
	v_mov_b32_e32 v24, v5
	s_and_saveexec_b64 s[14:15], s[2:3]
	s_cbranch_execz .LBB194_288
; %bb.285:                              ;   in Loop: Header=BB194_213 Depth=1
	v_bfe_u32 v0, v17, 24, 7
	v_mov_b32_e32 v11, v5
	v_mov_b32_e32 v25, v12
	v_cmp_ne_u32_e64 s[2:3], s25, v0
	v_mov_b32_e32 v24, v11
	s_and_saveexec_b64 s[16:17], s[2:3]
	s_cbranch_execz .LBB194_287
; %bb.286:                              ;   in Loop: Header=BB194_213 Depth=1
	v_mov_b32_e32 v9, 7
	v_and_b32_sdwa v24, v17, v9 dst_sel:DWORD dst_unused:UNUSED_PAD src0_sel:BYTE_3 src1_sel:DWORD
	v_ffbh_u32_e32 v10, v24
	v_min_u32_e32 v10, 32, v10
	v_mov_b32_e32 v25, v5
	v_subrev_u32_e32 v11, 28, v10
	v_lshlrev_b64 v[25:26], v11, v[24:25]
	v_lshrrev_b32_e32 v9, 3, v0
	v_sub_u32_e32 v10, 29, v10
	v_cmp_gt_u32_e64 s[2:3], 8, v0
	v_and_b32_e32 v11, 7, v25
	v_cndmask_b32_e64 v0, v9, v10, s[2:3]
	v_mov_b32_e32 v10, 24
	v_cndmask_b32_e64 v9, v24, v11, s[2:3]
	v_lshlrev_b32_sdwa v10, v10, v17 dst_sel:DWORD dst_unused:UNUSED_PAD src0_sel:DWORD src1_sel:BYTE_3
	v_lshl_add_u32 v0, v0, 23, v45
	v_and_or_b32 v0, v10, s26, v0
	v_lshlrev_b32_e32 v9, 20, v9
	v_or_b32_e32 v25, v0, v9
	v_mov_b32_e32 v24, v5
.LBB194_287:                            ;   in Loop: Header=BB194_213 Depth=1
	s_or_b64 exec, exec, s[16:17]
.LBB194_288:                            ;   in Loop: Header=BB194_213 Depth=1
	s_or_b64 exec, exec, s[14:15]
.LBB194_289:                            ;   in Loop: Header=BB194_213 Depth=1
	s_or_b64 exec, exec, s[12:13]
	v_or_b32_e32 v0, v21, v19
	v_or_b32_e32 v9, v20, v18
	v_mul_f32_e32 v57, s33, v0
	v_mul_f32_e32 v60, s28, v9
	v_or_b32_e32 v0, v25, v23
	v_or_b32_e32 v9, v24, v22
	v_mul_f32_e32 v59, s28, v9
	v_mul_f32_e32 v58, s33, v0
	s_and_saveexec_b64 s[12:13], s[0:1]
	s_cbranch_execz .LBB194_291
; %bb.290:                              ;   in Loop: Header=BB194_213 Depth=1
	v_cmp_gt_i32_e64 s[2:3], s30, v52
	v_add_u32_e32 v0, -2, v43
	v_cndmask_b32_e64 v60, 0, v60, s[2:3]
	v_cmp_gt_i32_e64 s[2:3], s30, v0
	v_add_u32_e32 v0, -1, v43
	v_cndmask_b32_e64 v57, 0, v57, s[2:3]
	v_cmp_gt_i32_e64 s[2:3], s30, v0
	v_cndmask_b32_e64 v59, 0, v59, s[2:3]
	v_cmp_gt_i32_e64 s[2:3], s30, v43
	v_cndmask_b32_e64 v58, 0, v58, s[2:3]
.LBB194_291:                            ;   in Loop: Header=BB194_213 Depth=1
	s_or_b64 exec, exec, s[12:13]
	global_load_dword v17, v[15:16], off offset:768
	v_mov_b32_e32 v20, 0
	v_mov_b32_e32 v18, 0
	;; [unrolled: 1-line block ×4, first 2 shown]
	s_waitcnt vmcnt(0)
	v_cmp_ne_u16_sdwa s[2:3], v17, v5 src0_sel:BYTE_0 src1_sel:DWORD
	s_and_saveexec_b64 s[12:13], s[2:3]
	s_cbranch_execz .LBB194_297
; %bb.292:                              ;   in Loop: Header=BB194_213 Depth=1
	v_bfrev_b32_e32 v18, 1
	v_mov_b32_e32 v19, 0
	v_cmp_ne_u16_sdwa s[2:3], v17, s24 src0_sel:BYTE_0 src1_sel:DWORD
	s_and_saveexec_b64 s[14:15], s[2:3]
	s_cbranch_execz .LBB194_296
; %bb.293:                              ;   in Loop: Header=BB194_213 Depth=1
	v_and_b32_e32 v0, 0x7f, v17
	v_mov_b32_e32 v18, 0x7f800001
	v_mov_b32_e32 v19, 0
	v_cmp_ne_u32_e64 s[2:3], s25, v0
	s_and_saveexec_b64 s[16:17], s[2:3]
	s_cbranch_execz .LBB194_295
; %bb.294:                              ;   in Loop: Header=BB194_213 Depth=1
	v_and_b32_e32 v9, 7, v17
	v_ffbh_u32_e32 v11, v9
	v_min_u32_e32 v11, 32, v11
	v_subrev_u32_e32 v18, 28, v11
	v_lshlrev_b64 v[18:19], v18, v[17:18]
	v_lshrrev_b32_e32 v10, 3, v0
	v_sub_u32_e32 v11, 29, v11
	v_and_b32_e32 v18, 7, v18
	v_cmp_gt_u32_e64 s[2:3], 8, v0
	v_cndmask_b32_e64 v0, v10, v11, s[2:3]
	v_cndmask_b32_e64 v9, v9, v18, s[2:3]
	v_lshlrev_b32_e32 v9, 20, v9
	v_and_b32_sdwa v10, sext(v17), s26 dst_sel:DWORD dst_unused:UNUSED_PAD src0_sel:BYTE_0 src1_sel:DWORD
	v_lshl_add_u32 v0, v0, 23, v45
	v_or3_b32 v18, v10, v0, v9
	v_mov_b32_e32 v19, v5
.LBB194_295:                            ;   in Loop: Header=BB194_213 Depth=1
	s_or_b64 exec, exec, s[16:17]
.LBB194_296:                            ;   in Loop: Header=BB194_213 Depth=1
	s_or_b64 exec, exec, s[14:15]
.LBB194_297:                            ;   in Loop: Header=BB194_213 Depth=1
	s_or_b64 exec, exec, s[12:13]
	v_cmp_ne_u16_sdwa s[2:3], v17, v5 src0_sel:BYTE_1 src1_sel:DWORD
	s_and_saveexec_b64 s[12:13], s[2:3]
	s_cbranch_execz .LBB194_303
; %bb.298:                              ;   in Loop: Header=BB194_213 Depth=1
	v_mov_b32_e32 v21, v6
	v_cmp_ne_u16_sdwa s[2:3], v17, s24 src0_sel:BYTE_1 src1_sel:DWORD
	v_mov_b32_e32 v20, v5
	s_and_saveexec_b64 s[14:15], s[2:3]
	s_cbranch_execz .LBB194_302
; %bb.299:                              ;   in Loop: Header=BB194_213 Depth=1
	v_and_b32_sdwa v0, v17, s25 dst_sel:DWORD dst_unused:UNUSED_PAD src0_sel:BYTE_1 src1_sel:DWORD
	v_mov_b32_e32 v11, v5
	v_mov_b32_e32 v21, v12
	v_cmp_ne_u32_e64 s[2:3], s25, v0
	v_mov_b32_e32 v20, v11
	s_and_saveexec_b64 s[16:17], s[2:3]
	s_cbranch_execz .LBB194_301
; %bb.300:                              ;   in Loop: Header=BB194_213 Depth=1
	v_mov_b32_e32 v9, 7
	v_and_b32_sdwa v20, v17, v9 dst_sel:DWORD dst_unused:UNUSED_PAD src0_sel:BYTE_1 src1_sel:DWORD
	v_ffbh_u32_e32 v10, v20
	v_min_u32_e32 v10, 32, v10
	v_mov_b32_e32 v21, v5
	v_subrev_u32_e32 v11, 28, v10
	v_lshlrev_b64 v[21:22], v11, v[20:21]
	v_lshrrev_b32_e32 v9, 3, v0
	v_sub_u32_e32 v10, 29, v10
	v_cmp_gt_u32_e64 s[2:3], 8, v0
	v_and_b32_e32 v11, 7, v21
	v_cndmask_b32_e64 v0, v9, v10, s[2:3]
	v_cndmask_b32_e64 v9, v20, v11, s[2:3]
	v_lshlrev_b32_e32 v10, 16, v17
	v_lshl_add_u32 v0, v0, 23, v45
	v_and_or_b32 v0, v10, s26, v0
	v_lshlrev_b32_e32 v9, 20, v9
	v_or_b32_e32 v21, v0, v9
	v_mov_b32_e32 v20, v5
.LBB194_301:                            ;   in Loop: Header=BB194_213 Depth=1
	s_or_b64 exec, exec, s[16:17]
.LBB194_302:                            ;   in Loop: Header=BB194_213 Depth=1
	s_or_b64 exec, exec, s[14:15]
.LBB194_303:                            ;   in Loop: Header=BB194_213 Depth=1
	s_or_b64 exec, exec, s[12:13]
	v_lshrrev_b32_e32 v11, 16, v17
	v_mov_b32_e32 v24, 0
	v_mov_b32_e32 v22, 0
	;; [unrolled: 1-line block ×4, first 2 shown]
	v_cmp_ne_u16_sdwa s[2:3], v11, v5 src0_sel:BYTE_0 src1_sel:DWORD
	s_and_saveexec_b64 s[12:13], s[2:3]
	s_cbranch_execz .LBB194_309
; %bb.304:                              ;   in Loop: Header=BB194_213 Depth=1
	v_bfrev_b32_e32 v22, 1
	v_mov_b32_e32 v23, 0
	v_cmp_ne_u16_sdwa s[2:3], v11, s24 src0_sel:BYTE_0 src1_sel:DWORD
	s_and_saveexec_b64 s[14:15], s[2:3]
	s_cbranch_execz .LBB194_308
; %bb.305:                              ;   in Loop: Header=BB194_213 Depth=1
	v_bfe_u32 v0, v17, 16, 7
	v_mov_b32_e32 v22, 0x7f800001
	v_mov_b32_e32 v23, 0
	v_cmp_ne_u32_e64 s[2:3], s25, v0
	s_and_saveexec_b64 s[16:17], s[2:3]
	s_cbranch_execz .LBB194_307
; %bb.306:                              ;   in Loop: Header=BB194_213 Depth=1
	v_and_b32_e32 v9, 7, v11
	v_lshrrev_b32_e32 v10, 3, v0
	v_cmp_gt_u32_e64 s[2:3], 8, v0
	v_ffbh_u32_e32 v0, v9
	v_min_u32_e32 v0, 32, v0
	v_subrev_u32_e32 v22, 28, v0
	v_lshlrev_b64 v[22:23], v22, v[11:12]
	v_sub_u32_e32 v0, 29, v0
	v_and_b32_e32 v22, 7, v22
	v_cndmask_b32_e64 v0, v10, v0, s[2:3]
	v_cndmask_b32_e64 v9, v9, v22, s[2:3]
	v_lshlrev_b32_e32 v9, 20, v9
	v_and_b32_sdwa v10, sext(v11), s26 dst_sel:DWORD dst_unused:UNUSED_PAD src0_sel:BYTE_0 src1_sel:DWORD
	v_lshl_add_u32 v0, v0, 23, v45
	v_or3_b32 v22, v10, v0, v9
	v_mov_b32_e32 v23, v5
.LBB194_307:                            ;   in Loop: Header=BB194_213 Depth=1
	s_or_b64 exec, exec, s[16:17]
.LBB194_308:                            ;   in Loop: Header=BB194_213 Depth=1
	s_or_b64 exec, exec, s[14:15]
.LBB194_309:                            ;   in Loop: Header=BB194_213 Depth=1
	s_or_b64 exec, exec, s[12:13]
	v_cmp_lt_u32_e64 s[2:3], s27, v17
	s_and_saveexec_b64 s[12:13], s[2:3]
	s_cbranch_execz .LBB194_315
; %bb.310:                              ;   in Loop: Header=BB194_213 Depth=1
	v_mov_b32_e32 v25, v6
	v_cmp_ne_u32_sdwa s[2:3], v17, s24 src0_sel:BYTE_3 src1_sel:DWORD
	v_mov_b32_e32 v24, v5
	s_and_saveexec_b64 s[14:15], s[2:3]
	s_cbranch_execz .LBB194_314
; %bb.311:                              ;   in Loop: Header=BB194_213 Depth=1
	v_bfe_u32 v0, v17, 24, 7
	v_mov_b32_e32 v11, v5
	v_mov_b32_e32 v25, v12
	v_cmp_ne_u32_e64 s[2:3], s25, v0
	v_mov_b32_e32 v24, v11
	s_and_saveexec_b64 s[16:17], s[2:3]
	s_cbranch_execz .LBB194_313
; %bb.312:                              ;   in Loop: Header=BB194_213 Depth=1
	v_mov_b32_e32 v9, 7
	v_and_b32_sdwa v24, v17, v9 dst_sel:DWORD dst_unused:UNUSED_PAD src0_sel:BYTE_3 src1_sel:DWORD
	v_lshrrev_b32_e32 v9, 3, v0
	v_cmp_gt_u32_e64 s[2:3], 8, v0
	v_ffbh_u32_e32 v0, v24
	v_min_u32_e32 v0, 32, v0
	v_mov_b32_e32 v25, v5
	v_subrev_u32_e32 v10, 28, v0
	v_lshlrev_b64 v[25:26], v10, v[24:25]
	v_sub_u32_e32 v0, 29, v0
	v_and_b32_e32 v10, 7, v25
	v_cndmask_b32_e64 v0, v9, v0, s[2:3]
	v_cndmask_b32_e64 v9, v24, v10, s[2:3]
	v_mov_b32_e32 v10, 24
	v_lshlrev_b32_sdwa v10, v10, v17 dst_sel:DWORD dst_unused:UNUSED_PAD src0_sel:DWORD src1_sel:BYTE_3
	v_lshl_add_u32 v0, v0, 23, v45
	v_and_or_b32 v0, v10, s26, v0
	v_lshlrev_b32_e32 v9, 20, v9
	v_or_b32_e32 v25, v0, v9
	v_mov_b32_e32 v24, v5
.LBB194_313:                            ;   in Loop: Header=BB194_213 Depth=1
	s_or_b64 exec, exec, s[16:17]
.LBB194_314:                            ;   in Loop: Header=BB194_213 Depth=1
	s_or_b64 exec, exec, s[14:15]
.LBB194_315:                            ;   in Loop: Header=BB194_213 Depth=1
	s_or_b64 exec, exec, s[12:13]
	v_or_b32_e32 v0, v21, v19
	v_or_b32_e32 v9, v20, v18
	v_mul_f32_e32 v40, s33, v0
	v_mul_f32_e32 v63, s28, v9
	v_or_b32_e32 v0, v25, v23
	v_or_b32_e32 v9, v24, v22
	v_mul_f32_e32 v62, s28, v9
	v_mul_f32_e32 v61, s33, v0
	s_and_saveexec_b64 s[12:13], s[0:1]
	s_cbranch_execz .LBB194_317
; %bb.316:                              ;   in Loop: Header=BB194_213 Depth=1
	v_cmp_gt_i32_e64 s[2:3], s30, v52
	v_add_u32_e32 v0, -2, v43
	v_cndmask_b32_e64 v63, 0, v63, s[2:3]
	v_cmp_gt_i32_e64 s[2:3], s30, v0
	v_add_u32_e32 v0, -1, v43
	v_cndmask_b32_e64 v40, 0, v40, s[2:3]
	v_cmp_gt_i32_e64 s[2:3], s30, v0
	v_cndmask_b32_e64 v62, 0, v62, s[2:3]
	v_cmp_gt_i32_e64 s[2:3], s30, v43
	v_cndmask_b32_e64 v61, 0, v61, s[2:3]
.LBB194_317:                            ;   in Loop: Header=BB194_213 Depth=1
	s_or_b64 exec, exec, s[12:13]
	global_load_dword v17, v[15:16], off offset:1024
	v_mov_b32_e32 v20, 0
	v_mov_b32_e32 v18, 0
	;; [unrolled: 1-line block ×4, first 2 shown]
	s_waitcnt vmcnt(0)
	v_cmp_ne_u16_sdwa s[2:3], v17, v5 src0_sel:BYTE_0 src1_sel:DWORD
	s_and_saveexec_b64 s[12:13], s[2:3]
	s_cbranch_execz .LBB194_323
; %bb.318:                              ;   in Loop: Header=BB194_213 Depth=1
	v_bfrev_b32_e32 v18, 1
	v_mov_b32_e32 v19, 0
	v_cmp_ne_u16_sdwa s[2:3], v17, s24 src0_sel:BYTE_0 src1_sel:DWORD
	s_and_saveexec_b64 s[14:15], s[2:3]
	s_cbranch_execz .LBB194_322
; %bb.319:                              ;   in Loop: Header=BB194_213 Depth=1
	v_and_b32_e32 v0, 0x7f, v17
	v_mov_b32_e32 v18, 0x7f800001
	v_mov_b32_e32 v19, 0
	v_cmp_ne_u32_e64 s[2:3], s25, v0
	s_and_saveexec_b64 s[16:17], s[2:3]
	s_cbranch_execz .LBB194_321
; %bb.320:                              ;   in Loop: Header=BB194_213 Depth=1
	v_and_b32_e32 v9, 7, v17
	v_lshrrev_b32_e32 v10, 3, v0
	v_cmp_gt_u32_e64 s[2:3], 8, v0
	v_ffbh_u32_e32 v0, v9
	v_min_u32_e32 v0, 32, v0
	v_subrev_u32_e32 v11, 28, v0
	v_lshlrev_b64 v[18:19], v11, v[17:18]
	v_sub_u32_e32 v0, 29, v0
	v_and_b32_e32 v11, 7, v18
	v_cndmask_b32_e64 v0, v10, v0, s[2:3]
	v_cndmask_b32_e64 v9, v9, v11, s[2:3]
	v_lshlrev_b32_e32 v9, 20, v9
	v_and_b32_sdwa v10, sext(v17), s26 dst_sel:DWORD dst_unused:UNUSED_PAD src0_sel:BYTE_0 src1_sel:DWORD
	v_lshl_add_u32 v0, v0, 23, v45
	v_or3_b32 v18, v10, v0, v9
	v_mov_b32_e32 v19, v5
.LBB194_321:                            ;   in Loop: Header=BB194_213 Depth=1
	s_or_b64 exec, exec, s[16:17]
.LBB194_322:                            ;   in Loop: Header=BB194_213 Depth=1
	s_or_b64 exec, exec, s[14:15]
.LBB194_323:                            ;   in Loop: Header=BB194_213 Depth=1
	s_or_b64 exec, exec, s[12:13]
	v_cmp_ne_u16_sdwa s[2:3], v17, v5 src0_sel:BYTE_1 src1_sel:DWORD
	s_and_saveexec_b64 s[12:13], s[2:3]
	s_cbranch_execz .LBB194_329
; %bb.324:                              ;   in Loop: Header=BB194_213 Depth=1
	v_mov_b32_e32 v21, v6
	v_cmp_ne_u16_sdwa s[2:3], v17, s24 src0_sel:BYTE_1 src1_sel:DWORD
	v_mov_b32_e32 v20, v5
	s_and_saveexec_b64 s[14:15], s[2:3]
	s_cbranch_execz .LBB194_328
; %bb.325:                              ;   in Loop: Header=BB194_213 Depth=1
	v_and_b32_sdwa v0, v17, s25 dst_sel:DWORD dst_unused:UNUSED_PAD src0_sel:BYTE_1 src1_sel:DWORD
	v_mov_b32_e32 v11, v5
	v_mov_b32_e32 v21, v12
	v_cmp_ne_u32_e64 s[2:3], s25, v0
	v_mov_b32_e32 v20, v11
	s_and_saveexec_b64 s[16:17], s[2:3]
	s_cbranch_execz .LBB194_327
; %bb.326:                              ;   in Loop: Header=BB194_213 Depth=1
	v_mov_b32_e32 v9, 7
	v_and_b32_sdwa v20, v17, v9 dst_sel:DWORD dst_unused:UNUSED_PAD src0_sel:BYTE_1 src1_sel:DWORD
	v_lshrrev_b32_e32 v9, 3, v0
	v_cmp_gt_u32_e64 s[2:3], 8, v0
	v_ffbh_u32_e32 v0, v20
	v_min_u32_e32 v0, 32, v0
	v_mov_b32_e32 v21, v5
	v_subrev_u32_e32 v10, 28, v0
	v_lshlrev_b64 v[21:22], v10, v[20:21]
	v_sub_u32_e32 v0, 29, v0
	v_and_b32_e32 v10, 7, v21
	v_cndmask_b32_e64 v0, v9, v0, s[2:3]
	v_cndmask_b32_e64 v9, v20, v10, s[2:3]
	v_lshlrev_b32_e32 v10, 16, v17
	v_lshl_add_u32 v0, v0, 23, v45
	v_and_or_b32 v0, v10, s26, v0
	v_lshlrev_b32_e32 v9, 20, v9
	v_or_b32_e32 v21, v0, v9
	v_mov_b32_e32 v20, v5
.LBB194_327:                            ;   in Loop: Header=BB194_213 Depth=1
	s_or_b64 exec, exec, s[16:17]
.LBB194_328:                            ;   in Loop: Header=BB194_213 Depth=1
	s_or_b64 exec, exec, s[14:15]
.LBB194_329:                            ;   in Loop: Header=BB194_213 Depth=1
	s_or_b64 exec, exec, s[12:13]
	v_lshrrev_b32_e32 v11, 16, v17
	v_mov_b32_e32 v24, 0
	v_mov_b32_e32 v22, 0
	;; [unrolled: 1-line block ×4, first 2 shown]
	v_cmp_ne_u16_sdwa s[2:3], v11, v5 src0_sel:BYTE_0 src1_sel:DWORD
	s_and_saveexec_b64 s[12:13], s[2:3]
	s_cbranch_execz .LBB194_335
; %bb.330:                              ;   in Loop: Header=BB194_213 Depth=1
	v_bfrev_b32_e32 v22, 1
	v_mov_b32_e32 v23, 0
	v_cmp_ne_u16_sdwa s[2:3], v11, s24 src0_sel:BYTE_0 src1_sel:DWORD
	s_and_saveexec_b64 s[14:15], s[2:3]
	s_cbranch_execz .LBB194_334
; %bb.331:                              ;   in Loop: Header=BB194_213 Depth=1
	v_bfe_u32 v0, v17, 16, 7
	v_mov_b32_e32 v22, 0x7f800001
	v_mov_b32_e32 v23, 0
	v_cmp_ne_u32_e64 s[2:3], s25, v0
	s_and_saveexec_b64 s[16:17], s[2:3]
	s_cbranch_execz .LBB194_333
; %bb.332:                              ;   in Loop: Header=BB194_213 Depth=1
	v_and_b32_e32 v9, 7, v11
	v_lshrrev_b32_e32 v10, 3, v0
	v_cmp_gt_u32_e64 s[2:3], 8, v0
	v_ffbh_u32_e32 v0, v9
	v_min_u32_e32 v0, 32, v0
	v_subrev_u32_e32 v22, 28, v0
	v_lshlrev_b64 v[22:23], v22, v[11:12]
	v_sub_u32_e32 v0, 29, v0
	v_and_b32_e32 v22, 7, v22
	v_cndmask_b32_e64 v0, v10, v0, s[2:3]
	v_cndmask_b32_e64 v9, v9, v22, s[2:3]
	v_lshlrev_b32_e32 v9, 20, v9
	v_and_b32_sdwa v10, sext(v11), s26 dst_sel:DWORD dst_unused:UNUSED_PAD src0_sel:BYTE_0 src1_sel:DWORD
	v_lshl_add_u32 v0, v0, 23, v45
	v_or3_b32 v22, v10, v0, v9
	v_mov_b32_e32 v23, v5
.LBB194_333:                            ;   in Loop: Header=BB194_213 Depth=1
	s_or_b64 exec, exec, s[16:17]
.LBB194_334:                            ;   in Loop: Header=BB194_213 Depth=1
	s_or_b64 exec, exec, s[14:15]
.LBB194_335:                            ;   in Loop: Header=BB194_213 Depth=1
	s_or_b64 exec, exec, s[12:13]
	v_cmp_lt_u32_e64 s[2:3], s27, v17
	s_and_saveexec_b64 s[12:13], s[2:3]
	s_cbranch_execz .LBB194_341
; %bb.336:                              ;   in Loop: Header=BB194_213 Depth=1
	v_mov_b32_e32 v25, v6
	v_cmp_ne_u32_sdwa s[2:3], v17, s24 src0_sel:BYTE_3 src1_sel:DWORD
	v_mov_b32_e32 v24, v5
	s_and_saveexec_b64 s[14:15], s[2:3]
	s_cbranch_execz .LBB194_340
; %bb.337:                              ;   in Loop: Header=BB194_213 Depth=1
	v_bfe_u32 v0, v17, 24, 7
	v_mov_b32_e32 v11, v5
	v_mov_b32_e32 v25, v12
	v_cmp_ne_u32_e64 s[2:3], s25, v0
	v_mov_b32_e32 v24, v11
	s_and_saveexec_b64 s[16:17], s[2:3]
	s_cbranch_execz .LBB194_339
; %bb.338:                              ;   in Loop: Header=BB194_213 Depth=1
	v_mov_b32_e32 v9, 7
	v_and_b32_sdwa v24, v17, v9 dst_sel:DWORD dst_unused:UNUSED_PAD src0_sel:BYTE_3 src1_sel:DWORD
	v_lshrrev_b32_e32 v9, 3, v0
	v_cmp_gt_u32_e64 s[2:3], 8, v0
	v_ffbh_u32_e32 v0, v24
	v_min_u32_e32 v0, 32, v0
	v_mov_b32_e32 v25, v5
	v_subrev_u32_e32 v10, 28, v0
	v_lshlrev_b64 v[25:26], v10, v[24:25]
	v_sub_u32_e32 v0, 29, v0
	v_and_b32_e32 v10, 7, v25
	v_cndmask_b32_e64 v0, v9, v0, s[2:3]
	v_cndmask_b32_e64 v9, v24, v10, s[2:3]
	v_mov_b32_e32 v10, 24
	v_lshlrev_b32_sdwa v10, v10, v17 dst_sel:DWORD dst_unused:UNUSED_PAD src0_sel:DWORD src1_sel:BYTE_3
	v_lshl_add_u32 v0, v0, 23, v45
	v_and_or_b32 v0, v10, s26, v0
	v_lshlrev_b32_e32 v9, 20, v9
	v_or_b32_e32 v25, v0, v9
	v_mov_b32_e32 v24, v5
.LBB194_339:                            ;   in Loop: Header=BB194_213 Depth=1
	s_or_b64 exec, exec, s[16:17]
.LBB194_340:                            ;   in Loop: Header=BB194_213 Depth=1
	s_or_b64 exec, exec, s[14:15]
.LBB194_341:                            ;   in Loop: Header=BB194_213 Depth=1
	s_or_b64 exec, exec, s[12:13]
	v_or_b32_e32 v0, v21, v19
	v_or_b32_e32 v9, v20, v18
	v_mul_f32_e32 v38, s33, v0
	v_mul_f32_e32 v47, s28, v9
	v_or_b32_e32 v0, v25, v23
	v_or_b32_e32 v9, v24, v22
	v_mul_f32_e32 v39, s28, v9
	v_mul_f32_e32 v28, s33, v0
	s_and_saveexec_b64 s[12:13], s[0:1]
	s_cbranch_execz .LBB194_343
; %bb.342:                              ;   in Loop: Header=BB194_213 Depth=1
	v_cmp_gt_i32_e64 s[2:3], s30, v52
	v_add_u32_e32 v0, -2, v43
	v_cndmask_b32_e64 v47, 0, v47, s[2:3]
	v_cmp_gt_i32_e64 s[2:3], s30, v0
	v_add_u32_e32 v0, -1, v43
	v_cndmask_b32_e64 v38, 0, v38, s[2:3]
	v_cmp_gt_i32_e64 s[2:3], s30, v0
	v_cndmask_b32_e64 v39, 0, v39, s[2:3]
	v_cmp_gt_i32_e64 s[2:3], s30, v43
	v_cndmask_b32_e64 v28, 0, v28, s[2:3]
.LBB194_343:                            ;   in Loop: Header=BB194_213 Depth=1
	s_or_b64 exec, exec, s[12:13]
	global_load_dword v17, v[15:16], off offset:1280
	v_mov_b32_e32 v20, 0
	v_mov_b32_e32 v18, 0
	;; [unrolled: 1-line block ×4, first 2 shown]
	s_waitcnt vmcnt(0)
	v_cmp_ne_u16_sdwa s[2:3], v17, v5 src0_sel:BYTE_0 src1_sel:DWORD
	s_and_saveexec_b64 s[12:13], s[2:3]
	s_cbranch_execz .LBB194_349
; %bb.344:                              ;   in Loop: Header=BB194_213 Depth=1
	v_bfrev_b32_e32 v18, 1
	v_mov_b32_e32 v19, 0
	v_cmp_ne_u16_sdwa s[2:3], v17, s24 src0_sel:BYTE_0 src1_sel:DWORD
	s_and_saveexec_b64 s[14:15], s[2:3]
	s_cbranch_execz .LBB194_348
; %bb.345:                              ;   in Loop: Header=BB194_213 Depth=1
	v_and_b32_e32 v0, 0x7f, v17
	v_mov_b32_e32 v18, 0x7f800001
	v_mov_b32_e32 v19, 0
	v_cmp_ne_u32_e64 s[2:3], s25, v0
	s_and_saveexec_b64 s[16:17], s[2:3]
	s_cbranch_execz .LBB194_347
; %bb.346:                              ;   in Loop: Header=BB194_213 Depth=1
	v_and_b32_e32 v9, 7, v17
	v_lshrrev_b32_e32 v10, 3, v0
	v_cmp_gt_u32_e64 s[2:3], 8, v0
	v_ffbh_u32_e32 v0, v9
	v_min_u32_e32 v0, 32, v0
	v_subrev_u32_e32 v11, 28, v0
	v_lshlrev_b64 v[18:19], v11, v[17:18]
	v_sub_u32_e32 v0, 29, v0
	v_and_b32_e32 v11, 7, v18
	v_cndmask_b32_e64 v0, v10, v0, s[2:3]
	v_cndmask_b32_e64 v9, v9, v11, s[2:3]
	v_lshlrev_b32_e32 v9, 20, v9
	v_and_b32_sdwa v10, sext(v17), s26 dst_sel:DWORD dst_unused:UNUSED_PAD src0_sel:BYTE_0 src1_sel:DWORD
	v_lshl_add_u32 v0, v0, 23, v45
	v_or3_b32 v18, v10, v0, v9
	v_mov_b32_e32 v19, v5
.LBB194_347:                            ;   in Loop: Header=BB194_213 Depth=1
	s_or_b64 exec, exec, s[16:17]
.LBB194_348:                            ;   in Loop: Header=BB194_213 Depth=1
	s_or_b64 exec, exec, s[14:15]
.LBB194_349:                            ;   in Loop: Header=BB194_213 Depth=1
	s_or_b64 exec, exec, s[12:13]
	v_cmp_ne_u16_sdwa s[2:3], v17, v5 src0_sel:BYTE_1 src1_sel:DWORD
	s_and_saveexec_b64 s[12:13], s[2:3]
	s_cbranch_execz .LBB194_355
; %bb.350:                              ;   in Loop: Header=BB194_213 Depth=1
	v_mov_b32_e32 v21, v6
	v_cmp_ne_u16_sdwa s[2:3], v17, s24 src0_sel:BYTE_1 src1_sel:DWORD
	v_mov_b32_e32 v20, v5
	s_and_saveexec_b64 s[14:15], s[2:3]
	s_cbranch_execz .LBB194_354
; %bb.351:                              ;   in Loop: Header=BB194_213 Depth=1
	v_and_b32_sdwa v0, v17, s25 dst_sel:DWORD dst_unused:UNUSED_PAD src0_sel:BYTE_1 src1_sel:DWORD
	v_mov_b32_e32 v11, v5
	v_mov_b32_e32 v21, v12
	v_cmp_ne_u32_e64 s[2:3], s25, v0
	v_mov_b32_e32 v20, v11
	s_and_saveexec_b64 s[16:17], s[2:3]
	s_cbranch_execz .LBB194_353
; %bb.352:                              ;   in Loop: Header=BB194_213 Depth=1
	v_mov_b32_e32 v9, 7
	v_and_b32_sdwa v20, v17, v9 dst_sel:DWORD dst_unused:UNUSED_PAD src0_sel:BYTE_1 src1_sel:DWORD
	v_lshrrev_b32_e32 v9, 3, v0
	v_cmp_gt_u32_e64 s[2:3], 8, v0
	v_ffbh_u32_e32 v0, v20
	v_min_u32_e32 v0, 32, v0
	v_mov_b32_e32 v21, v5
	v_subrev_u32_e32 v10, 28, v0
	v_lshlrev_b64 v[21:22], v10, v[20:21]
	v_sub_u32_e32 v0, 29, v0
	v_and_b32_e32 v10, 7, v21
	v_cndmask_b32_e64 v0, v9, v0, s[2:3]
	v_cndmask_b32_e64 v9, v20, v10, s[2:3]
	v_lshlrev_b32_e32 v10, 16, v17
	v_lshl_add_u32 v0, v0, 23, v45
	v_and_or_b32 v0, v10, s26, v0
	v_lshlrev_b32_e32 v9, 20, v9
	v_or_b32_e32 v21, v0, v9
	v_mov_b32_e32 v20, v5
.LBB194_353:                            ;   in Loop: Header=BB194_213 Depth=1
	s_or_b64 exec, exec, s[16:17]
.LBB194_354:                            ;   in Loop: Header=BB194_213 Depth=1
	s_or_b64 exec, exec, s[14:15]
.LBB194_355:                            ;   in Loop: Header=BB194_213 Depth=1
	s_or_b64 exec, exec, s[12:13]
	v_lshrrev_b32_e32 v11, 16, v17
	v_mov_b32_e32 v24, 0
	v_mov_b32_e32 v22, 0
	;; [unrolled: 1-line block ×4, first 2 shown]
	v_cmp_ne_u16_sdwa s[2:3], v11, v5 src0_sel:BYTE_0 src1_sel:DWORD
	s_and_saveexec_b64 s[12:13], s[2:3]
	s_cbranch_execz .LBB194_361
; %bb.356:                              ;   in Loop: Header=BB194_213 Depth=1
	v_bfrev_b32_e32 v22, 1
	v_mov_b32_e32 v23, 0
	v_cmp_ne_u16_sdwa s[2:3], v11, s24 src0_sel:BYTE_0 src1_sel:DWORD
	s_and_saveexec_b64 s[14:15], s[2:3]
	s_cbranch_execz .LBB194_360
; %bb.357:                              ;   in Loop: Header=BB194_213 Depth=1
	v_bfe_u32 v0, v17, 16, 7
	v_mov_b32_e32 v22, 0x7f800001
	v_mov_b32_e32 v23, 0
	v_cmp_ne_u32_e64 s[2:3], s25, v0
	s_and_saveexec_b64 s[16:17], s[2:3]
	s_cbranch_execz .LBB194_359
; %bb.358:                              ;   in Loop: Header=BB194_213 Depth=1
	v_and_b32_e32 v9, 7, v11
	v_lshrrev_b32_e32 v10, 3, v0
	v_cmp_gt_u32_e64 s[2:3], 8, v0
	v_ffbh_u32_e32 v0, v9
	v_min_u32_e32 v0, 32, v0
	v_subrev_u32_e32 v22, 28, v0
	v_lshlrev_b64 v[22:23], v22, v[11:12]
	v_sub_u32_e32 v0, 29, v0
	v_and_b32_e32 v22, 7, v22
	v_cndmask_b32_e64 v0, v10, v0, s[2:3]
	v_cndmask_b32_e64 v9, v9, v22, s[2:3]
	v_lshlrev_b32_e32 v9, 20, v9
	v_and_b32_sdwa v10, sext(v11), s26 dst_sel:DWORD dst_unused:UNUSED_PAD src0_sel:BYTE_0 src1_sel:DWORD
	v_lshl_add_u32 v0, v0, 23, v45
	v_or3_b32 v22, v10, v0, v9
	v_mov_b32_e32 v23, v5
.LBB194_359:                            ;   in Loop: Header=BB194_213 Depth=1
	s_or_b64 exec, exec, s[16:17]
.LBB194_360:                            ;   in Loop: Header=BB194_213 Depth=1
	s_or_b64 exec, exec, s[14:15]
.LBB194_361:                            ;   in Loop: Header=BB194_213 Depth=1
	s_or_b64 exec, exec, s[12:13]
	v_cmp_lt_u32_e64 s[2:3], s27, v17
	s_and_saveexec_b64 s[12:13], s[2:3]
	s_cbranch_execz .LBB194_367
; %bb.362:                              ;   in Loop: Header=BB194_213 Depth=1
	v_mov_b32_e32 v25, v6
	v_cmp_ne_u32_sdwa s[2:3], v17, s24 src0_sel:BYTE_3 src1_sel:DWORD
	v_mov_b32_e32 v24, v5
	s_and_saveexec_b64 s[14:15], s[2:3]
	s_cbranch_execz .LBB194_366
; %bb.363:                              ;   in Loop: Header=BB194_213 Depth=1
	v_bfe_u32 v0, v17, 24, 7
	v_mov_b32_e32 v11, v5
	v_mov_b32_e32 v25, v12
	v_cmp_ne_u32_e64 s[2:3], s25, v0
	v_mov_b32_e32 v24, v11
	s_and_saveexec_b64 s[16:17], s[2:3]
	s_cbranch_execz .LBB194_365
; %bb.364:                              ;   in Loop: Header=BB194_213 Depth=1
	v_mov_b32_e32 v9, 7
	v_and_b32_sdwa v24, v17, v9 dst_sel:DWORD dst_unused:UNUSED_PAD src0_sel:BYTE_3 src1_sel:DWORD
	v_lshrrev_b32_e32 v9, 3, v0
	v_cmp_gt_u32_e64 s[2:3], 8, v0
	v_ffbh_u32_e32 v0, v24
	v_min_u32_e32 v0, 32, v0
	v_mov_b32_e32 v25, v5
	v_subrev_u32_e32 v10, 28, v0
	v_lshlrev_b64 v[25:26], v10, v[24:25]
	v_sub_u32_e32 v0, 29, v0
	v_and_b32_e32 v10, 7, v25
	v_cndmask_b32_e64 v0, v9, v0, s[2:3]
	v_cndmask_b32_e64 v9, v24, v10, s[2:3]
	v_mov_b32_e32 v10, 24
	v_lshlrev_b32_sdwa v10, v10, v17 dst_sel:DWORD dst_unused:UNUSED_PAD src0_sel:DWORD src1_sel:BYTE_3
	v_lshl_add_u32 v0, v0, 23, v45
	v_and_or_b32 v0, v10, s26, v0
	v_lshlrev_b32_e32 v9, 20, v9
	v_or_b32_e32 v25, v0, v9
	v_mov_b32_e32 v24, v5
.LBB194_365:                            ;   in Loop: Header=BB194_213 Depth=1
	s_or_b64 exec, exec, s[16:17]
.LBB194_366:                            ;   in Loop: Header=BB194_213 Depth=1
	s_or_b64 exec, exec, s[14:15]
.LBB194_367:                            ;   in Loop: Header=BB194_213 Depth=1
	s_or_b64 exec, exec, s[12:13]
	v_or_b32_e32 v9, v20, v18
	v_or_b32_e32 v0, v21, v19
	v_mul_f32_e32 v42, s28, v9
	v_or_b32_e32 v9, v25, v23
	v_or_b32_e32 v10, v24, v22
	v_mul_f32_e32 v0, s33, v0
	v_mul_f32_e32 v25, s28, v10
	;; [unrolled: 1-line block ×3, first 2 shown]
	s_and_saveexec_b64 s[12:13], s[0:1]
	s_cbranch_execz .LBB194_369
; %bb.368:                              ;   in Loop: Header=BB194_213 Depth=1
	v_cmp_gt_i32_e64 s[2:3], s30, v52
	v_add_u32_e32 v9, -2, v43
	v_cndmask_b32_e64 v42, 0, v42, s[2:3]
	v_cmp_gt_i32_e64 s[2:3], s30, v9
	v_add_u32_e32 v9, -1, v43
	v_cndmask_b32_e64 v0, 0, v0, s[2:3]
	v_cmp_gt_i32_e64 s[2:3], s30, v9
	v_cndmask_b32_e64 v25, 0, v25, s[2:3]
	v_cmp_gt_i32_e64 s[2:3], s30, v43
	v_cndmask_b32_e64 v24, 0, v24, s[2:3]
.LBB194_369:                            ;   in Loop: Header=BB194_213 Depth=1
	s_or_b64 exec, exec, s[12:13]
	global_load_dword v15, v[15:16], off offset:1536
	v_mov_b32_e32 v18, 0
	v_mov_b32_e32 v16, 0
	v_mov_b32_e32 v19, 0
	v_mov_b32_e32 v17, 0
	s_waitcnt vmcnt(0)
	v_cmp_ne_u16_sdwa s[2:3], v15, v5 src0_sel:BYTE_0 src1_sel:DWORD
	s_and_saveexec_b64 s[12:13], s[2:3]
	s_cbranch_execz .LBB194_375
; %bb.370:                              ;   in Loop: Header=BB194_213 Depth=1
	v_bfrev_b32_e32 v16, 1
	v_mov_b32_e32 v17, 0
	v_cmp_ne_u16_sdwa s[2:3], v15, s24 src0_sel:BYTE_0 src1_sel:DWORD
	s_and_saveexec_b64 s[14:15], s[2:3]
	s_cbranch_execz .LBB194_374
; %bb.371:                              ;   in Loop: Header=BB194_213 Depth=1
	v_and_b32_e32 v11, 0x7f, v15
	v_mov_b32_e32 v16, 0x7f800001
	v_mov_b32_e32 v17, 0
	v_cmp_ne_u32_e64 s[2:3], s25, v11
	s_and_saveexec_b64 s[16:17], s[2:3]
	s_cbranch_execz .LBB194_373
; %bb.372:                              ;   in Loop: Header=BB194_213 Depth=1
	v_and_b32_e32 v9, 7, v15
	v_lshrrev_b32_e32 v10, 3, v11
	v_cmp_gt_u32_e64 s[2:3], 8, v11
	v_ffbh_u32_e32 v11, v9
	v_min_u32_e32 v11, 32, v11
	v_subrev_u32_e32 v16, 28, v11
	v_lshlrev_b64 v[16:17], v16, v[15:16]
	v_sub_u32_e32 v11, 29, v11
	v_and_b32_e32 v16, 7, v16
	v_cndmask_b32_e64 v10, v10, v11, s[2:3]
	v_cndmask_b32_e64 v9, v9, v16, s[2:3]
	v_lshlrev_b32_e32 v9, 20, v9
	v_and_b32_sdwa v11, sext(v15), s26 dst_sel:DWORD dst_unused:UNUSED_PAD src0_sel:BYTE_0 src1_sel:DWORD
	v_lshl_add_u32 v10, v10, 23, v45
	v_or3_b32 v16, v11, v10, v9
	v_mov_b32_e32 v17, v5
.LBB194_373:                            ;   in Loop: Header=BB194_213 Depth=1
	s_or_b64 exec, exec, s[16:17]
.LBB194_374:                            ;   in Loop: Header=BB194_213 Depth=1
	s_or_b64 exec, exec, s[14:15]
.LBB194_375:                            ;   in Loop: Header=BB194_213 Depth=1
	s_or_b64 exec, exec, s[12:13]
	v_cmp_ne_u16_sdwa s[2:3], v15, v5 src0_sel:BYTE_1 src1_sel:DWORD
	s_and_saveexec_b64 s[12:13], s[2:3]
	s_cbranch_execz .LBB194_381
; %bb.376:                              ;   in Loop: Header=BB194_213 Depth=1
	v_mov_b32_e32 v19, v6
	v_cmp_ne_u16_sdwa s[2:3], v15, s24 src0_sel:BYTE_1 src1_sel:DWORD
	v_mov_b32_e32 v18, v5
	s_and_saveexec_b64 s[14:15], s[2:3]
	s_cbranch_execz .LBB194_380
; %bb.377:                              ;   in Loop: Header=BB194_213 Depth=1
	v_and_b32_sdwa v20, v15, s25 dst_sel:DWORD dst_unused:UNUSED_PAD src0_sel:BYTE_1 src1_sel:DWORD
	v_mov_b32_e32 v11, v5
	v_mov_b32_e32 v19, v12
	v_cmp_ne_u32_e64 s[2:3], s25, v20
	v_mov_b32_e32 v18, v11
	s_and_saveexec_b64 s[16:17], s[2:3]
	s_cbranch_execz .LBB194_379
; %bb.378:                              ;   in Loop: Header=BB194_213 Depth=1
	v_mov_b32_e32 v9, 7
	v_and_b32_sdwa v18, v15, v9 dst_sel:DWORD dst_unused:UNUSED_PAD src0_sel:BYTE_1 src1_sel:DWORD
	v_ffbh_u32_e32 v10, v18
	v_min_u32_e32 v10, 32, v10
	v_mov_b32_e32 v19, v5
	v_subrev_u32_e32 v11, 28, v10
	v_lshrrev_b32_e32 v9, 3, v20
	v_cmp_gt_u32_e64 s[2:3], 8, v20
	v_lshlrev_b64 v[19:20], v11, v[18:19]
	v_sub_u32_e32 v10, 29, v10
	v_and_b32_e32 v11, 7, v19
	v_cndmask_b32_e64 v9, v9, v10, s[2:3]
	v_cndmask_b32_e64 v10, v18, v11, s[2:3]
	v_lshlrev_b32_e32 v11, 16, v15
	v_lshl_add_u32 v9, v9, 23, v45
	v_and_or_b32 v9, v11, s26, v9
	v_lshlrev_b32_e32 v10, 20, v10
	v_or_b32_e32 v19, v9, v10
	v_mov_b32_e32 v18, v5
.LBB194_379:                            ;   in Loop: Header=BB194_213 Depth=1
	s_or_b64 exec, exec, s[16:17]
.LBB194_380:                            ;   in Loop: Header=BB194_213 Depth=1
	s_or_b64 exec, exec, s[14:15]
.LBB194_381:                            ;   in Loop: Header=BB194_213 Depth=1
	s_or_b64 exec, exec, s[12:13]
	v_lshrrev_b32_e32 v11, 16, v15
	v_mov_b32_e32 v22, 0
	v_mov_b32_e32 v20, 0
	;; [unrolled: 1-line block ×4, first 2 shown]
	v_cmp_ne_u16_sdwa s[2:3], v11, v5 src0_sel:BYTE_0 src1_sel:DWORD
	s_and_saveexec_b64 s[12:13], s[2:3]
	s_cbranch_execz .LBB194_387
; %bb.382:                              ;   in Loop: Header=BB194_213 Depth=1
	v_bfrev_b32_e32 v20, 1
	v_mov_b32_e32 v21, 0
	v_cmp_ne_u16_sdwa s[2:3], v11, s24 src0_sel:BYTE_0 src1_sel:DWORD
	s_and_saveexec_b64 s[14:15], s[2:3]
	s_cbranch_execz .LBB194_386
; %bb.383:                              ;   in Loop: Header=BB194_213 Depth=1
	v_bfe_u32 v26, v15, 16, 7
	v_mov_b32_e32 v20, 0x7f800001
	v_mov_b32_e32 v21, 0
	v_cmp_ne_u32_e64 s[2:3], s25, v26
	s_and_saveexec_b64 s[16:17], s[2:3]
	s_cbranch_execz .LBB194_385
; %bb.384:                              ;   in Loop: Header=BB194_213 Depth=1
	v_and_b32_e32 v9, 7, v11
	v_ffbh_u32_e32 v20, v9
	v_lshrrev_b32_e32 v10, 3, v26
	v_cmp_gt_u32_e64 s[2:3], 8, v26
	v_min_u32_e32 v26, 32, v20
	v_subrev_u32_e32 v20, 28, v26
	v_lshlrev_b64 v[20:21], v20, v[11:12]
	v_sub_u32_e32 v21, 29, v26
	v_and_b32_e32 v20, 7, v20
	v_cndmask_b32_e64 v10, v10, v21, s[2:3]
	v_cndmask_b32_e64 v9, v9, v20, s[2:3]
	v_lshlrev_b32_e32 v9, 20, v9
	v_and_b32_sdwa v11, sext(v11), s26 dst_sel:DWORD dst_unused:UNUSED_PAD src0_sel:BYTE_0 src1_sel:DWORD
	v_lshl_add_u32 v10, v10, 23, v45
	v_or3_b32 v20, v11, v10, v9
	v_mov_b32_e32 v21, v5
.LBB194_385:                            ;   in Loop: Header=BB194_213 Depth=1
	s_or_b64 exec, exec, s[16:17]
.LBB194_386:                            ;   in Loop: Header=BB194_213 Depth=1
	s_or_b64 exec, exec, s[14:15]
.LBB194_387:                            ;   in Loop: Header=BB194_213 Depth=1
	s_or_b64 exec, exec, s[12:13]
	v_cmp_lt_u32_e64 s[2:3], s27, v15
	s_and_saveexec_b64 s[12:13], s[2:3]
	s_cbranch_execz .LBB194_393
; %bb.388:                              ;   in Loop: Header=BB194_213 Depth=1
	v_mov_b32_e32 v23, v6
	v_cmp_ne_u32_sdwa s[2:3], v15, s24 src0_sel:BYTE_3 src1_sel:DWORD
	v_mov_b32_e32 v22, v5
	s_and_saveexec_b64 s[14:15], s[2:3]
	s_cbranch_execz .LBB194_392
; %bb.389:                              ;   in Loop: Header=BB194_213 Depth=1
	v_bfe_u32 v26, v15, 24, 7
	v_mov_b32_e32 v11, v5
	v_mov_b32_e32 v23, v12
	v_cmp_ne_u32_e64 s[2:3], s25, v26
	v_mov_b32_e32 v22, v11
	s_and_saveexec_b64 s[16:17], s[2:3]
	s_cbranch_execz .LBB194_391
; %bb.390:                              ;   in Loop: Header=BB194_213 Depth=1
	v_mov_b32_e32 v9, 7
	v_and_b32_sdwa v22, v15, v9 dst_sel:DWORD dst_unused:UNUSED_PAD src0_sel:BYTE_3 src1_sel:DWORD
	v_ffbh_u32_e32 v10, v22
	v_min_u32_e32 v10, 32, v10
	v_mov_b32_e32 v23, v5
	v_subrev_u32_e32 v11, 28, v10
	v_lshrrev_b32_e32 v9, 3, v26
	v_cmp_gt_u32_e64 s[2:3], 8, v26
	v_lshlrev_b64 v[26:27], v11, v[22:23]
	v_sub_u32_e32 v10, 29, v10
	v_and_b32_e32 v11, 7, v26
	v_cndmask_b32_e64 v9, v9, v10, s[2:3]
	v_cndmask_b32_e64 v10, v22, v11, s[2:3]
	v_mov_b32_e32 v11, 24
	v_lshlrev_b32_sdwa v11, v11, v15 dst_sel:DWORD dst_unused:UNUSED_PAD src0_sel:DWORD src1_sel:BYTE_3
	v_lshl_add_u32 v9, v9, 23, v45
	v_and_or_b32 v9, v11, s26, v9
	v_lshlrev_b32_e32 v10, 20, v10
	v_or_b32_e32 v23, v9, v10
	v_mov_b32_e32 v22, v5
.LBB194_391:                            ;   in Loop: Header=BB194_213 Depth=1
	s_or_b64 exec, exec, s[16:17]
.LBB194_392:                            ;   in Loop: Header=BB194_213 Depth=1
	s_or_b64 exec, exec, s[14:15]
.LBB194_393:                            ;   in Loop: Header=BB194_213 Depth=1
	s_or_b64 exec, exec, s[12:13]
	v_or_b32_e32 v9, v19, v17
	v_or_b32_e32 v10, v18, v16
	v_mul_f32_e32 v27, s33, v9
	v_mul_f32_e32 v26, s28, v10
	v_or_b32_e32 v9, v23, v21
	v_or_b32_e32 v10, v22, v20
	v_mul_f32_e32 v23, s28, v10
	v_mul_f32_e32 v22, s33, v9
	s_and_saveexec_b64 s[12:13], s[0:1]
	s_cbranch_execz .LBB194_395
; %bb.394:                              ;   in Loop: Header=BB194_213 Depth=1
	v_cmp_gt_i32_e64 s[2:3], s30, v52
	v_add_u32_e32 v9, -2, v43
	v_cndmask_b32_e64 v26, 0, v26, s[2:3]
	v_cmp_gt_i32_e64 s[2:3], s30, v9
	v_add_u32_e32 v9, -1, v43
	v_cndmask_b32_e64 v27, 0, v27, s[2:3]
	v_cmp_gt_i32_e64 s[2:3], s30, v9
	v_cndmask_b32_e64 v23, 0, v23, s[2:3]
	v_cmp_gt_i32_e64 s[2:3], s30, v43
	v_cndmask_b32_e64 v22, 0, v22, s[2:3]
.LBB194_395:                            ;   in Loop: Header=BB194_213 Depth=1
	s_or_b64 exec, exec, s[12:13]
	s_and_saveexec_b64 s[12:13], vcc
	s_cbranch_execz .LBB194_212
; %bb.396:                              ;   in Loop: Header=BB194_213 Depth=1
	v_add_co_u32_e64 v13, s[2:3], v13, v46
	v_addc_co_u32_e64 v14, s[2:3], 0, v14, s[2:3]
	global_load_dword v13, v[13:14], off
	v_mov_b32_e32 v16, 0
	v_mov_b32_e32 v14, 0
	;; [unrolled: 1-line block ×4, first 2 shown]
	s_waitcnt vmcnt(0)
	v_cmp_ne_u16_sdwa s[2:3], v13, v5 src0_sel:BYTE_0 src1_sel:DWORD
	s_and_saveexec_b64 s[14:15], s[2:3]
	s_cbranch_execz .LBB194_402
; %bb.397:                              ;   in Loop: Header=BB194_213 Depth=1
	v_bfrev_b32_e32 v14, 1
	v_mov_b32_e32 v15, 0
	v_cmp_ne_u16_sdwa s[2:3], v13, s24 src0_sel:BYTE_0 src1_sel:DWORD
	s_and_saveexec_b64 s[16:17], s[2:3]
	s_cbranch_execz .LBB194_401
; %bb.398:                              ;   in Loop: Header=BB194_213 Depth=1
	v_and_b32_e32 v11, 0x7f, v13
	v_mov_b32_e32 v14, 0x7f800001
	v_mov_b32_e32 v15, 0
	v_cmp_ne_u32_e64 s[2:3], s25, v11
	s_and_saveexec_b64 s[18:19], s[2:3]
	s_cbranch_execz .LBB194_400
; %bb.399:                              ;   in Loop: Header=BB194_213 Depth=1
	v_and_b32_e32 v9, 7, v13
	v_lshrrev_b32_e32 v10, 3, v11
	v_cmp_gt_u32_e64 s[2:3], 8, v11
	v_ffbh_u32_e32 v11, v9
	v_min_u32_e32 v11, 32, v11
	v_subrev_u32_e32 v14, 28, v11
	v_lshlrev_b64 v[14:15], v14, v[13:14]
	v_sub_u32_e32 v11, 29, v11
	v_and_b32_e32 v14, 7, v14
	v_cndmask_b32_e64 v10, v10, v11, s[2:3]
	v_cndmask_b32_e64 v9, v9, v14, s[2:3]
	v_lshlrev_b32_e32 v9, 20, v9
	v_and_b32_sdwa v11, sext(v13), s26 dst_sel:DWORD dst_unused:UNUSED_PAD src0_sel:BYTE_0 src1_sel:DWORD
	v_lshl_add_u32 v10, v10, 23, v45
	v_or3_b32 v14, v11, v10, v9
	v_mov_b32_e32 v15, v5
.LBB194_400:                            ;   in Loop: Header=BB194_213 Depth=1
	s_or_b64 exec, exec, s[18:19]
.LBB194_401:                            ;   in Loop: Header=BB194_213 Depth=1
	s_or_b64 exec, exec, s[16:17]
.LBB194_402:                            ;   in Loop: Header=BB194_213 Depth=1
	s_or_b64 exec, exec, s[14:15]
	v_cmp_ne_u16_sdwa s[2:3], v13, v5 src0_sel:BYTE_1 src1_sel:DWORD
	s_and_saveexec_b64 s[14:15], s[2:3]
	s_cbranch_execz .LBB194_408
; %bb.403:                              ;   in Loop: Header=BB194_213 Depth=1
	v_mov_b32_e32 v17, v6
	v_cmp_ne_u16_sdwa s[2:3], v13, s24 src0_sel:BYTE_1 src1_sel:DWORD
	v_mov_b32_e32 v16, v5
	s_and_saveexec_b64 s[16:17], s[2:3]
	s_cbranch_execz .LBB194_407
; %bb.404:                              ;   in Loop: Header=BB194_213 Depth=1
	v_and_b32_sdwa v18, v13, s25 dst_sel:DWORD dst_unused:UNUSED_PAD src0_sel:BYTE_1 src1_sel:DWORD
	v_mov_b32_e32 v11, v5
	v_mov_b32_e32 v17, v12
	v_cmp_ne_u32_e64 s[2:3], s25, v18
	v_mov_b32_e32 v16, v11
	s_and_saveexec_b64 s[18:19], s[2:3]
	s_cbranch_execz .LBB194_406
; %bb.405:                              ;   in Loop: Header=BB194_213 Depth=1
	v_mov_b32_e32 v9, 7
	v_and_b32_sdwa v16, v13, v9 dst_sel:DWORD dst_unused:UNUSED_PAD src0_sel:BYTE_1 src1_sel:DWORD
	v_ffbh_u32_e32 v10, v16
	v_min_u32_e32 v10, 32, v10
	v_mov_b32_e32 v17, v5
	v_subrev_u32_e32 v11, 28, v10
	v_lshrrev_b32_e32 v9, 3, v18
	v_cmp_gt_u32_e64 s[2:3], 8, v18
	v_lshlrev_b64 v[17:18], v11, v[16:17]
	v_sub_u32_e32 v10, 29, v10
	v_and_b32_e32 v11, 7, v17
	v_cndmask_b32_e64 v9, v9, v10, s[2:3]
	v_cndmask_b32_e64 v10, v16, v11, s[2:3]
	v_lshlrev_b32_e32 v11, 16, v13
	v_lshl_add_u32 v9, v9, 23, v45
	v_and_or_b32 v9, v11, s26, v9
	v_lshlrev_b32_e32 v10, 20, v10
	v_or_b32_e32 v17, v9, v10
	v_mov_b32_e32 v16, v5
.LBB194_406:                            ;   in Loop: Header=BB194_213 Depth=1
	s_or_b64 exec, exec, s[18:19]
.LBB194_407:                            ;   in Loop: Header=BB194_213 Depth=1
	s_or_b64 exec, exec, s[16:17]
.LBB194_408:                            ;   in Loop: Header=BB194_213 Depth=1
	s_or_b64 exec, exec, s[14:15]
	v_lshrrev_b32_e32 v11, 16, v13
	v_mov_b32_e32 v20, 0
	v_mov_b32_e32 v18, 0
	;; [unrolled: 1-line block ×4, first 2 shown]
	v_cmp_ne_u16_sdwa s[2:3], v11, v5 src0_sel:BYTE_0 src1_sel:DWORD
	s_and_saveexec_b64 s[14:15], s[2:3]
	s_cbranch_execz .LBB194_414
; %bb.409:                              ;   in Loop: Header=BB194_213 Depth=1
	v_bfrev_b32_e32 v18, 1
	v_mov_b32_e32 v19, 0
	v_cmp_ne_u16_sdwa s[2:3], v11, s24 src0_sel:BYTE_0 src1_sel:DWORD
	s_and_saveexec_b64 s[16:17], s[2:3]
	s_cbranch_execz .LBB194_413
; %bb.410:                              ;   in Loop: Header=BB194_213 Depth=1
	v_bfe_u32 v46, v13, 16, 7
	v_mov_b32_e32 v18, 0x7f800001
	v_mov_b32_e32 v19, 0
	v_cmp_ne_u32_e64 s[2:3], s25, v46
	s_and_saveexec_b64 s[18:19], s[2:3]
	s_cbranch_execz .LBB194_412
; %bb.411:                              ;   in Loop: Header=BB194_213 Depth=1
	v_and_b32_e32 v9, 7, v11
	v_ffbh_u32_e32 v18, v9
	v_min_u32_e32 v41, 32, v18
	v_subrev_u32_e32 v18, 28, v41
	v_lshlrev_b64 v[18:19], v18, v[11:12]
	v_sub_u32_e32 v19, 29, v41
	buffer_load_dword v41, off, s[44:47], 0 offset:12 ; 4-byte Folded Reload
	v_lshrrev_b32_e32 v10, 3, v46
	v_cmp_gt_u32_e64 s[2:3], 8, v46
	v_and_b32_e32 v18, 7, v18
	v_cndmask_b32_e64 v10, v10, v19, s[2:3]
	v_cndmask_b32_e64 v9, v9, v18, s[2:3]
	v_lshlrev_b32_e32 v9, 20, v9
	v_and_b32_sdwa v11, sext(v11), s26 dst_sel:DWORD dst_unused:UNUSED_PAD src0_sel:BYTE_0 src1_sel:DWORD
	v_lshl_add_u32 v10, v10, 23, v45
	v_or3_b32 v18, v11, v10, v9
	v_mov_b32_e32 v19, v5
.LBB194_412:                            ;   in Loop: Header=BB194_213 Depth=1
	s_or_b64 exec, exec, s[18:19]
	buffer_load_dword v46, off, s[44:47], 0 offset:8 ; 4-byte Folded Reload
.LBB194_413:                            ;   in Loop: Header=BB194_213 Depth=1
	s_or_b64 exec, exec, s[16:17]
.LBB194_414:                            ;   in Loop: Header=BB194_213 Depth=1
	s_or_b64 exec, exec, s[14:15]
	v_cmp_lt_u32_e64 s[2:3], s27, v13
	s_and_saveexec_b64 s[14:15], s[2:3]
	s_cbranch_execz .LBB194_420
; %bb.415:                              ;   in Loop: Header=BB194_213 Depth=1
	v_mov_b32_e32 v21, v6
	v_cmp_ne_u32_sdwa s[2:3], v13, s24 src0_sel:BYTE_3 src1_sel:DWORD
	v_mov_b32_e32 v20, v5
	s_and_saveexec_b64 s[16:17], s[2:3]
	s_cbranch_execz .LBB194_419
; %bb.416:                              ;   in Loop: Header=BB194_213 Depth=1
	s_waitcnt vmcnt(0)
	v_bfe_u32 v46, v13, 24, 7
	v_mov_b32_e32 v11, v5
	v_mov_b32_e32 v21, v12
	v_cmp_ne_u32_e64 s[2:3], s25, v46
	v_mov_b32_e32 v20, v11
	s_and_saveexec_b64 s[18:19], s[2:3]
	s_cbranch_execz .LBB194_418
; %bb.417:                              ;   in Loop: Header=BB194_213 Depth=1
	v_mov_b32_e32 v9, 7
	v_and_b32_sdwa v20, v13, v9 dst_sel:DWORD dst_unused:UNUSED_PAD src0_sel:BYTE_3 src1_sel:DWORD
	v_ffbh_u32_e32 v9, v20
	v_min_u32_e32 v41, 32, v9
	v_mov_b32_e32 v21, v5
	v_subrev_u32_e32 v9, 28, v41
	v_lshlrev_b64 v[9:10], v9, v[20:21]
	v_sub_u32_e32 v10, 29, v41
	buffer_load_dword v41, off, s[44:47], 0 offset:12 ; 4-byte Folded Reload
	v_lshrrev_b32_e32 v11, 3, v46
	v_cmp_gt_u32_e64 s[2:3], 8, v46
	v_and_b32_e32 v9, 7, v9
	v_cndmask_b32_e64 v10, v11, v10, s[2:3]
	v_mov_b32_e32 v11, 24
	v_cndmask_b32_e64 v9, v20, v9, s[2:3]
	v_lshlrev_b32_sdwa v11, v11, v13 dst_sel:DWORD dst_unused:UNUSED_PAD src0_sel:DWORD src1_sel:BYTE_3
	v_lshl_add_u32 v10, v10, 23, v45
	v_and_or_b32 v10, v11, s26, v10
	v_lshlrev_b32_e32 v9, 20, v9
	v_or_b32_e32 v21, v10, v9
	v_mov_b32_e32 v20, v5
.LBB194_418:                            ;   in Loop: Header=BB194_213 Depth=1
	s_or_b64 exec, exec, s[18:19]
	buffer_load_dword v46, off, s[44:47], 0 offset:8 ; 4-byte Folded Reload
.LBB194_419:                            ;   in Loop: Header=BB194_213 Depth=1
	s_or_b64 exec, exec, s[16:17]
.LBB194_420:                            ;   in Loop: Header=BB194_213 Depth=1
	s_or_b64 exec, exec, s[14:15]
	v_or_b32_e32 v9, v17, v15
	v_or_b32_e32 v10, v16, v14
	v_mul_f32_e32 v11, s33, v9
	v_mul_f32_e32 v15, s28, v10
	v_or_b32_e32 v9, v21, v19
	v_or_b32_e32 v10, v20, v18
	v_mul_f32_e32 v14, s28, v10
	v_mul_f32_e32 v13, s33, v9
	s_and_saveexec_b64 s[2:3], s[0:1]
	s_cbranch_execz .LBB194_211
; %bb.421:                              ;   in Loop: Header=BB194_213 Depth=1
	v_cmp_gt_i32_e64 s[0:1], s30, v52
	v_add_u32_e32 v9, -2, v43
	v_cndmask_b32_e64 v15, 0, v15, s[0:1]
	v_cmp_gt_i32_e64 s[0:1], s30, v9
	v_add_u32_e32 v9, -1, v43
	v_cndmask_b32_e64 v11, 0, v11, s[0:1]
	v_cmp_gt_i32_e64 s[0:1], s30, v9
	v_cndmask_b32_e64 v14, 0, v14, s[0:1]
	v_cmp_gt_i32_e64 s[0:1], s30, v43
	v_cndmask_b32_e64 v13, 0, v13, s[0:1]
	s_branch .LBB194_211
.LBB194_422:
	s_or_b64 exec, exec, s[6:7]
	buffer_load_dword v14, off, s[44:47], 0 offset:16 ; 4-byte Folded Reload
	buffer_load_dword v9, off, s[44:47], 0 offset:20 ; 4-byte Folded Reload
	;; [unrolled: 1-line block ×3, first 2 shown]
.LBB194_423:
	s_or_b64 exec, exec, s[4:5]
	s_waitcnt vmcnt(1)
	ds_bpermute_b32 v0, v9, v35
	ds_bpermute_b32 v1, v9, v36
	;; [unrolled: 1-line block ×4, first 2 shown]
	s_waitcnt lgkmcnt(0)
	v_add_f32_e32 v0, v35, v0
	ds_bpermute_b32 v3, v14, v0
	v_add_f32_e32 v1, v36, v1
	ds_bpermute_b32 v4, v14, v1
	;; [unrolled: 2-line block ×3, first 2 shown]
	s_waitcnt lgkmcnt(2)
	v_add_f32_e32 v7, v0, v3
	ds_bpermute_b32 v3, v9, v31
	s_waitcnt lgkmcnt(2)
	v_add_f32_e32 v5, v1, v4
	v_add_f32_e32 v1, v33, v8
	s_waitcnt lgkmcnt(1)
	v_add_f32_e32 v4, v2, v6
	ds_bpermute_b32 v2, v14, v1
	s_waitcnt lgkmcnt(1)
	v_add_f32_e32 v10, v31, v3
	ds_bpermute_b32 v6, v9, v29
	ds_bpermute_b32 v11, v14, v10
	s_waitcnt vmcnt(0) lgkmcnt(0)
	s_barrier
	ds_bpermute_b32 v0, v9, v32
	v_add_f32_e32 v12, v29, v6
	v_add_f32_e32 v6, v1, v2
	;; [unrolled: 1-line block ×3, first 2 shown]
	buffer_load_dword v11, off, s[44:47], 0 offset:80 ; 4-byte Folded Reload
	s_waitcnt lgkmcnt(0)
	v_add_f32_e32 v0, v32, v0
	ds_bpermute_b32 v8, v14, v0
	ds_bpermute_b32 v9, v9, v30
	;; [unrolled: 1-line block ×3, first 2 shown]
	s_waitcnt lgkmcnt(2)
	v_add_f32_e32 v3, v0, v8
	s_waitcnt lgkmcnt(1)
	v_add_f32_e32 v9, v30, v9
	ds_bpermute_b32 v14, v14, v9
	s_waitcnt lgkmcnt(1)
	v_add_f32_e32 v1, v12, v13
	s_waitcnt lgkmcnt(0)
	v_add_f32_e32 v0, v9, v14
	s_waitcnt vmcnt(0)
	v_and_b32_e32 v8, 0x3c0, v11
	v_cmp_eq_u32_e64 s[0:1], 64, v8
	buffer_load_dword v8, off, s[44:47], 0 offset:76 ; 4-byte Folded Reload
	s_waitcnt vmcnt(0)
	v_cmp_eq_u32_e32 vcc, 0, v8
	s_mov_b64 s[2:3], exec
	v_lshrrev_b32_e32 v10, 2, v11
	s_and_b64 s[0:1], s[2:3], s[0:1]
	v_lshlrev_b32_e32 v9, 2, v10
	s_mov_b64 exec, s[0:1]
	s_cbranch_execz .LBB194_428
; %bb.424:
	s_and_saveexec_b64 s[0:1], vcc
	s_cbranch_execz .LBB194_426
; %bb.425:
	v_mov_b32_e32 v8, 0x1f0
	v_lshl_add_u32 v8, v15, 2, v8
	ds_write2_b32 v8, v7, v5 offset1:16
	ds_write2_b32 v8, v4, v6 offset0:32 offset1:48
	ds_write2_b32 v8, v3, v2 offset0:64 offset1:80
	ds_write_b32 v8, v1 offset:384
.LBB194_426:
	s_or_b64 exec, exec, s[0:1]
	v_or_b32_e32 v8, 0x70, v15
	s_movk_i32 s0, 0x78
	v_cmp_gt_u32_e64 s[0:1], s0, v8
	s_and_b64 s[0:1], vcc, s[0:1]
	s_and_b64 exec, exec, s[0:1]
; %bb.427:
	v_mov_b32_e32 v8, 0x1f0
	v_lshl_add_u32 v8, v15, 2, v8
	ds_write_b32 v8, v0 offset:448
.LBB194_428:
	s_or_b64 exec, exec, s[2:3]
	v_cmp_gt_u32_e64 s[0:1], 64, v11
	s_waitcnt lgkmcnt(0)
	s_barrier
	s_and_saveexec_b64 s[4:5], s[0:1]
	s_cbranch_execz .LBB194_446
; %bb.429:
	s_and_saveexec_b64 s[2:3], vcc
	s_cbranch_execz .LBB194_431
; %bb.430:
	v_mov_b32_e32 v8, 0x1f0
	v_lshl_add_u32 v8, v10, 2, v8
	ds_read_b32 v8, v8
	s_waitcnt lgkmcnt(0)
	v_add_f32_e32 v7, v7, v8
.LBB194_431:
	s_or_b64 exec, exec, s[2:3]
	v_or_b32_e32 v8, 16, v10
	s_movk_i32 s6, 0x78
	v_cmp_gt_u32_e64 s[2:3], s6, v8
	s_and_b64 s[12:13], vcc, s[2:3]
	s_and_saveexec_b64 s[2:3], s[12:13]
	s_cbranch_execz .LBB194_433
; %bb.432:
	v_mov_b32_e32 v8, 0x1f0
	v_lshl_add_u32 v8, v10, 2, v8
	ds_read_b32 v8, v8 offset:64
	s_waitcnt lgkmcnt(0)
	v_add_f32_e32 v5, v5, v8
.LBB194_433:
	s_or_b64 exec, exec, s[2:3]
	v_or_b32_e32 v8, 32, v10
	v_cmp_gt_u32_e64 s[2:3], s6, v8
	s_and_b64 s[6:7], vcc, s[2:3]
	s_and_saveexec_b64 s[2:3], s[6:7]
	s_cbranch_execz .LBB194_435
; %bb.434:
	v_mov_b32_e32 v8, 0x1f0
	v_lshl_add_u32 v8, v10, 2, v8
	ds_read_b32 v8, v8 offset:128
	s_waitcnt lgkmcnt(0)
	v_add_f32_e32 v4, v4, v8
.LBB194_435:
	s_or_b64 exec, exec, s[2:3]
	v_or_b32_e32 v8, 48, v10
	s_movk_i32 s6, 0x78
	v_cmp_gt_u32_e64 s[2:3], s6, v8
	s_and_b64 s[12:13], vcc, s[2:3]
	s_and_saveexec_b64 s[2:3], s[12:13]
	s_cbranch_execz .LBB194_437
; %bb.436:
	v_mov_b32_e32 v8, 0x1f0
	v_lshl_add_u32 v8, v10, 2, v8
	ds_read_b32 v8, v8 offset:192
	s_waitcnt lgkmcnt(0)
	v_add_f32_e32 v6, v6, v8
.LBB194_437:
	s_or_b64 exec, exec, s[2:3]
	v_or_b32_e32 v8, 64, v10
	v_cmp_gt_u32_e64 s[2:3], s6, v8
	s_and_b64 s[6:7], vcc, s[2:3]
	s_and_saveexec_b64 s[2:3], s[6:7]
	s_cbranch_execz .LBB194_439
; %bb.438:
	v_mov_b32_e32 v8, 0x1f0
	v_lshl_add_u32 v8, v10, 2, v8
	ds_read_b32 v8, v8 offset:256
	s_waitcnt lgkmcnt(0)
	v_add_f32_e32 v3, v3, v8
.LBB194_439:
	;; [unrolled: 27-line block ×3, first 2 shown]
	s_or_b64 exec, exec, s[2:3]
	v_or_b32_e32 v8, 0x70, v10
	s_movk_i32 s2, 0x78
	v_cmp_gt_u32_e64 s[2:3], s2, v8
	s_and_b64 s[6:7], vcc, s[2:3]
	s_and_saveexec_b64 s[2:3], s[6:7]
	s_cbranch_execz .LBB194_445
; %bb.444:
	v_mov_b32_e32 v8, 0x1f0
	v_lshl_add_u32 v8, v10, 2, v8
	ds_read_b32 v8, v8 offset:448
	s_waitcnt lgkmcnt(0)
	v_add_f32_e32 v0, v0, v8
.LBB194_445:
	s_or_b64 exec, exec, s[2:3]
.LBB194_446:
	s_or_b64 exec, exec, s[4:5]
	s_barrier
	s_and_saveexec_b64 s[2:3], s[0:1]
	s_cbranch_execz .LBB194_463
; %bb.447:
	s_mul_i32 s0, s10, s11
	s_mul_i32 s0, s0, s9
	s_mulk_i32 s0, 0x78
	s_ashr_i32 s1, s0, 31
	s_lshl_b64 s[0:1], s[0:1], 2
	s_add_u32 s2, s22, s0
	s_mul_i32 s0, s11, s20
	s_addc_u32 s3, s23, s1
	s_ashr_i32 s1, s0, 31
	s_lshl_b64 s[0:1], s[0:1], 2
	s_add_u32 s2, s2, s0
	s_mul_i32 s0, s8, 0x78
	s_addc_u32 s3, s3, s1
	s_ashr_i32 s1, s0, 31
	s_lshl_b64 s[0:1], s[0:1], 2
	s_add_u32 s2, s2, s0
	s_movk_i32 s4, 0x78
	s_addc_u32 s3, s3, s1
	s_and_saveexec_b64 s[0:1], vcc
	s_cbranch_execz .LBB194_449
; %bb.448:
	global_store_dword v9, v7, s[2:3]
.LBB194_449:
	s_or_b64 exec, exec, s[0:1]
	v_or_b32_e32 v7, 16, v10
	v_cmp_gt_u32_e64 s[0:1], s4, v7
	s_and_b64 s[4:5], vcc, s[0:1]
	s_and_saveexec_b64 s[0:1], s[4:5]
	s_cbranch_execz .LBB194_451
; %bb.450:
	global_store_dword v9, v5, s[2:3] offset:64
.LBB194_451:
	s_or_b64 exec, exec, s[0:1]
	v_or_b32_e32 v5, 32, v10
	s_movk_i32 s4, 0x78
	v_cmp_gt_u32_e64 s[0:1], s4, v5
	s_and_b64 s[6:7], vcc, s[0:1]
	s_and_saveexec_b64 s[0:1], s[6:7]
	s_cbranch_execz .LBB194_453
; %bb.452:
	global_store_dword v9, v4, s[2:3] offset:128
.LBB194_453:
	s_or_b64 exec, exec, s[0:1]
	v_or_b32_e32 v4, 48, v10
	v_cmp_gt_u32_e64 s[0:1], s4, v4
	s_and_b64 s[4:5], vcc, s[0:1]
	s_and_saveexec_b64 s[0:1], s[4:5]
	s_cbranch_execz .LBB194_455
; %bb.454:
	global_store_dword v9, v6, s[2:3] offset:192
.LBB194_455:
	s_or_b64 exec, exec, s[0:1]
	v_or_b32_e32 v4, 64, v10
	s_movk_i32 s4, 0x78
	v_cmp_gt_u32_e64 s[0:1], s4, v4
	s_and_b64 s[6:7], vcc, s[0:1]
	s_and_saveexec_b64 s[0:1], s[6:7]
	s_cbranch_execz .LBB194_457
; %bb.456:
	global_store_dword v9, v3, s[2:3] offset:256
.LBB194_457:
	;; [unrolled: 19-line block ×3, first 2 shown]
	s_or_b64 exec, exec, s[0:1]
	v_or_b32_e32 v1, 0x70, v10
	v_cmp_gt_u32_e64 s[0:1], s4, v1
	s_and_b64 s[0:1], vcc, s[0:1]
	s_and_b64 exec, exec, s[0:1]
	s_cbranch_execz .LBB194_463
; %bb.462:
	global_store_dword v9, v0, s[2:3] offset:448
.LBB194_463:
	s_endpgm
	.section	.rodata,"a",@progbits
	.p2align	6, 0x0
	.amdhsa_kernel _ZN4vllm25paged_attention_v1_kernelIfhLi120ELi16ELi128ELNS_18Fp8KVCacheDataTypeE1ELb0EEEvPT_PKS2_PKT0_S8_ifPKiSA_iPKfiiiSC_SC_iiiii
		.amdhsa_group_segment_fixed_size 496
		.amdhsa_private_segment_fixed_size 108
		.amdhsa_kernarg_size 384
		.amdhsa_user_sgpr_count 6
		.amdhsa_user_sgpr_private_segment_buffer 1
		.amdhsa_user_sgpr_dispatch_ptr 0
		.amdhsa_user_sgpr_queue_ptr 0
		.amdhsa_user_sgpr_kernarg_segment_ptr 1
		.amdhsa_user_sgpr_dispatch_id 0
		.amdhsa_user_sgpr_flat_scratch_init 0
		.amdhsa_user_sgpr_private_segment_size 0
		.amdhsa_uses_dynamic_stack 0
		.amdhsa_system_sgpr_private_segment_wavefront_offset 1
		.amdhsa_system_sgpr_workgroup_id_x 1
		.amdhsa_system_sgpr_workgroup_id_y 1
		.amdhsa_system_sgpr_workgroup_id_z 1
		.amdhsa_system_sgpr_workgroup_info 0
		.amdhsa_system_vgpr_workitem_id 0
		.amdhsa_next_free_vgpr 64
		.amdhsa_next_free_sgpr 48
		.amdhsa_reserve_vcc 1
		.amdhsa_reserve_flat_scratch 0
		.amdhsa_float_round_mode_32 0
		.amdhsa_float_round_mode_16_64 0
		.amdhsa_float_denorm_mode_32 3
		.amdhsa_float_denorm_mode_16_64 3
		.amdhsa_dx10_clamp 1
		.amdhsa_ieee_mode 1
		.amdhsa_fp16_overflow 0
		.amdhsa_exception_fp_ieee_invalid_op 0
		.amdhsa_exception_fp_denorm_src 0
		.amdhsa_exception_fp_ieee_div_zero 0
		.amdhsa_exception_fp_ieee_overflow 0
		.amdhsa_exception_fp_ieee_underflow 0
		.amdhsa_exception_fp_ieee_inexact 0
		.amdhsa_exception_int_div_zero 0
	.end_amdhsa_kernel
	.section	.text._ZN4vllm25paged_attention_v1_kernelIfhLi120ELi16ELi128ELNS_18Fp8KVCacheDataTypeE1ELb0EEEvPT_PKS2_PKT0_S8_ifPKiSA_iPKfiiiSC_SC_iiiii,"axG",@progbits,_ZN4vllm25paged_attention_v1_kernelIfhLi120ELi16ELi128ELNS_18Fp8KVCacheDataTypeE1ELb0EEEvPT_PKS2_PKT0_S8_ifPKiSA_iPKfiiiSC_SC_iiiii,comdat
.Lfunc_end194:
	.size	_ZN4vllm25paged_attention_v1_kernelIfhLi120ELi16ELi128ELNS_18Fp8KVCacheDataTypeE1ELb0EEEvPT_PKS2_PKT0_S8_ifPKiSA_iPKfiiiSC_SC_iiiii, .Lfunc_end194-_ZN4vllm25paged_attention_v1_kernelIfhLi120ELi16ELi128ELNS_18Fp8KVCacheDataTypeE1ELb0EEEvPT_PKS2_PKT0_S8_ifPKiSA_iPKfiiiSC_SC_iiiii
                                        ; -- End function
	.set _ZN4vllm25paged_attention_v1_kernelIfhLi120ELi16ELi128ELNS_18Fp8KVCacheDataTypeE1ELb0EEEvPT_PKS2_PKT0_S8_ifPKiSA_iPKfiiiSC_SC_iiiii.num_vgpr, 64
	.set _ZN4vllm25paged_attention_v1_kernelIfhLi120ELi16ELi128ELNS_18Fp8KVCacheDataTypeE1ELb0EEEvPT_PKS2_PKT0_S8_ifPKiSA_iPKfiiiSC_SC_iiiii.num_agpr, 0
	.set _ZN4vllm25paged_attention_v1_kernelIfhLi120ELi16ELi128ELNS_18Fp8KVCacheDataTypeE1ELb0EEEvPT_PKS2_PKT0_S8_ifPKiSA_iPKfiiiSC_SC_iiiii.numbered_sgpr, 48
	.set _ZN4vllm25paged_attention_v1_kernelIfhLi120ELi16ELi128ELNS_18Fp8KVCacheDataTypeE1ELb0EEEvPT_PKS2_PKT0_S8_ifPKiSA_iPKfiiiSC_SC_iiiii.num_named_barrier, 0
	.set _ZN4vllm25paged_attention_v1_kernelIfhLi120ELi16ELi128ELNS_18Fp8KVCacheDataTypeE1ELb0EEEvPT_PKS2_PKT0_S8_ifPKiSA_iPKfiiiSC_SC_iiiii.private_seg_size, 108
	.set _ZN4vllm25paged_attention_v1_kernelIfhLi120ELi16ELi128ELNS_18Fp8KVCacheDataTypeE1ELb0EEEvPT_PKS2_PKT0_S8_ifPKiSA_iPKfiiiSC_SC_iiiii.uses_vcc, 1
	.set _ZN4vllm25paged_attention_v1_kernelIfhLi120ELi16ELi128ELNS_18Fp8KVCacheDataTypeE1ELb0EEEvPT_PKS2_PKT0_S8_ifPKiSA_iPKfiiiSC_SC_iiiii.uses_flat_scratch, 0
	.set _ZN4vllm25paged_attention_v1_kernelIfhLi120ELi16ELi128ELNS_18Fp8KVCacheDataTypeE1ELb0EEEvPT_PKS2_PKT0_S8_ifPKiSA_iPKfiiiSC_SC_iiiii.has_dyn_sized_stack, 0
	.set _ZN4vllm25paged_attention_v1_kernelIfhLi120ELi16ELi128ELNS_18Fp8KVCacheDataTypeE1ELb0EEEvPT_PKS2_PKT0_S8_ifPKiSA_iPKfiiiSC_SC_iiiii.has_recursion, 0
	.set _ZN4vllm25paged_attention_v1_kernelIfhLi120ELi16ELi128ELNS_18Fp8KVCacheDataTypeE1ELb0EEEvPT_PKS2_PKT0_S8_ifPKiSA_iPKfiiiSC_SC_iiiii.has_indirect_call, 0
	.section	.AMDGPU.csdata,"",@progbits
; Kernel info:
; codeLenInByte = 18484
; TotalNumSgprs: 52
; NumVgprs: 64
; ScratchSize: 108
; MemoryBound: 0
; FloatMode: 240
; IeeeMode: 1
; LDSByteSize: 496 bytes/workgroup (compile time only)
; SGPRBlocks: 6
; VGPRBlocks: 15
; NumSGPRsForWavesPerEU: 52
; NumVGPRsForWavesPerEU: 64
; Occupancy: 4
; WaveLimiterHint : 1
; COMPUTE_PGM_RSRC2:SCRATCH_EN: 1
; COMPUTE_PGM_RSRC2:USER_SGPR: 6
; COMPUTE_PGM_RSRC2:TRAP_HANDLER: 0
; COMPUTE_PGM_RSRC2:TGID_X_EN: 1
; COMPUTE_PGM_RSRC2:TGID_Y_EN: 1
; COMPUTE_PGM_RSRC2:TGID_Z_EN: 1
; COMPUTE_PGM_RSRC2:TIDIG_COMP_CNT: 0
	.section	.text._ZN4vllm25paged_attention_v1_kernelIfhLi128ELi16ELi128ELNS_18Fp8KVCacheDataTypeE1ELb0EEEvPT_PKS2_PKT0_S8_ifPKiSA_iPKfiiiSC_SC_iiiii,"axG",@progbits,_ZN4vllm25paged_attention_v1_kernelIfhLi128ELi16ELi128ELNS_18Fp8KVCacheDataTypeE1ELb0EEEvPT_PKS2_PKT0_S8_ifPKiSA_iPKfiiiSC_SC_iiiii,comdat
	.protected	_ZN4vllm25paged_attention_v1_kernelIfhLi128ELi16ELi128ELNS_18Fp8KVCacheDataTypeE1ELb0EEEvPT_PKS2_PKT0_S8_ifPKiSA_iPKfiiiSC_SC_iiiii ; -- Begin function _ZN4vllm25paged_attention_v1_kernelIfhLi128ELi16ELi128ELNS_18Fp8KVCacheDataTypeE1ELb0EEEvPT_PKS2_PKT0_S8_ifPKiSA_iPKfiiiSC_SC_iiiii
	.globl	_ZN4vllm25paged_attention_v1_kernelIfhLi128ELi16ELi128ELNS_18Fp8KVCacheDataTypeE1ELb0EEEvPT_PKS2_PKT0_S8_ifPKiSA_iPKfiiiSC_SC_iiiii
	.p2align	8
	.type	_ZN4vllm25paged_attention_v1_kernelIfhLi128ELi16ELi128ELNS_18Fp8KVCacheDataTypeE1ELb0EEEvPT_PKS2_PKT0_S8_ifPKiSA_iPKfiiiSC_SC_iiiii,@function
_ZN4vllm25paged_attention_v1_kernelIfhLi128ELi16ELi128ELNS_18Fp8KVCacheDataTypeE1ELb0EEEvPT_PKS2_PKT0_S8_ifPKiSA_iPKfiiiSC_SC_iiiii: ; @_ZN4vllm25paged_attention_v1_kernelIfhLi128ELi16ELi128ELNS_18Fp8KVCacheDataTypeE1ELb0EEEvPT_PKS2_PKT0_S8_ifPKiSA_iPKfiiiSC_SC_iiiii
; %bb.0:
	s_mov_b64 s[46:47], s[2:3]
	s_mov_b64 s[44:45], s[0:1]
	s_add_u32 s44, s44, s9
	s_load_dword s9, s[4:5], 0x80
	s_load_dwordx2 s[0:1], s[4:5], 0x30
	s_load_dwordx2 s[30:31], s[4:5], 0x20
	s_addc_u32 s45, s45, 0
	s_mov_b32 s10, s7
	s_ashr_i32 s11, s7, 31
	s_lshl_b64 s[2:3], s[10:11], 2
	s_waitcnt lgkmcnt(0)
	s_add_u32 s0, s0, s2
	s_addc_u32 s1, s1, s3
	s_abs_i32 s2, s30
	v_mov_b32_e32 v14, v0
	v_cvt_f32_u32_e32 v0, s2
	s_sub_i32 s11, 0, s2
	s_abs_i32 s7, s9
	s_xor_b32 s3, s9, s30
	v_rcp_iflag_f32_e32 v0, v0
	s_ashr_i32 s3, s3, 31
	s_mov_b32 s33, 0
	v_mul_f32_e32 v0, 0x4f7ffffe, v0
	v_cvt_u32_f32_e32 v0, v0
	v_readfirstlane_b32 s12, v0
	s_mul_i32 s11, s11, s12
	s_mul_hi_u32 s11, s12, s11
	s_add_i32 s12, s12, s11
	s_mul_hi_u32 s11, s7, s12
	s_mul_i32 s12, s11, s2
	s_sub_i32 s7, s7, s12
	s_add_i32 s12, s11, 1
	s_sub_i32 s13, s7, s2
	s_cmp_ge_u32 s7, s2
	s_cselect_b32 s11, s12, s11
	s_cselect_b32 s7, s13, s7
	s_add_i32 s12, s11, 1
	s_cmp_ge_u32 s7, s2
	s_cselect_b32 s2, s12, s11
	s_xor_b32 s2, s2, s3
	s_sub_i32 s12, s2, s3
	s_abs_i32 s11, s12
	v_cvt_f32_u32_e32 v0, s11
	s_load_dwordx2 s[2:3], s[4:5], 0x40
	s_sub_i32 s7, 0, s11
	s_abs_i32 s16, s6
	v_rcp_iflag_f32_e32 v0, v0
	v_mul_f32_e32 v0, 0x4f7ffffe, v0
	v_cvt_u32_f32_e32 v0, v0
	v_readfirstlane_b32 s13, v0
	s_mul_i32 s7, s7, s13
	s_mul_hi_u32 s7, s13, s7
	s_add_i32 s13, s13, s7
	s_waitcnt lgkmcnt(0)
	s_cmp_eq_u64 s[2:3], 0
	s_mul_hi_u32 s17, s16, s13
	s_cbranch_scc1 .LBB195_2
; %bb.1:
	s_ashr_i32 s7, s6, 31
	s_lshl_b64 s[14:15], s[6:7], 2
	s_add_u32 s2, s2, s14
	s_addc_u32 s3, s3, s15
	s_load_dword s33, s[2:3], 0x0
.LBB195_2:
	s_load_dword s30, s[0:1], 0x0
	s_ashr_i32 s3, s12, 31
	s_load_dwordx4 s[12:15], s[4:5], 0x48
	v_lshrrev_b32_e32 v0, 2, v14
	s_movk_i32 s0, 0x80
	s_ashr_i32 s2, s6, 31
	v_and_b32_e32 v15, 3, v14
	s_lshl_b32 s20, s6, 7
	v_cmp_gt_u32_e32 vcc, s0, v14
	v_lshlrev_b32_e32 v11, 2, v14
	v_lshlrev_b32_e32 v2, 2, v0
	buffer_store_dword v0, off, s[44:47], 0 offset:92 ; 4-byte Folded Spill
	s_and_saveexec_b64 s[0:1], vcc
	s_cbranch_execz .LBB195_4
; %bb.3:
	s_load_dwordx2 s[6:7], s[4:5], 0x8
	s_waitcnt lgkmcnt(0)
	s_mul_i32 s18, s12, s10
	s_ashr_i32 s19, s18, 31
	s_lshl_b64 s[18:19], s[18:19], 2
	v_lshl_add_u32 v1, v15, 7, v2
	s_add_u32 s12, s6, s18
	s_addc_u32 s15, s7, s19
	s_ashr_i32 s21, s20, 31
	s_lshl_b64 s[6:7], s[20:21], 2
	s_add_u32 s6, s12, s6
	s_addc_u32 s7, s15, s7
	global_load_dword v0, v11, s[6:7]
	s_waitcnt vmcnt(0)
	ds_write_b32 v1, v0
.LBB195_4:
	s_or_b64 exec, exec, s[0:1]
	s_waitcnt lgkmcnt(0)
	s_add_i32 s1, s30, 15
	s_ashr_i32 s6, s1, 31
	s_lshr_b32 s6, s6, 28
	s_add_i32 s1, s1, s6
	s_ashr_i32 s21, s1, 4
	s_xor_b32 s1, s2, s3
	s_mul_i32 s2, s17, s11
	s_sub_i32 s2, s16, s2
	s_add_i32 s3, s17, 1
	s_sub_i32 s6, s2, s11
	s_load_dwordx2 s[24:25], s[4:5], 0x28
	s_load_dword s0, s[4:5], 0x38
	s_cmp_ge_u32 s2, s11
	s_cselect_b32 s3, s3, s17
	s_cselect_b32 s2, s6, s2
	s_add_i32 s6, s3, 1
	s_cmp_ge_u32 s2, s11
	s_cselect_b32 s2, s6, s3
	v_lshrrev_b32_e32 v0, 6, v14
	s_xor_b32 s2, s2, s1
	s_waitcnt lgkmcnt(0)
	s_mul_i32 s26, s0, s10
	s_sub_i32 s12, s2, s1
	s_waitcnt vmcnt(0)
	s_barrier
	s_ashr_i32 s27, s26, 31
	v_cmp_gt_i32_e64 s[0:1], s21, v0
	buffer_store_dword v0, off, s[44:47], 0 ; 4-byte Folded Spill
	v_cmp_le_i32_e32 vcc, s21, v0
	v_mbcnt_lo_u32_b32 v0, -1, 0
                                        ; implicit-def: $vgpr17
                                        ; implicit-def: $vgpr8
                                        ; implicit-def: $vgpr18
	s_and_saveexec_b64 s[2:3], vcc
	s_xor_b64 s[2:3], exec, s[2:3]
; %bb.5:
	v_mbcnt_hi_u32_b32 v17, -1, v0
	v_and_b32_e32 v8, 64, v17
	v_add_u32_e32 v18, 64, v8
                                        ; implicit-def: $vgpr0
; %bb.6:
	s_or_saveexec_b64 s[6:7], s[2:3]
	buffer_store_dword v2, off, s[44:47], 0 offset:88 ; 4-byte Folded Spill
	s_load_dwordx2 s[22:23], s[4:5], 0x0
	s_load_dwordx2 s[28:29], s[4:5], 0x18
	s_load_dword s11, s[4:5], 0x88
	s_load_dwordx4 s[16:19], s[4:5], 0x58
	v_mov_b32_e32 v2, 0xff7fffff
	s_mul_i32 s12, s12, s14
	v_lshrrev_b32_e32 v12, 4, v14
	buffer_store_dword v14, off, s[44:47], 0 offset:80 ; 4-byte Folded Spill
	buffer_store_dword v15, off, s[44:47], 0 offset:84 ; 4-byte Folded Spill
	s_xor_b64 exec, exec, s[6:7]
	s_cbranch_execz .LBB195_204
; %bb.7:
	s_load_dwordx2 s[2:3], s[4:5], 0x10
	s_ashr_i32 s4, s12, 31
	v_bfe_u32 v1, v14, 2, 4
	v_lshlrev_b32_e32 v2, 4, v1
	v_mbcnt_hi_u32_b32 v5, -1, v0
	s_waitcnt lgkmcnt(0)
	s_add_u32 s2, s2, s12
	s_addc_u32 s3, s3, s4
	v_mov_b32_e32 v3, s3
	v_add_co_u32_e32 v2, vcc, s2, v2
	v_and_b32_e32 v0, 64, v5
	v_addc_co_u32_e32 v3, vcc, 0, v3, vcc
	buffer_store_dword v0, off, s[44:47], 0 offset:108 ; 4-byte Folded Spill
	v_add_u32_e32 v6, 64, v0
	v_xor_b32_e32 v0, 2, v5
	v_cmp_lt_i32_e32 vcc, v0, v6
	v_cndmask_b32_e32 v0, v5, v0, vcc
	v_lshlrev_b32_e32 v0, 2, v0
	buffer_store_dword v0, off, s[44:47], 0 offset:32 ; 4-byte Folded Spill
	v_xor_b32_e32 v0, 1, v5
	v_cmp_lt_i32_e32 vcc, v0, v6
	v_cndmask_b32_e32 v0, v5, v0, vcc
	v_add_co_u32_e64 v2, s[4:5], v2, v15
	v_lshlrev_b32_e32 v0, 2, v0
	v_addc_co_u32_e64 v3, s[4:5], 0, v3, s[4:5]
	buffer_store_dword v11, off, s[44:47], 0 offset:96 ; 4-byte Folded Spill
	buffer_store_dword v5, off, s[44:47], 0 offset:104 ; 4-byte Folded Spill
	;; [unrolled: 1-line block ×3, first 2 shown]
	s_load_dword s39, s[16:17], 0x0
	buffer_store_dword v2, off, s[44:47], 0 offset:40 ; 4-byte Folded Spill
	s_nop 0
	buffer_store_dword v3, off, s[44:47], 0 offset:44 ; 4-byte Folded Spill
	buffer_load_dword v55, off, s[44:47], 0 ; 4-byte Folded Reload
	s_sub_i32 s40, 1, s30
	v_lshlrev_b32_e32 v0, 2, v1
	s_lshl_b64 s[4:5], s[26:27], 2
	s_add_u32 s4, s24, s4
	s_addc_u32 s5, s25, s5
	v_lshlrev_b32_e32 v4, 7, v15
	buffer_store_dword v12, off, s[44:47], 0 offset:100 ; 4-byte Folded Spill
	v_cmp_eq_u32_e32 vcc, 0, v15
	s_mov_b32 s38, s13
	v_cmp_neq_f32_e64 s[2:3], s33, 0
	s_mov_b64 s[14:15], 0
	s_movk_i32 s41, 0x80
	s_movk_i32 s42, 0x7f
	s_waitcnt vmcnt(1)
	v_lshl_or_b32 v0, v55, 6, v0
	v_add_u32_e32 v53, 0x210, v0
	v_and_b32_e32 v0, 60, v12
	v_lshl_or_b32 v52, v55, 4, v1
	v_mov_b32_e32 v1, s5
	v_add_co_u32_e64 v35, s[4:5], s4, v0
	v_mov_b32_e32 v0, 0xff7fffff
	v_addc_co_u32_e64 v36, s[4:5], 0, v1, s[4:5]
	buffer_store_dword v0, off, s[44:47], 0 offset:28 ; 4-byte Folded Spill
	ds_read_b128 v[0:3], v4
	s_waitcnt lgkmcnt(0)
	buffer_store_dword v0, off, s[44:47], 0 offset:48 ; 4-byte Folded Spill
	s_nop 0
	buffer_store_dword v1, off, s[44:47], 0 offset:52 ; 4-byte Folded Spill
	buffer_store_dword v2, off, s[44:47], 0 offset:56 ; 4-byte Folded Spill
	;; [unrolled: 1-line block ×3, first 2 shown]
	ds_read_b128 v[0:3], v4 offset:16
	s_waitcnt lgkmcnt(0)
	buffer_store_dword v0, off, s[44:47], 0 offset:64 ; 4-byte Folded Spill
	s_nop 0
	buffer_store_dword v1, off, s[44:47], 0 offset:68 ; 4-byte Folded Spill
	buffer_store_dword v2, off, s[44:47], 0 offset:72 ; 4-byte Folded Spill
	;; [unrolled: 1-line block ×3, first 2 shown]
	ds_read_b128 v[9:12], v4 offset:32
	ds_read_b128 v[13:16], v4 offset:48
	;; [unrolled: 1-line block ×6, first 2 shown]
	s_branch .LBB195_9
.LBB195_8:                              ;   in Loop: Header=BB195_9 Depth=1
	s_or_b64 exec, exec, s[16:17]
	v_add_u32_e32 v55, 2, v55
	v_cmp_le_i32_e64 s[4:5], s21, v55
	s_or_b64 s[14:15], s[4:5], s[14:15]
	v_add_co_u32_e64 v35, s[4:5], 8, v35
	v_add_u32_e32 v52, 32, v52
	v_add_u32_e32 v53, 0x80, v53
	v_addc_co_u32_e64 v36, s[4:5], 0, v36, s[4:5]
	s_andn2_b64 exec, exec, s[14:15]
	s_cbranch_execz .LBB195_203
.LBB195_9:                              ; =>This Inner Loop Header: Depth=1
	global_load_dword v0, v[35:36], off
	buffer_load_dword v1, off, s[44:47], 0 offset:40 ; 4-byte Folded Reload
	buffer_load_dword v2, off, s[44:47], 0 offset:44 ; 4-byte Folded Reload
	v_mov_b32_e32 v5, 0
	s_waitcnt vmcnt(0)
	v_mad_i64_i32 v[37:38], s[4:5], v0, s38, v[1:2]
	global_load_ubyte v0, v[37:38], off
	s_waitcnt vmcnt(0)
	v_cmp_ne_u16_e64 s[4:5], 0, v0
	s_and_saveexec_b64 s[16:17], s[4:5]
	s_cbranch_execz .LBB195_15
; %bb.10:                               ;   in Loop: Header=BB195_9 Depth=1
	v_cmp_ne_u16_e64 s[4:5], s41, v0
	v_bfrev_b32_e32 v5, 1
	s_and_saveexec_b64 s[34:35], s[4:5]
	s_cbranch_execz .LBB195_14
; %bb.11:                               ;   in Loop: Header=BB195_9 Depth=1
	v_and_b32_e32 v39, 0xffff, v0
	s_waitcnt lgkmcnt(0)
	v_and_b32_e32 v33, 0x7f, v39
	v_cmp_ne_u32_e64 s[4:5], s42, v33
	v_mov_b32_e32 v5, 0x7f800001
	s_and_saveexec_b64 s[36:37], s[4:5]
	s_cbranch_execz .LBB195_13
; %bb.12:                               ;   in Loop: Header=BB195_9 Depth=1
	v_and_b32_e32 v1, 7, v39
	v_ffbh_u32_e32 v3, v1
	v_min_u32_e32 v3, 32, v3
	v_subrev_u32_e32 v4, 28, v3
	v_lshlrev_b64 v[39:40], v4, v[39:40]
	v_lshrrev_b32_e32 v2, 3, v33
	v_sub_u32_e32 v3, 29, v3
	v_and_b32_e32 v4, 7, v39
	v_cmp_gt_u32_e64 s[4:5], 8, v33
	v_cndmask_b32_e64 v2, v2, v3, s[4:5]
	v_cndmask_b32_e64 v1, v1, v4, s[4:5]
	v_lshlrev_b32_e32 v0, 24, v0
	v_bfrev_b32_e32 v3, 60
	v_lshlrev_b32_e32 v1, 20, v1
	v_and_b32_e32 v0, 0x80000000, v0
	v_lshl_add_u32 v2, v2, 23, v3
	v_or3_b32 v5, v0, v2, v1
.LBB195_13:                             ;   in Loop: Header=BB195_9 Depth=1
	s_or_b64 exec, exec, s[36:37]
.LBB195_14:                             ;   in Loop: Header=BB195_9 Depth=1
	s_or_b64 exec, exec, s[34:35]
.LBB195_15:                             ;   in Loop: Header=BB195_9 Depth=1
	s_or_b64 exec, exec, s[16:17]
	global_load_ubyte v0, v[37:38], off offset:4
	v_mov_b32_e32 v8, 0
	v_mov_b32_e32 v6, 0
	s_waitcnt vmcnt(0)
	v_cmp_ne_u16_e64 s[4:5], 0, v0
	s_and_saveexec_b64 s[16:17], s[4:5]
	s_cbranch_execz .LBB195_21
; %bb.16:                               ;   in Loop: Header=BB195_9 Depth=1
	v_cmp_ne_u16_e64 s[4:5], s41, v0
	v_bfrev_b32_e32 v6, 1
	s_and_saveexec_b64 s[34:35], s[4:5]
	s_cbranch_execz .LBB195_20
; %bb.17:                               ;   in Loop: Header=BB195_9 Depth=1
	v_and_b32_e32 v39, 0xffff, v0
	s_waitcnt lgkmcnt(0)
	v_and_b32_e32 v33, 0x7f, v39
	v_cmp_ne_u32_e64 s[4:5], s42, v33
	v_mov_b32_e32 v6, 0x7f800001
	s_and_saveexec_b64 s[36:37], s[4:5]
	s_cbranch_execz .LBB195_19
; %bb.18:                               ;   in Loop: Header=BB195_9 Depth=1
	v_and_b32_e32 v1, 7, v39
	v_ffbh_u32_e32 v3, v1
	v_min_u32_e32 v3, 32, v3
	v_subrev_u32_e32 v4, 28, v3
	v_lshrrev_b32_e32 v2, 3, v33
	v_cmp_gt_u32_e64 s[4:5], 8, v33
	v_lshlrev_b64 v[33:34], v4, v[39:40]
	v_sub_u32_e32 v3, 29, v3
	v_and_b32_e32 v4, 7, v33
	v_cndmask_b32_e64 v2, v2, v3, s[4:5]
	v_cndmask_b32_e64 v1, v1, v4, s[4:5]
	v_lshlrev_b32_e32 v0, 24, v0
	v_bfrev_b32_e32 v3, 60
	v_lshlrev_b32_e32 v1, 20, v1
	v_and_b32_e32 v0, 0x80000000, v0
	v_lshl_add_u32 v2, v2, 23, v3
	v_or3_b32 v6, v0, v2, v1
.LBB195_19:                             ;   in Loop: Header=BB195_9 Depth=1
	s_or_b64 exec, exec, s[36:37]
.LBB195_20:                             ;   in Loop: Header=BB195_9 Depth=1
	s_or_b64 exec, exec, s[34:35]
.LBB195_21:                             ;   in Loop: Header=BB195_9 Depth=1
	s_or_b64 exec, exec, s[16:17]
	global_load_ubyte v0, v[37:38], off offset:8
	s_waitcnt vmcnt(0)
	v_cmp_ne_u16_e64 s[4:5], 0, v0
	s_and_saveexec_b64 s[16:17], s[4:5]
	s_cbranch_execz .LBB195_27
; %bb.22:                               ;   in Loop: Header=BB195_9 Depth=1
	v_cmp_ne_u16_e64 s[4:5], s41, v0
	v_bfrev_b32_e32 v8, 1
	s_and_saveexec_b64 s[34:35], s[4:5]
	s_cbranch_execz .LBB195_26
; %bb.23:                               ;   in Loop: Header=BB195_9 Depth=1
	v_and_b32_e32 v39, 0xffff, v0
	s_waitcnt lgkmcnt(0)
	v_and_b32_e32 v33, 0x7f, v39
	v_cmp_ne_u32_e64 s[4:5], s42, v33
	v_mov_b32_e32 v8, 0x7f800001
	s_and_saveexec_b64 s[36:37], s[4:5]
	s_cbranch_execz .LBB195_25
; %bb.24:                               ;   in Loop: Header=BB195_9 Depth=1
	v_and_b32_e32 v1, 7, v39
	v_ffbh_u32_e32 v3, v1
	v_min_u32_e32 v3, 32, v3
	v_subrev_u32_e32 v4, 28, v3
	v_lshrrev_b32_e32 v2, 3, v33
	v_cmp_gt_u32_e64 s[4:5], 8, v33
	v_lshlrev_b64 v[33:34], v4, v[39:40]
	v_sub_u32_e32 v3, 29, v3
	v_and_b32_e32 v4, 7, v33
	v_cndmask_b32_e64 v2, v2, v3, s[4:5]
	v_cndmask_b32_e64 v1, v1, v4, s[4:5]
	v_lshlrev_b32_e32 v0, 24, v0
	v_bfrev_b32_e32 v3, 60
	v_lshlrev_b32_e32 v1, 20, v1
	v_and_b32_e32 v0, 0x80000000, v0
	v_lshl_add_u32 v2, v2, 23, v3
	v_or3_b32 v8, v0, v2, v1
.LBB195_25:                             ;   in Loop: Header=BB195_9 Depth=1
	s_or_b64 exec, exec, s[36:37]
.LBB195_26:                             ;   in Loop: Header=BB195_9 Depth=1
	s_or_b64 exec, exec, s[34:35]
.LBB195_27:                             ;   in Loop: Header=BB195_9 Depth=1
	s_or_b64 exec, exec, s[16:17]
	global_load_ubyte v0, v[37:38], off offset:12
	v_mov_b32_e32 v7, 0
	v_mov_b32_e32 v1, 0
	buffer_store_dword v1, off, s[44:47], 0 offset:4 ; 4-byte Folded Spill
	s_waitcnt vmcnt(1)
	v_cmp_ne_u16_e64 s[4:5], 0, v0
	s_and_saveexec_b64 s[16:17], s[4:5]
	s_cbranch_execz .LBB195_33
; %bb.28:                               ;   in Loop: Header=BB195_9 Depth=1
	v_cmp_ne_u16_e64 s[4:5], s41, v0
	v_bfrev_b32_e32 v1, 1
	buffer_store_dword v1, off, s[44:47], 0 offset:4 ; 4-byte Folded Spill
	s_and_saveexec_b64 s[34:35], s[4:5]
	s_cbranch_execz .LBB195_32
; %bb.29:                               ;   in Loop: Header=BB195_9 Depth=1
	v_and_b32_e32 v39, 0xffff, v0
	s_waitcnt lgkmcnt(0)
	v_and_b32_e32 v33, 0x7f, v39
	v_cmp_ne_u32_e64 s[4:5], s42, v33
	v_mov_b32_e32 v1, 0x7f800001
	buffer_store_dword v1, off, s[44:47], 0 offset:4 ; 4-byte Folded Spill
	s_and_saveexec_b64 s[36:37], s[4:5]
	s_cbranch_execz .LBB195_31
; %bb.30:                               ;   in Loop: Header=BB195_9 Depth=1
	v_and_b32_e32 v1, 7, v39
	v_ffbh_u32_e32 v3, v1
	v_min_u32_e32 v3, 32, v3
	v_subrev_u32_e32 v4, 28, v3
	v_lshrrev_b32_e32 v2, 3, v33
	v_cmp_gt_u32_e64 s[4:5], 8, v33
	v_lshlrev_b64 v[33:34], v4, v[39:40]
	v_sub_u32_e32 v3, 29, v3
	v_and_b32_e32 v4, 7, v33
	v_cndmask_b32_e64 v2, v2, v3, s[4:5]
	v_cndmask_b32_e64 v1, v1, v4, s[4:5]
	v_lshlrev_b32_e32 v0, 24, v0
	v_bfrev_b32_e32 v3, 60
	v_lshlrev_b32_e32 v1, 20, v1
	v_and_b32_e32 v0, 0x80000000, v0
	v_lshl_add_u32 v2, v2, 23, v3
	v_or3_b32 v0, v0, v2, v1
	buffer_store_dword v0, off, s[44:47], 0 offset:4 ; 4-byte Folded Spill
.LBB195_31:                             ;   in Loop: Header=BB195_9 Depth=1
	s_or_b64 exec, exec, s[36:37]
.LBB195_32:                             ;   in Loop: Header=BB195_9 Depth=1
	s_or_b64 exec, exec, s[34:35]
.LBB195_33:                             ;   in Loop: Header=BB195_9 Depth=1
	s_or_b64 exec, exec, s[16:17]
	global_load_ubyte v0, v[37:38], off offset:256
	s_waitcnt vmcnt(0)
	v_cmp_ne_u16_e64 s[4:5], 0, v0
	s_and_saveexec_b64 s[16:17], s[4:5]
	s_cbranch_execz .LBB195_39
; %bb.34:                               ;   in Loop: Header=BB195_9 Depth=1
	v_cmp_ne_u16_e64 s[4:5], s41, v0
	v_bfrev_b32_e32 v7, 1
	s_and_saveexec_b64 s[34:35], s[4:5]
	s_cbranch_execz .LBB195_38
; %bb.35:                               ;   in Loop: Header=BB195_9 Depth=1
	v_and_b32_e32 v39, 0xffff, v0
	s_waitcnt lgkmcnt(0)
	v_and_b32_e32 v33, 0x7f, v39
	v_cmp_ne_u32_e64 s[4:5], s42, v33
	v_mov_b32_e32 v7, 0x7f800001
	s_and_saveexec_b64 s[36:37], s[4:5]
	s_cbranch_execz .LBB195_37
; %bb.36:                               ;   in Loop: Header=BB195_9 Depth=1
	v_and_b32_e32 v1, 7, v39
	v_ffbh_u32_e32 v3, v1
	v_min_u32_e32 v3, 32, v3
	v_subrev_u32_e32 v4, 28, v3
	v_lshrrev_b32_e32 v2, 3, v33
	v_cmp_gt_u32_e64 s[4:5], 8, v33
	v_lshlrev_b64 v[33:34], v4, v[39:40]
	v_sub_u32_e32 v3, 29, v3
	v_and_b32_e32 v4, 7, v33
	v_cndmask_b32_e64 v2, v2, v3, s[4:5]
	v_cndmask_b32_e64 v1, v1, v4, s[4:5]
	v_lshlrev_b32_e32 v0, 24, v0
	v_bfrev_b32_e32 v3, 60
	v_lshlrev_b32_e32 v1, 20, v1
	v_and_b32_e32 v0, 0x80000000, v0
	v_lshl_add_u32 v2, v2, 23, v3
	v_or3_b32 v7, v0, v2, v1
.LBB195_37:                             ;   in Loop: Header=BB195_9 Depth=1
	s_or_b64 exec, exec, s[36:37]
.LBB195_38:                             ;   in Loop: Header=BB195_9 Depth=1
	s_or_b64 exec, exec, s[34:35]
.LBB195_39:                             ;   in Loop: Header=BB195_9 Depth=1
	s_or_b64 exec, exec, s[16:17]
	global_load_ubyte v0, v[37:38], off offset:260
	v_mov_b32_e32 v1, 0
	buffer_store_dword v1, off, s[44:47], 0 offset:12 ; 4-byte Folded Spill
	v_mov_b32_e32 v1, 0
	buffer_store_dword v1, off, s[44:47], 0 offset:16 ; 4-byte Folded Spill
	s_waitcnt vmcnt(2)
	v_cmp_ne_u16_e64 s[4:5], 0, v0
	s_and_saveexec_b64 s[16:17], s[4:5]
	s_cbranch_execz .LBB195_45
; %bb.40:                               ;   in Loop: Header=BB195_9 Depth=1
	v_cmp_ne_u16_e64 s[4:5], s41, v0
	v_bfrev_b32_e32 v1, 1
	buffer_store_dword v1, off, s[44:47], 0 offset:16 ; 4-byte Folded Spill
	s_and_saveexec_b64 s[34:35], s[4:5]
	s_cbranch_execz .LBB195_44
; %bb.41:                               ;   in Loop: Header=BB195_9 Depth=1
	v_and_b32_e32 v39, 0xffff, v0
	s_waitcnt lgkmcnt(0)
	v_and_b32_e32 v33, 0x7f, v39
	v_cmp_ne_u32_e64 s[4:5], s42, v33
	v_mov_b32_e32 v1, 0x7f800001
	buffer_store_dword v1, off, s[44:47], 0 offset:16 ; 4-byte Folded Spill
	s_and_saveexec_b64 s[36:37], s[4:5]
	s_cbranch_execz .LBB195_43
; %bb.42:                               ;   in Loop: Header=BB195_9 Depth=1
	v_and_b32_e32 v1, 7, v39
	v_ffbh_u32_e32 v3, v1
	v_min_u32_e32 v3, 32, v3
	v_subrev_u32_e32 v4, 28, v3
	v_lshrrev_b32_e32 v2, 3, v33
	v_cmp_gt_u32_e64 s[4:5], 8, v33
	v_lshlrev_b64 v[33:34], v4, v[39:40]
	v_sub_u32_e32 v3, 29, v3
	v_and_b32_e32 v4, 7, v33
	v_cndmask_b32_e64 v2, v2, v3, s[4:5]
	v_cndmask_b32_e64 v1, v1, v4, s[4:5]
	v_lshlrev_b32_e32 v0, 24, v0
	v_bfrev_b32_e32 v3, 60
	v_lshlrev_b32_e32 v1, 20, v1
	v_and_b32_e32 v0, 0x80000000, v0
	v_lshl_add_u32 v2, v2, 23, v3
	v_or3_b32 v0, v0, v2, v1
	buffer_store_dword v0, off, s[44:47], 0 offset:16 ; 4-byte Folded Spill
.LBB195_43:                             ;   in Loop: Header=BB195_9 Depth=1
	s_or_b64 exec, exec, s[36:37]
.LBB195_44:                             ;   in Loop: Header=BB195_9 Depth=1
	s_or_b64 exec, exec, s[34:35]
.LBB195_45:                             ;   in Loop: Header=BB195_9 Depth=1
	s_or_b64 exec, exec, s[16:17]
	global_load_ubyte v0, v[37:38], off offset:264
	s_waitcnt vmcnt(0)
	v_cmp_ne_u16_e64 s[4:5], 0, v0
	s_and_saveexec_b64 s[16:17], s[4:5]
	s_cbranch_execz .LBB195_51
; %bb.46:                               ;   in Loop: Header=BB195_9 Depth=1
	v_cmp_ne_u16_e64 s[4:5], s41, v0
	v_bfrev_b32_e32 v1, 1
	buffer_store_dword v1, off, s[44:47], 0 offset:12 ; 4-byte Folded Spill
	s_and_saveexec_b64 s[34:35], s[4:5]
	s_cbranch_execz .LBB195_50
; %bb.47:                               ;   in Loop: Header=BB195_9 Depth=1
	v_and_b32_e32 v39, 0xffff, v0
	s_waitcnt lgkmcnt(0)
	v_and_b32_e32 v33, 0x7f, v39
	v_cmp_ne_u32_e64 s[4:5], s42, v33
	v_mov_b32_e32 v1, 0x7f800001
	buffer_store_dword v1, off, s[44:47], 0 offset:12 ; 4-byte Folded Spill
	s_and_saveexec_b64 s[36:37], s[4:5]
	s_cbranch_execz .LBB195_49
; %bb.48:                               ;   in Loop: Header=BB195_9 Depth=1
	v_and_b32_e32 v1, 7, v39
	v_ffbh_u32_e32 v3, v1
	v_min_u32_e32 v3, 32, v3
	v_subrev_u32_e32 v4, 28, v3
	v_lshrrev_b32_e32 v2, 3, v33
	v_cmp_gt_u32_e64 s[4:5], 8, v33
	v_lshlrev_b64 v[33:34], v4, v[39:40]
	v_sub_u32_e32 v3, 29, v3
	v_and_b32_e32 v4, 7, v33
	v_cndmask_b32_e64 v2, v2, v3, s[4:5]
	v_cndmask_b32_e64 v1, v1, v4, s[4:5]
	v_lshlrev_b32_e32 v0, 24, v0
	v_bfrev_b32_e32 v3, 60
	v_lshlrev_b32_e32 v1, 20, v1
	v_and_b32_e32 v0, 0x80000000, v0
	v_lshl_add_u32 v2, v2, 23, v3
	v_or3_b32 v0, v0, v2, v1
	buffer_store_dword v0, off, s[44:47], 0 offset:12 ; 4-byte Folded Spill
.LBB195_49:                             ;   in Loop: Header=BB195_9 Depth=1
	s_or_b64 exec, exec, s[36:37]
.LBB195_50:                             ;   in Loop: Header=BB195_9 Depth=1
	s_or_b64 exec, exec, s[34:35]
.LBB195_51:                             ;   in Loop: Header=BB195_9 Depth=1
	s_or_b64 exec, exec, s[16:17]
	global_load_ubyte v0, v[37:38], off offset:268
	v_mov_b32_e32 v1, 0
	buffer_store_dword v1, off, s[44:47], 0 offset:24 ; 4-byte Folded Spill
	v_mov_b32_e32 v1, 0
	buffer_store_dword v1, off, s[44:47], 0 offset:20 ; 4-byte Folded Spill
	s_waitcnt vmcnt(2)
	v_cmp_ne_u16_e64 s[4:5], 0, v0
	s_and_saveexec_b64 s[16:17], s[4:5]
	s_cbranch_execz .LBB195_57
; %bb.52:                               ;   in Loop: Header=BB195_9 Depth=1
	v_cmp_ne_u16_e64 s[4:5], s41, v0
	v_bfrev_b32_e32 v1, 1
	buffer_store_dword v1, off, s[44:47], 0 offset:20 ; 4-byte Folded Spill
	s_and_saveexec_b64 s[34:35], s[4:5]
	s_cbranch_execz .LBB195_56
; %bb.53:                               ;   in Loop: Header=BB195_9 Depth=1
	v_and_b32_e32 v39, 0xffff, v0
	s_waitcnt lgkmcnt(0)
	v_and_b32_e32 v33, 0x7f, v39
	v_cmp_ne_u32_e64 s[4:5], s42, v33
	v_mov_b32_e32 v1, 0x7f800001
	buffer_store_dword v1, off, s[44:47], 0 offset:20 ; 4-byte Folded Spill
	s_and_saveexec_b64 s[36:37], s[4:5]
	s_cbranch_execz .LBB195_55
; %bb.54:                               ;   in Loop: Header=BB195_9 Depth=1
	v_and_b32_e32 v1, 7, v39
	v_ffbh_u32_e32 v3, v1
	v_min_u32_e32 v3, 32, v3
	v_subrev_u32_e32 v4, 28, v3
	v_lshrrev_b32_e32 v2, 3, v33
	v_cmp_gt_u32_e64 s[4:5], 8, v33
	v_lshlrev_b64 v[33:34], v4, v[39:40]
	v_sub_u32_e32 v3, 29, v3
	v_and_b32_e32 v4, 7, v33
	v_cndmask_b32_e64 v2, v2, v3, s[4:5]
	v_cndmask_b32_e64 v1, v1, v4, s[4:5]
	v_lshlrev_b32_e32 v0, 24, v0
	v_bfrev_b32_e32 v3, 60
	v_lshlrev_b32_e32 v1, 20, v1
	v_and_b32_e32 v0, 0x80000000, v0
	v_lshl_add_u32 v2, v2, 23, v3
	v_or3_b32 v0, v0, v2, v1
	buffer_store_dword v0, off, s[44:47], 0 offset:20 ; 4-byte Folded Spill
.LBB195_55:                             ;   in Loop: Header=BB195_9 Depth=1
	s_or_b64 exec, exec, s[36:37]
.LBB195_56:                             ;   in Loop: Header=BB195_9 Depth=1
	s_or_b64 exec, exec, s[34:35]
.LBB195_57:                             ;   in Loop: Header=BB195_9 Depth=1
	s_or_b64 exec, exec, s[16:17]
	global_load_ubyte v0, v[37:38], off offset:512
	s_waitcnt vmcnt(0)
	v_cmp_ne_u16_e64 s[4:5], 0, v0
	s_and_saveexec_b64 s[16:17], s[4:5]
	s_cbranch_execz .LBB195_63
; %bb.58:                               ;   in Loop: Header=BB195_9 Depth=1
	v_cmp_ne_u16_e64 s[4:5], s41, v0
	v_bfrev_b32_e32 v1, 1
	buffer_store_dword v1, off, s[44:47], 0 offset:24 ; 4-byte Folded Spill
	s_and_saveexec_b64 s[34:35], s[4:5]
	s_cbranch_execz .LBB195_62
; %bb.59:                               ;   in Loop: Header=BB195_9 Depth=1
	v_and_b32_e32 v39, 0xffff, v0
	s_waitcnt lgkmcnt(0)
	v_and_b32_e32 v33, 0x7f, v39
	v_cmp_ne_u32_e64 s[4:5], s42, v33
	v_mov_b32_e32 v1, 0x7f800001
	buffer_store_dword v1, off, s[44:47], 0 offset:24 ; 4-byte Folded Spill
	s_and_saveexec_b64 s[36:37], s[4:5]
	s_cbranch_execz .LBB195_61
; %bb.60:                               ;   in Loop: Header=BB195_9 Depth=1
	v_and_b32_e32 v1, 7, v39
	v_ffbh_u32_e32 v3, v1
	v_min_u32_e32 v3, 32, v3
	v_subrev_u32_e32 v4, 28, v3
	v_lshrrev_b32_e32 v2, 3, v33
	v_cmp_gt_u32_e64 s[4:5], 8, v33
	v_lshlrev_b64 v[33:34], v4, v[39:40]
	v_sub_u32_e32 v3, 29, v3
	v_and_b32_e32 v4, 7, v33
	v_cndmask_b32_e64 v2, v2, v3, s[4:5]
	v_cndmask_b32_e64 v1, v1, v4, s[4:5]
	v_lshlrev_b32_e32 v0, 24, v0
	v_bfrev_b32_e32 v3, 60
	v_lshlrev_b32_e32 v1, 20, v1
	v_and_b32_e32 v0, 0x80000000, v0
	v_lshl_add_u32 v2, v2, 23, v3
	v_or3_b32 v0, v0, v2, v1
	buffer_store_dword v0, off, s[44:47], 0 offset:24 ; 4-byte Folded Spill
.LBB195_61:                             ;   in Loop: Header=BB195_9 Depth=1
	s_or_b64 exec, exec, s[36:37]
.LBB195_62:                             ;   in Loop: Header=BB195_9 Depth=1
	s_or_b64 exec, exec, s[34:35]
.LBB195_63:                             ;   in Loop: Header=BB195_9 Depth=1
	s_or_b64 exec, exec, s[16:17]
	global_load_ubyte v0, v[37:38], off offset:516
	v_mov_b32_e32 v44, 0
	v_mov_b32_e32 v41, 0
	s_waitcnt vmcnt(0)
	v_cmp_ne_u16_e64 s[4:5], 0, v0
	s_and_saveexec_b64 s[16:17], s[4:5]
	s_cbranch_execz .LBB195_69
; %bb.64:                               ;   in Loop: Header=BB195_9 Depth=1
	v_cmp_ne_u16_e64 s[4:5], s41, v0
	v_bfrev_b32_e32 v41, 1
	s_and_saveexec_b64 s[34:35], s[4:5]
	s_cbranch_execz .LBB195_68
; %bb.65:                               ;   in Loop: Header=BB195_9 Depth=1
	v_and_b32_e32 v39, 0xffff, v0
	s_waitcnt lgkmcnt(0)
	v_and_b32_e32 v33, 0x7f, v39
	v_cmp_ne_u32_e64 s[4:5], s42, v33
	v_mov_b32_e32 v41, 0x7f800001
	s_and_saveexec_b64 s[36:37], s[4:5]
	s_cbranch_execz .LBB195_67
; %bb.66:                               ;   in Loop: Header=BB195_9 Depth=1
	v_and_b32_e32 v1, 7, v39
	v_ffbh_u32_e32 v3, v1
	v_min_u32_e32 v3, 32, v3
	v_subrev_u32_e32 v4, 28, v3
	v_lshrrev_b32_e32 v2, 3, v33
	v_cmp_gt_u32_e64 s[4:5], 8, v33
	v_lshlrev_b64 v[33:34], v4, v[39:40]
	v_sub_u32_e32 v3, 29, v3
	v_and_b32_e32 v4, 7, v33
	v_cndmask_b32_e64 v2, v2, v3, s[4:5]
	v_cndmask_b32_e64 v1, v1, v4, s[4:5]
	v_lshlrev_b32_e32 v0, 24, v0
	v_bfrev_b32_e32 v3, 60
	v_lshlrev_b32_e32 v1, 20, v1
	v_and_b32_e32 v0, 0x80000000, v0
	v_lshl_add_u32 v2, v2, 23, v3
	v_or3_b32 v41, v0, v2, v1
.LBB195_67:                             ;   in Loop: Header=BB195_9 Depth=1
	s_or_b64 exec, exec, s[36:37]
.LBB195_68:                             ;   in Loop: Header=BB195_9 Depth=1
	s_or_b64 exec, exec, s[34:35]
.LBB195_69:                             ;   in Loop: Header=BB195_9 Depth=1
	s_or_b64 exec, exec, s[16:17]
	global_load_ubyte v0, v[37:38], off offset:520
	s_waitcnt vmcnt(0)
	v_cmp_ne_u16_e64 s[4:5], 0, v0
	s_and_saveexec_b64 s[16:17], s[4:5]
	s_cbranch_execz .LBB195_75
; %bb.70:                               ;   in Loop: Header=BB195_9 Depth=1
	v_cmp_ne_u16_e64 s[4:5], s41, v0
	v_bfrev_b32_e32 v44, 1
	s_and_saveexec_b64 s[34:35], s[4:5]
	s_cbranch_execz .LBB195_74
; %bb.71:                               ;   in Loop: Header=BB195_9 Depth=1
	v_and_b32_e32 v39, 0xffff, v0
	s_waitcnt lgkmcnt(0)
	v_and_b32_e32 v33, 0x7f, v39
	v_cmp_ne_u32_e64 s[4:5], s42, v33
	v_mov_b32_e32 v44, 0x7f800001
	s_and_saveexec_b64 s[36:37], s[4:5]
	s_cbranch_execz .LBB195_73
; %bb.72:                               ;   in Loop: Header=BB195_9 Depth=1
	v_and_b32_e32 v1, 7, v39
	v_ffbh_u32_e32 v3, v1
	v_min_u32_e32 v3, 32, v3
	v_subrev_u32_e32 v4, 28, v3
	v_lshrrev_b32_e32 v2, 3, v33
	v_cmp_gt_u32_e64 s[4:5], 8, v33
	v_lshlrev_b64 v[33:34], v4, v[39:40]
	v_sub_u32_e32 v3, 29, v3
	v_and_b32_e32 v4, 7, v33
	v_cndmask_b32_e64 v2, v2, v3, s[4:5]
	v_cndmask_b32_e64 v1, v1, v4, s[4:5]
	v_lshlrev_b32_e32 v0, 24, v0
	v_bfrev_b32_e32 v3, 60
	v_lshlrev_b32_e32 v1, 20, v1
	v_and_b32_e32 v0, 0x80000000, v0
	v_lshl_add_u32 v2, v2, 23, v3
	v_or3_b32 v44, v0, v2, v1
.LBB195_73:                             ;   in Loop: Header=BB195_9 Depth=1
	s_or_b64 exec, exec, s[36:37]
.LBB195_74:                             ;   in Loop: Header=BB195_9 Depth=1
	s_or_b64 exec, exec, s[34:35]
.LBB195_75:                             ;   in Loop: Header=BB195_9 Depth=1
	s_or_b64 exec, exec, s[16:17]
	global_load_ubyte v0, v[37:38], off offset:524
	v_mov_b32_e32 v42, 0
	v_mov_b32_e32 v40, 0
	s_waitcnt vmcnt(0)
	v_cmp_ne_u16_e64 s[4:5], 0, v0
	s_and_saveexec_b64 s[16:17], s[4:5]
	s_cbranch_execz .LBB195_81
; %bb.76:                               ;   in Loop: Header=BB195_9 Depth=1
	v_cmp_ne_u16_e64 s[4:5], s41, v0
	v_bfrev_b32_e32 v40, 1
	s_and_saveexec_b64 s[34:35], s[4:5]
	s_cbranch_execz .LBB195_80
; %bb.77:                               ;   in Loop: Header=BB195_9 Depth=1
	v_and_b32_e32 v39, 0xffff, v0
	s_waitcnt lgkmcnt(0)
	v_and_b32_e32 v33, 0x7f, v39
	v_cmp_ne_u32_e64 s[4:5], s42, v33
	v_mov_b32_e32 v40, 0x7f800001
	s_and_saveexec_b64 s[36:37], s[4:5]
	s_cbranch_execz .LBB195_79
; %bb.78:                               ;   in Loop: Header=BB195_9 Depth=1
	v_and_b32_e32 v1, 7, v39
	v_ffbh_u32_e32 v3, v1
	v_min_u32_e32 v3, 32, v3
	v_subrev_u32_e32 v4, 28, v3
	v_lshrrev_b32_e32 v2, 3, v33
	v_cmp_gt_u32_e64 s[4:5], 8, v33
	v_lshlrev_b64 v[33:34], v4, v[39:40]
	v_sub_u32_e32 v3, 29, v3
	v_and_b32_e32 v4, 7, v33
	v_cndmask_b32_e64 v2, v2, v3, s[4:5]
	v_cndmask_b32_e64 v1, v1, v4, s[4:5]
	v_lshlrev_b32_e32 v0, 24, v0
	v_bfrev_b32_e32 v3, 60
	v_lshlrev_b32_e32 v1, 20, v1
	v_and_b32_e32 v0, 0x80000000, v0
	v_lshl_add_u32 v2, v2, 23, v3
	v_or3_b32 v40, v0, v2, v1
.LBB195_79:                             ;   in Loop: Header=BB195_9 Depth=1
	s_or_b64 exec, exec, s[36:37]
.LBB195_80:                             ;   in Loop: Header=BB195_9 Depth=1
	s_or_b64 exec, exec, s[34:35]
.LBB195_81:                             ;   in Loop: Header=BB195_9 Depth=1
	s_or_b64 exec, exec, s[16:17]
	global_load_ubyte v0, v[37:38], off offset:768
	s_waitcnt vmcnt(0)
	v_cmp_ne_u16_e64 s[4:5], 0, v0
	s_and_saveexec_b64 s[16:17], s[4:5]
	s_cbranch_execz .LBB195_87
; %bb.82:                               ;   in Loop: Header=BB195_9 Depth=1
	v_cmp_ne_u16_e64 s[4:5], s41, v0
	v_bfrev_b32_e32 v42, 1
	s_and_saveexec_b64 s[34:35], s[4:5]
	s_cbranch_execz .LBB195_86
; %bb.83:                               ;   in Loop: Header=BB195_9 Depth=1
	v_and_b32_e32 v39, 0xffff, v0
	s_waitcnt lgkmcnt(0)
	v_and_b32_e32 v33, 0x7f, v39
	v_cmp_ne_u32_e64 s[4:5], s42, v33
	v_mov_b32_e32 v42, 0x7f800001
	s_and_saveexec_b64 s[36:37], s[4:5]
	s_cbranch_execz .LBB195_85
; %bb.84:                               ;   in Loop: Header=BB195_9 Depth=1
	v_and_b32_e32 v1, 7, v39
	v_ffbh_u32_e32 v3, v1
	v_min_u32_e32 v3, 32, v3
	v_subrev_u32_e32 v4, 28, v3
	v_lshrrev_b32_e32 v2, 3, v33
	v_cmp_gt_u32_e64 s[4:5], 8, v33
	v_lshlrev_b64 v[33:34], v4, v[39:40]
	v_sub_u32_e32 v3, 29, v3
	v_and_b32_e32 v4, 7, v33
	v_cndmask_b32_e64 v2, v2, v3, s[4:5]
	v_cndmask_b32_e64 v1, v1, v4, s[4:5]
	v_lshlrev_b32_e32 v0, 24, v0
	v_bfrev_b32_e32 v3, 60
	v_lshlrev_b32_e32 v1, 20, v1
	v_and_b32_e32 v0, 0x80000000, v0
	v_lshl_add_u32 v2, v2, 23, v3
	v_or3_b32 v42, v0, v2, v1
.LBB195_85:                             ;   in Loop: Header=BB195_9 Depth=1
	s_or_b64 exec, exec, s[36:37]
.LBB195_86:                             ;   in Loop: Header=BB195_9 Depth=1
	s_or_b64 exec, exec, s[34:35]
.LBB195_87:                             ;   in Loop: Header=BB195_9 Depth=1
	s_or_b64 exec, exec, s[16:17]
	global_load_ubyte v0, v[37:38], off offset:772
	v_mov_b32_e32 v48, 0
	v_mov_b32_e32 v47, 0
	s_waitcnt vmcnt(0)
	v_cmp_ne_u16_e64 s[4:5], 0, v0
	s_and_saveexec_b64 s[16:17], s[4:5]
	s_cbranch_execz .LBB195_93
; %bb.88:                               ;   in Loop: Header=BB195_9 Depth=1
	v_cmp_ne_u16_e64 s[4:5], s41, v0
	v_bfrev_b32_e32 v47, 1
	s_and_saveexec_b64 s[34:35], s[4:5]
	s_cbranch_execz .LBB195_92
; %bb.89:                               ;   in Loop: Header=BB195_9 Depth=1
	v_and_b32_e32 v39, 0xffff, v0
	s_waitcnt lgkmcnt(0)
	v_and_b32_e32 v33, 0x7f, v39
	v_cmp_ne_u32_e64 s[4:5], s42, v33
	v_mov_b32_e32 v47, 0x7f800001
	s_and_saveexec_b64 s[36:37], s[4:5]
	s_cbranch_execz .LBB195_91
; %bb.90:                               ;   in Loop: Header=BB195_9 Depth=1
	v_and_b32_e32 v1, 7, v39
	v_ffbh_u32_e32 v3, v1
	v_min_u32_e32 v3, 32, v3
	v_subrev_u32_e32 v4, 28, v3
	v_lshrrev_b32_e32 v2, 3, v33
	v_cmp_gt_u32_e64 s[4:5], 8, v33
	v_lshlrev_b64 v[33:34], v4, v[39:40]
	v_sub_u32_e32 v3, 29, v3
	v_and_b32_e32 v4, 7, v33
	v_cndmask_b32_e64 v2, v2, v3, s[4:5]
	v_cndmask_b32_e64 v1, v1, v4, s[4:5]
	v_lshlrev_b32_e32 v0, 24, v0
	v_bfrev_b32_e32 v3, 60
	v_lshlrev_b32_e32 v1, 20, v1
	v_and_b32_e32 v0, 0x80000000, v0
	v_lshl_add_u32 v2, v2, 23, v3
	v_or3_b32 v47, v0, v2, v1
.LBB195_91:                             ;   in Loop: Header=BB195_9 Depth=1
	s_or_b64 exec, exec, s[36:37]
.LBB195_92:                             ;   in Loop: Header=BB195_9 Depth=1
	s_or_b64 exec, exec, s[34:35]
.LBB195_93:                             ;   in Loop: Header=BB195_9 Depth=1
	s_or_b64 exec, exec, s[16:17]
	global_load_ubyte v0, v[37:38], off offset:776
	s_waitcnt vmcnt(0)
	v_cmp_ne_u16_e64 s[4:5], 0, v0
	s_and_saveexec_b64 s[16:17], s[4:5]
	s_cbranch_execz .LBB195_99
; %bb.94:                               ;   in Loop: Header=BB195_9 Depth=1
	v_cmp_ne_u16_e64 s[4:5], s41, v0
	v_bfrev_b32_e32 v48, 1
	s_and_saveexec_b64 s[34:35], s[4:5]
	s_cbranch_execz .LBB195_98
; %bb.95:                               ;   in Loop: Header=BB195_9 Depth=1
	v_and_b32_e32 v39, 0xffff, v0
	s_waitcnt lgkmcnt(0)
	v_and_b32_e32 v33, 0x7f, v39
	v_cmp_ne_u32_e64 s[4:5], s42, v33
	v_mov_b32_e32 v48, 0x7f800001
	s_and_saveexec_b64 s[36:37], s[4:5]
	s_cbranch_execz .LBB195_97
; %bb.96:                               ;   in Loop: Header=BB195_9 Depth=1
	v_and_b32_e32 v1, 7, v39
	v_ffbh_u32_e32 v3, v1
	v_min_u32_e32 v3, 32, v3
	v_subrev_u32_e32 v4, 28, v3
	v_lshrrev_b32_e32 v2, 3, v33
	v_cmp_gt_u32_e64 s[4:5], 8, v33
	v_lshlrev_b64 v[33:34], v4, v[39:40]
	v_sub_u32_e32 v3, 29, v3
	v_and_b32_e32 v4, 7, v33
	v_cndmask_b32_e64 v2, v2, v3, s[4:5]
	v_cndmask_b32_e64 v1, v1, v4, s[4:5]
	v_lshlrev_b32_e32 v0, 24, v0
	v_bfrev_b32_e32 v3, 60
	v_lshlrev_b32_e32 v1, 20, v1
	v_and_b32_e32 v0, 0x80000000, v0
	v_lshl_add_u32 v2, v2, 23, v3
	v_or3_b32 v48, v0, v2, v1
.LBB195_97:                             ;   in Loop: Header=BB195_9 Depth=1
	s_or_b64 exec, exec, s[36:37]
.LBB195_98:                             ;   in Loop: Header=BB195_9 Depth=1
	s_or_b64 exec, exec, s[34:35]
.LBB195_99:                             ;   in Loop: Header=BB195_9 Depth=1
	s_or_b64 exec, exec, s[16:17]
	s_waitcnt lgkmcnt(0)
	global_load_ubyte v33, v[37:38], off offset:780
	v_mov_b32_e32 v0, 0
	v_mov_b32_e32 v46, 0
	s_waitcnt vmcnt(0)
	v_cmp_ne_u16_e64 s[4:5], 0, v33
	s_and_saveexec_b64 s[16:17], s[4:5]
	s_cbranch_execz .LBB195_105
; %bb.100:                              ;   in Loop: Header=BB195_9 Depth=1
	v_cmp_ne_u16_e64 s[4:5], s41, v33
	v_bfrev_b32_e32 v46, 1
	s_and_saveexec_b64 s[34:35], s[4:5]
	s_cbranch_execz .LBB195_104
; %bb.101:                              ;   in Loop: Header=BB195_9 Depth=1
	v_and_b32_e32 v39, 0xffff, v33
	v_and_b32_e32 v34, 0x7f, v39
	v_cmp_ne_u32_e64 s[4:5], s42, v34
	v_mov_b32_e32 v46, 0x7f800001
	s_and_saveexec_b64 s[36:37], s[4:5]
	s_cbranch_execz .LBB195_103
; %bb.102:                              ;   in Loop: Header=BB195_9 Depth=1
	v_and_b32_e32 v1, 7, v39
	v_ffbh_u32_e32 v3, v1
	v_min_u32_e32 v3, 32, v3
	v_subrev_u32_e32 v4, 28, v3
	v_lshlrev_b64 v[45:46], v4, v[39:40]
	v_lshrrev_b32_e32 v2, 3, v34
	v_cmp_gt_u32_e64 s[4:5], 8, v34
	v_sub_u32_e32 v3, 29, v3
	v_and_b32_e32 v4, 7, v45
	v_cndmask_b32_e64 v2, v2, v3, s[4:5]
	v_cndmask_b32_e64 v1, v1, v4, s[4:5]
	v_lshlrev_b32_e32 v3, 24, v33
	v_bfrev_b32_e32 v4, 60
	v_lshlrev_b32_e32 v1, 20, v1
	v_and_b32_e32 v3, 0x80000000, v3
	v_lshl_add_u32 v2, v2, 23, v4
	v_or3_b32 v46, v3, v2, v1
.LBB195_103:                            ;   in Loop: Header=BB195_9 Depth=1
	s_or_b64 exec, exec, s[36:37]
.LBB195_104:                            ;   in Loop: Header=BB195_9 Depth=1
	s_or_b64 exec, exec, s[34:35]
.LBB195_105:                            ;   in Loop: Header=BB195_9 Depth=1
	s_or_b64 exec, exec, s[16:17]
	global_load_ubyte v33, v[37:38], off offset:1024
	s_waitcnt vmcnt(0)
	v_cmp_ne_u16_e64 s[4:5], 0, v33
	s_and_saveexec_b64 s[16:17], s[4:5]
	s_cbranch_execz .LBB195_111
; %bb.106:                              ;   in Loop: Header=BB195_9 Depth=1
	v_cmp_ne_u16_e64 s[4:5], s41, v33
	v_bfrev_b32_e32 v0, 1
	s_and_saveexec_b64 s[34:35], s[4:5]
	s_cbranch_execz .LBB195_110
; %bb.107:                              ;   in Loop: Header=BB195_9 Depth=1
	v_and_b32_e32 v39, 0xffff, v33
	v_and_b32_e32 v34, 0x7f, v39
	v_cmp_ne_u32_e64 s[4:5], s42, v34
	v_mov_b32_e32 v0, 0x7f800001
	s_and_saveexec_b64 s[36:37], s[4:5]
	s_cbranch_execz .LBB195_109
; %bb.108:                              ;   in Loop: Header=BB195_9 Depth=1
	v_and_b32_e32 v0, 7, v39
	v_ffbh_u32_e32 v2, v0
	v_min_u32_e32 v2, 32, v2
	v_subrev_u32_e32 v3, 28, v2
	v_lshlrev_b64 v[49:50], v3, v[39:40]
	v_lshrrev_b32_e32 v1, 3, v34
	v_cmp_gt_u32_e64 s[4:5], 8, v34
	v_sub_u32_e32 v2, 29, v2
	v_and_b32_e32 v3, 7, v49
	v_cndmask_b32_e64 v1, v1, v2, s[4:5]
	v_cndmask_b32_e64 v0, v0, v3, s[4:5]
	v_lshlrev_b32_e32 v2, 24, v33
	v_bfrev_b32_e32 v3, 60
	v_lshlrev_b32_e32 v0, 20, v0
	v_and_b32_e32 v2, 0x80000000, v2
	v_lshl_add_u32 v1, v1, 23, v3
	v_or3_b32 v0, v2, v1, v0
.LBB195_109:                            ;   in Loop: Header=BB195_9 Depth=1
	s_or_b64 exec, exec, s[36:37]
.LBB195_110:                            ;   in Loop: Header=BB195_9 Depth=1
	s_or_b64 exec, exec, s[34:35]
.LBB195_111:                            ;   in Loop: Header=BB195_9 Depth=1
	s_or_b64 exec, exec, s[16:17]
	global_load_ubyte v33, v[37:38], off offset:1028
	v_mov_b32_e32 v50, 0
	v_mov_b32_e32 v51, 0
	s_waitcnt vmcnt(0)
	v_cmp_ne_u16_e64 s[4:5], 0, v33
	s_and_saveexec_b64 s[16:17], s[4:5]
	s_cbranch_execz .LBB195_117
; %bb.112:                              ;   in Loop: Header=BB195_9 Depth=1
	v_cmp_ne_u16_e64 s[4:5], s41, v33
	v_bfrev_b32_e32 v51, 1
	s_and_saveexec_b64 s[34:35], s[4:5]
	s_cbranch_execz .LBB195_116
; %bb.113:                              ;   in Loop: Header=BB195_9 Depth=1
	v_and_b32_e32 v39, 0xffff, v33
	v_and_b32_e32 v34, 0x7f, v39
	v_cmp_ne_u32_e64 s[4:5], s42, v34
	v_mov_b32_e32 v51, 0x7f800001
	s_and_saveexec_b64 s[36:37], s[4:5]
	s_cbranch_execz .LBB195_115
; %bb.114:                              ;   in Loop: Header=BB195_9 Depth=1
	v_and_b32_e32 v1, 7, v39
	v_ffbh_u32_e32 v3, v1
	v_min_u32_e32 v3, 32, v3
	v_subrev_u32_e32 v4, 28, v3
	v_lshlrev_b64 v[56:57], v4, v[39:40]
	v_lshrrev_b32_e32 v2, 3, v34
	v_cmp_gt_u32_e64 s[4:5], 8, v34
	v_sub_u32_e32 v3, 29, v3
	v_and_b32_e32 v4, 7, v56
	v_cndmask_b32_e64 v2, v2, v3, s[4:5]
	v_cndmask_b32_e64 v1, v1, v4, s[4:5]
	v_lshlrev_b32_e32 v3, 24, v33
	v_bfrev_b32_e32 v4, 60
	v_lshlrev_b32_e32 v1, 20, v1
	v_and_b32_e32 v3, 0x80000000, v3
	v_lshl_add_u32 v2, v2, 23, v4
	v_or3_b32 v51, v3, v2, v1
.LBB195_115:                            ;   in Loop: Header=BB195_9 Depth=1
	s_or_b64 exec, exec, s[36:37]
.LBB195_116:                            ;   in Loop: Header=BB195_9 Depth=1
	s_or_b64 exec, exec, s[34:35]
.LBB195_117:                            ;   in Loop: Header=BB195_9 Depth=1
	s_or_b64 exec, exec, s[16:17]
	global_load_ubyte v33, v[37:38], off offset:1032
	s_waitcnt vmcnt(0)
	v_cmp_ne_u16_e64 s[4:5], 0, v33
	s_and_saveexec_b64 s[16:17], s[4:5]
	s_cbranch_execz .LBB195_123
; %bb.118:                              ;   in Loop: Header=BB195_9 Depth=1
	v_cmp_ne_u16_e64 s[4:5], s41, v33
	v_bfrev_b32_e32 v50, 1
	s_and_saveexec_b64 s[34:35], s[4:5]
	s_cbranch_execz .LBB195_122
; %bb.119:                              ;   in Loop: Header=BB195_9 Depth=1
	v_and_b32_e32 v39, 0xffff, v33
	v_and_b32_e32 v34, 0x7f, v39
	v_cmp_ne_u32_e64 s[4:5], s42, v34
	v_mov_b32_e32 v50, 0x7f800001
	s_and_saveexec_b64 s[36:37], s[4:5]
	s_cbranch_execz .LBB195_121
; %bb.120:                              ;   in Loop: Header=BB195_9 Depth=1
	v_and_b32_e32 v1, 7, v39
	v_ffbh_u32_e32 v3, v1
	v_min_u32_e32 v3, 32, v3
	v_subrev_u32_e32 v4, 28, v3
	v_lshlrev_b64 v[49:50], v4, v[39:40]
	v_lshrrev_b32_e32 v2, 3, v34
	v_cmp_gt_u32_e64 s[4:5], 8, v34
	v_sub_u32_e32 v3, 29, v3
	v_and_b32_e32 v4, 7, v49
	v_cndmask_b32_e64 v2, v2, v3, s[4:5]
	v_cndmask_b32_e64 v1, v1, v4, s[4:5]
	v_lshlrev_b32_e32 v3, 24, v33
	v_bfrev_b32_e32 v4, 60
	v_lshlrev_b32_e32 v1, 20, v1
	v_and_b32_e32 v3, 0x80000000, v3
	v_lshl_add_u32 v2, v2, 23, v4
	v_or3_b32 v50, v3, v2, v1
.LBB195_121:                            ;   in Loop: Header=BB195_9 Depth=1
	s_or_b64 exec, exec, s[36:37]
.LBB195_122:                            ;   in Loop: Header=BB195_9 Depth=1
	s_or_b64 exec, exec, s[34:35]
.LBB195_123:                            ;   in Loop: Header=BB195_9 Depth=1
	s_or_b64 exec, exec, s[16:17]
	global_load_ubyte v43, v[37:38], off offset:1036
	v_mov_b32_e32 v33, 0
	v_mov_b32_e32 v34, 0
	s_waitcnt vmcnt(0)
	v_cmp_ne_u16_e64 s[4:5], 0, v43
	s_and_saveexec_b64 s[16:17], s[4:5]
	s_cbranch_execz .LBB195_129
; %bb.124:                              ;   in Loop: Header=BB195_9 Depth=1
	v_cmp_ne_u16_e64 s[4:5], s41, v43
	v_bfrev_b32_e32 v34, 1
	s_and_saveexec_b64 s[34:35], s[4:5]
	s_cbranch_execz .LBB195_128
; %bb.125:                              ;   in Loop: Header=BB195_9 Depth=1
	v_and_b32_e32 v39, 0xffff, v43
	v_and_b32_e32 v49, 0x7f, v39
	v_cmp_ne_u32_e64 s[4:5], s42, v49
	v_mov_b32_e32 v34, 0x7f800001
	s_and_saveexec_b64 s[36:37], s[4:5]
	s_cbranch_execz .LBB195_127
; %bb.126:                              ;   in Loop: Header=BB195_9 Depth=1
	v_and_b32_e32 v1, 7, v39
	v_ffbh_u32_e32 v3, v1
	v_min_u32_e32 v3, 32, v3
	v_subrev_u32_e32 v4, 28, v3
	v_lshlrev_b64 v[56:57], v4, v[39:40]
	v_lshrrev_b32_e32 v2, 3, v49
	v_cmp_gt_u32_e64 s[4:5], 8, v49
	v_sub_u32_e32 v3, 29, v3
	v_and_b32_e32 v4, 7, v56
	v_cndmask_b32_e64 v2, v2, v3, s[4:5]
	v_cndmask_b32_e64 v1, v1, v4, s[4:5]
	v_lshlrev_b32_e32 v3, 24, v43
	v_bfrev_b32_e32 v4, 60
	v_lshlrev_b32_e32 v1, 20, v1
	v_and_b32_e32 v3, 0x80000000, v3
	v_lshl_add_u32 v2, v2, 23, v4
	v_or3_b32 v34, v3, v2, v1
.LBB195_127:                            ;   in Loop: Header=BB195_9 Depth=1
	s_or_b64 exec, exec, s[36:37]
.LBB195_128:                            ;   in Loop: Header=BB195_9 Depth=1
	s_or_b64 exec, exec, s[34:35]
.LBB195_129:                            ;   in Loop: Header=BB195_9 Depth=1
	s_or_b64 exec, exec, s[16:17]
	global_load_ubyte v43, v[37:38], off offset:1280
	s_waitcnt vmcnt(0)
	v_cmp_ne_u16_e64 s[4:5], 0, v43
	s_and_saveexec_b64 s[16:17], s[4:5]
	s_cbranch_execz .LBB195_135
; %bb.130:                              ;   in Loop: Header=BB195_9 Depth=1
	v_cmp_ne_u16_e64 s[4:5], s41, v43
	v_bfrev_b32_e32 v33, 1
	s_and_saveexec_b64 s[34:35], s[4:5]
	s_cbranch_execz .LBB195_134
; %bb.131:                              ;   in Loop: Header=BB195_9 Depth=1
	v_and_b32_e32 v39, 0xffff, v43
	v_and_b32_e32 v49, 0x7f, v39
	v_cmp_ne_u32_e64 s[4:5], s42, v49
	v_mov_b32_e32 v33, 0x7f800001
	s_and_saveexec_b64 s[36:37], s[4:5]
	s_cbranch_execz .LBB195_133
; %bb.132:                              ;   in Loop: Header=BB195_9 Depth=1
	v_and_b32_e32 v1, 7, v39
	v_ffbh_u32_e32 v3, v1
	v_min_u32_e32 v3, 32, v3
	v_subrev_u32_e32 v4, 28, v3
	v_lshlrev_b64 v[56:57], v4, v[39:40]
	v_lshrrev_b32_e32 v2, 3, v49
	v_cmp_gt_u32_e64 s[4:5], 8, v49
	v_sub_u32_e32 v3, 29, v3
	v_and_b32_e32 v4, 7, v56
	v_cndmask_b32_e64 v2, v2, v3, s[4:5]
	v_cndmask_b32_e64 v1, v1, v4, s[4:5]
	v_lshlrev_b32_e32 v3, 24, v43
	v_bfrev_b32_e32 v4, 60
	v_lshlrev_b32_e32 v1, 20, v1
	v_and_b32_e32 v3, 0x80000000, v3
	v_lshl_add_u32 v2, v2, 23, v4
	v_or3_b32 v33, v3, v2, v1
.LBB195_133:                            ;   in Loop: Header=BB195_9 Depth=1
	s_or_b64 exec, exec, s[36:37]
.LBB195_134:                            ;   in Loop: Header=BB195_9 Depth=1
	s_or_b64 exec, exec, s[34:35]
.LBB195_135:                            ;   in Loop: Header=BB195_9 Depth=1
	s_or_b64 exec, exec, s[16:17]
	global_load_ubyte v43, v[37:38], off offset:1284
	v_mov_b32_e32 v49, 0
	v_mov_b32_e32 v54, 0
	s_waitcnt vmcnt(0)
	v_cmp_ne_u16_e64 s[4:5], 0, v43
	s_and_saveexec_b64 s[16:17], s[4:5]
	s_cbranch_execz .LBB195_141
; %bb.136:                              ;   in Loop: Header=BB195_9 Depth=1
	v_cmp_ne_u16_e64 s[4:5], s41, v43
	v_bfrev_b32_e32 v54, 1
	s_and_saveexec_b64 s[34:35], s[4:5]
	s_cbranch_execz .LBB195_140
; %bb.137:                              ;   in Loop: Header=BB195_9 Depth=1
	v_and_b32_e32 v39, 0xffff, v43
	v_and_b32_e32 v56, 0x7f, v39
	v_cmp_ne_u32_e64 s[4:5], s42, v56
	v_mov_b32_e32 v54, 0x7f800001
	s_and_saveexec_b64 s[36:37], s[4:5]
	s_cbranch_execz .LBB195_139
; %bb.138:                              ;   in Loop: Header=BB195_9 Depth=1
	v_and_b32_e32 v1, 7, v39
	v_ffbh_u32_e32 v3, v1
	v_min_u32_e32 v3, 32, v3
	v_subrev_u32_e32 v4, 28, v3
	v_lshrrev_b32_e32 v2, 3, v56
	v_cmp_gt_u32_e64 s[4:5], 8, v56
	v_lshlrev_b64 v[56:57], v4, v[39:40]
	v_sub_u32_e32 v3, 29, v3
	v_and_b32_e32 v4, 7, v56
	v_cndmask_b32_e64 v2, v2, v3, s[4:5]
	v_cndmask_b32_e64 v1, v1, v4, s[4:5]
	v_lshlrev_b32_e32 v3, 24, v43
	v_bfrev_b32_e32 v4, 60
	v_lshlrev_b32_e32 v1, 20, v1
	v_and_b32_e32 v3, 0x80000000, v3
	v_lshl_add_u32 v2, v2, 23, v4
	v_or3_b32 v54, v3, v2, v1
.LBB195_139:                            ;   in Loop: Header=BB195_9 Depth=1
	s_or_b64 exec, exec, s[36:37]
.LBB195_140:                            ;   in Loop: Header=BB195_9 Depth=1
	s_or_b64 exec, exec, s[34:35]
.LBB195_141:                            ;   in Loop: Header=BB195_9 Depth=1
	s_or_b64 exec, exec, s[16:17]
	global_load_ubyte v43, v[37:38], off offset:1288
	s_waitcnt vmcnt(0)
	v_cmp_ne_u16_e64 s[4:5], 0, v43
	s_and_saveexec_b64 s[16:17], s[4:5]
	s_cbranch_execz .LBB195_147
; %bb.142:                              ;   in Loop: Header=BB195_9 Depth=1
	v_cmp_ne_u16_e64 s[4:5], s41, v43
	v_bfrev_b32_e32 v49, 1
	s_and_saveexec_b64 s[34:35], s[4:5]
	s_cbranch_execz .LBB195_146
; %bb.143:                              ;   in Loop: Header=BB195_9 Depth=1
	v_and_b32_e32 v39, 0xffff, v43
	v_and_b32_e32 v56, 0x7f, v39
	v_cmp_ne_u32_e64 s[4:5], s42, v56
	v_mov_b32_e32 v49, 0x7f800001
	s_and_saveexec_b64 s[36:37], s[4:5]
	s_cbranch_execz .LBB195_145
; %bb.144:                              ;   in Loop: Header=BB195_9 Depth=1
	v_and_b32_e32 v1, 7, v39
	v_ffbh_u32_e32 v3, v1
	v_min_u32_e32 v3, 32, v3
	v_subrev_u32_e32 v4, 28, v3
	v_lshrrev_b32_e32 v2, 3, v56
	v_cmp_gt_u32_e64 s[4:5], 8, v56
	v_lshlrev_b64 v[56:57], v4, v[39:40]
	v_sub_u32_e32 v3, 29, v3
	v_and_b32_e32 v4, 7, v56
	v_cndmask_b32_e64 v2, v2, v3, s[4:5]
	v_cndmask_b32_e64 v1, v1, v4, s[4:5]
	v_lshlrev_b32_e32 v3, 24, v43
	v_bfrev_b32_e32 v4, 60
	v_lshlrev_b32_e32 v1, 20, v1
	v_and_b32_e32 v3, 0x80000000, v3
	v_lshl_add_u32 v2, v2, 23, v4
	v_or3_b32 v49, v3, v2, v1
.LBB195_145:                            ;   in Loop: Header=BB195_9 Depth=1
	s_or_b64 exec, exec, s[36:37]
.LBB195_146:                            ;   in Loop: Header=BB195_9 Depth=1
	s_or_b64 exec, exec, s[34:35]
.LBB195_147:                            ;   in Loop: Header=BB195_9 Depth=1
	s_or_b64 exec, exec, s[16:17]
	global_load_ubyte v43, v[37:38], off offset:1292
	v_mov_b32_e32 v56, 0
	v_mov_b32_e32 v57, 0
	s_waitcnt vmcnt(0)
	v_cmp_ne_u16_e64 s[4:5], 0, v43
	s_and_saveexec_b64 s[16:17], s[4:5]
	s_cbranch_execz .LBB195_153
; %bb.148:                              ;   in Loop: Header=BB195_9 Depth=1
	v_cmp_ne_u16_e64 s[4:5], s41, v43
	v_bfrev_b32_e32 v57, 1
	s_and_saveexec_b64 s[34:35], s[4:5]
	s_cbranch_execz .LBB195_152
; %bb.149:                              ;   in Loop: Header=BB195_9 Depth=1
	v_and_b32_e32 v39, 0xffff, v43
	v_and_b32_e32 v58, 0x7f, v39
	v_cmp_ne_u32_e64 s[4:5], s42, v58
	v_mov_b32_e32 v57, 0x7f800001
	s_and_saveexec_b64 s[36:37], s[4:5]
	s_cbranch_execz .LBB195_151
; %bb.150:                              ;   in Loop: Header=BB195_9 Depth=1
	v_and_b32_e32 v1, 7, v39
	v_ffbh_u32_e32 v3, v1
	v_min_u32_e32 v3, 32, v3
	v_subrev_u32_e32 v4, 28, v3
	v_lshrrev_b32_e32 v2, 3, v58
	v_cmp_gt_u32_e64 s[4:5], 8, v58
	v_lshlrev_b64 v[57:58], v4, v[39:40]
	v_sub_u32_e32 v3, 29, v3
	v_and_b32_e32 v4, 7, v57
	v_cndmask_b32_e64 v2, v2, v3, s[4:5]
	v_cndmask_b32_e64 v1, v1, v4, s[4:5]
	v_lshlrev_b32_e32 v3, 24, v43
	v_bfrev_b32_e32 v4, 60
	v_lshlrev_b32_e32 v1, 20, v1
	v_and_b32_e32 v3, 0x80000000, v3
	v_lshl_add_u32 v2, v2, 23, v4
	v_or3_b32 v57, v3, v2, v1
.LBB195_151:                            ;   in Loop: Header=BB195_9 Depth=1
	s_or_b64 exec, exec, s[36:37]
.LBB195_152:                            ;   in Loop: Header=BB195_9 Depth=1
	s_or_b64 exec, exec, s[34:35]
.LBB195_153:                            ;   in Loop: Header=BB195_9 Depth=1
	s_or_b64 exec, exec, s[16:17]
	global_load_ubyte v43, v[37:38], off offset:1536
	s_waitcnt vmcnt(0)
	v_cmp_ne_u16_e64 s[4:5], 0, v43
	s_and_saveexec_b64 s[16:17], s[4:5]
	s_cbranch_execz .LBB195_159
; %bb.154:                              ;   in Loop: Header=BB195_9 Depth=1
	v_cmp_ne_u16_e64 s[4:5], s41, v43
	v_bfrev_b32_e32 v56, 1
	s_and_saveexec_b64 s[34:35], s[4:5]
	s_cbranch_execz .LBB195_158
; %bb.155:                              ;   in Loop: Header=BB195_9 Depth=1
	v_and_b32_e32 v39, 0xffff, v43
	v_and_b32_e32 v58, 0x7f, v39
	v_cmp_ne_u32_e64 s[4:5], s42, v58
	v_mov_b32_e32 v56, 0x7f800001
	s_and_saveexec_b64 s[36:37], s[4:5]
	s_cbranch_execz .LBB195_157
; %bb.156:                              ;   in Loop: Header=BB195_9 Depth=1
	v_and_b32_e32 v1, 7, v39
	v_ffbh_u32_e32 v3, v1
	v_min_u32_e32 v3, 32, v3
	v_subrev_u32_e32 v4, 28, v3
	v_lshrrev_b32_e32 v2, 3, v58
	v_cmp_gt_u32_e64 s[4:5], 8, v58
	v_lshlrev_b64 v[58:59], v4, v[39:40]
	v_sub_u32_e32 v3, 29, v3
	v_and_b32_e32 v4, 7, v58
	v_cndmask_b32_e64 v2, v2, v3, s[4:5]
	v_cndmask_b32_e64 v1, v1, v4, s[4:5]
	v_lshlrev_b32_e32 v3, 24, v43
	v_bfrev_b32_e32 v4, 60
	v_lshlrev_b32_e32 v1, 20, v1
	v_and_b32_e32 v3, 0x80000000, v3
	v_lshl_add_u32 v2, v2, 23, v4
	v_or3_b32 v56, v3, v2, v1
.LBB195_157:                            ;   in Loop: Header=BB195_9 Depth=1
	s_or_b64 exec, exec, s[36:37]
.LBB195_158:                            ;   in Loop: Header=BB195_9 Depth=1
	s_or_b64 exec, exec, s[34:35]
.LBB195_159:                            ;   in Loop: Header=BB195_9 Depth=1
	s_or_b64 exec, exec, s[16:17]
	global_load_ubyte v43, v[37:38], off offset:1540
	v_mov_b32_e32 v58, 0
	v_mov_b32_e32 v59, 0
	s_waitcnt vmcnt(0)
	v_cmp_ne_u16_e64 s[4:5], 0, v43
	s_and_saveexec_b64 s[16:17], s[4:5]
	s_cbranch_execz .LBB195_165
; %bb.160:                              ;   in Loop: Header=BB195_9 Depth=1
	v_cmp_ne_u16_e64 s[4:5], s41, v43
	v_bfrev_b32_e32 v59, 1
	s_and_saveexec_b64 s[34:35], s[4:5]
	s_cbranch_execz .LBB195_164
; %bb.161:                              ;   in Loop: Header=BB195_9 Depth=1
	v_and_b32_e32 v39, 0xffff, v43
	v_and_b32_e32 v60, 0x7f, v39
	v_cmp_ne_u32_e64 s[4:5], s42, v60
	v_mov_b32_e32 v59, 0x7f800001
	s_and_saveexec_b64 s[36:37], s[4:5]
	s_cbranch_execz .LBB195_163
; %bb.162:                              ;   in Loop: Header=BB195_9 Depth=1
	v_and_b32_e32 v1, 7, v39
	v_ffbh_u32_e32 v3, v1
	v_min_u32_e32 v3, 32, v3
	v_subrev_u32_e32 v4, 28, v3
	v_lshrrev_b32_e32 v2, 3, v60
	v_cmp_gt_u32_e64 s[4:5], 8, v60
	v_lshlrev_b64 v[59:60], v4, v[39:40]
	v_sub_u32_e32 v3, 29, v3
	v_and_b32_e32 v4, 7, v59
	v_cndmask_b32_e64 v2, v2, v3, s[4:5]
	v_cndmask_b32_e64 v1, v1, v4, s[4:5]
	v_lshlrev_b32_e32 v3, 24, v43
	v_bfrev_b32_e32 v4, 60
	v_lshlrev_b32_e32 v1, 20, v1
	v_and_b32_e32 v3, 0x80000000, v3
	v_lshl_add_u32 v2, v2, 23, v4
	v_or3_b32 v59, v3, v2, v1
.LBB195_163:                            ;   in Loop: Header=BB195_9 Depth=1
	s_or_b64 exec, exec, s[36:37]
.LBB195_164:                            ;   in Loop: Header=BB195_9 Depth=1
	s_or_b64 exec, exec, s[34:35]
.LBB195_165:                            ;   in Loop: Header=BB195_9 Depth=1
	s_or_b64 exec, exec, s[16:17]
	global_load_ubyte v43, v[37:38], off offset:1544
	s_waitcnt vmcnt(0)
	v_cmp_ne_u16_e64 s[4:5], 0, v43
	s_and_saveexec_b64 s[16:17], s[4:5]
	s_cbranch_execz .LBB195_171
; %bb.166:                              ;   in Loop: Header=BB195_9 Depth=1
	v_cmp_ne_u16_e64 s[4:5], s41, v43
	v_bfrev_b32_e32 v58, 1
	s_and_saveexec_b64 s[34:35], s[4:5]
	s_cbranch_execz .LBB195_170
; %bb.167:                              ;   in Loop: Header=BB195_9 Depth=1
	v_and_b32_e32 v39, 0xffff, v43
	v_and_b32_e32 v60, 0x7f, v39
	v_cmp_ne_u32_e64 s[4:5], s42, v60
	v_mov_b32_e32 v58, 0x7f800001
	s_and_saveexec_b64 s[36:37], s[4:5]
	s_cbranch_execz .LBB195_169
; %bb.168:                              ;   in Loop: Header=BB195_9 Depth=1
	v_and_b32_e32 v1, 7, v39
	v_ffbh_u32_e32 v3, v1
	v_min_u32_e32 v3, 32, v3
	v_subrev_u32_e32 v4, 28, v3
	v_lshrrev_b32_e32 v2, 3, v60
	v_cmp_gt_u32_e64 s[4:5], 8, v60
	v_lshlrev_b64 v[60:61], v4, v[39:40]
	v_sub_u32_e32 v3, 29, v3
	v_and_b32_e32 v4, 7, v60
	v_cndmask_b32_e64 v2, v2, v3, s[4:5]
	v_cndmask_b32_e64 v1, v1, v4, s[4:5]
	v_lshlrev_b32_e32 v3, 24, v43
	v_bfrev_b32_e32 v4, 60
	v_lshlrev_b32_e32 v1, 20, v1
	v_and_b32_e32 v3, 0x80000000, v3
	v_lshl_add_u32 v2, v2, 23, v4
	v_or3_b32 v58, v3, v2, v1
.LBB195_169:                            ;   in Loop: Header=BB195_9 Depth=1
	s_or_b64 exec, exec, s[36:37]
.LBB195_170:                            ;   in Loop: Header=BB195_9 Depth=1
	s_or_b64 exec, exec, s[34:35]
.LBB195_171:                            ;   in Loop: Header=BB195_9 Depth=1
	s_or_b64 exec, exec, s[16:17]
	global_load_ubyte v61, v[37:38], off offset:1548
	v_mov_b32_e32 v60, 0
	v_mov_b32_e32 v43, 0
	s_waitcnt vmcnt(0)
	v_cmp_ne_u16_e64 s[4:5], 0, v61
	s_and_saveexec_b64 s[16:17], s[4:5]
	s_cbranch_execz .LBB195_177
; %bb.172:                              ;   in Loop: Header=BB195_9 Depth=1
	v_cmp_ne_u16_e64 s[4:5], s41, v61
	v_bfrev_b32_e32 v43, 1
	s_and_saveexec_b64 s[34:35], s[4:5]
	s_cbranch_execz .LBB195_176
; %bb.173:                              ;   in Loop: Header=BB195_9 Depth=1
	v_and_b32_e32 v39, 0xffff, v61
	v_and_b32_e32 v62, 0x7f, v39
	v_cmp_ne_u32_e64 s[4:5], s42, v62
	v_mov_b32_e32 v43, 0x7f800001
	s_and_saveexec_b64 s[36:37], s[4:5]
	s_cbranch_execz .LBB195_175
; %bb.174:                              ;   in Loop: Header=BB195_9 Depth=1
	v_and_b32_e32 v1, 7, v39
	v_ffbh_u32_e32 v3, v1
	v_min_u32_e32 v3, 32, v3
	v_subrev_u32_e32 v4, 28, v3
	v_lshrrev_b32_e32 v2, 3, v62
	v_cmp_gt_u32_e64 s[4:5], 8, v62
	v_lshlrev_b64 v[62:63], v4, v[39:40]
	v_sub_u32_e32 v3, 29, v3
	v_and_b32_e32 v4, 7, v62
	v_cndmask_b32_e64 v2, v2, v3, s[4:5]
	v_cndmask_b32_e64 v1, v1, v4, s[4:5]
	v_lshlrev_b32_e32 v3, 24, v61
	v_bfrev_b32_e32 v4, 60
	v_lshlrev_b32_e32 v1, 20, v1
	v_and_b32_e32 v3, 0x80000000, v3
	v_lshl_add_u32 v2, v2, 23, v4
	v_or3_b32 v43, v3, v2, v1
.LBB195_175:                            ;   in Loop: Header=BB195_9 Depth=1
	s_or_b64 exec, exec, s[36:37]
.LBB195_176:                            ;   in Loop: Header=BB195_9 Depth=1
	s_or_b64 exec, exec, s[34:35]
.LBB195_177:                            ;   in Loop: Header=BB195_9 Depth=1
	s_or_b64 exec, exec, s[16:17]
	global_load_ubyte v61, v[37:38], off offset:1792
	s_waitcnt vmcnt(0)
	v_cmp_ne_u16_e64 s[4:5], 0, v61
	s_and_saveexec_b64 s[16:17], s[4:5]
	s_cbranch_execz .LBB195_183
; %bb.178:                              ;   in Loop: Header=BB195_9 Depth=1
	v_cmp_ne_u16_e64 s[4:5], s41, v61
	v_bfrev_b32_e32 v60, 1
	s_and_saveexec_b64 s[34:35], s[4:5]
	s_cbranch_execz .LBB195_182
; %bb.179:                              ;   in Loop: Header=BB195_9 Depth=1
	v_and_b32_e32 v39, 0xffff, v61
	v_and_b32_e32 v62, 0x7f, v39
	v_cmp_ne_u32_e64 s[4:5], s42, v62
	v_mov_b32_e32 v60, 0x7f800001
	s_and_saveexec_b64 s[36:37], s[4:5]
	s_cbranch_execz .LBB195_181
; %bb.180:                              ;   in Loop: Header=BB195_9 Depth=1
	v_and_b32_e32 v1, 7, v39
	v_ffbh_u32_e32 v3, v1
	v_min_u32_e32 v3, 32, v3
	v_subrev_u32_e32 v4, 28, v3
	v_lshrrev_b32_e32 v2, 3, v62
	v_cmp_gt_u32_e64 s[4:5], 8, v62
	v_lshlrev_b64 v[62:63], v4, v[39:40]
	v_sub_u32_e32 v3, 29, v3
	v_and_b32_e32 v4, 7, v62
	v_cndmask_b32_e64 v2, v2, v3, s[4:5]
	v_cndmask_b32_e64 v1, v1, v4, s[4:5]
	v_lshlrev_b32_e32 v3, 24, v61
	v_bfrev_b32_e32 v4, 60
	v_lshlrev_b32_e32 v1, 20, v1
	v_and_b32_e32 v3, 0x80000000, v3
	v_lshl_add_u32 v2, v2, 23, v4
	v_or3_b32 v60, v3, v2, v1
.LBB195_181:                            ;   in Loop: Header=BB195_9 Depth=1
	s_or_b64 exec, exec, s[36:37]
.LBB195_182:                            ;   in Loop: Header=BB195_9 Depth=1
	s_or_b64 exec, exec, s[34:35]
.LBB195_183:                            ;   in Loop: Header=BB195_9 Depth=1
	s_or_b64 exec, exec, s[16:17]
	global_load_ubyte v63, v[37:38], off offset:1796
	v_mov_b32_e32 v61, 0
	v_mov_b32_e32 v62, 0
	s_waitcnt vmcnt(0)
	v_cmp_ne_u16_e64 s[4:5], 0, v63
	s_and_saveexec_b64 s[16:17], s[4:5]
	s_cbranch_execz .LBB195_189
; %bb.184:                              ;   in Loop: Header=BB195_9 Depth=1
	v_cmp_ne_u16_e64 s[4:5], s41, v63
	v_bfrev_b32_e32 v62, 1
	s_and_saveexec_b64 s[34:35], s[4:5]
	s_cbranch_execz .LBB195_188
; %bb.185:                              ;   in Loop: Header=BB195_9 Depth=1
	v_and_b32_e32 v39, 0xffff, v63
	v_and_b32_e32 v45, 0x7f, v39
	v_cmp_ne_u32_e64 s[4:5], s42, v45
	v_mov_b32_e32 v62, 0x7f800001
	s_and_saveexec_b64 s[36:37], s[4:5]
	s_cbranch_execz .LBB195_187
; %bb.186:                              ;   in Loop: Header=BB195_9 Depth=1
	v_and_b32_e32 v3, 7, v39
	v_ffbh_u32_e32 v1, v3
	v_lshrrev_b32_e32 v4, 3, v45
	v_cmp_gt_u32_e64 s[4:5], 8, v45
	v_min_u32_e32 v45, 32, v1
	v_subrev_u32_e32 v1, 28, v45
	v_lshlrev_b64 v[1:2], v1, v[39:40]
	v_sub_u32_e32 v2, 29, v45
	v_and_b32_e32 v1, 7, v1
	v_cndmask_b32_e64 v2, v4, v2, s[4:5]
	v_cndmask_b32_e64 v1, v3, v1, s[4:5]
	v_lshlrev_b32_e32 v3, 24, v63
	v_bfrev_b32_e32 v4, 60
	v_lshlrev_b32_e32 v1, 20, v1
	v_and_b32_e32 v3, 0x80000000, v3
	v_lshl_add_u32 v2, v2, 23, v4
	v_or3_b32 v62, v3, v2, v1
.LBB195_187:                            ;   in Loop: Header=BB195_9 Depth=1
	s_or_b64 exec, exec, s[36:37]
.LBB195_188:                            ;   in Loop: Header=BB195_9 Depth=1
	s_or_b64 exec, exec, s[34:35]
.LBB195_189:                            ;   in Loop: Header=BB195_9 Depth=1
	s_or_b64 exec, exec, s[16:17]
	global_load_ubyte v63, v[37:38], off offset:1800
	s_waitcnt vmcnt(0)
	v_cmp_ne_u16_e64 s[4:5], 0, v63
	s_and_saveexec_b64 s[16:17], s[4:5]
	s_cbranch_execz .LBB195_195
; %bb.190:                              ;   in Loop: Header=BB195_9 Depth=1
	v_cmp_ne_u16_e64 s[4:5], s41, v63
	v_bfrev_b32_e32 v61, 1
	s_and_saveexec_b64 s[34:35], s[4:5]
	s_cbranch_execz .LBB195_194
; %bb.191:                              ;   in Loop: Header=BB195_9 Depth=1
	v_and_b32_e32 v39, 0xffff, v63
	v_and_b32_e32 v45, 0x7f, v39
	v_cmp_ne_u32_e64 s[4:5], s42, v45
	v_mov_b32_e32 v61, 0x7f800001
	s_and_saveexec_b64 s[36:37], s[4:5]
	s_cbranch_execz .LBB195_193
; %bb.192:                              ;   in Loop: Header=BB195_9 Depth=1
	v_and_b32_e32 v3, 7, v39
	v_ffbh_u32_e32 v1, v3
	v_lshrrev_b32_e32 v4, 3, v45
	v_cmp_gt_u32_e64 s[4:5], 8, v45
	v_min_u32_e32 v45, 32, v1
	v_subrev_u32_e32 v1, 28, v45
	v_lshlrev_b64 v[1:2], v1, v[39:40]
	v_sub_u32_e32 v2, 29, v45
	v_and_b32_e32 v1, 7, v1
	v_cndmask_b32_e64 v2, v4, v2, s[4:5]
	v_cndmask_b32_e64 v1, v3, v1, s[4:5]
	v_lshlrev_b32_e32 v3, 24, v63
	v_bfrev_b32_e32 v4, 60
	v_lshlrev_b32_e32 v1, 20, v1
	v_and_b32_e32 v3, 0x80000000, v3
	v_lshl_add_u32 v2, v2, 23, v4
	v_or3_b32 v61, v3, v2, v1
.LBB195_193:                            ;   in Loop: Header=BB195_9 Depth=1
	s_or_b64 exec, exec, s[36:37]
.LBB195_194:                            ;   in Loop: Header=BB195_9 Depth=1
	s_or_b64 exec, exec, s[34:35]
.LBB195_195:                            ;   in Loop: Header=BB195_9 Depth=1
	s_or_b64 exec, exec, s[16:17]
	global_load_ubyte v39, v[37:38], off offset:1804
	v_mov_b32_e32 v38, 0
	s_waitcnt vmcnt(0)
	v_cmp_ne_u16_e64 s[4:5], 0, v39
	s_and_saveexec_b64 s[16:17], s[4:5]
	s_cbranch_execz .LBB195_201
; %bb.196:                              ;   in Loop: Header=BB195_9 Depth=1
	v_cmp_ne_u16_e64 s[4:5], s41, v39
	v_bfrev_b32_e32 v38, 1
	s_and_saveexec_b64 s[34:35], s[4:5]
	s_cbranch_execz .LBB195_200
; %bb.197:                              ;   in Loop: Header=BB195_9 Depth=1
	v_and_b32_e32 v37, 0xffff, v39
	v_and_b32_e32 v45, 0x7f, v37
	v_cmp_ne_u32_e64 s[4:5], s42, v45
	v_mov_b32_e32 v38, 0x7f800001
	s_and_saveexec_b64 s[36:37], s[4:5]
	s_cbranch_execz .LBB195_199
; %bb.198:                              ;   in Loop: Header=BB195_9 Depth=1
	v_and_b32_e32 v3, 7, v37
	v_ffbh_u32_e32 v1, v3
	v_min_u32_e32 v38, 32, v1
	v_subrev_u32_e32 v1, 28, v38
	v_lshlrev_b64 v[1:2], v1, v[37:38]
	v_lshrrev_b32_e32 v4, 3, v45
	v_cmp_gt_u32_e64 s[4:5], 8, v45
	v_sub_u32_e32 v2, 29, v38
	v_and_b32_e32 v1, 7, v1
	v_cndmask_b32_e64 v2, v4, v2, s[4:5]
	v_cndmask_b32_e64 v1, v3, v1, s[4:5]
	v_lshlrev_b32_e32 v3, 24, v39
	v_bfrev_b32_e32 v4, 60
	v_lshlrev_b32_e32 v1, 20, v1
	v_and_b32_e32 v3, 0x80000000, v3
	v_lshl_add_u32 v2, v2, 23, v4
	v_or3_b32 v38, v3, v2, v1
.LBB195_199:                            ;   in Loop: Header=BB195_9 Depth=1
	s_or_b64 exec, exec, s[36:37]
.LBB195_200:                            ;   in Loop: Header=BB195_9 Depth=1
	s_or_b64 exec, exec, s[34:35]
.LBB195_201:                            ;   in Loop: Header=BB195_9 Depth=1
	s_or_b64 exec, exec, s[16:17]
	v_mul_f32_e32 v1, s39, v6
	v_mul_f32_e32 v2, s39, v5
	buffer_load_dword v3, off, s[44:47], 0 offset:48 ; 4-byte Folded Reload
	buffer_load_dword v4, off, s[44:47], 0 offset:52 ; 4-byte Folded Reload
	;; [unrolled: 1-line block ×4, first 2 shown]
	v_mul_f32_e32 v45, s39, v56
	v_mul_f32_e32 v56, s39, v57
	;; [unrolled: 1-line block ×18, first 2 shown]
	s_waitcnt vmcnt(2)
	v_mul_f32_e32 v37, v4, v1
	v_fmac_f32_e32 v37, v3, v2
	v_mul_f32_e32 v1, s39, v8
	s_waitcnt vmcnt(1)
	v_fmac_f32_e32 v37, v5, v1
	buffer_load_dword v1, off, s[44:47], 0 offset:4 ; 4-byte Folded Reload
	buffer_load_dword v2, off, s[44:47], 0 offset:64 ; 4-byte Folded Reload
	;; [unrolled: 1-line block ×5, first 2 shown]
	s_waitcnt vmcnt(4)
	v_mul_f32_e32 v1, s39, v1
	v_fmac_f32_e32 v37, v6, v1
	v_mul_f32_e32 v1, s39, v7
	s_waitcnt vmcnt(3)
	v_fmac_f32_e32 v37, v2, v1
	buffer_load_dword v1, off, s[44:47], 0 offset:16 ; 4-byte Folded Reload
	buffer_load_dword v6, off, s[44:47], 0 offset:24 ; 4-byte Folded Reload
	v_mul_f32_e32 v2, s39, v62
	s_waitcnt vmcnt(1)
	v_mul_f32_e32 v1, s39, v1
	v_fmac_f32_e32 v37, v3, v1
	buffer_load_dword v1, off, s[44:47], 0 offset:12 ; 4-byte Folded Reload
	s_waitcnt vmcnt(1)
	v_mul_f32_e32 v57, s39, v6
	buffer_load_dword v6, off, s[44:47], 0 offset:20 ; 4-byte Folded Reload
	v_mul_f32_e32 v3, s39, v60
	s_waitcnt vmcnt(1)
	v_mul_f32_e32 v1, s39, v1
	v_fmac_f32_e32 v37, v4, v1
	s_waitcnt vmcnt(0)
	v_mul_f32_e32 v58, s39, v6
	v_fmac_f32_e32 v37, v5, v58
	s_waitcnt lgkmcnt(5)
	v_fmac_f32_e32 v37, v9, v57
	v_fmac_f32_e32 v37, v10, v41
	v_fmac_f32_e32 v37, v11, v44
	v_fmac_f32_e32 v37, v12, v40
	s_waitcnt lgkmcnt(4)
	v_fmac_f32_e32 v37, v13, v42
	v_fmac_f32_e32 v37, v14, v47
	v_fmac_f32_e32 v37, v15, v48
	;; [unrolled: 5-line block ×4, first 2 shown]
	v_fmac_f32_e32 v37, v24, v56
	v_mul_f32_e32 v4, s39, v43
	v_mul_f32_e32 v43, s39, v59
	s_waitcnt lgkmcnt(1)
	v_fmac_f32_e32 v37, v25, v45
	buffer_load_dword v0, off, s[44:47], 0 offset:32 ; 4-byte Folded Reload
	v_fmac_f32_e32 v37, v26, v43
	v_fmac_f32_e32 v37, v27, v39
	;; [unrolled: 1-line block ×3, first 2 shown]
	s_waitcnt lgkmcnt(0)
	v_fmac_f32_e32 v37, v29, v3
	v_mul_f32_e32 v1, s39, v61
	v_fmac_f32_e32 v37, v30, v2
	v_fmac_f32_e32 v37, v31, v1
	buffer_load_dword v1, off, s[44:47], 0 offset:36 ; 4-byte Folded Reload
	v_fmac_f32_e32 v37, v32, v38
	s_waitcnt vmcnt(1)
	ds_bpermute_b32 v0, v0, v37
	s_waitcnt lgkmcnt(0)
	v_add_f32_e32 v0, v37, v0
	s_waitcnt vmcnt(0)
	ds_bpermute_b32 v33, v1, v0
	s_and_saveexec_b64 s[16:17], vcc
	s_cbranch_execz .LBB195_8
; %bb.202:                              ;   in Loop: Header=BB195_9 Depth=1
	buffer_load_dword v3, off, s[44:47], 0 offset:28 ; 4-byte Folded Reload
	v_add_u32_e32 v1, s40, v52
	v_cvt_f32_i32_e32 v1, v1
	s_waitcnt lgkmcnt(0)
	v_add_f32_e32 v0, v0, v33
	v_cmp_gt_i32_e64 s[4:5], s30, v52
	v_mul_f32_e32 v1, s33, v1
	v_cndmask_b32_e64 v1, 0, v1, s[2:3]
	v_fmac_f32_e32 v1, s31, v0
	v_cndmask_b32_e64 v0, 0, v1, s[4:5]
	ds_write_b32 v53, v0
	s_waitcnt vmcnt(0)
	v_max_f32_e32 v2, v3, v3
	v_max_f32_e32 v0, v2, v1
	v_cndmask_b32_e64 v3, v3, v0, s[4:5]
	buffer_store_dword v3, off, s[44:47], 0 offset:28 ; 4-byte Folded Spill
	s_branch .LBB195_8
.LBB195_203:
	s_or_b64 exec, exec, s[14:15]
	buffer_load_dword v14, off, s[44:47], 0 offset:80 ; 4-byte Folded Reload
	buffer_load_dword v15, off, s[44:47], 0 offset:84 ; 4-byte Folded Reload
	;; [unrolled: 1-line block ×7, first 2 shown]
	s_waitcnt vmcnt(1)
	v_add_u32_e32 v18, 64, v8
.LBB195_204:
	s_or_b64 exec, exec, s[6:7]
	v_xor_b32_e32 v0, 32, v17
	v_cmp_lt_i32_e32 vcc, v0, v18
	v_cndmask_b32_e32 v0, v17, v0, vcc
	v_lshlrev_b32_e32 v0, 2, v0
	s_waitcnt vmcnt(0)
	ds_bpermute_b32 v1, v0, v2
	v_xor_b32_e32 v3, 16, v17
	v_max_f32_e32 v2, v2, v2
	v_cmp_lt_i32_e32 vcc, v3, v18
	v_xor_b32_e32 v4, 8, v17
	s_waitcnt lgkmcnt(0)
	v_max_f32_e32 v1, v1, v1
	v_max_f32_e32 v2, v2, v1
	v_cndmask_b32_e32 v1, v17, v3, vcc
	v_lshlrev_b32_e32 v1, 2, v1
	ds_bpermute_b32 v3, v1, v2
	v_cmp_lt_i32_e32 vcc, v4, v18
	v_xor_b32_e32 v5, 4, v17
	v_and_b32_e32 v16, 63, v14
	s_waitcnt lgkmcnt(0)
	v_max_f32_e32 v3, v3, v3
	v_max_f32_e32 v2, v2, v3
	v_cndmask_b32_e32 v3, v17, v4, vcc
	v_lshlrev_b32_e32 v4, 2, v3
	ds_bpermute_b32 v3, v4, v2
	v_cmp_lt_i32_e32 vcc, v5, v18
	s_waitcnt lgkmcnt(0)
	v_max_f32_e32 v3, v3, v3
	v_max_f32_e32 v3, v2, v3
	v_cndmask_b32_e32 v2, v17, v5, vcc
	v_lshlrev_b32_e32 v5, 2, v2
	buffer_load_dword v2, off, s[44:47], 0  ; 4-byte Folded Reload
	ds_bpermute_b32 v6, v5, v3
	v_cmp_eq_u32_e32 vcc, 0, v16
	s_waitcnt vmcnt(0)
	v_lshlrev_b32_e32 v2, 2, v2
	s_and_saveexec_b64 s[2:3], vcc
	s_cbranch_execz .LBB195_206
; %bb.205:
	s_waitcnt lgkmcnt(0)
	v_max_f32_e32 v6, v6, v6
	v_max_f32_e32 v3, v3, v3
	v_max_f32_e32 v3, v3, v6
	ds_write_b32 v2, v3 offset:512
.LBB195_206:
	s_or_b64 exec, exec, s[2:3]
	v_cmp_gt_u32_e64 s[2:3], 2, v16
	s_waitcnt lgkmcnt(0)
	v_mov_b32_e32 v6, 0xff7fffff
	v_lshlrev_b32_e32 v3, 2, v16
	s_barrier
	s_and_saveexec_b64 s[4:5], s[2:3]
; %bb.207:
	ds_read_b32 v6, v3 offset:512
; %bb.208:
	s_or_b64 exec, exec, s[4:5]
	v_xor_b32_e32 v7, 1, v17
	v_cmp_lt_i32_e64 s[4:5], v7, v18
	v_cndmask_b32_e64 v7, v17, v7, s[4:5]
	v_lshlrev_b32_e32 v13, 2, v7
	s_waitcnt lgkmcnt(0)
	ds_bpermute_b32 v7, v13, v6
	v_max_f32_e32 v6, v6, v6
	s_lshl_b32 s4, s21, 4
	s_min_i32 s31, s4, s30
	v_cmp_gt_i32_e64 s[4:5], s31, v14
	s_waitcnt lgkmcnt(0)
	v_max_f32_e32 v7, v7, v7
	v_max_f32_e32 v6, v6, v7
	v_lshlrev_b32_e32 v7, 2, v8
	ds_bpermute_b32 v7, v7, v6
	v_mov_b32_e32 v6, 0
	s_and_saveexec_b64 s[14:15], s[4:5]
	s_cbranch_execz .LBB195_212
; %bb.209:
	v_mov_b32_e32 v6, 0x210
	v_lshl_add_u32 v8, v14, 2, v6
	v_mov_b32_e32 v6, 0
	s_mov_b64 s[16:17], 0
	v_mov_b32_e32 v9, v14
.LBB195_210:                            ; =>This Inner Loop Header: Depth=1
	ds_read_b32 v10, v8
	v_add_u32_e32 v9, 0x80, v9
	v_cmp_le_i32_e64 s[6:7], s31, v9
	s_or_b64 s[16:17], s[6:7], s[16:17]
	s_waitcnt lgkmcnt(0)
	v_sub_f32_e32 v10, v10, v7
	v_mul_f32_e32 v10, 0x3fb8aa3b, v10
	v_exp_f32_e32 v10, v10
	ds_write_b32 v8, v10
	v_add_f32_e32 v6, v6, v10
	v_add_u32_e32 v8, 0x200, v8
	s_andn2_b64 exec, exec, s[16:17]
	s_cbranch_execnz .LBB195_210
; %bb.211:
	s_or_b64 exec, exec, s[16:17]
.LBB195_212:
	s_or_b64 exec, exec, s[14:15]
	ds_bpermute_b32 v0, v0, v6
	s_waitcnt lgkmcnt(0)
	v_add_f32_e32 v0, v6, v0
	ds_bpermute_b32 v1, v1, v0
	s_waitcnt lgkmcnt(0)
	v_add_f32_e32 v0, v0, v1
	ds_bpermute_b32 v1, v4, v0
	v_xor_b32_e32 v4, 2, v17
	v_cmp_lt_i32_e64 s[6:7], v4, v18
	v_cndmask_b32_e64 v4, v17, v4, s[6:7]
	v_lshlrev_b32_e32 v9, 2, v4
	s_waitcnt lgkmcnt(0)
	v_add_f32_e32 v0, v0, v1
	ds_bpermute_b32 v1, v5, v0
	s_waitcnt lgkmcnt(0)
	v_add_f32_e32 v0, v0, v1
	ds_bpermute_b32 v1, v9, v0
	;; [unrolled: 3-line block ×3, first 2 shown]
	s_waitcnt lgkmcnt(0)
	v_add_f32_e32 v0, v0, v1
	s_and_saveexec_b64 s[6:7], vcc
; %bb.213:
	ds_write_b32 v2, v0 offset:520
; %bb.214:
	s_or_b64 exec, exec, s[6:7]
	s_waitcnt lgkmcnt(0)
	s_barrier
	s_and_saveexec_b64 s[6:7], s[2:3]
; %bb.215:
	ds_read_b32 v0, v3 offset:520
; %bb.216:
	s_or_b64 exec, exec, s[6:7]
	s_waitcnt lgkmcnt(0)
	ds_bpermute_b32 v1, v13, v0
	v_lshlrev_b32_e32 v2, 2, v17
	s_waitcnt lgkmcnt(0)
	v_add_f32_e32 v0, v0, v1
	v_and_b32_e32 v1, 0xffffff00, v2
	ds_bpermute_b32 v0, v1, v0
	s_and_saveexec_b64 s[2:3], s[4:5]
	s_cbranch_execz .LBB195_219
; %bb.217:
	s_waitcnt lgkmcnt(0)
	v_add_f32_e32 v1, 0x358637bd, v0
	v_div_scale_f32 v0, s[4:5], v1, v1, 1.0
	v_div_scale_f32 v2, vcc, 1.0, v1, 1.0
	s_mov_b64 s[4:5], 0
	v_rcp_f32_e32 v3, v0
	v_fma_f32 v4, -v0, v3, 1.0
	v_fmac_f32_e32 v3, v4, v3
	v_mul_f32_e32 v4, v2, v3
	v_fma_f32 v5, -v0, v4, v2
	v_fmac_f32_e32 v4, v5, v3
	v_fma_f32 v0, -v0, v4, v2
	v_div_fmas_f32 v2, v0, v3, v4
	v_mov_b32_e32 v0, 0x210
	v_lshl_add_u32 v0, v14, 2, v0
	v_div_fixup_f32 v1, v2, v1, 1.0
	v_mov_b32_e32 v2, v14
.LBB195_218:                            ; =>This Inner Loop Header: Depth=1
	ds_read_b32 v3, v0
	v_add_u32_e32 v2, 0x80, v2
	v_cmp_le_i32_e32 vcc, s31, v2
	s_or_b64 s[4:5], vcc, s[4:5]
	s_waitcnt lgkmcnt(0)
	v_mul_f32_e32 v3, v1, v3
	ds_write_b32 v0, v3
	v_add_u32_e32 v0, 0x200, v0
	s_andn2_b64 exec, exec, s[4:5]
	s_cbranch_execnz .LBB195_218
.LBB195_219:
	s_or_b64 exec, exec, s[2:3]
	v_mov_b32_e32 v33, 0
	v_mov_b32_e32 v34, 0
	;; [unrolled: 1-line block ×8, first 2 shown]
	s_waitcnt lgkmcnt(0)
	s_barrier
	s_and_saveexec_b64 s[2:3], s[0:1]
	s_cbranch_execz .LBB195_431
; %bb.220:
	s_ashr_i32 s0, s12, 31
	s_add_u32 s1, s28, s12
	s_addc_u32 s0, s29, s0
	v_and_b32_e32 v1, 0xfc, v11
	v_mov_b32_e32 v2, s0
	v_add_co_u32_e32 v1, vcc, s1, v1
	buffer_store_dword v9, off, s[44:47], 0 offset:20 ; 4-byte Folded Spill
	buffer_store_dword v13, off, s[44:47], 0 offset:16 ; 4-byte Folded Spill
	;; [unrolled: 1-line block ×3, first 2 shown]
	v_addc_co_u32_e32 v2, vcc, 0, v2, vcc
	s_load_dword s17, s[18:19], 0x0
	buffer_store_dword v1, off, s[44:47], 0 offset:4 ; 4-byte Folded Spill
	s_nop 0
	buffer_store_dword v2, off, s[44:47], 0 offset:8 ; 4-byte Folded Spill
	buffer_load_dword v2, off, s[44:47], 0  ; 4-byte Folded Reload
	v_and_b32_e32 v0, 12, v11
	s_add_i32 s19, s21, -1
	s_lshl_b64 s[0:1], s[26:27], 2
	s_add_u32 s0, s24, s0
	s_addc_u32 s1, s25, s1
	v_mov_b32_e32 v5, 0
	s_mov_b32 s16, s13
	s_waitcnt lgkmcnt(0)
	s_mov_b32 s18, s17
	s_mov_b64 s[4:5], 0
	s_movk_i32 s24, 0x80
	s_movk_i32 s25, 0x7f
	s_brev_b32 s26, 1
	s_mov_b32 s27, 0xffffff
	v_bfrev_b32_e32 v37, 60
	v_bfrev_b32_e32 v6, 1
	v_mov_b32_e32 v38, 7
	v_mov_b32_e32 v27, v5
	;; [unrolled: 1-line block ×9, first 2 shown]
	s_waitcnt vmcnt(0)
	v_lshlrev_b32_e32 v1, 4, v2
	v_or3_b32 v35, v1, v0, 3
	v_lshlrev_b32_e32 v0, 4, v15
	v_lshl_or_b32 v0, v2, 6, v0
	v_add_u32_e32 v36, 0x210, v0
	v_and_b32_e32 v0, 60, v12
	v_mov_b32_e32 v1, s1
	v_add_co_u32_e32 v9, vcc, s0, v0
	v_addc_co_u32_e32 v10, vcc, 0, v1, vcc
	v_mov_b32_e32 v12, 0x7f800001
	s_branch .LBB195_222
.LBB195_221:                            ;   in Loop: Header=BB195_222 Depth=1
	s_or_b64 exec, exec, s[0:1]
	s_waitcnt lgkmcnt(0)
	v_mul_f32_e32 v7, v1, v43
	v_fmac_f32_e32 v7, v2, v25
	v_fmac_f32_e32 v7, v3, v23
	;; [unrolled: 1-line block ×3, first 2 shown]
	v_add_f32_e32 v28, v28, v7
	v_mul_f32_e32 v7, v1, v26
	v_fmac_f32_e32 v7, v2, v63
	v_fmac_f32_e32 v7, v3, v39
	;; [unrolled: 1-line block ×3, first 2 shown]
	v_add_f32_e32 v29, v29, v7
	v_mul_f32_e32 v7, v1, v62
	v_fmac_f32_e32 v7, v2, v0
	v_mul_f32_e32 v0, v1, v59
	v_fmac_f32_e32 v0, v2, v40
	v_fmac_f32_e32 v0, v3, v42
	v_fmac_f32_e32 v0, v4, v41
	v_add_f32_e32 v31, v31, v0
	v_mul_f32_e32 v0, v1, v58
	v_fmac_f32_e32 v0, v2, v55
	v_fmac_f32_e32 v0, v3, v57
	v_fmac_f32_e32 v0, v4, v56
	v_add_f32_e32 v32, v32, v0
	;; [unrolled: 5-line block ×5, first 2 shown]
	buffer_load_dword v0, off, s[44:47], 0  ; 4-byte Folded Reload
	v_fmac_f32_e32 v7, v3, v61
	v_fmac_f32_e32 v7, v4, v60
	v_add_f32_e32 v30, v30, v7
	v_add_u32_e32 v35, 32, v35
	v_add_u32_e32 v36, 0x80, v36
	s_waitcnt vmcnt(0)
	v_add_u32_e32 v0, 2, v0
	v_cmp_le_i32_e32 vcc, s21, v0
	s_or_b64 s[4:5], vcc, s[4:5]
	v_add_co_u32_e32 v9, vcc, 8, v9
	v_addc_co_u32_e32 v10, vcc, 0, v10, vcc
	buffer_store_dword v0, off, s[44:47], 0 ; 4-byte Folded Spill
	s_andn2_b64 exec, exec, s[4:5]
	s_cbranch_execz .LBB195_430
.LBB195_222:                            ; =>This Inner Loop Header: Depth=1
	global_load_dword v0, v[9:10], off
	buffer_load_dword v1, off, s[44:47], 0 offset:4 ; 4-byte Folded Reload
	buffer_load_dword v2, off, s[44:47], 0 offset:8 ; 4-byte Folded Reload
	v_mov_b32_e32 v18, 0
	v_mov_b32_e32 v16, 0
	;; [unrolled: 1-line block ×4, first 2 shown]
	s_waitcnt vmcnt(0)
	v_mad_i64_i32 v[13:14], s[0:1], v0, s16, v[1:2]
	ds_read_b128 v[1:4], v36
	global_load_dword v15, v[13:14], off
	s_waitcnt vmcnt(0)
	v_cmp_ne_u16_sdwa s[6:7], v15, v5 src0_sel:BYTE_0 src1_sel:DWORD
	s_and_saveexec_b64 s[0:1], s[6:7]
	s_cbranch_execz .LBB195_228
; %bb.223:                              ;   in Loop: Header=BB195_222 Depth=1
	v_bfrev_b32_e32 v16, 1
	v_mov_b32_e32 v17, 0
	v_cmp_ne_u16_sdwa s[12:13], v15, s24 src0_sel:BYTE_0 src1_sel:DWORD
	s_and_saveexec_b64 s[6:7], s[12:13]
	s_cbranch_execz .LBB195_227
; %bb.224:                              ;   in Loop: Header=BB195_222 Depth=1
	v_and_b32_e32 v0, 0x7f, v15
	v_mov_b32_e32 v16, 0x7f800001
	v_mov_b32_e32 v17, 0
	v_cmp_ne_u32_e32 vcc, s25, v0
	s_and_saveexec_b64 s[12:13], vcc
	s_cbranch_execz .LBB195_226
; %bb.225:                              ;   in Loop: Header=BB195_222 Depth=1
	v_and_b32_e32 v7, 7, v15
	v_ffbh_u32_e32 v11, v7
	v_min_u32_e32 v11, 32, v11
	v_subrev_u32_e32 v16, 28, v11
	v_lshlrev_b64 v[16:17], v16, v[15:16]
	v_lshrrev_b32_e32 v8, 3, v0
	v_sub_u32_e32 v11, 29, v11
	v_and_b32_e32 v16, 7, v16
	v_cmp_gt_u32_e32 vcc, 8, v0
	v_cndmask_b32_e32 v0, v8, v11, vcc
	v_cndmask_b32_e32 v7, v7, v16, vcc
	v_lshlrev_b32_e32 v7, 20, v7
	v_and_b32_sdwa v8, sext(v15), s26 dst_sel:DWORD dst_unused:UNUSED_PAD src0_sel:BYTE_0 src1_sel:DWORD
	v_lshl_add_u32 v0, v0, 23, v37
	v_or3_b32 v16, v8, v0, v7
	v_mov_b32_e32 v17, v5
.LBB195_226:                            ;   in Loop: Header=BB195_222 Depth=1
	s_or_b64 exec, exec, s[12:13]
.LBB195_227:                            ;   in Loop: Header=BB195_222 Depth=1
	s_or_b64 exec, exec, s[6:7]
.LBB195_228:                            ;   in Loop: Header=BB195_222 Depth=1
	s_or_b64 exec, exec, s[0:1]
	v_cmp_ne_u16_sdwa s[6:7], v15, v5 src0_sel:BYTE_1 src1_sel:DWORD
	s_and_saveexec_b64 s[0:1], s[6:7]
	s_cbranch_execz .LBB195_234
; %bb.229:                              ;   in Loop: Header=BB195_222 Depth=1
	v_mov_b32_e32 v19, v6
	v_cmp_ne_u16_sdwa s[12:13], v15, s24 src0_sel:BYTE_1 src1_sel:DWORD
	v_mov_b32_e32 v18, v5
	s_and_saveexec_b64 s[6:7], s[12:13]
	s_cbranch_execz .LBB195_233
; %bb.230:                              ;   in Loop: Header=BB195_222 Depth=1
	v_and_b32_sdwa v0, v15, s25 dst_sel:DWORD dst_unused:UNUSED_PAD src0_sel:BYTE_1 src1_sel:DWORD
	v_mov_b32_e32 v11, v5
	v_mov_b32_e32 v19, v12
	v_cmp_ne_u32_e32 vcc, s25, v0
	v_mov_b32_e32 v18, v11
	s_and_saveexec_b64 s[12:13], vcc
	s_cbranch_execz .LBB195_232
; %bb.231:                              ;   in Loop: Header=BB195_222 Depth=1
	v_and_b32_sdwa v18, v15, v38 dst_sel:DWORD dst_unused:UNUSED_PAD src0_sel:BYTE_1 src1_sel:DWORD
	v_ffbh_u32_e32 v8, v18
	v_min_u32_e32 v8, 32, v8
	v_mov_b32_e32 v19, v5
	v_subrev_u32_e32 v11, 28, v8
	v_lshlrev_b64 v[19:20], v11, v[18:19]
	v_lshrrev_b32_e32 v7, 3, v0
	v_sub_u32_e32 v8, 29, v8
	v_cmp_gt_u32_e32 vcc, 8, v0
	v_and_b32_e32 v11, 7, v19
	v_cndmask_b32_e32 v0, v7, v8, vcc
	v_cndmask_b32_e32 v7, v18, v11, vcc
	v_lshlrev_b32_e32 v8, 16, v15
	v_lshl_add_u32 v0, v0, 23, v37
	v_and_or_b32 v0, v8, s26, v0
	v_lshlrev_b32_e32 v7, 20, v7
	v_or_b32_e32 v19, v0, v7
	v_mov_b32_e32 v18, v5
.LBB195_232:                            ;   in Loop: Header=BB195_222 Depth=1
	s_or_b64 exec, exec, s[12:13]
.LBB195_233:                            ;   in Loop: Header=BB195_222 Depth=1
	s_or_b64 exec, exec, s[6:7]
.LBB195_234:                            ;   in Loop: Header=BB195_222 Depth=1
	s_or_b64 exec, exec, s[0:1]
	v_lshrrev_b32_e32 v11, 16, v15
	v_mov_b32_e32 v22, 0
	v_mov_b32_e32 v20, 0
	;; [unrolled: 1-line block ×4, first 2 shown]
	v_cmp_ne_u16_sdwa s[6:7], v11, v5 src0_sel:BYTE_0 src1_sel:DWORD
	s_and_saveexec_b64 s[0:1], s[6:7]
	s_cbranch_execz .LBB195_240
; %bb.235:                              ;   in Loop: Header=BB195_222 Depth=1
	v_bfrev_b32_e32 v20, 1
	v_mov_b32_e32 v21, 0
	v_cmp_ne_u16_sdwa s[12:13], v11, s24 src0_sel:BYTE_0 src1_sel:DWORD
	s_and_saveexec_b64 s[6:7], s[12:13]
	s_cbranch_execz .LBB195_239
; %bb.236:                              ;   in Loop: Header=BB195_222 Depth=1
	v_bfe_u32 v0, v15, 16, 7
	v_mov_b32_e32 v20, 0x7f800001
	v_mov_b32_e32 v21, 0
	v_cmp_ne_u32_e32 vcc, s25, v0
	s_and_saveexec_b64 s[12:13], vcc
	s_cbranch_execz .LBB195_238
; %bb.237:                              ;   in Loop: Header=BB195_222 Depth=1
	v_and_b32_e32 v7, 7, v11
	v_ffbh_u32_e32 v20, v7
	v_min_u32_e32 v24, 32, v20
	v_subrev_u32_e32 v20, 28, v24
	v_lshlrev_b64 v[20:21], v20, v[11:12]
	v_lshrrev_b32_e32 v8, 3, v0
	v_sub_u32_e32 v21, 29, v24
	v_and_b32_e32 v20, 7, v20
	v_cmp_gt_u32_e32 vcc, 8, v0
	v_cndmask_b32_e32 v0, v8, v21, vcc
	v_cndmask_b32_e32 v7, v7, v20, vcc
	v_lshlrev_b32_e32 v7, 20, v7
	v_and_b32_sdwa v8, sext(v11), s26 dst_sel:DWORD dst_unused:UNUSED_PAD src0_sel:BYTE_0 src1_sel:DWORD
	v_lshl_add_u32 v0, v0, 23, v37
	v_or3_b32 v20, v8, v0, v7
	v_mov_b32_e32 v21, v5
.LBB195_238:                            ;   in Loop: Header=BB195_222 Depth=1
	s_or_b64 exec, exec, s[12:13]
.LBB195_239:                            ;   in Loop: Header=BB195_222 Depth=1
	s_or_b64 exec, exec, s[6:7]
.LBB195_240:                            ;   in Loop: Header=BB195_222 Depth=1
	s_or_b64 exec, exec, s[0:1]
	v_cmp_lt_u32_e32 vcc, s27, v15
	s_and_saveexec_b64 s[0:1], vcc
	s_cbranch_execz .LBB195_246
; %bb.241:                              ;   in Loop: Header=BB195_222 Depth=1
	v_mov_b32_e32 v23, v6
	v_cmp_ne_u32_sdwa s[12:13], v15, s24 src0_sel:BYTE_3 src1_sel:DWORD
	v_mov_b32_e32 v22, v5
	s_and_saveexec_b64 s[6:7], s[12:13]
	s_cbranch_execz .LBB195_245
; %bb.242:                              ;   in Loop: Header=BB195_222 Depth=1
	v_bfe_u32 v0, v15, 24, 7
	v_mov_b32_e32 v11, v5
	v_mov_b32_e32 v23, v12
	v_cmp_ne_u32_e32 vcc, s25, v0
	v_mov_b32_e32 v22, v11
	s_and_saveexec_b64 s[12:13], vcc
	s_cbranch_execz .LBB195_244
; %bb.243:                              ;   in Loop: Header=BB195_222 Depth=1
	v_and_b32_sdwa v22, v15, v38 dst_sel:DWORD dst_unused:UNUSED_PAD src0_sel:BYTE_3 src1_sel:DWORD
	v_ffbh_u32_e32 v8, v22
	v_min_u32_e32 v8, 32, v8
	v_mov_b32_e32 v23, v5
	v_subrev_u32_e32 v11, 28, v8
	v_lshlrev_b64 v[23:24], v11, v[22:23]
	v_lshrrev_b32_e32 v7, 3, v0
	v_sub_u32_e32 v8, 29, v8
	v_cmp_gt_u32_e32 vcc, 8, v0
	v_and_b32_e32 v11, 7, v23
	v_cndmask_b32_e32 v0, v7, v8, vcc
	v_mov_b32_e32 v8, 24
	v_cndmask_b32_e32 v7, v22, v11, vcc
	v_lshlrev_b32_sdwa v8, v8, v15 dst_sel:DWORD dst_unused:UNUSED_PAD src0_sel:DWORD src1_sel:BYTE_3
	v_lshl_add_u32 v0, v0, 23, v37
	v_and_or_b32 v0, v8, s26, v0
	v_lshlrev_b32_e32 v7, 20, v7
	v_or_b32_e32 v23, v0, v7
	v_mov_b32_e32 v22, v5
.LBB195_244:                            ;   in Loop: Header=BB195_222 Depth=1
	s_or_b64 exec, exec, s[12:13]
.LBB195_245:                            ;   in Loop: Header=BB195_222 Depth=1
	s_or_b64 exec, exec, s[6:7]
.LBB195_246:                            ;   in Loop: Header=BB195_222 Depth=1
	s_or_b64 exec, exec, s[0:1]
	buffer_load_dword v0, off, s[44:47], 0  ; 4-byte Folded Reload
	v_or_b32_e32 v7, v18, v16
	v_mul_f32_e32 v47, s17, v7
	v_or_b32_e32 v7, v22, v20
	v_add_u32_e32 v48, -3, v35
	v_mul_f32_e32 v46, s17, v7
	v_add_u32_e32 v50, -2, v35
	v_add_u32_e32 v49, -1, v35
	s_waitcnt vmcnt(0)
	v_cmp_eq_u32_e32 vcc, s19, v0
	v_or_b32_e32 v0, v19, v17
	v_mul_f32_e32 v44, s18, v0
	v_or_b32_e32 v0, v23, v21
	v_mul_f32_e32 v45, s18, v0
	s_and_saveexec_b64 s[6:7], vcc
; %bb.247:                              ;   in Loop: Header=BB195_222 Depth=1
	v_cmp_gt_i32_e64 s[0:1], s30, v48
	v_cndmask_b32_e64 v47, 0, v47, s[0:1]
	v_cmp_gt_i32_e64 s[0:1], s30, v50
	v_cndmask_b32_e64 v44, 0, v44, s[0:1]
	;; [unrolled: 2-line block ×4, first 2 shown]
; %bb.248:                              ;   in Loop: Header=BB195_222 Depth=1
	s_or_b64 exec, exec, s[6:7]
	global_load_dword v15, v[13:14], off offset:256
	v_mov_b32_e32 v18, 0
	v_mov_b32_e32 v16, 0
	;; [unrolled: 1-line block ×4, first 2 shown]
	s_waitcnt vmcnt(0)
	v_cmp_ne_u16_sdwa s[0:1], v15, v5 src0_sel:BYTE_0 src1_sel:DWORD
	s_and_saveexec_b64 s[6:7], s[0:1]
	s_cbranch_execz .LBB195_254
; %bb.249:                              ;   in Loop: Header=BB195_222 Depth=1
	v_bfrev_b32_e32 v16, 1
	v_mov_b32_e32 v17, 0
	v_cmp_ne_u16_sdwa s[0:1], v15, s24 src0_sel:BYTE_0 src1_sel:DWORD
	s_and_saveexec_b64 s[12:13], s[0:1]
	s_cbranch_execz .LBB195_253
; %bb.250:                              ;   in Loop: Header=BB195_222 Depth=1
	v_and_b32_e32 v0, 0x7f, v15
	v_mov_b32_e32 v16, 0x7f800001
	v_mov_b32_e32 v17, 0
	v_cmp_ne_u32_e64 s[0:1], s25, v0
	s_and_saveexec_b64 s[14:15], s[0:1]
	s_cbranch_execz .LBB195_252
; %bb.251:                              ;   in Loop: Header=BB195_222 Depth=1
	v_and_b32_e32 v7, 7, v15
	v_ffbh_u32_e32 v11, v7
	v_min_u32_e32 v11, 32, v11
	v_subrev_u32_e32 v16, 28, v11
	v_lshlrev_b64 v[16:17], v16, v[15:16]
	v_lshrrev_b32_e32 v8, 3, v0
	v_sub_u32_e32 v11, 29, v11
	v_and_b32_e32 v16, 7, v16
	v_cmp_gt_u32_e64 s[0:1], 8, v0
	v_cndmask_b32_e64 v0, v8, v11, s[0:1]
	v_cndmask_b32_e64 v7, v7, v16, s[0:1]
	v_lshlrev_b32_e32 v7, 20, v7
	v_and_b32_sdwa v8, sext(v15), s26 dst_sel:DWORD dst_unused:UNUSED_PAD src0_sel:BYTE_0 src1_sel:DWORD
	v_lshl_add_u32 v0, v0, 23, v37
	v_or3_b32 v16, v8, v0, v7
	v_mov_b32_e32 v17, v5
.LBB195_252:                            ;   in Loop: Header=BB195_222 Depth=1
	s_or_b64 exec, exec, s[14:15]
.LBB195_253:                            ;   in Loop: Header=BB195_222 Depth=1
	s_or_b64 exec, exec, s[12:13]
.LBB195_254:                            ;   in Loop: Header=BB195_222 Depth=1
	s_or_b64 exec, exec, s[6:7]
	v_cmp_ne_u16_sdwa s[0:1], v15, v5 src0_sel:BYTE_1 src1_sel:DWORD
	s_and_saveexec_b64 s[6:7], s[0:1]
	s_cbranch_execz .LBB195_260
; %bb.255:                              ;   in Loop: Header=BB195_222 Depth=1
	v_mov_b32_e32 v19, v6
	v_cmp_ne_u16_sdwa s[0:1], v15, s24 src0_sel:BYTE_1 src1_sel:DWORD
	v_mov_b32_e32 v18, v5
	s_and_saveexec_b64 s[12:13], s[0:1]
	s_cbranch_execz .LBB195_259
; %bb.256:                              ;   in Loop: Header=BB195_222 Depth=1
	v_and_b32_sdwa v0, v15, s25 dst_sel:DWORD dst_unused:UNUSED_PAD src0_sel:BYTE_1 src1_sel:DWORD
	v_mov_b32_e32 v11, v5
	v_mov_b32_e32 v19, v12
	v_cmp_ne_u32_e64 s[0:1], s25, v0
	v_mov_b32_e32 v18, v11
	s_and_saveexec_b64 s[14:15], s[0:1]
	s_cbranch_execz .LBB195_258
; %bb.257:                              ;   in Loop: Header=BB195_222 Depth=1
	v_and_b32_sdwa v18, v15, v38 dst_sel:DWORD dst_unused:UNUSED_PAD src0_sel:BYTE_1 src1_sel:DWORD
	v_ffbh_u32_e32 v8, v18
	v_min_u32_e32 v8, 32, v8
	v_mov_b32_e32 v19, v5
	v_subrev_u32_e32 v11, 28, v8
	v_lshlrev_b64 v[19:20], v11, v[18:19]
	v_lshrrev_b32_e32 v7, 3, v0
	v_sub_u32_e32 v8, 29, v8
	v_cmp_gt_u32_e64 s[0:1], 8, v0
	v_and_b32_e32 v11, 7, v19
	v_cndmask_b32_e64 v0, v7, v8, s[0:1]
	v_cndmask_b32_e64 v7, v18, v11, s[0:1]
	v_lshlrev_b32_e32 v8, 16, v15
	v_lshl_add_u32 v0, v0, 23, v37
	v_and_or_b32 v0, v8, s26, v0
	v_lshlrev_b32_e32 v7, 20, v7
	v_or_b32_e32 v19, v0, v7
	v_mov_b32_e32 v18, v5
.LBB195_258:                            ;   in Loop: Header=BB195_222 Depth=1
	s_or_b64 exec, exec, s[14:15]
.LBB195_259:                            ;   in Loop: Header=BB195_222 Depth=1
	s_or_b64 exec, exec, s[12:13]
.LBB195_260:                            ;   in Loop: Header=BB195_222 Depth=1
	s_or_b64 exec, exec, s[6:7]
	v_lshrrev_b32_e32 v11, 16, v15
	v_mov_b32_e32 v22, 0
	v_mov_b32_e32 v20, 0
	;; [unrolled: 1-line block ×4, first 2 shown]
	v_cmp_ne_u16_sdwa s[0:1], v11, v5 src0_sel:BYTE_0 src1_sel:DWORD
	s_and_saveexec_b64 s[6:7], s[0:1]
	s_cbranch_execz .LBB195_266
; %bb.261:                              ;   in Loop: Header=BB195_222 Depth=1
	v_bfrev_b32_e32 v20, 1
	v_mov_b32_e32 v21, 0
	v_cmp_ne_u16_sdwa s[0:1], v11, s24 src0_sel:BYTE_0 src1_sel:DWORD
	s_and_saveexec_b64 s[12:13], s[0:1]
	s_cbranch_execz .LBB195_265
; %bb.262:                              ;   in Loop: Header=BB195_222 Depth=1
	v_bfe_u32 v0, v15, 16, 7
	v_mov_b32_e32 v20, 0x7f800001
	v_mov_b32_e32 v21, 0
	v_cmp_ne_u32_e64 s[0:1], s25, v0
	s_and_saveexec_b64 s[14:15], s[0:1]
	s_cbranch_execz .LBB195_264
; %bb.263:                              ;   in Loop: Header=BB195_222 Depth=1
	v_and_b32_e32 v7, 7, v11
	v_ffbh_u32_e32 v20, v7
	v_min_u32_e32 v24, 32, v20
	v_subrev_u32_e32 v20, 28, v24
	v_lshlrev_b64 v[20:21], v20, v[11:12]
	v_lshrrev_b32_e32 v8, 3, v0
	v_sub_u32_e32 v21, 29, v24
	v_and_b32_e32 v20, 7, v20
	v_cmp_gt_u32_e64 s[0:1], 8, v0
	v_cndmask_b32_e64 v0, v8, v21, s[0:1]
	v_cndmask_b32_e64 v7, v7, v20, s[0:1]
	v_lshlrev_b32_e32 v7, 20, v7
	v_and_b32_sdwa v8, sext(v11), s26 dst_sel:DWORD dst_unused:UNUSED_PAD src0_sel:BYTE_0 src1_sel:DWORD
	v_lshl_add_u32 v0, v0, 23, v37
	v_or3_b32 v20, v8, v0, v7
	v_mov_b32_e32 v21, v5
.LBB195_264:                            ;   in Loop: Header=BB195_222 Depth=1
	s_or_b64 exec, exec, s[14:15]
.LBB195_265:                            ;   in Loop: Header=BB195_222 Depth=1
	s_or_b64 exec, exec, s[12:13]
.LBB195_266:                            ;   in Loop: Header=BB195_222 Depth=1
	s_or_b64 exec, exec, s[6:7]
	v_cmp_lt_u32_e64 s[0:1], s27, v15
	s_and_saveexec_b64 s[6:7], s[0:1]
	s_cbranch_execz .LBB195_272
; %bb.267:                              ;   in Loop: Header=BB195_222 Depth=1
	v_mov_b32_e32 v23, v6
	v_cmp_ne_u32_sdwa s[0:1], v15, s24 src0_sel:BYTE_3 src1_sel:DWORD
	v_mov_b32_e32 v22, v5
	s_and_saveexec_b64 s[12:13], s[0:1]
	s_cbranch_execz .LBB195_271
; %bb.268:                              ;   in Loop: Header=BB195_222 Depth=1
	v_bfe_u32 v0, v15, 24, 7
	v_mov_b32_e32 v11, v5
	v_mov_b32_e32 v23, v12
	v_cmp_ne_u32_e64 s[0:1], s25, v0
	v_mov_b32_e32 v22, v11
	s_and_saveexec_b64 s[14:15], s[0:1]
	s_cbranch_execz .LBB195_270
; %bb.269:                              ;   in Loop: Header=BB195_222 Depth=1
	v_and_b32_sdwa v22, v15, v38 dst_sel:DWORD dst_unused:UNUSED_PAD src0_sel:BYTE_3 src1_sel:DWORD
	v_ffbh_u32_e32 v8, v22
	v_min_u32_e32 v8, 32, v8
	v_mov_b32_e32 v23, v5
	v_subrev_u32_e32 v11, 28, v8
	v_lshlrev_b64 v[23:24], v11, v[22:23]
	v_lshrrev_b32_e32 v7, 3, v0
	v_sub_u32_e32 v8, 29, v8
	v_cmp_gt_u32_e64 s[0:1], 8, v0
	v_and_b32_e32 v11, 7, v23
	v_cndmask_b32_e64 v0, v7, v8, s[0:1]
	v_mov_b32_e32 v8, 24
	v_cndmask_b32_e64 v7, v22, v11, s[0:1]
	v_lshlrev_b32_sdwa v8, v8, v15 dst_sel:DWORD dst_unused:UNUSED_PAD src0_sel:DWORD src1_sel:BYTE_3
	v_lshl_add_u32 v0, v0, 23, v37
	v_and_or_b32 v0, v8, s26, v0
	v_lshlrev_b32_e32 v7, 20, v7
	v_or_b32_e32 v23, v0, v7
	v_mov_b32_e32 v22, v5
.LBB195_270:                            ;   in Loop: Header=BB195_222 Depth=1
	s_or_b64 exec, exec, s[14:15]
.LBB195_271:                            ;   in Loop: Header=BB195_222 Depth=1
	s_or_b64 exec, exec, s[12:13]
.LBB195_272:                            ;   in Loop: Header=BB195_222 Depth=1
	s_or_b64 exec, exec, s[6:7]
	v_or_b32_e32 v0, v19, v17
	v_or_b32_e32 v7, v18, v16
	v_mul_f32_e32 v51, s18, v0
	v_mul_f32_e32 v54, s17, v7
	v_or_b32_e32 v0, v23, v21
	v_or_b32_e32 v7, v22, v20
	v_mul_f32_e32 v53, s17, v7
	v_mul_f32_e32 v52, s18, v0
	s_and_saveexec_b64 s[6:7], vcc
; %bb.273:                              ;   in Loop: Header=BB195_222 Depth=1
	v_cmp_gt_i32_e64 s[0:1], s30, v48
	v_cndmask_b32_e64 v54, 0, v54, s[0:1]
	v_cmp_gt_i32_e64 s[0:1], s30, v50
	v_cndmask_b32_e64 v51, 0, v51, s[0:1]
	;; [unrolled: 2-line block ×4, first 2 shown]
; %bb.274:                              ;   in Loop: Header=BB195_222 Depth=1
	s_or_b64 exec, exec, s[6:7]
	global_load_dword v15, v[13:14], off offset:512
	v_mov_b32_e32 v18, 0
	v_mov_b32_e32 v16, 0
	;; [unrolled: 1-line block ×4, first 2 shown]
	s_waitcnt vmcnt(0)
	v_cmp_ne_u16_sdwa s[0:1], v15, v5 src0_sel:BYTE_0 src1_sel:DWORD
	s_and_saveexec_b64 s[6:7], s[0:1]
	s_cbranch_execz .LBB195_280
; %bb.275:                              ;   in Loop: Header=BB195_222 Depth=1
	v_bfrev_b32_e32 v16, 1
	v_mov_b32_e32 v17, 0
	v_cmp_ne_u16_sdwa s[0:1], v15, s24 src0_sel:BYTE_0 src1_sel:DWORD
	s_and_saveexec_b64 s[12:13], s[0:1]
	s_cbranch_execz .LBB195_279
; %bb.276:                              ;   in Loop: Header=BB195_222 Depth=1
	v_and_b32_e32 v0, 0x7f, v15
	v_mov_b32_e32 v16, 0x7f800001
	v_mov_b32_e32 v17, 0
	v_cmp_ne_u32_e64 s[0:1], s25, v0
	s_and_saveexec_b64 s[14:15], s[0:1]
	s_cbranch_execz .LBB195_278
; %bb.277:                              ;   in Loop: Header=BB195_222 Depth=1
	v_and_b32_e32 v7, 7, v15
	v_ffbh_u32_e32 v11, v7
	v_min_u32_e32 v11, 32, v11
	v_subrev_u32_e32 v16, 28, v11
	v_lshlrev_b64 v[16:17], v16, v[15:16]
	v_lshrrev_b32_e32 v8, 3, v0
	v_sub_u32_e32 v11, 29, v11
	v_and_b32_e32 v16, 7, v16
	v_cmp_gt_u32_e64 s[0:1], 8, v0
	v_cndmask_b32_e64 v0, v8, v11, s[0:1]
	v_cndmask_b32_e64 v7, v7, v16, s[0:1]
	v_lshlrev_b32_e32 v7, 20, v7
	v_and_b32_sdwa v8, sext(v15), s26 dst_sel:DWORD dst_unused:UNUSED_PAD src0_sel:BYTE_0 src1_sel:DWORD
	v_lshl_add_u32 v0, v0, 23, v37
	v_or3_b32 v16, v8, v0, v7
	v_mov_b32_e32 v17, v5
.LBB195_278:                            ;   in Loop: Header=BB195_222 Depth=1
	s_or_b64 exec, exec, s[14:15]
.LBB195_279:                            ;   in Loop: Header=BB195_222 Depth=1
	s_or_b64 exec, exec, s[12:13]
.LBB195_280:                            ;   in Loop: Header=BB195_222 Depth=1
	s_or_b64 exec, exec, s[6:7]
	v_cmp_ne_u16_sdwa s[0:1], v15, v5 src0_sel:BYTE_1 src1_sel:DWORD
	s_and_saveexec_b64 s[6:7], s[0:1]
	s_cbranch_execz .LBB195_286
; %bb.281:                              ;   in Loop: Header=BB195_222 Depth=1
	v_mov_b32_e32 v19, v6
	v_cmp_ne_u16_sdwa s[0:1], v15, s24 src0_sel:BYTE_1 src1_sel:DWORD
	v_mov_b32_e32 v18, v5
	s_and_saveexec_b64 s[12:13], s[0:1]
	s_cbranch_execz .LBB195_285
; %bb.282:                              ;   in Loop: Header=BB195_222 Depth=1
	v_and_b32_sdwa v0, v15, s25 dst_sel:DWORD dst_unused:UNUSED_PAD src0_sel:BYTE_1 src1_sel:DWORD
	v_mov_b32_e32 v11, v5
	v_mov_b32_e32 v19, v12
	v_cmp_ne_u32_e64 s[0:1], s25, v0
	v_mov_b32_e32 v18, v11
	s_and_saveexec_b64 s[14:15], s[0:1]
	s_cbranch_execz .LBB195_284
; %bb.283:                              ;   in Loop: Header=BB195_222 Depth=1
	v_and_b32_sdwa v18, v15, v38 dst_sel:DWORD dst_unused:UNUSED_PAD src0_sel:BYTE_1 src1_sel:DWORD
	v_ffbh_u32_e32 v8, v18
	v_min_u32_e32 v8, 32, v8
	v_mov_b32_e32 v19, v5
	v_subrev_u32_e32 v11, 28, v8
	v_lshlrev_b64 v[19:20], v11, v[18:19]
	v_lshrrev_b32_e32 v7, 3, v0
	v_sub_u32_e32 v8, 29, v8
	v_cmp_gt_u32_e64 s[0:1], 8, v0
	v_and_b32_e32 v11, 7, v19
	v_cndmask_b32_e64 v0, v7, v8, s[0:1]
	v_cndmask_b32_e64 v7, v18, v11, s[0:1]
	v_lshlrev_b32_e32 v8, 16, v15
	v_lshl_add_u32 v0, v0, 23, v37
	v_and_or_b32 v0, v8, s26, v0
	v_lshlrev_b32_e32 v7, 20, v7
	v_or_b32_e32 v19, v0, v7
	v_mov_b32_e32 v18, v5
.LBB195_284:                            ;   in Loop: Header=BB195_222 Depth=1
	s_or_b64 exec, exec, s[14:15]
.LBB195_285:                            ;   in Loop: Header=BB195_222 Depth=1
	s_or_b64 exec, exec, s[12:13]
.LBB195_286:                            ;   in Loop: Header=BB195_222 Depth=1
	s_or_b64 exec, exec, s[6:7]
	v_lshrrev_b32_e32 v11, 16, v15
	v_mov_b32_e32 v22, 0
	v_mov_b32_e32 v20, 0
	;; [unrolled: 1-line block ×4, first 2 shown]
	v_cmp_ne_u16_sdwa s[0:1], v11, v5 src0_sel:BYTE_0 src1_sel:DWORD
	s_and_saveexec_b64 s[6:7], s[0:1]
	s_cbranch_execz .LBB195_292
; %bb.287:                              ;   in Loop: Header=BB195_222 Depth=1
	v_bfrev_b32_e32 v20, 1
	v_mov_b32_e32 v21, 0
	v_cmp_ne_u16_sdwa s[0:1], v11, s24 src0_sel:BYTE_0 src1_sel:DWORD
	s_and_saveexec_b64 s[12:13], s[0:1]
	s_cbranch_execz .LBB195_291
; %bb.288:                              ;   in Loop: Header=BB195_222 Depth=1
	v_bfe_u32 v0, v15, 16, 7
	v_mov_b32_e32 v20, 0x7f800001
	v_mov_b32_e32 v21, 0
	v_cmp_ne_u32_e64 s[0:1], s25, v0
	s_and_saveexec_b64 s[14:15], s[0:1]
	s_cbranch_execz .LBB195_290
; %bb.289:                              ;   in Loop: Header=BB195_222 Depth=1
	v_and_b32_e32 v7, 7, v11
	v_ffbh_u32_e32 v20, v7
	v_min_u32_e32 v24, 32, v20
	v_subrev_u32_e32 v20, 28, v24
	v_lshlrev_b64 v[20:21], v20, v[11:12]
	v_lshrrev_b32_e32 v8, 3, v0
	v_sub_u32_e32 v21, 29, v24
	v_and_b32_e32 v20, 7, v20
	v_cmp_gt_u32_e64 s[0:1], 8, v0
	v_cndmask_b32_e64 v0, v8, v21, s[0:1]
	v_cndmask_b32_e64 v7, v7, v20, s[0:1]
	v_lshlrev_b32_e32 v7, 20, v7
	v_and_b32_sdwa v8, sext(v11), s26 dst_sel:DWORD dst_unused:UNUSED_PAD src0_sel:BYTE_0 src1_sel:DWORD
	v_lshl_add_u32 v0, v0, 23, v37
	v_or3_b32 v20, v8, v0, v7
	v_mov_b32_e32 v21, v5
.LBB195_290:                            ;   in Loop: Header=BB195_222 Depth=1
	s_or_b64 exec, exec, s[14:15]
.LBB195_291:                            ;   in Loop: Header=BB195_222 Depth=1
	s_or_b64 exec, exec, s[12:13]
.LBB195_292:                            ;   in Loop: Header=BB195_222 Depth=1
	s_or_b64 exec, exec, s[6:7]
	v_cmp_lt_u32_e64 s[0:1], s27, v15
	s_and_saveexec_b64 s[6:7], s[0:1]
	s_cbranch_execz .LBB195_298
; %bb.293:                              ;   in Loop: Header=BB195_222 Depth=1
	v_mov_b32_e32 v23, v6
	v_cmp_ne_u32_sdwa s[0:1], v15, s24 src0_sel:BYTE_3 src1_sel:DWORD
	v_mov_b32_e32 v22, v5
	s_and_saveexec_b64 s[12:13], s[0:1]
	s_cbranch_execz .LBB195_297
; %bb.294:                              ;   in Loop: Header=BB195_222 Depth=1
	v_bfe_u32 v0, v15, 24, 7
	v_mov_b32_e32 v11, v5
	v_mov_b32_e32 v23, v12
	v_cmp_ne_u32_e64 s[0:1], s25, v0
	v_mov_b32_e32 v22, v11
	s_and_saveexec_b64 s[14:15], s[0:1]
	s_cbranch_execz .LBB195_296
; %bb.295:                              ;   in Loop: Header=BB195_222 Depth=1
	v_and_b32_sdwa v22, v15, v38 dst_sel:DWORD dst_unused:UNUSED_PAD src0_sel:BYTE_3 src1_sel:DWORD
	v_ffbh_u32_e32 v8, v22
	v_min_u32_e32 v8, 32, v8
	v_mov_b32_e32 v23, v5
	v_subrev_u32_e32 v11, 28, v8
	v_lshlrev_b64 v[23:24], v11, v[22:23]
	v_lshrrev_b32_e32 v7, 3, v0
	v_sub_u32_e32 v8, 29, v8
	v_cmp_gt_u32_e64 s[0:1], 8, v0
	v_and_b32_e32 v11, 7, v23
	v_cndmask_b32_e64 v0, v7, v8, s[0:1]
	v_mov_b32_e32 v8, 24
	v_cndmask_b32_e64 v7, v22, v11, s[0:1]
	v_lshlrev_b32_sdwa v8, v8, v15 dst_sel:DWORD dst_unused:UNUSED_PAD src0_sel:DWORD src1_sel:BYTE_3
	v_lshl_add_u32 v0, v0, 23, v37
	v_and_or_b32 v0, v8, s26, v0
	v_lshlrev_b32_e32 v7, 20, v7
	v_or_b32_e32 v23, v0, v7
	v_mov_b32_e32 v22, v5
.LBB195_296:                            ;   in Loop: Header=BB195_222 Depth=1
	s_or_b64 exec, exec, s[14:15]
.LBB195_297:                            ;   in Loop: Header=BB195_222 Depth=1
	s_or_b64 exec, exec, s[12:13]
.LBB195_298:                            ;   in Loop: Header=BB195_222 Depth=1
	s_or_b64 exec, exec, s[6:7]
	v_or_b32_e32 v0, v19, v17
	v_or_b32_e32 v7, v18, v16
	v_mul_f32_e32 v55, s18, v0
	v_mul_f32_e32 v58, s17, v7
	v_or_b32_e32 v0, v23, v21
	v_or_b32_e32 v7, v22, v20
	v_mul_f32_e32 v57, s17, v7
	v_mul_f32_e32 v56, s18, v0
	s_and_saveexec_b64 s[6:7], vcc
; %bb.299:                              ;   in Loop: Header=BB195_222 Depth=1
	v_cmp_gt_i32_e64 s[0:1], s30, v48
	v_cndmask_b32_e64 v58, 0, v58, s[0:1]
	v_cmp_gt_i32_e64 s[0:1], s30, v50
	v_cndmask_b32_e64 v55, 0, v55, s[0:1]
	;; [unrolled: 2-line block ×4, first 2 shown]
; %bb.300:                              ;   in Loop: Header=BB195_222 Depth=1
	s_or_b64 exec, exec, s[6:7]
	global_load_dword v15, v[13:14], off offset:768
	v_mov_b32_e32 v18, 0
	v_mov_b32_e32 v16, 0
	;; [unrolled: 1-line block ×4, first 2 shown]
	s_waitcnt vmcnt(0)
	v_cmp_ne_u16_sdwa s[0:1], v15, v5 src0_sel:BYTE_0 src1_sel:DWORD
	s_and_saveexec_b64 s[6:7], s[0:1]
	s_cbranch_execz .LBB195_306
; %bb.301:                              ;   in Loop: Header=BB195_222 Depth=1
	v_bfrev_b32_e32 v16, 1
	v_mov_b32_e32 v17, 0
	v_cmp_ne_u16_sdwa s[0:1], v15, s24 src0_sel:BYTE_0 src1_sel:DWORD
	s_and_saveexec_b64 s[12:13], s[0:1]
	s_cbranch_execz .LBB195_305
; %bb.302:                              ;   in Loop: Header=BB195_222 Depth=1
	v_and_b32_e32 v0, 0x7f, v15
	v_mov_b32_e32 v16, 0x7f800001
	v_mov_b32_e32 v17, 0
	v_cmp_ne_u32_e64 s[0:1], s25, v0
	s_and_saveexec_b64 s[14:15], s[0:1]
	s_cbranch_execz .LBB195_304
; %bb.303:                              ;   in Loop: Header=BB195_222 Depth=1
	v_and_b32_e32 v7, 7, v15
	v_ffbh_u32_e32 v11, v7
	v_min_u32_e32 v11, 32, v11
	v_subrev_u32_e32 v16, 28, v11
	v_lshlrev_b64 v[16:17], v16, v[15:16]
	v_lshrrev_b32_e32 v8, 3, v0
	v_sub_u32_e32 v11, 29, v11
	v_and_b32_e32 v16, 7, v16
	v_cmp_gt_u32_e64 s[0:1], 8, v0
	v_cndmask_b32_e64 v0, v8, v11, s[0:1]
	v_cndmask_b32_e64 v7, v7, v16, s[0:1]
	v_lshlrev_b32_e32 v7, 20, v7
	v_and_b32_sdwa v8, sext(v15), s26 dst_sel:DWORD dst_unused:UNUSED_PAD src0_sel:BYTE_0 src1_sel:DWORD
	v_lshl_add_u32 v0, v0, 23, v37
	v_or3_b32 v16, v8, v0, v7
	v_mov_b32_e32 v17, v5
.LBB195_304:                            ;   in Loop: Header=BB195_222 Depth=1
	s_or_b64 exec, exec, s[14:15]
.LBB195_305:                            ;   in Loop: Header=BB195_222 Depth=1
	s_or_b64 exec, exec, s[12:13]
.LBB195_306:                            ;   in Loop: Header=BB195_222 Depth=1
	s_or_b64 exec, exec, s[6:7]
	v_cmp_ne_u16_sdwa s[0:1], v15, v5 src0_sel:BYTE_1 src1_sel:DWORD
	s_and_saveexec_b64 s[6:7], s[0:1]
	s_cbranch_execz .LBB195_312
; %bb.307:                              ;   in Loop: Header=BB195_222 Depth=1
	v_mov_b32_e32 v19, v6
	v_cmp_ne_u16_sdwa s[0:1], v15, s24 src0_sel:BYTE_1 src1_sel:DWORD
	v_mov_b32_e32 v18, v5
	s_and_saveexec_b64 s[12:13], s[0:1]
	s_cbranch_execz .LBB195_311
; %bb.308:                              ;   in Loop: Header=BB195_222 Depth=1
	v_and_b32_sdwa v0, v15, s25 dst_sel:DWORD dst_unused:UNUSED_PAD src0_sel:BYTE_1 src1_sel:DWORD
	v_mov_b32_e32 v11, v5
	v_mov_b32_e32 v19, v12
	v_cmp_ne_u32_e64 s[0:1], s25, v0
	v_mov_b32_e32 v18, v11
	s_and_saveexec_b64 s[14:15], s[0:1]
	s_cbranch_execz .LBB195_310
; %bb.309:                              ;   in Loop: Header=BB195_222 Depth=1
	v_and_b32_sdwa v18, v15, v38 dst_sel:DWORD dst_unused:UNUSED_PAD src0_sel:BYTE_1 src1_sel:DWORD
	v_ffbh_u32_e32 v8, v18
	v_min_u32_e32 v8, 32, v8
	v_mov_b32_e32 v19, v5
	v_subrev_u32_e32 v11, 28, v8
	v_lshlrev_b64 v[19:20], v11, v[18:19]
	v_lshrrev_b32_e32 v7, 3, v0
	v_sub_u32_e32 v8, 29, v8
	v_cmp_gt_u32_e64 s[0:1], 8, v0
	v_and_b32_e32 v11, 7, v19
	v_cndmask_b32_e64 v0, v7, v8, s[0:1]
	v_cndmask_b32_e64 v7, v18, v11, s[0:1]
	v_lshlrev_b32_e32 v8, 16, v15
	v_lshl_add_u32 v0, v0, 23, v37
	v_and_or_b32 v0, v8, s26, v0
	v_lshlrev_b32_e32 v7, 20, v7
	v_or_b32_e32 v19, v0, v7
	v_mov_b32_e32 v18, v5
.LBB195_310:                            ;   in Loop: Header=BB195_222 Depth=1
	s_or_b64 exec, exec, s[14:15]
.LBB195_311:                            ;   in Loop: Header=BB195_222 Depth=1
	s_or_b64 exec, exec, s[12:13]
.LBB195_312:                            ;   in Loop: Header=BB195_222 Depth=1
	s_or_b64 exec, exec, s[6:7]
	v_lshrrev_b32_e32 v11, 16, v15
	v_mov_b32_e32 v22, 0
	v_mov_b32_e32 v20, 0
	;; [unrolled: 1-line block ×4, first 2 shown]
	v_cmp_ne_u16_sdwa s[0:1], v11, v5 src0_sel:BYTE_0 src1_sel:DWORD
	s_and_saveexec_b64 s[6:7], s[0:1]
	s_cbranch_execz .LBB195_318
; %bb.313:                              ;   in Loop: Header=BB195_222 Depth=1
	v_bfrev_b32_e32 v20, 1
	v_mov_b32_e32 v21, 0
	v_cmp_ne_u16_sdwa s[0:1], v11, s24 src0_sel:BYTE_0 src1_sel:DWORD
	s_and_saveexec_b64 s[12:13], s[0:1]
	s_cbranch_execz .LBB195_317
; %bb.314:                              ;   in Loop: Header=BB195_222 Depth=1
	v_bfe_u32 v0, v15, 16, 7
	v_mov_b32_e32 v20, 0x7f800001
	v_mov_b32_e32 v21, 0
	v_cmp_ne_u32_e64 s[0:1], s25, v0
	s_and_saveexec_b64 s[14:15], s[0:1]
	s_cbranch_execz .LBB195_316
; %bb.315:                              ;   in Loop: Header=BB195_222 Depth=1
	v_and_b32_e32 v7, 7, v11
	v_ffbh_u32_e32 v20, v7
	v_min_u32_e32 v24, 32, v20
	v_subrev_u32_e32 v20, 28, v24
	v_lshlrev_b64 v[20:21], v20, v[11:12]
	v_lshrrev_b32_e32 v8, 3, v0
	v_sub_u32_e32 v21, 29, v24
	v_and_b32_e32 v20, 7, v20
	v_cmp_gt_u32_e64 s[0:1], 8, v0
	v_cndmask_b32_e64 v0, v8, v21, s[0:1]
	v_cndmask_b32_e64 v7, v7, v20, s[0:1]
	v_lshlrev_b32_e32 v7, 20, v7
	v_and_b32_sdwa v8, sext(v11), s26 dst_sel:DWORD dst_unused:UNUSED_PAD src0_sel:BYTE_0 src1_sel:DWORD
	v_lshl_add_u32 v0, v0, 23, v37
	v_or3_b32 v20, v8, v0, v7
	v_mov_b32_e32 v21, v5
.LBB195_316:                            ;   in Loop: Header=BB195_222 Depth=1
	s_or_b64 exec, exec, s[14:15]
.LBB195_317:                            ;   in Loop: Header=BB195_222 Depth=1
	s_or_b64 exec, exec, s[12:13]
.LBB195_318:                            ;   in Loop: Header=BB195_222 Depth=1
	s_or_b64 exec, exec, s[6:7]
	v_cmp_lt_u32_e64 s[0:1], s27, v15
	s_and_saveexec_b64 s[6:7], s[0:1]
	s_cbranch_execz .LBB195_324
; %bb.319:                              ;   in Loop: Header=BB195_222 Depth=1
	v_mov_b32_e32 v23, v6
	v_cmp_ne_u32_sdwa s[0:1], v15, s24 src0_sel:BYTE_3 src1_sel:DWORD
	v_mov_b32_e32 v22, v5
	s_and_saveexec_b64 s[12:13], s[0:1]
	s_cbranch_execz .LBB195_323
; %bb.320:                              ;   in Loop: Header=BB195_222 Depth=1
	v_bfe_u32 v0, v15, 24, 7
	v_mov_b32_e32 v11, v5
	v_mov_b32_e32 v23, v12
	v_cmp_ne_u32_e64 s[0:1], s25, v0
	v_mov_b32_e32 v22, v11
	s_and_saveexec_b64 s[14:15], s[0:1]
	s_cbranch_execz .LBB195_322
; %bb.321:                              ;   in Loop: Header=BB195_222 Depth=1
	v_and_b32_sdwa v22, v15, v38 dst_sel:DWORD dst_unused:UNUSED_PAD src0_sel:BYTE_3 src1_sel:DWORD
	v_ffbh_u32_e32 v8, v22
	v_min_u32_e32 v8, 32, v8
	v_mov_b32_e32 v23, v5
	v_subrev_u32_e32 v11, 28, v8
	v_lshlrev_b64 v[23:24], v11, v[22:23]
	v_lshrrev_b32_e32 v7, 3, v0
	v_sub_u32_e32 v8, 29, v8
	v_cmp_gt_u32_e64 s[0:1], 8, v0
	v_and_b32_e32 v11, 7, v23
	v_cndmask_b32_e64 v0, v7, v8, s[0:1]
	v_mov_b32_e32 v8, 24
	v_cndmask_b32_e64 v7, v22, v11, s[0:1]
	v_lshlrev_b32_sdwa v8, v8, v15 dst_sel:DWORD dst_unused:UNUSED_PAD src0_sel:DWORD src1_sel:BYTE_3
	v_lshl_add_u32 v0, v0, 23, v37
	v_and_or_b32 v0, v8, s26, v0
	v_lshlrev_b32_e32 v7, 20, v7
	v_or_b32_e32 v23, v0, v7
	v_mov_b32_e32 v22, v5
.LBB195_322:                            ;   in Loop: Header=BB195_222 Depth=1
	s_or_b64 exec, exec, s[14:15]
.LBB195_323:                            ;   in Loop: Header=BB195_222 Depth=1
	s_or_b64 exec, exec, s[12:13]
.LBB195_324:                            ;   in Loop: Header=BB195_222 Depth=1
	s_or_b64 exec, exec, s[6:7]
	v_or_b32_e32 v0, v19, v17
	v_or_b32_e32 v7, v18, v16
	v_mul_f32_e32 v40, s18, v0
	v_mul_f32_e32 v59, s17, v7
	v_or_b32_e32 v0, v23, v21
	v_or_b32_e32 v7, v22, v20
	v_mul_f32_e32 v42, s17, v7
	v_mul_f32_e32 v41, s18, v0
	s_and_saveexec_b64 s[6:7], vcc
; %bb.325:                              ;   in Loop: Header=BB195_222 Depth=1
	v_cmp_gt_i32_e64 s[0:1], s30, v48
	v_cndmask_b32_e64 v59, 0, v59, s[0:1]
	v_cmp_gt_i32_e64 s[0:1], s30, v50
	v_cndmask_b32_e64 v40, 0, v40, s[0:1]
	;; [unrolled: 2-line block ×4, first 2 shown]
; %bb.326:                              ;   in Loop: Header=BB195_222 Depth=1
	s_or_b64 exec, exec, s[6:7]
	global_load_dword v15, v[13:14], off offset:1024
	v_mov_b32_e32 v18, 0
	v_mov_b32_e32 v16, 0
	;; [unrolled: 1-line block ×4, first 2 shown]
	s_waitcnt vmcnt(0)
	v_cmp_ne_u16_sdwa s[0:1], v15, v5 src0_sel:BYTE_0 src1_sel:DWORD
	s_and_saveexec_b64 s[6:7], s[0:1]
	s_cbranch_execz .LBB195_332
; %bb.327:                              ;   in Loop: Header=BB195_222 Depth=1
	v_bfrev_b32_e32 v16, 1
	v_mov_b32_e32 v17, 0
	v_cmp_ne_u16_sdwa s[0:1], v15, s24 src0_sel:BYTE_0 src1_sel:DWORD
	s_and_saveexec_b64 s[12:13], s[0:1]
	s_cbranch_execz .LBB195_331
; %bb.328:                              ;   in Loop: Header=BB195_222 Depth=1
	v_and_b32_e32 v0, 0x7f, v15
	v_mov_b32_e32 v16, 0x7f800001
	v_mov_b32_e32 v17, 0
	v_cmp_ne_u32_e64 s[0:1], s25, v0
	s_and_saveexec_b64 s[14:15], s[0:1]
	s_cbranch_execz .LBB195_330
; %bb.329:                              ;   in Loop: Header=BB195_222 Depth=1
	v_and_b32_e32 v7, 7, v15
	v_ffbh_u32_e32 v11, v7
	v_min_u32_e32 v11, 32, v11
	v_subrev_u32_e32 v16, 28, v11
	v_lshlrev_b64 v[16:17], v16, v[15:16]
	v_lshrrev_b32_e32 v8, 3, v0
	v_sub_u32_e32 v11, 29, v11
	v_and_b32_e32 v16, 7, v16
	v_cmp_gt_u32_e64 s[0:1], 8, v0
	v_cndmask_b32_e64 v0, v8, v11, s[0:1]
	v_cndmask_b32_e64 v7, v7, v16, s[0:1]
	v_lshlrev_b32_e32 v7, 20, v7
	v_and_b32_sdwa v8, sext(v15), s26 dst_sel:DWORD dst_unused:UNUSED_PAD src0_sel:BYTE_0 src1_sel:DWORD
	v_lshl_add_u32 v0, v0, 23, v37
	v_or3_b32 v16, v8, v0, v7
	v_mov_b32_e32 v17, v5
.LBB195_330:                            ;   in Loop: Header=BB195_222 Depth=1
	s_or_b64 exec, exec, s[14:15]
.LBB195_331:                            ;   in Loop: Header=BB195_222 Depth=1
	s_or_b64 exec, exec, s[12:13]
.LBB195_332:                            ;   in Loop: Header=BB195_222 Depth=1
	s_or_b64 exec, exec, s[6:7]
	v_cmp_ne_u16_sdwa s[0:1], v15, v5 src0_sel:BYTE_1 src1_sel:DWORD
	s_and_saveexec_b64 s[6:7], s[0:1]
	s_cbranch_execz .LBB195_338
; %bb.333:                              ;   in Loop: Header=BB195_222 Depth=1
	v_mov_b32_e32 v19, v6
	v_cmp_ne_u16_sdwa s[0:1], v15, s24 src0_sel:BYTE_1 src1_sel:DWORD
	v_mov_b32_e32 v18, v5
	s_and_saveexec_b64 s[12:13], s[0:1]
	s_cbranch_execz .LBB195_337
; %bb.334:                              ;   in Loop: Header=BB195_222 Depth=1
	v_and_b32_sdwa v0, v15, s25 dst_sel:DWORD dst_unused:UNUSED_PAD src0_sel:BYTE_1 src1_sel:DWORD
	v_mov_b32_e32 v11, v5
	v_mov_b32_e32 v19, v12
	v_cmp_ne_u32_e64 s[0:1], s25, v0
	v_mov_b32_e32 v18, v11
	s_and_saveexec_b64 s[14:15], s[0:1]
	s_cbranch_execz .LBB195_336
; %bb.335:                              ;   in Loop: Header=BB195_222 Depth=1
	v_and_b32_sdwa v18, v15, v38 dst_sel:DWORD dst_unused:UNUSED_PAD src0_sel:BYTE_1 src1_sel:DWORD
	v_ffbh_u32_e32 v8, v18
	v_min_u32_e32 v8, 32, v8
	v_mov_b32_e32 v19, v5
	v_subrev_u32_e32 v11, 28, v8
	v_lshlrev_b64 v[19:20], v11, v[18:19]
	v_lshrrev_b32_e32 v7, 3, v0
	v_sub_u32_e32 v8, 29, v8
	v_cmp_gt_u32_e64 s[0:1], 8, v0
	v_and_b32_e32 v11, 7, v19
	v_cndmask_b32_e64 v0, v7, v8, s[0:1]
	v_cndmask_b32_e64 v7, v18, v11, s[0:1]
	v_lshlrev_b32_e32 v8, 16, v15
	v_lshl_add_u32 v0, v0, 23, v37
	v_and_or_b32 v0, v8, s26, v0
	v_lshlrev_b32_e32 v7, 20, v7
	v_or_b32_e32 v19, v0, v7
	v_mov_b32_e32 v18, v5
.LBB195_336:                            ;   in Loop: Header=BB195_222 Depth=1
	s_or_b64 exec, exec, s[14:15]
.LBB195_337:                            ;   in Loop: Header=BB195_222 Depth=1
	s_or_b64 exec, exec, s[12:13]
.LBB195_338:                            ;   in Loop: Header=BB195_222 Depth=1
	s_or_b64 exec, exec, s[6:7]
	v_lshrrev_b32_e32 v11, 16, v15
	v_mov_b32_e32 v22, 0
	v_mov_b32_e32 v20, 0
	;; [unrolled: 1-line block ×4, first 2 shown]
	v_cmp_ne_u16_sdwa s[0:1], v11, v5 src0_sel:BYTE_0 src1_sel:DWORD
	s_and_saveexec_b64 s[6:7], s[0:1]
	s_cbranch_execz .LBB195_344
; %bb.339:                              ;   in Loop: Header=BB195_222 Depth=1
	v_bfrev_b32_e32 v20, 1
	v_mov_b32_e32 v21, 0
	v_cmp_ne_u16_sdwa s[0:1], v11, s24 src0_sel:BYTE_0 src1_sel:DWORD
	s_and_saveexec_b64 s[12:13], s[0:1]
	s_cbranch_execz .LBB195_343
; %bb.340:                              ;   in Loop: Header=BB195_222 Depth=1
	v_bfe_u32 v0, v15, 16, 7
	v_mov_b32_e32 v20, 0x7f800001
	v_mov_b32_e32 v21, 0
	v_cmp_ne_u32_e64 s[0:1], s25, v0
	s_and_saveexec_b64 s[14:15], s[0:1]
	s_cbranch_execz .LBB195_342
; %bb.341:                              ;   in Loop: Header=BB195_222 Depth=1
	v_and_b32_e32 v7, 7, v11
	v_lshrrev_b32_e32 v8, 3, v0
	v_cmp_gt_u32_e64 s[0:1], 8, v0
	v_ffbh_u32_e32 v0, v7
	v_min_u32_e32 v0, 32, v0
	v_subrev_u32_e32 v20, 28, v0
	v_lshlrev_b64 v[20:21], v20, v[11:12]
	v_sub_u32_e32 v0, 29, v0
	v_and_b32_e32 v20, 7, v20
	v_cndmask_b32_e64 v0, v8, v0, s[0:1]
	v_cndmask_b32_e64 v7, v7, v20, s[0:1]
	v_lshlrev_b32_e32 v7, 20, v7
	v_and_b32_sdwa v8, sext(v11), s26 dst_sel:DWORD dst_unused:UNUSED_PAD src0_sel:BYTE_0 src1_sel:DWORD
	v_lshl_add_u32 v0, v0, 23, v37
	v_or3_b32 v20, v8, v0, v7
	v_mov_b32_e32 v21, v5
.LBB195_342:                            ;   in Loop: Header=BB195_222 Depth=1
	s_or_b64 exec, exec, s[14:15]
.LBB195_343:                            ;   in Loop: Header=BB195_222 Depth=1
	s_or_b64 exec, exec, s[12:13]
.LBB195_344:                            ;   in Loop: Header=BB195_222 Depth=1
	s_or_b64 exec, exec, s[6:7]
	v_cmp_lt_u32_e64 s[0:1], s27, v15
	s_and_saveexec_b64 s[6:7], s[0:1]
	s_cbranch_execz .LBB195_350
; %bb.345:                              ;   in Loop: Header=BB195_222 Depth=1
	v_mov_b32_e32 v23, v6
	v_cmp_ne_u32_sdwa s[0:1], v15, s24 src0_sel:BYTE_3 src1_sel:DWORD
	v_mov_b32_e32 v22, v5
	s_and_saveexec_b64 s[12:13], s[0:1]
	s_cbranch_execz .LBB195_349
; %bb.346:                              ;   in Loop: Header=BB195_222 Depth=1
	v_bfe_u32 v0, v15, 24, 7
	v_mov_b32_e32 v11, v5
	v_mov_b32_e32 v23, v12
	v_cmp_ne_u32_e64 s[0:1], s25, v0
	v_mov_b32_e32 v22, v11
	s_and_saveexec_b64 s[14:15], s[0:1]
	s_cbranch_execz .LBB195_348
; %bb.347:                              ;   in Loop: Header=BB195_222 Depth=1
	v_and_b32_sdwa v22, v15, v38 dst_sel:DWORD dst_unused:UNUSED_PAD src0_sel:BYTE_3 src1_sel:DWORD
	v_lshrrev_b32_e32 v7, 3, v0
	v_cmp_gt_u32_e64 s[0:1], 8, v0
	v_ffbh_u32_e32 v0, v22
	v_min_u32_e32 v0, 32, v0
	v_mov_b32_e32 v23, v5
	v_subrev_u32_e32 v8, 28, v0
	v_lshlrev_b64 v[23:24], v8, v[22:23]
	v_sub_u32_e32 v0, 29, v0
	v_and_b32_e32 v8, 7, v23
	v_cndmask_b32_e64 v0, v7, v0, s[0:1]
	v_cndmask_b32_e64 v7, v22, v8, s[0:1]
	v_mov_b32_e32 v8, 24
	v_lshlrev_b32_sdwa v8, v8, v15 dst_sel:DWORD dst_unused:UNUSED_PAD src0_sel:DWORD src1_sel:BYTE_3
	v_lshl_add_u32 v0, v0, 23, v37
	v_and_or_b32 v0, v8, s26, v0
	v_lshlrev_b32_e32 v7, 20, v7
	v_or_b32_e32 v23, v0, v7
	v_mov_b32_e32 v22, v5
.LBB195_348:                            ;   in Loop: Header=BB195_222 Depth=1
	s_or_b64 exec, exec, s[14:15]
.LBB195_349:                            ;   in Loop: Header=BB195_222 Depth=1
	s_or_b64 exec, exec, s[12:13]
.LBB195_350:                            ;   in Loop: Header=BB195_222 Depth=1
	s_or_b64 exec, exec, s[6:7]
	v_or_b32_e32 v7, v18, v16
	v_or_b32_e32 v0, v19, v17
	v_mul_f32_e32 v62, s17, v7
	v_or_b32_e32 v7, v23, v21
	v_or_b32_e32 v8, v22, v20
	v_mul_f32_e32 v0, s18, v0
	v_mul_f32_e32 v61, s17, v8
	;; [unrolled: 1-line block ×3, first 2 shown]
	s_and_saveexec_b64 s[6:7], vcc
; %bb.351:                              ;   in Loop: Header=BB195_222 Depth=1
	v_cmp_gt_i32_e64 s[0:1], s30, v48
	v_cndmask_b32_e64 v62, 0, v62, s[0:1]
	v_cmp_gt_i32_e64 s[0:1], s30, v50
	v_cndmask_b32_e64 v0, 0, v0, s[0:1]
	v_cmp_gt_i32_e64 s[0:1], s30, v49
	v_cndmask_b32_e64 v61, 0, v61, s[0:1]
	v_cmp_gt_i32_e64 s[0:1], s30, v35
	v_cndmask_b32_e64 v60, 0, v60, s[0:1]
; %bb.352:                              ;   in Loop: Header=BB195_222 Depth=1
	s_or_b64 exec, exec, s[6:7]
	global_load_dword v15, v[13:14], off offset:1280
	v_mov_b32_e32 v18, 0
	v_mov_b32_e32 v16, 0
	;; [unrolled: 1-line block ×4, first 2 shown]
	s_waitcnt vmcnt(0)
	v_cmp_ne_u16_sdwa s[0:1], v15, v5 src0_sel:BYTE_0 src1_sel:DWORD
	s_and_saveexec_b64 s[6:7], s[0:1]
	s_cbranch_execz .LBB195_358
; %bb.353:                              ;   in Loop: Header=BB195_222 Depth=1
	v_bfrev_b32_e32 v16, 1
	v_mov_b32_e32 v17, 0
	v_cmp_ne_u16_sdwa s[0:1], v15, s24 src0_sel:BYTE_0 src1_sel:DWORD
	s_and_saveexec_b64 s[12:13], s[0:1]
	s_cbranch_execz .LBB195_357
; %bb.354:                              ;   in Loop: Header=BB195_222 Depth=1
	v_and_b32_e32 v11, 0x7f, v15
	v_mov_b32_e32 v16, 0x7f800001
	v_mov_b32_e32 v17, 0
	v_cmp_ne_u32_e64 s[0:1], s25, v11
	s_and_saveexec_b64 s[14:15], s[0:1]
	s_cbranch_execz .LBB195_356
; %bb.355:                              ;   in Loop: Header=BB195_222 Depth=1
	v_and_b32_e32 v7, 7, v15
	v_lshrrev_b32_e32 v8, 3, v11
	v_cmp_gt_u32_e64 s[0:1], 8, v11
	v_ffbh_u32_e32 v11, v7
	v_min_u32_e32 v11, 32, v11
	v_subrev_u32_e32 v16, 28, v11
	v_lshlrev_b64 v[16:17], v16, v[15:16]
	v_sub_u32_e32 v11, 29, v11
	v_and_b32_e32 v16, 7, v16
	v_cndmask_b32_e64 v8, v8, v11, s[0:1]
	v_cndmask_b32_e64 v7, v7, v16, s[0:1]
	v_lshlrev_b32_e32 v7, 20, v7
	v_and_b32_sdwa v11, sext(v15), s26 dst_sel:DWORD dst_unused:UNUSED_PAD src0_sel:BYTE_0 src1_sel:DWORD
	v_lshl_add_u32 v8, v8, 23, v37
	v_or3_b32 v16, v11, v8, v7
	v_mov_b32_e32 v17, v5
.LBB195_356:                            ;   in Loop: Header=BB195_222 Depth=1
	s_or_b64 exec, exec, s[14:15]
.LBB195_357:                            ;   in Loop: Header=BB195_222 Depth=1
	s_or_b64 exec, exec, s[12:13]
.LBB195_358:                            ;   in Loop: Header=BB195_222 Depth=1
	s_or_b64 exec, exec, s[6:7]
	v_cmp_ne_u16_sdwa s[0:1], v15, v5 src0_sel:BYTE_1 src1_sel:DWORD
	s_and_saveexec_b64 s[6:7], s[0:1]
	s_cbranch_execz .LBB195_364
; %bb.359:                              ;   in Loop: Header=BB195_222 Depth=1
	v_mov_b32_e32 v19, v6
	v_cmp_ne_u16_sdwa s[0:1], v15, s24 src0_sel:BYTE_1 src1_sel:DWORD
	v_mov_b32_e32 v18, v5
	s_and_saveexec_b64 s[12:13], s[0:1]
	s_cbranch_execz .LBB195_363
; %bb.360:                              ;   in Loop: Header=BB195_222 Depth=1
	v_and_b32_sdwa v20, v15, s25 dst_sel:DWORD dst_unused:UNUSED_PAD src0_sel:BYTE_1 src1_sel:DWORD
	v_mov_b32_e32 v11, v5
	v_mov_b32_e32 v19, v12
	v_cmp_ne_u32_e64 s[0:1], s25, v20
	v_mov_b32_e32 v18, v11
	s_and_saveexec_b64 s[14:15], s[0:1]
	s_cbranch_execz .LBB195_362
; %bb.361:                              ;   in Loop: Header=BB195_222 Depth=1
	v_and_b32_sdwa v18, v15, v38 dst_sel:DWORD dst_unused:UNUSED_PAD src0_sel:BYTE_1 src1_sel:DWORD
	v_ffbh_u32_e32 v8, v18
	v_min_u32_e32 v8, 32, v8
	v_mov_b32_e32 v19, v5
	v_subrev_u32_e32 v11, 28, v8
	v_lshrrev_b32_e32 v7, 3, v20
	v_cmp_gt_u32_e64 s[0:1], 8, v20
	v_lshlrev_b64 v[19:20], v11, v[18:19]
	v_sub_u32_e32 v8, 29, v8
	v_and_b32_e32 v11, 7, v19
	v_cndmask_b32_e64 v7, v7, v8, s[0:1]
	v_cndmask_b32_e64 v8, v18, v11, s[0:1]
	v_lshlrev_b32_e32 v11, 16, v15
	v_lshl_add_u32 v7, v7, 23, v37
	v_and_or_b32 v7, v11, s26, v7
	v_lshlrev_b32_e32 v8, 20, v8
	v_or_b32_e32 v19, v7, v8
	v_mov_b32_e32 v18, v5
.LBB195_362:                            ;   in Loop: Header=BB195_222 Depth=1
	s_or_b64 exec, exec, s[14:15]
.LBB195_363:                            ;   in Loop: Header=BB195_222 Depth=1
	s_or_b64 exec, exec, s[12:13]
.LBB195_364:                            ;   in Loop: Header=BB195_222 Depth=1
	s_or_b64 exec, exec, s[6:7]
	v_lshrrev_b32_e32 v11, 16, v15
	v_mov_b32_e32 v22, 0
	v_mov_b32_e32 v20, 0
	;; [unrolled: 1-line block ×4, first 2 shown]
	v_cmp_ne_u16_sdwa s[0:1], v11, v5 src0_sel:BYTE_0 src1_sel:DWORD
	s_and_saveexec_b64 s[6:7], s[0:1]
	s_cbranch_execz .LBB195_370
; %bb.365:                              ;   in Loop: Header=BB195_222 Depth=1
	v_bfrev_b32_e32 v20, 1
	v_mov_b32_e32 v21, 0
	v_cmp_ne_u16_sdwa s[0:1], v11, s24 src0_sel:BYTE_0 src1_sel:DWORD
	s_and_saveexec_b64 s[12:13], s[0:1]
	s_cbranch_execz .LBB195_369
; %bb.366:                              ;   in Loop: Header=BB195_222 Depth=1
	v_bfe_u32 v24, v15, 16, 7
	v_mov_b32_e32 v20, 0x7f800001
	v_mov_b32_e32 v21, 0
	v_cmp_ne_u32_e64 s[0:1], s25, v24
	s_and_saveexec_b64 s[14:15], s[0:1]
	s_cbranch_execz .LBB195_368
; %bb.367:                              ;   in Loop: Header=BB195_222 Depth=1
	v_and_b32_e32 v7, 7, v11
	v_ffbh_u32_e32 v20, v7
	v_lshrrev_b32_e32 v8, 3, v24
	v_cmp_gt_u32_e64 s[0:1], 8, v24
	v_min_u32_e32 v24, 32, v20
	v_subrev_u32_e32 v20, 28, v24
	v_lshlrev_b64 v[20:21], v20, v[11:12]
	v_sub_u32_e32 v21, 29, v24
	v_and_b32_e32 v20, 7, v20
	v_cndmask_b32_e64 v8, v8, v21, s[0:1]
	v_cndmask_b32_e64 v7, v7, v20, s[0:1]
	v_lshlrev_b32_e32 v7, 20, v7
	v_and_b32_sdwa v11, sext(v11), s26 dst_sel:DWORD dst_unused:UNUSED_PAD src0_sel:BYTE_0 src1_sel:DWORD
	v_lshl_add_u32 v8, v8, 23, v37
	v_or3_b32 v20, v11, v8, v7
	v_mov_b32_e32 v21, v5
.LBB195_368:                            ;   in Loop: Header=BB195_222 Depth=1
	s_or_b64 exec, exec, s[14:15]
.LBB195_369:                            ;   in Loop: Header=BB195_222 Depth=1
	s_or_b64 exec, exec, s[12:13]
.LBB195_370:                            ;   in Loop: Header=BB195_222 Depth=1
	s_or_b64 exec, exec, s[6:7]
	v_cmp_lt_u32_e64 s[0:1], s27, v15
	s_and_saveexec_b64 s[6:7], s[0:1]
	s_cbranch_execz .LBB195_376
; %bb.371:                              ;   in Loop: Header=BB195_222 Depth=1
	v_mov_b32_e32 v23, v6
	v_cmp_ne_u32_sdwa s[0:1], v15, s24 src0_sel:BYTE_3 src1_sel:DWORD
	v_mov_b32_e32 v22, v5
	s_and_saveexec_b64 s[12:13], s[0:1]
	s_cbranch_execz .LBB195_375
; %bb.372:                              ;   in Loop: Header=BB195_222 Depth=1
	v_bfe_u32 v24, v15, 24, 7
	v_mov_b32_e32 v11, v5
	v_mov_b32_e32 v23, v12
	v_cmp_ne_u32_e64 s[0:1], s25, v24
	v_mov_b32_e32 v22, v11
	s_and_saveexec_b64 s[14:15], s[0:1]
	s_cbranch_execz .LBB195_374
; %bb.373:                              ;   in Loop: Header=BB195_222 Depth=1
	v_and_b32_sdwa v22, v15, v38 dst_sel:DWORD dst_unused:UNUSED_PAD src0_sel:BYTE_3 src1_sel:DWORD
	v_ffbh_u32_e32 v8, v22
	v_min_u32_e32 v8, 32, v8
	v_mov_b32_e32 v23, v5
	v_subrev_u32_e32 v11, 28, v8
	v_lshrrev_b32_e32 v7, 3, v24
	v_cmp_gt_u32_e64 s[0:1], 8, v24
	v_lshlrev_b64 v[23:24], v11, v[22:23]
	v_sub_u32_e32 v8, 29, v8
	v_and_b32_e32 v11, 7, v23
	v_cndmask_b32_e64 v7, v7, v8, s[0:1]
	v_cndmask_b32_e64 v8, v22, v11, s[0:1]
	v_mov_b32_e32 v11, 24
	v_lshlrev_b32_sdwa v11, v11, v15 dst_sel:DWORD dst_unused:UNUSED_PAD src0_sel:DWORD src1_sel:BYTE_3
	v_lshl_add_u32 v7, v7, 23, v37
	v_and_or_b32 v7, v11, s26, v7
	v_lshlrev_b32_e32 v8, 20, v8
	v_or_b32_e32 v23, v7, v8
	v_mov_b32_e32 v22, v5
.LBB195_374:                            ;   in Loop: Header=BB195_222 Depth=1
	s_or_b64 exec, exec, s[14:15]
.LBB195_375:                            ;   in Loop: Header=BB195_222 Depth=1
	s_or_b64 exec, exec, s[12:13]
.LBB195_376:                            ;   in Loop: Header=BB195_222 Depth=1
	s_or_b64 exec, exec, s[6:7]
	v_or_b32_e32 v7, v19, v17
	v_or_b32_e32 v8, v18, v16
	v_mul_f32_e32 v63, s18, v7
	v_mul_f32_e32 v26, s17, v8
	v_or_b32_e32 v7, v23, v21
	v_or_b32_e32 v8, v22, v20
	v_mul_f32_e32 v39, s17, v8
	v_mul_f32_e32 v24, s18, v7
	s_and_saveexec_b64 s[6:7], vcc
; %bb.377:                              ;   in Loop: Header=BB195_222 Depth=1
	v_cmp_gt_i32_e64 s[0:1], s30, v48
	v_cndmask_b32_e64 v26, 0, v26, s[0:1]
	v_cmp_gt_i32_e64 s[0:1], s30, v50
	v_cndmask_b32_e64 v63, 0, v63, s[0:1]
	;; [unrolled: 2-line block ×4, first 2 shown]
; %bb.378:                              ;   in Loop: Header=BB195_222 Depth=1
	s_or_b64 exec, exec, s[6:7]
	global_load_dword v15, v[13:14], off offset:1536
	v_mov_b32_e32 v18, 0
	v_mov_b32_e32 v16, 0
	;; [unrolled: 1-line block ×4, first 2 shown]
	s_waitcnt vmcnt(0)
	v_cmp_ne_u16_sdwa s[0:1], v15, v5 src0_sel:BYTE_0 src1_sel:DWORD
	s_and_saveexec_b64 s[6:7], s[0:1]
	s_cbranch_execz .LBB195_384
; %bb.379:                              ;   in Loop: Header=BB195_222 Depth=1
	v_bfrev_b32_e32 v16, 1
	v_mov_b32_e32 v17, 0
	v_cmp_ne_u16_sdwa s[0:1], v15, s24 src0_sel:BYTE_0 src1_sel:DWORD
	s_and_saveexec_b64 s[12:13], s[0:1]
	s_cbranch_execz .LBB195_383
; %bb.380:                              ;   in Loop: Header=BB195_222 Depth=1
	v_and_b32_e32 v11, 0x7f, v15
	v_mov_b32_e32 v16, 0x7f800001
	v_mov_b32_e32 v17, 0
	v_cmp_ne_u32_e64 s[0:1], s25, v11
	s_and_saveexec_b64 s[14:15], s[0:1]
	s_cbranch_execz .LBB195_382
; %bb.381:                              ;   in Loop: Header=BB195_222 Depth=1
	v_and_b32_e32 v7, 7, v15
	v_lshrrev_b32_e32 v8, 3, v11
	v_cmp_gt_u32_e64 s[0:1], 8, v11
	v_ffbh_u32_e32 v11, v7
	v_min_u32_e32 v11, 32, v11
	v_subrev_u32_e32 v16, 28, v11
	v_lshlrev_b64 v[16:17], v16, v[15:16]
	v_sub_u32_e32 v11, 29, v11
	v_and_b32_e32 v16, 7, v16
	v_cndmask_b32_e64 v8, v8, v11, s[0:1]
	v_cndmask_b32_e64 v7, v7, v16, s[0:1]
	v_lshlrev_b32_e32 v7, 20, v7
	v_and_b32_sdwa v11, sext(v15), s26 dst_sel:DWORD dst_unused:UNUSED_PAD src0_sel:BYTE_0 src1_sel:DWORD
	v_lshl_add_u32 v8, v8, 23, v37
	v_or3_b32 v16, v11, v8, v7
	v_mov_b32_e32 v17, v5
.LBB195_382:                            ;   in Loop: Header=BB195_222 Depth=1
	s_or_b64 exec, exec, s[14:15]
.LBB195_383:                            ;   in Loop: Header=BB195_222 Depth=1
	s_or_b64 exec, exec, s[12:13]
.LBB195_384:                            ;   in Loop: Header=BB195_222 Depth=1
	s_or_b64 exec, exec, s[6:7]
	v_cmp_ne_u16_sdwa s[0:1], v15, v5 src0_sel:BYTE_1 src1_sel:DWORD
	s_and_saveexec_b64 s[6:7], s[0:1]
	s_cbranch_execz .LBB195_390
; %bb.385:                              ;   in Loop: Header=BB195_222 Depth=1
	v_mov_b32_e32 v19, v6
	v_cmp_ne_u16_sdwa s[0:1], v15, s24 src0_sel:BYTE_1 src1_sel:DWORD
	v_mov_b32_e32 v18, v5
	s_and_saveexec_b64 s[12:13], s[0:1]
	s_cbranch_execz .LBB195_389
; %bb.386:                              ;   in Loop: Header=BB195_222 Depth=1
	v_and_b32_sdwa v20, v15, s25 dst_sel:DWORD dst_unused:UNUSED_PAD src0_sel:BYTE_1 src1_sel:DWORD
	v_mov_b32_e32 v11, v5
	v_mov_b32_e32 v19, v12
	v_cmp_ne_u32_e64 s[0:1], s25, v20
	v_mov_b32_e32 v18, v11
	s_and_saveexec_b64 s[14:15], s[0:1]
	s_cbranch_execz .LBB195_388
; %bb.387:                              ;   in Loop: Header=BB195_222 Depth=1
	v_and_b32_sdwa v18, v15, v38 dst_sel:DWORD dst_unused:UNUSED_PAD src0_sel:BYTE_1 src1_sel:DWORD
	v_ffbh_u32_e32 v8, v18
	v_min_u32_e32 v8, 32, v8
	v_mov_b32_e32 v19, v5
	v_subrev_u32_e32 v11, 28, v8
	v_lshrrev_b32_e32 v7, 3, v20
	v_cmp_gt_u32_e64 s[0:1], 8, v20
	v_lshlrev_b64 v[19:20], v11, v[18:19]
	v_sub_u32_e32 v8, 29, v8
	v_and_b32_e32 v11, 7, v19
	v_cndmask_b32_e64 v7, v7, v8, s[0:1]
	v_cndmask_b32_e64 v8, v18, v11, s[0:1]
	v_lshlrev_b32_e32 v11, 16, v15
	v_lshl_add_u32 v7, v7, 23, v37
	v_and_or_b32 v7, v11, s26, v7
	v_lshlrev_b32_e32 v8, 20, v8
	v_or_b32_e32 v19, v7, v8
	v_mov_b32_e32 v18, v5
.LBB195_388:                            ;   in Loop: Header=BB195_222 Depth=1
	s_or_b64 exec, exec, s[14:15]
.LBB195_389:                            ;   in Loop: Header=BB195_222 Depth=1
	s_or_b64 exec, exec, s[12:13]
.LBB195_390:                            ;   in Loop: Header=BB195_222 Depth=1
	s_or_b64 exec, exec, s[6:7]
	v_lshrrev_b32_e32 v11, 16, v15
	v_mov_b32_e32 v22, 0
	v_mov_b32_e32 v20, 0
	;; [unrolled: 1-line block ×4, first 2 shown]
	v_cmp_ne_u16_sdwa s[0:1], v11, v5 src0_sel:BYTE_0 src1_sel:DWORD
	s_and_saveexec_b64 s[6:7], s[0:1]
	s_cbranch_execz .LBB195_396
; %bb.391:                              ;   in Loop: Header=BB195_222 Depth=1
	v_bfrev_b32_e32 v20, 1
	v_mov_b32_e32 v21, 0
	v_cmp_ne_u16_sdwa s[0:1], v11, s24 src0_sel:BYTE_0 src1_sel:DWORD
	s_and_saveexec_b64 s[12:13], s[0:1]
	s_cbranch_execz .LBB195_395
; %bb.392:                              ;   in Loop: Header=BB195_222 Depth=1
	v_bfe_u32 v25, v15, 16, 7
	v_mov_b32_e32 v20, 0x7f800001
	v_mov_b32_e32 v21, 0
	v_cmp_ne_u32_e64 s[0:1], s25, v25
	s_and_saveexec_b64 s[14:15], s[0:1]
	s_cbranch_execz .LBB195_394
; %bb.393:                              ;   in Loop: Header=BB195_222 Depth=1
	v_and_b32_e32 v7, 7, v11
	v_ffbh_u32_e32 v20, v7
	v_lshrrev_b32_e32 v8, 3, v25
	v_cmp_gt_u32_e64 s[0:1], 8, v25
	v_min_u32_e32 v25, 32, v20
	v_subrev_u32_e32 v20, 28, v25
	v_lshlrev_b64 v[20:21], v20, v[11:12]
	v_sub_u32_e32 v21, 29, v25
	v_and_b32_e32 v20, 7, v20
	v_cndmask_b32_e64 v8, v8, v21, s[0:1]
	v_cndmask_b32_e64 v7, v7, v20, s[0:1]
	v_lshlrev_b32_e32 v7, 20, v7
	v_and_b32_sdwa v11, sext(v11), s26 dst_sel:DWORD dst_unused:UNUSED_PAD src0_sel:BYTE_0 src1_sel:DWORD
	v_lshl_add_u32 v8, v8, 23, v37
	v_or3_b32 v20, v11, v8, v7
	v_mov_b32_e32 v21, v5
.LBB195_394:                            ;   in Loop: Header=BB195_222 Depth=1
	s_or_b64 exec, exec, s[14:15]
.LBB195_395:                            ;   in Loop: Header=BB195_222 Depth=1
	s_or_b64 exec, exec, s[12:13]
.LBB195_396:                            ;   in Loop: Header=BB195_222 Depth=1
	s_or_b64 exec, exec, s[6:7]
	v_cmp_lt_u32_e64 s[0:1], s27, v15
	s_and_saveexec_b64 s[6:7], s[0:1]
	s_cbranch_execz .LBB195_402
; %bb.397:                              ;   in Loop: Header=BB195_222 Depth=1
	v_mov_b32_e32 v23, v6
	v_cmp_ne_u32_sdwa s[0:1], v15, s24 src0_sel:BYTE_3 src1_sel:DWORD
	v_mov_b32_e32 v22, v5
	s_and_saveexec_b64 s[12:13], s[0:1]
	s_cbranch_execz .LBB195_401
; %bb.398:                              ;   in Loop: Header=BB195_222 Depth=1
	v_bfe_u32 v25, v15, 24, 7
	v_mov_b32_e32 v11, v5
	v_mov_b32_e32 v23, v12
	v_cmp_ne_u32_e64 s[0:1], s25, v25
	v_mov_b32_e32 v22, v11
	s_and_saveexec_b64 s[14:15], s[0:1]
	s_cbranch_execz .LBB195_400
; %bb.399:                              ;   in Loop: Header=BB195_222 Depth=1
	v_and_b32_sdwa v22, v15, v38 dst_sel:DWORD dst_unused:UNUSED_PAD src0_sel:BYTE_3 src1_sel:DWORD
	v_ffbh_u32_e32 v7, v22
	v_lshrrev_b32_e32 v11, 3, v25
	v_cmp_gt_u32_e64 s[0:1], 8, v25
	v_min_u32_e32 v25, 32, v7
	v_mov_b32_e32 v23, v5
	v_subrev_u32_e32 v7, 28, v25
	v_lshlrev_b64 v[7:8], v7, v[22:23]
	v_sub_u32_e32 v8, 29, v25
	v_and_b32_e32 v7, 7, v7
	v_cndmask_b32_e64 v8, v11, v8, s[0:1]
	v_mov_b32_e32 v11, 24
	v_cndmask_b32_e64 v7, v22, v7, s[0:1]
	v_lshlrev_b32_sdwa v11, v11, v15 dst_sel:DWORD dst_unused:UNUSED_PAD src0_sel:DWORD src1_sel:BYTE_3
	v_lshl_add_u32 v8, v8, 23, v37
	v_and_or_b32 v8, v11, s26, v8
	v_lshlrev_b32_e32 v7, 20, v7
	v_or_b32_e32 v23, v8, v7
	v_mov_b32_e32 v22, v5
.LBB195_400:                            ;   in Loop: Header=BB195_222 Depth=1
	s_or_b64 exec, exec, s[14:15]
.LBB195_401:                            ;   in Loop: Header=BB195_222 Depth=1
	s_or_b64 exec, exec, s[12:13]
.LBB195_402:                            ;   in Loop: Header=BB195_222 Depth=1
	s_or_b64 exec, exec, s[6:7]
	v_or_b32_e32 v7, v19, v17
	v_or_b32_e32 v8, v18, v16
	v_mul_f32_e32 v25, s18, v7
	v_mul_f32_e32 v43, s17, v8
	v_or_b32_e32 v7, v23, v21
	v_or_b32_e32 v8, v22, v20
	v_mul_f32_e32 v23, s17, v8
	v_mul_f32_e32 v22, s18, v7
	s_and_saveexec_b64 s[6:7], vcc
; %bb.403:                              ;   in Loop: Header=BB195_222 Depth=1
	v_cmp_gt_i32_e64 s[0:1], s30, v48
	v_cndmask_b32_e64 v43, 0, v43, s[0:1]
	v_cmp_gt_i32_e64 s[0:1], s30, v50
	v_cndmask_b32_e64 v25, 0, v25, s[0:1]
	;; [unrolled: 2-line block ×4, first 2 shown]
; %bb.404:                              ;   in Loop: Header=BB195_222 Depth=1
	s_or_b64 exec, exec, s[6:7]
	global_load_dword v13, v[13:14], off offset:1792
	v_mov_b32_e32 v16, 0
	v_mov_b32_e32 v14, 0
	;; [unrolled: 1-line block ×4, first 2 shown]
	s_waitcnt vmcnt(0)
	v_cmp_ne_u16_sdwa s[0:1], v13, v5 src0_sel:BYTE_0 src1_sel:DWORD
	s_and_saveexec_b64 s[6:7], s[0:1]
	s_cbranch_execz .LBB195_410
; %bb.405:                              ;   in Loop: Header=BB195_222 Depth=1
	v_bfrev_b32_e32 v14, 1
	v_mov_b32_e32 v15, 0
	v_cmp_ne_u16_sdwa s[0:1], v13, s24 src0_sel:BYTE_0 src1_sel:DWORD
	s_and_saveexec_b64 s[12:13], s[0:1]
	s_cbranch_execz .LBB195_409
; %bb.406:                              ;   in Loop: Header=BB195_222 Depth=1
	v_and_b32_e32 v11, 0x7f, v13
	v_mov_b32_e32 v14, 0x7f800001
	v_mov_b32_e32 v15, 0
	v_cmp_ne_u32_e64 s[0:1], s25, v11
	s_and_saveexec_b64 s[14:15], s[0:1]
	s_cbranch_execz .LBB195_408
; %bb.407:                              ;   in Loop: Header=BB195_222 Depth=1
	v_and_b32_e32 v14, 7, v13
	v_ffbh_u32_e32 v7, v14
	v_lshrrev_b32_e32 v15, 3, v11
	v_cmp_gt_u32_e64 s[0:1], 8, v11
	v_min_u32_e32 v11, 32, v7
	v_subrev_u32_e32 v7, 28, v11
	v_lshlrev_b64 v[7:8], v7, v[13:14]
	v_sub_u32_e32 v8, 29, v11
	v_and_b32_e32 v7, 7, v7
	v_cndmask_b32_e64 v8, v15, v8, s[0:1]
	v_cndmask_b32_e64 v7, v14, v7, s[0:1]
	v_lshlrev_b32_e32 v7, 20, v7
	v_and_b32_sdwa v11, sext(v13), s26 dst_sel:DWORD dst_unused:UNUSED_PAD src0_sel:BYTE_0 src1_sel:DWORD
	v_lshl_add_u32 v8, v8, 23, v37
	v_or3_b32 v14, v11, v8, v7
	v_mov_b32_e32 v15, v5
.LBB195_408:                            ;   in Loop: Header=BB195_222 Depth=1
	s_or_b64 exec, exec, s[14:15]
.LBB195_409:                            ;   in Loop: Header=BB195_222 Depth=1
	s_or_b64 exec, exec, s[12:13]
.LBB195_410:                            ;   in Loop: Header=BB195_222 Depth=1
	s_or_b64 exec, exec, s[6:7]
	v_cmp_ne_u16_sdwa s[0:1], v13, v5 src0_sel:BYTE_1 src1_sel:DWORD
	s_and_saveexec_b64 s[6:7], s[0:1]
	s_cbranch_execz .LBB195_416
; %bb.411:                              ;   in Loop: Header=BB195_222 Depth=1
	v_mov_b32_e32 v17, v6
	v_cmp_ne_u16_sdwa s[0:1], v13, s24 src0_sel:BYTE_1 src1_sel:DWORD
	v_mov_b32_e32 v16, v5
	s_and_saveexec_b64 s[12:13], s[0:1]
	s_cbranch_execz .LBB195_415
; %bb.412:                              ;   in Loop: Header=BB195_222 Depth=1
	v_and_b32_sdwa v18, v13, s25 dst_sel:DWORD dst_unused:UNUSED_PAD src0_sel:BYTE_1 src1_sel:DWORD
	v_mov_b32_e32 v11, v5
	v_mov_b32_e32 v17, v12
	v_cmp_ne_u32_e64 s[0:1], s25, v18
	v_mov_b32_e32 v16, v11
	s_and_saveexec_b64 s[14:15], s[0:1]
	s_cbranch_execz .LBB195_414
; %bb.413:                              ;   in Loop: Header=BB195_222 Depth=1
	v_and_b32_sdwa v7, v13, v38 dst_sel:DWORD dst_unused:UNUSED_PAD src0_sel:BYTE_1 src1_sel:DWORD
	v_ffbh_u32_e32 v16, v7
	v_lshrrev_b32_e32 v11, 3, v18
	v_cmp_gt_u32_e64 s[0:1], 8, v18
	v_min_u32_e32 v18, 32, v16
	v_mov_b32_e32 v8, v5
	v_subrev_u32_e32 v16, 28, v18
	v_lshlrev_b64 v[16:17], v16, v[7:8]
	v_sub_u32_e32 v8, 29, v18
	v_and_b32_e32 v16, 7, v16
	v_cndmask_b32_e64 v8, v11, v8, s[0:1]
	v_cndmask_b32_e64 v7, v7, v16, s[0:1]
	v_lshlrev_b32_e32 v11, 16, v13
	v_lshl_add_u32 v8, v8, 23, v37
	v_and_or_b32 v8, v11, s26, v8
	v_lshlrev_b32_e32 v7, 20, v7
	v_or_b32_e32 v17, v8, v7
	v_mov_b32_e32 v16, v5
.LBB195_414:                            ;   in Loop: Header=BB195_222 Depth=1
	s_or_b64 exec, exec, s[14:15]
.LBB195_415:                            ;   in Loop: Header=BB195_222 Depth=1
	s_or_b64 exec, exec, s[12:13]
.LBB195_416:                            ;   in Loop: Header=BB195_222 Depth=1
	s_or_b64 exec, exec, s[6:7]
	v_lshrrev_b32_e32 v11, 16, v13
	v_mov_b32_e32 v20, 0
	v_mov_b32_e32 v18, 0
	;; [unrolled: 1-line block ×4, first 2 shown]
	v_cmp_ne_u16_sdwa s[0:1], v11, v5 src0_sel:BYTE_0 src1_sel:DWORD
	s_and_saveexec_b64 s[6:7], s[0:1]
	s_cbranch_execz .LBB195_422
; %bb.417:                              ;   in Loop: Header=BB195_222 Depth=1
	v_bfrev_b32_e32 v18, 1
	v_mov_b32_e32 v19, 0
	v_cmp_ne_u16_sdwa s[0:1], v11, s24 src0_sel:BYTE_0 src1_sel:DWORD
	s_and_saveexec_b64 s[12:13], s[0:1]
	s_cbranch_execz .LBB195_421
; %bb.418:                              ;   in Loop: Header=BB195_222 Depth=1
	v_bfe_u32 v38, v13, 16, 7
	v_mov_b32_e32 v18, 0x7f800001
	v_mov_b32_e32 v19, 0
	v_cmp_ne_u32_e64 s[0:1], s25, v38
	s_and_saveexec_b64 s[14:15], s[0:1]
	s_cbranch_execz .LBB195_420
; %bb.419:                              ;   in Loop: Header=BB195_222 Depth=1
	v_and_b32_e32 v18, 7, v11
	v_ffbh_u32_e32 v7, v18
	v_lshrrev_b32_e32 v19, 3, v38
	v_cmp_gt_u32_e64 s[0:1], 8, v38
	v_min_u32_e32 v38, 32, v7
	v_subrev_u32_e32 v7, 28, v38
	v_lshlrev_b64 v[7:8], v7, v[11:12]
	v_sub_u32_e32 v8, 29, v38
	v_and_b32_e32 v7, 7, v7
	v_cndmask_b32_e64 v8, v19, v8, s[0:1]
	v_cndmask_b32_e64 v7, v18, v7, s[0:1]
	v_lshlrev_b32_e32 v7, 20, v7
	v_and_b32_sdwa v11, sext(v11), s26 dst_sel:DWORD dst_unused:UNUSED_PAD src0_sel:BYTE_0 src1_sel:DWORD
	v_lshl_add_u32 v8, v8, 23, v37
	v_or3_b32 v18, v11, v8, v7
	v_mov_b32_e32 v19, v5
.LBB195_420:                            ;   in Loop: Header=BB195_222 Depth=1
	s_or_b64 exec, exec, s[14:15]
	v_mov_b32_e32 v38, 7
.LBB195_421:                            ;   in Loop: Header=BB195_222 Depth=1
	s_or_b64 exec, exec, s[12:13]
.LBB195_422:                            ;   in Loop: Header=BB195_222 Depth=1
	s_or_b64 exec, exec, s[6:7]
	v_cmp_lt_u32_e64 s[0:1], s27, v13
	s_and_saveexec_b64 s[6:7], s[0:1]
	s_cbranch_execz .LBB195_428
; %bb.423:                              ;   in Loop: Header=BB195_222 Depth=1
	v_mov_b32_e32 v21, v6
	v_cmp_ne_u32_sdwa s[0:1], v13, s24 src0_sel:BYTE_3 src1_sel:DWORD
	v_mov_b32_e32 v20, v5
	s_and_saveexec_b64 s[12:13], s[0:1]
	s_cbranch_execz .LBB195_427
; %bb.424:                              ;   in Loop: Header=BB195_222 Depth=1
	v_bfe_u32 v38, v13, 24, 7
	v_mov_b32_e32 v11, v5
	v_mov_b32_e32 v21, v12
	;; [unrolled: 1-line block ×3, first 2 shown]
	v_cmp_ne_u32_e64 s[0:1], s25, v38
	v_mov_b32_e32 v20, v11
	s_and_saveexec_b64 s[14:15], s[0:1]
	s_cbranch_execz .LBB195_426
; %bb.425:                              ;   in Loop: Header=BB195_222 Depth=1
	v_and_b32_sdwa v7, v13, v7 dst_sel:DWORD dst_unused:UNUSED_PAD src0_sel:BYTE_3 src1_sel:DWORD
	v_ffbh_u32_e32 v20, v7
	v_lshrrev_b32_e32 v11, 3, v38
	v_cmp_gt_u32_e64 s[0:1], 8, v38
	v_min_u32_e32 v38, 32, v20
	v_mov_b32_e32 v8, v5
	v_subrev_u32_e32 v20, 28, v38
	v_lshlrev_b64 v[20:21], v20, v[7:8]
	v_sub_u32_e32 v8, 29, v38
	v_and_b32_e32 v20, 7, v20
	v_cndmask_b32_e64 v8, v11, v8, s[0:1]
	v_mov_b32_e32 v11, 24
	v_cndmask_b32_e64 v7, v7, v20, s[0:1]
	v_lshlrev_b32_sdwa v11, v11, v13 dst_sel:DWORD dst_unused:UNUSED_PAD src0_sel:DWORD src1_sel:BYTE_3
	v_lshl_add_u32 v8, v8, 23, v37
	v_and_or_b32 v8, v11, s26, v8
	v_lshlrev_b32_e32 v7, 20, v7
	v_or_b32_e32 v21, v8, v7
	v_mov_b32_e32 v20, v5
.LBB195_426:                            ;   in Loop: Header=BB195_222 Depth=1
	s_or_b64 exec, exec, s[14:15]
	v_mov_b32_e32 v38, 7
.LBB195_427:                            ;   in Loop: Header=BB195_222 Depth=1
	s_or_b64 exec, exec, s[12:13]
.LBB195_428:                            ;   in Loop: Header=BB195_222 Depth=1
	s_or_b64 exec, exec, s[6:7]
	v_or_b32_e32 v7, v17, v15
	v_or_b32_e32 v8, v16, v14
	v_mul_f32_e32 v11, s18, v7
	v_mul_f32_e32 v15, s17, v8
	v_or_b32_e32 v7, v21, v19
	v_or_b32_e32 v8, v20, v18
	v_mul_f32_e32 v14, s17, v8
	v_mul_f32_e32 v13, s18, v7
	s_and_saveexec_b64 s[0:1], vcc
	s_cbranch_execz .LBB195_221
; %bb.429:                              ;   in Loop: Header=BB195_222 Depth=1
	v_cmp_gt_i32_e32 vcc, s30, v48
	v_cndmask_b32_e32 v15, 0, v15, vcc
	v_cmp_gt_i32_e32 vcc, s30, v50
	v_cndmask_b32_e32 v11, 0, v11, vcc
	v_cmp_gt_i32_e32 vcc, s30, v49
	v_cndmask_b32_e32 v14, 0, v14, vcc
	v_cmp_gt_i32_e32 vcc, s30, v35
	v_cndmask_b32_e32 v13, 0, v13, vcc
	s_branch .LBB195_221
.LBB195_430:
	s_or_b64 exec, exec, s[4:5]
	buffer_load_dword v14, off, s[44:47], 0 offset:80 ; 4-byte Folded Reload
	buffer_load_dword v15, off, s[44:47], 0 offset:84 ; 4-byte Folded Reload
	;; [unrolled: 1-line block ×5, first 2 shown]
.LBB195_431:
	s_or_b64 exec, exec, s[2:3]
	s_waitcnt vmcnt(0)
	ds_bpermute_b32 v0, v9, v33
	ds_bpermute_b32 v1, v9, v34
	;; [unrolled: 1-line block ×4, first 2 shown]
	s_waitcnt lgkmcnt(0)
	v_add_f32_e32 v0, v33, v0
	ds_bpermute_b32 v3, v13, v0
	v_add_f32_e32 v1, v34, v1
	ds_bpermute_b32 v4, v13, v1
	;; [unrolled: 2-line block ×3, first 2 shown]
	s_waitcnt lgkmcnt(2)
	v_add_f32_e32 v0, v0, v3
	ds_bpermute_b32 v3, v9, v30
	s_waitcnt lgkmcnt(2)
	v_add_f32_e32 v1, v1, v4
	v_add_f32_e32 v4, v31, v6
	ds_bpermute_b32 v6, v9, v29
	s_waitcnt lgkmcnt(2)
	v_add_f32_e32 v2, v2, v5
	s_waitcnt lgkmcnt(1)
	v_add_f32_e32 v7, v30, v3
	ds_bpermute_b32 v3, v9, v28
	ds_bpermute_b32 v9, v9, v27
	;; [unrolled: 1-line block ×4, first 2 shown]
	s_waitcnt lgkmcnt(4)
	v_add_f32_e32 v6, v29, v6
	s_waitcnt lgkmcnt(3)
	v_add_f32_e32 v11, v28, v3
	;; [unrolled: 2-line block ×3, first 2 shown]
	ds_bpermute_b32 v10, v13, v6
	ds_bpermute_b32 v12, v13, v11
	;; [unrolled: 1-line block ×3, first 2 shown]
	s_waitcnt lgkmcnt(4)
	v_add_f32_e32 v3, v4, v5
	s_waitcnt lgkmcnt(3)
	v_add_f32_e32 v4, v7, v8
	v_and_b32_e32 v8, 0x3c3, v14
	s_waitcnt lgkmcnt(2)
	v_add_f32_e32 v5, v6, v10
	s_waitcnt lgkmcnt(1)
	v_add_f32_e32 v6, v11, v12
	;; [unrolled: 2-line block ×3, first 2 shown]
	v_cmp_eq_u32_e32 vcc, 64, v8
	s_barrier
	s_and_saveexec_b64 s[0:1], vcc
	s_cbranch_execz .LBB195_433
; %bb.432:
	v_add_u32_e32 v9, 0x210, v16
	ds_write2_b32 v9, v0, v1 offset1:16
	ds_write2_b32 v9, v2, v3 offset0:32 offset1:48
	ds_write2_b32 v9, v4, v5 offset0:64 offset1:80
	;; [unrolled: 1-line block ×3, first 2 shown]
.LBB195_433:
	s_or_b64 exec, exec, s[0:1]
	v_cmp_gt_u32_e32 vcc, 64, v14
	s_waitcnt lgkmcnt(0)
	s_barrier
	s_and_saveexec_b64 s[0:1], vcc
	s_cbranch_execz .LBB195_444
; %bb.434:
	buffer_load_dword v10, off, s[44:47], 0 offset:92 ; 4-byte Folded Reload
	v_mov_b32_e32 v9, 0x210
	v_cmp_eq_u32_e32 vcc, 0, v15
	s_waitcnt vmcnt(0)
	v_lshl_add_u32 v9, v10, 2, v9
	s_and_saveexec_b64 s[2:3], vcc
	s_cbranch_execnz .LBB195_447
; %bb.435:
	s_or_b64 exec, exec, s[2:3]
	s_and_saveexec_b64 s[2:3], vcc
	s_cbranch_execnz .LBB195_448
.LBB195_436:
	s_or_b64 exec, exec, s[2:3]
	s_and_saveexec_b64 s[2:3], vcc
	s_cbranch_execnz .LBB195_449
.LBB195_437:
	s_or_b64 exec, exec, s[2:3]
	s_and_saveexec_b64 s[2:3], vcc
	s_cbranch_execnz .LBB195_450
.LBB195_438:
	s_or_b64 exec, exec, s[2:3]
	s_and_saveexec_b64 s[2:3], vcc
	s_cbranch_execnz .LBB195_451
.LBB195_439:
	s_or_b64 exec, exec, s[2:3]
	s_and_saveexec_b64 s[2:3], vcc
	s_cbranch_execnz .LBB195_452
.LBB195_440:
	s_or_b64 exec, exec, s[2:3]
	s_and_saveexec_b64 s[2:3], vcc
	s_cbranch_execnz .LBB195_453
.LBB195_441:
	s_or_b64 exec, exec, s[2:3]
	s_and_saveexec_b64 s[2:3], vcc
	s_cbranch_execz .LBB195_443
.LBB195_442:
	ds_read_b32 v9, v9 offset:448
	s_waitcnt lgkmcnt(0)
	v_add_f32_e32 v7, v7, v9
.LBB195_443:
	s_or_b64 exec, exec, s[2:3]
.LBB195_444:
	s_or_b64 exec, exec, s[0:1]
	v_cmp_eq_u32_e32 vcc, 0, v8
	s_barrier
	s_and_saveexec_b64 s[0:1], vcc
	s_cbranch_execz .LBB195_446
; %bb.445:
	buffer_load_dword v8, off, s[44:47], 0 offset:88 ; 4-byte Folded Reload
	s_mul_i32 s0, s10, s11
	s_mul_i32 s0, s0, s9
	s_lshl_b32 s0, s0, 7
	s_ashr_i32 s1, s0, 31
	s_lshl_b64 s[0:1], s[0:1], 2
	s_add_u32 s2, s22, s0
	s_mul_i32 s0, s11, s20
	s_addc_u32 s3, s23, s1
	s_ashr_i32 s1, s0, 31
	s_lshl_b64 s[0:1], s[0:1], 2
	s_add_u32 s2, s2, s0
	s_addc_u32 s3, s3, s1
	s_lshl_b32 s0, s8, 7
	s_ashr_i32 s1, s0, 31
	s_lshl_b64 s[0:1], s[0:1], 2
	s_add_u32 s0, s2, s0
	s_addc_u32 s1, s3, s1
	s_waitcnt vmcnt(0)
	global_store_dword v8, v0, s[0:1]
	global_store_dword v8, v1, s[0:1] offset:64
	global_store_dword v8, v2, s[0:1] offset:128
	;; [unrolled: 1-line block ×7, first 2 shown]
.LBB195_446:
	s_endpgm
.LBB195_447:
	ds_read_b32 v10, v9
	s_waitcnt lgkmcnt(0)
	v_add_f32_e32 v0, v0, v10
	s_or_b64 exec, exec, s[2:3]
	s_and_saveexec_b64 s[2:3], vcc
	s_cbranch_execz .LBB195_436
.LBB195_448:
	ds_read_b32 v10, v9 offset:64
	s_waitcnt lgkmcnt(0)
	v_add_f32_e32 v1, v1, v10
	s_or_b64 exec, exec, s[2:3]
	s_and_saveexec_b64 s[2:3], vcc
	s_cbranch_execz .LBB195_437
.LBB195_449:
	ds_read_b32 v10, v9 offset:128
	s_waitcnt lgkmcnt(0)
	v_add_f32_e32 v2, v2, v10
	s_or_b64 exec, exec, s[2:3]
	s_and_saveexec_b64 s[2:3], vcc
	s_cbranch_execz .LBB195_438
.LBB195_450:
	ds_read_b32 v10, v9 offset:192
	s_waitcnt lgkmcnt(0)
	v_add_f32_e32 v3, v3, v10
	s_or_b64 exec, exec, s[2:3]
	s_and_saveexec_b64 s[2:3], vcc
	s_cbranch_execz .LBB195_439
.LBB195_451:
	ds_read_b32 v10, v9 offset:256
	s_waitcnt lgkmcnt(0)
	v_add_f32_e32 v4, v4, v10
	s_or_b64 exec, exec, s[2:3]
	s_and_saveexec_b64 s[2:3], vcc
	s_cbranch_execz .LBB195_440
.LBB195_452:
	ds_read_b32 v10, v9 offset:320
	s_waitcnt lgkmcnt(0)
	v_add_f32_e32 v5, v5, v10
	s_or_b64 exec, exec, s[2:3]
	s_and_saveexec_b64 s[2:3], vcc
	s_cbranch_execz .LBB195_441
.LBB195_453:
	ds_read_b32 v10, v9 offset:384
	s_waitcnt lgkmcnt(0)
	v_add_f32_e32 v6, v6, v10
	s_or_b64 exec, exec, s[2:3]
	s_and_saveexec_b64 s[2:3], vcc
	s_cbranch_execnz .LBB195_442
	s_branch .LBB195_443
	.section	.rodata,"a",@progbits
	.p2align	6, 0x0
	.amdhsa_kernel _ZN4vllm25paged_attention_v1_kernelIfhLi128ELi16ELi128ELNS_18Fp8KVCacheDataTypeE1ELb0EEEvPT_PKS2_PKT0_S8_ifPKiSA_iPKfiiiSC_SC_iiiii
		.amdhsa_group_segment_fixed_size 528
		.amdhsa_private_segment_fixed_size 116
		.amdhsa_kernarg_size 384
		.amdhsa_user_sgpr_count 6
		.amdhsa_user_sgpr_private_segment_buffer 1
		.amdhsa_user_sgpr_dispatch_ptr 0
		.amdhsa_user_sgpr_queue_ptr 0
		.amdhsa_user_sgpr_kernarg_segment_ptr 1
		.amdhsa_user_sgpr_dispatch_id 0
		.amdhsa_user_sgpr_flat_scratch_init 0
		.amdhsa_user_sgpr_private_segment_size 0
		.amdhsa_uses_dynamic_stack 0
		.amdhsa_system_sgpr_private_segment_wavefront_offset 1
		.amdhsa_system_sgpr_workgroup_id_x 1
		.amdhsa_system_sgpr_workgroup_id_y 1
		.amdhsa_system_sgpr_workgroup_id_z 1
		.amdhsa_system_sgpr_workgroup_info 0
		.amdhsa_system_vgpr_workitem_id 0
		.amdhsa_next_free_vgpr 64
		.amdhsa_next_free_sgpr 48
		.amdhsa_reserve_vcc 1
		.amdhsa_reserve_flat_scratch 0
		.amdhsa_float_round_mode_32 0
		.amdhsa_float_round_mode_16_64 0
		.amdhsa_float_denorm_mode_32 3
		.amdhsa_float_denorm_mode_16_64 3
		.amdhsa_dx10_clamp 1
		.amdhsa_ieee_mode 1
		.amdhsa_fp16_overflow 0
		.amdhsa_exception_fp_ieee_invalid_op 0
		.amdhsa_exception_fp_denorm_src 0
		.amdhsa_exception_fp_ieee_div_zero 0
		.amdhsa_exception_fp_ieee_overflow 0
		.amdhsa_exception_fp_ieee_underflow 0
		.amdhsa_exception_fp_ieee_inexact 0
		.amdhsa_exception_int_div_zero 0
	.end_amdhsa_kernel
	.section	.text._ZN4vllm25paged_attention_v1_kernelIfhLi128ELi16ELi128ELNS_18Fp8KVCacheDataTypeE1ELb0EEEvPT_PKS2_PKT0_S8_ifPKiSA_iPKfiiiSC_SC_iiiii,"axG",@progbits,_ZN4vllm25paged_attention_v1_kernelIfhLi128ELi16ELi128ELNS_18Fp8KVCacheDataTypeE1ELb0EEEvPT_PKS2_PKT0_S8_ifPKiSA_iPKfiiiSC_SC_iiiii,comdat
.Lfunc_end195:
	.size	_ZN4vllm25paged_attention_v1_kernelIfhLi128ELi16ELi128ELNS_18Fp8KVCacheDataTypeE1ELb0EEEvPT_PKS2_PKT0_S8_ifPKiSA_iPKfiiiSC_SC_iiiii, .Lfunc_end195-_ZN4vllm25paged_attention_v1_kernelIfhLi128ELi16ELi128ELNS_18Fp8KVCacheDataTypeE1ELb0EEEvPT_PKS2_PKT0_S8_ifPKiSA_iPKfiiiSC_SC_iiiii
                                        ; -- End function
	.set _ZN4vllm25paged_attention_v1_kernelIfhLi128ELi16ELi128ELNS_18Fp8KVCacheDataTypeE1ELb0EEEvPT_PKS2_PKT0_S8_ifPKiSA_iPKfiiiSC_SC_iiiii.num_vgpr, 64
	.set _ZN4vllm25paged_attention_v1_kernelIfhLi128ELi16ELi128ELNS_18Fp8KVCacheDataTypeE1ELb0EEEvPT_PKS2_PKT0_S8_ifPKiSA_iPKfiiiSC_SC_iiiii.num_agpr, 0
	.set _ZN4vllm25paged_attention_v1_kernelIfhLi128ELi16ELi128ELNS_18Fp8KVCacheDataTypeE1ELb0EEEvPT_PKS2_PKT0_S8_ifPKiSA_iPKfiiiSC_SC_iiiii.numbered_sgpr, 48
	.set _ZN4vllm25paged_attention_v1_kernelIfhLi128ELi16ELi128ELNS_18Fp8KVCacheDataTypeE1ELb0EEEvPT_PKS2_PKT0_S8_ifPKiSA_iPKfiiiSC_SC_iiiii.num_named_barrier, 0
	.set _ZN4vllm25paged_attention_v1_kernelIfhLi128ELi16ELi128ELNS_18Fp8KVCacheDataTypeE1ELb0EEEvPT_PKS2_PKT0_S8_ifPKiSA_iPKfiiiSC_SC_iiiii.private_seg_size, 116
	.set _ZN4vllm25paged_attention_v1_kernelIfhLi128ELi16ELi128ELNS_18Fp8KVCacheDataTypeE1ELb0EEEvPT_PKS2_PKT0_S8_ifPKiSA_iPKfiiiSC_SC_iiiii.uses_vcc, 1
	.set _ZN4vllm25paged_attention_v1_kernelIfhLi128ELi16ELi128ELNS_18Fp8KVCacheDataTypeE1ELb0EEEvPT_PKS2_PKT0_S8_ifPKiSA_iPKfiiiSC_SC_iiiii.uses_flat_scratch, 0
	.set _ZN4vllm25paged_attention_v1_kernelIfhLi128ELi16ELi128ELNS_18Fp8KVCacheDataTypeE1ELb0EEEvPT_PKS2_PKT0_S8_ifPKiSA_iPKfiiiSC_SC_iiiii.has_dyn_sized_stack, 0
	.set _ZN4vllm25paged_attention_v1_kernelIfhLi128ELi16ELi128ELNS_18Fp8KVCacheDataTypeE1ELb0EEEvPT_PKS2_PKT0_S8_ifPKiSA_iPKfiiiSC_SC_iiiii.has_recursion, 0
	.set _ZN4vllm25paged_attention_v1_kernelIfhLi128ELi16ELi128ELNS_18Fp8KVCacheDataTypeE1ELb0EEEvPT_PKS2_PKT0_S8_ifPKiSA_iPKfiiiSC_SC_iiiii.has_indirect_call, 0
	.section	.AMDGPU.csdata,"",@progbits
; Kernel info:
; codeLenInByte = 17908
; TotalNumSgprs: 52
; NumVgprs: 64
; ScratchSize: 116
; MemoryBound: 0
; FloatMode: 240
; IeeeMode: 1
; LDSByteSize: 528 bytes/workgroup (compile time only)
; SGPRBlocks: 6
; VGPRBlocks: 15
; NumSGPRsForWavesPerEU: 52
; NumVGPRsForWavesPerEU: 64
; Occupancy: 4
; WaveLimiterHint : 1
; COMPUTE_PGM_RSRC2:SCRATCH_EN: 1
; COMPUTE_PGM_RSRC2:USER_SGPR: 6
; COMPUTE_PGM_RSRC2:TRAP_HANDLER: 0
; COMPUTE_PGM_RSRC2:TGID_X_EN: 1
; COMPUTE_PGM_RSRC2:TGID_Y_EN: 1
; COMPUTE_PGM_RSRC2:TGID_Z_EN: 1
; COMPUTE_PGM_RSRC2:TIDIG_COMP_CNT: 0
	.section	.text._ZN4vllm25paged_attention_v1_kernelIfhLi192ELi16ELi128ELNS_18Fp8KVCacheDataTypeE1ELb0EEEvPT_PKS2_PKT0_S8_ifPKiSA_iPKfiiiSC_SC_iiiii,"axG",@progbits,_ZN4vllm25paged_attention_v1_kernelIfhLi192ELi16ELi128ELNS_18Fp8KVCacheDataTypeE1ELb0EEEvPT_PKS2_PKT0_S8_ifPKiSA_iPKfiiiSC_SC_iiiii,comdat
	.protected	_ZN4vllm25paged_attention_v1_kernelIfhLi192ELi16ELi128ELNS_18Fp8KVCacheDataTypeE1ELb0EEEvPT_PKS2_PKT0_S8_ifPKiSA_iPKfiiiSC_SC_iiiii ; -- Begin function _ZN4vllm25paged_attention_v1_kernelIfhLi192ELi16ELi128ELNS_18Fp8KVCacheDataTypeE1ELb0EEEvPT_PKS2_PKT0_S8_ifPKiSA_iPKfiiiSC_SC_iiiii
	.globl	_ZN4vllm25paged_attention_v1_kernelIfhLi192ELi16ELi128ELNS_18Fp8KVCacheDataTypeE1ELb0EEEvPT_PKS2_PKT0_S8_ifPKiSA_iPKfiiiSC_SC_iiiii
	.p2align	8
	.type	_ZN4vllm25paged_attention_v1_kernelIfhLi192ELi16ELi128ELNS_18Fp8KVCacheDataTypeE1ELb0EEEvPT_PKS2_PKT0_S8_ifPKiSA_iPKfiiiSC_SC_iiiii,@function
_ZN4vllm25paged_attention_v1_kernelIfhLi192ELi16ELi128ELNS_18Fp8KVCacheDataTypeE1ELb0EEEvPT_PKS2_PKT0_S8_ifPKiSA_iPKfiiiSC_SC_iiiii: ; @_ZN4vllm25paged_attention_v1_kernelIfhLi192ELi16ELi128ELNS_18Fp8KVCacheDataTypeE1ELb0EEEvPT_PKS2_PKT0_S8_ifPKiSA_iPKfiiiSC_SC_iiiii
; %bb.0:
	s_mov_b64 s[46:47], s[2:3]
	s_mov_b64 s[44:45], s[0:1]
	s_add_u32 s44, s44, s9
	s_load_dword s9, s[4:5], 0x80
	s_load_dwordx2 s[0:1], s[4:5], 0x30
	s_load_dwordx2 s[30:31], s[4:5], 0x20
	s_addc_u32 s45, s45, 0
	s_mov_b32 s10, s7
	s_ashr_i32 s11, s7, 31
	s_lshl_b64 s[2:3], s[10:11], 2
	s_waitcnt lgkmcnt(0)
	s_add_u32 s0, s0, s2
	s_addc_u32 s1, s1, s3
	s_abs_i32 s2, s30
	v_mov_b32_e32 v16, v0
	v_cvt_f32_u32_e32 v0, s2
	s_sub_i32 s11, 0, s2
	s_abs_i32 s7, s9
	s_xor_b32 s3, s9, s30
	v_rcp_iflag_f32_e32 v0, v0
	s_ashr_i32 s3, s3, 31
	s_mov_b32 s33, 0
	v_mul_f32_e32 v0, 0x4f7ffffe, v0
	v_cvt_u32_f32_e32 v0, v0
	v_readfirstlane_b32 s12, v0
	s_mul_i32 s11, s11, s12
	s_mul_hi_u32 s11, s12, s11
	s_add_i32 s12, s12, s11
	s_mul_hi_u32 s11, s7, s12
	s_mul_i32 s12, s11, s2
	s_sub_i32 s7, s7, s12
	s_add_i32 s12, s11, 1
	s_sub_i32 s13, s7, s2
	s_cmp_ge_u32 s7, s2
	s_cselect_b32 s11, s12, s11
	s_cselect_b32 s7, s13, s7
	s_add_i32 s12, s11, 1
	s_cmp_ge_u32 s7, s2
	s_cselect_b32 s2, s12, s11
	s_xor_b32 s2, s2, s3
	s_sub_i32 s11, s2, s3
	s_abs_i32 s16, s11
	v_cvt_f32_u32_e32 v0, s16
	s_load_dwordx2 s[2:3], s[4:5], 0x40
	s_sub_i32 s7, 0, s16
	s_abs_i32 s17, s6
	v_rcp_iflag_f32_e32 v0, v0
	v_mul_f32_e32 v0, 0x4f7ffffe, v0
	v_cvt_u32_f32_e32 v0, v0
	v_readfirstlane_b32 s12, v0
	s_mul_i32 s7, s7, s12
	s_mul_hi_u32 s7, s12, s7
	s_add_i32 s12, s12, s7
	s_waitcnt lgkmcnt(0)
	s_cmp_eq_u64 s[2:3], 0
	s_mul_hi_u32 s18, s17, s12
	s_cbranch_scc1 .LBB196_2
; %bb.1:
	s_ashr_i32 s7, s6, 31
	s_lshl_b64 s[12:13], s[6:7], 2
	s_add_u32 s2, s2, s12
	s_addc_u32 s3, s3, s13
	s_load_dword s33, s[2:3], 0x0
.LBB196_2:
	s_load_dword s30, s[0:1], 0x0
	s_ashr_i32 s19, s11, 31
	s_load_dword s11, s[4:5], 0x88
	s_load_dwordx4 s[12:15], s[4:5], 0x48
	v_lshrrev_b32_e32 v15, 2, v16
	s_waitcnt lgkmcnt(0)
	s_movk_i32 s15, 0xc0
	s_ashr_i32 s7, s6, 31
	v_and_b32_e32 v18, 3, v16
	s_mul_i32 s20, s6, 0xc0
	v_cmp_gt_u32_e32 vcc, s15, v16
	v_lshlrev_b32_e32 v11, 2, v16
	v_lshlrev_b32_e32 v0, 2, v15
	buffer_store_dword v0, off, s[44:47], 0 offset:204 ; 4-byte Folded Spill
	s_and_saveexec_b64 s[0:1], vcc
	s_cbranch_execz .LBB196_5
; %bb.3:
	s_load_dwordx2 s[2:3], s[4:5], 0x8
	s_mul_i32 s22, s12, s10
	s_ashr_i32 s23, s22, 31
	s_lshl_b64 s[22:23], s[22:23], 2
	v_lshlrev_b32_e32 v0, 2, v15
	s_waitcnt lgkmcnt(0)
	s_add_u32 s6, s2, s22
	s_addc_u32 s12, s3, s23
	s_ashr_i32 s21, s20, 31
	s_lshl_b64 s[2:3], s[20:21], 2
	s_add_u32 s2, s6, s2
	s_addc_u32 s3, s12, s3
	global_load_dword v1, v11, s[2:3]
	v_mad_u32_u24 v0, v18, s15, v0
	v_cmp_gt_u32_e32 vcc, 64, v16
	s_waitcnt vmcnt(0)
	ds_write_b32 v0, v1
	s_and_b64 exec, exec, vcc
	s_cbranch_execz .LBB196_5
; %bb.4:
	v_lshlrev_b32_e32 v1, 4, v15
	v_lshlrev_b32_e32 v2, 2, v18
	s_movk_i32 s6, 0x200
	v_or3_b32 v1, v1, v2, s6
	global_load_dword v1, v1, s[2:3]
	s_waitcnt vmcnt(0)
	ds_write_b32 v0, v1 offset:128
.LBB196_5:
	s_or_b64 exec, exec, s[0:1]
	s_add_i32 s1, s30, 15
	s_ashr_i32 s2, s1, 31
	s_lshr_b32 s2, s2, 28
	s_add_i32 s1, s1, s2
	s_mul_i32 s2, s18, s16
	s_sub_i32 s2, s17, s2
	s_ashr_i32 s21, s1, 4
	s_xor_b32 s1, s7, s19
	s_add_i32 s3, s18, 1
	s_sub_i32 s6, s2, s16
	s_load_dwordx2 s[24:25], s[4:5], 0x28
	s_load_dword s0, s[4:5], 0x38
	s_cmp_ge_u32 s2, s16
	s_cselect_b32 s3, s3, s18
	s_cselect_b32 s2, s6, s2
	s_add_i32 s6, s3, 1
	s_cmp_ge_u32 s2, s16
	s_cselect_b32 s2, s6, s3
	v_lshrrev_b32_e32 v61, 6, v16
	s_xor_b32 s2, s2, s1
	s_waitcnt lgkmcnt(0)
	s_mul_i32 s26, s0, s10
	s_sub_i32 s12, s2, s1
	s_ashr_i32 s27, s26, 31
	v_cmp_gt_i32_e64 s[0:1], s21, v61
	v_cmp_le_i32_e32 vcc, s21, v61
	v_mbcnt_lo_u32_b32 v0, -1, 0
	s_waitcnt vmcnt(0)
	s_barrier
                                        ; implicit-def: $vgpr14
                                        ; implicit-def: $vgpr8
                                        ; implicit-def: $vgpr13
	s_and_saveexec_b64 s[2:3], vcc
	s_xor_b64 s[2:3], exec, s[2:3]
; %bb.6:
	v_mbcnt_hi_u32_b32 v14, -1, v0
	v_and_b32_e32 v8, 64, v14
	v_add_u32_e32 v13, 64, v8
                                        ; implicit-def: $vgpr0
; %bb.7:
	s_or_saveexec_b64 s[6:7], s[2:3]
	s_load_dwordx2 s[22:23], s[4:5], 0x0
	s_load_dwordx2 s[28:29], s[4:5], 0x18
	s_load_dwordx4 s[16:19], s[4:5], 0x58
	v_mov_b32_e32 v36, 0xff7fffff
	s_mul_i32 s12, s12, s14
	v_lshrrev_b32_e32 v12, 4, v16
	buffer_store_dword v16, off, s[44:47], 0 offset:200 ; 4-byte Folded Spill
	s_xor_b64 exec, exec, s[6:7]
	s_cbranch_execz .LBB196_301
; %bb.8:
	v_mul_u32_u24_e32 v4, 0xc0, v18
	ds_read_b128 v[5:8], v4
	s_load_dwordx2 s[2:3], s[4:5], 0x10
	s_ashr_i32 s4, s12, 31
	v_bfe_u32 v1, v16, 2, 4
	v_lshlrev_b32_e32 v2, 4, v1
	s_waitcnt lgkmcnt(0)
	buffer_store_dword v5, off, s[44:47], 0 offset:36 ; 4-byte Folded Spill
	s_nop 0
	buffer_store_dword v6, off, s[44:47], 0 offset:40 ; 4-byte Folded Spill
	buffer_store_dword v7, off, s[44:47], 0 offset:44 ; 4-byte Folded Spill
	;; [unrolled: 1-line block ×3, first 2 shown]
	ds_read_b128 v[5:8], v4 offset:16
	s_add_u32 s2, s2, s12
	s_addc_u32 s3, s3, s4
	v_add_co_u32_e32 v2, vcc, s2, v2
	s_waitcnt lgkmcnt(0)
	buffer_store_dword v5, off, s[44:47], 0 offset:52 ; 4-byte Folded Spill
	s_nop 0
	buffer_store_dword v6, off, s[44:47], 0 offset:56 ; 4-byte Folded Spill
	buffer_store_dword v7, off, s[44:47], 0 offset:60 ; 4-byte Folded Spill
	buffer_store_dword v8, off, s[44:47], 0 offset:64 ; 4-byte Folded Spill
	ds_read_b128 v[5:8], v4 offset:32
	v_mov_b32_e32 v3, s3
	v_addc_co_u32_e32 v3, vcc, 0, v3, vcc
	v_add_co_u32_e64 v2, s[4:5], v2, v18
	s_waitcnt lgkmcnt(0)
	buffer_store_dword v5, off, s[44:47], 0 offset:68 ; 4-byte Folded Spill
	s_nop 0
	buffer_store_dword v6, off, s[44:47], 0 offset:72 ; 4-byte Folded Spill
	buffer_store_dword v7, off, s[44:47], 0 offset:76 ; 4-byte Folded Spill
	;; [unrolled: 1-line block ×3, first 2 shown]
	ds_read_b128 v[5:8], v4 offset:48
	v_addc_co_u32_e64 v3, s[4:5], 0, v3, s[4:5]
	s_sub_i32 s40, 1, s30
	s_waitcnt lgkmcnt(0)
	buffer_store_dword v5, off, s[44:47], 0 offset:84 ; 4-byte Folded Spill
	s_nop 0
	buffer_store_dword v6, off, s[44:47], 0 offset:88 ; 4-byte Folded Spill
	buffer_store_dword v7, off, s[44:47], 0 offset:92 ; 4-byte Folded Spill
	;; [unrolled: 1-line block ×3, first 2 shown]
	ds_read_b128 v[5:8], v4 offset:64
	v_mov_b32_e32 v59, v61
	s_lshl_b64 s[4:5], s[26:27], 2
	s_add_u32 s4, s24, s4
	s_waitcnt lgkmcnt(0)
	buffer_store_dword v5, off, s[44:47], 0 offset:100 ; 4-byte Folded Spill
	s_nop 0
	buffer_store_dword v6, off, s[44:47], 0 offset:104 ; 4-byte Folded Spill
	buffer_store_dword v7, off, s[44:47], 0 offset:108 ; 4-byte Folded Spill
	;; [unrolled: 1-line block ×3, first 2 shown]
	ds_read_b128 v[5:8], v4 offset:80
	s_addc_u32 s14, s25, s5
	s_mov_b32 s38, s13
	v_cmp_neq_f32_e64 s[2:3], s33, 0
	s_waitcnt lgkmcnt(0)
	buffer_store_dword v5, off, s[44:47], 0 offset:116 ; 4-byte Folded Spill
	s_nop 0
	buffer_store_dword v6, off, s[44:47], 0 offset:120 ; 4-byte Folded Spill
	buffer_store_dword v7, off, s[44:47], 0 offset:124 ; 4-byte Folded Spill
	;; [unrolled: 1-line block ×3, first 2 shown]
	ds_read_b128 v[5:8], v4 offset:96
	v_lshl_or_b32 v61, v59, 4, v1
	s_movk_i32 s41, 0x80
	s_movk_i32 s42, 0x7f
	s_waitcnt lgkmcnt(0)
	buffer_store_dword v5, off, s[44:47], 0 offset:132 ; 4-byte Folded Spill
	s_nop 0
	buffer_store_dword v6, off, s[44:47], 0 offset:136 ; 4-byte Folded Spill
	buffer_store_dword v7, off, s[44:47], 0 offset:140 ; 4-byte Folded Spill
	buffer_store_dword v8, off, s[44:47], 0 offset:144 ; 4-byte Folded Spill
	ds_read_b128 v[5:8], v4 offset:112
	s_waitcnt lgkmcnt(0)
	buffer_store_dword v5, off, s[44:47], 0 offset:148 ; 4-byte Folded Spill
	s_nop 0
	buffer_store_dword v6, off, s[44:47], 0 offset:152 ; 4-byte Folded Spill
	buffer_store_dword v7, off, s[44:47], 0 offset:156 ; 4-byte Folded Spill
	buffer_store_dword v8, off, s[44:47], 0 offset:160 ; 4-byte Folded Spill
	ds_read_b128 v[5:8], v4 offset:128
	;; [unrolled: 7-line block ×3, first 2 shown]
	ds_read_b128 v[41:44], v4 offset:160
	ds_read_b128 v[45:48], v4 offset:176
	v_mbcnt_hi_u32_b32 v4, -1, v0
	v_and_b32_e32 v0, 64, v4
	buffer_store_dword v0, off, s[44:47], 0 offset:212 ; 4-byte Folded Spill
	v_add_u32_e32 v5, 64, v0
	v_xor_b32_e32 v0, 2, v4
	v_cmp_lt_i32_e32 vcc, v0, v5
	v_cndmask_b32_e32 v0, v4, v0, vcc
	v_lshlrev_b32_e32 v0, 2, v0
	buffer_store_dword v0, off, s[44:47], 0 offset:180 ; 4-byte Folded Spill
	v_xor_b32_e32 v0, 1, v4
	v_cmp_lt_i32_e32 vcc, v0, v5
	v_cndmask_b32_e32 v0, v4, v0, vcc
	v_lshlrev_b32_e32 v0, 2, v0
	buffer_store_dword v0, off, s[44:47], 0 offset:188 ; 4-byte Folded Spill
	s_load_dword s39, s[16:17], 0x0
	v_lshlrev_b32_e32 v0, 2, v1
	v_lshl_or_b32 v0, v59, 6, v0
	v_add_u32_e32 v56, 0x310, v0
	v_and_b32_e32 v0, 60, v12
	v_add_co_u32_e64 v51, s[4:5], s4, v0
	v_mov_b32_e32 v0, s14
	v_cmp_eq_u32_e32 vcc, 0, v18
	v_addc_co_u32_e64 v52, s[4:5], 0, v0, s[4:5]
	v_mov_b32_e32 v0, 0xff7fffff
	s_mov_b64 s[14:15], 0
	buffer_store_dword v4, off, s[44:47], 0 offset:208 ; 4-byte Folded Spill
	buffer_store_dword v2, off, s[44:47], 0 offset:192 ; 4-byte Folded Spill
	s_nop 0
	buffer_store_dword v3, off, s[44:47], 0 offset:196 ; 4-byte Folded Spill
	buffer_store_dword v0, off, s[44:47], 0 offset:32 ; 4-byte Folded Spill
	s_branch .LBB196_10
.LBB196_9:                              ;   in Loop: Header=BB196_10 Depth=1
	s_or_b64 exec, exec, s[16:17]
	v_add_u32_e32 v59, 2, v59
	v_cmp_le_i32_e64 s[4:5], s21, v59
	s_or_b64 s[14:15], s[4:5], s[14:15]
	v_add_co_u32_e64 v51, s[4:5], 8, v51
	v_add_u32_e32 v61, 32, v61
	v_add_u32_e32 v56, 0x80, v56
	v_addc_co_u32_e64 v52, s[4:5], 0, v52, s[4:5]
	s_andn2_b64 exec, exec, s[14:15]
	s_cbranch_execz .LBB196_300
.LBB196_10:                             ; =>This Inner Loop Header: Depth=1
	global_load_dword v0, v[51:52], off
	s_waitcnt lgkmcnt(0)
	buffer_load_dword v1, off, s[44:47], 0 offset:192 ; 4-byte Folded Reload
	buffer_load_dword v2, off, s[44:47], 0 offset:196 ; 4-byte Folded Reload
	s_waitcnt vmcnt(0)
	v_mad_i64_i32 v[53:54], s[4:5], v0, s38, v[1:2]
	v_mov_b32_e32 v1, 0
	buffer_store_dword v1, off, s[44:47], 0 ; 4-byte Folded Spill
	global_load_ubyte v0, v[53:54], off
	s_waitcnt vmcnt(0)
	v_cmp_ne_u16_e64 s[4:5], 0, v0
	s_and_saveexec_b64 s[16:17], s[4:5]
	s_cbranch_execz .LBB196_16
; %bb.11:                               ;   in Loop: Header=BB196_10 Depth=1
	v_cmp_ne_u16_e64 s[4:5], s41, v0
	v_bfrev_b32_e32 v1, 1
	buffer_store_dword v1, off, s[44:47], 0 ; 4-byte Folded Spill
	s_and_saveexec_b64 s[34:35], s[4:5]
	s_cbranch_execz .LBB196_15
; %bb.12:                               ;   in Loop: Header=BB196_10 Depth=1
	v_and_b32_e32 v55, 0xffff, v0
	v_and_b32_e32 v1, 0x7f, v55
	v_cmp_ne_u32_e64 s[4:5], s42, v1
	v_mov_b32_e32 v2, 0x7f800001
	buffer_store_dword v2, off, s[44:47], 0 ; 4-byte Folded Spill
	s_and_saveexec_b64 s[36:37], s[4:5]
	s_cbranch_execz .LBB196_14
; %bb.13:                               ;   in Loop: Header=BB196_10 Depth=1
	v_and_b32_e32 v3, 7, v55
	v_lshrrev_b32_e32 v4, 3, v1
	v_cmp_gt_u32_e64 s[4:5], 8, v1
	v_ffbh_u32_e32 v1, v3
	v_min_u32_e32 v5, 32, v1
	v_subrev_u32_e32 v1, 28, v5
	v_lshlrev_b64 v[1:2], v1, v[55:56]
	v_sub_u32_e32 v2, 29, v5
	v_and_b32_e32 v1, 7, v1
	v_cndmask_b32_e64 v2, v4, v2, s[4:5]
	v_cndmask_b32_e64 v1, v3, v1, s[4:5]
	v_lshlrev_b32_e32 v0, 24, v0
	v_bfrev_b32_e32 v3, 60
	v_lshlrev_b32_e32 v1, 20, v1
	v_and_b32_e32 v0, 0x80000000, v0
	v_lshl_add_u32 v2, v2, 23, v3
	v_or3_b32 v0, v0, v2, v1
	buffer_store_dword v0, off, s[44:47], 0 ; 4-byte Folded Spill
.LBB196_14:                             ;   in Loop: Header=BB196_10 Depth=1
	s_or_b64 exec, exec, s[36:37]
.LBB196_15:                             ;   in Loop: Header=BB196_10 Depth=1
	s_or_b64 exec, exec, s[34:35]
.LBB196_16:                             ;   in Loop: Header=BB196_10 Depth=1
	s_or_b64 exec, exec, s[16:17]
	global_load_ubyte v0, v[53:54], off offset:4
	v_mov_b32_e32 v32, 0
	v_mov_b32_e32 v1, 0
	buffer_store_dword v1, off, s[44:47], 0 offset:4 ; 4-byte Folded Spill
	s_waitcnt vmcnt(1)
	v_cmp_ne_u16_e64 s[4:5], 0, v0
	s_and_saveexec_b64 s[16:17], s[4:5]
	s_cbranch_execz .LBB196_22
; %bb.17:                               ;   in Loop: Header=BB196_10 Depth=1
	v_cmp_ne_u16_e64 s[4:5], s41, v0
	v_bfrev_b32_e32 v1, 1
	buffer_store_dword v1, off, s[44:47], 0 offset:4 ; 4-byte Folded Spill
	s_and_saveexec_b64 s[34:35], s[4:5]
	s_cbranch_execz .LBB196_21
; %bb.18:                               ;   in Loop: Header=BB196_10 Depth=1
	v_and_b32_e32 v55, 0xffff, v0
	v_and_b32_e32 v1, 0x7f, v55
	v_cmp_ne_u32_e64 s[4:5], s42, v1
	v_mov_b32_e32 v2, 0x7f800001
	buffer_store_dword v2, off, s[44:47], 0 offset:4 ; 4-byte Folded Spill
	s_and_saveexec_b64 s[36:37], s[4:5]
	s_cbranch_execz .LBB196_20
; %bb.19:                               ;   in Loop: Header=BB196_10 Depth=1
	v_and_b32_e32 v3, 7, v55
	v_lshrrev_b32_e32 v4, 3, v1
	v_cmp_gt_u32_e64 s[4:5], 8, v1
	v_ffbh_u32_e32 v1, v3
	v_min_u32_e32 v5, 32, v1
	v_subrev_u32_e32 v1, 28, v5
	v_lshlrev_b64 v[1:2], v1, v[55:56]
	v_sub_u32_e32 v2, 29, v5
	v_and_b32_e32 v1, 7, v1
	v_cndmask_b32_e64 v2, v4, v2, s[4:5]
	v_cndmask_b32_e64 v1, v3, v1, s[4:5]
	v_lshlrev_b32_e32 v0, 24, v0
	v_bfrev_b32_e32 v3, 60
	v_lshlrev_b32_e32 v1, 20, v1
	v_and_b32_e32 v0, 0x80000000, v0
	v_lshl_add_u32 v2, v2, 23, v3
	v_or3_b32 v0, v0, v2, v1
	buffer_store_dword v0, off, s[44:47], 0 offset:4 ; 4-byte Folded Spill
.LBB196_20:                             ;   in Loop: Header=BB196_10 Depth=1
	s_or_b64 exec, exec, s[36:37]
.LBB196_21:                             ;   in Loop: Header=BB196_10 Depth=1
	s_or_b64 exec, exec, s[34:35]
.LBB196_22:                             ;   in Loop: Header=BB196_10 Depth=1
	s_or_b64 exec, exec, s[16:17]
	global_load_ubyte v0, v[53:54], off offset:8
	s_waitcnt vmcnt(0)
	v_cmp_ne_u16_e64 s[4:5], 0, v0
	s_and_saveexec_b64 s[16:17], s[4:5]
	s_cbranch_execz .LBB196_28
; %bb.23:                               ;   in Loop: Header=BB196_10 Depth=1
	v_cmp_ne_u16_e64 s[4:5], s41, v0
	v_bfrev_b32_e32 v32, 1
	s_and_saveexec_b64 s[34:35], s[4:5]
	s_cbranch_execz .LBB196_27
; %bb.24:                               ;   in Loop: Header=BB196_10 Depth=1
	v_and_b32_e32 v55, 0xffff, v0
	v_and_b32_e32 v1, 0x7f, v55
	v_cmp_ne_u32_e64 s[4:5], s42, v1
	v_mov_b32_e32 v32, 0x7f800001
	s_and_saveexec_b64 s[36:37], s[4:5]
	s_cbranch_execz .LBB196_26
; %bb.25:                               ;   in Loop: Header=BB196_10 Depth=1
	v_and_b32_e32 v3, 7, v55
	v_lshrrev_b32_e32 v4, 3, v1
	v_cmp_gt_u32_e64 s[4:5], 8, v1
	v_ffbh_u32_e32 v1, v3
	v_min_u32_e32 v5, 32, v1
	v_subrev_u32_e32 v1, 28, v5
	v_lshlrev_b64 v[1:2], v1, v[55:56]
	v_sub_u32_e32 v2, 29, v5
	v_and_b32_e32 v1, 7, v1
	v_cndmask_b32_e64 v2, v4, v2, s[4:5]
	v_cndmask_b32_e64 v1, v3, v1, s[4:5]
	v_lshlrev_b32_e32 v0, 24, v0
	v_bfrev_b32_e32 v3, 60
	v_lshlrev_b32_e32 v1, 20, v1
	v_and_b32_e32 v0, 0x80000000, v0
	v_lshl_add_u32 v2, v2, 23, v3
	v_or3_b32 v32, v0, v2, v1
.LBB196_26:                             ;   in Loop: Header=BB196_10 Depth=1
	s_or_b64 exec, exec, s[36:37]
.LBB196_27:                             ;   in Loop: Header=BB196_10 Depth=1
	s_or_b64 exec, exec, s[34:35]
.LBB196_28:                             ;   in Loop: Header=BB196_10 Depth=1
	s_or_b64 exec, exec, s[16:17]
	global_load_ubyte v0, v[53:54], off offset:12
	v_mov_b32_e32 v36, 0
	v_mov_b32_e32 v35, 0
	s_waitcnt vmcnt(0)
	v_cmp_ne_u16_e64 s[4:5], 0, v0
	s_and_saveexec_b64 s[16:17], s[4:5]
	s_cbranch_execz .LBB196_34
; %bb.29:                               ;   in Loop: Header=BB196_10 Depth=1
	v_cmp_ne_u16_e64 s[4:5], s41, v0
	v_bfrev_b32_e32 v35, 1
	s_and_saveexec_b64 s[34:35], s[4:5]
	s_cbranch_execz .LBB196_33
; %bb.30:                               ;   in Loop: Header=BB196_10 Depth=1
	v_and_b32_e32 v55, 0xffff, v0
	v_and_b32_e32 v1, 0x7f, v55
	v_cmp_ne_u32_e64 s[4:5], s42, v1
	v_mov_b32_e32 v35, 0x7f800001
	s_and_saveexec_b64 s[36:37], s[4:5]
	s_cbranch_execz .LBB196_32
; %bb.31:                               ;   in Loop: Header=BB196_10 Depth=1
	v_and_b32_e32 v3, 7, v55
	v_lshrrev_b32_e32 v4, 3, v1
	v_cmp_gt_u32_e64 s[4:5], 8, v1
	v_ffbh_u32_e32 v1, v3
	v_min_u32_e32 v5, 32, v1
	v_subrev_u32_e32 v1, 28, v5
	v_lshlrev_b64 v[1:2], v1, v[55:56]
	v_sub_u32_e32 v2, 29, v5
	v_and_b32_e32 v1, 7, v1
	v_cndmask_b32_e64 v2, v4, v2, s[4:5]
	v_cndmask_b32_e64 v1, v3, v1, s[4:5]
	v_lshlrev_b32_e32 v0, 24, v0
	v_bfrev_b32_e32 v3, 60
	v_lshlrev_b32_e32 v1, 20, v1
	v_and_b32_e32 v0, 0x80000000, v0
	v_lshl_add_u32 v2, v2, 23, v3
	v_or3_b32 v35, v0, v2, v1
.LBB196_32:                             ;   in Loop: Header=BB196_10 Depth=1
	s_or_b64 exec, exec, s[36:37]
.LBB196_33:                             ;   in Loop: Header=BB196_10 Depth=1
	s_or_b64 exec, exec, s[34:35]
.LBB196_34:                             ;   in Loop: Header=BB196_10 Depth=1
	s_or_b64 exec, exec, s[16:17]
	global_load_ubyte v0, v[53:54], off offset:256
	s_waitcnt vmcnt(0)
	v_cmp_ne_u16_e64 s[4:5], 0, v0
	s_and_saveexec_b64 s[16:17], s[4:5]
	s_cbranch_execz .LBB196_40
; %bb.35:                               ;   in Loop: Header=BB196_10 Depth=1
	v_cmp_ne_u16_e64 s[4:5], s41, v0
	v_bfrev_b32_e32 v36, 1
	s_and_saveexec_b64 s[34:35], s[4:5]
	s_cbranch_execz .LBB196_39
; %bb.36:                               ;   in Loop: Header=BB196_10 Depth=1
	v_and_b32_e32 v55, 0xffff, v0
	v_and_b32_e32 v1, 0x7f, v55
	v_cmp_ne_u32_e64 s[4:5], s42, v1
	v_mov_b32_e32 v36, 0x7f800001
	s_and_saveexec_b64 s[36:37], s[4:5]
	s_cbranch_execz .LBB196_38
; %bb.37:                               ;   in Loop: Header=BB196_10 Depth=1
	v_and_b32_e32 v3, 7, v55
	v_lshrrev_b32_e32 v4, 3, v1
	v_cmp_gt_u32_e64 s[4:5], 8, v1
	v_ffbh_u32_e32 v1, v3
	v_min_u32_e32 v5, 32, v1
	v_subrev_u32_e32 v1, 28, v5
	v_lshlrev_b64 v[1:2], v1, v[55:56]
	v_sub_u32_e32 v2, 29, v5
	v_and_b32_e32 v1, 7, v1
	v_cndmask_b32_e64 v2, v4, v2, s[4:5]
	v_cndmask_b32_e64 v1, v3, v1, s[4:5]
	v_lshlrev_b32_e32 v0, 24, v0
	v_bfrev_b32_e32 v3, 60
	v_lshlrev_b32_e32 v1, 20, v1
	v_and_b32_e32 v0, 0x80000000, v0
	v_lshl_add_u32 v2, v2, 23, v3
	v_or3_b32 v36, v0, v2, v1
.LBB196_38:                             ;   in Loop: Header=BB196_10 Depth=1
	s_or_b64 exec, exec, s[36:37]
.LBB196_39:                             ;   in Loop: Header=BB196_10 Depth=1
	s_or_b64 exec, exec, s[34:35]
.LBB196_40:                             ;   in Loop: Header=BB196_10 Depth=1
	s_or_b64 exec, exec, s[16:17]
	global_load_ubyte v0, v[53:54], off offset:260
	v_mov_b32_e32 v1, 0
	buffer_store_dword v1, off, s[44:47], 0 offset:8 ; 4-byte Folded Spill
	v_mov_b32_e32 v1, 0
	buffer_store_dword v1, off, s[44:47], 0 offset:12 ; 4-byte Folded Spill
	s_waitcnt vmcnt(2)
	v_cmp_ne_u16_e64 s[4:5], 0, v0
	s_and_saveexec_b64 s[16:17], s[4:5]
	s_cbranch_execz .LBB196_46
; %bb.41:                               ;   in Loop: Header=BB196_10 Depth=1
	v_cmp_ne_u16_e64 s[4:5], s41, v0
	v_bfrev_b32_e32 v1, 1
	buffer_store_dword v1, off, s[44:47], 0 offset:12 ; 4-byte Folded Spill
	s_and_saveexec_b64 s[34:35], s[4:5]
	s_cbranch_execz .LBB196_45
; %bb.42:                               ;   in Loop: Header=BB196_10 Depth=1
	v_and_b32_e32 v55, 0xffff, v0
	v_and_b32_e32 v1, 0x7f, v55
	v_cmp_ne_u32_e64 s[4:5], s42, v1
	v_mov_b32_e32 v2, 0x7f800001
	buffer_store_dword v2, off, s[44:47], 0 offset:12 ; 4-byte Folded Spill
	s_and_saveexec_b64 s[36:37], s[4:5]
	s_cbranch_execz .LBB196_44
; %bb.43:                               ;   in Loop: Header=BB196_10 Depth=1
	v_and_b32_e32 v3, 7, v55
	v_lshrrev_b32_e32 v4, 3, v1
	v_cmp_gt_u32_e64 s[4:5], 8, v1
	v_ffbh_u32_e32 v1, v3
	v_min_u32_e32 v5, 32, v1
	v_subrev_u32_e32 v1, 28, v5
	v_lshlrev_b64 v[1:2], v1, v[55:56]
	v_sub_u32_e32 v2, 29, v5
	v_and_b32_e32 v1, 7, v1
	v_cndmask_b32_e64 v2, v4, v2, s[4:5]
	v_cndmask_b32_e64 v1, v3, v1, s[4:5]
	v_lshlrev_b32_e32 v0, 24, v0
	v_bfrev_b32_e32 v3, 60
	v_lshlrev_b32_e32 v1, 20, v1
	v_and_b32_e32 v0, 0x80000000, v0
	v_lshl_add_u32 v2, v2, 23, v3
	v_or3_b32 v0, v0, v2, v1
	buffer_store_dword v0, off, s[44:47], 0 offset:12 ; 4-byte Folded Spill
.LBB196_44:                             ;   in Loop: Header=BB196_10 Depth=1
	s_or_b64 exec, exec, s[36:37]
.LBB196_45:                             ;   in Loop: Header=BB196_10 Depth=1
	s_or_b64 exec, exec, s[34:35]
.LBB196_46:                             ;   in Loop: Header=BB196_10 Depth=1
	s_or_b64 exec, exec, s[16:17]
	global_load_ubyte v0, v[53:54], off offset:264
	s_waitcnt vmcnt(0)
	v_cmp_ne_u16_e64 s[4:5], 0, v0
	s_and_saveexec_b64 s[16:17], s[4:5]
	s_cbranch_execz .LBB196_52
; %bb.47:                               ;   in Loop: Header=BB196_10 Depth=1
	v_cmp_ne_u16_e64 s[4:5], s41, v0
	v_bfrev_b32_e32 v1, 1
	buffer_store_dword v1, off, s[44:47], 0 offset:8 ; 4-byte Folded Spill
	s_and_saveexec_b64 s[34:35], s[4:5]
	s_cbranch_execz .LBB196_51
; %bb.48:                               ;   in Loop: Header=BB196_10 Depth=1
	v_and_b32_e32 v55, 0xffff, v0
	v_and_b32_e32 v1, 0x7f, v55
	v_cmp_ne_u32_e64 s[4:5], s42, v1
	v_mov_b32_e32 v2, 0x7f800001
	buffer_store_dword v2, off, s[44:47], 0 offset:8 ; 4-byte Folded Spill
	s_and_saveexec_b64 s[36:37], s[4:5]
	s_cbranch_execz .LBB196_50
; %bb.49:                               ;   in Loop: Header=BB196_10 Depth=1
	v_and_b32_e32 v3, 7, v55
	v_lshrrev_b32_e32 v4, 3, v1
	v_cmp_gt_u32_e64 s[4:5], 8, v1
	v_ffbh_u32_e32 v1, v3
	v_min_u32_e32 v5, 32, v1
	v_subrev_u32_e32 v1, 28, v5
	v_lshlrev_b64 v[1:2], v1, v[55:56]
	v_sub_u32_e32 v2, 29, v5
	v_and_b32_e32 v1, 7, v1
	v_cndmask_b32_e64 v2, v4, v2, s[4:5]
	v_cndmask_b32_e64 v1, v3, v1, s[4:5]
	v_lshlrev_b32_e32 v0, 24, v0
	v_bfrev_b32_e32 v3, 60
	v_lshlrev_b32_e32 v1, 20, v1
	v_and_b32_e32 v0, 0x80000000, v0
	v_lshl_add_u32 v2, v2, 23, v3
	v_or3_b32 v0, v0, v2, v1
	buffer_store_dword v0, off, s[44:47], 0 offset:8 ; 4-byte Folded Spill
.LBB196_50:                             ;   in Loop: Header=BB196_10 Depth=1
	s_or_b64 exec, exec, s[36:37]
.LBB196_51:                             ;   in Loop: Header=BB196_10 Depth=1
	s_or_b64 exec, exec, s[34:35]
.LBB196_52:                             ;   in Loop: Header=BB196_10 Depth=1
	s_or_b64 exec, exec, s[16:17]
	global_load_ubyte v0, v[53:54], off offset:268
	v_mov_b32_e32 v1, 0
	buffer_store_dword v1, off, s[44:47], 0 offset:16 ; 4-byte Folded Spill
	v_mov_b32_e32 v1, 0
	buffer_store_dword v1, off, s[44:47], 0 offset:20 ; 4-byte Folded Spill
	s_waitcnt vmcnt(2)
	v_cmp_ne_u16_e64 s[4:5], 0, v0
	s_and_saveexec_b64 s[16:17], s[4:5]
	s_cbranch_execz .LBB196_58
; %bb.53:                               ;   in Loop: Header=BB196_10 Depth=1
	v_cmp_ne_u16_e64 s[4:5], s41, v0
	v_bfrev_b32_e32 v1, 1
	buffer_store_dword v1, off, s[44:47], 0 offset:20 ; 4-byte Folded Spill
	s_and_saveexec_b64 s[34:35], s[4:5]
	s_cbranch_execz .LBB196_57
; %bb.54:                               ;   in Loop: Header=BB196_10 Depth=1
	v_and_b32_e32 v55, 0xffff, v0
	v_and_b32_e32 v1, 0x7f, v55
	v_cmp_ne_u32_e64 s[4:5], s42, v1
	v_mov_b32_e32 v2, 0x7f800001
	buffer_store_dword v2, off, s[44:47], 0 offset:20 ; 4-byte Folded Spill
	s_and_saveexec_b64 s[36:37], s[4:5]
	s_cbranch_execz .LBB196_56
; %bb.55:                               ;   in Loop: Header=BB196_10 Depth=1
	v_and_b32_e32 v3, 7, v55
	v_lshrrev_b32_e32 v4, 3, v1
	v_cmp_gt_u32_e64 s[4:5], 8, v1
	v_ffbh_u32_e32 v1, v3
	v_min_u32_e32 v5, 32, v1
	v_subrev_u32_e32 v1, 28, v5
	v_lshlrev_b64 v[1:2], v1, v[55:56]
	v_sub_u32_e32 v2, 29, v5
	v_and_b32_e32 v1, 7, v1
	v_cndmask_b32_e64 v2, v4, v2, s[4:5]
	v_cndmask_b32_e64 v1, v3, v1, s[4:5]
	v_lshlrev_b32_e32 v0, 24, v0
	v_bfrev_b32_e32 v3, 60
	v_lshlrev_b32_e32 v1, 20, v1
	v_and_b32_e32 v0, 0x80000000, v0
	v_lshl_add_u32 v2, v2, 23, v3
	v_or3_b32 v0, v0, v2, v1
	buffer_store_dword v0, off, s[44:47], 0 offset:20 ; 4-byte Folded Spill
.LBB196_56:                             ;   in Loop: Header=BB196_10 Depth=1
	s_or_b64 exec, exec, s[36:37]
.LBB196_57:                             ;   in Loop: Header=BB196_10 Depth=1
	s_or_b64 exec, exec, s[34:35]
.LBB196_58:                             ;   in Loop: Header=BB196_10 Depth=1
	s_or_b64 exec, exec, s[16:17]
	global_load_ubyte v0, v[53:54], off offset:512
	s_waitcnt vmcnt(0)
	v_cmp_ne_u16_e64 s[4:5], 0, v0
	s_and_saveexec_b64 s[16:17], s[4:5]
	s_cbranch_execz .LBB196_64
; %bb.59:                               ;   in Loop: Header=BB196_10 Depth=1
	v_cmp_ne_u16_e64 s[4:5], s41, v0
	v_bfrev_b32_e32 v1, 1
	buffer_store_dword v1, off, s[44:47], 0 offset:16 ; 4-byte Folded Spill
	s_and_saveexec_b64 s[34:35], s[4:5]
	s_cbranch_execz .LBB196_63
; %bb.60:                               ;   in Loop: Header=BB196_10 Depth=1
	v_and_b32_e32 v55, 0xffff, v0
	v_and_b32_e32 v1, 0x7f, v55
	v_cmp_ne_u32_e64 s[4:5], s42, v1
	v_mov_b32_e32 v2, 0x7f800001
	buffer_store_dword v2, off, s[44:47], 0 offset:16 ; 4-byte Folded Spill
	s_and_saveexec_b64 s[36:37], s[4:5]
	s_cbranch_execz .LBB196_62
; %bb.61:                               ;   in Loop: Header=BB196_10 Depth=1
	v_and_b32_e32 v3, 7, v55
	v_lshrrev_b32_e32 v4, 3, v1
	v_cmp_gt_u32_e64 s[4:5], 8, v1
	v_ffbh_u32_e32 v1, v3
	v_min_u32_e32 v5, 32, v1
	v_subrev_u32_e32 v1, 28, v5
	v_lshlrev_b64 v[1:2], v1, v[55:56]
	v_sub_u32_e32 v2, 29, v5
	v_and_b32_e32 v1, 7, v1
	v_cndmask_b32_e64 v2, v4, v2, s[4:5]
	v_cndmask_b32_e64 v1, v3, v1, s[4:5]
	v_lshlrev_b32_e32 v0, 24, v0
	v_bfrev_b32_e32 v3, 60
	v_lshlrev_b32_e32 v1, 20, v1
	v_and_b32_e32 v0, 0x80000000, v0
	v_lshl_add_u32 v2, v2, 23, v3
	v_or3_b32 v0, v0, v2, v1
	buffer_store_dword v0, off, s[44:47], 0 offset:16 ; 4-byte Folded Spill
.LBB196_62:                             ;   in Loop: Header=BB196_10 Depth=1
	s_or_b64 exec, exec, s[36:37]
.LBB196_63:                             ;   in Loop: Header=BB196_10 Depth=1
	s_or_b64 exec, exec, s[34:35]
.LBB196_64:                             ;   in Loop: Header=BB196_10 Depth=1
	s_or_b64 exec, exec, s[16:17]
	global_load_ubyte v0, v[53:54], off offset:516
	v_mov_b32_e32 v1, 0
	buffer_store_dword v1, off, s[44:47], 0 offset:24 ; 4-byte Folded Spill
	v_mov_b32_e32 v1, 0
	buffer_store_dword v1, off, s[44:47], 0 offset:28 ; 4-byte Folded Spill
	s_waitcnt vmcnt(2)
	v_cmp_ne_u16_e64 s[4:5], 0, v0
	s_and_saveexec_b64 s[16:17], s[4:5]
	s_cbranch_execz .LBB196_70
; %bb.65:                               ;   in Loop: Header=BB196_10 Depth=1
	v_cmp_ne_u16_e64 s[4:5], s41, v0
	v_bfrev_b32_e32 v1, 1
	buffer_store_dword v1, off, s[44:47], 0 offset:28 ; 4-byte Folded Spill
	s_and_saveexec_b64 s[34:35], s[4:5]
	s_cbranch_execz .LBB196_69
; %bb.66:                               ;   in Loop: Header=BB196_10 Depth=1
	v_and_b32_e32 v55, 0xffff, v0
	v_and_b32_e32 v1, 0x7f, v55
	v_cmp_ne_u32_e64 s[4:5], s42, v1
	v_mov_b32_e32 v2, 0x7f800001
	buffer_store_dword v2, off, s[44:47], 0 offset:28 ; 4-byte Folded Spill
	s_and_saveexec_b64 s[36:37], s[4:5]
	s_cbranch_execz .LBB196_68
; %bb.67:                               ;   in Loop: Header=BB196_10 Depth=1
	v_and_b32_e32 v3, 7, v55
	v_lshrrev_b32_e32 v4, 3, v1
	v_cmp_gt_u32_e64 s[4:5], 8, v1
	v_ffbh_u32_e32 v1, v3
	v_min_u32_e32 v5, 32, v1
	v_subrev_u32_e32 v1, 28, v5
	v_lshlrev_b64 v[1:2], v1, v[55:56]
	v_sub_u32_e32 v2, 29, v5
	v_and_b32_e32 v1, 7, v1
	v_cndmask_b32_e64 v2, v4, v2, s[4:5]
	v_cndmask_b32_e64 v1, v3, v1, s[4:5]
	v_lshlrev_b32_e32 v0, 24, v0
	v_bfrev_b32_e32 v3, 60
	v_lshlrev_b32_e32 v1, 20, v1
	v_and_b32_e32 v0, 0x80000000, v0
	v_lshl_add_u32 v2, v2, 23, v3
	v_or3_b32 v0, v0, v2, v1
	buffer_store_dword v0, off, s[44:47], 0 offset:28 ; 4-byte Folded Spill
.LBB196_68:                             ;   in Loop: Header=BB196_10 Depth=1
	s_or_b64 exec, exec, s[36:37]
.LBB196_69:                             ;   in Loop: Header=BB196_10 Depth=1
	s_or_b64 exec, exec, s[34:35]
.LBB196_70:                             ;   in Loop: Header=BB196_10 Depth=1
	s_or_b64 exec, exec, s[16:17]
	global_load_ubyte v0, v[53:54], off offset:520
	s_waitcnt vmcnt(0)
	v_cmp_ne_u16_e64 s[4:5], 0, v0
	s_and_saveexec_b64 s[16:17], s[4:5]
	s_cbranch_execz .LBB196_76
; %bb.71:                               ;   in Loop: Header=BB196_10 Depth=1
	v_cmp_ne_u16_e64 s[4:5], s41, v0
	v_bfrev_b32_e32 v1, 1
	buffer_store_dword v1, off, s[44:47], 0 offset:24 ; 4-byte Folded Spill
	s_and_saveexec_b64 s[34:35], s[4:5]
	s_cbranch_execz .LBB196_75
; %bb.72:                               ;   in Loop: Header=BB196_10 Depth=1
	v_and_b32_e32 v55, 0xffff, v0
	v_and_b32_e32 v1, 0x7f, v55
	v_cmp_ne_u32_e64 s[4:5], s42, v1
	v_mov_b32_e32 v2, 0x7f800001
	buffer_store_dword v2, off, s[44:47], 0 offset:24 ; 4-byte Folded Spill
	s_and_saveexec_b64 s[36:37], s[4:5]
	s_cbranch_execz .LBB196_74
; %bb.73:                               ;   in Loop: Header=BB196_10 Depth=1
	v_and_b32_e32 v3, 7, v55
	v_lshrrev_b32_e32 v4, 3, v1
	v_cmp_gt_u32_e64 s[4:5], 8, v1
	v_ffbh_u32_e32 v1, v3
	v_min_u32_e32 v5, 32, v1
	v_subrev_u32_e32 v1, 28, v5
	v_lshlrev_b64 v[1:2], v1, v[55:56]
	v_sub_u32_e32 v2, 29, v5
	v_and_b32_e32 v1, 7, v1
	v_cndmask_b32_e64 v2, v4, v2, s[4:5]
	v_cndmask_b32_e64 v1, v3, v1, s[4:5]
	v_lshlrev_b32_e32 v0, 24, v0
	v_bfrev_b32_e32 v3, 60
	v_lshlrev_b32_e32 v1, 20, v1
	v_and_b32_e32 v0, 0x80000000, v0
	v_lshl_add_u32 v2, v2, 23, v3
	v_or3_b32 v0, v0, v2, v1
	buffer_store_dword v0, off, s[44:47], 0 offset:24 ; 4-byte Folded Spill
.LBB196_74:                             ;   in Loop: Header=BB196_10 Depth=1
	s_or_b64 exec, exec, s[36:37]
.LBB196_75:                             ;   in Loop: Header=BB196_10 Depth=1
	s_or_b64 exec, exec, s[34:35]
.LBB196_76:                             ;   in Loop: Header=BB196_10 Depth=1
	s_or_b64 exec, exec, s[16:17]
	global_load_ubyte v0, v[53:54], off offset:524
	v_mov_b32_e32 v50, 0
	v_mov_b32_e32 v60, 0
	s_waitcnt vmcnt(0)
	v_cmp_ne_u16_e64 s[4:5], 0, v0
	s_and_saveexec_b64 s[16:17], s[4:5]
	s_cbranch_execz .LBB196_82
; %bb.77:                               ;   in Loop: Header=BB196_10 Depth=1
	v_cmp_ne_u16_e64 s[4:5], s41, v0
	v_bfrev_b32_e32 v60, 1
	s_and_saveexec_b64 s[34:35], s[4:5]
	s_cbranch_execz .LBB196_81
; %bb.78:                               ;   in Loop: Header=BB196_10 Depth=1
	v_and_b32_e32 v55, 0xffff, v0
	v_and_b32_e32 v1, 0x7f, v55
	v_cmp_ne_u32_e64 s[4:5], s42, v1
	v_mov_b32_e32 v60, 0x7f800001
	s_and_saveexec_b64 s[36:37], s[4:5]
	s_cbranch_execz .LBB196_80
; %bb.79:                               ;   in Loop: Header=BB196_10 Depth=1
	v_and_b32_e32 v3, 7, v55
	v_lshrrev_b32_e32 v4, 3, v1
	v_cmp_gt_u32_e64 s[4:5], 8, v1
	v_ffbh_u32_e32 v1, v3
	v_min_u32_e32 v5, 32, v1
	v_subrev_u32_e32 v1, 28, v5
	v_lshlrev_b64 v[1:2], v1, v[55:56]
	v_sub_u32_e32 v2, 29, v5
	v_and_b32_e32 v1, 7, v1
	v_cndmask_b32_e64 v2, v4, v2, s[4:5]
	v_cndmask_b32_e64 v1, v3, v1, s[4:5]
	v_lshlrev_b32_e32 v0, 24, v0
	v_bfrev_b32_e32 v3, 60
	v_lshlrev_b32_e32 v1, 20, v1
	v_and_b32_e32 v0, 0x80000000, v0
	v_lshl_add_u32 v2, v2, 23, v3
	v_or3_b32 v60, v0, v2, v1
.LBB196_80:                             ;   in Loop: Header=BB196_10 Depth=1
	s_or_b64 exec, exec, s[36:37]
.LBB196_81:                             ;   in Loop: Header=BB196_10 Depth=1
	s_or_b64 exec, exec, s[34:35]
.LBB196_82:                             ;   in Loop: Header=BB196_10 Depth=1
	s_or_b64 exec, exec, s[16:17]
	global_load_ubyte v0, v[53:54], off offset:768
	s_waitcnt vmcnt(0)
	v_cmp_ne_u16_e64 s[4:5], 0, v0
	s_and_saveexec_b64 s[16:17], s[4:5]
	s_cbranch_execz .LBB196_88
; %bb.83:                               ;   in Loop: Header=BB196_10 Depth=1
	v_cmp_ne_u16_e64 s[4:5], s41, v0
	v_bfrev_b32_e32 v50, 1
	s_and_saveexec_b64 s[34:35], s[4:5]
	s_cbranch_execz .LBB196_87
; %bb.84:                               ;   in Loop: Header=BB196_10 Depth=1
	v_and_b32_e32 v55, 0xffff, v0
	v_and_b32_e32 v1, 0x7f, v55
	v_cmp_ne_u32_e64 s[4:5], s42, v1
	v_mov_b32_e32 v50, 0x7f800001
	s_and_saveexec_b64 s[36:37], s[4:5]
	s_cbranch_execz .LBB196_86
; %bb.85:                               ;   in Loop: Header=BB196_10 Depth=1
	v_and_b32_e32 v3, 7, v55
	v_lshrrev_b32_e32 v4, 3, v1
	v_cmp_gt_u32_e64 s[4:5], 8, v1
	v_ffbh_u32_e32 v1, v3
	v_min_u32_e32 v5, 32, v1
	v_subrev_u32_e32 v1, 28, v5
	v_lshlrev_b64 v[1:2], v1, v[55:56]
	v_sub_u32_e32 v2, 29, v5
	v_and_b32_e32 v1, 7, v1
	v_cndmask_b32_e64 v2, v4, v2, s[4:5]
	v_cndmask_b32_e64 v1, v3, v1, s[4:5]
	v_lshlrev_b32_e32 v0, 24, v0
	v_bfrev_b32_e32 v3, 60
	v_lshlrev_b32_e32 v1, 20, v1
	v_and_b32_e32 v0, 0x80000000, v0
	v_lshl_add_u32 v2, v2, 23, v3
	v_or3_b32 v50, v0, v2, v1
.LBB196_86:                             ;   in Loop: Header=BB196_10 Depth=1
	s_or_b64 exec, exec, s[36:37]
.LBB196_87:                             ;   in Loop: Header=BB196_10 Depth=1
	s_or_b64 exec, exec, s[34:35]
.LBB196_88:                             ;   in Loop: Header=BB196_10 Depth=1
	s_or_b64 exec, exec, s[16:17]
	global_load_ubyte v0, v[53:54], off offset:772
	v_mov_b32_e32 v63, 0
	v_mov_b32_e32 v62, 0
	s_waitcnt vmcnt(0)
	v_cmp_ne_u16_e64 s[4:5], 0, v0
	s_and_saveexec_b64 s[16:17], s[4:5]
	s_cbranch_execz .LBB196_94
; %bb.89:                               ;   in Loop: Header=BB196_10 Depth=1
	v_cmp_ne_u16_e64 s[4:5], s41, v0
	v_bfrev_b32_e32 v62, 1
	s_and_saveexec_b64 s[34:35], s[4:5]
	s_cbranch_execz .LBB196_93
; %bb.90:                               ;   in Loop: Header=BB196_10 Depth=1
	v_and_b32_e32 v55, 0xffff, v0
	v_and_b32_e32 v1, 0x7f, v55
	v_cmp_ne_u32_e64 s[4:5], s42, v1
	v_mov_b32_e32 v62, 0x7f800001
	s_and_saveexec_b64 s[36:37], s[4:5]
	s_cbranch_execz .LBB196_92
; %bb.91:                               ;   in Loop: Header=BB196_10 Depth=1
	v_and_b32_e32 v3, 7, v55
	v_lshrrev_b32_e32 v4, 3, v1
	v_cmp_gt_u32_e64 s[4:5], 8, v1
	v_ffbh_u32_e32 v1, v3
	v_min_u32_e32 v5, 32, v1
	v_subrev_u32_e32 v1, 28, v5
	v_lshlrev_b64 v[1:2], v1, v[55:56]
	v_sub_u32_e32 v2, 29, v5
	v_and_b32_e32 v1, 7, v1
	v_cndmask_b32_e64 v2, v4, v2, s[4:5]
	v_cndmask_b32_e64 v1, v3, v1, s[4:5]
	v_lshlrev_b32_e32 v0, 24, v0
	v_bfrev_b32_e32 v3, 60
	v_lshlrev_b32_e32 v1, 20, v1
	v_and_b32_e32 v0, 0x80000000, v0
	v_lshl_add_u32 v2, v2, 23, v3
	v_or3_b32 v62, v0, v2, v1
.LBB196_92:                             ;   in Loop: Header=BB196_10 Depth=1
	s_or_b64 exec, exec, s[36:37]
.LBB196_93:                             ;   in Loop: Header=BB196_10 Depth=1
	s_or_b64 exec, exec, s[34:35]
.LBB196_94:                             ;   in Loop: Header=BB196_10 Depth=1
	s_or_b64 exec, exec, s[16:17]
	global_load_ubyte v0, v[53:54], off offset:776
	s_waitcnt vmcnt(0)
	v_cmp_ne_u16_e64 s[4:5], 0, v0
	s_and_saveexec_b64 s[16:17], s[4:5]
	s_cbranch_execz .LBB196_100
; %bb.95:                               ;   in Loop: Header=BB196_10 Depth=1
	v_cmp_ne_u16_e64 s[4:5], s41, v0
	v_bfrev_b32_e32 v63, 1
	s_and_saveexec_b64 s[34:35], s[4:5]
	s_cbranch_execz .LBB196_99
; %bb.96:                               ;   in Loop: Header=BB196_10 Depth=1
	v_and_b32_e32 v55, 0xffff, v0
	v_and_b32_e32 v1, 0x7f, v55
	v_cmp_ne_u32_e64 s[4:5], s42, v1
	v_mov_b32_e32 v63, 0x7f800001
	s_and_saveexec_b64 s[36:37], s[4:5]
	s_cbranch_execz .LBB196_98
; %bb.97:                               ;   in Loop: Header=BB196_10 Depth=1
	v_and_b32_e32 v3, 7, v55
	v_lshrrev_b32_e32 v4, 3, v1
	v_cmp_gt_u32_e64 s[4:5], 8, v1
	v_ffbh_u32_e32 v1, v3
	v_min_u32_e32 v5, 32, v1
	v_subrev_u32_e32 v1, 28, v5
	v_lshlrev_b64 v[1:2], v1, v[55:56]
	v_sub_u32_e32 v2, 29, v5
	v_and_b32_e32 v1, 7, v1
	v_cndmask_b32_e64 v2, v4, v2, s[4:5]
	v_cndmask_b32_e64 v1, v3, v1, s[4:5]
	v_lshlrev_b32_e32 v0, 24, v0
	v_bfrev_b32_e32 v3, 60
	v_lshlrev_b32_e32 v1, 20, v1
	v_and_b32_e32 v0, 0x80000000, v0
	v_lshl_add_u32 v2, v2, 23, v3
	v_or3_b32 v63, v0, v2, v1
.LBB196_98:                             ;   in Loop: Header=BB196_10 Depth=1
	s_or_b64 exec, exec, s[36:37]
.LBB196_99:                             ;   in Loop: Header=BB196_10 Depth=1
	s_or_b64 exec, exec, s[34:35]
.LBB196_100:                            ;   in Loop: Header=BB196_10 Depth=1
	s_or_b64 exec, exec, s[16:17]
	global_load_ubyte v1, v[53:54], off offset:780
	v_mov_b32_e32 v57, 0
	v_mov_b32_e32 v0, 0
	s_waitcnt vmcnt(0)
	v_cmp_ne_u16_e64 s[4:5], 0, v1
	s_and_saveexec_b64 s[16:17], s[4:5]
	s_cbranch_execz .LBB196_106
; %bb.101:                              ;   in Loop: Header=BB196_10 Depth=1
	v_cmp_ne_u16_e64 s[4:5], s41, v1
	v_bfrev_b32_e32 v0, 1
	s_and_saveexec_b64 s[34:35], s[4:5]
	s_cbranch_execz .LBB196_105
; %bb.102:                              ;   in Loop: Header=BB196_10 Depth=1
	v_and_b32_e32 v55, 0xffff, v1
	v_and_b32_e32 v2, 0x7f, v55
	v_cmp_ne_u32_e64 s[4:5], s42, v2
	v_mov_b32_e32 v0, 0x7f800001
	s_and_saveexec_b64 s[36:37], s[4:5]
	s_cbranch_execz .LBB196_104
; %bb.103:                              ;   in Loop: Header=BB196_10 Depth=1
	v_and_b32_e32 v0, 7, v55
	v_lshrrev_b32_e32 v4, 3, v2
	v_cmp_gt_u32_e64 s[4:5], 8, v2
	v_ffbh_u32_e32 v2, v0
	v_min_u32_e32 v5, 32, v2
	v_subrev_u32_e32 v2, 28, v5
	v_lshlrev_b64 v[2:3], v2, v[55:56]
	v_sub_u32_e32 v3, 29, v5
	v_and_b32_e32 v2, 7, v2
	v_cndmask_b32_e64 v3, v4, v3, s[4:5]
	v_cndmask_b32_e64 v0, v0, v2, s[4:5]
	v_lshlrev_b32_e32 v1, 24, v1
	v_bfrev_b32_e32 v2, 60
	v_lshlrev_b32_e32 v0, 20, v0
	v_and_b32_e32 v1, 0x80000000, v1
	v_lshl_add_u32 v2, v3, 23, v2
	v_or3_b32 v0, v1, v2, v0
.LBB196_104:                            ;   in Loop: Header=BB196_10 Depth=1
	s_or_b64 exec, exec, s[36:37]
.LBB196_105:                            ;   in Loop: Header=BB196_10 Depth=1
	s_or_b64 exec, exec, s[34:35]
.LBB196_106:                            ;   in Loop: Header=BB196_10 Depth=1
	s_or_b64 exec, exec, s[16:17]
	global_load_ubyte v1, v[53:54], off offset:1024
	s_waitcnt vmcnt(0)
	v_cmp_ne_u16_e64 s[4:5], 0, v1
	s_and_saveexec_b64 s[16:17], s[4:5]
	s_cbranch_execz .LBB196_112
; %bb.107:                              ;   in Loop: Header=BB196_10 Depth=1
	v_cmp_ne_u16_e64 s[4:5], s41, v1
	v_bfrev_b32_e32 v57, 1
	s_and_saveexec_b64 s[34:35], s[4:5]
	s_cbranch_execz .LBB196_111
; %bb.108:                              ;   in Loop: Header=BB196_10 Depth=1
	v_and_b32_e32 v55, 0xffff, v1
	v_and_b32_e32 v2, 0x7f, v55
	v_cmp_ne_u32_e64 s[4:5], s42, v2
	v_mov_b32_e32 v57, 0x7f800001
	s_and_saveexec_b64 s[36:37], s[4:5]
	s_cbranch_execz .LBB196_110
; %bb.109:                              ;   in Loop: Header=BB196_10 Depth=1
	v_and_b32_e32 v4, 7, v55
	v_lshrrev_b32_e32 v5, 3, v2
	v_cmp_gt_u32_e64 s[4:5], 8, v2
	v_ffbh_u32_e32 v2, v4
	v_min_u32_e32 v6, 32, v2
	v_subrev_u32_e32 v2, 28, v6
	v_lshlrev_b64 v[2:3], v2, v[55:56]
	v_sub_u32_e32 v3, 29, v6
	v_and_b32_e32 v2, 7, v2
	v_cndmask_b32_e64 v3, v5, v3, s[4:5]
	v_cndmask_b32_e64 v2, v4, v2, s[4:5]
	v_lshlrev_b32_e32 v1, 24, v1
	v_bfrev_b32_e32 v4, 60
	v_lshlrev_b32_e32 v2, 20, v2
	v_and_b32_e32 v1, 0x80000000, v1
	v_lshl_add_u32 v3, v3, 23, v4
	v_or3_b32 v57, v1, v3, v2
.LBB196_110:                            ;   in Loop: Header=BB196_10 Depth=1
	s_or_b64 exec, exec, s[36:37]
.LBB196_111:                            ;   in Loop: Header=BB196_10 Depth=1
	s_or_b64 exec, exec, s[34:35]
.LBB196_112:                            ;   in Loop: Header=BB196_10 Depth=1
	s_or_b64 exec, exec, s[16:17]
	global_load_ubyte v1, v[53:54], off offset:1028
	v_mov_b32_e32 v58, 0
	v_mov_b32_e32 v49, 0
	s_waitcnt vmcnt(0)
	v_cmp_ne_u16_e64 s[4:5], 0, v1
	s_and_saveexec_b64 s[16:17], s[4:5]
	s_cbranch_execz .LBB196_118
; %bb.113:                              ;   in Loop: Header=BB196_10 Depth=1
	v_cmp_ne_u16_e64 s[4:5], s41, v1
	v_bfrev_b32_e32 v49, 1
	s_and_saveexec_b64 s[34:35], s[4:5]
	s_cbranch_execz .LBB196_117
; %bb.114:                              ;   in Loop: Header=BB196_10 Depth=1
	v_and_b32_e32 v55, 0xffff, v1
	v_and_b32_e32 v2, 0x7f, v55
	v_cmp_ne_u32_e64 s[4:5], s42, v2
	v_mov_b32_e32 v49, 0x7f800001
	s_and_saveexec_b64 s[36:37], s[4:5]
	s_cbranch_execz .LBB196_116
; %bb.115:                              ;   in Loop: Header=BB196_10 Depth=1
	v_and_b32_e32 v4, 7, v55
	v_lshrrev_b32_e32 v5, 3, v2
	v_cmp_gt_u32_e64 s[4:5], 8, v2
	v_ffbh_u32_e32 v2, v4
	v_min_u32_e32 v6, 32, v2
	v_subrev_u32_e32 v2, 28, v6
	v_lshlrev_b64 v[2:3], v2, v[55:56]
	v_sub_u32_e32 v3, 29, v6
	v_and_b32_e32 v2, 7, v2
	v_cndmask_b32_e64 v3, v5, v3, s[4:5]
	v_cndmask_b32_e64 v2, v4, v2, s[4:5]
	v_lshlrev_b32_e32 v1, 24, v1
	v_bfrev_b32_e32 v4, 60
	v_lshlrev_b32_e32 v2, 20, v2
	v_and_b32_e32 v1, 0x80000000, v1
	v_lshl_add_u32 v3, v3, 23, v4
	v_or3_b32 v49, v1, v3, v2
.LBB196_116:                            ;   in Loop: Header=BB196_10 Depth=1
	s_or_b64 exec, exec, s[36:37]
.LBB196_117:                            ;   in Loop: Header=BB196_10 Depth=1
	s_or_b64 exec, exec, s[34:35]
.LBB196_118:                            ;   in Loop: Header=BB196_10 Depth=1
	s_or_b64 exec, exec, s[16:17]
	global_load_ubyte v1, v[53:54], off offset:1032
	s_waitcnt vmcnt(0)
	v_cmp_ne_u16_e64 s[4:5], 0, v1
	s_and_saveexec_b64 s[16:17], s[4:5]
	s_cbranch_execz .LBB196_124
; %bb.119:                              ;   in Loop: Header=BB196_10 Depth=1
	v_cmp_ne_u16_e64 s[4:5], s41, v1
	v_bfrev_b32_e32 v58, 1
	s_and_saveexec_b64 s[34:35], s[4:5]
	s_cbranch_execz .LBB196_123
; %bb.120:                              ;   in Loop: Header=BB196_10 Depth=1
	v_and_b32_e32 v55, 0xffff, v1
	v_and_b32_e32 v2, 0x7f, v55
	v_cmp_ne_u32_e64 s[4:5], s42, v2
	v_mov_b32_e32 v58, 0x7f800001
	s_and_saveexec_b64 s[36:37], s[4:5]
	s_cbranch_execz .LBB196_122
; %bb.121:                              ;   in Loop: Header=BB196_10 Depth=1
	v_and_b32_e32 v4, 7, v55
	v_lshrrev_b32_e32 v5, 3, v2
	v_cmp_gt_u32_e64 s[4:5], 8, v2
	v_ffbh_u32_e32 v2, v4
	v_min_u32_e32 v6, 32, v2
	v_subrev_u32_e32 v2, 28, v6
	v_lshlrev_b64 v[2:3], v2, v[55:56]
	v_sub_u32_e32 v3, 29, v6
	v_and_b32_e32 v2, 7, v2
	v_cndmask_b32_e64 v3, v5, v3, s[4:5]
	v_cndmask_b32_e64 v2, v4, v2, s[4:5]
	v_lshlrev_b32_e32 v1, 24, v1
	v_bfrev_b32_e32 v4, 60
	v_lshlrev_b32_e32 v2, 20, v2
	v_and_b32_e32 v1, 0x80000000, v1
	v_lshl_add_u32 v3, v3, 23, v4
	v_or3_b32 v58, v1, v3, v2
.LBB196_122:                            ;   in Loop: Header=BB196_10 Depth=1
	s_or_b64 exec, exec, s[36:37]
.LBB196_123:                            ;   in Loop: Header=BB196_10 Depth=1
	s_or_b64 exec, exec, s[34:35]
.LBB196_124:                            ;   in Loop: Header=BB196_10 Depth=1
	s_or_b64 exec, exec, s[16:17]
	global_load_ubyte v3, v[53:54], off offset:1036
	v_mov_b32_e32 v1, 0
	v_mov_b32_e32 v2, 0
	s_waitcnt vmcnt(0)
	v_cmp_ne_u16_e64 s[4:5], 0, v3
	s_and_saveexec_b64 s[16:17], s[4:5]
	s_cbranch_execz .LBB196_130
; %bb.125:                              ;   in Loop: Header=BB196_10 Depth=1
	v_cmp_ne_u16_e64 s[4:5], s41, v3
	v_bfrev_b32_e32 v2, 1
	s_and_saveexec_b64 s[34:35], s[4:5]
	s_cbranch_execz .LBB196_129
; %bb.126:                              ;   in Loop: Header=BB196_10 Depth=1
	v_and_b32_e32 v55, 0xffff, v3
	v_and_b32_e32 v4, 0x7f, v55
	v_cmp_ne_u32_e64 s[4:5], s42, v4
	v_mov_b32_e32 v2, 0x7f800001
	s_and_saveexec_b64 s[36:37], s[4:5]
	s_cbranch_execz .LBB196_128
; %bb.127:                              ;   in Loop: Header=BB196_10 Depth=1
	v_and_b32_e32 v2, 7, v55
	v_lshrrev_b32_e32 v6, 3, v4
	v_cmp_gt_u32_e64 s[4:5], 8, v4
	v_ffbh_u32_e32 v4, v2
	v_min_u32_e32 v7, 32, v4
	v_subrev_u32_e32 v4, 28, v7
	v_lshlrev_b64 v[4:5], v4, v[55:56]
	v_sub_u32_e32 v5, 29, v7
	v_and_b32_e32 v4, 7, v4
	v_cndmask_b32_e64 v5, v6, v5, s[4:5]
	v_cndmask_b32_e64 v2, v2, v4, s[4:5]
	v_lshlrev_b32_e32 v3, 24, v3
	v_bfrev_b32_e32 v4, 60
	v_lshlrev_b32_e32 v2, 20, v2
	v_and_b32_e32 v3, 0x80000000, v3
	v_lshl_add_u32 v4, v5, 23, v4
	v_or3_b32 v2, v3, v4, v2
.LBB196_128:                            ;   in Loop: Header=BB196_10 Depth=1
	s_or_b64 exec, exec, s[36:37]
.LBB196_129:                            ;   in Loop: Header=BB196_10 Depth=1
	s_or_b64 exec, exec, s[34:35]
.LBB196_130:                            ;   in Loop: Header=BB196_10 Depth=1
	s_or_b64 exec, exec, s[16:17]
	global_load_ubyte v3, v[53:54], off offset:1280
	s_waitcnt vmcnt(0)
	v_cmp_ne_u16_e64 s[4:5], 0, v3
	s_and_saveexec_b64 s[16:17], s[4:5]
	s_cbranch_execz .LBB196_136
; %bb.131:                              ;   in Loop: Header=BB196_10 Depth=1
	v_cmp_ne_u16_e64 s[4:5], s41, v3
	v_bfrev_b32_e32 v1, 1
	s_and_saveexec_b64 s[34:35], s[4:5]
	s_cbranch_execz .LBB196_135
; %bb.132:                              ;   in Loop: Header=BB196_10 Depth=1
	v_and_b32_e32 v55, 0xffff, v3
	v_and_b32_e32 v4, 0x7f, v55
	v_cmp_ne_u32_e64 s[4:5], s42, v4
	v_mov_b32_e32 v1, 0x7f800001
	s_and_saveexec_b64 s[36:37], s[4:5]
	s_cbranch_execz .LBB196_134
; %bb.133:                              ;   in Loop: Header=BB196_10 Depth=1
	v_and_b32_e32 v1, 7, v55
	v_lshrrev_b32_e32 v6, 3, v4
	v_cmp_gt_u32_e64 s[4:5], 8, v4
	v_ffbh_u32_e32 v4, v1
	v_min_u32_e32 v7, 32, v4
	v_subrev_u32_e32 v4, 28, v7
	v_lshlrev_b64 v[4:5], v4, v[55:56]
	v_sub_u32_e32 v5, 29, v7
	v_and_b32_e32 v4, 7, v4
	v_cndmask_b32_e64 v5, v6, v5, s[4:5]
	v_cndmask_b32_e64 v1, v1, v4, s[4:5]
	v_lshlrev_b32_e32 v3, 24, v3
	v_bfrev_b32_e32 v4, 60
	v_lshlrev_b32_e32 v1, 20, v1
	v_and_b32_e32 v3, 0x80000000, v3
	v_lshl_add_u32 v4, v5, 23, v4
	v_or3_b32 v1, v3, v4, v1
.LBB196_134:                            ;   in Loop: Header=BB196_10 Depth=1
	s_or_b64 exec, exec, s[36:37]
.LBB196_135:                            ;   in Loop: Header=BB196_10 Depth=1
	s_or_b64 exec, exec, s[34:35]
.LBB196_136:                            ;   in Loop: Header=BB196_10 Depth=1
	s_or_b64 exec, exec, s[16:17]
	global_load_ubyte v5, v[53:54], off offset:1284
	v_mov_b32_e32 v3, 0
	v_mov_b32_e32 v4, 0
	s_waitcnt vmcnt(0)
	v_cmp_ne_u16_e64 s[4:5], 0, v5
	s_and_saveexec_b64 s[16:17], s[4:5]
	s_cbranch_execz .LBB196_142
; %bb.137:                              ;   in Loop: Header=BB196_10 Depth=1
	v_cmp_ne_u16_e64 s[4:5], s41, v5
	v_bfrev_b32_e32 v4, 1
	s_and_saveexec_b64 s[34:35], s[4:5]
	s_cbranch_execz .LBB196_141
; %bb.138:                              ;   in Loop: Header=BB196_10 Depth=1
	v_and_b32_e32 v55, 0xffff, v5
	v_and_b32_e32 v6, 0x7f, v55
	v_cmp_ne_u32_e64 s[4:5], s42, v6
	v_mov_b32_e32 v4, 0x7f800001
	s_and_saveexec_b64 s[36:37], s[4:5]
	s_cbranch_execz .LBB196_140
; %bb.139:                              ;   in Loop: Header=BB196_10 Depth=1
	v_and_b32_e32 v4, 7, v55
	v_lshrrev_b32_e32 v8, 3, v6
	v_cmp_gt_u32_e64 s[4:5], 8, v6
	v_ffbh_u32_e32 v6, v4
	v_min_u32_e32 v9, 32, v6
	v_subrev_u32_e32 v6, 28, v9
	v_lshlrev_b64 v[6:7], v6, v[55:56]
	v_sub_u32_e32 v7, 29, v9
	v_and_b32_e32 v6, 7, v6
	v_cndmask_b32_e64 v7, v8, v7, s[4:5]
	v_cndmask_b32_e64 v4, v4, v6, s[4:5]
	v_lshlrev_b32_e32 v5, 24, v5
	v_bfrev_b32_e32 v6, 60
	v_lshlrev_b32_e32 v4, 20, v4
	v_and_b32_e32 v5, 0x80000000, v5
	v_lshl_add_u32 v6, v7, 23, v6
	v_or3_b32 v4, v5, v6, v4
.LBB196_140:                            ;   in Loop: Header=BB196_10 Depth=1
	s_or_b64 exec, exec, s[36:37]
.LBB196_141:                            ;   in Loop: Header=BB196_10 Depth=1
	s_or_b64 exec, exec, s[34:35]
.LBB196_142:                            ;   in Loop: Header=BB196_10 Depth=1
	s_or_b64 exec, exec, s[16:17]
	global_load_ubyte v5, v[53:54], off offset:1288
	s_waitcnt vmcnt(0)
	v_cmp_ne_u16_e64 s[4:5], 0, v5
	s_and_saveexec_b64 s[16:17], s[4:5]
	s_cbranch_execz .LBB196_148
; %bb.143:                              ;   in Loop: Header=BB196_10 Depth=1
	v_cmp_ne_u16_e64 s[4:5], s41, v5
	v_bfrev_b32_e32 v3, 1
	s_and_saveexec_b64 s[34:35], s[4:5]
	s_cbranch_execz .LBB196_147
; %bb.144:                              ;   in Loop: Header=BB196_10 Depth=1
	v_and_b32_e32 v55, 0xffff, v5
	v_and_b32_e32 v6, 0x7f, v55
	v_cmp_ne_u32_e64 s[4:5], s42, v6
	v_mov_b32_e32 v3, 0x7f800001
	s_and_saveexec_b64 s[36:37], s[4:5]
	s_cbranch_execz .LBB196_146
; %bb.145:                              ;   in Loop: Header=BB196_10 Depth=1
	v_and_b32_e32 v3, 7, v55
	v_lshrrev_b32_e32 v8, 3, v6
	v_cmp_gt_u32_e64 s[4:5], 8, v6
	v_ffbh_u32_e32 v6, v3
	v_min_u32_e32 v9, 32, v6
	v_subrev_u32_e32 v6, 28, v9
	v_lshlrev_b64 v[6:7], v6, v[55:56]
	v_sub_u32_e32 v7, 29, v9
	v_and_b32_e32 v6, 7, v6
	v_cndmask_b32_e64 v7, v8, v7, s[4:5]
	v_cndmask_b32_e64 v3, v3, v6, s[4:5]
	v_lshlrev_b32_e32 v5, 24, v5
	v_bfrev_b32_e32 v6, 60
	v_lshlrev_b32_e32 v3, 20, v3
	v_and_b32_e32 v5, 0x80000000, v5
	v_lshl_add_u32 v6, v7, 23, v6
	v_or3_b32 v3, v5, v6, v3
.LBB196_146:                            ;   in Loop: Header=BB196_10 Depth=1
	s_or_b64 exec, exec, s[36:37]
.LBB196_147:                            ;   in Loop: Header=BB196_10 Depth=1
	s_or_b64 exec, exec, s[34:35]
.LBB196_148:                            ;   in Loop: Header=BB196_10 Depth=1
	s_or_b64 exec, exec, s[16:17]
	global_load_ubyte v7, v[53:54], off offset:1292
	v_mov_b32_e32 v5, 0
	v_mov_b32_e32 v6, 0
	s_waitcnt vmcnt(0)
	v_cmp_ne_u16_e64 s[4:5], 0, v7
	s_and_saveexec_b64 s[16:17], s[4:5]
	s_cbranch_execz .LBB196_154
; %bb.149:                              ;   in Loop: Header=BB196_10 Depth=1
	v_cmp_ne_u16_e64 s[4:5], s41, v7
	v_bfrev_b32_e32 v6, 1
	s_and_saveexec_b64 s[34:35], s[4:5]
	s_cbranch_execz .LBB196_153
; %bb.150:                              ;   in Loop: Header=BB196_10 Depth=1
	v_and_b32_e32 v55, 0xffff, v7
	v_and_b32_e32 v8, 0x7f, v55
	v_cmp_ne_u32_e64 s[4:5], s42, v8
	v_mov_b32_e32 v6, 0x7f800001
	s_and_saveexec_b64 s[36:37], s[4:5]
	s_cbranch_execz .LBB196_152
; %bb.151:                              ;   in Loop: Header=BB196_10 Depth=1
	v_and_b32_e32 v6, 7, v55
	v_lshrrev_b32_e32 v10, 3, v8
	v_cmp_gt_u32_e64 s[4:5], 8, v8
	v_ffbh_u32_e32 v8, v6
	v_min_u32_e32 v11, 32, v8
	v_subrev_u32_e32 v8, 28, v11
	v_lshlrev_b64 v[8:9], v8, v[55:56]
	v_sub_u32_e32 v9, 29, v11
	v_and_b32_e32 v8, 7, v8
	v_cndmask_b32_e64 v9, v10, v9, s[4:5]
	v_cndmask_b32_e64 v6, v6, v8, s[4:5]
	v_lshlrev_b32_e32 v7, 24, v7
	v_bfrev_b32_e32 v8, 60
	v_lshlrev_b32_e32 v6, 20, v6
	v_and_b32_e32 v7, 0x80000000, v7
	v_lshl_add_u32 v8, v9, 23, v8
	v_or3_b32 v6, v7, v8, v6
.LBB196_152:                            ;   in Loop: Header=BB196_10 Depth=1
	s_or_b64 exec, exec, s[36:37]
.LBB196_153:                            ;   in Loop: Header=BB196_10 Depth=1
	s_or_b64 exec, exec, s[34:35]
.LBB196_154:                            ;   in Loop: Header=BB196_10 Depth=1
	s_or_b64 exec, exec, s[16:17]
	global_load_ubyte v7, v[53:54], off offset:1536
	s_waitcnt vmcnt(0)
	v_cmp_ne_u16_e64 s[4:5], 0, v7
	s_and_saveexec_b64 s[16:17], s[4:5]
	s_cbranch_execz .LBB196_160
; %bb.155:                              ;   in Loop: Header=BB196_10 Depth=1
	v_cmp_ne_u16_e64 s[4:5], s41, v7
	v_bfrev_b32_e32 v5, 1
	s_and_saveexec_b64 s[34:35], s[4:5]
	s_cbranch_execz .LBB196_159
; %bb.156:                              ;   in Loop: Header=BB196_10 Depth=1
	v_and_b32_e32 v55, 0xffff, v7
	v_and_b32_e32 v8, 0x7f, v55
	v_cmp_ne_u32_e64 s[4:5], s42, v8
	v_mov_b32_e32 v5, 0x7f800001
	s_and_saveexec_b64 s[36:37], s[4:5]
	s_cbranch_execz .LBB196_158
; %bb.157:                              ;   in Loop: Header=BB196_10 Depth=1
	v_and_b32_e32 v5, 7, v55
	v_lshrrev_b32_e32 v10, 3, v8
	v_cmp_gt_u32_e64 s[4:5], 8, v8
	v_ffbh_u32_e32 v8, v5
	v_min_u32_e32 v11, 32, v8
	v_subrev_u32_e32 v8, 28, v11
	v_lshlrev_b64 v[8:9], v8, v[55:56]
	v_sub_u32_e32 v9, 29, v11
	v_and_b32_e32 v8, 7, v8
	v_cndmask_b32_e64 v9, v10, v9, s[4:5]
	v_cndmask_b32_e64 v5, v5, v8, s[4:5]
	v_lshlrev_b32_e32 v7, 24, v7
	v_bfrev_b32_e32 v8, 60
	v_lshlrev_b32_e32 v5, 20, v5
	v_and_b32_e32 v7, 0x80000000, v7
	v_lshl_add_u32 v8, v9, 23, v8
	v_or3_b32 v5, v7, v8, v5
.LBB196_158:                            ;   in Loop: Header=BB196_10 Depth=1
	s_or_b64 exec, exec, s[36:37]
.LBB196_159:                            ;   in Loop: Header=BB196_10 Depth=1
	s_or_b64 exec, exec, s[34:35]
.LBB196_160:                            ;   in Loop: Header=BB196_10 Depth=1
	s_or_b64 exec, exec, s[16:17]
	global_load_ubyte v9, v[53:54], off offset:1540
	v_mov_b32_e32 v7, 0
	v_mov_b32_e32 v8, 0
	s_waitcnt vmcnt(0)
	v_cmp_ne_u16_e64 s[4:5], 0, v9
	s_and_saveexec_b64 s[16:17], s[4:5]
	s_cbranch_execz .LBB196_166
; %bb.161:                              ;   in Loop: Header=BB196_10 Depth=1
	v_cmp_ne_u16_e64 s[4:5], s41, v9
	v_bfrev_b32_e32 v8, 1
	s_and_saveexec_b64 s[34:35], s[4:5]
	s_cbranch_execz .LBB196_165
; %bb.162:                              ;   in Loop: Header=BB196_10 Depth=1
	v_and_b32_e32 v55, 0xffff, v9
	v_and_b32_e32 v10, 0x7f, v55
	v_cmp_ne_u32_e64 s[4:5], s42, v10
	v_mov_b32_e32 v8, 0x7f800001
	s_and_saveexec_b64 s[36:37], s[4:5]
	s_cbranch_execz .LBB196_164
; %bb.163:                              ;   in Loop: Header=BB196_10 Depth=1
	v_and_b32_e32 v8, 7, v55
	v_lshrrev_b32_e32 v12, 3, v10
	v_cmp_gt_u32_e64 s[4:5], 8, v10
	v_ffbh_u32_e32 v10, v8
	v_min_u32_e32 v13, 32, v10
	v_subrev_u32_e32 v10, 28, v13
	v_lshlrev_b64 v[10:11], v10, v[55:56]
	v_sub_u32_e32 v11, 29, v13
	v_and_b32_e32 v10, 7, v10
	v_cndmask_b32_e64 v11, v12, v11, s[4:5]
	v_cndmask_b32_e64 v8, v8, v10, s[4:5]
	v_lshlrev_b32_e32 v9, 24, v9
	v_bfrev_b32_e32 v10, 60
	v_lshlrev_b32_e32 v8, 20, v8
	v_and_b32_e32 v9, 0x80000000, v9
	v_lshl_add_u32 v10, v11, 23, v10
	v_or3_b32 v8, v9, v10, v8
.LBB196_164:                            ;   in Loop: Header=BB196_10 Depth=1
	s_or_b64 exec, exec, s[36:37]
.LBB196_165:                            ;   in Loop: Header=BB196_10 Depth=1
	s_or_b64 exec, exec, s[34:35]
.LBB196_166:                            ;   in Loop: Header=BB196_10 Depth=1
	s_or_b64 exec, exec, s[16:17]
	global_load_ubyte v9, v[53:54], off offset:1544
	s_waitcnt vmcnt(0)
	v_cmp_ne_u16_e64 s[4:5], 0, v9
	s_and_saveexec_b64 s[16:17], s[4:5]
	s_cbranch_execz .LBB196_172
; %bb.167:                              ;   in Loop: Header=BB196_10 Depth=1
	v_cmp_ne_u16_e64 s[4:5], s41, v9
	v_bfrev_b32_e32 v7, 1
	s_and_saveexec_b64 s[34:35], s[4:5]
	s_cbranch_execz .LBB196_171
; %bb.168:                              ;   in Loop: Header=BB196_10 Depth=1
	v_and_b32_e32 v55, 0xffff, v9
	v_and_b32_e32 v10, 0x7f, v55
	v_cmp_ne_u32_e64 s[4:5], s42, v10
	v_mov_b32_e32 v7, 0x7f800001
	s_and_saveexec_b64 s[36:37], s[4:5]
	s_cbranch_execz .LBB196_170
; %bb.169:                              ;   in Loop: Header=BB196_10 Depth=1
	v_and_b32_e32 v7, 7, v55
	v_lshrrev_b32_e32 v12, 3, v10
	v_cmp_gt_u32_e64 s[4:5], 8, v10
	v_ffbh_u32_e32 v10, v7
	v_min_u32_e32 v13, 32, v10
	v_subrev_u32_e32 v10, 28, v13
	v_lshlrev_b64 v[10:11], v10, v[55:56]
	v_sub_u32_e32 v11, 29, v13
	v_and_b32_e32 v10, 7, v10
	v_cndmask_b32_e64 v11, v12, v11, s[4:5]
	v_cndmask_b32_e64 v7, v7, v10, s[4:5]
	v_lshlrev_b32_e32 v9, 24, v9
	v_bfrev_b32_e32 v10, 60
	v_lshlrev_b32_e32 v7, 20, v7
	v_and_b32_e32 v9, 0x80000000, v9
	v_lshl_add_u32 v10, v11, 23, v10
	v_or3_b32 v7, v9, v10, v7
.LBB196_170:                            ;   in Loop: Header=BB196_10 Depth=1
	s_or_b64 exec, exec, s[36:37]
.LBB196_171:                            ;   in Loop: Header=BB196_10 Depth=1
	s_or_b64 exec, exec, s[34:35]
.LBB196_172:                            ;   in Loop: Header=BB196_10 Depth=1
	s_or_b64 exec, exec, s[16:17]
	global_load_ubyte v11, v[53:54], off offset:1548
	v_mov_b32_e32 v9, 0
	v_mov_b32_e32 v10, 0
	s_waitcnt vmcnt(0)
	v_cmp_ne_u16_e64 s[4:5], 0, v11
	s_and_saveexec_b64 s[16:17], s[4:5]
	s_cbranch_execz .LBB196_178
; %bb.173:                              ;   in Loop: Header=BB196_10 Depth=1
	v_cmp_ne_u16_e64 s[4:5], s41, v11
	v_bfrev_b32_e32 v10, 1
	s_and_saveexec_b64 s[34:35], s[4:5]
	s_cbranch_execz .LBB196_177
; %bb.174:                              ;   in Loop: Header=BB196_10 Depth=1
	v_and_b32_e32 v55, 0xffff, v11
	v_and_b32_e32 v12, 0x7f, v55
	v_cmp_ne_u32_e64 s[4:5], s42, v12
	v_mov_b32_e32 v10, 0x7f800001
	s_and_saveexec_b64 s[36:37], s[4:5]
	s_cbranch_execz .LBB196_176
; %bb.175:                              ;   in Loop: Header=BB196_10 Depth=1
	v_and_b32_e32 v10, 7, v55
	v_lshrrev_b32_e32 v14, 3, v12
	v_cmp_gt_u32_e64 s[4:5], 8, v12
	v_ffbh_u32_e32 v12, v10
	v_min_u32_e32 v15, 32, v12
	v_subrev_u32_e32 v12, 28, v15
	v_lshlrev_b64 v[12:13], v12, v[55:56]
	v_sub_u32_e32 v13, 29, v15
	v_and_b32_e32 v12, 7, v12
	v_cndmask_b32_e64 v13, v14, v13, s[4:5]
	v_cndmask_b32_e64 v10, v10, v12, s[4:5]
	v_lshlrev_b32_e32 v11, 24, v11
	v_bfrev_b32_e32 v12, 60
	v_lshlrev_b32_e32 v10, 20, v10
	v_and_b32_e32 v11, 0x80000000, v11
	v_lshl_add_u32 v12, v13, 23, v12
	v_or3_b32 v10, v11, v12, v10
.LBB196_176:                            ;   in Loop: Header=BB196_10 Depth=1
	s_or_b64 exec, exec, s[36:37]
.LBB196_177:                            ;   in Loop: Header=BB196_10 Depth=1
	s_or_b64 exec, exec, s[34:35]
.LBB196_178:                            ;   in Loop: Header=BB196_10 Depth=1
	s_or_b64 exec, exec, s[16:17]
	global_load_ubyte v11, v[53:54], off offset:1792
	s_waitcnt vmcnt(0)
	v_cmp_ne_u16_e64 s[4:5], 0, v11
	s_and_saveexec_b64 s[16:17], s[4:5]
	s_cbranch_execz .LBB196_184
; %bb.179:                              ;   in Loop: Header=BB196_10 Depth=1
	v_cmp_ne_u16_e64 s[4:5], s41, v11
	v_bfrev_b32_e32 v9, 1
	s_and_saveexec_b64 s[34:35], s[4:5]
	s_cbranch_execz .LBB196_183
; %bb.180:                              ;   in Loop: Header=BB196_10 Depth=1
	v_and_b32_e32 v55, 0xffff, v11
	v_and_b32_e32 v12, 0x7f, v55
	v_cmp_ne_u32_e64 s[4:5], s42, v12
	v_mov_b32_e32 v9, 0x7f800001
	s_and_saveexec_b64 s[36:37], s[4:5]
	s_cbranch_execz .LBB196_182
; %bb.181:                              ;   in Loop: Header=BB196_10 Depth=1
	v_and_b32_e32 v9, 7, v55
	v_lshrrev_b32_e32 v14, 3, v12
	v_cmp_gt_u32_e64 s[4:5], 8, v12
	v_ffbh_u32_e32 v12, v9
	v_min_u32_e32 v15, 32, v12
	v_subrev_u32_e32 v12, 28, v15
	v_lshlrev_b64 v[12:13], v12, v[55:56]
	v_sub_u32_e32 v13, 29, v15
	v_and_b32_e32 v12, 7, v12
	v_cndmask_b32_e64 v13, v14, v13, s[4:5]
	v_cndmask_b32_e64 v9, v9, v12, s[4:5]
	v_lshlrev_b32_e32 v11, 24, v11
	v_bfrev_b32_e32 v12, 60
	v_lshlrev_b32_e32 v9, 20, v9
	v_and_b32_e32 v11, 0x80000000, v11
	v_lshl_add_u32 v12, v13, 23, v12
	v_or3_b32 v9, v11, v12, v9
.LBB196_182:                            ;   in Loop: Header=BB196_10 Depth=1
	s_or_b64 exec, exec, s[36:37]
.LBB196_183:                            ;   in Loop: Header=BB196_10 Depth=1
	s_or_b64 exec, exec, s[34:35]
.LBB196_184:                            ;   in Loop: Header=BB196_10 Depth=1
	s_or_b64 exec, exec, s[16:17]
	global_load_ubyte v13, v[53:54], off offset:1796
	v_mov_b32_e32 v11, 0
	v_mov_b32_e32 v12, 0
	s_waitcnt vmcnt(0)
	v_cmp_ne_u16_e64 s[4:5], 0, v13
	s_and_saveexec_b64 s[16:17], s[4:5]
	s_cbranch_execz .LBB196_190
; %bb.185:                              ;   in Loop: Header=BB196_10 Depth=1
	v_cmp_ne_u16_e64 s[4:5], s41, v13
	v_bfrev_b32_e32 v12, 1
	s_and_saveexec_b64 s[34:35], s[4:5]
	s_cbranch_execz .LBB196_189
; %bb.186:                              ;   in Loop: Header=BB196_10 Depth=1
	v_and_b32_e32 v55, 0xffff, v13
	v_and_b32_e32 v14, 0x7f, v55
	v_cmp_ne_u32_e64 s[4:5], s42, v14
	v_mov_b32_e32 v12, 0x7f800001
	s_and_saveexec_b64 s[36:37], s[4:5]
	s_cbranch_execz .LBB196_188
; %bb.187:                              ;   in Loop: Header=BB196_10 Depth=1
	v_and_b32_e32 v12, 7, v55
	v_lshrrev_b32_e32 v16, 3, v14
	v_cmp_gt_u32_e64 s[4:5], 8, v14
	v_ffbh_u32_e32 v14, v12
	v_min_u32_e32 v17, 32, v14
	v_subrev_u32_e32 v14, 28, v17
	v_lshlrev_b64 v[14:15], v14, v[55:56]
	v_sub_u32_e32 v15, 29, v17
	v_and_b32_e32 v14, 7, v14
	v_cndmask_b32_e64 v15, v16, v15, s[4:5]
	v_cndmask_b32_e64 v12, v12, v14, s[4:5]
	v_lshlrev_b32_e32 v13, 24, v13
	v_bfrev_b32_e32 v14, 60
	v_lshlrev_b32_e32 v12, 20, v12
	v_and_b32_e32 v13, 0x80000000, v13
	v_lshl_add_u32 v14, v15, 23, v14
	v_or3_b32 v12, v13, v14, v12
.LBB196_188:                            ;   in Loop: Header=BB196_10 Depth=1
	s_or_b64 exec, exec, s[36:37]
.LBB196_189:                            ;   in Loop: Header=BB196_10 Depth=1
	s_or_b64 exec, exec, s[34:35]
.LBB196_190:                            ;   in Loop: Header=BB196_10 Depth=1
	s_or_b64 exec, exec, s[16:17]
	global_load_ubyte v13, v[53:54], off offset:1800
	s_waitcnt vmcnt(0)
	v_cmp_ne_u16_e64 s[4:5], 0, v13
	s_and_saveexec_b64 s[16:17], s[4:5]
	s_cbranch_execz .LBB196_196
; %bb.191:                              ;   in Loop: Header=BB196_10 Depth=1
	v_cmp_ne_u16_e64 s[4:5], s41, v13
	v_bfrev_b32_e32 v11, 1
	s_and_saveexec_b64 s[34:35], s[4:5]
	s_cbranch_execz .LBB196_195
; %bb.192:                              ;   in Loop: Header=BB196_10 Depth=1
	v_and_b32_e32 v55, 0xffff, v13
	v_and_b32_e32 v14, 0x7f, v55
	v_cmp_ne_u32_e64 s[4:5], s42, v14
	v_mov_b32_e32 v11, 0x7f800001
	s_and_saveexec_b64 s[36:37], s[4:5]
	s_cbranch_execz .LBB196_194
; %bb.193:                              ;   in Loop: Header=BB196_10 Depth=1
	v_and_b32_e32 v11, 7, v55
	v_lshrrev_b32_e32 v16, 3, v14
	v_cmp_gt_u32_e64 s[4:5], 8, v14
	v_ffbh_u32_e32 v14, v11
	v_min_u32_e32 v17, 32, v14
	v_subrev_u32_e32 v14, 28, v17
	v_lshlrev_b64 v[14:15], v14, v[55:56]
	v_sub_u32_e32 v15, 29, v17
	v_and_b32_e32 v14, 7, v14
	v_cndmask_b32_e64 v15, v16, v15, s[4:5]
	v_cndmask_b32_e64 v11, v11, v14, s[4:5]
	v_lshlrev_b32_e32 v13, 24, v13
	v_bfrev_b32_e32 v14, 60
	v_lshlrev_b32_e32 v11, 20, v11
	v_and_b32_e32 v13, 0x80000000, v13
	v_lshl_add_u32 v14, v15, 23, v14
	v_or3_b32 v11, v13, v14, v11
.LBB196_194:                            ;   in Loop: Header=BB196_10 Depth=1
	s_or_b64 exec, exec, s[36:37]
.LBB196_195:                            ;   in Loop: Header=BB196_10 Depth=1
	s_or_b64 exec, exec, s[34:35]
.LBB196_196:                            ;   in Loop: Header=BB196_10 Depth=1
	s_or_b64 exec, exec, s[16:17]
	global_load_ubyte v15, v[53:54], off offset:1804
	v_mov_b32_e32 v13, 0
	v_mov_b32_e32 v14, 0
	s_waitcnt vmcnt(0)
	v_cmp_ne_u16_e64 s[4:5], 0, v15
	s_and_saveexec_b64 s[16:17], s[4:5]
	s_cbranch_execz .LBB196_202
; %bb.197:                              ;   in Loop: Header=BB196_10 Depth=1
	v_cmp_ne_u16_e64 s[4:5], s41, v15
	v_bfrev_b32_e32 v14, 1
	s_and_saveexec_b64 s[34:35], s[4:5]
	s_cbranch_execz .LBB196_201
; %bb.198:                              ;   in Loop: Header=BB196_10 Depth=1
	v_and_b32_e32 v55, 0xffff, v15
	v_and_b32_e32 v16, 0x7f, v55
	v_cmp_ne_u32_e64 s[4:5], s42, v16
	v_mov_b32_e32 v14, 0x7f800001
	s_and_saveexec_b64 s[36:37], s[4:5]
	s_cbranch_execz .LBB196_200
; %bb.199:                              ;   in Loop: Header=BB196_10 Depth=1
	v_and_b32_e32 v14, 7, v55
	v_lshrrev_b32_e32 v18, 3, v16
	v_cmp_gt_u32_e64 s[4:5], 8, v16
	v_ffbh_u32_e32 v16, v14
	v_min_u32_e32 v19, 32, v16
	v_subrev_u32_e32 v16, 28, v19
	v_lshlrev_b64 v[16:17], v16, v[55:56]
	v_sub_u32_e32 v17, 29, v19
	v_and_b32_e32 v16, 7, v16
	v_cndmask_b32_e64 v17, v18, v17, s[4:5]
	v_cndmask_b32_e64 v14, v14, v16, s[4:5]
	v_lshlrev_b32_e32 v15, 24, v15
	v_bfrev_b32_e32 v16, 60
	v_lshlrev_b32_e32 v14, 20, v14
	v_and_b32_e32 v15, 0x80000000, v15
	v_lshl_add_u32 v16, v17, 23, v16
	v_or3_b32 v14, v15, v16, v14
.LBB196_200:                            ;   in Loop: Header=BB196_10 Depth=1
	s_or_b64 exec, exec, s[36:37]
.LBB196_201:                            ;   in Loop: Header=BB196_10 Depth=1
	s_or_b64 exec, exec, s[34:35]
.LBB196_202:                            ;   in Loop: Header=BB196_10 Depth=1
	s_or_b64 exec, exec, s[16:17]
	global_load_ubyte v15, v[53:54], off offset:2048
	s_waitcnt vmcnt(0)
	v_cmp_ne_u16_e64 s[4:5], 0, v15
	s_and_saveexec_b64 s[16:17], s[4:5]
	s_cbranch_execz .LBB196_208
; %bb.203:                              ;   in Loop: Header=BB196_10 Depth=1
	v_cmp_ne_u16_e64 s[4:5], s41, v15
	v_bfrev_b32_e32 v13, 1
	s_and_saveexec_b64 s[34:35], s[4:5]
	s_cbranch_execz .LBB196_207
; %bb.204:                              ;   in Loop: Header=BB196_10 Depth=1
	v_and_b32_e32 v55, 0xffff, v15
	v_and_b32_e32 v16, 0x7f, v55
	v_cmp_ne_u32_e64 s[4:5], s42, v16
	v_mov_b32_e32 v13, 0x7f800001
	s_and_saveexec_b64 s[36:37], s[4:5]
	s_cbranch_execz .LBB196_206
; %bb.205:                              ;   in Loop: Header=BB196_10 Depth=1
	v_and_b32_e32 v13, 7, v55
	v_lshrrev_b32_e32 v18, 3, v16
	v_cmp_gt_u32_e64 s[4:5], 8, v16
	v_ffbh_u32_e32 v16, v13
	v_min_u32_e32 v19, 32, v16
	v_subrev_u32_e32 v16, 28, v19
	v_lshlrev_b64 v[16:17], v16, v[55:56]
	v_sub_u32_e32 v17, 29, v19
	v_and_b32_e32 v16, 7, v16
	v_cndmask_b32_e64 v17, v18, v17, s[4:5]
	v_cndmask_b32_e64 v13, v13, v16, s[4:5]
	v_lshlrev_b32_e32 v15, 24, v15
	v_bfrev_b32_e32 v16, 60
	v_lshlrev_b32_e32 v13, 20, v13
	v_and_b32_e32 v15, 0x80000000, v15
	v_lshl_add_u32 v16, v17, 23, v16
	v_or3_b32 v13, v15, v16, v13
.LBB196_206:                            ;   in Loop: Header=BB196_10 Depth=1
	s_or_b64 exec, exec, s[36:37]
.LBB196_207:                            ;   in Loop: Header=BB196_10 Depth=1
	s_or_b64 exec, exec, s[34:35]
.LBB196_208:                            ;   in Loop: Header=BB196_10 Depth=1
	s_or_b64 exec, exec, s[16:17]
	global_load_ubyte v17, v[53:54], off offset:2052
	v_mov_b32_e32 v15, 0
	v_mov_b32_e32 v16, 0
	s_waitcnt vmcnt(0)
	v_cmp_ne_u16_e64 s[4:5], 0, v17
	s_and_saveexec_b64 s[16:17], s[4:5]
	s_cbranch_execz .LBB196_214
; %bb.209:                              ;   in Loop: Header=BB196_10 Depth=1
	v_cmp_ne_u16_e64 s[4:5], s41, v17
	v_bfrev_b32_e32 v16, 1
	s_and_saveexec_b64 s[34:35], s[4:5]
	s_cbranch_execz .LBB196_213
; %bb.210:                              ;   in Loop: Header=BB196_10 Depth=1
	v_and_b32_e32 v55, 0xffff, v17
	v_and_b32_e32 v18, 0x7f, v55
	v_cmp_ne_u32_e64 s[4:5], s42, v18
	v_mov_b32_e32 v16, 0x7f800001
	s_and_saveexec_b64 s[36:37], s[4:5]
	s_cbranch_execz .LBB196_212
; %bb.211:                              ;   in Loop: Header=BB196_10 Depth=1
	v_and_b32_e32 v16, 7, v55
	v_lshrrev_b32_e32 v20, 3, v18
	v_cmp_gt_u32_e64 s[4:5], 8, v18
	v_ffbh_u32_e32 v18, v16
	v_min_u32_e32 v21, 32, v18
	v_subrev_u32_e32 v18, 28, v21
	v_lshlrev_b64 v[18:19], v18, v[55:56]
	v_sub_u32_e32 v19, 29, v21
	v_and_b32_e32 v18, 7, v18
	v_cndmask_b32_e64 v19, v20, v19, s[4:5]
	v_cndmask_b32_e64 v16, v16, v18, s[4:5]
	v_lshlrev_b32_e32 v17, 24, v17
	v_bfrev_b32_e32 v18, 60
	v_lshlrev_b32_e32 v16, 20, v16
	v_and_b32_e32 v17, 0x80000000, v17
	v_lshl_add_u32 v18, v19, 23, v18
	v_or3_b32 v16, v17, v18, v16
.LBB196_212:                            ;   in Loop: Header=BB196_10 Depth=1
	s_or_b64 exec, exec, s[36:37]
.LBB196_213:                            ;   in Loop: Header=BB196_10 Depth=1
	s_or_b64 exec, exec, s[34:35]
.LBB196_214:                            ;   in Loop: Header=BB196_10 Depth=1
	s_or_b64 exec, exec, s[16:17]
	global_load_ubyte v17, v[53:54], off offset:2056
	s_waitcnt vmcnt(0)
	v_cmp_ne_u16_e64 s[4:5], 0, v17
	s_and_saveexec_b64 s[16:17], s[4:5]
	s_cbranch_execz .LBB196_220
; %bb.215:                              ;   in Loop: Header=BB196_10 Depth=1
	v_cmp_ne_u16_e64 s[4:5], s41, v17
	v_bfrev_b32_e32 v15, 1
	s_and_saveexec_b64 s[34:35], s[4:5]
	s_cbranch_execz .LBB196_219
; %bb.216:                              ;   in Loop: Header=BB196_10 Depth=1
	v_and_b32_e32 v55, 0xffff, v17
	v_and_b32_e32 v18, 0x7f, v55
	v_cmp_ne_u32_e64 s[4:5], s42, v18
	v_mov_b32_e32 v15, 0x7f800001
	s_and_saveexec_b64 s[36:37], s[4:5]
	s_cbranch_execz .LBB196_218
; %bb.217:                              ;   in Loop: Header=BB196_10 Depth=1
	v_and_b32_e32 v15, 7, v55
	v_lshrrev_b32_e32 v20, 3, v18
	v_cmp_gt_u32_e64 s[4:5], 8, v18
	v_ffbh_u32_e32 v18, v15
	v_min_u32_e32 v21, 32, v18
	v_subrev_u32_e32 v18, 28, v21
	v_lshlrev_b64 v[18:19], v18, v[55:56]
	v_sub_u32_e32 v19, 29, v21
	v_and_b32_e32 v18, 7, v18
	v_cndmask_b32_e64 v19, v20, v19, s[4:5]
	v_cndmask_b32_e64 v15, v15, v18, s[4:5]
	v_lshlrev_b32_e32 v17, 24, v17
	v_bfrev_b32_e32 v18, 60
	v_lshlrev_b32_e32 v15, 20, v15
	v_and_b32_e32 v17, 0x80000000, v17
	v_lshl_add_u32 v18, v19, 23, v18
	v_or3_b32 v15, v17, v18, v15
.LBB196_218:                            ;   in Loop: Header=BB196_10 Depth=1
	s_or_b64 exec, exec, s[36:37]
.LBB196_219:                            ;   in Loop: Header=BB196_10 Depth=1
	s_or_b64 exec, exec, s[34:35]
.LBB196_220:                            ;   in Loop: Header=BB196_10 Depth=1
	s_or_b64 exec, exec, s[16:17]
	global_load_ubyte v19, v[53:54], off offset:2060
	v_mov_b32_e32 v17, 0
	v_mov_b32_e32 v18, 0
	s_waitcnt vmcnt(0)
	v_cmp_ne_u16_e64 s[4:5], 0, v19
	s_and_saveexec_b64 s[16:17], s[4:5]
	s_cbranch_execz .LBB196_226
; %bb.221:                              ;   in Loop: Header=BB196_10 Depth=1
	v_cmp_ne_u16_e64 s[4:5], s41, v19
	v_bfrev_b32_e32 v18, 1
	s_and_saveexec_b64 s[34:35], s[4:5]
	s_cbranch_execz .LBB196_225
; %bb.222:                              ;   in Loop: Header=BB196_10 Depth=1
	v_and_b32_e32 v55, 0xffff, v19
	v_and_b32_e32 v20, 0x7f, v55
	v_cmp_ne_u32_e64 s[4:5], s42, v20
	v_mov_b32_e32 v18, 0x7f800001
	s_and_saveexec_b64 s[36:37], s[4:5]
	s_cbranch_execz .LBB196_224
; %bb.223:                              ;   in Loop: Header=BB196_10 Depth=1
	v_and_b32_e32 v18, 7, v55
	v_lshrrev_b32_e32 v22, 3, v20
	v_cmp_gt_u32_e64 s[4:5], 8, v20
	v_ffbh_u32_e32 v20, v18
	v_min_u32_e32 v23, 32, v20
	v_subrev_u32_e32 v20, 28, v23
	v_lshlrev_b64 v[20:21], v20, v[55:56]
	v_sub_u32_e32 v21, 29, v23
	v_and_b32_e32 v20, 7, v20
	v_cndmask_b32_e64 v21, v22, v21, s[4:5]
	v_cndmask_b32_e64 v18, v18, v20, s[4:5]
	v_lshlrev_b32_e32 v19, 24, v19
	v_bfrev_b32_e32 v20, 60
	v_lshlrev_b32_e32 v18, 20, v18
	v_and_b32_e32 v19, 0x80000000, v19
	v_lshl_add_u32 v20, v21, 23, v20
	v_or3_b32 v18, v19, v20, v18
.LBB196_224:                            ;   in Loop: Header=BB196_10 Depth=1
	s_or_b64 exec, exec, s[36:37]
.LBB196_225:                            ;   in Loop: Header=BB196_10 Depth=1
	s_or_b64 exec, exec, s[34:35]
.LBB196_226:                            ;   in Loop: Header=BB196_10 Depth=1
	s_or_b64 exec, exec, s[16:17]
	global_load_ubyte v19, v[53:54], off offset:2304
	s_waitcnt vmcnt(0)
	v_cmp_ne_u16_e64 s[4:5], 0, v19
	s_and_saveexec_b64 s[16:17], s[4:5]
	s_cbranch_execz .LBB196_232
; %bb.227:                              ;   in Loop: Header=BB196_10 Depth=1
	v_cmp_ne_u16_e64 s[4:5], s41, v19
	v_bfrev_b32_e32 v17, 1
	s_and_saveexec_b64 s[34:35], s[4:5]
	s_cbranch_execz .LBB196_231
; %bb.228:                              ;   in Loop: Header=BB196_10 Depth=1
	v_and_b32_e32 v55, 0xffff, v19
	v_and_b32_e32 v20, 0x7f, v55
	v_cmp_ne_u32_e64 s[4:5], s42, v20
	v_mov_b32_e32 v17, 0x7f800001
	s_and_saveexec_b64 s[36:37], s[4:5]
	s_cbranch_execz .LBB196_230
; %bb.229:                              ;   in Loop: Header=BB196_10 Depth=1
	v_and_b32_e32 v17, 7, v55
	v_lshrrev_b32_e32 v22, 3, v20
	v_cmp_gt_u32_e64 s[4:5], 8, v20
	v_ffbh_u32_e32 v20, v17
	v_min_u32_e32 v23, 32, v20
	v_subrev_u32_e32 v20, 28, v23
	v_lshlrev_b64 v[20:21], v20, v[55:56]
	v_sub_u32_e32 v21, 29, v23
	v_and_b32_e32 v20, 7, v20
	v_cndmask_b32_e64 v21, v22, v21, s[4:5]
	v_cndmask_b32_e64 v17, v17, v20, s[4:5]
	v_lshlrev_b32_e32 v19, 24, v19
	v_bfrev_b32_e32 v20, 60
	v_lshlrev_b32_e32 v17, 20, v17
	v_and_b32_e32 v19, 0x80000000, v19
	v_lshl_add_u32 v20, v21, 23, v20
	v_or3_b32 v17, v19, v20, v17
.LBB196_230:                            ;   in Loop: Header=BB196_10 Depth=1
	s_or_b64 exec, exec, s[36:37]
.LBB196_231:                            ;   in Loop: Header=BB196_10 Depth=1
	s_or_b64 exec, exec, s[34:35]
.LBB196_232:                            ;   in Loop: Header=BB196_10 Depth=1
	s_or_b64 exec, exec, s[16:17]
	global_load_ubyte v21, v[53:54], off offset:2308
	v_mov_b32_e32 v19, 0
	v_mov_b32_e32 v20, 0
	s_waitcnt vmcnt(0)
	v_cmp_ne_u16_e64 s[4:5], 0, v21
	s_and_saveexec_b64 s[16:17], s[4:5]
	s_cbranch_execz .LBB196_238
; %bb.233:                              ;   in Loop: Header=BB196_10 Depth=1
	v_cmp_ne_u16_e64 s[4:5], s41, v21
	v_bfrev_b32_e32 v20, 1
	s_and_saveexec_b64 s[34:35], s[4:5]
	s_cbranch_execz .LBB196_237
; %bb.234:                              ;   in Loop: Header=BB196_10 Depth=1
	v_and_b32_e32 v55, 0xffff, v21
	v_and_b32_e32 v22, 0x7f, v55
	v_cmp_ne_u32_e64 s[4:5], s42, v22
	v_mov_b32_e32 v20, 0x7f800001
	s_and_saveexec_b64 s[36:37], s[4:5]
	s_cbranch_execz .LBB196_236
; %bb.235:                              ;   in Loop: Header=BB196_10 Depth=1
	v_and_b32_e32 v20, 7, v55
	v_lshrrev_b32_e32 v24, 3, v22
	v_cmp_gt_u32_e64 s[4:5], 8, v22
	v_ffbh_u32_e32 v22, v20
	v_min_u32_e32 v25, 32, v22
	v_subrev_u32_e32 v22, 28, v25
	v_lshlrev_b64 v[22:23], v22, v[55:56]
	v_sub_u32_e32 v23, 29, v25
	v_and_b32_e32 v22, 7, v22
	v_cndmask_b32_e64 v23, v24, v23, s[4:5]
	v_cndmask_b32_e64 v20, v20, v22, s[4:5]
	v_lshlrev_b32_e32 v21, 24, v21
	v_bfrev_b32_e32 v22, 60
	v_lshlrev_b32_e32 v20, 20, v20
	v_and_b32_e32 v21, 0x80000000, v21
	v_lshl_add_u32 v22, v23, 23, v22
	v_or3_b32 v20, v21, v22, v20
.LBB196_236:                            ;   in Loop: Header=BB196_10 Depth=1
	s_or_b64 exec, exec, s[36:37]
.LBB196_237:                            ;   in Loop: Header=BB196_10 Depth=1
	s_or_b64 exec, exec, s[34:35]
.LBB196_238:                            ;   in Loop: Header=BB196_10 Depth=1
	s_or_b64 exec, exec, s[16:17]
	global_load_ubyte v21, v[53:54], off offset:2312
	s_waitcnt vmcnt(0)
	v_cmp_ne_u16_e64 s[4:5], 0, v21
	s_and_saveexec_b64 s[16:17], s[4:5]
	s_cbranch_execz .LBB196_244
; %bb.239:                              ;   in Loop: Header=BB196_10 Depth=1
	v_cmp_ne_u16_e64 s[4:5], s41, v21
	v_bfrev_b32_e32 v19, 1
	s_and_saveexec_b64 s[34:35], s[4:5]
	s_cbranch_execz .LBB196_243
; %bb.240:                              ;   in Loop: Header=BB196_10 Depth=1
	v_and_b32_e32 v55, 0xffff, v21
	v_and_b32_e32 v22, 0x7f, v55
	v_cmp_ne_u32_e64 s[4:5], s42, v22
	v_mov_b32_e32 v19, 0x7f800001
	s_and_saveexec_b64 s[36:37], s[4:5]
	s_cbranch_execz .LBB196_242
; %bb.241:                              ;   in Loop: Header=BB196_10 Depth=1
	v_and_b32_e32 v19, 7, v55
	v_lshrrev_b32_e32 v24, 3, v22
	v_cmp_gt_u32_e64 s[4:5], 8, v22
	v_ffbh_u32_e32 v22, v19
	v_min_u32_e32 v25, 32, v22
	v_subrev_u32_e32 v22, 28, v25
	v_lshlrev_b64 v[22:23], v22, v[55:56]
	v_sub_u32_e32 v23, 29, v25
	v_and_b32_e32 v22, 7, v22
	v_cndmask_b32_e64 v23, v24, v23, s[4:5]
	v_cndmask_b32_e64 v19, v19, v22, s[4:5]
	v_lshlrev_b32_e32 v21, 24, v21
	v_bfrev_b32_e32 v22, 60
	v_lshlrev_b32_e32 v19, 20, v19
	v_and_b32_e32 v21, 0x80000000, v21
	v_lshl_add_u32 v22, v23, 23, v22
	v_or3_b32 v19, v21, v22, v19
.LBB196_242:                            ;   in Loop: Header=BB196_10 Depth=1
	s_or_b64 exec, exec, s[36:37]
.LBB196_243:                            ;   in Loop: Header=BB196_10 Depth=1
	s_or_b64 exec, exec, s[34:35]
.LBB196_244:                            ;   in Loop: Header=BB196_10 Depth=1
	s_or_b64 exec, exec, s[16:17]
	global_load_ubyte v23, v[53:54], off offset:2316
	v_mov_b32_e32 v22, 0
	v_mov_b32_e32 v21, 0
	s_waitcnt vmcnt(0)
	v_cmp_ne_u16_e64 s[4:5], 0, v23
	s_and_saveexec_b64 s[16:17], s[4:5]
	s_cbranch_execz .LBB196_250
; %bb.245:                              ;   in Loop: Header=BB196_10 Depth=1
	v_cmp_ne_u16_e64 s[4:5], s41, v23
	v_bfrev_b32_e32 v21, 1
	s_and_saveexec_b64 s[34:35], s[4:5]
	s_cbranch_execz .LBB196_249
; %bb.246:                              ;   in Loop: Header=BB196_10 Depth=1
	v_and_b32_e32 v55, 0xffff, v23
	v_and_b32_e32 v24, 0x7f, v55
	v_cmp_ne_u32_e64 s[4:5], s42, v24
	v_mov_b32_e32 v21, 0x7f800001
	s_and_saveexec_b64 s[36:37], s[4:5]
	s_cbranch_execz .LBB196_248
; %bb.247:                              ;   in Loop: Header=BB196_10 Depth=1
	v_and_b32_e32 v21, 7, v55
	v_lshrrev_b32_e32 v26, 3, v24
	v_cmp_gt_u32_e64 s[4:5], 8, v24
	v_ffbh_u32_e32 v24, v21
	v_min_u32_e32 v27, 32, v24
	v_subrev_u32_e32 v24, 28, v27
	v_lshlrev_b64 v[24:25], v24, v[55:56]
	v_sub_u32_e32 v25, 29, v27
	v_and_b32_e32 v24, 7, v24
	v_cndmask_b32_e64 v25, v26, v25, s[4:5]
	v_cndmask_b32_e64 v21, v21, v24, s[4:5]
	v_lshlrev_b32_e32 v23, 24, v23
	v_bfrev_b32_e32 v24, 60
	v_lshlrev_b32_e32 v21, 20, v21
	v_and_b32_e32 v23, 0x80000000, v23
	v_lshl_add_u32 v24, v25, 23, v24
	v_or3_b32 v21, v23, v24, v21
.LBB196_248:                            ;   in Loop: Header=BB196_10 Depth=1
	s_or_b64 exec, exec, s[36:37]
.LBB196_249:                            ;   in Loop: Header=BB196_10 Depth=1
	s_or_b64 exec, exec, s[34:35]
.LBB196_250:                            ;   in Loop: Header=BB196_10 Depth=1
	s_or_b64 exec, exec, s[16:17]
	global_load_ubyte v23, v[53:54], off offset:2560
	s_waitcnt vmcnt(0)
	v_cmp_ne_u16_e64 s[4:5], 0, v23
	s_and_saveexec_b64 s[16:17], s[4:5]
	s_cbranch_execz .LBB196_256
; %bb.251:                              ;   in Loop: Header=BB196_10 Depth=1
	v_cmp_ne_u16_e64 s[4:5], s41, v23
	v_bfrev_b32_e32 v22, 1
	s_and_saveexec_b64 s[34:35], s[4:5]
	s_cbranch_execz .LBB196_255
; %bb.252:                              ;   in Loop: Header=BB196_10 Depth=1
	v_and_b32_e32 v55, 0xffff, v23
	v_and_b32_e32 v24, 0x7f, v55
	v_cmp_ne_u32_e64 s[4:5], s42, v24
	v_mov_b32_e32 v22, 0x7f800001
	s_and_saveexec_b64 s[36:37], s[4:5]
	s_cbranch_execz .LBB196_254
; %bb.253:                              ;   in Loop: Header=BB196_10 Depth=1
	v_and_b32_e32 v22, 7, v55
	v_lshrrev_b32_e32 v26, 3, v24
	v_cmp_gt_u32_e64 s[4:5], 8, v24
	v_ffbh_u32_e32 v24, v22
	v_min_u32_e32 v27, 32, v24
	v_subrev_u32_e32 v24, 28, v27
	v_lshlrev_b64 v[24:25], v24, v[55:56]
	v_sub_u32_e32 v25, 29, v27
	v_and_b32_e32 v24, 7, v24
	v_cndmask_b32_e64 v25, v26, v25, s[4:5]
	v_cndmask_b32_e64 v22, v22, v24, s[4:5]
	v_lshlrev_b32_e32 v23, 24, v23
	v_bfrev_b32_e32 v24, 60
	v_lshlrev_b32_e32 v22, 20, v22
	v_and_b32_e32 v23, 0x80000000, v23
	v_lshl_add_u32 v24, v25, 23, v24
	v_or3_b32 v22, v23, v24, v22
.LBB196_254:                            ;   in Loop: Header=BB196_10 Depth=1
	s_or_b64 exec, exec, s[36:37]
.LBB196_255:                            ;   in Loop: Header=BB196_10 Depth=1
	s_or_b64 exec, exec, s[34:35]
.LBB196_256:                            ;   in Loop: Header=BB196_10 Depth=1
	s_or_b64 exec, exec, s[16:17]
	global_load_ubyte v25, v[53:54], off offset:2564
	v_mov_b32_e32 v23, 0
	v_mov_b32_e32 v24, 0
	s_waitcnt vmcnt(0)
	v_cmp_ne_u16_e64 s[4:5], 0, v25
	s_and_saveexec_b64 s[16:17], s[4:5]
	s_cbranch_execz .LBB196_262
; %bb.257:                              ;   in Loop: Header=BB196_10 Depth=1
	v_cmp_ne_u16_e64 s[4:5], s41, v25
	v_bfrev_b32_e32 v24, 1
	s_and_saveexec_b64 s[34:35], s[4:5]
	s_cbranch_execz .LBB196_261
; %bb.258:                              ;   in Loop: Header=BB196_10 Depth=1
	v_and_b32_e32 v55, 0xffff, v25
	v_and_b32_e32 v26, 0x7f, v55
	v_cmp_ne_u32_e64 s[4:5], s42, v26
	v_mov_b32_e32 v24, 0x7f800001
	s_and_saveexec_b64 s[36:37], s[4:5]
	s_cbranch_execz .LBB196_260
; %bb.259:                              ;   in Loop: Header=BB196_10 Depth=1
	v_and_b32_e32 v24, 7, v55
	v_lshrrev_b32_e32 v28, 3, v26
	v_cmp_gt_u32_e64 s[4:5], 8, v26
	v_ffbh_u32_e32 v26, v24
	v_min_u32_e32 v29, 32, v26
	v_subrev_u32_e32 v26, 28, v29
	v_lshlrev_b64 v[26:27], v26, v[55:56]
	v_sub_u32_e32 v27, 29, v29
	v_and_b32_e32 v26, 7, v26
	v_cndmask_b32_e64 v27, v28, v27, s[4:5]
	v_cndmask_b32_e64 v24, v24, v26, s[4:5]
	v_lshlrev_b32_e32 v25, 24, v25
	v_bfrev_b32_e32 v26, 60
	v_lshlrev_b32_e32 v24, 20, v24
	v_and_b32_e32 v25, 0x80000000, v25
	v_lshl_add_u32 v26, v27, 23, v26
	v_or3_b32 v24, v25, v26, v24
.LBB196_260:                            ;   in Loop: Header=BB196_10 Depth=1
	s_or_b64 exec, exec, s[36:37]
.LBB196_261:                            ;   in Loop: Header=BB196_10 Depth=1
	s_or_b64 exec, exec, s[34:35]
.LBB196_262:                            ;   in Loop: Header=BB196_10 Depth=1
	s_or_b64 exec, exec, s[16:17]
	global_load_ubyte v25, v[53:54], off offset:2568
	s_waitcnt vmcnt(0)
	v_cmp_ne_u16_e64 s[4:5], 0, v25
	s_and_saveexec_b64 s[16:17], s[4:5]
	s_cbranch_execz .LBB196_268
; %bb.263:                              ;   in Loop: Header=BB196_10 Depth=1
	v_cmp_ne_u16_e64 s[4:5], s41, v25
	v_bfrev_b32_e32 v23, 1
	s_and_saveexec_b64 s[34:35], s[4:5]
	s_cbranch_execz .LBB196_267
; %bb.264:                              ;   in Loop: Header=BB196_10 Depth=1
	v_and_b32_e32 v55, 0xffff, v25
	v_and_b32_e32 v26, 0x7f, v55
	v_cmp_ne_u32_e64 s[4:5], s42, v26
	v_mov_b32_e32 v23, 0x7f800001
	s_and_saveexec_b64 s[36:37], s[4:5]
	s_cbranch_execz .LBB196_266
; %bb.265:                              ;   in Loop: Header=BB196_10 Depth=1
	v_and_b32_e32 v23, 7, v55
	v_lshrrev_b32_e32 v28, 3, v26
	v_cmp_gt_u32_e64 s[4:5], 8, v26
	v_ffbh_u32_e32 v26, v23
	v_min_u32_e32 v29, 32, v26
	v_subrev_u32_e32 v26, 28, v29
	v_lshlrev_b64 v[26:27], v26, v[55:56]
	v_sub_u32_e32 v27, 29, v29
	v_and_b32_e32 v26, 7, v26
	v_cndmask_b32_e64 v27, v28, v27, s[4:5]
	v_cndmask_b32_e64 v23, v23, v26, s[4:5]
	v_lshlrev_b32_e32 v25, 24, v25
	v_bfrev_b32_e32 v26, 60
	v_lshlrev_b32_e32 v23, 20, v23
	v_and_b32_e32 v25, 0x80000000, v25
	v_lshl_add_u32 v26, v27, 23, v26
	v_or3_b32 v23, v25, v26, v23
.LBB196_266:                            ;   in Loop: Header=BB196_10 Depth=1
	s_or_b64 exec, exec, s[36:37]
.LBB196_267:                            ;   in Loop: Header=BB196_10 Depth=1
	s_or_b64 exec, exec, s[34:35]
.LBB196_268:                            ;   in Loop: Header=BB196_10 Depth=1
	s_or_b64 exec, exec, s[16:17]
	global_load_ubyte v27, v[53:54], off offset:2572
	v_mov_b32_e32 v25, 0
	v_mov_b32_e32 v26, 0
	s_waitcnt vmcnt(0)
	v_cmp_ne_u16_e64 s[4:5], 0, v27
	s_and_saveexec_b64 s[16:17], s[4:5]
	s_cbranch_execz .LBB196_274
; %bb.269:                              ;   in Loop: Header=BB196_10 Depth=1
	v_cmp_ne_u16_e64 s[4:5], s41, v27
	v_bfrev_b32_e32 v26, 1
	s_and_saveexec_b64 s[34:35], s[4:5]
	s_cbranch_execz .LBB196_273
; %bb.270:                              ;   in Loop: Header=BB196_10 Depth=1
	v_and_b32_e32 v55, 0xffff, v27
	v_and_b32_e32 v28, 0x7f, v55
	v_cmp_ne_u32_e64 s[4:5], s42, v28
	v_mov_b32_e32 v26, 0x7f800001
	s_and_saveexec_b64 s[36:37], s[4:5]
	s_cbranch_execz .LBB196_272
; %bb.271:                              ;   in Loop: Header=BB196_10 Depth=1
	v_and_b32_e32 v26, 7, v55
	v_lshrrev_b32_e32 v30, 3, v28
	v_cmp_gt_u32_e64 s[4:5], 8, v28
	v_ffbh_u32_e32 v28, v26
	v_min_u32_e32 v31, 32, v28
	v_subrev_u32_e32 v28, 28, v31
	v_lshlrev_b64 v[28:29], v28, v[55:56]
	v_sub_u32_e32 v29, 29, v31
	v_and_b32_e32 v28, 7, v28
	v_cndmask_b32_e64 v29, v30, v29, s[4:5]
	v_cndmask_b32_e64 v26, v26, v28, s[4:5]
	v_lshlrev_b32_e32 v27, 24, v27
	v_bfrev_b32_e32 v28, 60
	v_lshlrev_b32_e32 v26, 20, v26
	v_and_b32_e32 v27, 0x80000000, v27
	v_lshl_add_u32 v28, v29, 23, v28
	v_or3_b32 v26, v27, v28, v26
.LBB196_272:                            ;   in Loop: Header=BB196_10 Depth=1
	s_or_b64 exec, exec, s[36:37]
.LBB196_273:                            ;   in Loop: Header=BB196_10 Depth=1
	s_or_b64 exec, exec, s[34:35]
.LBB196_274:                            ;   in Loop: Header=BB196_10 Depth=1
	s_or_b64 exec, exec, s[16:17]
	global_load_ubyte v27, v[53:54], off offset:2816
	s_waitcnt vmcnt(0)
	v_cmp_ne_u16_e64 s[4:5], 0, v27
	s_and_saveexec_b64 s[16:17], s[4:5]
	s_cbranch_execz .LBB196_280
; %bb.275:                              ;   in Loop: Header=BB196_10 Depth=1
	v_cmp_ne_u16_e64 s[4:5], s41, v27
	v_bfrev_b32_e32 v25, 1
	s_and_saveexec_b64 s[34:35], s[4:5]
	s_cbranch_execz .LBB196_279
; %bb.276:                              ;   in Loop: Header=BB196_10 Depth=1
	v_and_b32_e32 v55, 0xffff, v27
	v_and_b32_e32 v28, 0x7f, v55
	v_cmp_ne_u32_e64 s[4:5], s42, v28
	v_mov_b32_e32 v25, 0x7f800001
	s_and_saveexec_b64 s[36:37], s[4:5]
	s_cbranch_execz .LBB196_278
; %bb.277:                              ;   in Loop: Header=BB196_10 Depth=1
	v_and_b32_e32 v25, 7, v55
	v_lshrrev_b32_e32 v30, 3, v28
	v_cmp_gt_u32_e64 s[4:5], 8, v28
	v_ffbh_u32_e32 v28, v25
	v_min_u32_e32 v31, 32, v28
	v_subrev_u32_e32 v28, 28, v31
	v_lshlrev_b64 v[28:29], v28, v[55:56]
	v_sub_u32_e32 v29, 29, v31
	v_and_b32_e32 v28, 7, v28
	v_cndmask_b32_e64 v29, v30, v29, s[4:5]
	v_cndmask_b32_e64 v25, v25, v28, s[4:5]
	v_lshlrev_b32_e32 v27, 24, v27
	v_bfrev_b32_e32 v28, 60
	v_lshlrev_b32_e32 v25, 20, v25
	v_and_b32_e32 v27, 0x80000000, v27
	v_lshl_add_u32 v28, v29, 23, v28
	v_or3_b32 v25, v27, v28, v25
.LBB196_278:                            ;   in Loop: Header=BB196_10 Depth=1
	s_or_b64 exec, exec, s[36:37]
.LBB196_279:                            ;   in Loop: Header=BB196_10 Depth=1
	s_or_b64 exec, exec, s[34:35]
.LBB196_280:                            ;   in Loop: Header=BB196_10 Depth=1
	s_or_b64 exec, exec, s[16:17]
	global_load_ubyte v29, v[53:54], off offset:2820
	v_mov_b32_e32 v27, 0
	v_mov_b32_e32 v28, 0
	s_waitcnt vmcnt(0)
	v_cmp_ne_u16_e64 s[4:5], 0, v29
	s_and_saveexec_b64 s[16:17], s[4:5]
	s_cbranch_execz .LBB196_286
; %bb.281:                              ;   in Loop: Header=BB196_10 Depth=1
	v_cmp_ne_u16_e64 s[4:5], s41, v29
	v_bfrev_b32_e32 v28, 1
	s_and_saveexec_b64 s[34:35], s[4:5]
	s_cbranch_execz .LBB196_285
; %bb.282:                              ;   in Loop: Header=BB196_10 Depth=1
	v_and_b32_e32 v55, 0xffff, v29
	v_and_b32_e32 v30, 0x7f, v55
	v_cmp_ne_u32_e64 s[4:5], s42, v30
	v_mov_b32_e32 v28, 0x7f800001
	s_and_saveexec_b64 s[36:37], s[4:5]
	s_cbranch_execz .LBB196_284
; %bb.283:                              ;   in Loop: Header=BB196_10 Depth=1
	v_and_b32_e32 v28, 7, v55
	v_mov_b32_e32 v34, v35
	v_mov_b32_e32 v35, v32
	v_lshrrev_b32_e32 v32, 3, v30
	v_cmp_gt_u32_e64 s[4:5], 8, v30
	v_ffbh_u32_e32 v30, v28
	v_min_u32_e32 v33, 32, v30
	v_subrev_u32_e32 v30, 28, v33
	v_lshlrev_b64 v[30:31], v30, v[55:56]
	v_sub_u32_e32 v31, 29, v33
	v_and_b32_e32 v30, 7, v30
	v_cndmask_b32_e64 v31, v32, v31, s[4:5]
	v_cndmask_b32_e64 v28, v28, v30, s[4:5]
	v_lshlrev_b32_e32 v29, 24, v29
	v_bfrev_b32_e32 v30, 60
	v_lshlrev_b32_e32 v28, 20, v28
	v_and_b32_e32 v29, 0x80000000, v29
	v_lshl_add_u32 v30, v31, 23, v30
	v_mov_b32_e32 v32, v35
	v_mov_b32_e32 v35, v34
	v_or3_b32 v28, v29, v30, v28
.LBB196_284:                            ;   in Loop: Header=BB196_10 Depth=1
	s_or_b64 exec, exec, s[36:37]
.LBB196_285:                            ;   in Loop: Header=BB196_10 Depth=1
	s_or_b64 exec, exec, s[34:35]
.LBB196_286:                            ;   in Loop: Header=BB196_10 Depth=1
	s_or_b64 exec, exec, s[16:17]
	global_load_ubyte v29, v[53:54], off offset:2824
	s_waitcnt vmcnt(0)
	v_cmp_ne_u16_e64 s[4:5], 0, v29
	s_and_saveexec_b64 s[16:17], s[4:5]
	s_cbranch_execz .LBB196_292
; %bb.287:                              ;   in Loop: Header=BB196_10 Depth=1
	v_cmp_ne_u16_e64 s[4:5], s41, v29
	v_bfrev_b32_e32 v27, 1
	s_and_saveexec_b64 s[34:35], s[4:5]
	s_cbranch_execz .LBB196_291
; %bb.288:                              ;   in Loop: Header=BB196_10 Depth=1
	v_and_b32_e32 v55, 0xffff, v29
	v_and_b32_e32 v30, 0x7f, v55
	v_cmp_ne_u32_e64 s[4:5], s42, v30
	v_mov_b32_e32 v27, 0x7f800001
	s_and_saveexec_b64 s[36:37], s[4:5]
	s_cbranch_execz .LBB196_290
; %bb.289:                              ;   in Loop: Header=BB196_10 Depth=1
	v_and_b32_e32 v27, 7, v55
	v_mov_b32_e32 v34, v35
	v_mov_b32_e32 v35, v32
	v_lshrrev_b32_e32 v32, 3, v30
	v_cmp_gt_u32_e64 s[4:5], 8, v30
	v_ffbh_u32_e32 v30, v27
	v_min_u32_e32 v33, 32, v30
	v_subrev_u32_e32 v30, 28, v33
	v_lshlrev_b64 v[30:31], v30, v[55:56]
	v_sub_u32_e32 v31, 29, v33
	v_and_b32_e32 v30, 7, v30
	v_cndmask_b32_e64 v31, v32, v31, s[4:5]
	v_cndmask_b32_e64 v27, v27, v30, s[4:5]
	v_lshlrev_b32_e32 v29, 24, v29
	v_bfrev_b32_e32 v30, 60
	v_lshlrev_b32_e32 v27, 20, v27
	v_and_b32_e32 v29, 0x80000000, v29
	v_lshl_add_u32 v30, v31, 23, v30
	v_mov_b32_e32 v32, v35
	v_mov_b32_e32 v35, v34
	v_or3_b32 v27, v29, v30, v27
.LBB196_290:                            ;   in Loop: Header=BB196_10 Depth=1
	s_or_b64 exec, exec, s[36:37]
.LBB196_291:                            ;   in Loop: Header=BB196_10 Depth=1
	s_or_b64 exec, exec, s[34:35]
.LBB196_292:                            ;   in Loop: Header=BB196_10 Depth=1
	s_or_b64 exec, exec, s[16:17]
	global_load_ubyte v29, v[53:54], off offset:2828
	v_mov_b32_e32 v55, v32
	v_mov_b32_e32 v54, 0
	s_waitcnt vmcnt(0)
	v_cmp_ne_u16_e64 s[4:5], 0, v29
	s_and_saveexec_b64 s[16:17], s[4:5]
	s_cbranch_execz .LBB196_298
; %bb.293:                              ;   in Loop: Header=BB196_10 Depth=1
	v_cmp_ne_u16_e64 s[4:5], s41, v29
	v_bfrev_b32_e32 v54, 1
	s_and_saveexec_b64 s[34:35], s[4:5]
	s_cbranch_execz .LBB196_297
; %bb.294:                              ;   in Loop: Header=BB196_10 Depth=1
	v_and_b32_e32 v53, 0xffff, v29
	v_and_b32_e32 v30, 0x7f, v53
	v_cmp_ne_u32_e64 s[4:5], s42, v30
	v_mov_b32_e32 v54, 0x7f800001
	s_and_saveexec_b64 s[36:37], s[4:5]
	s_cbranch_execz .LBB196_296
; %bb.295:                              ;   in Loop: Header=BB196_10 Depth=1
	v_and_b32_e32 v32, 7, v53
	v_lshrrev_b32_e32 v33, 3, v30
	v_cmp_gt_u32_e64 s[4:5], 8, v30
	v_ffbh_u32_e32 v30, v32
	v_min_u32_e32 v34, 32, v30
	v_subrev_u32_e32 v30, 28, v34
	v_lshlrev_b64 v[30:31], v30, v[53:54]
	v_sub_u32_e32 v31, 29, v34
	v_and_b32_e32 v30, 7, v30
	v_cndmask_b32_e64 v31, v33, v31, s[4:5]
	v_cndmask_b32_e64 v30, v32, v30, s[4:5]
	v_lshlrev_b32_e32 v29, 24, v29
	v_bfrev_b32_e32 v32, 60
	v_lshlrev_b32_e32 v30, 20, v30
	v_and_b32_e32 v29, 0x80000000, v29
	v_lshl_add_u32 v31, v31, 23, v32
	v_or3_b32 v54, v29, v31, v30
.LBB196_296:                            ;   in Loop: Header=BB196_10 Depth=1
	s_or_b64 exec, exec, s[36:37]
.LBB196_297:                            ;   in Loop: Header=BB196_10 Depth=1
	s_or_b64 exec, exec, s[34:35]
.LBB196_298:                            ;   in Loop: Header=BB196_10 Depth=1
	s_or_b64 exec, exec, s[16:17]
	buffer_load_dword v29, off, s[44:47], 0 offset:4 ; 4-byte Folded Reload
	buffer_load_dword v30, off, s[44:47], 0 ; 4-byte Folded Reload
	buffer_load_dword v31, off, s[44:47], 0 offset:36 ; 4-byte Folded Reload
	buffer_load_dword v32, off, s[44:47], 0 offset:40 ; 4-byte Folded Reload
	;; [unrolled: 1-line block ×4, first 2 shown]
	s_waitcnt lgkmcnt(0)
	v_mul_f32_e32 v0, s39, v0
	s_waitcnt vmcnt(5)
	v_mul_f32_e32 v29, s39, v29
	s_waitcnt vmcnt(4)
	v_mul_f32_e32 v30, s39, v30
	s_waitcnt vmcnt(2)
	v_mul_f32_e32 v53, v32, v29
	v_fmac_f32_e32 v53, v31, v30
	v_mul_f32_e32 v29, s39, v55
	s_waitcnt vmcnt(1)
	v_fmac_f32_e32 v53, v33, v29
	buffer_load_dword v30, off, s[44:47], 0 offset:52 ; 4-byte Folded Reload
	buffer_load_dword v31, off, s[44:47], 0 offset:56 ; 4-byte Folded Reload
	;; [unrolled: 1-line block ×4, first 2 shown]
	v_mul_f32_e32 v29, s39, v35
	s_waitcnt vmcnt(4)
	v_fmac_f32_e32 v53, v34, v29
	v_mul_f32_e32 v29, s39, v36
	s_waitcnt vmcnt(3)
	v_fmac_f32_e32 v53, v30, v29
	buffer_load_dword v29, off, s[44:47], 0 offset:12 ; 4-byte Folded Reload
	s_waitcnt vmcnt(0)
	v_mul_f32_e32 v29, s39, v29
	v_fmac_f32_e32 v53, v31, v29
	buffer_load_dword v29, off, s[44:47], 0 offset:8 ; 4-byte Folded Reload
	s_waitcnt vmcnt(0)
	v_mul_f32_e32 v29, s39, v29
	;; [unrolled: 4-line block ×3, first 2 shown]
	v_fmac_f32_e32 v53, v33, v29
	buffer_load_dword v29, off, s[44:47], 0 offset:16 ; 4-byte Folded Reload
	buffer_load_dword v30, off, s[44:47], 0 offset:68 ; 4-byte Folded Reload
	;; [unrolled: 1-line block ×5, first 2 shown]
	s_waitcnt vmcnt(4)
	v_mul_f32_e32 v29, s39, v29
	s_waitcnt vmcnt(3)
	v_fmac_f32_e32 v53, v30, v29
	buffer_load_dword v29, off, s[44:47], 0 offset:28 ; 4-byte Folded Reload
	s_waitcnt vmcnt(0)
	v_mul_f32_e32 v29, s39, v29
	v_fmac_f32_e32 v53, v31, v29
	buffer_load_dword v29, off, s[44:47], 0 offset:24 ; 4-byte Folded Reload
	s_waitcnt vmcnt(0)
	v_mul_f32_e32 v29, s39, v29
	v_fmac_f32_e32 v53, v32, v29
	v_mul_f32_e32 v29, s39, v60
	v_fmac_f32_e32 v53, v33, v29
	buffer_load_dword v30, off, s[44:47], 0 offset:84 ; 4-byte Folded Reload
	buffer_load_dword v31, off, s[44:47], 0 offset:88 ; 4-byte Folded Reload
	;; [unrolled: 1-line block ×4, first 2 shown]
	v_mul_f32_e32 v29, s39, v50
	s_waitcnt vmcnt(3)
	v_fmac_f32_e32 v53, v30, v29
	v_mul_f32_e32 v29, s39, v62
	s_waitcnt vmcnt(2)
	v_fmac_f32_e32 v53, v31, v29
	;; [unrolled: 3-line block ×3, first 2 shown]
	buffer_load_dword v29, off, s[44:47], 0 offset:100 ; 4-byte Folded Reload
	buffer_load_dword v30, off, s[44:47], 0 offset:104 ; 4-byte Folded Reload
	;; [unrolled: 1-line block ×4, first 2 shown]
	s_waitcnt vmcnt(4)
	v_fmac_f32_e32 v53, v33, v0
	v_mul_f32_e32 v0, s39, v57
	s_waitcnt vmcnt(3)
	v_fmac_f32_e32 v53, v29, v0
	v_mul_f32_e32 v0, s39, v49
	;; [unrolled: 3-line block ×4, first 2 shown]
	s_waitcnt vmcnt(0)
	v_fmac_f32_e32 v53, v32, v0
	buffer_load_dword v29, off, s[44:47], 0 offset:116 ; 4-byte Folded Reload
	buffer_load_dword v30, off, s[44:47], 0 offset:120 ; 4-byte Folded Reload
	;; [unrolled: 1-line block ×4, first 2 shown]
	v_mul_f32_e32 v0, s39, v1
	s_waitcnt vmcnt(3)
	v_fmac_f32_e32 v53, v29, v0
	v_mul_f32_e32 v0, s39, v4
	s_waitcnt vmcnt(2)
	v_fmac_f32_e32 v53, v30, v0
	v_mul_f32_e32 v0, s39, v3
	buffer_load_dword v1, off, s[44:47], 0 offset:132 ; 4-byte Folded Reload
	buffer_load_dword v2, off, s[44:47], 0 offset:136 ; 4-byte Folded Reload
	;; [unrolled: 1-line block ×4, first 2 shown]
	s_waitcnt vmcnt(5)
	v_fmac_f32_e32 v53, v31, v0
	v_mul_f32_e32 v0, s39, v6
	s_waitcnt vmcnt(4)
	v_fmac_f32_e32 v53, v32, v0
	v_mul_f32_e32 v0, s39, v5
	v_mul_f32_e32 v6, s39, v22
	;; [unrolled: 1-line block ×3, first 2 shown]
	s_waitcnt vmcnt(3)
	v_fmac_f32_e32 v53, v1, v0
	v_mul_f32_e32 v0, s39, v8
	s_waitcnt vmcnt(2)
	v_fmac_f32_e32 v53, v2, v0
	v_mul_f32_e32 v0, s39, v7
	;; [unrolled: 3-line block ×3, first 2 shown]
	s_waitcnt vmcnt(0)
	v_fmac_f32_e32 v53, v4, v0
	buffer_load_dword v1, off, s[44:47], 0 offset:148 ; 4-byte Folded Reload
	buffer_load_dword v2, off, s[44:47], 0 offset:152 ; 4-byte Folded Reload
	;; [unrolled: 1-line block ×4, first 2 shown]
	v_mul_f32_e32 v0, s39, v9
	v_mul_f32_e32 v7, s39, v21
	;; [unrolled: 1-line block ×3, first 2 shown]
	s_waitcnt vmcnt(3)
	v_fmac_f32_e32 v53, v1, v0
	v_mul_f32_e32 v0, s39, v12
	s_waitcnt vmcnt(2)
	v_fmac_f32_e32 v53, v2, v0
	v_mul_f32_e32 v0, s39, v11
	s_waitcnt vmcnt(1)
	v_fmac_f32_e32 v53, v3, v0
	v_mul_f32_e32 v0, s39, v14
	s_waitcnt vmcnt(0)
	v_fmac_f32_e32 v53, v4, v0
	buffer_load_dword v1, off, s[44:47], 0 offset:164 ; 4-byte Folded Reload
	buffer_load_dword v2, off, s[44:47], 0 offset:168 ; 4-byte Folded Reload
	;; [unrolled: 1-line block ×4, first 2 shown]
	v_mul_f32_e32 v0, s39, v13
	s_waitcnt vmcnt(3)
	v_fmac_f32_e32 v53, v1, v0
	v_mul_f32_e32 v0, s39, v16
	s_waitcnt vmcnt(2)
	v_fmac_f32_e32 v53, v2, v0
	;; [unrolled: 3-line block ×4, first 2 shown]
	v_mul_f32_e32 v0, s39, v17
	v_fmac_f32_e32 v53, v37, v0
	v_mul_f32_e32 v0, s39, v20
	v_fmac_f32_e32 v53, v38, v0
	;; [unrolled: 2-line block ×3, first 2 shown]
	v_fmac_f32_e32 v53, v40, v7
	v_fmac_f32_e32 v53, v41, v6
	v_mul_f32_e32 v4, s39, v23
	v_fmac_f32_e32 v53, v42, v5
	v_mul_f32_e32 v3, s39, v26
	;; [unrolled: 2-line block ×5, first 2 shown]
	v_fmac_f32_e32 v53, v46, v1
	v_fmac_f32_e32 v53, v47, v0
	buffer_load_dword v0, off, s[44:47], 0 offset:180 ; 4-byte Folded Reload
	buffer_load_dword v1, off, s[44:47], 0 offset:188 ; 4-byte Folded Reload
	v_fmac_f32_e32 v53, v48, v8
	s_waitcnt vmcnt(1)
	ds_bpermute_b32 v0, v0, v53
	s_waitcnt lgkmcnt(0)
	v_add_f32_e32 v0, v53, v0
	s_waitcnt vmcnt(0)
	ds_bpermute_b32 v1, v1, v0
	s_and_saveexec_b64 s[16:17], vcc
	s_cbranch_execz .LBB196_9
; %bb.299:                              ;   in Loop: Header=BB196_10 Depth=1
	buffer_load_dword v3, off, s[44:47], 0 offset:32 ; 4-byte Folded Reload
	v_add_u32_e32 v2, s40, v61
	v_cvt_f32_i32_e32 v2, v2
	s_waitcnt lgkmcnt(0)
	v_add_f32_e32 v0, v0, v1
	v_cmp_gt_i32_e64 s[4:5], s30, v61
	v_mul_f32_e32 v2, s33, v2
	v_cndmask_b32_e64 v2, 0, v2, s[2:3]
	v_fmac_f32_e32 v2, s31, v0
	v_cndmask_b32_e64 v0, 0, v2, s[4:5]
	ds_write_b32 v56, v0
	s_waitcnt vmcnt(0)
	v_max_f32_e32 v1, v3, v3
	v_max_f32_e32 v0, v1, v2
	v_cndmask_b32_e64 v3, v3, v0, s[4:5]
	buffer_store_dword v3, off, s[44:47], 0 offset:32 ; 4-byte Folded Spill
	s_branch .LBB196_9
.LBB196_300:
	s_or_b64 exec, exec, s[14:15]
	buffer_load_dword v16, off, s[44:47], 0 offset:200 ; 4-byte Folded Reload
	buffer_load_dword v14, off, s[44:47], 0 offset:208 ; 4-byte Folded Reload
	;; [unrolled: 1-line block ×4, first 2 shown]
	s_waitcnt vmcnt(3)
	v_and_b32_e32 v18, 3, v16
	v_lshrrev_b32_e32 v61, 6, v16
	v_lshlrev_b32_e32 v11, 2, v16
	v_lshrrev_b32_e32 v12, 4, v16
	s_waitcnt vmcnt(1)
	v_add_u32_e32 v13, 64, v8
	v_lshrrev_b32_e32 v15, 2, v16
.LBB196_301:
	s_or_b64 exec, exec, s[6:7]
	v_xor_b32_e32 v0, 32, v14
	v_cmp_lt_i32_e32 vcc, v0, v13
	v_cndmask_b32_e32 v0, v14, v0, vcc
	v_lshlrev_b32_e32 v0, 2, v0
	s_waitcnt vmcnt(0) lgkmcnt(0)
	ds_bpermute_b32 v1, v0, v36
	v_xor_b32_e32 v3, 16, v14
	v_max_f32_e32 v2, v36, v36
	v_cmp_lt_i32_e32 vcc, v3, v13
	v_xor_b32_e32 v4, 8, v14
	s_waitcnt lgkmcnt(0)
	v_max_f32_e32 v1, v1, v1
	v_max_f32_e32 v2, v2, v1
	v_cndmask_b32_e32 v1, v14, v3, vcc
	v_lshlrev_b32_e32 v1, 2, v1
	ds_bpermute_b32 v3, v1, v2
	v_cmp_lt_i32_e32 vcc, v4, v13
	v_xor_b32_e32 v5, 4, v14
	v_and_b32_e32 v19, 63, v16
	s_waitcnt lgkmcnt(0)
	v_max_f32_e32 v3, v3, v3
	v_max_f32_e32 v2, v2, v3
	v_cndmask_b32_e32 v3, v14, v4, vcc
	v_lshlrev_b32_e32 v4, 2, v3
	ds_bpermute_b32 v3, v4, v2
	v_cmp_lt_i32_e32 vcc, v5, v13
	s_waitcnt lgkmcnt(0)
	v_max_f32_e32 v3, v3, v3
	v_max_f32_e32 v3, v2, v3
	v_cndmask_b32_e32 v2, v14, v5, vcc
	v_lshlrev_b32_e32 v5, 2, v2
	ds_bpermute_b32 v6, v5, v3
	v_cmp_eq_u32_e32 vcc, 0, v19
	v_lshlrev_b32_e32 v2, 2, v61
	s_and_saveexec_b64 s[2:3], vcc
	s_cbranch_execz .LBB196_303
; %bb.302:
	s_waitcnt lgkmcnt(0)
	v_max_f32_e32 v6, v6, v6
	v_max_f32_e32 v3, v3, v3
	;; [unrolled: 1-line block ×3, first 2 shown]
	ds_write_b32 v2, v3 offset:768
.LBB196_303:
	s_or_b64 exec, exec, s[2:3]
	v_cmp_gt_u32_e64 s[2:3], 2, v19
	s_waitcnt lgkmcnt(0)
	v_mov_b32_e32 v6, 0xff7fffff
	v_lshlrev_b32_e32 v3, 2, v19
	s_barrier
	s_and_saveexec_b64 s[4:5], s[2:3]
; %bb.304:
	ds_read_b32 v6, v3 offset:768
; %bb.305:
	s_or_b64 exec, exec, s[4:5]
	v_xor_b32_e32 v7, 1, v14
	v_cmp_lt_i32_e64 s[4:5], v7, v13
	v_cndmask_b32_e64 v7, v14, v7, s[4:5]
	v_lshlrev_b32_e32 v17, 2, v7
	s_waitcnt lgkmcnt(0)
	ds_bpermute_b32 v7, v17, v6
	v_max_f32_e32 v6, v6, v6
	s_lshl_b32 s4, s21, 4
	s_min_i32 s31, s4, s30
	v_cmp_gt_i32_e64 s[4:5], s31, v16
	s_waitcnt lgkmcnt(0)
	v_max_f32_e32 v7, v7, v7
	v_max_f32_e32 v6, v6, v7
	v_lshlrev_b32_e32 v7, 2, v8
	ds_bpermute_b32 v7, v7, v6
	v_mov_b32_e32 v6, 0
	s_and_saveexec_b64 s[14:15], s[4:5]
	s_cbranch_execz .LBB196_309
; %bb.306:
	v_mov_b32_e32 v6, 0x310
	v_lshl_add_u32 v8, v16, 2, v6
	v_mov_b32_e32 v6, 0
	s_mov_b64 s[16:17], 0
	v_mov_b32_e32 v9, v16
.LBB196_307:                            ; =>This Inner Loop Header: Depth=1
	ds_read_b32 v10, v8
	v_add_u32_e32 v9, 0x80, v9
	v_cmp_le_i32_e64 s[6:7], s31, v9
	s_or_b64 s[16:17], s[6:7], s[16:17]
	s_waitcnt lgkmcnt(0)
	v_sub_f32_e32 v10, v10, v7
	v_mul_f32_e32 v10, 0x3fb8aa3b, v10
	v_exp_f32_e32 v10, v10
	ds_write_b32 v8, v10
	v_add_f32_e32 v6, v6, v10
	v_add_u32_e32 v8, 0x200, v8
	s_andn2_b64 exec, exec, s[16:17]
	s_cbranch_execnz .LBB196_307
; %bb.308:
	s_or_b64 exec, exec, s[16:17]
.LBB196_309:
	s_or_b64 exec, exec, s[14:15]
	ds_bpermute_b32 v0, v0, v6
	s_waitcnt lgkmcnt(0)
	v_add_f32_e32 v0, v6, v0
	ds_bpermute_b32 v1, v1, v0
	s_waitcnt lgkmcnt(0)
	v_add_f32_e32 v0, v0, v1
	ds_bpermute_b32 v1, v4, v0
	v_xor_b32_e32 v4, 2, v14
	v_cmp_lt_i32_e64 s[6:7], v4, v13
	v_cndmask_b32_e64 v4, v14, v4, s[6:7]
	v_lshlrev_b32_e32 v13, 2, v4
	s_waitcnt lgkmcnt(0)
	v_add_f32_e32 v0, v0, v1
	ds_bpermute_b32 v1, v5, v0
	s_waitcnt lgkmcnt(0)
	v_add_f32_e32 v0, v0, v1
	ds_bpermute_b32 v1, v13, v0
	;; [unrolled: 3-line block ×3, first 2 shown]
	s_waitcnt lgkmcnt(0)
	v_add_f32_e32 v0, v0, v1
	s_and_saveexec_b64 s[6:7], vcc
; %bb.310:
	ds_write_b32 v2, v0 offset:776
; %bb.311:
	s_or_b64 exec, exec, s[6:7]
	s_waitcnt lgkmcnt(0)
	s_barrier
	s_and_saveexec_b64 s[6:7], s[2:3]
; %bb.312:
	ds_read_b32 v0, v3 offset:776
; %bb.313:
	s_or_b64 exec, exec, s[6:7]
	s_waitcnt lgkmcnt(0)
	ds_bpermute_b32 v1, v17, v0
	v_lshlrev_b32_e32 v2, 2, v14
	s_waitcnt lgkmcnt(0)
	v_add_f32_e32 v0, v0, v1
	v_and_b32_e32 v1, 0xffffff00, v2
	ds_bpermute_b32 v0, v1, v0
	s_and_saveexec_b64 s[2:3], s[4:5]
	s_cbranch_execz .LBB196_316
; %bb.314:
	s_waitcnt lgkmcnt(0)
	v_add_f32_e32 v1, 0x358637bd, v0
	v_div_scale_f32 v0, s[4:5], v1, v1, 1.0
	v_div_scale_f32 v2, vcc, 1.0, v1, 1.0
	s_mov_b64 s[4:5], 0
	v_rcp_f32_e32 v3, v0
	v_fma_f32 v4, -v0, v3, 1.0
	v_fmac_f32_e32 v3, v4, v3
	v_mul_f32_e32 v4, v2, v3
	v_fma_f32 v5, -v0, v4, v2
	v_fmac_f32_e32 v4, v5, v3
	v_fma_f32 v0, -v0, v4, v2
	v_div_fmas_f32 v2, v0, v3, v4
	v_mov_b32_e32 v0, 0x310
	v_lshl_add_u32 v0, v16, 2, v0
	v_div_fixup_f32 v1, v2, v1, 1.0
	v_mov_b32_e32 v2, v16
.LBB196_315:                            ; =>This Inner Loop Header: Depth=1
	ds_read_b32 v3, v0
	v_add_u32_e32 v2, 0x80, v2
	v_cmp_le_i32_e32 vcc, s31, v2
	s_or_b64 s[4:5], vcc, s[4:5]
	s_waitcnt lgkmcnt(0)
	v_mul_f32_e32 v3, v1, v3
	ds_write_b32 v0, v3
	v_add_u32_e32 v0, 0x200, v0
	s_andn2_b64 exec, exec, s[4:5]
	s_cbranch_execnz .LBB196_315
.LBB196_316:
	s_or_b64 exec, exec, s[2:3]
	v_mov_b32_e32 v37, 0
	v_mov_b32_e32 v38, 0
	;; [unrolled: 1-line block ×12, first 2 shown]
	buffer_store_dword v15, off, s[44:47], 0 offset:188 ; 4-byte Folded Spill
	s_waitcnt vmcnt(0) lgkmcnt(0)
	s_barrier
	s_and_saveexec_b64 s[2:3], s[0:1]
	s_cbranch_execz .LBB196_632
; %bb.317:
	s_ashr_i32 s0, s12, 31
	s_add_u32 s1, s28, s12
	s_addc_u32 s0, s29, s0
	v_and_b32_e32 v1, 0xfc, v11
	v_mov_b32_e32 v2, s0
	v_add_co_u32_e32 v1, vcc, s1, v1
	buffer_store_dword v13, off, s[44:47], 0 offset:216 ; 4-byte Folded Spill
	buffer_store_dword v17, off, s[44:47], 0 offset:212 ; 4-byte Folded Spill
	;; [unrolled: 1-line block ×3, first 2 shown]
	v_addc_co_u32_e32 v2, vcc, 0, v2, vcc
	s_load_dword s17, s[18:19], 0x0
	buffer_store_dword v1, off, s[44:47], 0 offset:180 ; 4-byte Folded Spill
	s_nop 0
	buffer_store_dword v2, off, s[44:47], 0 offset:184 ; 4-byte Folded Spill
	v_and_b32_e32 v0, 12, v11
	v_lshlrev_b32_e32 v1, 4, v61
	s_add_i32 s19, s21, -1
	v_or3_b32 v39, v1, v0, 3
	v_lshlrev_b32_e32 v0, 4, v18
	s_lshl_b64 s[0:1], s[26:27], 2
	v_lshl_or_b32 v0, v61, 6, v0
	s_add_u32 s0, s24, s0
	v_add_u32_e32 v40, 0x310, v0
	v_and_b32_e32 v0, 60, v12
	s_addc_u32 s1, s25, s1
	v_mov_b32_e32 v5, 0
	v_mov_b32_e32 v1, s1
	v_add_co_u32_e32 v9, vcc, s0, v0
	s_mov_b32 s16, s13
	s_waitcnt lgkmcnt(0)
	s_mov_b32 s18, s17
	v_addc_co_u32_e32 v10, vcc, 0, v1, vcc
	s_mov_b64 s[4:5], 0
	s_movk_i32 s24, 0x80
	s_movk_i32 s25, 0x7f
	s_brev_b32 s26, 1
	s_mov_b32 s27, 0xffffff
	v_bfrev_b32_e32 v25, 60
	v_bfrev_b32_e32 v6, 1
	v_mov_b32_e32 v12, 0x7f800001
	v_mov_b32_e32 v62, 7
	;; [unrolled: 1-line block ×14, first 2 shown]
	buffer_store_dword v18, off, s[44:47], 0 offset:192 ; 4-byte Folded Spill
	s_branch .LBB196_319
.LBB196_318:                            ;   in Loop: Header=BB196_319 Depth=1
	s_or_b64 exec, exec, s[0:1]
	buffer_load_dword v0, off, s[44:47], 0 offset:148 ; 4-byte Folded Reload
	s_waitcnt lgkmcnt(0)
	v_mul_f32_e32 v8, v1, v8
	v_mul_f32_e32 v16, v1, v59
	v_fmac_f32_e32 v16, v2, v58
	v_fmac_f32_e32 v16, v3, v23
	v_fmac_f32_e32 v16, v4, v22
	v_add_f32_e32 v28, v28, v16
	v_mul_f32_e32 v16, v1, v57
	v_fmac_f32_e32 v16, v2, v50
	v_fmac_f32_e32 v16, v3, v56
	v_fmac_f32_e32 v16, v4, v55
	v_add_f32_e32 v29, v29, v16
	v_mul_f32_e32 v16, v1, v49
	v_fmac_f32_e32 v16, v2, v53
	v_fmac_f32_e32 v16, v3, v48
	v_fmac_f32_e32 v16, v4, v54
	v_add_f32_e32 v30, v30, v16
	v_mul_f32_e32 v16, v1, v52
	v_fmac_f32_e32 v16, v2, v46
	v_fmac_f32_e32 v16, v3, v51
	v_fmac_f32_e32 v16, v4, v47
	v_add_f32_e32 v31, v31, v16
	v_mul_f32_e32 v16, v1, v45
	v_fmac_f32_e32 v16, v2, v42
	v_add_u32_e32 v61, 2, v61
	v_fmac_f32_e32 v16, v3, v44
	v_cmp_le_i32_e32 vcc, s21, v61
	v_fmac_f32_e32 v16, v4, v41
	s_or_b64 s[4:5], vcc, s[4:5]
	v_add_co_u32_e32 v9, vcc, 8, v9
	v_add_f32_e32 v32, v32, v16
	v_add_u32_e32 v39, 32, v39
	v_add_u32_e32 v40, 0x80, v40
	v_addc_co_u32_e32 v10, vcc, 0, v10, vcc
	s_waitcnt vmcnt(0)
	v_fmac_f32_e32 v8, v2, v0
	buffer_load_dword v0, off, s[44:47], 0 offset:164 ; 4-byte Folded Reload
	v_fmac_f32_e32 v8, v3, v7
	buffer_load_dword v7, off, s[44:47], 0 offset:84 ; 4-byte Folded Reload
	s_waitcnt vmcnt(1)
	v_fmac_f32_e32 v8, v4, v0
	buffer_load_dword v0, off, s[44:47], 0 offset:132 ; 4-byte Folded Reload
	v_add_f32_e32 v33, v33, v8
	s_waitcnt vmcnt(0)
	v_mul_f32_e32 v0, v1, v0
	v_fmac_f32_e32 v0, v2, v7
	buffer_load_dword v7, off, s[44:47], 0 offset:116 ; 4-byte Folded Reload
	s_waitcnt vmcnt(0)
	v_fmac_f32_e32 v0, v3, v7
	buffer_load_dword v7, off, s[44:47], 0 offset:100 ; 4-byte Folded Reload
	s_waitcnt vmcnt(0)
	v_fmac_f32_e32 v0, v4, v7
	v_add_f32_e32 v34, v34, v0
	buffer_load_dword v0, off, s[44:47], 0 offset:68 ; 4-byte Folded Reload
	buffer_load_dword v7, off, s[44:47], 0 offset:32 ; 4-byte Folded Reload
	s_waitcnt vmcnt(1)
	v_mul_f32_e32 v0, v1, v0
	s_waitcnt vmcnt(0)
	v_fmac_f32_e32 v0, v2, v7
	buffer_load_dword v7, off, s[44:47], 0 offset:52 ; 4-byte Folded Reload
	s_waitcnt vmcnt(0)
	v_fmac_f32_e32 v0, v3, v7
	buffer_load_dword v7, off, s[44:47], 0 offset:36 ; 4-byte Folded Reload
	s_waitcnt vmcnt(0)
	v_fmac_f32_e32 v0, v4, v7
	v_add_f32_e32 v35, v35, v0
	buffer_load_dword v0, off, s[44:47], 0 offset:28 ; 4-byte Folded Reload
	buffer_load_dword v7, off, s[44:47], 0 offset:16 ; 4-byte Folded Reload
	s_waitcnt vmcnt(1)
	v_mul_f32_e32 v0, v1, v0
	s_waitcnt vmcnt(0)
	v_fmac_f32_e32 v0, v2, v7
	buffer_load_dword v7, off, s[44:47], 0 offset:24 ; 4-byte Folded Reload
	s_waitcnt vmcnt(0)
	v_fmac_f32_e32 v0, v3, v7
	buffer_load_dword v7, off, s[44:47], 0 offset:20 ; 4-byte Folded Reload
	s_waitcnt vmcnt(0)
	v_fmac_f32_e32 v0, v4, v7
	v_add_f32_e32 v36, v36, v0
	buffer_load_dword v0, off, s[44:47], 0 offset:12 ; 4-byte Folded Reload
	buffer_load_dword v7, off, s[44:47], 0  ; 4-byte Folded Reload
	s_waitcnt vmcnt(1)
	v_mul_f32_e32 v0, v1, v0
	s_waitcnt vmcnt(0)
	v_fmac_f32_e32 v0, v2, v7
	buffer_load_dword v7, off, s[44:47], 0 offset:8 ; 4-byte Folded Reload
	s_waitcnt vmcnt(0)
	v_fmac_f32_e32 v0, v3, v7
	buffer_load_dword v7, off, s[44:47], 0 offset:4 ; 4-byte Folded Reload
	s_waitcnt vmcnt(0)
	v_fmac_f32_e32 v0, v4, v7
	v_add_f32_e32 v38, v38, v0
	v_mul_f32_e32 v0, v1, v43
	v_fmac_f32_e32 v0, v2, v24
	v_fmac_f32_e32 v0, v3, v26
	;; [unrolled: 1-line block ×3, first 2 shown]
	v_add_f32_e32 v37, v37, v0
	v_mul_f32_e32 v0, v1, v15
	v_fmac_f32_e32 v0, v2, v11
	v_fmac_f32_e32 v0, v3, v14
	v_fmac_f32_e32 v0, v4, v13
	v_add_f32_e32 v27, v27, v0
	s_andn2_b64 exec, exec, s[4:5]
	s_cbranch_execz .LBB196_631
.LBB196_319:                            ; =>This Inner Loop Header: Depth=1
	global_load_dword v0, v[9:10], off
	buffer_load_dword v1, off, s[44:47], 0 offset:180 ; 4-byte Folded Reload
	buffer_load_dword v2, off, s[44:47], 0 offset:184 ; 4-byte Folded Reload
	v_mov_b32_e32 v18, 0
	v_mov_b32_e32 v16, 0
	;; [unrolled: 1-line block ×4, first 2 shown]
	s_waitcnt vmcnt(0)
	v_mad_i64_i32 v[13:14], s[0:1], v0, s16, v[1:2]
	ds_read_b128 v[1:4], v40
	global_load_dword v15, v[13:14], off
	s_waitcnt vmcnt(0)
	v_cmp_ne_u16_sdwa s[6:7], v15, v5 src0_sel:BYTE_0 src1_sel:DWORD
	s_and_saveexec_b64 s[0:1], s[6:7]
	s_cbranch_execz .LBB196_325
; %bb.320:                              ;   in Loop: Header=BB196_319 Depth=1
	v_bfrev_b32_e32 v16, 1
	v_mov_b32_e32 v17, 0
	v_cmp_ne_u16_sdwa s[12:13], v15, s24 src0_sel:BYTE_0 src1_sel:DWORD
	s_and_saveexec_b64 s[6:7], s[12:13]
	s_cbranch_execz .LBB196_324
; %bb.321:                              ;   in Loop: Header=BB196_319 Depth=1
	v_and_b32_e32 v0, 0x7f, v15
	v_mov_b32_e32 v16, 0x7f800001
	v_mov_b32_e32 v17, 0
	v_cmp_ne_u32_e32 vcc, s25, v0
	s_and_saveexec_b64 s[12:13], vcc
	s_cbranch_execz .LBB196_323
; %bb.322:                              ;   in Loop: Header=BB196_319 Depth=1
	v_and_b32_e32 v11, 7, v15
	v_ffbh_u32_e32 v7, v11
	v_min_u32_e32 v17, 32, v7
	v_lshrrev_b32_e32 v16, 3, v0
	v_subrev_u32_e32 v7, 28, v17
	v_lshlrev_b64 v[7:8], v7, v[15:16]
	v_sub_u32_e32 v8, 29, v17
	v_and_b32_e32 v7, 7, v7
	v_cmp_gt_u32_e32 vcc, 8, v0
	v_cndmask_b32_e32 v0, v16, v8, vcc
	v_cndmask_b32_e32 v7, v11, v7, vcc
	v_lshlrev_b32_e32 v7, 20, v7
	v_and_b32_sdwa v8, sext(v15), s26 dst_sel:DWORD dst_unused:UNUSED_PAD src0_sel:BYTE_0 src1_sel:DWORD
	v_lshl_add_u32 v0, v0, 23, v25
	v_or3_b32 v16, v8, v0, v7
	v_mov_b32_e32 v17, v5
.LBB196_323:                            ;   in Loop: Header=BB196_319 Depth=1
	s_or_b64 exec, exec, s[12:13]
.LBB196_324:                            ;   in Loop: Header=BB196_319 Depth=1
	s_or_b64 exec, exec, s[6:7]
.LBB196_325:                            ;   in Loop: Header=BB196_319 Depth=1
	s_or_b64 exec, exec, s[0:1]
	v_cmp_ne_u16_sdwa s[6:7], v15, v5 src0_sel:BYTE_1 src1_sel:DWORD
	s_and_saveexec_b64 s[0:1], s[6:7]
	s_cbranch_execz .LBB196_331
; %bb.326:                              ;   in Loop: Header=BB196_319 Depth=1
	v_mov_b32_e32 v19, v6
	v_cmp_ne_u16_sdwa s[12:13], v15, s24 src0_sel:BYTE_1 src1_sel:DWORD
	v_mov_b32_e32 v18, v5
	s_and_saveexec_b64 s[6:7], s[12:13]
	s_cbranch_execz .LBB196_330
; %bb.327:                              ;   in Loop: Header=BB196_319 Depth=1
	v_and_b32_sdwa v0, v15, s25 dst_sel:DWORD dst_unused:UNUSED_PAD src0_sel:BYTE_1 src1_sel:DWORD
	v_mov_b32_e32 v11, v5
	v_mov_b32_e32 v19, v12
	v_cmp_ne_u32_e32 vcc, s25, v0
	v_mov_b32_e32 v18, v11
	s_and_saveexec_b64 s[12:13], vcc
	s_cbranch_execz .LBB196_329
; %bb.328:                              ;   in Loop: Header=BB196_319 Depth=1
	v_and_b32_sdwa v7, v15, v62 dst_sel:DWORD dst_unused:UNUSED_PAD src0_sel:BYTE_1 src1_sel:DWORD
	v_ffbh_u32_e32 v18, v7
	v_min_u32_e32 v20, 32, v18
	v_mov_b32_e32 v8, v5
	v_subrev_u32_e32 v18, 28, v20
	v_lshlrev_b64 v[18:19], v18, v[7:8]
	v_lshrrev_b32_e32 v11, 3, v0
	v_sub_u32_e32 v8, 29, v20
	v_cmp_gt_u32_e32 vcc, 8, v0
	v_and_b32_e32 v18, 7, v18
	v_cndmask_b32_e32 v0, v11, v8, vcc
	v_cndmask_b32_e32 v7, v7, v18, vcc
	v_lshlrev_b32_e32 v8, 16, v15
	v_lshl_add_u32 v0, v0, 23, v25
	v_and_or_b32 v0, v8, s26, v0
	v_lshlrev_b32_e32 v7, 20, v7
	v_or_b32_e32 v19, v0, v7
	v_mov_b32_e32 v18, v5
.LBB196_329:                            ;   in Loop: Header=BB196_319 Depth=1
	s_or_b64 exec, exec, s[12:13]
.LBB196_330:                            ;   in Loop: Header=BB196_319 Depth=1
	s_or_b64 exec, exec, s[6:7]
.LBB196_331:                            ;   in Loop: Header=BB196_319 Depth=1
	s_or_b64 exec, exec, s[0:1]
	v_lshrrev_b32_e32 v11, 16, v15
	v_mov_b32_e32 v22, 0
	v_mov_b32_e32 v20, 0
	;; [unrolled: 1-line block ×4, first 2 shown]
	v_cmp_ne_u16_sdwa s[6:7], v11, v5 src0_sel:BYTE_0 src1_sel:DWORD
	s_and_saveexec_b64 s[0:1], s[6:7]
	s_cbranch_execz .LBB196_337
; %bb.332:                              ;   in Loop: Header=BB196_319 Depth=1
	v_bfrev_b32_e32 v20, 1
	v_mov_b32_e32 v21, 0
	v_cmp_ne_u16_sdwa s[12:13], v11, s24 src0_sel:BYTE_0 src1_sel:DWORD
	s_and_saveexec_b64 s[6:7], s[12:13]
	s_cbranch_execz .LBB196_336
; %bb.333:                              ;   in Loop: Header=BB196_319 Depth=1
	v_bfe_u32 v0, v15, 16, 7
	v_mov_b32_e32 v20, 0x7f800001
	v_mov_b32_e32 v21, 0
	v_cmp_ne_u32_e32 vcc, s25, v0
	s_and_saveexec_b64 s[12:13], vcc
	s_cbranch_execz .LBB196_335
; %bb.334:                              ;   in Loop: Header=BB196_319 Depth=1
	v_and_b32_e32 v20, 7, v11
	v_ffbh_u32_e32 v7, v20
	v_min_u32_e32 v24, 32, v7
	v_subrev_u32_e32 v7, 28, v24
	v_lshlrev_b64 v[7:8], v7, v[11:12]
	v_lshrrev_b32_e32 v21, 3, v0
	v_sub_u32_e32 v8, 29, v24
	v_and_b32_e32 v7, 7, v7
	v_cmp_gt_u32_e32 vcc, 8, v0
	v_cndmask_b32_e32 v0, v21, v8, vcc
	v_cndmask_b32_e32 v7, v20, v7, vcc
	v_lshlrev_b32_e32 v7, 20, v7
	v_and_b32_sdwa v8, sext(v11), s26 dst_sel:DWORD dst_unused:UNUSED_PAD src0_sel:BYTE_0 src1_sel:DWORD
	v_lshl_add_u32 v0, v0, 23, v25
	v_or3_b32 v20, v8, v0, v7
	v_mov_b32_e32 v21, v5
.LBB196_335:                            ;   in Loop: Header=BB196_319 Depth=1
	s_or_b64 exec, exec, s[12:13]
.LBB196_336:                            ;   in Loop: Header=BB196_319 Depth=1
	s_or_b64 exec, exec, s[6:7]
.LBB196_337:                            ;   in Loop: Header=BB196_319 Depth=1
	s_or_b64 exec, exec, s[0:1]
	v_cmp_lt_u32_e32 vcc, s27, v15
	s_and_saveexec_b64 s[0:1], vcc
	s_cbranch_execz .LBB196_343
; %bb.338:                              ;   in Loop: Header=BB196_319 Depth=1
	v_mov_b32_e32 v23, v6
	v_cmp_ne_u32_sdwa s[12:13], v15, s24 src0_sel:BYTE_3 src1_sel:DWORD
	v_mov_b32_e32 v22, v5
	s_and_saveexec_b64 s[6:7], s[12:13]
	s_cbranch_execz .LBB196_342
; %bb.339:                              ;   in Loop: Header=BB196_319 Depth=1
	v_bfe_u32 v0, v15, 24, 7
	v_mov_b32_e32 v11, v5
	v_mov_b32_e32 v23, v12
	v_cmp_ne_u32_e32 vcc, s25, v0
	v_mov_b32_e32 v22, v11
	s_and_saveexec_b64 s[12:13], vcc
	s_cbranch_execz .LBB196_341
; %bb.340:                              ;   in Loop: Header=BB196_319 Depth=1
	v_and_b32_sdwa v7, v15, v62 dst_sel:DWORD dst_unused:UNUSED_PAD src0_sel:BYTE_3 src1_sel:DWORD
	v_ffbh_u32_e32 v22, v7
	v_min_u32_e32 v24, 32, v22
	v_mov_b32_e32 v8, v5
	v_subrev_u32_e32 v22, 28, v24
	v_lshlrev_b64 v[22:23], v22, v[7:8]
	v_lshrrev_b32_e32 v11, 3, v0
	v_sub_u32_e32 v8, 29, v24
	v_cmp_gt_u32_e32 vcc, 8, v0
	v_and_b32_e32 v22, 7, v22
	v_cndmask_b32_e32 v0, v11, v8, vcc
	v_mov_b32_e32 v8, 24
	v_cndmask_b32_e32 v7, v7, v22, vcc
	v_lshlrev_b32_sdwa v8, v8, v15 dst_sel:DWORD dst_unused:UNUSED_PAD src0_sel:DWORD src1_sel:BYTE_3
	v_lshl_add_u32 v0, v0, 23, v25
	v_and_or_b32 v0, v8, s26, v0
	v_lshlrev_b32_e32 v7, 20, v7
	v_or_b32_e32 v23, v0, v7
	v_mov_b32_e32 v22, v5
.LBB196_341:                            ;   in Loop: Header=BB196_319 Depth=1
	s_or_b64 exec, exec, s[12:13]
.LBB196_342:                            ;   in Loop: Header=BB196_319 Depth=1
	s_or_b64 exec, exec, s[6:7]
.LBB196_343:                            ;   in Loop: Header=BB196_319 Depth=1
	s_or_b64 exec, exec, s[0:1]
	v_or_b32_e32 v0, v19, v17
	v_or_b32_e32 v7, v18, v16
	v_mul_f32_e32 v24, s18, v0
	v_mul_f32_e32 v43, s17, v7
	v_or_b32_e32 v0, v23, v21
	v_or_b32_e32 v7, v22, v20
	v_cmp_eq_u32_e32 vcc, s19, v61
	v_mul_f32_e32 v26, s17, v7
	v_mul_f32_e32 v63, s18, v0
	s_and_saveexec_b64 s[6:7], vcc
	s_cbranch_execz .LBB196_345
; %bb.344:                              ;   in Loop: Header=BB196_319 Depth=1
	v_add_u32_e32 v0, -3, v39
	v_cmp_gt_i32_e64 s[0:1], s30, v0
	v_add_u32_e32 v0, -2, v39
	v_cndmask_b32_e64 v43, 0, v43, s[0:1]
	v_cmp_gt_i32_e64 s[0:1], s30, v0
	v_add_u32_e32 v0, -1, v39
	v_cndmask_b32_e64 v24, 0, v24, s[0:1]
	v_cmp_gt_i32_e64 s[0:1], s30, v0
	v_cndmask_b32_e64 v26, 0, v26, s[0:1]
	v_cmp_gt_i32_e64 s[0:1], s30, v39
	v_cndmask_b32_e64 v63, 0, v63, s[0:1]
.LBB196_345:                            ;   in Loop: Header=BB196_319 Depth=1
	s_or_b64 exec, exec, s[6:7]
	global_load_dword v15, v[13:14], off offset:256
	v_mov_b32_e32 v18, 0
	v_mov_b32_e32 v16, 0
	;; [unrolled: 1-line block ×4, first 2 shown]
	s_waitcnt vmcnt(0)
	v_cmp_ne_u16_sdwa s[0:1], v15, v5 src0_sel:BYTE_0 src1_sel:DWORD
	s_and_saveexec_b64 s[6:7], s[0:1]
	s_cbranch_execz .LBB196_351
; %bb.346:                              ;   in Loop: Header=BB196_319 Depth=1
	v_bfrev_b32_e32 v16, 1
	v_mov_b32_e32 v17, 0
	v_cmp_ne_u16_sdwa s[0:1], v15, s24 src0_sel:BYTE_0 src1_sel:DWORD
	s_and_saveexec_b64 s[12:13], s[0:1]
	s_cbranch_execz .LBB196_350
; %bb.347:                              ;   in Loop: Header=BB196_319 Depth=1
	v_and_b32_e32 v0, 0x7f, v15
	v_mov_b32_e32 v16, 0x7f800001
	v_mov_b32_e32 v17, 0
	v_cmp_ne_u32_e64 s[0:1], s25, v0
	s_and_saveexec_b64 s[14:15], s[0:1]
	s_cbranch_execz .LBB196_349
; %bb.348:                              ;   in Loop: Header=BB196_319 Depth=1
	v_and_b32_e32 v11, 7, v15
	v_ffbh_u32_e32 v7, v11
	v_min_u32_e32 v17, 32, v7
	v_lshrrev_b32_e32 v16, 3, v0
	v_subrev_u32_e32 v7, 28, v17
	v_lshlrev_b64 v[7:8], v7, v[15:16]
	v_sub_u32_e32 v8, 29, v17
	v_and_b32_e32 v7, 7, v7
	v_cmp_gt_u32_e64 s[0:1], 8, v0
	v_cndmask_b32_e64 v0, v16, v8, s[0:1]
	v_cndmask_b32_e64 v7, v11, v7, s[0:1]
	v_lshlrev_b32_e32 v7, 20, v7
	v_and_b32_sdwa v8, sext(v15), s26 dst_sel:DWORD dst_unused:UNUSED_PAD src0_sel:BYTE_0 src1_sel:DWORD
	v_lshl_add_u32 v0, v0, 23, v25
	v_or3_b32 v16, v8, v0, v7
	v_mov_b32_e32 v17, v5
.LBB196_349:                            ;   in Loop: Header=BB196_319 Depth=1
	s_or_b64 exec, exec, s[14:15]
.LBB196_350:                            ;   in Loop: Header=BB196_319 Depth=1
	s_or_b64 exec, exec, s[12:13]
.LBB196_351:                            ;   in Loop: Header=BB196_319 Depth=1
	s_or_b64 exec, exec, s[6:7]
	v_cmp_ne_u16_sdwa s[0:1], v15, v5 src0_sel:BYTE_1 src1_sel:DWORD
	s_and_saveexec_b64 s[6:7], s[0:1]
	s_cbranch_execz .LBB196_357
; %bb.352:                              ;   in Loop: Header=BB196_319 Depth=1
	v_mov_b32_e32 v19, v6
	v_cmp_ne_u16_sdwa s[0:1], v15, s24 src0_sel:BYTE_1 src1_sel:DWORD
	v_mov_b32_e32 v18, v5
	s_and_saveexec_b64 s[12:13], s[0:1]
	s_cbranch_execz .LBB196_356
; %bb.353:                              ;   in Loop: Header=BB196_319 Depth=1
	v_and_b32_sdwa v0, v15, s25 dst_sel:DWORD dst_unused:UNUSED_PAD src0_sel:BYTE_1 src1_sel:DWORD
	v_mov_b32_e32 v11, v5
	v_mov_b32_e32 v19, v12
	v_cmp_ne_u32_e64 s[0:1], s25, v0
	v_mov_b32_e32 v18, v11
	s_and_saveexec_b64 s[14:15], s[0:1]
	s_cbranch_execz .LBB196_355
; %bb.354:                              ;   in Loop: Header=BB196_319 Depth=1
	v_and_b32_sdwa v7, v15, v62 dst_sel:DWORD dst_unused:UNUSED_PAD src0_sel:BYTE_1 src1_sel:DWORD
	v_ffbh_u32_e32 v18, v7
	v_min_u32_e32 v20, 32, v18
	v_mov_b32_e32 v8, v5
	v_subrev_u32_e32 v18, 28, v20
	v_lshlrev_b64 v[18:19], v18, v[7:8]
	v_lshrrev_b32_e32 v11, 3, v0
	v_sub_u32_e32 v8, 29, v20
	v_cmp_gt_u32_e64 s[0:1], 8, v0
	v_and_b32_e32 v18, 7, v18
	v_cndmask_b32_e64 v0, v11, v8, s[0:1]
	v_cndmask_b32_e64 v7, v7, v18, s[0:1]
	v_lshlrev_b32_e32 v8, 16, v15
	v_lshl_add_u32 v0, v0, 23, v25
	v_and_or_b32 v0, v8, s26, v0
	v_lshlrev_b32_e32 v7, 20, v7
	v_or_b32_e32 v19, v0, v7
	v_mov_b32_e32 v18, v5
.LBB196_355:                            ;   in Loop: Header=BB196_319 Depth=1
	s_or_b64 exec, exec, s[14:15]
.LBB196_356:                            ;   in Loop: Header=BB196_319 Depth=1
	s_or_b64 exec, exec, s[12:13]
.LBB196_357:                            ;   in Loop: Header=BB196_319 Depth=1
	s_or_b64 exec, exec, s[6:7]
	v_lshrrev_b32_e32 v11, 16, v15
	v_mov_b32_e32 v22, 0
	v_mov_b32_e32 v20, 0
	;; [unrolled: 1-line block ×4, first 2 shown]
	v_cmp_ne_u16_sdwa s[0:1], v11, v5 src0_sel:BYTE_0 src1_sel:DWORD
	s_and_saveexec_b64 s[6:7], s[0:1]
	s_cbranch_execz .LBB196_363
; %bb.358:                              ;   in Loop: Header=BB196_319 Depth=1
	v_bfrev_b32_e32 v20, 1
	v_mov_b32_e32 v21, 0
	v_cmp_ne_u16_sdwa s[0:1], v11, s24 src0_sel:BYTE_0 src1_sel:DWORD
	s_and_saveexec_b64 s[12:13], s[0:1]
	s_cbranch_execz .LBB196_362
; %bb.359:                              ;   in Loop: Header=BB196_319 Depth=1
	v_bfe_u32 v0, v15, 16, 7
	v_mov_b32_e32 v20, 0x7f800001
	v_mov_b32_e32 v21, 0
	v_cmp_ne_u32_e64 s[0:1], s25, v0
	s_and_saveexec_b64 s[14:15], s[0:1]
	s_cbranch_execz .LBB196_361
; %bb.360:                              ;   in Loop: Header=BB196_319 Depth=1
	v_and_b32_e32 v20, 7, v11
	v_ffbh_u32_e32 v7, v20
	v_mov_b32_e32 v41, v26
	v_mov_b32_e32 v26, v24
	v_min_u32_e32 v24, 32, v7
	v_subrev_u32_e32 v7, 28, v24
	v_lshlrev_b64 v[7:8], v7, v[11:12]
	v_lshrrev_b32_e32 v21, 3, v0
	v_sub_u32_e32 v8, 29, v24
	v_and_b32_e32 v7, 7, v7
	v_cmp_gt_u32_e64 s[0:1], 8, v0
	v_cndmask_b32_e64 v0, v21, v8, s[0:1]
	v_cndmask_b32_e64 v7, v20, v7, s[0:1]
	v_lshlrev_b32_e32 v7, 20, v7
	v_and_b32_sdwa v8, sext(v11), s26 dst_sel:DWORD dst_unused:UNUSED_PAD src0_sel:BYTE_0 src1_sel:DWORD
	v_lshl_add_u32 v0, v0, 23, v25
	v_mov_b32_e32 v24, v26
	v_mov_b32_e32 v26, v41
	v_or3_b32 v20, v8, v0, v7
	v_mov_b32_e32 v21, v5
.LBB196_361:                            ;   in Loop: Header=BB196_319 Depth=1
	s_or_b64 exec, exec, s[14:15]
.LBB196_362:                            ;   in Loop: Header=BB196_319 Depth=1
	s_or_b64 exec, exec, s[12:13]
.LBB196_363:                            ;   in Loop: Header=BB196_319 Depth=1
	s_or_b64 exec, exec, s[6:7]
	v_cmp_lt_u32_e64 s[0:1], s27, v15
	s_and_saveexec_b64 s[6:7], s[0:1]
	s_cbranch_execz .LBB196_369
; %bb.364:                              ;   in Loop: Header=BB196_319 Depth=1
	v_mov_b32_e32 v23, v6
	v_cmp_ne_u32_sdwa s[0:1], v15, s24 src0_sel:BYTE_3 src1_sel:DWORD
	v_mov_b32_e32 v22, v5
	s_and_saveexec_b64 s[12:13], s[0:1]
	s_cbranch_execz .LBB196_368
; %bb.365:                              ;   in Loop: Header=BB196_319 Depth=1
	v_bfe_u32 v0, v15, 24, 7
	v_mov_b32_e32 v11, v5
	v_mov_b32_e32 v23, v12
	v_cmp_ne_u32_e64 s[0:1], s25, v0
	v_mov_b32_e32 v22, v11
	s_and_saveexec_b64 s[14:15], s[0:1]
	s_cbranch_execz .LBB196_367
; %bb.366:                              ;   in Loop: Header=BB196_319 Depth=1
	v_and_b32_sdwa v7, v15, v62 dst_sel:DWORD dst_unused:UNUSED_PAD src0_sel:BYTE_3 src1_sel:DWORD
	v_ffbh_u32_e32 v22, v7
	v_mov_b32_e32 v41, v26
	v_mov_b32_e32 v26, v24
	v_min_u32_e32 v24, 32, v22
	v_mov_b32_e32 v8, v5
	v_subrev_u32_e32 v22, 28, v24
	v_lshlrev_b64 v[22:23], v22, v[7:8]
	v_lshrrev_b32_e32 v11, 3, v0
	v_sub_u32_e32 v8, 29, v24
	v_cmp_gt_u32_e64 s[0:1], 8, v0
	v_and_b32_e32 v22, 7, v22
	v_cndmask_b32_e64 v0, v11, v8, s[0:1]
	v_mov_b32_e32 v8, 24
	v_cndmask_b32_e64 v7, v7, v22, s[0:1]
	v_lshlrev_b32_sdwa v8, v8, v15 dst_sel:DWORD dst_unused:UNUSED_PAD src0_sel:DWORD src1_sel:BYTE_3
	v_lshl_add_u32 v0, v0, 23, v25
	v_and_or_b32 v0, v8, s26, v0
	v_lshlrev_b32_e32 v7, 20, v7
	v_mov_b32_e32 v24, v26
	v_mov_b32_e32 v26, v41
	v_or_b32_e32 v23, v0, v7
	v_mov_b32_e32 v22, v5
.LBB196_367:                            ;   in Loop: Header=BB196_319 Depth=1
	s_or_b64 exec, exec, s[14:15]
.LBB196_368:                            ;   in Loop: Header=BB196_319 Depth=1
	s_or_b64 exec, exec, s[12:13]
.LBB196_369:                            ;   in Loop: Header=BB196_319 Depth=1
	s_or_b64 exec, exec, s[6:7]
	v_or_b32_e32 v0, v19, v17
	v_or_b32_e32 v7, v18, v16
	v_mul_f32_e32 v0, s18, v0
	buffer_store_dword v0, off, s[44:47], 0 ; 4-byte Folded Spill
	v_mul_f32_e32 v0, s17, v7
	buffer_store_dword v0, off, s[44:47], 0 offset:12 ; 4-byte Folded Spill
	v_or_b32_e32 v0, v23, v21
	v_or_b32_e32 v7, v22, v20
	v_mul_f32_e32 v7, s17, v7
	v_mul_f32_e32 v0, s18, v0
	buffer_store_dword v7, off, s[44:47], 0 offset:8 ; 4-byte Folded Spill
	buffer_store_dword v0, off, s[44:47], 0 offset:4 ; 4-byte Folded Spill
	s_and_saveexec_b64 s[6:7], vcc
	s_cbranch_execz .LBB196_371
; %bb.370:                              ;   in Loop: Header=BB196_319 Depth=1
	v_add_u32_e32 v0, -3, v39
	v_cmp_gt_i32_e64 s[0:1], s30, v0
	buffer_load_dword v0, off, s[44:47], 0 offset:12 ; 4-byte Folded Reload
	s_waitcnt vmcnt(0)
	v_cndmask_b32_e64 v0, 0, v0, s[0:1]
	buffer_store_dword v0, off, s[44:47], 0 offset:12 ; 4-byte Folded Spill
	v_add_u32_e32 v0, -2, v39
	v_cmp_gt_i32_e64 s[0:1], s30, v0
	buffer_load_dword v0, off, s[44:47], 0  ; 4-byte Folded Reload
	s_waitcnt vmcnt(0)
	v_cndmask_b32_e64 v0, 0, v0, s[0:1]
	buffer_store_dword v0, off, s[44:47], 0 ; 4-byte Folded Spill
	v_add_u32_e32 v0, -1, v39
	v_cmp_gt_i32_e64 s[0:1], s30, v0
	buffer_load_dword v0, off, s[44:47], 0 offset:8 ; 4-byte Folded Reload
	s_waitcnt vmcnt(0)
	v_cndmask_b32_e64 v0, 0, v0, s[0:1]
	buffer_store_dword v0, off, s[44:47], 0 offset:8 ; 4-byte Folded Spill
	buffer_load_dword v0, off, s[44:47], 0 offset:4 ; 4-byte Folded Reload
	v_cmp_gt_i32_e64 s[0:1], s30, v39
	s_waitcnt vmcnt(0)
	v_cndmask_b32_e64 v0, 0, v0, s[0:1]
	buffer_store_dword v0, off, s[44:47], 0 offset:4 ; 4-byte Folded Spill
.LBB196_371:                            ;   in Loop: Header=BB196_319 Depth=1
	s_or_b64 exec, exec, s[6:7]
	global_load_dword v15, v[13:14], off offset:512
	v_mov_b32_e32 v18, 0
	v_mov_b32_e32 v16, 0
	;; [unrolled: 1-line block ×4, first 2 shown]
	s_waitcnt vmcnt(0)
	v_cmp_ne_u16_sdwa s[0:1], v15, v5 src0_sel:BYTE_0 src1_sel:DWORD
	s_and_saveexec_b64 s[6:7], s[0:1]
	s_cbranch_execz .LBB196_377
; %bb.372:                              ;   in Loop: Header=BB196_319 Depth=1
	v_bfrev_b32_e32 v16, 1
	v_mov_b32_e32 v17, 0
	v_cmp_ne_u16_sdwa s[0:1], v15, s24 src0_sel:BYTE_0 src1_sel:DWORD
	s_and_saveexec_b64 s[12:13], s[0:1]
	s_cbranch_execz .LBB196_376
; %bb.373:                              ;   in Loop: Header=BB196_319 Depth=1
	v_and_b32_e32 v0, 0x7f, v15
	v_mov_b32_e32 v16, 0x7f800001
	v_mov_b32_e32 v17, 0
	v_cmp_ne_u32_e64 s[0:1], s25, v0
	s_and_saveexec_b64 s[14:15], s[0:1]
	s_cbranch_execz .LBB196_375
; %bb.374:                              ;   in Loop: Header=BB196_319 Depth=1
	v_and_b32_e32 v11, 7, v15
	v_ffbh_u32_e32 v7, v11
	v_min_u32_e32 v17, 32, v7
	v_lshrrev_b32_e32 v16, 3, v0
	v_subrev_u32_e32 v7, 28, v17
	v_lshlrev_b64 v[7:8], v7, v[15:16]
	v_sub_u32_e32 v8, 29, v17
	v_and_b32_e32 v7, 7, v7
	v_cmp_gt_u32_e64 s[0:1], 8, v0
	v_cndmask_b32_e64 v0, v16, v8, s[0:1]
	v_cndmask_b32_e64 v7, v11, v7, s[0:1]
	v_lshlrev_b32_e32 v7, 20, v7
	v_and_b32_sdwa v8, sext(v15), s26 dst_sel:DWORD dst_unused:UNUSED_PAD src0_sel:BYTE_0 src1_sel:DWORD
	v_lshl_add_u32 v0, v0, 23, v25
	v_or3_b32 v16, v8, v0, v7
	v_mov_b32_e32 v17, v5
.LBB196_375:                            ;   in Loop: Header=BB196_319 Depth=1
	s_or_b64 exec, exec, s[14:15]
.LBB196_376:                            ;   in Loop: Header=BB196_319 Depth=1
	s_or_b64 exec, exec, s[12:13]
.LBB196_377:                            ;   in Loop: Header=BB196_319 Depth=1
	s_or_b64 exec, exec, s[6:7]
	v_cmp_ne_u16_sdwa s[0:1], v15, v5 src0_sel:BYTE_1 src1_sel:DWORD
	s_and_saveexec_b64 s[6:7], s[0:1]
	s_cbranch_execz .LBB196_383
; %bb.378:                              ;   in Loop: Header=BB196_319 Depth=1
	v_mov_b32_e32 v19, v6
	v_cmp_ne_u16_sdwa s[0:1], v15, s24 src0_sel:BYTE_1 src1_sel:DWORD
	v_mov_b32_e32 v18, v5
	s_and_saveexec_b64 s[12:13], s[0:1]
	s_cbranch_execz .LBB196_382
; %bb.379:                              ;   in Loop: Header=BB196_319 Depth=1
	v_and_b32_sdwa v0, v15, s25 dst_sel:DWORD dst_unused:UNUSED_PAD src0_sel:BYTE_1 src1_sel:DWORD
	v_mov_b32_e32 v11, v5
	v_mov_b32_e32 v19, v12
	v_cmp_ne_u32_e64 s[0:1], s25, v0
	v_mov_b32_e32 v18, v11
	s_and_saveexec_b64 s[14:15], s[0:1]
	s_cbranch_execz .LBB196_381
; %bb.380:                              ;   in Loop: Header=BB196_319 Depth=1
	v_and_b32_sdwa v7, v15, v62 dst_sel:DWORD dst_unused:UNUSED_PAD src0_sel:BYTE_1 src1_sel:DWORD
	v_ffbh_u32_e32 v18, v7
	v_min_u32_e32 v20, 32, v18
	v_mov_b32_e32 v8, v5
	v_subrev_u32_e32 v18, 28, v20
	v_lshlrev_b64 v[18:19], v18, v[7:8]
	v_lshrrev_b32_e32 v11, 3, v0
	v_sub_u32_e32 v8, 29, v20
	v_cmp_gt_u32_e64 s[0:1], 8, v0
	v_and_b32_e32 v18, 7, v18
	v_cndmask_b32_e64 v0, v11, v8, s[0:1]
	v_cndmask_b32_e64 v7, v7, v18, s[0:1]
	v_lshlrev_b32_e32 v8, 16, v15
	v_lshl_add_u32 v0, v0, 23, v25
	v_and_or_b32 v0, v8, s26, v0
	v_lshlrev_b32_e32 v7, 20, v7
	v_or_b32_e32 v19, v0, v7
	v_mov_b32_e32 v18, v5
.LBB196_381:                            ;   in Loop: Header=BB196_319 Depth=1
	s_or_b64 exec, exec, s[14:15]
.LBB196_382:                            ;   in Loop: Header=BB196_319 Depth=1
	s_or_b64 exec, exec, s[12:13]
.LBB196_383:                            ;   in Loop: Header=BB196_319 Depth=1
	s_or_b64 exec, exec, s[6:7]
	v_lshrrev_b32_e32 v11, 16, v15
	v_mov_b32_e32 v22, 0
	v_mov_b32_e32 v20, 0
	;; [unrolled: 1-line block ×4, first 2 shown]
	v_cmp_ne_u16_sdwa s[0:1], v11, v5 src0_sel:BYTE_0 src1_sel:DWORD
	s_and_saveexec_b64 s[6:7], s[0:1]
	s_cbranch_execz .LBB196_389
; %bb.384:                              ;   in Loop: Header=BB196_319 Depth=1
	v_bfrev_b32_e32 v20, 1
	v_mov_b32_e32 v21, 0
	v_cmp_ne_u16_sdwa s[0:1], v11, s24 src0_sel:BYTE_0 src1_sel:DWORD
	s_and_saveexec_b64 s[12:13], s[0:1]
	s_cbranch_execz .LBB196_388
; %bb.385:                              ;   in Loop: Header=BB196_319 Depth=1
	v_bfe_u32 v0, v15, 16, 7
	v_mov_b32_e32 v20, 0x7f800001
	v_mov_b32_e32 v21, 0
	v_cmp_ne_u32_e64 s[0:1], s25, v0
	s_and_saveexec_b64 s[14:15], s[0:1]
	s_cbranch_execz .LBB196_387
; %bb.386:                              ;   in Loop: Header=BB196_319 Depth=1
	v_and_b32_e32 v20, 7, v11
	v_ffbh_u32_e32 v7, v20
	v_mov_b32_e32 v41, v26
	v_mov_b32_e32 v26, v24
	v_min_u32_e32 v24, 32, v7
	v_subrev_u32_e32 v7, 28, v24
	v_lshlrev_b64 v[7:8], v7, v[11:12]
	v_lshrrev_b32_e32 v21, 3, v0
	v_sub_u32_e32 v8, 29, v24
	v_and_b32_e32 v7, 7, v7
	v_cmp_gt_u32_e64 s[0:1], 8, v0
	v_cndmask_b32_e64 v0, v21, v8, s[0:1]
	v_cndmask_b32_e64 v7, v20, v7, s[0:1]
	v_lshlrev_b32_e32 v7, 20, v7
	v_and_b32_sdwa v8, sext(v11), s26 dst_sel:DWORD dst_unused:UNUSED_PAD src0_sel:BYTE_0 src1_sel:DWORD
	v_lshl_add_u32 v0, v0, 23, v25
	v_mov_b32_e32 v24, v26
	v_mov_b32_e32 v26, v41
	v_or3_b32 v20, v8, v0, v7
	v_mov_b32_e32 v21, v5
.LBB196_387:                            ;   in Loop: Header=BB196_319 Depth=1
	s_or_b64 exec, exec, s[14:15]
.LBB196_388:                            ;   in Loop: Header=BB196_319 Depth=1
	s_or_b64 exec, exec, s[12:13]
.LBB196_389:                            ;   in Loop: Header=BB196_319 Depth=1
	s_or_b64 exec, exec, s[6:7]
	v_cmp_lt_u32_e64 s[0:1], s27, v15
	s_and_saveexec_b64 s[6:7], s[0:1]
	s_cbranch_execz .LBB196_395
; %bb.390:                              ;   in Loop: Header=BB196_319 Depth=1
	v_mov_b32_e32 v23, v6
	v_cmp_ne_u32_sdwa s[0:1], v15, s24 src0_sel:BYTE_3 src1_sel:DWORD
	v_mov_b32_e32 v22, v5
	s_and_saveexec_b64 s[12:13], s[0:1]
	s_cbranch_execz .LBB196_394
; %bb.391:                              ;   in Loop: Header=BB196_319 Depth=1
	v_bfe_u32 v0, v15, 24, 7
	v_mov_b32_e32 v11, v5
	v_mov_b32_e32 v23, v12
	v_cmp_ne_u32_e64 s[0:1], s25, v0
	v_mov_b32_e32 v22, v11
	s_and_saveexec_b64 s[14:15], s[0:1]
	s_cbranch_execz .LBB196_393
; %bb.392:                              ;   in Loop: Header=BB196_319 Depth=1
	v_and_b32_sdwa v7, v15, v62 dst_sel:DWORD dst_unused:UNUSED_PAD src0_sel:BYTE_3 src1_sel:DWORD
	v_ffbh_u32_e32 v22, v7
	v_mov_b32_e32 v41, v26
	v_mov_b32_e32 v26, v24
	v_min_u32_e32 v24, 32, v22
	v_mov_b32_e32 v8, v5
	v_subrev_u32_e32 v22, 28, v24
	v_lshlrev_b64 v[22:23], v22, v[7:8]
	v_lshrrev_b32_e32 v11, 3, v0
	v_sub_u32_e32 v8, 29, v24
	v_cmp_gt_u32_e64 s[0:1], 8, v0
	v_and_b32_e32 v22, 7, v22
	v_cndmask_b32_e64 v0, v11, v8, s[0:1]
	v_mov_b32_e32 v8, 24
	v_cndmask_b32_e64 v7, v7, v22, s[0:1]
	v_lshlrev_b32_sdwa v8, v8, v15 dst_sel:DWORD dst_unused:UNUSED_PAD src0_sel:DWORD src1_sel:BYTE_3
	v_lshl_add_u32 v0, v0, 23, v25
	v_and_or_b32 v0, v8, s26, v0
	v_lshlrev_b32_e32 v7, 20, v7
	v_mov_b32_e32 v24, v26
	v_mov_b32_e32 v26, v41
	v_or_b32_e32 v23, v0, v7
	v_mov_b32_e32 v22, v5
.LBB196_393:                            ;   in Loop: Header=BB196_319 Depth=1
	s_or_b64 exec, exec, s[14:15]
.LBB196_394:                            ;   in Loop: Header=BB196_319 Depth=1
	s_or_b64 exec, exec, s[12:13]
.LBB196_395:                            ;   in Loop: Header=BB196_319 Depth=1
	s_or_b64 exec, exec, s[6:7]
	v_or_b32_e32 v0, v19, v17
	v_or_b32_e32 v7, v18, v16
	v_mul_f32_e32 v0, s18, v0
	buffer_store_dword v0, off, s[44:47], 0 offset:16 ; 4-byte Folded Spill
	v_mul_f32_e32 v0, s17, v7
	buffer_store_dword v0, off, s[44:47], 0 offset:28 ; 4-byte Folded Spill
	v_or_b32_e32 v0, v23, v21
	v_or_b32_e32 v7, v22, v20
	v_mul_f32_e32 v7, s17, v7
	v_mul_f32_e32 v0, s18, v0
	buffer_store_dword v7, off, s[44:47], 0 offset:24 ; 4-byte Folded Spill
	buffer_store_dword v0, off, s[44:47], 0 offset:20 ; 4-byte Folded Spill
	s_and_saveexec_b64 s[6:7], vcc
	s_cbranch_execz .LBB196_397
; %bb.396:                              ;   in Loop: Header=BB196_319 Depth=1
	v_add_u32_e32 v0, -3, v39
	v_cmp_gt_i32_e64 s[0:1], s30, v0
	buffer_load_dword v0, off, s[44:47], 0 offset:28 ; 4-byte Folded Reload
	s_waitcnt vmcnt(0)
	v_cndmask_b32_e64 v0, 0, v0, s[0:1]
	buffer_store_dword v0, off, s[44:47], 0 offset:28 ; 4-byte Folded Spill
	v_add_u32_e32 v0, -2, v39
	v_cmp_gt_i32_e64 s[0:1], s30, v0
	buffer_load_dword v0, off, s[44:47], 0 offset:16 ; 4-byte Folded Reload
	s_waitcnt vmcnt(0)
	v_cndmask_b32_e64 v0, 0, v0, s[0:1]
	buffer_store_dword v0, off, s[44:47], 0 offset:16 ; 4-byte Folded Spill
	;; [unrolled: 6-line block ×3, first 2 shown]
	buffer_load_dword v0, off, s[44:47], 0 offset:20 ; 4-byte Folded Reload
	v_cmp_gt_i32_e64 s[0:1], s30, v39
	s_waitcnt vmcnt(0)
	v_cndmask_b32_e64 v0, 0, v0, s[0:1]
	buffer_store_dword v0, off, s[44:47], 0 offset:20 ; 4-byte Folded Spill
.LBB196_397:                            ;   in Loop: Header=BB196_319 Depth=1
	s_or_b64 exec, exec, s[6:7]
	global_load_dword v15, v[13:14], off offset:768
	v_mov_b32_e32 v18, 0
	v_mov_b32_e32 v16, 0
	;; [unrolled: 1-line block ×4, first 2 shown]
	s_waitcnt vmcnt(0)
	v_cmp_ne_u16_sdwa s[0:1], v15, v5 src0_sel:BYTE_0 src1_sel:DWORD
	s_and_saveexec_b64 s[6:7], s[0:1]
	s_cbranch_execz .LBB196_403
; %bb.398:                              ;   in Loop: Header=BB196_319 Depth=1
	v_bfrev_b32_e32 v16, 1
	v_mov_b32_e32 v17, 0
	v_cmp_ne_u16_sdwa s[0:1], v15, s24 src0_sel:BYTE_0 src1_sel:DWORD
	s_and_saveexec_b64 s[12:13], s[0:1]
	s_cbranch_execz .LBB196_402
; %bb.399:                              ;   in Loop: Header=BB196_319 Depth=1
	v_and_b32_e32 v0, 0x7f, v15
	v_mov_b32_e32 v16, 0x7f800001
	v_mov_b32_e32 v17, 0
	v_cmp_ne_u32_e64 s[0:1], s25, v0
	s_and_saveexec_b64 s[14:15], s[0:1]
	s_cbranch_execz .LBB196_401
; %bb.400:                              ;   in Loop: Header=BB196_319 Depth=1
	v_and_b32_e32 v11, 7, v15
	v_ffbh_u32_e32 v7, v11
	v_min_u32_e32 v17, 32, v7
	v_lshrrev_b32_e32 v16, 3, v0
	v_subrev_u32_e32 v7, 28, v17
	v_lshlrev_b64 v[7:8], v7, v[15:16]
	v_sub_u32_e32 v8, 29, v17
	v_and_b32_e32 v7, 7, v7
	v_cmp_gt_u32_e64 s[0:1], 8, v0
	v_cndmask_b32_e64 v0, v16, v8, s[0:1]
	v_cndmask_b32_e64 v7, v11, v7, s[0:1]
	v_lshlrev_b32_e32 v7, 20, v7
	v_and_b32_sdwa v8, sext(v15), s26 dst_sel:DWORD dst_unused:UNUSED_PAD src0_sel:BYTE_0 src1_sel:DWORD
	v_lshl_add_u32 v0, v0, 23, v25
	v_or3_b32 v16, v8, v0, v7
	v_mov_b32_e32 v17, v5
.LBB196_401:                            ;   in Loop: Header=BB196_319 Depth=1
	s_or_b64 exec, exec, s[14:15]
.LBB196_402:                            ;   in Loop: Header=BB196_319 Depth=1
	s_or_b64 exec, exec, s[12:13]
.LBB196_403:                            ;   in Loop: Header=BB196_319 Depth=1
	s_or_b64 exec, exec, s[6:7]
	v_cmp_ne_u16_sdwa s[0:1], v15, v5 src0_sel:BYTE_1 src1_sel:DWORD
	s_and_saveexec_b64 s[6:7], s[0:1]
	s_cbranch_execz .LBB196_409
; %bb.404:                              ;   in Loop: Header=BB196_319 Depth=1
	v_mov_b32_e32 v19, v6
	v_cmp_ne_u16_sdwa s[0:1], v15, s24 src0_sel:BYTE_1 src1_sel:DWORD
	v_mov_b32_e32 v18, v5
	s_and_saveexec_b64 s[12:13], s[0:1]
	s_cbranch_execz .LBB196_408
; %bb.405:                              ;   in Loop: Header=BB196_319 Depth=1
	v_and_b32_sdwa v0, v15, s25 dst_sel:DWORD dst_unused:UNUSED_PAD src0_sel:BYTE_1 src1_sel:DWORD
	v_mov_b32_e32 v11, v5
	v_mov_b32_e32 v19, v12
	v_cmp_ne_u32_e64 s[0:1], s25, v0
	v_mov_b32_e32 v18, v11
	s_and_saveexec_b64 s[14:15], s[0:1]
	s_cbranch_execz .LBB196_407
; %bb.406:                              ;   in Loop: Header=BB196_319 Depth=1
	v_and_b32_sdwa v7, v15, v62 dst_sel:DWORD dst_unused:UNUSED_PAD src0_sel:BYTE_1 src1_sel:DWORD
	v_ffbh_u32_e32 v18, v7
	v_min_u32_e32 v20, 32, v18
	v_mov_b32_e32 v8, v5
	v_subrev_u32_e32 v18, 28, v20
	v_lshlrev_b64 v[18:19], v18, v[7:8]
	v_lshrrev_b32_e32 v11, 3, v0
	v_sub_u32_e32 v8, 29, v20
	v_cmp_gt_u32_e64 s[0:1], 8, v0
	v_and_b32_e32 v18, 7, v18
	v_cndmask_b32_e64 v0, v11, v8, s[0:1]
	v_cndmask_b32_e64 v7, v7, v18, s[0:1]
	v_lshlrev_b32_e32 v8, 16, v15
	v_lshl_add_u32 v0, v0, 23, v25
	v_and_or_b32 v0, v8, s26, v0
	v_lshlrev_b32_e32 v7, 20, v7
	v_or_b32_e32 v19, v0, v7
	v_mov_b32_e32 v18, v5
.LBB196_407:                            ;   in Loop: Header=BB196_319 Depth=1
	s_or_b64 exec, exec, s[14:15]
.LBB196_408:                            ;   in Loop: Header=BB196_319 Depth=1
	s_or_b64 exec, exec, s[12:13]
.LBB196_409:                            ;   in Loop: Header=BB196_319 Depth=1
	s_or_b64 exec, exec, s[6:7]
	v_lshrrev_b32_e32 v11, 16, v15
	v_mov_b32_e32 v22, 0
	v_mov_b32_e32 v20, 0
	;; [unrolled: 1-line block ×4, first 2 shown]
	v_cmp_ne_u16_sdwa s[0:1], v11, v5 src0_sel:BYTE_0 src1_sel:DWORD
	s_and_saveexec_b64 s[6:7], s[0:1]
	s_cbranch_execz .LBB196_415
; %bb.410:                              ;   in Loop: Header=BB196_319 Depth=1
	v_bfrev_b32_e32 v20, 1
	v_mov_b32_e32 v21, 0
	v_cmp_ne_u16_sdwa s[0:1], v11, s24 src0_sel:BYTE_0 src1_sel:DWORD
	s_and_saveexec_b64 s[12:13], s[0:1]
	s_cbranch_execz .LBB196_414
; %bb.411:                              ;   in Loop: Header=BB196_319 Depth=1
	v_bfe_u32 v0, v15, 16, 7
	v_mov_b32_e32 v20, 0x7f800001
	v_mov_b32_e32 v21, 0
	v_cmp_ne_u32_e64 s[0:1], s25, v0
	s_and_saveexec_b64 s[14:15], s[0:1]
	s_cbranch_execz .LBB196_413
; %bb.412:                              ;   in Loop: Header=BB196_319 Depth=1
	v_and_b32_e32 v20, 7, v11
	v_lshrrev_b32_e32 v21, 3, v0
	v_cmp_gt_u32_e64 s[0:1], 8, v0
	v_ffbh_u32_e32 v0, v20
	v_min_u32_e32 v0, 32, v0
	v_subrev_u32_e32 v7, 28, v0
	v_lshlrev_b64 v[7:8], v7, v[11:12]
	v_sub_u32_e32 v0, 29, v0
	v_and_b32_e32 v7, 7, v7
	v_cndmask_b32_e64 v0, v21, v0, s[0:1]
	v_cndmask_b32_e64 v7, v20, v7, s[0:1]
	v_lshlrev_b32_e32 v7, 20, v7
	v_and_b32_sdwa v8, sext(v11), s26 dst_sel:DWORD dst_unused:UNUSED_PAD src0_sel:BYTE_0 src1_sel:DWORD
	v_lshl_add_u32 v0, v0, 23, v25
	v_or3_b32 v20, v8, v0, v7
	v_mov_b32_e32 v21, v5
.LBB196_413:                            ;   in Loop: Header=BB196_319 Depth=1
	s_or_b64 exec, exec, s[14:15]
.LBB196_414:                            ;   in Loop: Header=BB196_319 Depth=1
	s_or_b64 exec, exec, s[12:13]
.LBB196_415:                            ;   in Loop: Header=BB196_319 Depth=1
	s_or_b64 exec, exec, s[6:7]
	v_cmp_lt_u32_e64 s[0:1], s27, v15
	s_and_saveexec_b64 s[6:7], s[0:1]
	s_cbranch_execz .LBB196_421
; %bb.416:                              ;   in Loop: Header=BB196_319 Depth=1
	v_mov_b32_e32 v23, v6
	v_cmp_ne_u32_sdwa s[0:1], v15, s24 src0_sel:BYTE_3 src1_sel:DWORD
	v_mov_b32_e32 v22, v5
	s_and_saveexec_b64 s[12:13], s[0:1]
	s_cbranch_execz .LBB196_420
; %bb.417:                              ;   in Loop: Header=BB196_319 Depth=1
	v_bfe_u32 v0, v15, 24, 7
	v_mov_b32_e32 v11, v5
	v_mov_b32_e32 v23, v12
	v_cmp_ne_u32_e64 s[0:1], s25, v0
	v_mov_b32_e32 v22, v11
	s_and_saveexec_b64 s[14:15], s[0:1]
	s_cbranch_execz .LBB196_419
; %bb.418:                              ;   in Loop: Header=BB196_319 Depth=1
	v_and_b32_sdwa v7, v15, v62 dst_sel:DWORD dst_unused:UNUSED_PAD src0_sel:BYTE_3 src1_sel:DWORD
	v_lshrrev_b32_e32 v11, 3, v0
	v_cmp_gt_u32_e64 s[0:1], 8, v0
	v_ffbh_u32_e32 v0, v7
	v_min_u32_e32 v0, 32, v0
	v_mov_b32_e32 v8, v5
	v_subrev_u32_e32 v22, 28, v0
	v_lshlrev_b64 v[22:23], v22, v[7:8]
	v_sub_u32_e32 v0, 29, v0
	v_and_b32_e32 v8, 7, v22
	v_cndmask_b32_e64 v0, v11, v0, s[0:1]
	v_cndmask_b32_e64 v7, v7, v8, s[0:1]
	v_mov_b32_e32 v8, 24
	v_lshlrev_b32_sdwa v8, v8, v15 dst_sel:DWORD dst_unused:UNUSED_PAD src0_sel:DWORD src1_sel:BYTE_3
	v_lshl_add_u32 v0, v0, 23, v25
	v_and_or_b32 v0, v8, s26, v0
	v_lshlrev_b32_e32 v7, 20, v7
	v_or_b32_e32 v23, v0, v7
	v_mov_b32_e32 v22, v5
.LBB196_419:                            ;   in Loop: Header=BB196_319 Depth=1
	s_or_b64 exec, exec, s[14:15]
.LBB196_420:                            ;   in Loop: Header=BB196_319 Depth=1
	s_or_b64 exec, exec, s[12:13]
.LBB196_421:                            ;   in Loop: Header=BB196_319 Depth=1
	s_or_b64 exec, exec, s[6:7]
	v_or_b32_e32 v0, v19, v17
	v_or_b32_e32 v7, v18, v16
	v_mul_f32_e32 v0, s18, v0
	buffer_store_dword v0, off, s[44:47], 0 offset:32 ; 4-byte Folded Spill
	v_mul_f32_e32 v0, s17, v7
	buffer_store_dword v0, off, s[44:47], 0 offset:68 ; 4-byte Folded Spill
	v_or_b32_e32 v0, v23, v21
	v_or_b32_e32 v7, v22, v20
	v_mul_f32_e32 v7, s17, v7
	v_mul_f32_e32 v0, s18, v0
	buffer_store_dword v7, off, s[44:47], 0 offset:52 ; 4-byte Folded Spill
	buffer_store_dword v0, off, s[44:47], 0 offset:36 ; 4-byte Folded Spill
	s_and_saveexec_b64 s[6:7], vcc
	s_cbranch_execz .LBB196_423
; %bb.422:                              ;   in Loop: Header=BB196_319 Depth=1
	v_add_u32_e32 v0, -3, v39
	v_cmp_gt_i32_e64 s[0:1], s30, v0
	buffer_load_dword v0, off, s[44:47], 0 offset:68 ; 4-byte Folded Reload
	s_waitcnt vmcnt(0)
	v_cndmask_b32_e64 v0, 0, v0, s[0:1]
	buffer_store_dword v0, off, s[44:47], 0 offset:68 ; 4-byte Folded Spill
	v_add_u32_e32 v0, -2, v39
	v_cmp_gt_i32_e64 s[0:1], s30, v0
	buffer_load_dword v0, off, s[44:47], 0 offset:32 ; 4-byte Folded Reload
	s_waitcnt vmcnt(0)
	v_cndmask_b32_e64 v0, 0, v0, s[0:1]
	buffer_store_dword v0, off, s[44:47], 0 offset:32 ; 4-byte Folded Spill
	;; [unrolled: 6-line block ×3, first 2 shown]
	buffer_load_dword v0, off, s[44:47], 0 offset:36 ; 4-byte Folded Reload
	v_cmp_gt_i32_e64 s[0:1], s30, v39
	s_waitcnt vmcnt(0)
	v_cndmask_b32_e64 v0, 0, v0, s[0:1]
	buffer_store_dword v0, off, s[44:47], 0 offset:36 ; 4-byte Folded Spill
.LBB196_423:                            ;   in Loop: Header=BB196_319 Depth=1
	s_or_b64 exec, exec, s[6:7]
	global_load_dword v15, v[13:14], off offset:1024
	v_mov_b32_e32 v18, 0
	v_mov_b32_e32 v16, 0
	;; [unrolled: 1-line block ×4, first 2 shown]
	s_waitcnt vmcnt(0)
	v_cmp_ne_u16_sdwa s[0:1], v15, v5 src0_sel:BYTE_0 src1_sel:DWORD
	s_and_saveexec_b64 s[6:7], s[0:1]
	s_cbranch_execz .LBB196_429
; %bb.424:                              ;   in Loop: Header=BB196_319 Depth=1
	v_bfrev_b32_e32 v16, 1
	v_mov_b32_e32 v17, 0
	v_cmp_ne_u16_sdwa s[0:1], v15, s24 src0_sel:BYTE_0 src1_sel:DWORD
	s_and_saveexec_b64 s[12:13], s[0:1]
	s_cbranch_execz .LBB196_428
; %bb.425:                              ;   in Loop: Header=BB196_319 Depth=1
	v_and_b32_e32 v0, 0x7f, v15
	v_mov_b32_e32 v16, 0x7f800001
	v_mov_b32_e32 v17, 0
	v_cmp_ne_u32_e64 s[0:1], s25, v0
	s_and_saveexec_b64 s[14:15], s[0:1]
	s_cbranch_execz .LBB196_427
; %bb.426:                              ;   in Loop: Header=BB196_319 Depth=1
	v_and_b32_e32 v11, 7, v15
	v_lshrrev_b32_e32 v16, 3, v0
	v_cmp_gt_u32_e64 s[0:1], 8, v0
	v_ffbh_u32_e32 v0, v11
	v_min_u32_e32 v0, 32, v0
	v_subrev_u32_e32 v7, 28, v0
	v_lshlrev_b64 v[7:8], v7, v[15:16]
	v_sub_u32_e32 v0, 29, v0
	v_and_b32_e32 v7, 7, v7
	v_cndmask_b32_e64 v0, v16, v0, s[0:1]
	v_cndmask_b32_e64 v7, v11, v7, s[0:1]
	v_lshlrev_b32_e32 v7, 20, v7
	v_and_b32_sdwa v8, sext(v15), s26 dst_sel:DWORD dst_unused:UNUSED_PAD src0_sel:BYTE_0 src1_sel:DWORD
	v_lshl_add_u32 v0, v0, 23, v25
	v_or3_b32 v16, v8, v0, v7
	v_mov_b32_e32 v17, v5
.LBB196_427:                            ;   in Loop: Header=BB196_319 Depth=1
	s_or_b64 exec, exec, s[14:15]
.LBB196_428:                            ;   in Loop: Header=BB196_319 Depth=1
	s_or_b64 exec, exec, s[12:13]
.LBB196_429:                            ;   in Loop: Header=BB196_319 Depth=1
	s_or_b64 exec, exec, s[6:7]
	v_cmp_ne_u16_sdwa s[0:1], v15, v5 src0_sel:BYTE_1 src1_sel:DWORD
	s_and_saveexec_b64 s[6:7], s[0:1]
	s_cbranch_execz .LBB196_435
; %bb.430:                              ;   in Loop: Header=BB196_319 Depth=1
	v_mov_b32_e32 v19, v6
	v_cmp_ne_u16_sdwa s[0:1], v15, s24 src0_sel:BYTE_1 src1_sel:DWORD
	v_mov_b32_e32 v18, v5
	s_and_saveexec_b64 s[12:13], s[0:1]
	s_cbranch_execz .LBB196_434
; %bb.431:                              ;   in Loop: Header=BB196_319 Depth=1
	v_and_b32_sdwa v0, v15, s25 dst_sel:DWORD dst_unused:UNUSED_PAD src0_sel:BYTE_1 src1_sel:DWORD
	v_mov_b32_e32 v11, v5
	v_mov_b32_e32 v19, v12
	v_cmp_ne_u32_e64 s[0:1], s25, v0
	v_mov_b32_e32 v18, v11
	s_and_saveexec_b64 s[14:15], s[0:1]
	s_cbranch_execz .LBB196_433
; %bb.432:                              ;   in Loop: Header=BB196_319 Depth=1
	v_and_b32_sdwa v7, v15, v62 dst_sel:DWORD dst_unused:UNUSED_PAD src0_sel:BYTE_1 src1_sel:DWORD
	v_lshrrev_b32_e32 v11, 3, v0
	v_cmp_gt_u32_e64 s[0:1], 8, v0
	v_ffbh_u32_e32 v0, v7
	v_min_u32_e32 v0, 32, v0
	v_mov_b32_e32 v8, v5
	v_subrev_u32_e32 v18, 28, v0
	v_lshlrev_b64 v[18:19], v18, v[7:8]
	v_sub_u32_e32 v0, 29, v0
	v_and_b32_e32 v8, 7, v18
	v_cndmask_b32_e64 v0, v11, v0, s[0:1]
	v_cndmask_b32_e64 v7, v7, v8, s[0:1]
	v_lshlrev_b32_e32 v8, 16, v15
	v_lshl_add_u32 v0, v0, 23, v25
	v_and_or_b32 v0, v8, s26, v0
	v_lshlrev_b32_e32 v7, 20, v7
	v_or_b32_e32 v19, v0, v7
	v_mov_b32_e32 v18, v5
.LBB196_433:                            ;   in Loop: Header=BB196_319 Depth=1
	s_or_b64 exec, exec, s[14:15]
.LBB196_434:                            ;   in Loop: Header=BB196_319 Depth=1
	s_or_b64 exec, exec, s[12:13]
.LBB196_435:                            ;   in Loop: Header=BB196_319 Depth=1
	s_or_b64 exec, exec, s[6:7]
	v_lshrrev_b32_e32 v11, 16, v15
	v_mov_b32_e32 v22, 0
	v_mov_b32_e32 v20, 0
	v_mov_b32_e32 v23, 0
	v_mov_b32_e32 v21, 0
	v_cmp_ne_u16_sdwa s[0:1], v11, v5 src0_sel:BYTE_0 src1_sel:DWORD
	s_and_saveexec_b64 s[6:7], s[0:1]
	s_cbranch_execz .LBB196_441
; %bb.436:                              ;   in Loop: Header=BB196_319 Depth=1
	v_bfrev_b32_e32 v20, 1
	v_mov_b32_e32 v21, 0
	v_cmp_ne_u16_sdwa s[0:1], v11, s24 src0_sel:BYTE_0 src1_sel:DWORD
	s_and_saveexec_b64 s[12:13], s[0:1]
	s_cbranch_execz .LBB196_440
; %bb.437:                              ;   in Loop: Header=BB196_319 Depth=1
	v_bfe_u32 v0, v15, 16, 7
	v_mov_b32_e32 v20, 0x7f800001
	v_mov_b32_e32 v21, 0
	v_cmp_ne_u32_e64 s[0:1], s25, v0
	s_and_saveexec_b64 s[14:15], s[0:1]
	s_cbranch_execz .LBB196_439
; %bb.438:                              ;   in Loop: Header=BB196_319 Depth=1
	v_and_b32_e32 v20, 7, v11
	v_lshrrev_b32_e32 v21, 3, v0
	v_cmp_gt_u32_e64 s[0:1], 8, v0
	v_ffbh_u32_e32 v0, v20
	v_min_u32_e32 v0, 32, v0
	v_subrev_u32_e32 v7, 28, v0
	v_lshlrev_b64 v[7:8], v7, v[11:12]
	v_sub_u32_e32 v0, 29, v0
	v_and_b32_e32 v7, 7, v7
	v_cndmask_b32_e64 v0, v21, v0, s[0:1]
	v_cndmask_b32_e64 v7, v20, v7, s[0:1]
	v_lshlrev_b32_e32 v7, 20, v7
	v_and_b32_sdwa v8, sext(v11), s26 dst_sel:DWORD dst_unused:UNUSED_PAD src0_sel:BYTE_0 src1_sel:DWORD
	v_lshl_add_u32 v0, v0, 23, v25
	v_or3_b32 v20, v8, v0, v7
	v_mov_b32_e32 v21, v5
.LBB196_439:                            ;   in Loop: Header=BB196_319 Depth=1
	s_or_b64 exec, exec, s[14:15]
.LBB196_440:                            ;   in Loop: Header=BB196_319 Depth=1
	s_or_b64 exec, exec, s[12:13]
.LBB196_441:                            ;   in Loop: Header=BB196_319 Depth=1
	s_or_b64 exec, exec, s[6:7]
	v_cmp_lt_u32_e64 s[0:1], s27, v15
	s_and_saveexec_b64 s[6:7], s[0:1]
	s_cbranch_execz .LBB196_447
; %bb.442:                              ;   in Loop: Header=BB196_319 Depth=1
	v_mov_b32_e32 v23, v6
	v_cmp_ne_u32_sdwa s[0:1], v15, s24 src0_sel:BYTE_3 src1_sel:DWORD
	v_mov_b32_e32 v22, v5
	s_and_saveexec_b64 s[12:13], s[0:1]
	s_cbranch_execz .LBB196_446
; %bb.443:                              ;   in Loop: Header=BB196_319 Depth=1
	v_bfe_u32 v0, v15, 24, 7
	v_mov_b32_e32 v11, v5
	v_mov_b32_e32 v23, v12
	v_cmp_ne_u32_e64 s[0:1], s25, v0
	v_mov_b32_e32 v22, v11
	s_and_saveexec_b64 s[14:15], s[0:1]
	s_cbranch_execz .LBB196_445
; %bb.444:                              ;   in Loop: Header=BB196_319 Depth=1
	v_and_b32_sdwa v7, v15, v62 dst_sel:DWORD dst_unused:UNUSED_PAD src0_sel:BYTE_3 src1_sel:DWORD
	v_lshrrev_b32_e32 v11, 3, v0
	v_cmp_gt_u32_e64 s[0:1], 8, v0
	v_ffbh_u32_e32 v0, v7
	v_min_u32_e32 v0, 32, v0
	v_mov_b32_e32 v8, v5
	v_subrev_u32_e32 v22, 28, v0
	v_lshlrev_b64 v[22:23], v22, v[7:8]
	v_sub_u32_e32 v0, 29, v0
	v_and_b32_e32 v8, 7, v22
	v_cndmask_b32_e64 v0, v11, v0, s[0:1]
	v_cndmask_b32_e64 v7, v7, v8, s[0:1]
	v_mov_b32_e32 v8, 24
	v_lshlrev_b32_sdwa v8, v8, v15 dst_sel:DWORD dst_unused:UNUSED_PAD src0_sel:DWORD src1_sel:BYTE_3
	v_lshl_add_u32 v0, v0, 23, v25
	v_and_or_b32 v0, v8, s26, v0
	v_lshlrev_b32_e32 v7, 20, v7
	v_or_b32_e32 v23, v0, v7
	v_mov_b32_e32 v22, v5
.LBB196_445:                            ;   in Loop: Header=BB196_319 Depth=1
	s_or_b64 exec, exec, s[14:15]
.LBB196_446:                            ;   in Loop: Header=BB196_319 Depth=1
	s_or_b64 exec, exec, s[12:13]
.LBB196_447:                            ;   in Loop: Header=BB196_319 Depth=1
	s_or_b64 exec, exec, s[6:7]
	v_or_b32_e32 v0, v19, v17
	v_or_b32_e32 v7, v18, v16
	v_mul_f32_e32 v0, s18, v0
	buffer_store_dword v0, off, s[44:47], 0 offset:84 ; 4-byte Folded Spill
	v_mul_f32_e32 v0, s17, v7
	buffer_store_dword v0, off, s[44:47], 0 offset:132 ; 4-byte Folded Spill
	v_or_b32_e32 v0, v23, v21
	v_or_b32_e32 v7, v22, v20
	v_mul_f32_e32 v7, s17, v7
	v_mul_f32_e32 v0, s18, v0
	buffer_store_dword v7, off, s[44:47], 0 offset:116 ; 4-byte Folded Spill
	buffer_store_dword v0, off, s[44:47], 0 offset:100 ; 4-byte Folded Spill
	s_and_saveexec_b64 s[6:7], vcc
	s_cbranch_execz .LBB196_449
; %bb.448:                              ;   in Loop: Header=BB196_319 Depth=1
	v_add_u32_e32 v0, -3, v39
	v_cmp_gt_i32_e64 s[0:1], s30, v0
	buffer_load_dword v0, off, s[44:47], 0 offset:132 ; 4-byte Folded Reload
	s_waitcnt vmcnt(0)
	v_cndmask_b32_e64 v0, 0, v0, s[0:1]
	buffer_store_dword v0, off, s[44:47], 0 offset:132 ; 4-byte Folded Spill
	v_add_u32_e32 v0, -2, v39
	v_cmp_gt_i32_e64 s[0:1], s30, v0
	buffer_load_dword v0, off, s[44:47], 0 offset:84 ; 4-byte Folded Reload
	s_waitcnt vmcnt(0)
	v_cndmask_b32_e64 v0, 0, v0, s[0:1]
	buffer_store_dword v0, off, s[44:47], 0 offset:84 ; 4-byte Folded Spill
	;; [unrolled: 6-line block ×3, first 2 shown]
	buffer_load_dword v0, off, s[44:47], 0 offset:100 ; 4-byte Folded Reload
	v_cmp_gt_i32_e64 s[0:1], s30, v39
	s_waitcnt vmcnt(0)
	v_cndmask_b32_e64 v0, 0, v0, s[0:1]
	buffer_store_dword v0, off, s[44:47], 0 offset:100 ; 4-byte Folded Spill
.LBB196_449:                            ;   in Loop: Header=BB196_319 Depth=1
	s_or_b64 exec, exec, s[6:7]
	global_load_dword v15, v[13:14], off offset:1280
	v_mov_b32_e32 v18, 0
	v_mov_b32_e32 v16, 0
	;; [unrolled: 1-line block ×4, first 2 shown]
	s_waitcnt vmcnt(0)
	v_cmp_ne_u16_sdwa s[0:1], v15, v5 src0_sel:BYTE_0 src1_sel:DWORD
	s_and_saveexec_b64 s[6:7], s[0:1]
	s_cbranch_execz .LBB196_455
; %bb.450:                              ;   in Loop: Header=BB196_319 Depth=1
	v_bfrev_b32_e32 v16, 1
	v_mov_b32_e32 v17, 0
	v_cmp_ne_u16_sdwa s[0:1], v15, s24 src0_sel:BYTE_0 src1_sel:DWORD
	s_and_saveexec_b64 s[12:13], s[0:1]
	s_cbranch_execz .LBB196_454
; %bb.451:                              ;   in Loop: Header=BB196_319 Depth=1
	v_and_b32_e32 v0, 0x7f, v15
	v_mov_b32_e32 v16, 0x7f800001
	v_mov_b32_e32 v17, 0
	v_cmp_ne_u32_e64 s[0:1], s25, v0
	s_and_saveexec_b64 s[14:15], s[0:1]
	s_cbranch_execz .LBB196_453
; %bb.452:                              ;   in Loop: Header=BB196_319 Depth=1
	v_and_b32_e32 v11, 7, v15
	v_lshrrev_b32_e32 v16, 3, v0
	v_cmp_gt_u32_e64 s[0:1], 8, v0
	v_ffbh_u32_e32 v0, v11
	v_min_u32_e32 v0, 32, v0
	v_subrev_u32_e32 v7, 28, v0
	v_lshlrev_b64 v[7:8], v7, v[15:16]
	v_sub_u32_e32 v0, 29, v0
	v_and_b32_e32 v7, 7, v7
	v_cndmask_b32_e64 v0, v16, v0, s[0:1]
	v_cndmask_b32_e64 v7, v11, v7, s[0:1]
	v_lshlrev_b32_e32 v7, 20, v7
	v_and_b32_sdwa v8, sext(v15), s26 dst_sel:DWORD dst_unused:UNUSED_PAD src0_sel:BYTE_0 src1_sel:DWORD
	v_lshl_add_u32 v0, v0, 23, v25
	v_or3_b32 v16, v8, v0, v7
	v_mov_b32_e32 v17, v5
.LBB196_453:                            ;   in Loop: Header=BB196_319 Depth=1
	s_or_b64 exec, exec, s[14:15]
.LBB196_454:                            ;   in Loop: Header=BB196_319 Depth=1
	s_or_b64 exec, exec, s[12:13]
.LBB196_455:                            ;   in Loop: Header=BB196_319 Depth=1
	s_or_b64 exec, exec, s[6:7]
	v_cmp_ne_u16_sdwa s[0:1], v15, v5 src0_sel:BYTE_1 src1_sel:DWORD
	s_and_saveexec_b64 s[6:7], s[0:1]
	s_cbranch_execz .LBB196_461
; %bb.456:                              ;   in Loop: Header=BB196_319 Depth=1
	v_mov_b32_e32 v19, v6
	v_cmp_ne_u16_sdwa s[0:1], v15, s24 src0_sel:BYTE_1 src1_sel:DWORD
	v_mov_b32_e32 v18, v5
	s_and_saveexec_b64 s[12:13], s[0:1]
	s_cbranch_execz .LBB196_460
; %bb.457:                              ;   in Loop: Header=BB196_319 Depth=1
	v_and_b32_sdwa v0, v15, s25 dst_sel:DWORD dst_unused:UNUSED_PAD src0_sel:BYTE_1 src1_sel:DWORD
	v_mov_b32_e32 v11, v5
	v_mov_b32_e32 v19, v12
	v_cmp_ne_u32_e64 s[0:1], s25, v0
	v_mov_b32_e32 v18, v11
	s_and_saveexec_b64 s[14:15], s[0:1]
	s_cbranch_execz .LBB196_459
; %bb.458:                              ;   in Loop: Header=BB196_319 Depth=1
	v_and_b32_sdwa v7, v15, v62 dst_sel:DWORD dst_unused:UNUSED_PAD src0_sel:BYTE_1 src1_sel:DWORD
	v_lshrrev_b32_e32 v11, 3, v0
	v_cmp_gt_u32_e64 s[0:1], 8, v0
	v_ffbh_u32_e32 v0, v7
	v_min_u32_e32 v0, 32, v0
	v_mov_b32_e32 v8, v5
	v_subrev_u32_e32 v18, 28, v0
	v_lshlrev_b64 v[18:19], v18, v[7:8]
	v_sub_u32_e32 v0, 29, v0
	v_and_b32_e32 v8, 7, v18
	v_cndmask_b32_e64 v0, v11, v0, s[0:1]
	v_cndmask_b32_e64 v7, v7, v8, s[0:1]
	v_lshlrev_b32_e32 v8, 16, v15
	v_lshl_add_u32 v0, v0, 23, v25
	v_and_or_b32 v0, v8, s26, v0
	v_lshlrev_b32_e32 v7, 20, v7
	v_or_b32_e32 v19, v0, v7
	v_mov_b32_e32 v18, v5
.LBB196_459:                            ;   in Loop: Header=BB196_319 Depth=1
	s_or_b64 exec, exec, s[14:15]
.LBB196_460:                            ;   in Loop: Header=BB196_319 Depth=1
	s_or_b64 exec, exec, s[12:13]
.LBB196_461:                            ;   in Loop: Header=BB196_319 Depth=1
	s_or_b64 exec, exec, s[6:7]
	v_lshrrev_b32_e32 v11, 16, v15
	v_mov_b32_e32 v22, 0
	v_mov_b32_e32 v20, 0
	;; [unrolled: 1-line block ×4, first 2 shown]
	v_cmp_ne_u16_sdwa s[0:1], v11, v5 src0_sel:BYTE_0 src1_sel:DWORD
	s_and_saveexec_b64 s[6:7], s[0:1]
	s_cbranch_execz .LBB196_467
; %bb.462:                              ;   in Loop: Header=BB196_319 Depth=1
	v_bfrev_b32_e32 v20, 1
	v_mov_b32_e32 v21, 0
	v_cmp_ne_u16_sdwa s[0:1], v11, s24 src0_sel:BYTE_0 src1_sel:DWORD
	s_and_saveexec_b64 s[12:13], s[0:1]
	s_cbranch_execz .LBB196_466
; %bb.463:                              ;   in Loop: Header=BB196_319 Depth=1
	v_bfe_u32 v0, v15, 16, 7
	v_mov_b32_e32 v20, 0x7f800001
	v_mov_b32_e32 v21, 0
	v_cmp_ne_u32_e64 s[0:1], s25, v0
	s_and_saveexec_b64 s[14:15], s[0:1]
	s_cbranch_execz .LBB196_465
; %bb.464:                              ;   in Loop: Header=BB196_319 Depth=1
	v_and_b32_e32 v20, 7, v11
	v_lshrrev_b32_e32 v21, 3, v0
	v_cmp_gt_u32_e64 s[0:1], 8, v0
	v_ffbh_u32_e32 v0, v20
	v_min_u32_e32 v0, 32, v0
	v_subrev_u32_e32 v7, 28, v0
	v_lshlrev_b64 v[7:8], v7, v[11:12]
	v_sub_u32_e32 v0, 29, v0
	v_and_b32_e32 v7, 7, v7
	v_cndmask_b32_e64 v0, v21, v0, s[0:1]
	v_cndmask_b32_e64 v7, v20, v7, s[0:1]
	v_lshlrev_b32_e32 v7, 20, v7
	v_and_b32_sdwa v8, sext(v11), s26 dst_sel:DWORD dst_unused:UNUSED_PAD src0_sel:BYTE_0 src1_sel:DWORD
	v_lshl_add_u32 v0, v0, 23, v25
	v_or3_b32 v20, v8, v0, v7
	v_mov_b32_e32 v21, v5
.LBB196_465:                            ;   in Loop: Header=BB196_319 Depth=1
	s_or_b64 exec, exec, s[14:15]
.LBB196_466:                            ;   in Loop: Header=BB196_319 Depth=1
	s_or_b64 exec, exec, s[12:13]
.LBB196_467:                            ;   in Loop: Header=BB196_319 Depth=1
	s_or_b64 exec, exec, s[6:7]
	v_cmp_lt_u32_e64 s[0:1], s27, v15
	s_and_saveexec_b64 s[6:7], s[0:1]
	s_cbranch_execz .LBB196_473
; %bb.468:                              ;   in Loop: Header=BB196_319 Depth=1
	v_mov_b32_e32 v23, v6
	v_cmp_ne_u32_sdwa s[0:1], v15, s24 src0_sel:BYTE_3 src1_sel:DWORD
	v_mov_b32_e32 v22, v5
	s_and_saveexec_b64 s[12:13], s[0:1]
	s_cbranch_execz .LBB196_472
; %bb.469:                              ;   in Loop: Header=BB196_319 Depth=1
	v_bfe_u32 v0, v15, 24, 7
	v_mov_b32_e32 v11, v5
	v_mov_b32_e32 v23, v12
	v_cmp_ne_u32_e64 s[0:1], s25, v0
	v_mov_b32_e32 v22, v11
	s_and_saveexec_b64 s[14:15], s[0:1]
	s_cbranch_execz .LBB196_471
; %bb.470:                              ;   in Loop: Header=BB196_319 Depth=1
	v_and_b32_sdwa v7, v15, v62 dst_sel:DWORD dst_unused:UNUSED_PAD src0_sel:BYTE_3 src1_sel:DWORD
	v_lshrrev_b32_e32 v11, 3, v0
	v_cmp_gt_u32_e64 s[0:1], 8, v0
	v_ffbh_u32_e32 v0, v7
	v_min_u32_e32 v0, 32, v0
	v_mov_b32_e32 v8, v5
	v_subrev_u32_e32 v22, 28, v0
	v_lshlrev_b64 v[22:23], v22, v[7:8]
	v_sub_u32_e32 v0, 29, v0
	v_and_b32_e32 v8, 7, v22
	v_cndmask_b32_e64 v0, v11, v0, s[0:1]
	v_cndmask_b32_e64 v7, v7, v8, s[0:1]
	v_mov_b32_e32 v8, 24
	v_lshlrev_b32_sdwa v8, v8, v15 dst_sel:DWORD dst_unused:UNUSED_PAD src0_sel:DWORD src1_sel:BYTE_3
	v_lshl_add_u32 v0, v0, 23, v25
	v_and_or_b32 v0, v8, s26, v0
	v_lshlrev_b32_e32 v7, 20, v7
	v_or_b32_e32 v23, v0, v7
	v_mov_b32_e32 v22, v5
.LBB196_471:                            ;   in Loop: Header=BB196_319 Depth=1
	s_or_b64 exec, exec, s[14:15]
.LBB196_472:                            ;   in Loop: Header=BB196_319 Depth=1
	s_or_b64 exec, exec, s[12:13]
.LBB196_473:                            ;   in Loop: Header=BB196_319 Depth=1
	s_or_b64 exec, exec, s[6:7]
	v_or_b32_e32 v0, v19, v17
	v_or_b32_e32 v7, v18, v16
	v_mul_f32_e32 v0, s18, v0
	v_mul_f32_e32 v8, s17, v7
	v_or_b32_e32 v11, v23, v21
	v_or_b32_e32 v7, v22, v20
	buffer_store_dword v0, off, s[44:47], 0 offset:148 ; 4-byte Folded Spill
	v_mul_f32_e32 v7, s17, v7
	v_mul_f32_e32 v0, s18, v11
	buffer_store_dword v0, off, s[44:47], 0 offset:164 ; 4-byte Folded Spill
	s_and_saveexec_b64 s[6:7], vcc
	s_cbranch_execz .LBB196_475
; %bb.474:                              ;   in Loop: Header=BB196_319 Depth=1
	v_add_u32_e32 v0, -3, v39
	v_cmp_gt_i32_e64 s[0:1], s30, v0
	v_add_u32_e32 v0, -2, v39
	v_cndmask_b32_e64 v8, 0, v8, s[0:1]
	v_cmp_gt_i32_e64 s[0:1], s30, v0
	buffer_load_dword v0, off, s[44:47], 0 offset:148 ; 4-byte Folded Reload
	s_waitcnt vmcnt(0)
	v_cndmask_b32_e64 v0, 0, v0, s[0:1]
	buffer_store_dword v0, off, s[44:47], 0 offset:148 ; 4-byte Folded Spill
	v_add_u32_e32 v0, -1, v39
	v_cmp_gt_i32_e64 s[0:1], s30, v0
	buffer_load_dword v0, off, s[44:47], 0 offset:164 ; 4-byte Folded Reload
	v_cndmask_b32_e64 v7, 0, v7, s[0:1]
	v_cmp_gt_i32_e64 s[0:1], s30, v39
	s_waitcnt vmcnt(0)
	v_cndmask_b32_e64 v0, 0, v0, s[0:1]
	buffer_store_dword v0, off, s[44:47], 0 offset:164 ; 4-byte Folded Spill
.LBB196_475:                            ;   in Loop: Header=BB196_319 Depth=1
	s_or_b64 exec, exec, s[6:7]
	global_load_dword v15, v[13:14], off offset:1536
	v_mov_b32_e32 v18, 0
	v_mov_b32_e32 v16, 0
	;; [unrolled: 1-line block ×4, first 2 shown]
	s_waitcnt vmcnt(0)
	v_cmp_ne_u16_sdwa s[0:1], v15, v5 src0_sel:BYTE_0 src1_sel:DWORD
	s_and_saveexec_b64 s[6:7], s[0:1]
	s_cbranch_execz .LBB196_481
; %bb.476:                              ;   in Loop: Header=BB196_319 Depth=1
	v_bfrev_b32_e32 v16, 1
	v_mov_b32_e32 v17, 0
	v_cmp_ne_u16_sdwa s[0:1], v15, s24 src0_sel:BYTE_0 src1_sel:DWORD
	s_and_saveexec_b64 s[12:13], s[0:1]
	s_cbranch_execz .LBB196_480
; %bb.477:                              ;   in Loop: Header=BB196_319 Depth=1
	v_and_b32_e32 v11, 0x7f, v15
	v_mov_b32_e32 v16, 0x7f800001
	v_mov_b32_e32 v17, 0
	v_cmp_ne_u32_e64 s[0:1], s25, v11
	s_and_saveexec_b64 s[14:15], s[0:1]
	s_cbranch_execz .LBB196_479
; %bb.478:                              ;   in Loop: Header=BB196_319 Depth=1
	v_and_b32_e32 v20, 7, v15
	v_lshrrev_b32_e32 v21, 3, v11
	v_cmp_gt_u32_e64 s[0:1], 8, v11
	v_ffbh_u32_e32 v11, v20
	v_min_u32_e32 v11, 32, v11
	v_subrev_u32_e32 v16, 28, v11
	v_lshlrev_b64 v[16:17], v16, v[15:16]
	v_sub_u32_e32 v11, 29, v11
	v_and_b32_e32 v16, 7, v16
	v_cndmask_b32_e64 v11, v21, v11, s[0:1]
	v_cndmask_b32_e64 v16, v20, v16, s[0:1]
	v_lshlrev_b32_e32 v16, 20, v16
	v_and_b32_sdwa v17, sext(v15), s26 dst_sel:DWORD dst_unused:UNUSED_PAD src0_sel:BYTE_0 src1_sel:DWORD
	v_lshl_add_u32 v11, v11, 23, v25
	v_or3_b32 v16, v17, v11, v16
	v_mov_b32_e32 v17, v5
.LBB196_479:                            ;   in Loop: Header=BB196_319 Depth=1
	s_or_b64 exec, exec, s[14:15]
.LBB196_480:                            ;   in Loop: Header=BB196_319 Depth=1
	s_or_b64 exec, exec, s[12:13]
.LBB196_481:                            ;   in Loop: Header=BB196_319 Depth=1
	s_or_b64 exec, exec, s[6:7]
	v_cmp_ne_u16_sdwa s[0:1], v15, v5 src0_sel:BYTE_1 src1_sel:DWORD
	s_and_saveexec_b64 s[6:7], s[0:1]
	s_cbranch_execz .LBB196_487
; %bb.482:                              ;   in Loop: Header=BB196_319 Depth=1
	v_mov_b32_e32 v19, v6
	v_cmp_ne_u16_sdwa s[0:1], v15, s24 src0_sel:BYTE_1 src1_sel:DWORD
	v_mov_b32_e32 v18, v5
	s_and_saveexec_b64 s[12:13], s[0:1]
	s_cbranch_execz .LBB196_486
; %bb.483:                              ;   in Loop: Header=BB196_319 Depth=1
	v_and_b32_sdwa v20, v15, s25 dst_sel:DWORD dst_unused:UNUSED_PAD src0_sel:BYTE_1 src1_sel:DWORD
	v_mov_b32_e32 v11, v5
	v_mov_b32_e32 v19, v12
	v_cmp_ne_u32_e64 s[0:1], s25, v20
	v_mov_b32_e32 v18, v11
	s_and_saveexec_b64 s[14:15], s[0:1]
	s_cbranch_execz .LBB196_485
; %bb.484:                              ;   in Loop: Header=BB196_319 Depth=1
	v_and_b32_sdwa v18, v15, v62 dst_sel:DWORD dst_unused:UNUSED_PAD src0_sel:BYTE_1 src1_sel:DWORD
	v_lshrrev_b32_e32 v11, 3, v20
	v_cmp_gt_u32_e64 s[0:1], 8, v20
	v_ffbh_u32_e32 v20, v18
	v_min_u32_e32 v21, 32, v20
	v_mov_b32_e32 v19, v5
	v_subrev_u32_e32 v20, 28, v21
	v_lshlrev_b64 v[19:20], v20, v[18:19]
	v_sub_u32_e32 v20, 29, v21
	v_and_b32_e32 v19, 7, v19
	v_cndmask_b32_e64 v11, v11, v20, s[0:1]
	v_cndmask_b32_e64 v18, v18, v19, s[0:1]
	v_lshlrev_b32_e32 v19, 16, v15
	v_lshl_add_u32 v11, v11, 23, v25
	v_and_or_b32 v11, v19, s26, v11
	v_lshlrev_b32_e32 v18, 20, v18
	v_or_b32_e32 v19, v11, v18
	v_mov_b32_e32 v18, v5
.LBB196_485:                            ;   in Loop: Header=BB196_319 Depth=1
	s_or_b64 exec, exec, s[14:15]
.LBB196_486:                            ;   in Loop: Header=BB196_319 Depth=1
	s_or_b64 exec, exec, s[12:13]
.LBB196_487:                            ;   in Loop: Header=BB196_319 Depth=1
	s_or_b64 exec, exec, s[6:7]
	v_lshrrev_b32_e32 v11, 16, v15
	v_mov_b32_e32 v22, 0
	v_mov_b32_e32 v20, 0
	;; [unrolled: 1-line block ×4, first 2 shown]
	v_cmp_ne_u16_sdwa s[0:1], v11, v5 src0_sel:BYTE_0 src1_sel:DWORD
	s_and_saveexec_b64 s[6:7], s[0:1]
	s_cbranch_execz .LBB196_493
; %bb.488:                              ;   in Loop: Header=BB196_319 Depth=1
	v_bfrev_b32_e32 v20, 1
	v_mov_b32_e32 v21, 0
	v_cmp_ne_u16_sdwa s[0:1], v11, s24 src0_sel:BYTE_0 src1_sel:DWORD
	s_and_saveexec_b64 s[12:13], s[0:1]
	s_cbranch_execz .LBB196_492
; %bb.489:                              ;   in Loop: Header=BB196_319 Depth=1
	v_bfe_u32 v41, v15, 16, 7
	v_mov_b32_e32 v20, 0x7f800001
	v_mov_b32_e32 v21, 0
	v_cmp_ne_u32_e64 s[0:1], s25, v41
	s_and_saveexec_b64 s[14:15], s[0:1]
	s_cbranch_execz .LBB196_491
; %bb.490:                              ;   in Loop: Header=BB196_319 Depth=1
	v_and_b32_e32 v42, 7, v11
	v_ffbh_u32_e32 v20, v42
	v_lshrrev_b32_e32 v44, 3, v41
	v_cmp_gt_u32_e64 s[0:1], 8, v41
	v_min_u32_e32 v41, 32, v20
	v_subrev_u32_e32 v20, 28, v41
	v_lshlrev_b64 v[20:21], v20, v[11:12]
	v_sub_u32_e32 v21, 29, v41
	v_and_b32_e32 v20, 7, v20
	v_cndmask_b32_e64 v21, v44, v21, s[0:1]
	v_cndmask_b32_e64 v20, v42, v20, s[0:1]
	v_lshlrev_b32_e32 v20, 20, v20
	v_and_b32_sdwa v11, sext(v11), s26 dst_sel:DWORD dst_unused:UNUSED_PAD src0_sel:BYTE_0 src1_sel:DWORD
	v_lshl_add_u32 v21, v21, 23, v25
	v_or3_b32 v20, v11, v21, v20
	v_mov_b32_e32 v21, v5
.LBB196_491:                            ;   in Loop: Header=BB196_319 Depth=1
	s_or_b64 exec, exec, s[14:15]
.LBB196_492:                            ;   in Loop: Header=BB196_319 Depth=1
	s_or_b64 exec, exec, s[12:13]
.LBB196_493:                            ;   in Loop: Header=BB196_319 Depth=1
	s_or_b64 exec, exec, s[6:7]
	v_cmp_lt_u32_e64 s[0:1], s27, v15
	s_and_saveexec_b64 s[6:7], s[0:1]
	s_cbranch_execz .LBB196_499
; %bb.494:                              ;   in Loop: Header=BB196_319 Depth=1
	v_mov_b32_e32 v23, v6
	v_cmp_ne_u32_sdwa s[0:1], v15, s24 src0_sel:BYTE_3 src1_sel:DWORD
	v_mov_b32_e32 v22, v5
	s_and_saveexec_b64 s[12:13], s[0:1]
	s_cbranch_execz .LBB196_498
; %bb.495:                              ;   in Loop: Header=BB196_319 Depth=1
	v_bfe_u32 v41, v15, 24, 7
	v_mov_b32_e32 v11, v5
	v_mov_b32_e32 v23, v12
	v_cmp_ne_u32_e64 s[0:1], s25, v41
	v_mov_b32_e32 v22, v11
	s_and_saveexec_b64 s[14:15], s[0:1]
	s_cbranch_execz .LBB196_497
; %bb.496:                              ;   in Loop: Header=BB196_319 Depth=1
	v_and_b32_sdwa v22, v15, v62 dst_sel:DWORD dst_unused:UNUSED_PAD src0_sel:BYTE_3 src1_sel:DWORD
	v_lshrrev_b32_e32 v11, 3, v41
	v_cmp_gt_u32_e64 s[0:1], 8, v41
	v_ffbh_u32_e32 v41, v22
	v_min_u32_e32 v44, 32, v41
	v_mov_b32_e32 v23, v5
	v_subrev_u32_e32 v41, 28, v44
	v_lshlrev_b64 v[41:42], v41, v[22:23]
	v_sub_u32_e32 v23, 29, v44
	v_and_b32_e32 v41, 7, v41
	v_cndmask_b32_e64 v11, v11, v23, s[0:1]
	v_mov_b32_e32 v23, 24
	v_cndmask_b32_e64 v22, v22, v41, s[0:1]
	v_lshlrev_b32_sdwa v15, v23, v15 dst_sel:DWORD dst_unused:UNUSED_PAD src0_sel:DWORD src1_sel:BYTE_3
	v_lshl_add_u32 v11, v11, 23, v25
	v_and_or_b32 v11, v15, s26, v11
	v_lshlrev_b32_e32 v15, 20, v22
	v_or_b32_e32 v23, v11, v15
	v_mov_b32_e32 v22, v5
.LBB196_497:                            ;   in Loop: Header=BB196_319 Depth=1
	s_or_b64 exec, exec, s[14:15]
.LBB196_498:                            ;   in Loop: Header=BB196_319 Depth=1
	s_or_b64 exec, exec, s[12:13]
.LBB196_499:                            ;   in Loop: Header=BB196_319 Depth=1
	s_or_b64 exec, exec, s[6:7]
	v_or_b32_e32 v11, v19, v17
	v_or_b32_e32 v15, v18, v16
	v_mul_f32_e32 v42, s18, v11
	v_mul_f32_e32 v45, s17, v15
	v_or_b32_e32 v11, v23, v21
	v_or_b32_e32 v15, v22, v20
	v_mul_f32_e32 v44, s17, v15
	v_mul_f32_e32 v41, s18, v11
	s_and_saveexec_b64 s[6:7], vcc
	s_cbranch_execz .LBB196_501
; %bb.500:                              ;   in Loop: Header=BB196_319 Depth=1
	v_add_u32_e32 v0, -3, v39
	v_cmp_gt_i32_e64 s[0:1], s30, v0
	v_add_u32_e32 v0, -2, v39
	v_cndmask_b32_e64 v45, 0, v45, s[0:1]
	v_cmp_gt_i32_e64 s[0:1], s30, v0
	v_add_u32_e32 v0, -1, v39
	v_cndmask_b32_e64 v42, 0, v42, s[0:1]
	v_cmp_gt_i32_e64 s[0:1], s30, v0
	v_cndmask_b32_e64 v44, 0, v44, s[0:1]
	v_cmp_gt_i32_e64 s[0:1], s30, v39
	v_cndmask_b32_e64 v41, 0, v41, s[0:1]
.LBB196_501:                            ;   in Loop: Header=BB196_319 Depth=1
	s_or_b64 exec, exec, s[6:7]
	global_load_dword v15, v[13:14], off offset:1792
	v_mov_b32_e32 v18, 0
	v_mov_b32_e32 v16, 0
	;; [unrolled: 1-line block ×4, first 2 shown]
	s_waitcnt vmcnt(0)
	v_cmp_ne_u16_sdwa s[0:1], v15, v5 src0_sel:BYTE_0 src1_sel:DWORD
	s_and_saveexec_b64 s[6:7], s[0:1]
	s_cbranch_execz .LBB196_507
; %bb.502:                              ;   in Loop: Header=BB196_319 Depth=1
	v_bfrev_b32_e32 v16, 1
	v_mov_b32_e32 v17, 0
	v_cmp_ne_u16_sdwa s[0:1], v15, s24 src0_sel:BYTE_0 src1_sel:DWORD
	s_and_saveexec_b64 s[12:13], s[0:1]
	s_cbranch_execz .LBB196_506
; %bb.503:                              ;   in Loop: Header=BB196_319 Depth=1
	v_and_b32_e32 v11, 0x7f, v15
	v_mov_b32_e32 v16, 0x7f800001
	v_mov_b32_e32 v17, 0
	v_cmp_ne_u32_e64 s[0:1], s25, v11
	s_and_saveexec_b64 s[14:15], s[0:1]
	s_cbranch_execz .LBB196_505
; %bb.504:                              ;   in Loop: Header=BB196_319 Depth=1
	v_and_b32_e32 v20, 7, v15
	v_lshrrev_b32_e32 v21, 3, v11
	v_cmp_gt_u32_e64 s[0:1], 8, v11
	v_ffbh_u32_e32 v11, v20
	v_min_u32_e32 v11, 32, v11
	v_subrev_u32_e32 v16, 28, v11
	v_lshlrev_b64 v[16:17], v16, v[15:16]
	v_sub_u32_e32 v11, 29, v11
	v_and_b32_e32 v16, 7, v16
	v_cndmask_b32_e64 v11, v21, v11, s[0:1]
	v_cndmask_b32_e64 v16, v20, v16, s[0:1]
	v_lshlrev_b32_e32 v16, 20, v16
	v_and_b32_sdwa v17, sext(v15), s26 dst_sel:DWORD dst_unused:UNUSED_PAD src0_sel:BYTE_0 src1_sel:DWORD
	v_lshl_add_u32 v11, v11, 23, v25
	v_or3_b32 v16, v17, v11, v16
	v_mov_b32_e32 v17, v5
.LBB196_505:                            ;   in Loop: Header=BB196_319 Depth=1
	s_or_b64 exec, exec, s[14:15]
.LBB196_506:                            ;   in Loop: Header=BB196_319 Depth=1
	s_or_b64 exec, exec, s[12:13]
.LBB196_507:                            ;   in Loop: Header=BB196_319 Depth=1
	s_or_b64 exec, exec, s[6:7]
	v_cmp_ne_u16_sdwa s[0:1], v15, v5 src0_sel:BYTE_1 src1_sel:DWORD
	s_and_saveexec_b64 s[6:7], s[0:1]
	s_cbranch_execz .LBB196_513
; %bb.508:                              ;   in Loop: Header=BB196_319 Depth=1
	v_mov_b32_e32 v19, v6
	v_cmp_ne_u16_sdwa s[0:1], v15, s24 src0_sel:BYTE_1 src1_sel:DWORD
	v_mov_b32_e32 v18, v5
	s_and_saveexec_b64 s[12:13], s[0:1]
	s_cbranch_execz .LBB196_512
; %bb.509:                              ;   in Loop: Header=BB196_319 Depth=1
	v_and_b32_sdwa v20, v15, s25 dst_sel:DWORD dst_unused:UNUSED_PAD src0_sel:BYTE_1 src1_sel:DWORD
	v_mov_b32_e32 v11, v5
	v_mov_b32_e32 v19, v12
	v_cmp_ne_u32_e64 s[0:1], s25, v20
	v_mov_b32_e32 v18, v11
	s_and_saveexec_b64 s[14:15], s[0:1]
	s_cbranch_execz .LBB196_511
; %bb.510:                              ;   in Loop: Header=BB196_319 Depth=1
	v_and_b32_sdwa v18, v15, v62 dst_sel:DWORD dst_unused:UNUSED_PAD src0_sel:BYTE_1 src1_sel:DWORD
	v_lshrrev_b32_e32 v11, 3, v20
	v_cmp_gt_u32_e64 s[0:1], 8, v20
	v_ffbh_u32_e32 v20, v18
	v_min_u32_e32 v21, 32, v20
	v_mov_b32_e32 v19, v5
	v_subrev_u32_e32 v20, 28, v21
	v_lshlrev_b64 v[19:20], v20, v[18:19]
	v_sub_u32_e32 v20, 29, v21
	v_and_b32_e32 v19, 7, v19
	v_cndmask_b32_e64 v11, v11, v20, s[0:1]
	v_cndmask_b32_e64 v18, v18, v19, s[0:1]
	v_lshlrev_b32_e32 v19, 16, v15
	v_lshl_add_u32 v11, v11, 23, v25
	v_and_or_b32 v11, v19, s26, v11
	v_lshlrev_b32_e32 v18, 20, v18
	v_or_b32_e32 v19, v11, v18
	v_mov_b32_e32 v18, v5
.LBB196_511:                            ;   in Loop: Header=BB196_319 Depth=1
	s_or_b64 exec, exec, s[14:15]
.LBB196_512:                            ;   in Loop: Header=BB196_319 Depth=1
	s_or_b64 exec, exec, s[12:13]
.LBB196_513:                            ;   in Loop: Header=BB196_319 Depth=1
	s_or_b64 exec, exec, s[6:7]
	v_lshrrev_b32_e32 v11, 16, v15
	v_mov_b32_e32 v22, 0
	v_mov_b32_e32 v20, 0
	;; [unrolled: 1-line block ×4, first 2 shown]
	v_cmp_ne_u16_sdwa s[0:1], v11, v5 src0_sel:BYTE_0 src1_sel:DWORD
	s_and_saveexec_b64 s[6:7], s[0:1]
	s_cbranch_execz .LBB196_519
; %bb.514:                              ;   in Loop: Header=BB196_319 Depth=1
	v_bfrev_b32_e32 v20, 1
	v_mov_b32_e32 v21, 0
	v_cmp_ne_u16_sdwa s[0:1], v11, s24 src0_sel:BYTE_0 src1_sel:DWORD
	s_and_saveexec_b64 s[12:13], s[0:1]
	s_cbranch_execz .LBB196_518
; %bb.515:                              ;   in Loop: Header=BB196_319 Depth=1
	v_bfe_u32 v46, v15, 16, 7
	v_mov_b32_e32 v20, 0x7f800001
	v_mov_b32_e32 v21, 0
	v_cmp_ne_u32_e64 s[0:1], s25, v46
	s_and_saveexec_b64 s[14:15], s[0:1]
	s_cbranch_execz .LBB196_517
; %bb.516:                              ;   in Loop: Header=BB196_319 Depth=1
	v_and_b32_e32 v47, 7, v11
	v_ffbh_u32_e32 v20, v47
	v_lshrrev_b32_e32 v48, 3, v46
	v_cmp_gt_u32_e64 s[0:1], 8, v46
	v_min_u32_e32 v46, 32, v20
	v_subrev_u32_e32 v20, 28, v46
	v_lshlrev_b64 v[20:21], v20, v[11:12]
	v_sub_u32_e32 v21, 29, v46
	v_and_b32_e32 v20, 7, v20
	v_cndmask_b32_e64 v21, v48, v21, s[0:1]
	v_cndmask_b32_e64 v20, v47, v20, s[0:1]
	v_lshlrev_b32_e32 v20, 20, v20
	v_and_b32_sdwa v11, sext(v11), s26 dst_sel:DWORD dst_unused:UNUSED_PAD src0_sel:BYTE_0 src1_sel:DWORD
	v_lshl_add_u32 v21, v21, 23, v25
	v_or3_b32 v20, v11, v21, v20
	v_mov_b32_e32 v21, v5
.LBB196_517:                            ;   in Loop: Header=BB196_319 Depth=1
	s_or_b64 exec, exec, s[14:15]
.LBB196_518:                            ;   in Loop: Header=BB196_319 Depth=1
	s_or_b64 exec, exec, s[12:13]
.LBB196_519:                            ;   in Loop: Header=BB196_319 Depth=1
	s_or_b64 exec, exec, s[6:7]
	v_cmp_lt_u32_e64 s[0:1], s27, v15
	s_and_saveexec_b64 s[6:7], s[0:1]
	s_cbranch_execz .LBB196_525
; %bb.520:                              ;   in Loop: Header=BB196_319 Depth=1
	v_mov_b32_e32 v23, v6
	v_cmp_ne_u32_sdwa s[0:1], v15, s24 src0_sel:BYTE_3 src1_sel:DWORD
	v_mov_b32_e32 v22, v5
	s_and_saveexec_b64 s[12:13], s[0:1]
	s_cbranch_execz .LBB196_524
; %bb.521:                              ;   in Loop: Header=BB196_319 Depth=1
	v_bfe_u32 v46, v15, 24, 7
	v_mov_b32_e32 v11, v5
	v_mov_b32_e32 v23, v12
	v_cmp_ne_u32_e64 s[0:1], s25, v46
	v_mov_b32_e32 v22, v11
	s_and_saveexec_b64 s[14:15], s[0:1]
	s_cbranch_execz .LBB196_523
; %bb.522:                              ;   in Loop: Header=BB196_319 Depth=1
	v_and_b32_sdwa v22, v15, v62 dst_sel:DWORD dst_unused:UNUSED_PAD src0_sel:BYTE_3 src1_sel:DWORD
	v_lshrrev_b32_e32 v11, 3, v46
	v_cmp_gt_u32_e64 s[0:1], 8, v46
	v_ffbh_u32_e32 v46, v22
	v_min_u32_e32 v48, 32, v46
	v_mov_b32_e32 v23, v5
	v_subrev_u32_e32 v46, 28, v48
	v_lshlrev_b64 v[46:47], v46, v[22:23]
	v_sub_u32_e32 v23, 29, v48
	v_and_b32_e32 v46, 7, v46
	v_cndmask_b32_e64 v11, v11, v23, s[0:1]
	v_mov_b32_e32 v23, 24
	v_cndmask_b32_e64 v22, v22, v46, s[0:1]
	v_lshlrev_b32_sdwa v15, v23, v15 dst_sel:DWORD dst_unused:UNUSED_PAD src0_sel:DWORD src1_sel:BYTE_3
	v_lshl_add_u32 v11, v11, 23, v25
	v_and_or_b32 v11, v15, s26, v11
	v_lshlrev_b32_e32 v15, 20, v22
	v_or_b32_e32 v23, v11, v15
	v_mov_b32_e32 v22, v5
.LBB196_523:                            ;   in Loop: Header=BB196_319 Depth=1
	s_or_b64 exec, exec, s[14:15]
.LBB196_524:                            ;   in Loop: Header=BB196_319 Depth=1
	s_or_b64 exec, exec, s[12:13]
.LBB196_525:                            ;   in Loop: Header=BB196_319 Depth=1
	s_or_b64 exec, exec, s[6:7]
	v_or_b32_e32 v11, v19, v17
	v_or_b32_e32 v15, v18, v16
	v_mul_f32_e32 v46, s18, v11
	v_mul_f32_e32 v52, s17, v15
	v_or_b32_e32 v11, v23, v21
	v_or_b32_e32 v15, v22, v20
	v_mul_f32_e32 v51, s17, v15
	v_mul_f32_e32 v47, s18, v11
	s_and_saveexec_b64 s[6:7], vcc
	s_cbranch_execz .LBB196_527
; %bb.526:                              ;   in Loop: Header=BB196_319 Depth=1
	v_add_u32_e32 v0, -3, v39
	v_cmp_gt_i32_e64 s[0:1], s30, v0
	v_add_u32_e32 v0, -2, v39
	v_cndmask_b32_e64 v52, 0, v52, s[0:1]
	v_cmp_gt_i32_e64 s[0:1], s30, v0
	v_add_u32_e32 v0, -1, v39
	v_cndmask_b32_e64 v46, 0, v46, s[0:1]
	v_cmp_gt_i32_e64 s[0:1], s30, v0
	v_cndmask_b32_e64 v51, 0, v51, s[0:1]
	v_cmp_gt_i32_e64 s[0:1], s30, v39
	v_cndmask_b32_e64 v47, 0, v47, s[0:1]
.LBB196_527:                            ;   in Loop: Header=BB196_319 Depth=1
	s_or_b64 exec, exec, s[6:7]
	global_load_dword v15, v[13:14], off offset:2048
	v_mov_b32_e32 v18, 0
	v_mov_b32_e32 v16, 0
	;; [unrolled: 1-line block ×4, first 2 shown]
	s_waitcnt vmcnt(0)
	v_cmp_ne_u16_sdwa s[0:1], v15, v5 src0_sel:BYTE_0 src1_sel:DWORD
	s_and_saveexec_b64 s[6:7], s[0:1]
	s_cbranch_execz .LBB196_533
; %bb.528:                              ;   in Loop: Header=BB196_319 Depth=1
	v_bfrev_b32_e32 v16, 1
	v_mov_b32_e32 v17, 0
	v_cmp_ne_u16_sdwa s[0:1], v15, s24 src0_sel:BYTE_0 src1_sel:DWORD
	s_and_saveexec_b64 s[12:13], s[0:1]
	s_cbranch_execz .LBB196_532
; %bb.529:                              ;   in Loop: Header=BB196_319 Depth=1
	v_and_b32_e32 v11, 0x7f, v15
	v_mov_b32_e32 v16, 0x7f800001
	v_mov_b32_e32 v17, 0
	v_cmp_ne_u32_e64 s[0:1], s25, v11
	s_and_saveexec_b64 s[14:15], s[0:1]
	s_cbranch_execz .LBB196_531
; %bb.530:                              ;   in Loop: Header=BB196_319 Depth=1
	v_and_b32_e32 v20, 7, v15
	v_lshrrev_b32_e32 v21, 3, v11
	v_cmp_gt_u32_e64 s[0:1], 8, v11
	v_ffbh_u32_e32 v11, v20
	v_min_u32_e32 v11, 32, v11
	v_subrev_u32_e32 v16, 28, v11
	v_lshlrev_b64 v[16:17], v16, v[15:16]
	v_sub_u32_e32 v11, 29, v11
	v_and_b32_e32 v16, 7, v16
	v_cndmask_b32_e64 v11, v21, v11, s[0:1]
	v_cndmask_b32_e64 v16, v20, v16, s[0:1]
	v_lshlrev_b32_e32 v16, 20, v16
	v_and_b32_sdwa v17, sext(v15), s26 dst_sel:DWORD dst_unused:UNUSED_PAD src0_sel:BYTE_0 src1_sel:DWORD
	v_lshl_add_u32 v11, v11, 23, v25
	v_or3_b32 v16, v17, v11, v16
	v_mov_b32_e32 v17, v5
.LBB196_531:                            ;   in Loop: Header=BB196_319 Depth=1
	s_or_b64 exec, exec, s[14:15]
.LBB196_532:                            ;   in Loop: Header=BB196_319 Depth=1
	s_or_b64 exec, exec, s[12:13]
.LBB196_533:                            ;   in Loop: Header=BB196_319 Depth=1
	s_or_b64 exec, exec, s[6:7]
	v_cmp_ne_u16_sdwa s[0:1], v15, v5 src0_sel:BYTE_1 src1_sel:DWORD
	s_and_saveexec_b64 s[6:7], s[0:1]
	s_cbranch_execz .LBB196_539
; %bb.534:                              ;   in Loop: Header=BB196_319 Depth=1
	v_mov_b32_e32 v19, v6
	v_cmp_ne_u16_sdwa s[0:1], v15, s24 src0_sel:BYTE_1 src1_sel:DWORD
	v_mov_b32_e32 v18, v5
	s_and_saveexec_b64 s[12:13], s[0:1]
	s_cbranch_execz .LBB196_538
; %bb.535:                              ;   in Loop: Header=BB196_319 Depth=1
	v_and_b32_sdwa v20, v15, s25 dst_sel:DWORD dst_unused:UNUSED_PAD src0_sel:BYTE_1 src1_sel:DWORD
	v_mov_b32_e32 v11, v5
	v_mov_b32_e32 v19, v12
	v_cmp_ne_u32_e64 s[0:1], s25, v20
	v_mov_b32_e32 v18, v11
	s_and_saveexec_b64 s[14:15], s[0:1]
	s_cbranch_execz .LBB196_537
; %bb.536:                              ;   in Loop: Header=BB196_319 Depth=1
	v_and_b32_sdwa v18, v15, v62 dst_sel:DWORD dst_unused:UNUSED_PAD src0_sel:BYTE_1 src1_sel:DWORD
	v_lshrrev_b32_e32 v11, 3, v20
	v_cmp_gt_u32_e64 s[0:1], 8, v20
	v_ffbh_u32_e32 v20, v18
	v_min_u32_e32 v21, 32, v20
	v_mov_b32_e32 v19, v5
	v_subrev_u32_e32 v20, 28, v21
	v_lshlrev_b64 v[19:20], v20, v[18:19]
	v_sub_u32_e32 v20, 29, v21
	v_and_b32_e32 v19, 7, v19
	v_cndmask_b32_e64 v11, v11, v20, s[0:1]
	v_cndmask_b32_e64 v18, v18, v19, s[0:1]
	v_lshlrev_b32_e32 v19, 16, v15
	v_lshl_add_u32 v11, v11, 23, v25
	v_and_or_b32 v11, v19, s26, v11
	v_lshlrev_b32_e32 v18, 20, v18
	v_or_b32_e32 v19, v11, v18
	v_mov_b32_e32 v18, v5
.LBB196_537:                            ;   in Loop: Header=BB196_319 Depth=1
	s_or_b64 exec, exec, s[14:15]
.LBB196_538:                            ;   in Loop: Header=BB196_319 Depth=1
	s_or_b64 exec, exec, s[12:13]
.LBB196_539:                            ;   in Loop: Header=BB196_319 Depth=1
	s_or_b64 exec, exec, s[6:7]
	v_lshrrev_b32_e32 v11, 16, v15
	v_mov_b32_e32 v22, 0
	v_mov_b32_e32 v20, 0
	;; [unrolled: 1-line block ×4, first 2 shown]
	v_cmp_ne_u16_sdwa s[0:1], v11, v5 src0_sel:BYTE_0 src1_sel:DWORD
	s_and_saveexec_b64 s[6:7], s[0:1]
	s_cbranch_execz .LBB196_545
; %bb.540:                              ;   in Loop: Header=BB196_319 Depth=1
	v_bfrev_b32_e32 v20, 1
	v_mov_b32_e32 v21, 0
	v_cmp_ne_u16_sdwa s[0:1], v11, s24 src0_sel:BYTE_0 src1_sel:DWORD
	s_and_saveexec_b64 s[12:13], s[0:1]
	s_cbranch_execz .LBB196_544
; %bb.541:                              ;   in Loop: Header=BB196_319 Depth=1
	v_bfe_u32 v48, v15, 16, 7
	v_mov_b32_e32 v20, 0x7f800001
	v_mov_b32_e32 v21, 0
	v_cmp_ne_u32_e64 s[0:1], s25, v48
	s_and_saveexec_b64 s[14:15], s[0:1]
	s_cbranch_execz .LBB196_543
; %bb.542:                              ;   in Loop: Header=BB196_319 Depth=1
	v_and_b32_e32 v49, 7, v11
	v_ffbh_u32_e32 v20, v49
	v_lshrrev_b32_e32 v50, 3, v48
	v_cmp_gt_u32_e64 s[0:1], 8, v48
	v_min_u32_e32 v48, 32, v20
	v_subrev_u32_e32 v20, 28, v48
	v_lshlrev_b64 v[20:21], v20, v[11:12]
	v_sub_u32_e32 v21, 29, v48
	v_and_b32_e32 v20, 7, v20
	v_cndmask_b32_e64 v21, v50, v21, s[0:1]
	v_cndmask_b32_e64 v20, v49, v20, s[0:1]
	v_lshlrev_b32_e32 v20, 20, v20
	v_and_b32_sdwa v11, sext(v11), s26 dst_sel:DWORD dst_unused:UNUSED_PAD src0_sel:BYTE_0 src1_sel:DWORD
	v_lshl_add_u32 v21, v21, 23, v25
	v_or3_b32 v20, v11, v21, v20
	v_mov_b32_e32 v21, v5
.LBB196_543:                            ;   in Loop: Header=BB196_319 Depth=1
	s_or_b64 exec, exec, s[14:15]
.LBB196_544:                            ;   in Loop: Header=BB196_319 Depth=1
	s_or_b64 exec, exec, s[12:13]
.LBB196_545:                            ;   in Loop: Header=BB196_319 Depth=1
	s_or_b64 exec, exec, s[6:7]
	v_cmp_lt_u32_e64 s[0:1], s27, v15
	s_and_saveexec_b64 s[6:7], s[0:1]
	s_cbranch_execz .LBB196_551
; %bb.546:                              ;   in Loop: Header=BB196_319 Depth=1
	v_mov_b32_e32 v23, v6
	v_cmp_ne_u32_sdwa s[0:1], v15, s24 src0_sel:BYTE_3 src1_sel:DWORD
	v_mov_b32_e32 v22, v5
	s_and_saveexec_b64 s[12:13], s[0:1]
	s_cbranch_execz .LBB196_550
; %bb.547:                              ;   in Loop: Header=BB196_319 Depth=1
	v_bfe_u32 v48, v15, 24, 7
	v_mov_b32_e32 v11, v5
	v_mov_b32_e32 v23, v12
	v_cmp_ne_u32_e64 s[0:1], s25, v48
	v_mov_b32_e32 v22, v11
	s_and_saveexec_b64 s[14:15], s[0:1]
	s_cbranch_execz .LBB196_549
; %bb.548:                              ;   in Loop: Header=BB196_319 Depth=1
	v_and_b32_sdwa v22, v15, v62 dst_sel:DWORD dst_unused:UNUSED_PAD src0_sel:BYTE_3 src1_sel:DWORD
	v_lshrrev_b32_e32 v11, 3, v48
	v_cmp_gt_u32_e64 s[0:1], 8, v48
	v_ffbh_u32_e32 v48, v22
	v_min_u32_e32 v50, 32, v48
	v_mov_b32_e32 v23, v5
	v_subrev_u32_e32 v48, 28, v50
	v_lshlrev_b64 v[48:49], v48, v[22:23]
	v_sub_u32_e32 v23, 29, v50
	v_and_b32_e32 v48, 7, v48
	v_cndmask_b32_e64 v11, v11, v23, s[0:1]
	v_mov_b32_e32 v23, 24
	v_cndmask_b32_e64 v22, v22, v48, s[0:1]
	v_lshlrev_b32_sdwa v15, v23, v15 dst_sel:DWORD dst_unused:UNUSED_PAD src0_sel:DWORD src1_sel:BYTE_3
	v_lshl_add_u32 v11, v11, 23, v25
	v_and_or_b32 v11, v15, s26, v11
	v_lshlrev_b32_e32 v15, 20, v22
	v_or_b32_e32 v23, v11, v15
	v_mov_b32_e32 v22, v5
.LBB196_549:                            ;   in Loop: Header=BB196_319 Depth=1
	s_or_b64 exec, exec, s[14:15]
.LBB196_550:                            ;   in Loop: Header=BB196_319 Depth=1
	s_or_b64 exec, exec, s[12:13]
.LBB196_551:                            ;   in Loop: Header=BB196_319 Depth=1
	s_or_b64 exec, exec, s[6:7]
	v_or_b32_e32 v11, v19, v17
	v_or_b32_e32 v15, v18, v16
	v_mul_f32_e32 v53, s18, v11
	v_mul_f32_e32 v49, s17, v15
	v_or_b32_e32 v11, v23, v21
	v_or_b32_e32 v15, v22, v20
	v_mul_f32_e32 v48, s17, v15
	v_mul_f32_e32 v54, s18, v11
	s_and_saveexec_b64 s[6:7], vcc
	s_cbranch_execz .LBB196_553
; %bb.552:                              ;   in Loop: Header=BB196_319 Depth=1
	v_add_u32_e32 v0, -3, v39
	v_cmp_gt_i32_e64 s[0:1], s30, v0
	v_add_u32_e32 v0, -2, v39
	v_cndmask_b32_e64 v49, 0, v49, s[0:1]
	v_cmp_gt_i32_e64 s[0:1], s30, v0
	v_add_u32_e32 v0, -1, v39
	v_cndmask_b32_e64 v53, 0, v53, s[0:1]
	v_cmp_gt_i32_e64 s[0:1], s30, v0
	v_cndmask_b32_e64 v48, 0, v48, s[0:1]
	v_cmp_gt_i32_e64 s[0:1], s30, v39
	v_cndmask_b32_e64 v54, 0, v54, s[0:1]
.LBB196_553:                            ;   in Loop: Header=BB196_319 Depth=1
	s_or_b64 exec, exec, s[6:7]
	global_load_dword v15, v[13:14], off offset:2304
	v_mov_b32_e32 v18, 0
	v_mov_b32_e32 v16, 0
	;; [unrolled: 1-line block ×4, first 2 shown]
	s_waitcnt vmcnt(0)
	v_cmp_ne_u16_sdwa s[0:1], v15, v5 src0_sel:BYTE_0 src1_sel:DWORD
	s_and_saveexec_b64 s[6:7], s[0:1]
	s_cbranch_execz .LBB196_559
; %bb.554:                              ;   in Loop: Header=BB196_319 Depth=1
	v_bfrev_b32_e32 v16, 1
	v_mov_b32_e32 v17, 0
	v_cmp_ne_u16_sdwa s[0:1], v15, s24 src0_sel:BYTE_0 src1_sel:DWORD
	s_and_saveexec_b64 s[12:13], s[0:1]
	s_cbranch_execz .LBB196_558
; %bb.555:                              ;   in Loop: Header=BB196_319 Depth=1
	v_and_b32_e32 v11, 0x7f, v15
	v_mov_b32_e32 v16, 0x7f800001
	v_mov_b32_e32 v17, 0
	v_cmp_ne_u32_e64 s[0:1], s25, v11
	s_and_saveexec_b64 s[14:15], s[0:1]
	s_cbranch_execz .LBB196_557
; %bb.556:                              ;   in Loop: Header=BB196_319 Depth=1
	v_and_b32_e32 v20, 7, v15
	v_lshrrev_b32_e32 v21, 3, v11
	v_cmp_gt_u32_e64 s[0:1], 8, v11
	v_ffbh_u32_e32 v11, v20
	v_min_u32_e32 v11, 32, v11
	v_subrev_u32_e32 v16, 28, v11
	v_lshlrev_b64 v[16:17], v16, v[15:16]
	v_sub_u32_e32 v11, 29, v11
	v_and_b32_e32 v16, 7, v16
	v_cndmask_b32_e64 v11, v21, v11, s[0:1]
	v_cndmask_b32_e64 v16, v20, v16, s[0:1]
	v_lshlrev_b32_e32 v16, 20, v16
	v_and_b32_sdwa v17, sext(v15), s26 dst_sel:DWORD dst_unused:UNUSED_PAD src0_sel:BYTE_0 src1_sel:DWORD
	v_lshl_add_u32 v11, v11, 23, v25
	v_or3_b32 v16, v17, v11, v16
	v_mov_b32_e32 v17, v5
.LBB196_557:                            ;   in Loop: Header=BB196_319 Depth=1
	s_or_b64 exec, exec, s[14:15]
.LBB196_558:                            ;   in Loop: Header=BB196_319 Depth=1
	s_or_b64 exec, exec, s[12:13]
.LBB196_559:                            ;   in Loop: Header=BB196_319 Depth=1
	s_or_b64 exec, exec, s[6:7]
	v_cmp_ne_u16_sdwa s[0:1], v15, v5 src0_sel:BYTE_1 src1_sel:DWORD
	s_and_saveexec_b64 s[6:7], s[0:1]
	s_cbranch_execz .LBB196_565
; %bb.560:                              ;   in Loop: Header=BB196_319 Depth=1
	v_mov_b32_e32 v19, v6
	v_cmp_ne_u16_sdwa s[0:1], v15, s24 src0_sel:BYTE_1 src1_sel:DWORD
	v_mov_b32_e32 v18, v5
	s_and_saveexec_b64 s[12:13], s[0:1]
	s_cbranch_execz .LBB196_564
; %bb.561:                              ;   in Loop: Header=BB196_319 Depth=1
	v_and_b32_sdwa v20, v15, s25 dst_sel:DWORD dst_unused:UNUSED_PAD src0_sel:BYTE_1 src1_sel:DWORD
	v_mov_b32_e32 v11, v5
	v_mov_b32_e32 v19, v12
	v_cmp_ne_u32_e64 s[0:1], s25, v20
	v_mov_b32_e32 v18, v11
	s_and_saveexec_b64 s[14:15], s[0:1]
	s_cbranch_execz .LBB196_563
; %bb.562:                              ;   in Loop: Header=BB196_319 Depth=1
	v_and_b32_sdwa v18, v15, v62 dst_sel:DWORD dst_unused:UNUSED_PAD src0_sel:BYTE_1 src1_sel:DWORD
	v_lshrrev_b32_e32 v11, 3, v20
	v_cmp_gt_u32_e64 s[0:1], 8, v20
	v_ffbh_u32_e32 v20, v18
	v_min_u32_e32 v21, 32, v20
	v_mov_b32_e32 v19, v5
	v_subrev_u32_e32 v20, 28, v21
	v_lshlrev_b64 v[19:20], v20, v[18:19]
	v_sub_u32_e32 v20, 29, v21
	v_and_b32_e32 v19, 7, v19
	v_cndmask_b32_e64 v11, v11, v20, s[0:1]
	v_cndmask_b32_e64 v18, v18, v19, s[0:1]
	v_lshlrev_b32_e32 v19, 16, v15
	v_lshl_add_u32 v11, v11, 23, v25
	v_and_or_b32 v11, v19, s26, v11
	v_lshlrev_b32_e32 v18, 20, v18
	v_or_b32_e32 v19, v11, v18
	v_mov_b32_e32 v18, v5
.LBB196_563:                            ;   in Loop: Header=BB196_319 Depth=1
	s_or_b64 exec, exec, s[14:15]
.LBB196_564:                            ;   in Loop: Header=BB196_319 Depth=1
	s_or_b64 exec, exec, s[12:13]
.LBB196_565:                            ;   in Loop: Header=BB196_319 Depth=1
	s_or_b64 exec, exec, s[6:7]
	v_lshrrev_b32_e32 v11, 16, v15
	v_mov_b32_e32 v22, 0
	v_mov_b32_e32 v20, 0
	;; [unrolled: 1-line block ×4, first 2 shown]
	v_cmp_ne_u16_sdwa s[0:1], v11, v5 src0_sel:BYTE_0 src1_sel:DWORD
	s_and_saveexec_b64 s[6:7], s[0:1]
	s_cbranch_execz .LBB196_571
; %bb.566:                              ;   in Loop: Header=BB196_319 Depth=1
	v_bfrev_b32_e32 v20, 1
	v_mov_b32_e32 v21, 0
	v_cmp_ne_u16_sdwa s[0:1], v11, s24 src0_sel:BYTE_0 src1_sel:DWORD
	s_and_saveexec_b64 s[12:13], s[0:1]
	s_cbranch_execz .LBB196_570
; %bb.567:                              ;   in Loop: Header=BB196_319 Depth=1
	v_bfe_u32 v50, v15, 16, 7
	v_mov_b32_e32 v20, 0x7f800001
	v_mov_b32_e32 v21, 0
	v_cmp_ne_u32_e64 s[0:1], s25, v50
	s_and_saveexec_b64 s[14:15], s[0:1]
	s_cbranch_execz .LBB196_569
; %bb.568:                              ;   in Loop: Header=BB196_319 Depth=1
	v_and_b32_e32 v55, 7, v11
	v_ffbh_u32_e32 v20, v55
	v_lshrrev_b32_e32 v56, 3, v50
	v_cmp_gt_u32_e64 s[0:1], 8, v50
	v_min_u32_e32 v50, 32, v20
	v_subrev_u32_e32 v20, 28, v50
	v_lshlrev_b64 v[20:21], v20, v[11:12]
	v_sub_u32_e32 v21, 29, v50
	v_and_b32_e32 v20, 7, v20
	v_cndmask_b32_e64 v21, v56, v21, s[0:1]
	v_cndmask_b32_e64 v20, v55, v20, s[0:1]
	v_lshlrev_b32_e32 v20, 20, v20
	v_and_b32_sdwa v11, sext(v11), s26 dst_sel:DWORD dst_unused:UNUSED_PAD src0_sel:BYTE_0 src1_sel:DWORD
	v_lshl_add_u32 v21, v21, 23, v25
	v_or3_b32 v20, v11, v21, v20
	v_mov_b32_e32 v21, v5
.LBB196_569:                            ;   in Loop: Header=BB196_319 Depth=1
	s_or_b64 exec, exec, s[14:15]
.LBB196_570:                            ;   in Loop: Header=BB196_319 Depth=1
	s_or_b64 exec, exec, s[12:13]
.LBB196_571:                            ;   in Loop: Header=BB196_319 Depth=1
	s_or_b64 exec, exec, s[6:7]
	v_cmp_lt_u32_e64 s[0:1], s27, v15
	s_and_saveexec_b64 s[6:7], s[0:1]
	s_cbranch_execz .LBB196_577
; %bb.572:                              ;   in Loop: Header=BB196_319 Depth=1
	v_mov_b32_e32 v23, v6
	v_cmp_ne_u32_sdwa s[0:1], v15, s24 src0_sel:BYTE_3 src1_sel:DWORD
	v_mov_b32_e32 v22, v5
	s_and_saveexec_b64 s[12:13], s[0:1]
	s_cbranch_execz .LBB196_576
; %bb.573:                              ;   in Loop: Header=BB196_319 Depth=1
	v_bfe_u32 v50, v15, 24, 7
	v_mov_b32_e32 v11, v5
	v_mov_b32_e32 v23, v12
	v_cmp_ne_u32_e64 s[0:1], s25, v50
	v_mov_b32_e32 v22, v11
	s_and_saveexec_b64 s[14:15], s[0:1]
	s_cbranch_execz .LBB196_575
; %bb.574:                              ;   in Loop: Header=BB196_319 Depth=1
	v_and_b32_sdwa v22, v15, v62 dst_sel:DWORD dst_unused:UNUSED_PAD src0_sel:BYTE_3 src1_sel:DWORD
	v_lshrrev_b32_e32 v11, 3, v50
	v_cmp_gt_u32_e64 s[0:1], 8, v50
	v_ffbh_u32_e32 v50, v22
	v_min_u32_e32 v50, 32, v50
	v_mov_b32_e32 v23, v5
	v_subrev_u32_e32 v55, 28, v50
	v_lshlrev_b64 v[55:56], v55, v[22:23]
	v_sub_u32_e32 v23, 29, v50
	v_and_b32_e32 v50, 7, v55
	v_cndmask_b32_e64 v11, v11, v23, s[0:1]
	v_mov_b32_e32 v23, 24
	v_cndmask_b32_e64 v22, v22, v50, s[0:1]
	v_lshlrev_b32_sdwa v15, v23, v15 dst_sel:DWORD dst_unused:UNUSED_PAD src0_sel:DWORD src1_sel:BYTE_3
	v_lshl_add_u32 v11, v11, 23, v25
	v_and_or_b32 v11, v15, s26, v11
	v_lshlrev_b32_e32 v15, 20, v22
	v_or_b32_e32 v23, v11, v15
	v_mov_b32_e32 v22, v5
.LBB196_575:                            ;   in Loop: Header=BB196_319 Depth=1
	s_or_b64 exec, exec, s[14:15]
.LBB196_576:                            ;   in Loop: Header=BB196_319 Depth=1
	s_or_b64 exec, exec, s[12:13]
.LBB196_577:                            ;   in Loop: Header=BB196_319 Depth=1
	s_or_b64 exec, exec, s[6:7]
	v_or_b32_e32 v11, v19, v17
	v_or_b32_e32 v15, v18, v16
	v_mul_f32_e32 v50, s18, v11
	v_mul_f32_e32 v57, s17, v15
	v_or_b32_e32 v11, v23, v21
	v_or_b32_e32 v15, v22, v20
	v_mul_f32_e32 v56, s17, v15
	v_mul_f32_e32 v55, s18, v11
	s_and_saveexec_b64 s[6:7], vcc
	s_cbranch_execz .LBB196_579
; %bb.578:                              ;   in Loop: Header=BB196_319 Depth=1
	v_add_u32_e32 v0, -3, v39
	v_cmp_gt_i32_e64 s[0:1], s30, v0
	v_add_u32_e32 v0, -2, v39
	v_cndmask_b32_e64 v57, 0, v57, s[0:1]
	v_cmp_gt_i32_e64 s[0:1], s30, v0
	v_add_u32_e32 v0, -1, v39
	v_cndmask_b32_e64 v50, 0, v50, s[0:1]
	v_cmp_gt_i32_e64 s[0:1], s30, v0
	v_cndmask_b32_e64 v56, 0, v56, s[0:1]
	v_cmp_gt_i32_e64 s[0:1], s30, v39
	v_cndmask_b32_e64 v55, 0, v55, s[0:1]
.LBB196_579:                            ;   in Loop: Header=BB196_319 Depth=1
	s_or_b64 exec, exec, s[6:7]
	global_load_dword v15, v[13:14], off offset:2560
	v_mov_b32_e32 v18, 0
	v_mov_b32_e32 v16, 0
	;; [unrolled: 1-line block ×4, first 2 shown]
	s_waitcnt vmcnt(0)
	v_cmp_ne_u16_sdwa s[0:1], v15, v5 src0_sel:BYTE_0 src1_sel:DWORD
	s_and_saveexec_b64 s[6:7], s[0:1]
	s_cbranch_execz .LBB196_585
; %bb.580:                              ;   in Loop: Header=BB196_319 Depth=1
	v_bfrev_b32_e32 v16, 1
	v_mov_b32_e32 v17, 0
	v_cmp_ne_u16_sdwa s[0:1], v15, s24 src0_sel:BYTE_0 src1_sel:DWORD
	s_and_saveexec_b64 s[12:13], s[0:1]
	s_cbranch_execz .LBB196_584
; %bb.581:                              ;   in Loop: Header=BB196_319 Depth=1
	v_and_b32_e32 v11, 0x7f, v15
	v_mov_b32_e32 v16, 0x7f800001
	v_mov_b32_e32 v17, 0
	v_cmp_ne_u32_e64 s[0:1], s25, v11
	s_and_saveexec_b64 s[14:15], s[0:1]
	s_cbranch_execz .LBB196_583
; %bb.582:                              ;   in Loop: Header=BB196_319 Depth=1
	v_and_b32_e32 v20, 7, v15
	v_lshrrev_b32_e32 v21, 3, v11
	v_cmp_gt_u32_e64 s[0:1], 8, v11
	v_ffbh_u32_e32 v11, v20
	v_min_u32_e32 v11, 32, v11
	v_subrev_u32_e32 v16, 28, v11
	v_lshlrev_b64 v[16:17], v16, v[15:16]
	v_sub_u32_e32 v11, 29, v11
	v_and_b32_e32 v16, 7, v16
	v_cndmask_b32_e64 v11, v21, v11, s[0:1]
	v_cndmask_b32_e64 v16, v20, v16, s[0:1]
	v_lshlrev_b32_e32 v16, 20, v16
	v_and_b32_sdwa v17, sext(v15), s26 dst_sel:DWORD dst_unused:UNUSED_PAD src0_sel:BYTE_0 src1_sel:DWORD
	v_lshl_add_u32 v11, v11, 23, v25
	v_or3_b32 v16, v17, v11, v16
	v_mov_b32_e32 v17, v5
.LBB196_583:                            ;   in Loop: Header=BB196_319 Depth=1
	s_or_b64 exec, exec, s[14:15]
.LBB196_584:                            ;   in Loop: Header=BB196_319 Depth=1
	s_or_b64 exec, exec, s[12:13]
.LBB196_585:                            ;   in Loop: Header=BB196_319 Depth=1
	s_or_b64 exec, exec, s[6:7]
	v_cmp_ne_u16_sdwa s[0:1], v15, v5 src0_sel:BYTE_1 src1_sel:DWORD
	s_and_saveexec_b64 s[6:7], s[0:1]
	s_cbranch_execz .LBB196_591
; %bb.586:                              ;   in Loop: Header=BB196_319 Depth=1
	v_mov_b32_e32 v19, v6
	v_cmp_ne_u16_sdwa s[0:1], v15, s24 src0_sel:BYTE_1 src1_sel:DWORD
	v_mov_b32_e32 v18, v5
	s_and_saveexec_b64 s[12:13], s[0:1]
	s_cbranch_execz .LBB196_590
; %bb.587:                              ;   in Loop: Header=BB196_319 Depth=1
	v_and_b32_sdwa v20, v15, s25 dst_sel:DWORD dst_unused:UNUSED_PAD src0_sel:BYTE_1 src1_sel:DWORD
	v_mov_b32_e32 v11, v5
	v_mov_b32_e32 v19, v12
	v_cmp_ne_u32_e64 s[0:1], s25, v20
	v_mov_b32_e32 v18, v11
	s_and_saveexec_b64 s[14:15], s[0:1]
	s_cbranch_execz .LBB196_589
; %bb.588:                              ;   in Loop: Header=BB196_319 Depth=1
	v_and_b32_sdwa v18, v15, v62 dst_sel:DWORD dst_unused:UNUSED_PAD src0_sel:BYTE_1 src1_sel:DWORD
	v_lshrrev_b32_e32 v11, 3, v20
	v_cmp_gt_u32_e64 s[0:1], 8, v20
	v_ffbh_u32_e32 v20, v18
	v_min_u32_e32 v21, 32, v20
	v_mov_b32_e32 v19, v5
	v_subrev_u32_e32 v20, 28, v21
	v_lshlrev_b64 v[19:20], v20, v[18:19]
	v_sub_u32_e32 v20, 29, v21
	v_and_b32_e32 v19, 7, v19
	v_cndmask_b32_e64 v11, v11, v20, s[0:1]
	v_cndmask_b32_e64 v18, v18, v19, s[0:1]
	v_lshlrev_b32_e32 v19, 16, v15
	v_lshl_add_u32 v11, v11, 23, v25
	v_and_or_b32 v11, v19, s26, v11
	v_lshlrev_b32_e32 v18, 20, v18
	v_or_b32_e32 v19, v11, v18
	v_mov_b32_e32 v18, v5
.LBB196_589:                            ;   in Loop: Header=BB196_319 Depth=1
	s_or_b64 exec, exec, s[14:15]
.LBB196_590:                            ;   in Loop: Header=BB196_319 Depth=1
	s_or_b64 exec, exec, s[12:13]
.LBB196_591:                            ;   in Loop: Header=BB196_319 Depth=1
	s_or_b64 exec, exec, s[6:7]
	v_lshrrev_b32_e32 v11, 16, v15
	v_mov_b32_e32 v22, 0
	v_mov_b32_e32 v20, 0
	;; [unrolled: 1-line block ×4, first 2 shown]
	v_cmp_ne_u16_sdwa s[0:1], v11, v5 src0_sel:BYTE_0 src1_sel:DWORD
	s_and_saveexec_b64 s[6:7], s[0:1]
	s_cbranch_execz .LBB196_597
; %bb.592:                              ;   in Loop: Header=BB196_319 Depth=1
	v_bfrev_b32_e32 v20, 1
	v_mov_b32_e32 v21, 0
	v_cmp_ne_u16_sdwa s[0:1], v11, s24 src0_sel:BYTE_0 src1_sel:DWORD
	s_and_saveexec_b64 s[12:13], s[0:1]
	s_cbranch_execz .LBB196_596
; %bb.593:                              ;   in Loop: Header=BB196_319 Depth=1
	v_bfe_u32 v58, v15, 16, 7
	v_mov_b32_e32 v20, 0x7f800001
	v_mov_b32_e32 v21, 0
	v_cmp_ne_u32_e64 s[0:1], s25, v58
	s_and_saveexec_b64 s[14:15], s[0:1]
	s_cbranch_execz .LBB196_595
; %bb.594:                              ;   in Loop: Header=BB196_319 Depth=1
	v_and_b32_e32 v59, 7, v11
	v_ffbh_u32_e32 v20, v59
	v_lshrrev_b32_e32 v60, 3, v58
	v_cmp_gt_u32_e64 s[0:1], 8, v58
	v_min_u32_e32 v58, 32, v20
	v_subrev_u32_e32 v20, 28, v58
	v_lshlrev_b64 v[20:21], v20, v[11:12]
	v_sub_u32_e32 v21, 29, v58
	v_and_b32_e32 v20, 7, v20
	v_cndmask_b32_e64 v21, v60, v21, s[0:1]
	v_cndmask_b32_e64 v20, v59, v20, s[0:1]
	v_lshlrev_b32_e32 v20, 20, v20
	v_and_b32_sdwa v11, sext(v11), s26 dst_sel:DWORD dst_unused:UNUSED_PAD src0_sel:BYTE_0 src1_sel:DWORD
	v_lshl_add_u32 v21, v21, 23, v25
	v_or3_b32 v20, v11, v21, v20
	v_mov_b32_e32 v21, v5
.LBB196_595:                            ;   in Loop: Header=BB196_319 Depth=1
	s_or_b64 exec, exec, s[14:15]
.LBB196_596:                            ;   in Loop: Header=BB196_319 Depth=1
	s_or_b64 exec, exec, s[12:13]
.LBB196_597:                            ;   in Loop: Header=BB196_319 Depth=1
	s_or_b64 exec, exec, s[6:7]
	v_cmp_lt_u32_e64 s[0:1], s27, v15
	s_and_saveexec_b64 s[6:7], s[0:1]
	s_cbranch_execz .LBB196_603
; %bb.598:                              ;   in Loop: Header=BB196_319 Depth=1
	v_mov_b32_e32 v23, v6
	v_cmp_ne_u32_sdwa s[0:1], v15, s24 src0_sel:BYTE_3 src1_sel:DWORD
	v_mov_b32_e32 v22, v5
	s_and_saveexec_b64 s[12:13], s[0:1]
	s_cbranch_execz .LBB196_602
; %bb.599:                              ;   in Loop: Header=BB196_319 Depth=1
	v_bfe_u32 v58, v15, 24, 7
	v_mov_b32_e32 v11, v5
	v_mov_b32_e32 v23, v12
	v_cmp_ne_u32_e64 s[0:1], s25, v58
	v_mov_b32_e32 v22, v11
	s_and_saveexec_b64 s[14:15], s[0:1]
	s_cbranch_execz .LBB196_601
; %bb.600:                              ;   in Loop: Header=BB196_319 Depth=1
	v_and_b32_sdwa v22, v15, v62 dst_sel:DWORD dst_unused:UNUSED_PAD src0_sel:BYTE_3 src1_sel:DWORD
	v_lshrrev_b32_e32 v11, 3, v58
	v_cmp_gt_u32_e64 s[0:1], 8, v58
	v_ffbh_u32_e32 v58, v22
	v_min_u32_e32 v60, 32, v58
	v_mov_b32_e32 v23, v5
	v_subrev_u32_e32 v58, 28, v60
	v_lshlrev_b64 v[58:59], v58, v[22:23]
	v_sub_u32_e32 v23, 29, v60
	v_and_b32_e32 v58, 7, v58
	v_cndmask_b32_e64 v11, v11, v23, s[0:1]
	v_mov_b32_e32 v23, 24
	v_cndmask_b32_e64 v22, v22, v58, s[0:1]
	v_lshlrev_b32_sdwa v15, v23, v15 dst_sel:DWORD dst_unused:UNUSED_PAD src0_sel:DWORD src1_sel:BYTE_3
	v_lshl_add_u32 v11, v11, 23, v25
	v_and_or_b32 v11, v15, s26, v11
	v_lshlrev_b32_e32 v15, 20, v22
	v_or_b32_e32 v23, v11, v15
	v_mov_b32_e32 v22, v5
.LBB196_601:                            ;   in Loop: Header=BB196_319 Depth=1
	s_or_b64 exec, exec, s[14:15]
.LBB196_602:                            ;   in Loop: Header=BB196_319 Depth=1
	s_or_b64 exec, exec, s[12:13]
.LBB196_603:                            ;   in Loop: Header=BB196_319 Depth=1
	s_or_b64 exec, exec, s[6:7]
	v_or_b32_e32 v11, v19, v17
	v_or_b32_e32 v15, v18, v16
	v_mul_f32_e32 v58, s18, v11
	v_mul_f32_e32 v59, s17, v15
	v_or_b32_e32 v11, v23, v21
	v_or_b32_e32 v15, v22, v20
	v_mul_f32_e32 v23, s17, v15
	v_mul_f32_e32 v22, s18, v11
	s_and_saveexec_b64 s[6:7], vcc
	s_cbranch_execz .LBB196_605
; %bb.604:                              ;   in Loop: Header=BB196_319 Depth=1
	v_add_u32_e32 v0, -3, v39
	v_cmp_gt_i32_e64 s[0:1], s30, v0
	v_add_u32_e32 v0, -2, v39
	v_cndmask_b32_e64 v59, 0, v59, s[0:1]
	v_cmp_gt_i32_e64 s[0:1], s30, v0
	v_add_u32_e32 v0, -1, v39
	v_cndmask_b32_e64 v58, 0, v58, s[0:1]
	v_cmp_gt_i32_e64 s[0:1], s30, v0
	v_cndmask_b32_e64 v23, 0, v23, s[0:1]
	v_cmp_gt_i32_e64 s[0:1], s30, v39
	v_cndmask_b32_e64 v22, 0, v22, s[0:1]
.LBB196_605:                            ;   in Loop: Header=BB196_319 Depth=1
	s_or_b64 exec, exec, s[6:7]
	global_load_dword v13, v[13:14], off offset:2816
	v_mov_b32_e32 v16, 0
	v_mov_b32_e32 v14, 0
	;; [unrolled: 1-line block ×4, first 2 shown]
	s_waitcnt vmcnt(0)
	v_cmp_ne_u16_sdwa s[0:1], v13, v5 src0_sel:BYTE_0 src1_sel:DWORD
	s_and_saveexec_b64 s[6:7], s[0:1]
	s_cbranch_execz .LBB196_611
; %bb.606:                              ;   in Loop: Header=BB196_319 Depth=1
	v_bfrev_b32_e32 v14, 1
	v_mov_b32_e32 v15, 0
	v_cmp_ne_u16_sdwa s[0:1], v13, s24 src0_sel:BYTE_0 src1_sel:DWORD
	s_and_saveexec_b64 s[12:13], s[0:1]
	s_cbranch_execz .LBB196_610
; %bb.607:                              ;   in Loop: Header=BB196_319 Depth=1
	v_and_b32_e32 v11, 0x7f, v13
	v_mov_b32_e32 v14, 0x7f800001
	v_mov_b32_e32 v15, 0
	v_cmp_ne_u32_e64 s[0:1], s25, v11
	s_and_saveexec_b64 s[14:15], s[0:1]
	s_cbranch_execz .LBB196_609
; %bb.608:                              ;   in Loop: Header=BB196_319 Depth=1
	v_and_b32_e32 v18, 7, v13
	v_lshrrev_b32_e32 v19, 3, v11
	v_cmp_gt_u32_e64 s[0:1], 8, v11
	v_ffbh_u32_e32 v11, v18
	v_min_u32_e32 v11, 32, v11
	v_subrev_u32_e32 v14, 28, v11
	v_lshlrev_b64 v[14:15], v14, v[13:14]
	v_sub_u32_e32 v11, 29, v11
	v_and_b32_e32 v14, 7, v14
	v_cndmask_b32_e64 v11, v19, v11, s[0:1]
	v_cndmask_b32_e64 v14, v18, v14, s[0:1]
	v_lshlrev_b32_e32 v14, 20, v14
	v_and_b32_sdwa v15, sext(v13), s26 dst_sel:DWORD dst_unused:UNUSED_PAD src0_sel:BYTE_0 src1_sel:DWORD
	v_lshl_add_u32 v11, v11, 23, v25
	v_or3_b32 v14, v15, v11, v14
	v_mov_b32_e32 v15, v5
.LBB196_609:                            ;   in Loop: Header=BB196_319 Depth=1
	s_or_b64 exec, exec, s[14:15]
.LBB196_610:                            ;   in Loop: Header=BB196_319 Depth=1
	s_or_b64 exec, exec, s[12:13]
.LBB196_611:                            ;   in Loop: Header=BB196_319 Depth=1
	s_or_b64 exec, exec, s[6:7]
	v_cmp_ne_u16_sdwa s[0:1], v13, v5 src0_sel:BYTE_1 src1_sel:DWORD
	s_and_saveexec_b64 s[6:7], s[0:1]
	s_cbranch_execz .LBB196_617
; %bb.612:                              ;   in Loop: Header=BB196_319 Depth=1
	v_mov_b32_e32 v17, v6
	v_cmp_ne_u16_sdwa s[0:1], v13, s24 src0_sel:BYTE_1 src1_sel:DWORD
	v_mov_b32_e32 v16, v5
	s_and_saveexec_b64 s[12:13], s[0:1]
	s_cbranch_execz .LBB196_616
; %bb.613:                              ;   in Loop: Header=BB196_319 Depth=1
	v_and_b32_sdwa v18, v13, s25 dst_sel:DWORD dst_unused:UNUSED_PAD src0_sel:BYTE_1 src1_sel:DWORD
	v_mov_b32_e32 v11, v5
	v_mov_b32_e32 v17, v12
	v_cmp_ne_u32_e64 s[0:1], s25, v18
	v_mov_b32_e32 v16, v11
	s_and_saveexec_b64 s[14:15], s[0:1]
	s_cbranch_execz .LBB196_615
; %bb.614:                              ;   in Loop: Header=BB196_319 Depth=1
	v_and_b32_sdwa v16, v13, v62 dst_sel:DWORD dst_unused:UNUSED_PAD src0_sel:BYTE_1 src1_sel:DWORD
	v_lshrrev_b32_e32 v11, 3, v18
	v_cmp_gt_u32_e64 s[0:1], 8, v18
	v_ffbh_u32_e32 v18, v16
	v_min_u32_e32 v19, 32, v18
	v_mov_b32_e32 v17, v5
	v_subrev_u32_e32 v18, 28, v19
	v_lshlrev_b64 v[17:18], v18, v[16:17]
	v_sub_u32_e32 v18, 29, v19
	v_and_b32_e32 v17, 7, v17
	v_cndmask_b32_e64 v11, v11, v18, s[0:1]
	v_cndmask_b32_e64 v16, v16, v17, s[0:1]
	v_lshlrev_b32_e32 v17, 16, v13
	v_lshl_add_u32 v11, v11, 23, v25
	v_and_or_b32 v11, v17, s26, v11
	v_lshlrev_b32_e32 v16, 20, v16
	v_or_b32_e32 v17, v11, v16
	v_mov_b32_e32 v16, v5
.LBB196_615:                            ;   in Loop: Header=BB196_319 Depth=1
	s_or_b64 exec, exec, s[14:15]
.LBB196_616:                            ;   in Loop: Header=BB196_319 Depth=1
	s_or_b64 exec, exec, s[12:13]
.LBB196_617:                            ;   in Loop: Header=BB196_319 Depth=1
	s_or_b64 exec, exec, s[6:7]
	v_lshrrev_b32_e32 v11, 16, v13
	v_mov_b32_e32 v20, 0
	v_mov_b32_e32 v18, 0
	;; [unrolled: 1-line block ×4, first 2 shown]
	v_cmp_ne_u16_sdwa s[0:1], v11, v5 src0_sel:BYTE_0 src1_sel:DWORD
	s_and_saveexec_b64 s[6:7], s[0:1]
	s_cbranch_execz .LBB196_623
; %bb.618:                              ;   in Loop: Header=BB196_319 Depth=1
	v_bfrev_b32_e32 v18, 1
	v_mov_b32_e32 v19, 0
	v_cmp_ne_u16_sdwa s[0:1], v11, s24 src0_sel:BYTE_0 src1_sel:DWORD
	s_and_saveexec_b64 s[12:13], s[0:1]
	s_cbranch_execz .LBB196_622
; %bb.619:                              ;   in Loop: Header=BB196_319 Depth=1
	v_bfe_u32 v60, v13, 16, 7
	v_mov_b32_e32 v18, 0x7f800001
	v_mov_b32_e32 v19, 0
	v_cmp_ne_u32_e64 s[0:1], s25, v60
	s_and_saveexec_b64 s[14:15], s[0:1]
	s_cbranch_execz .LBB196_621
; %bb.620:                              ;   in Loop: Header=BB196_319 Depth=1
	v_and_b32_e32 v0, 7, v11
	v_ffbh_u32_e32 v18, v0
	v_lshrrev_b32_e32 v62, 3, v60
	v_cmp_gt_u32_e64 s[0:1], 8, v60
	v_min_u32_e32 v60, 32, v18
	v_subrev_u32_e32 v18, 28, v60
	v_lshlrev_b64 v[18:19], v18, v[11:12]
	v_sub_u32_e32 v19, 29, v60
	v_and_b32_e32 v18, 7, v18
	v_cndmask_b32_e64 v19, v62, v19, s[0:1]
	v_cndmask_b32_e64 v18, v0, v18, s[0:1]
	v_lshlrev_b32_e32 v18, 20, v18
	v_and_b32_sdwa v11, sext(v11), s26 dst_sel:DWORD dst_unused:UNUSED_PAD src0_sel:BYTE_0 src1_sel:DWORD
	v_lshl_add_u32 v19, v19, 23, v25
	v_mov_b32_e32 v62, 7
	v_or3_b32 v18, v11, v19, v18
	v_mov_b32_e32 v19, v5
.LBB196_621:                            ;   in Loop: Header=BB196_319 Depth=1
	s_or_b64 exec, exec, s[14:15]
.LBB196_622:                            ;   in Loop: Header=BB196_319 Depth=1
	s_or_b64 exec, exec, s[12:13]
.LBB196_623:                            ;   in Loop: Header=BB196_319 Depth=1
	s_or_b64 exec, exec, s[6:7]
	v_cmp_lt_u32_e64 s[0:1], s27, v13
	s_and_saveexec_b64 s[6:7], s[0:1]
	s_cbranch_execz .LBB196_629
; %bb.624:                              ;   in Loop: Header=BB196_319 Depth=1
	v_mov_b32_e32 v21, v6
	v_cmp_ne_u32_sdwa s[0:1], v13, s24 src0_sel:BYTE_3 src1_sel:DWORD
	v_mov_b32_e32 v20, v5
	s_and_saveexec_b64 s[12:13], s[0:1]
	s_cbranch_execz .LBB196_628
; %bb.625:                              ;   in Loop: Header=BB196_319 Depth=1
	v_bfe_u32 v60, v13, 24, 7
	v_mov_b32_e32 v11, v5
	v_mov_b32_e32 v21, v12
	v_cmp_ne_u32_e64 s[0:1], s25, v60
	v_mov_b32_e32 v20, v11
	s_and_saveexec_b64 s[14:15], s[0:1]
	s_cbranch_execz .LBB196_627
; %bb.626:                              ;   in Loop: Header=BB196_319 Depth=1
	v_and_b32_sdwa v20, v13, v62 dst_sel:DWORD dst_unused:UNUSED_PAD src0_sel:BYTE_3 src1_sel:DWORD
	v_lshrrev_b32_e32 v11, 3, v60
	v_cmp_gt_u32_e64 s[0:1], 8, v60
	v_ffbh_u32_e32 v60, v20
	v_min_u32_e32 v62, 32, v60
	v_mov_b32_e32 v21, v5
	v_subrev_u32_e32 v60, 28, v62
	v_mov_b32_e32 v0, v26
	v_mov_b32_e32 v26, v63
	;; [unrolled: 1-line block ×3, first 2 shown]
	v_lshlrev_b64 v[24:25], v60, v[20:21]
	v_sub_u32_e32 v21, 29, v62
	v_bfrev_b32_e32 v25, 60
	v_and_b32_e32 v60, 7, v24
	v_cndmask_b32_e64 v11, v11, v21, s[0:1]
	v_mov_b32_e32 v21, 24
	v_cndmask_b32_e64 v20, v20, v60, s[0:1]
	v_lshlrev_b32_sdwa v13, v21, v13 dst_sel:DWORD dst_unused:UNUSED_PAD src0_sel:DWORD src1_sel:BYTE_3
	v_lshl_add_u32 v11, v11, 23, v25
	v_and_or_b32 v11, v13, s26, v11
	v_lshlrev_b32_e32 v13, 20, v20
	v_mov_b32_e32 v62, 7
	v_mov_b32_e32 v24, v63
	;; [unrolled: 1-line block ×4, first 2 shown]
	v_or_b32_e32 v21, v11, v13
	v_mov_b32_e32 v20, v5
.LBB196_627:                            ;   in Loop: Header=BB196_319 Depth=1
	s_or_b64 exec, exec, s[14:15]
.LBB196_628:                            ;   in Loop: Header=BB196_319 Depth=1
	s_or_b64 exec, exec, s[12:13]
.LBB196_629:                            ;   in Loop: Header=BB196_319 Depth=1
	s_or_b64 exec, exec, s[6:7]
	v_or_b32_e32 v13, v16, v14
	v_or_b32_e32 v11, v17, v15
	v_mul_f32_e32 v15, s17, v13
	v_or_b32_e32 v13, v21, v19
	v_or_b32_e32 v14, v20, v18
	v_mul_f32_e32 v11, s18, v11
	v_mul_f32_e32 v14, s17, v14
	;; [unrolled: 1-line block ×3, first 2 shown]
	s_and_saveexec_b64 s[0:1], vcc
	s_cbranch_execz .LBB196_318
; %bb.630:                              ;   in Loop: Header=BB196_319 Depth=1
	v_add_u32_e32 v0, -3, v39
	v_cmp_gt_i32_e32 vcc, s30, v0
	v_add_u32_e32 v0, -2, v39
	v_cndmask_b32_e32 v15, 0, v15, vcc
	v_cmp_gt_i32_e32 vcc, s30, v0
	v_add_u32_e32 v0, -1, v39
	v_cndmask_b32_e32 v11, 0, v11, vcc
	v_cmp_gt_i32_e32 vcc, s30, v0
	v_cndmask_b32_e32 v14, 0, v14, vcc
	v_cmp_gt_i32_e32 vcc, s30, v39
	v_cndmask_b32_e32 v13, 0, v13, vcc
	s_branch .LBB196_318
.LBB196_631:
	s_or_b64 exec, exec, s[4:5]
	buffer_load_dword v18, off, s[44:47], 0 offset:192 ; 4-byte Folded Reload
	buffer_load_dword v19, off, s[44:47], 0 offset:208 ; 4-byte Folded Reload
	;; [unrolled: 1-line block ×4, first 2 shown]
.LBB196_632:
	s_or_b64 exec, exec, s[2:3]
	s_waitcnt vmcnt(0)
	ds_bpermute_b32 v0, v13, v37
	ds_bpermute_b32 v1, v13, v38
	;; [unrolled: 1-line block ×5, first 2 shown]
	s_waitcnt lgkmcnt(4)
	v_add_f32_e32 v0, v37, v0
	ds_bpermute_b32 v4, v17, v0
	s_waitcnt lgkmcnt(4)
	v_add_f32_e32 v1, v38, v1
	s_waitcnt lgkmcnt(3)
	v_add_f32_e32 v2, v36, v2
	s_waitcnt lgkmcnt(2)
	v_add_f32_e32 v3, v35, v3
	ds_bpermute_b32 v5, v17, v1
	ds_bpermute_b32 v6, v17, v2
	s_waitcnt lgkmcnt(2)
	v_add_f32_e32 v0, v0, v4
	ds_bpermute_b32 v4, v17, v3
	s_waitcnt lgkmcnt(0)
	v_add_f32_e32 v1, v1, v5
	ds_bpermute_b32 v5, v13, v34
	v_add_f32_e32 v2, v2, v6
	ds_bpermute_b32 v6, v13, v33
	;; [unrolled: 2-line block ×3, first 2 shown]
	s_waitcnt lgkmcnt(2)
	v_add_f32_e32 v5, v34, v5
	ds_bpermute_b32 v7, v17, v5
	s_waitcnt lgkmcnt(2)
	v_add_f32_e32 v6, v33, v6
	ds_bpermute_b32 v8, v17, v6
	s_waitcnt lgkmcnt(2)
	v_add_f32_e32 v9, v32, v4
	ds_bpermute_b32 v10, v17, v9
	s_waitcnt lgkmcnt(2)
	v_add_f32_e32 v4, v5, v7
	ds_bpermute_b32 v7, v13, v30
	s_waitcnt lgkmcnt(2)
	v_add_f32_e32 v5, v6, v8
	v_add_f32_e32 v8, v31, v11
	s_waitcnt lgkmcnt(1)
	v_add_f32_e32 v6, v9, v10
	ds_bpermute_b32 v10, v13, v29
	ds_bpermute_b32 v9, v17, v8
	s_waitcnt lgkmcnt(2)
	v_add_f32_e32 v11, v30, v7
	ds_bpermute_b32 v7, v13, v28
	s_waitcnt lgkmcnt(0)
	s_barrier
	v_add_f32_e32 v10, v29, v10
	ds_bpermute_b32 v14, v17, v10
	s_waitcnt lgkmcnt(0)
	v_add_f32_e32 v15, v28, v7
	v_add_f32_e32 v7, v8, v9
	ds_bpermute_b32 v13, v13, v27
	v_add_f32_e32 v9, v10, v14
	buffer_load_dword v14, off, s[44:47], 0 offset:200 ; 4-byte Folded Reload
	ds_bpermute_b32 v12, v17, v11
	ds_bpermute_b32 v16, v17, v15
	s_waitcnt lgkmcnt(2)
	v_add_f32_e32 v13, v27, v13
	ds_bpermute_b32 v17, v17, v13
	s_waitcnt lgkmcnt(2)
	v_add_f32_e32 v8, v11, v12
	s_waitcnt lgkmcnt(1)
	v_add_f32_e32 v10, v15, v16
	;; [unrolled: 2-line block ×3, first 2 shown]
	s_waitcnt vmcnt(0)
	v_and_b32_e32 v12, 0x3c3, v14
	v_cmp_eq_u32_e32 vcc, 64, v12
	s_and_saveexec_b64 s[0:1], vcc
	s_cbranch_execz .LBB196_634
; %bb.633:
	v_add_u32_e32 v13, 0x310, v19
	ds_write2_b32 v13, v0, v1 offset1:16
	ds_write2_b32 v13, v2, v3 offset0:32 offset1:48
	ds_write2_b32 v13, v4, v5 offset0:64 offset1:80
	;; [unrolled: 1-line block ×5, first 2 shown]
.LBB196_634:
	s_or_b64 exec, exec, s[0:1]
	v_cmp_gt_u32_e32 vcc, 64, v14
	s_waitcnt lgkmcnt(0)
	s_barrier
	s_mov_b64 s[0:1], exec
	buffer_load_dword v14, off, s[44:47], 0 offset:188 ; 4-byte Folded Reload
	s_and_b64 s[2:3], s[0:1], vcc
	s_mov_b64 exec, s[2:3]
	s_cbranch_execz .LBB196_649
; %bb.635:
	v_mov_b32_e32 v13, 0x310
	v_cmp_eq_u32_e32 vcc, 0, v18
	s_waitcnt vmcnt(0)
	v_lshl_add_u32 v13, v14, 2, v13
	s_and_saveexec_b64 s[2:3], vcc
	s_cbranch_execnz .LBB196_652
; %bb.636:
	s_or_b64 exec, exec, s[2:3]
	s_and_saveexec_b64 s[2:3], vcc
	s_cbranch_execnz .LBB196_653
.LBB196_637:
	s_or_b64 exec, exec, s[2:3]
	s_and_saveexec_b64 s[2:3], vcc
	s_cbranch_execnz .LBB196_654
.LBB196_638:
	s_or_b64 exec, exec, s[2:3]
	s_and_saveexec_b64 s[2:3], vcc
	s_cbranch_execnz .LBB196_655
.LBB196_639:
	s_or_b64 exec, exec, s[2:3]
	s_and_saveexec_b64 s[2:3], vcc
	s_cbranch_execnz .LBB196_656
.LBB196_640:
	s_or_b64 exec, exec, s[2:3]
	s_and_saveexec_b64 s[2:3], vcc
	s_cbranch_execnz .LBB196_657
.LBB196_641:
	s_or_b64 exec, exec, s[2:3]
	s_and_saveexec_b64 s[2:3], vcc
	s_cbranch_execnz .LBB196_658
.LBB196_642:
	s_or_b64 exec, exec, s[2:3]
	s_and_saveexec_b64 s[2:3], vcc
	s_cbranch_execnz .LBB196_659
.LBB196_643:
	s_or_b64 exec, exec, s[2:3]
	s_and_saveexec_b64 s[2:3], vcc
	s_cbranch_execnz .LBB196_660
.LBB196_644:
	s_or_b64 exec, exec, s[2:3]
	s_and_saveexec_b64 s[2:3], vcc
	s_cbranch_execnz .LBB196_661
.LBB196_645:
	s_or_b64 exec, exec, s[2:3]
	s_and_saveexec_b64 s[2:3], vcc
	s_cbranch_execnz .LBB196_662
.LBB196_646:
	s_or_b64 exec, exec, s[2:3]
	s_and_saveexec_b64 s[2:3], vcc
	s_cbranch_execz .LBB196_648
.LBB196_647:
	ds_read_b32 v13, v13 offset:704
	s_waitcnt lgkmcnt(0)
	v_add_f32_e32 v11, v11, v13
.LBB196_648:
	s_or_b64 exec, exec, s[2:3]
.LBB196_649:
	s_or_b64 exec, exec, s[0:1]
	v_cmp_eq_u32_e32 vcc, 0, v12
	s_waitcnt vmcnt(0)
	s_barrier
	s_and_saveexec_b64 s[0:1], vcc
	s_cbranch_execz .LBB196_651
; %bb.650:
	buffer_load_dword v12, off, s[44:47], 0 offset:204 ; 4-byte Folded Reload
	s_mul_i32 s0, s10, s11
	s_mul_i32 s0, s0, s9
	s_mulk_i32 s0, 0xc0
	s_ashr_i32 s1, s0, 31
	s_lshl_b64 s[0:1], s[0:1], 2
	s_add_u32 s2, s22, s0
	s_mul_i32 s0, s11, s20
	s_addc_u32 s3, s23, s1
	s_ashr_i32 s1, s0, 31
	s_lshl_b64 s[0:1], s[0:1], 2
	s_add_u32 s2, s2, s0
	s_mul_i32 s0, s8, 0xc0
	s_addc_u32 s3, s3, s1
	s_ashr_i32 s1, s0, 31
	s_lshl_b64 s[0:1], s[0:1], 2
	s_add_u32 s0, s2, s0
	s_addc_u32 s1, s3, s1
	s_waitcnt vmcnt(0)
	global_store_dword v12, v0, s[0:1]
	global_store_dword v12, v1, s[0:1] offset:64
	global_store_dword v12, v2, s[0:1] offset:128
	;; [unrolled: 1-line block ×11, first 2 shown]
.LBB196_651:
	s_endpgm
.LBB196_652:
	ds_read_b32 v14, v13
	s_waitcnt lgkmcnt(0)
	v_add_f32_e32 v0, v0, v14
	s_or_b64 exec, exec, s[2:3]
	s_and_saveexec_b64 s[2:3], vcc
	s_cbranch_execz .LBB196_637
.LBB196_653:
	ds_read_b32 v14, v13 offset:64
	s_waitcnt lgkmcnt(0)
	v_add_f32_e32 v1, v1, v14
	s_or_b64 exec, exec, s[2:3]
	s_and_saveexec_b64 s[2:3], vcc
	s_cbranch_execz .LBB196_638
.LBB196_654:
	ds_read_b32 v14, v13 offset:128
	s_waitcnt lgkmcnt(0)
	v_add_f32_e32 v2, v2, v14
	s_or_b64 exec, exec, s[2:3]
	s_and_saveexec_b64 s[2:3], vcc
	s_cbranch_execz .LBB196_639
.LBB196_655:
	ds_read_b32 v14, v13 offset:192
	s_waitcnt lgkmcnt(0)
	v_add_f32_e32 v3, v3, v14
	s_or_b64 exec, exec, s[2:3]
	s_and_saveexec_b64 s[2:3], vcc
	s_cbranch_execz .LBB196_640
.LBB196_656:
	ds_read_b32 v14, v13 offset:256
	s_waitcnt lgkmcnt(0)
	v_add_f32_e32 v4, v4, v14
	s_or_b64 exec, exec, s[2:3]
	s_and_saveexec_b64 s[2:3], vcc
	s_cbranch_execz .LBB196_641
.LBB196_657:
	ds_read_b32 v14, v13 offset:320
	s_waitcnt lgkmcnt(0)
	v_add_f32_e32 v5, v5, v14
	s_or_b64 exec, exec, s[2:3]
	s_and_saveexec_b64 s[2:3], vcc
	s_cbranch_execz .LBB196_642
.LBB196_658:
	ds_read_b32 v14, v13 offset:384
	s_waitcnt lgkmcnt(0)
	v_add_f32_e32 v6, v6, v14
	s_or_b64 exec, exec, s[2:3]
	s_and_saveexec_b64 s[2:3], vcc
	s_cbranch_execz .LBB196_643
.LBB196_659:
	ds_read_b32 v14, v13 offset:448
	s_waitcnt lgkmcnt(0)
	v_add_f32_e32 v7, v7, v14
	s_or_b64 exec, exec, s[2:3]
	s_and_saveexec_b64 s[2:3], vcc
	s_cbranch_execz .LBB196_644
.LBB196_660:
	ds_read_b32 v14, v13 offset:512
	s_waitcnt lgkmcnt(0)
	v_add_f32_e32 v8, v8, v14
	s_or_b64 exec, exec, s[2:3]
	s_and_saveexec_b64 s[2:3], vcc
	s_cbranch_execz .LBB196_645
.LBB196_661:
	ds_read_b32 v14, v13 offset:576
	s_waitcnt lgkmcnt(0)
	v_add_f32_e32 v9, v9, v14
	s_or_b64 exec, exec, s[2:3]
	s_and_saveexec_b64 s[2:3], vcc
	s_cbranch_execz .LBB196_646
.LBB196_662:
	ds_read_b32 v14, v13 offset:640
	s_waitcnt lgkmcnt(0)
	v_add_f32_e32 v10, v10, v14
	s_or_b64 exec, exec, s[2:3]
	s_and_saveexec_b64 s[2:3], vcc
	s_cbranch_execnz .LBB196_647
	s_branch .LBB196_648
	.section	.rodata,"a",@progbits
	.p2align	6, 0x0
	.amdhsa_kernel _ZN4vllm25paged_attention_v1_kernelIfhLi192ELi16ELi128ELNS_18Fp8KVCacheDataTypeE1ELb0EEEvPT_PKS2_PKT0_S8_ifPKiSA_iPKfiiiSC_SC_iiiii
		.amdhsa_group_segment_fixed_size 784
		.amdhsa_private_segment_fixed_size 224
		.amdhsa_kernarg_size 384
		.amdhsa_user_sgpr_count 6
		.amdhsa_user_sgpr_private_segment_buffer 1
		.amdhsa_user_sgpr_dispatch_ptr 0
		.amdhsa_user_sgpr_queue_ptr 0
		.amdhsa_user_sgpr_kernarg_segment_ptr 1
		.amdhsa_user_sgpr_dispatch_id 0
		.amdhsa_user_sgpr_flat_scratch_init 0
		.amdhsa_user_sgpr_private_segment_size 0
		.amdhsa_uses_dynamic_stack 0
		.amdhsa_system_sgpr_private_segment_wavefront_offset 1
		.amdhsa_system_sgpr_workgroup_id_x 1
		.amdhsa_system_sgpr_workgroup_id_y 1
		.amdhsa_system_sgpr_workgroup_id_z 1
		.amdhsa_system_sgpr_workgroup_info 0
		.amdhsa_system_vgpr_workitem_id 0
		.amdhsa_next_free_vgpr 64
		.amdhsa_next_free_sgpr 48
		.amdhsa_reserve_vcc 1
		.amdhsa_reserve_flat_scratch 0
		.amdhsa_float_round_mode_32 0
		.amdhsa_float_round_mode_16_64 0
		.amdhsa_float_denorm_mode_32 3
		.amdhsa_float_denorm_mode_16_64 3
		.amdhsa_dx10_clamp 1
		.amdhsa_ieee_mode 1
		.amdhsa_fp16_overflow 0
		.amdhsa_exception_fp_ieee_invalid_op 0
		.amdhsa_exception_fp_denorm_src 0
		.amdhsa_exception_fp_ieee_div_zero 0
		.amdhsa_exception_fp_ieee_overflow 0
		.amdhsa_exception_fp_ieee_underflow 0
		.amdhsa_exception_fp_ieee_inexact 0
		.amdhsa_exception_int_div_zero 0
	.end_amdhsa_kernel
	.section	.text._ZN4vllm25paged_attention_v1_kernelIfhLi192ELi16ELi128ELNS_18Fp8KVCacheDataTypeE1ELb0EEEvPT_PKS2_PKT0_S8_ifPKiSA_iPKfiiiSC_SC_iiiii,"axG",@progbits,_ZN4vllm25paged_attention_v1_kernelIfhLi192ELi16ELi128ELNS_18Fp8KVCacheDataTypeE1ELb0EEEvPT_PKS2_PKT0_S8_ifPKiSA_iPKfiiiSC_SC_iiiii,comdat
.Lfunc_end196:
	.size	_ZN4vllm25paged_attention_v1_kernelIfhLi192ELi16ELi128ELNS_18Fp8KVCacheDataTypeE1ELb0EEEvPT_PKS2_PKT0_S8_ifPKiSA_iPKfiiiSC_SC_iiiii, .Lfunc_end196-_ZN4vllm25paged_attention_v1_kernelIfhLi192ELi16ELi128ELNS_18Fp8KVCacheDataTypeE1ELb0EEEvPT_PKS2_PKT0_S8_ifPKiSA_iPKfiiiSC_SC_iiiii
                                        ; -- End function
	.set _ZN4vllm25paged_attention_v1_kernelIfhLi192ELi16ELi128ELNS_18Fp8KVCacheDataTypeE1ELb0EEEvPT_PKS2_PKT0_S8_ifPKiSA_iPKfiiiSC_SC_iiiii.num_vgpr, 64
	.set _ZN4vllm25paged_attention_v1_kernelIfhLi192ELi16ELi128ELNS_18Fp8KVCacheDataTypeE1ELb0EEEvPT_PKS2_PKT0_S8_ifPKiSA_iPKfiiiSC_SC_iiiii.num_agpr, 0
	.set _ZN4vllm25paged_attention_v1_kernelIfhLi192ELi16ELi128ELNS_18Fp8KVCacheDataTypeE1ELb0EEEvPT_PKS2_PKT0_S8_ifPKiSA_iPKfiiiSC_SC_iiiii.numbered_sgpr, 48
	.set _ZN4vllm25paged_attention_v1_kernelIfhLi192ELi16ELi128ELNS_18Fp8KVCacheDataTypeE1ELb0EEEvPT_PKS2_PKT0_S8_ifPKiSA_iPKfiiiSC_SC_iiiii.num_named_barrier, 0
	.set _ZN4vllm25paged_attention_v1_kernelIfhLi192ELi16ELi128ELNS_18Fp8KVCacheDataTypeE1ELb0EEEvPT_PKS2_PKT0_S8_ifPKiSA_iPKfiiiSC_SC_iiiii.private_seg_size, 224
	.set _ZN4vllm25paged_attention_v1_kernelIfhLi192ELi16ELi128ELNS_18Fp8KVCacheDataTypeE1ELb0EEEvPT_PKS2_PKT0_S8_ifPKiSA_iPKfiiiSC_SC_iiiii.uses_vcc, 1
	.set _ZN4vllm25paged_attention_v1_kernelIfhLi192ELi16ELi128ELNS_18Fp8KVCacheDataTypeE1ELb0EEEvPT_PKS2_PKT0_S8_ifPKiSA_iPKfiiiSC_SC_iiiii.uses_flat_scratch, 0
	.set _ZN4vllm25paged_attention_v1_kernelIfhLi192ELi16ELi128ELNS_18Fp8KVCacheDataTypeE1ELb0EEEvPT_PKS2_PKT0_S8_ifPKiSA_iPKfiiiSC_SC_iiiii.has_dyn_sized_stack, 0
	.set _ZN4vllm25paged_attention_v1_kernelIfhLi192ELi16ELi128ELNS_18Fp8KVCacheDataTypeE1ELb0EEEvPT_PKS2_PKT0_S8_ifPKiSA_iPKfiiiSC_SC_iiiii.has_recursion, 0
	.set _ZN4vllm25paged_attention_v1_kernelIfhLi192ELi16ELi128ELNS_18Fp8KVCacheDataTypeE1ELb0EEEvPT_PKS2_PKT0_S8_ifPKiSA_iPKfiiiSC_SC_iiiii.has_indirect_call, 0
	.section	.AMDGPU.csdata,"",@progbits
; Kernel info:
; codeLenInByte = 26960
; TotalNumSgprs: 52
; NumVgprs: 64
; ScratchSize: 224
; MemoryBound: 0
; FloatMode: 240
; IeeeMode: 1
; LDSByteSize: 784 bytes/workgroup (compile time only)
; SGPRBlocks: 6
; VGPRBlocks: 15
; NumSGPRsForWavesPerEU: 52
; NumVGPRsForWavesPerEU: 64
; Occupancy: 4
; WaveLimiterHint : 1
; COMPUTE_PGM_RSRC2:SCRATCH_EN: 1
; COMPUTE_PGM_RSRC2:USER_SGPR: 6
; COMPUTE_PGM_RSRC2:TRAP_HANDLER: 0
; COMPUTE_PGM_RSRC2:TGID_X_EN: 1
; COMPUTE_PGM_RSRC2:TGID_Y_EN: 1
; COMPUTE_PGM_RSRC2:TGID_Z_EN: 1
; COMPUTE_PGM_RSRC2:TIDIG_COMP_CNT: 0
	.section	.text._ZN4vllm25paged_attention_v1_kernelIfhLi256ELi16ELi128ELNS_18Fp8KVCacheDataTypeE1ELb0EEEvPT_PKS2_PKT0_S8_ifPKiSA_iPKfiiiSC_SC_iiiii,"axG",@progbits,_ZN4vllm25paged_attention_v1_kernelIfhLi256ELi16ELi128ELNS_18Fp8KVCacheDataTypeE1ELb0EEEvPT_PKS2_PKT0_S8_ifPKiSA_iPKfiiiSC_SC_iiiii,comdat
	.protected	_ZN4vllm25paged_attention_v1_kernelIfhLi256ELi16ELi128ELNS_18Fp8KVCacheDataTypeE1ELb0EEEvPT_PKS2_PKT0_S8_ifPKiSA_iPKfiiiSC_SC_iiiii ; -- Begin function _ZN4vllm25paged_attention_v1_kernelIfhLi256ELi16ELi128ELNS_18Fp8KVCacheDataTypeE1ELb0EEEvPT_PKS2_PKT0_S8_ifPKiSA_iPKfiiiSC_SC_iiiii
	.globl	_ZN4vllm25paged_attention_v1_kernelIfhLi256ELi16ELi128ELNS_18Fp8KVCacheDataTypeE1ELb0EEEvPT_PKS2_PKT0_S8_ifPKiSA_iPKfiiiSC_SC_iiiii
	.p2align	8
	.type	_ZN4vllm25paged_attention_v1_kernelIfhLi256ELi16ELi128ELNS_18Fp8KVCacheDataTypeE1ELb0EEEvPT_PKS2_PKT0_S8_ifPKiSA_iPKfiiiSC_SC_iiiii,@function
_ZN4vllm25paged_attention_v1_kernelIfhLi256ELi16ELi128ELNS_18Fp8KVCacheDataTypeE1ELb0EEEvPT_PKS2_PKT0_S8_ifPKiSA_iPKfiiiSC_SC_iiiii: ; @_ZN4vllm25paged_attention_v1_kernelIfhLi256ELi16ELi128ELNS_18Fp8KVCacheDataTypeE1ELb0EEEvPT_PKS2_PKT0_S8_ifPKiSA_iPKfiiiSC_SC_iiiii
; %bb.0:
	s_mov_b64 s[46:47], s[2:3]
	s_mov_b64 s[44:45], s[0:1]
	s_add_u32 s44, s44, s9
	s_load_dword s9, s[4:5], 0x80
	s_load_dwordx2 s[0:1], s[4:5], 0x30
	s_load_dwordx2 s[30:31], s[4:5], 0x20
	s_addc_u32 s45, s45, 0
	s_mov_b32 s10, s7
	s_ashr_i32 s11, s7, 31
	s_lshl_b64 s[2:3], s[10:11], 2
	s_waitcnt lgkmcnt(0)
	s_add_u32 s0, s0, s2
	s_addc_u32 s1, s1, s3
	s_abs_i32 s2, s30
	v_mov_b32_e32 v8, v0
	v_cvt_f32_u32_e32 v0, s2
	s_sub_i32 s11, 0, s2
	s_abs_i32 s7, s9
	s_xor_b32 s3, s9, s30
	v_rcp_iflag_f32_e32 v0, v0
	s_ashr_i32 s3, s3, 31
	s_mov_b32 s33, 0
	v_mul_f32_e32 v0, 0x4f7ffffe, v0
	v_cvt_u32_f32_e32 v0, v0
	v_readfirstlane_b32 s12, v0
	s_mul_i32 s11, s11, s12
	s_mul_hi_u32 s11, s12, s11
	s_add_i32 s12, s12, s11
	s_mul_hi_u32 s11, s7, s12
	s_mul_i32 s12, s11, s2
	s_sub_i32 s7, s7, s12
	s_add_i32 s12, s11, 1
	s_sub_i32 s13, s7, s2
	s_cmp_ge_u32 s7, s2
	s_cselect_b32 s11, s12, s11
	s_cselect_b32 s7, s13, s7
	s_add_i32 s12, s11, 1
	s_cmp_ge_u32 s7, s2
	s_cselect_b32 s2, s12, s11
	s_xor_b32 s2, s2, s3
	s_sub_i32 s11, s2, s3
	s_abs_i32 s16, s11
	v_cvt_f32_u32_e32 v0, s16
	s_load_dwordx2 s[2:3], s[4:5], 0x40
	s_sub_i32 s7, 0, s16
	s_abs_i32 s17, s6
	v_rcp_iflag_f32_e32 v0, v0
	v_mul_f32_e32 v0, 0x4f7ffffe, v0
	v_cvt_u32_f32_e32 v0, v0
	v_readfirstlane_b32 s12, v0
	s_mul_i32 s7, s7, s12
	s_mul_hi_u32 s7, s12, s7
	s_add_i32 s12, s12, s7
	s_waitcnt lgkmcnt(0)
	s_cmp_eq_u64 s[2:3], 0
	s_mul_hi_u32 s18, s17, s12
	s_cbranch_scc1 .LBB197_2
; %bb.1:
	s_ashr_i32 s7, s6, 31
	s_lshl_b64 s[12:13], s[6:7], 2
	s_add_u32 s2, s2, s12
	s_addc_u32 s3, s3, s13
	s_load_dword s33, s[2:3], 0x0
.LBB197_2:
	s_load_dword s30, s[0:1], 0x0
	s_ashr_i32 s19, s11, 31
	s_load_dword s11, s[4:5], 0x88
	s_load_dwordx4 s[12:15], s[4:5], 0x48
	v_lshrrev_b32_e32 v4, 2, v8
	s_movk_i32 s0, 0x100
	s_ashr_i32 s7, s6, 31
	v_and_b32_e32 v5, 3, v8
	s_lshl_b32 s20, s6, 8
	v_cmp_gt_u32_e32 vcc, s0, v8
	v_lshlrev_b32_e32 v11, 2, v8
	v_lshlrev_b32_e32 v3, 2, v4
	s_and_saveexec_b64 s[0:1], vcc
	s_cbranch_execz .LBB197_5
; %bb.3:
	s_load_dwordx2 s[2:3], s[4:5], 0x8
	s_waitcnt lgkmcnt(0)
	s_mul_i32 s22, s12, s10
	s_ashr_i32 s23, s22, 31
	s_lshl_b64 s[22:23], s[22:23], 2
	v_lshl_add_u32 v0, v5, 8, v3
	s_add_u32 s6, s2, s22
	s_addc_u32 s12, s3, s23
	s_ashr_i32 s21, s20, 31
	s_lshl_b64 s[2:3], s[20:21], 2
	s_add_u32 s2, s6, s2
	s_addc_u32 s3, s12, s3
	global_load_dword v1, v11, s[2:3]
	s_movk_i32 s6, 0x80
	v_cmp_gt_u32_e32 vcc, s6, v8
	s_waitcnt vmcnt(0)
	ds_write_b32 v0, v1
	s_and_b64 exec, exec, vcc
	s_cbranch_execz .LBB197_5
; %bb.4:
	v_lshlrev_b32_e32 v1, 4, v4
	v_lshlrev_b32_e32 v2, 2, v5
	s_movk_i32 s6, 0x200
	v_or3_b32 v1, v1, v2, s6
	global_load_dword v1, v1, s[2:3]
	s_waitcnt vmcnt(0)
	ds_write_b32 v0, v1 offset:128
.LBB197_5:
	s_or_b64 exec, exec, s[0:1]
	s_waitcnt lgkmcnt(0)
	s_add_i32 s1, s30, 15
	s_ashr_i32 s2, s1, 31
	s_lshr_b32 s2, s2, 28
	s_add_i32 s1, s1, s2
	s_mul_i32 s2, s18, s16
	s_sub_i32 s2, s17, s2
	s_ashr_i32 s21, s1, 4
	s_xor_b32 s1, s7, s19
	s_add_i32 s3, s18, 1
	s_sub_i32 s6, s2, s16
	s_load_dwordx2 s[24:25], s[4:5], 0x28
	s_load_dword s0, s[4:5], 0x38
	s_cmp_ge_u32 s2, s16
	s_cselect_b32 s3, s3, s18
	s_cselect_b32 s2, s6, s2
	s_add_i32 s6, s3, 1
	s_cmp_ge_u32 s2, s16
	s_cselect_b32 s2, s6, s3
	v_lshrrev_b32_e32 v0, 6, v8
	s_xor_b32 s2, s2, s1
	s_waitcnt lgkmcnt(0)
	s_mul_i32 s26, s0, s10
	s_sub_i32 s12, s2, s1
	s_barrier
	s_ashr_i32 s27, s26, 31
	v_cmp_gt_i32_e64 s[0:1], s21, v0
	buffer_store_dword v0, off, s[44:47], 0 ; 4-byte Folded Spill
	v_cmp_le_i32_e32 vcc, s21, v0
	v_mbcnt_lo_u32_b32 v0, -1, 0
                                        ; implicit-def: $vgpr13
                                        ; implicit-def: $vgpr9
                                        ; implicit-def: $vgpr14
	s_and_saveexec_b64 s[2:3], vcc
	s_xor_b64 s[2:3], exec, s[2:3]
; %bb.6:
	v_mbcnt_hi_u32_b32 v13, -1, v0
	v_and_b32_e32 v9, 64, v13
	v_add_u32_e32 v14, 64, v9
                                        ; implicit-def: $vgpr0
; %bb.7:
	s_or_saveexec_b64 s[6:7], s[2:3]
	buffer_store_dword v4, off, s[44:47], 0 offset:376 ; 4-byte Folded Spill
	buffer_store_dword v3, off, s[44:47], 0 offset:372 ; 4-byte Folded Spill
	s_load_dwordx2 s[22:23], s[4:5], 0x0
	s_load_dwordx2 s[28:29], s[4:5], 0x18
	s_load_dwordx4 s[16:19], s[4:5], 0x58
	v_mov_b32_e32 v2, 0xff7fffff
	s_mul_i32 s12, s12, s14
	v_lshrrev_b32_e32 v12, 4, v8
	buffer_store_dword v8, off, s[44:47], 0 offset:364 ; 4-byte Folded Spill
	buffer_store_dword v5, off, s[44:47], 0 offset:368 ; 4-byte Folded Spill
	s_xor_b64 exec, exec, s[6:7]
	s_cbranch_execz .LBB197_397
; %bb.8:
	s_load_dwordx2 s[2:3], s[4:5], 0x10
	s_ashr_i32 s4, s12, 31
	v_mov_b32_e32 v9, v5
	v_bfe_u32 v5, v8, 2, 4
	v_lshlrev_b32_e32 v1, 4, v5
	s_waitcnt lgkmcnt(0)
	s_add_u32 s2, s2, s12
	s_addc_u32 s3, s3, s4
	v_add_co_u32_e32 v6, vcc, s2, v1
	v_mov_b32_e32 v1, s3
	v_addc_co_u32_e32 v7, vcc, 0, v1, vcc
	v_lshlrev_b32_e32 v1, 8, v9
	ds_read_b128 v[13:16], v1
	buffer_store_dword v11, off, s[44:47], 0 offset:340 ; 4-byte Folded Spill
	s_waitcnt lgkmcnt(0)
	buffer_store_dword v13, off, s[44:47], 0 offset:68 ; 4-byte Folded Spill
	s_nop 0
	buffer_store_dword v14, off, s[44:47], 0 offset:72 ; 4-byte Folded Spill
	buffer_store_dword v15, off, s[44:47], 0 offset:76 ; 4-byte Folded Spill
	buffer_store_dword v16, off, s[44:47], 0 offset:80 ; 4-byte Folded Spill
	ds_read_b128 v[13:16], v1 offset:16
	s_waitcnt lgkmcnt(0)
	buffer_store_dword v13, off, s[44:47], 0 offset:84 ; 4-byte Folded Spill
	s_nop 0
	buffer_store_dword v14, off, s[44:47], 0 offset:88 ; 4-byte Folded Spill
	buffer_store_dword v15, off, s[44:47], 0 offset:92 ; 4-byte Folded Spill
	buffer_store_dword v16, off, s[44:47], 0 offset:96 ; 4-byte Folded Spill
	ds_read_b128 v[13:16], v1 offset:32
	;; [unrolled: 7-line block ×12, first 2 shown]
	v_mbcnt_hi_u32_b32 v2, -1, v0
	v_and_b32_e32 v0, 64, v2
	s_waitcnt lgkmcnt(0)
	buffer_store_dword v13, off, s[44:47], 0 offset:260 ; 4-byte Folded Spill
	s_nop 0
	buffer_store_dword v14, off, s[44:47], 0 offset:264 ; 4-byte Folded Spill
	buffer_store_dword v15, off, s[44:47], 0 offset:268 ; 4-byte Folded Spill
	;; [unrolled: 1-line block ×4, first 2 shown]
	v_add_u32_e32 v3, 64, v0
	v_xor_b32_e32 v0, 2, v2
	v_cmp_lt_i32_e32 vcc, v0, v3
	v_cndmask_b32_e32 v0, v2, v0, vcc
	v_lshlrev_b32_e32 v0, 2, v0
	ds_read_b128 v[13:16], v1 offset:208
	buffer_store_dword v0, off, s[44:47], 0 offset:276 ; 4-byte Folded Spill
	v_xor_b32_e32 v0, 1, v2
	v_cmp_lt_i32_e32 vcc, v0, v3
	v_cndmask_b32_e32 v0, v2, v0, vcc
	v_lshlrev_b32_e32 v0, 2, v0
	buffer_store_dword v2, off, s[44:47], 0 offset:348 ; 4-byte Folded Spill
	buffer_store_dword v0, off, s[44:47], 0 offset:280 ; 4-byte Folded Spill
	s_waitcnt lgkmcnt(0)
	buffer_store_dword v13, off, s[44:47], 0 offset:284 ; 4-byte Folded Spill
	s_nop 0
	buffer_store_dword v14, off, s[44:47], 0 offset:288 ; 4-byte Folded Spill
	buffer_store_dword v15, off, s[44:47], 0 offset:292 ; 4-byte Folded Spill
	;; [unrolled: 1-line block ×3, first 2 shown]
	ds_read_b128 v[13:16], v1 offset:224
	v_add_co_u32_e64 v6, s[4:5], v6, v9
	s_waitcnt lgkmcnt(0)
	buffer_store_dword v13, off, s[44:47], 0 offset:300 ; 4-byte Folded Spill
	s_nop 0
	buffer_store_dword v14, off, s[44:47], 0 offset:304 ; 4-byte Folded Spill
	buffer_store_dword v15, off, s[44:47], 0 offset:308 ; 4-byte Folded Spill
	;; [unrolled: 1-line block ×3, first 2 shown]
	v_addc_co_u32_e64 v7, s[4:5], 0, v7, s[4:5]
	ds_read_b128 v[1:4], v1 offset:240
	s_load_dword s39, s[16:17], 0x0
	buffer_store_dword v6, off, s[44:47], 0 offset:316 ; 4-byte Folded Spill
	s_nop 0
	buffer_store_dword v7, off, s[44:47], 0 offset:320 ; 4-byte Folded Spill
	v_cmp_eq_u32_e32 vcc, 0, v9
	buffer_load_dword v9, off, s[44:47], 0  ; 4-byte Folded Reload
	s_sub_i32 s40, 1, s30
	s_lshl_b64 s[4:5], s[26:27], 2
	s_add_u32 s4, s24, s4
	v_lshlrev_b32_e32 v0, 2, v5
	s_addc_u32 s14, s25, s5
	s_mov_b32 s38, s13
	v_cmp_neq_f32_e64 s[2:3], s33, 0
	s_movk_i32 s41, 0x80
	s_movk_i32 s42, 0x7f
	v_bfrev_b32_e32 v63, 60
	buffer_store_dword v12, off, s[44:47], 0 offset:344 ; 4-byte Folded Spill
	s_waitcnt vmcnt(1)
	v_lshl_or_b32 v8, v9, 4, v5
	v_and_b32_e32 v5, 60, v12
	v_lshl_or_b32 v0, v9, 6, v0
	v_add_co_u32_e64 v61, s[4:5], s4, v5
	v_mov_b32_e32 v5, s14
	v_add_u32_e32 v0, 0x410, v0
	v_addc_co_u32_e64 v62, s[4:5], 0, v5, s[4:5]
	v_mov_b32_e32 v5, 0xff7fffff
	s_mov_b64 s[14:15], 0
	buffer_store_dword v5, off, s[44:47], 0 offset:64 ; 4-byte Folded Spill
	s_waitcnt lgkmcnt(0)
	buffer_store_dword v1, off, s[44:47], 0 offset:324 ; 4-byte Folded Spill
	s_nop 0
	buffer_store_dword v2, off, s[44:47], 0 offset:328 ; 4-byte Folded Spill
	buffer_store_dword v3, off, s[44:47], 0 offset:332 ; 4-byte Folded Spill
	;; [unrolled: 1-line block ×3, first 2 shown]
	s_branch .LBB197_10
.LBB197_9:                              ;   in Loop: Header=BB197_10 Depth=1
	s_or_b64 exec, exec, s[16:17]
	v_add_u32_e32 v9, 2, v9
	v_cmp_le_i32_e64 s[4:5], s21, v9
	s_or_b64 s[14:15], s[4:5], s[14:15]
	v_add_co_u32_e64 v61, s[4:5], 8, v61
	v_add_u32_e32 v8, 32, v8
	v_add_u32_e32 v0, 0x80, v0
	v_addc_co_u32_e64 v62, s[4:5], 0, v62, s[4:5]
	s_andn2_b64 exec, exec, s[14:15]
	s_cbranch_execz .LBB197_396
.LBB197_10:                             ; =>This Inner Loop Header: Depth=1
	global_load_dword v5, v[61:62], off
	s_waitcnt lgkmcnt(0)
	buffer_load_dword v6, off, s[44:47], 0 offset:316 ; 4-byte Folded Reload
	buffer_load_dword v7, off, s[44:47], 0 offset:320 ; 4-byte Folded Reload
	s_waitcnt vmcnt(0)
	v_mad_i64_i32 v[5:6], s[4:5], v5, s38, v[6:7]
	v_mov_b32_e32 v7, 0
	buffer_store_dword v7, off, s[44:47], 0 offset:8 ; 4-byte Folded Spill
	global_load_ubyte v10, v[5:6], off
	s_waitcnt vmcnt(0)
	v_cmp_ne_u16_e64 s[4:5], 0, v10
	s_and_saveexec_b64 s[16:17], s[4:5]
	s_cbranch_execz .LBB197_16
; %bb.11:                               ;   in Loop: Header=BB197_10 Depth=1
	v_cmp_ne_u16_e64 s[4:5], s41, v10
	v_bfrev_b32_e32 v7, 1
	buffer_store_dword v7, off, s[44:47], 0 offset:8 ; 4-byte Folded Spill
	s_and_saveexec_b64 s[34:35], s[4:5]
	s_cbranch_execz .LBB197_15
; %bb.12:                               ;   in Loop: Header=BB197_10 Depth=1
	v_and_b32_e32 v7, 0xffff, v10
	v_and_b32_e32 v11, 0x7f, v7
	v_cmp_ne_u32_e64 s[4:5], s42, v11
	v_mov_b32_e32 v12, 0x7f800001
	buffer_store_dword v12, off, s[44:47], 0 offset:8 ; 4-byte Folded Spill
	s_and_saveexec_b64 s[36:37], s[4:5]
	s_cbranch_execz .LBB197_14
; %bb.13:                               ;   in Loop: Header=BB197_10 Depth=1
	v_and_b32_e32 v13, 7, v7
	v_lshrrev_b32_e32 v14, 3, v11
	v_cmp_gt_u32_e64 s[4:5], 8, v11
	v_ffbh_u32_e32 v11, v13
	v_min_u32_e32 v15, 32, v11
	v_subrev_u32_e32 v11, 28, v15
	v_lshlrev_b64 v[11:12], v11, v[7:8]
	v_sub_u32_e32 v7, 29, v15
	v_and_b32_e32 v11, 7, v11
	v_cndmask_b32_e64 v7, v14, v7, s[4:5]
	v_cndmask_b32_e64 v11, v13, v11, s[4:5]
	v_lshlrev_b32_e32 v10, 24, v10
	v_lshlrev_b32_e32 v11, 20, v11
	v_and_b32_e32 v10, 0x80000000, v10
	v_lshl_add_u32 v7, v7, 23, v63
	v_or3_b32 v7, v10, v7, v11
	buffer_store_dword v7, off, s[44:47], 0 offset:8 ; 4-byte Folded Spill
.LBB197_14:                             ;   in Loop: Header=BB197_10 Depth=1
	s_or_b64 exec, exec, s[36:37]
.LBB197_15:                             ;   in Loop: Header=BB197_10 Depth=1
	s_or_b64 exec, exec, s[34:35]
.LBB197_16:                             ;   in Loop: Header=BB197_10 Depth=1
	s_or_b64 exec, exec, s[16:17]
	global_load_ubyte v10, v[5:6], off offset:4
	v_mov_b32_e32 v7, 0
	v_mov_b32_e32 v58, 0
	buffer_store_dword v7, off, s[44:47], 0 offset:4 ; 4-byte Folded Spill
	s_waitcnt vmcnt(1)
	v_cmp_ne_u16_e64 s[4:5], 0, v10
	s_and_saveexec_b64 s[16:17], s[4:5]
	s_cbranch_execz .LBB197_22
; %bb.17:                               ;   in Loop: Header=BB197_10 Depth=1
	v_cmp_ne_u16_e64 s[4:5], s41, v10
	v_bfrev_b32_e32 v58, 1
	s_and_saveexec_b64 s[34:35], s[4:5]
	s_cbranch_execz .LBB197_21
; %bb.18:                               ;   in Loop: Header=BB197_10 Depth=1
	v_and_b32_e32 v7, 0xffff, v10
	v_and_b32_e32 v11, 0x7f, v7
	v_cmp_ne_u32_e64 s[4:5], s42, v11
	v_mov_b32_e32 v58, 0x7f800001
	s_and_saveexec_b64 s[36:37], s[4:5]
	s_cbranch_execz .LBB197_20
; %bb.19:                               ;   in Loop: Header=BB197_10 Depth=1
	v_and_b32_e32 v13, 7, v7
	v_lshrrev_b32_e32 v14, 3, v11
	v_cmp_gt_u32_e64 s[4:5], 8, v11
	v_ffbh_u32_e32 v11, v13
	v_min_u32_e32 v15, 32, v11
	v_subrev_u32_e32 v11, 28, v15
	v_lshlrev_b64 v[11:12], v11, v[7:8]
	v_sub_u32_e32 v7, 29, v15
	v_and_b32_e32 v11, 7, v11
	v_cndmask_b32_e64 v7, v14, v7, s[4:5]
	v_cndmask_b32_e64 v11, v13, v11, s[4:5]
	v_lshlrev_b32_e32 v10, 24, v10
	v_lshlrev_b32_e32 v11, 20, v11
	v_and_b32_e32 v10, 0x80000000, v10
	v_lshl_add_u32 v7, v7, 23, v63
	v_or3_b32 v58, v10, v7, v11
.LBB197_20:                             ;   in Loop: Header=BB197_10 Depth=1
	s_or_b64 exec, exec, s[36:37]
.LBB197_21:                             ;   in Loop: Header=BB197_10 Depth=1
	s_or_b64 exec, exec, s[34:35]
.LBB197_22:                             ;   in Loop: Header=BB197_10 Depth=1
	s_or_b64 exec, exec, s[16:17]
	global_load_ubyte v10, v[5:6], off offset:8
	s_waitcnt vmcnt(0)
	v_cmp_ne_u16_e64 s[4:5], 0, v10
	s_and_saveexec_b64 s[16:17], s[4:5]
	s_cbranch_execz .LBB197_28
; %bb.23:                               ;   in Loop: Header=BB197_10 Depth=1
	v_cmp_ne_u16_e64 s[4:5], s41, v10
	v_bfrev_b32_e32 v7, 1
	buffer_store_dword v7, off, s[44:47], 0 offset:4 ; 4-byte Folded Spill
	s_and_saveexec_b64 s[34:35], s[4:5]
	s_cbranch_execz .LBB197_27
; %bb.24:                               ;   in Loop: Header=BB197_10 Depth=1
	v_and_b32_e32 v7, 0xffff, v10
	v_and_b32_e32 v11, 0x7f, v7
	v_cmp_ne_u32_e64 s[4:5], s42, v11
	v_mov_b32_e32 v12, 0x7f800001
	buffer_store_dword v12, off, s[44:47], 0 offset:4 ; 4-byte Folded Spill
	s_and_saveexec_b64 s[36:37], s[4:5]
	s_cbranch_execz .LBB197_26
; %bb.25:                               ;   in Loop: Header=BB197_10 Depth=1
	v_and_b32_e32 v13, 7, v7
	v_lshrrev_b32_e32 v14, 3, v11
	v_cmp_gt_u32_e64 s[4:5], 8, v11
	v_ffbh_u32_e32 v11, v13
	v_min_u32_e32 v15, 32, v11
	v_subrev_u32_e32 v11, 28, v15
	v_lshlrev_b64 v[11:12], v11, v[7:8]
	v_sub_u32_e32 v7, 29, v15
	v_and_b32_e32 v11, 7, v11
	v_cndmask_b32_e64 v7, v14, v7, s[4:5]
	v_cndmask_b32_e64 v11, v13, v11, s[4:5]
	v_lshlrev_b32_e32 v10, 24, v10
	v_lshlrev_b32_e32 v11, 20, v11
	v_and_b32_e32 v10, 0x80000000, v10
	v_lshl_add_u32 v7, v7, 23, v63
	v_or3_b32 v7, v10, v7, v11
	buffer_store_dword v7, off, s[44:47], 0 offset:4 ; 4-byte Folded Spill
.LBB197_26:                             ;   in Loop: Header=BB197_10 Depth=1
	s_or_b64 exec, exec, s[36:37]
.LBB197_27:                             ;   in Loop: Header=BB197_10 Depth=1
	s_or_b64 exec, exec, s[34:35]
.LBB197_28:                             ;   in Loop: Header=BB197_10 Depth=1
	s_or_b64 exec, exec, s[16:17]
	global_load_ubyte v10, v[5:6], off offset:12
	v_mov_b32_e32 v60, 0
	v_mov_b32_e32 v7, 0
	buffer_store_dword v7, off, s[44:47], 0 offset:12 ; 4-byte Folded Spill
	s_waitcnt vmcnt(1)
	v_cmp_ne_u16_e64 s[4:5], 0, v10
	s_and_saveexec_b64 s[16:17], s[4:5]
	s_cbranch_execz .LBB197_34
; %bb.29:                               ;   in Loop: Header=BB197_10 Depth=1
	v_cmp_ne_u16_e64 s[4:5], s41, v10
	v_bfrev_b32_e32 v7, 1
	buffer_store_dword v7, off, s[44:47], 0 offset:12 ; 4-byte Folded Spill
	s_and_saveexec_b64 s[34:35], s[4:5]
	s_cbranch_execz .LBB197_33
; %bb.30:                               ;   in Loop: Header=BB197_10 Depth=1
	v_and_b32_e32 v7, 0xffff, v10
	v_and_b32_e32 v11, 0x7f, v7
	v_cmp_ne_u32_e64 s[4:5], s42, v11
	v_mov_b32_e32 v12, 0x7f800001
	buffer_store_dword v12, off, s[44:47], 0 offset:12 ; 4-byte Folded Spill
	s_and_saveexec_b64 s[36:37], s[4:5]
	s_cbranch_execz .LBB197_32
; %bb.31:                               ;   in Loop: Header=BB197_10 Depth=1
	v_and_b32_e32 v13, 7, v7
	v_lshrrev_b32_e32 v14, 3, v11
	v_cmp_gt_u32_e64 s[4:5], 8, v11
	v_ffbh_u32_e32 v11, v13
	v_min_u32_e32 v15, 32, v11
	v_subrev_u32_e32 v11, 28, v15
	v_lshlrev_b64 v[11:12], v11, v[7:8]
	v_sub_u32_e32 v7, 29, v15
	v_and_b32_e32 v11, 7, v11
	v_cndmask_b32_e64 v7, v14, v7, s[4:5]
	v_cndmask_b32_e64 v11, v13, v11, s[4:5]
	v_lshlrev_b32_e32 v10, 24, v10
	v_lshlrev_b32_e32 v11, 20, v11
	v_and_b32_e32 v10, 0x80000000, v10
	v_lshl_add_u32 v7, v7, 23, v63
	v_or3_b32 v7, v10, v7, v11
	buffer_store_dword v7, off, s[44:47], 0 offset:12 ; 4-byte Folded Spill
.LBB197_32:                             ;   in Loop: Header=BB197_10 Depth=1
	s_or_b64 exec, exec, s[36:37]
.LBB197_33:                             ;   in Loop: Header=BB197_10 Depth=1
	s_or_b64 exec, exec, s[34:35]
.LBB197_34:                             ;   in Loop: Header=BB197_10 Depth=1
	s_or_b64 exec, exec, s[16:17]
	global_load_ubyte v10, v[5:6], off offset:256
	s_waitcnt vmcnt(0)
	v_cmp_ne_u16_e64 s[4:5], 0, v10
	s_and_saveexec_b64 s[16:17], s[4:5]
	s_cbranch_execz .LBB197_40
; %bb.35:                               ;   in Loop: Header=BB197_10 Depth=1
	v_cmp_ne_u16_e64 s[4:5], s41, v10
	v_bfrev_b32_e32 v60, 1
	s_and_saveexec_b64 s[34:35], s[4:5]
	s_cbranch_execz .LBB197_39
; %bb.36:                               ;   in Loop: Header=BB197_10 Depth=1
	v_and_b32_e32 v7, 0xffff, v10
	v_and_b32_e32 v11, 0x7f, v7
	v_cmp_ne_u32_e64 s[4:5], s42, v11
	v_mov_b32_e32 v60, 0x7f800001
	s_and_saveexec_b64 s[36:37], s[4:5]
	s_cbranch_execz .LBB197_38
; %bb.37:                               ;   in Loop: Header=BB197_10 Depth=1
	v_and_b32_e32 v13, 7, v7
	v_lshrrev_b32_e32 v14, 3, v11
	v_cmp_gt_u32_e64 s[4:5], 8, v11
	v_ffbh_u32_e32 v11, v13
	v_min_u32_e32 v15, 32, v11
	v_subrev_u32_e32 v11, 28, v15
	v_lshlrev_b64 v[11:12], v11, v[7:8]
	v_sub_u32_e32 v7, 29, v15
	v_and_b32_e32 v11, 7, v11
	v_cndmask_b32_e64 v7, v14, v7, s[4:5]
	v_cndmask_b32_e64 v11, v13, v11, s[4:5]
	v_lshlrev_b32_e32 v10, 24, v10
	v_lshlrev_b32_e32 v11, 20, v11
	v_and_b32_e32 v10, 0x80000000, v10
	v_lshl_add_u32 v7, v7, 23, v63
	v_or3_b32 v60, v10, v7, v11
.LBB197_38:                             ;   in Loop: Header=BB197_10 Depth=1
	s_or_b64 exec, exec, s[36:37]
.LBB197_39:                             ;   in Loop: Header=BB197_10 Depth=1
	s_or_b64 exec, exec, s[34:35]
.LBB197_40:                             ;   in Loop: Header=BB197_10 Depth=1
	s_or_b64 exec, exec, s[16:17]
	global_load_ubyte v10, v[5:6], off offset:260
	v_mov_b32_e32 v7, 0
	buffer_store_dword v7, off, s[44:47], 0 offset:16 ; 4-byte Folded Spill
	v_mov_b32_e32 v7, 0
	buffer_store_dword v7, off, s[44:47], 0 offset:20 ; 4-byte Folded Spill
	s_waitcnt vmcnt(2)
	v_cmp_ne_u16_e64 s[4:5], 0, v10
	s_and_saveexec_b64 s[16:17], s[4:5]
	s_cbranch_execz .LBB197_46
; %bb.41:                               ;   in Loop: Header=BB197_10 Depth=1
	v_cmp_ne_u16_e64 s[4:5], s41, v10
	v_bfrev_b32_e32 v7, 1
	buffer_store_dword v7, off, s[44:47], 0 offset:20 ; 4-byte Folded Spill
	s_and_saveexec_b64 s[34:35], s[4:5]
	s_cbranch_execz .LBB197_45
; %bb.42:                               ;   in Loop: Header=BB197_10 Depth=1
	v_and_b32_e32 v7, 0xffff, v10
	v_and_b32_e32 v11, 0x7f, v7
	v_cmp_ne_u32_e64 s[4:5], s42, v11
	v_mov_b32_e32 v12, 0x7f800001
	buffer_store_dword v12, off, s[44:47], 0 offset:20 ; 4-byte Folded Spill
	s_and_saveexec_b64 s[36:37], s[4:5]
	s_cbranch_execz .LBB197_44
; %bb.43:                               ;   in Loop: Header=BB197_10 Depth=1
	v_and_b32_e32 v13, 7, v7
	v_lshrrev_b32_e32 v14, 3, v11
	v_cmp_gt_u32_e64 s[4:5], 8, v11
	v_ffbh_u32_e32 v11, v13
	v_min_u32_e32 v15, 32, v11
	v_subrev_u32_e32 v11, 28, v15
	v_lshlrev_b64 v[11:12], v11, v[7:8]
	v_sub_u32_e32 v7, 29, v15
	v_and_b32_e32 v11, 7, v11
	v_cndmask_b32_e64 v7, v14, v7, s[4:5]
	v_cndmask_b32_e64 v11, v13, v11, s[4:5]
	v_lshlrev_b32_e32 v10, 24, v10
	v_lshlrev_b32_e32 v11, 20, v11
	v_and_b32_e32 v10, 0x80000000, v10
	v_lshl_add_u32 v7, v7, 23, v63
	v_or3_b32 v7, v10, v7, v11
	buffer_store_dword v7, off, s[44:47], 0 offset:20 ; 4-byte Folded Spill
.LBB197_44:                             ;   in Loop: Header=BB197_10 Depth=1
	s_or_b64 exec, exec, s[36:37]
.LBB197_45:                             ;   in Loop: Header=BB197_10 Depth=1
	s_or_b64 exec, exec, s[34:35]
.LBB197_46:                             ;   in Loop: Header=BB197_10 Depth=1
	s_or_b64 exec, exec, s[16:17]
	global_load_ubyte v10, v[5:6], off offset:264
	s_waitcnt vmcnt(0)
	v_cmp_ne_u16_e64 s[4:5], 0, v10
	s_and_saveexec_b64 s[16:17], s[4:5]
	s_cbranch_execz .LBB197_52
; %bb.47:                               ;   in Loop: Header=BB197_10 Depth=1
	v_cmp_ne_u16_e64 s[4:5], s41, v10
	v_bfrev_b32_e32 v7, 1
	buffer_store_dword v7, off, s[44:47], 0 offset:16 ; 4-byte Folded Spill
	s_and_saveexec_b64 s[34:35], s[4:5]
	s_cbranch_execz .LBB197_51
; %bb.48:                               ;   in Loop: Header=BB197_10 Depth=1
	v_and_b32_e32 v7, 0xffff, v10
	v_and_b32_e32 v11, 0x7f, v7
	v_cmp_ne_u32_e64 s[4:5], s42, v11
	v_mov_b32_e32 v12, 0x7f800001
	buffer_store_dword v12, off, s[44:47], 0 offset:16 ; 4-byte Folded Spill
	s_and_saveexec_b64 s[36:37], s[4:5]
	s_cbranch_execz .LBB197_50
; %bb.49:                               ;   in Loop: Header=BB197_10 Depth=1
	v_and_b32_e32 v13, 7, v7
	v_lshrrev_b32_e32 v14, 3, v11
	v_cmp_gt_u32_e64 s[4:5], 8, v11
	v_ffbh_u32_e32 v11, v13
	v_min_u32_e32 v15, 32, v11
	v_subrev_u32_e32 v11, 28, v15
	v_lshlrev_b64 v[11:12], v11, v[7:8]
	v_sub_u32_e32 v7, 29, v15
	v_and_b32_e32 v11, 7, v11
	v_cndmask_b32_e64 v7, v14, v7, s[4:5]
	v_cndmask_b32_e64 v11, v13, v11, s[4:5]
	v_lshlrev_b32_e32 v10, 24, v10
	v_lshlrev_b32_e32 v11, 20, v11
	v_and_b32_e32 v10, 0x80000000, v10
	v_lshl_add_u32 v7, v7, 23, v63
	v_or3_b32 v7, v10, v7, v11
	buffer_store_dword v7, off, s[44:47], 0 offset:16 ; 4-byte Folded Spill
.LBB197_50:                             ;   in Loop: Header=BB197_10 Depth=1
	s_or_b64 exec, exec, s[36:37]
.LBB197_51:                             ;   in Loop: Header=BB197_10 Depth=1
	s_or_b64 exec, exec, s[34:35]
.LBB197_52:                             ;   in Loop: Header=BB197_10 Depth=1
	s_or_b64 exec, exec, s[16:17]
	global_load_ubyte v10, v[5:6], off offset:268
	v_mov_b32_e32 v7, 0
	buffer_store_dword v7, off, s[44:47], 0 offset:24 ; 4-byte Folded Spill
	v_mov_b32_e32 v7, 0
	buffer_store_dword v7, off, s[44:47], 0 offset:28 ; 4-byte Folded Spill
	s_waitcnt vmcnt(2)
	v_cmp_ne_u16_e64 s[4:5], 0, v10
	s_and_saveexec_b64 s[16:17], s[4:5]
	s_cbranch_execz .LBB197_58
; %bb.53:                               ;   in Loop: Header=BB197_10 Depth=1
	v_cmp_ne_u16_e64 s[4:5], s41, v10
	v_bfrev_b32_e32 v7, 1
	buffer_store_dword v7, off, s[44:47], 0 offset:28 ; 4-byte Folded Spill
	s_and_saveexec_b64 s[34:35], s[4:5]
	s_cbranch_execz .LBB197_57
; %bb.54:                               ;   in Loop: Header=BB197_10 Depth=1
	v_and_b32_e32 v7, 0xffff, v10
	v_and_b32_e32 v11, 0x7f, v7
	v_cmp_ne_u32_e64 s[4:5], s42, v11
	v_mov_b32_e32 v12, 0x7f800001
	buffer_store_dword v12, off, s[44:47], 0 offset:28 ; 4-byte Folded Spill
	s_and_saveexec_b64 s[36:37], s[4:5]
	s_cbranch_execz .LBB197_56
; %bb.55:                               ;   in Loop: Header=BB197_10 Depth=1
	v_and_b32_e32 v13, 7, v7
	v_lshrrev_b32_e32 v14, 3, v11
	v_cmp_gt_u32_e64 s[4:5], 8, v11
	v_ffbh_u32_e32 v11, v13
	v_min_u32_e32 v15, 32, v11
	v_subrev_u32_e32 v11, 28, v15
	v_lshlrev_b64 v[11:12], v11, v[7:8]
	v_sub_u32_e32 v7, 29, v15
	v_and_b32_e32 v11, 7, v11
	v_cndmask_b32_e64 v7, v14, v7, s[4:5]
	v_cndmask_b32_e64 v11, v13, v11, s[4:5]
	v_lshlrev_b32_e32 v10, 24, v10
	v_lshlrev_b32_e32 v11, 20, v11
	v_and_b32_e32 v10, 0x80000000, v10
	v_lshl_add_u32 v7, v7, 23, v63
	v_or3_b32 v7, v10, v7, v11
	buffer_store_dword v7, off, s[44:47], 0 offset:28 ; 4-byte Folded Spill
.LBB197_56:                             ;   in Loop: Header=BB197_10 Depth=1
	s_or_b64 exec, exec, s[36:37]
.LBB197_57:                             ;   in Loop: Header=BB197_10 Depth=1
	s_or_b64 exec, exec, s[34:35]
.LBB197_58:                             ;   in Loop: Header=BB197_10 Depth=1
	s_or_b64 exec, exec, s[16:17]
	global_load_ubyte v10, v[5:6], off offset:512
	s_waitcnt vmcnt(0)
	v_cmp_ne_u16_e64 s[4:5], 0, v10
	s_and_saveexec_b64 s[16:17], s[4:5]
	s_cbranch_execz .LBB197_64
; %bb.59:                               ;   in Loop: Header=BB197_10 Depth=1
	v_cmp_ne_u16_e64 s[4:5], s41, v10
	v_bfrev_b32_e32 v7, 1
	buffer_store_dword v7, off, s[44:47], 0 offset:24 ; 4-byte Folded Spill
	s_and_saveexec_b64 s[34:35], s[4:5]
	s_cbranch_execz .LBB197_63
; %bb.60:                               ;   in Loop: Header=BB197_10 Depth=1
	v_and_b32_e32 v7, 0xffff, v10
	v_and_b32_e32 v11, 0x7f, v7
	v_cmp_ne_u32_e64 s[4:5], s42, v11
	v_mov_b32_e32 v12, 0x7f800001
	buffer_store_dword v12, off, s[44:47], 0 offset:24 ; 4-byte Folded Spill
	s_and_saveexec_b64 s[36:37], s[4:5]
	s_cbranch_execz .LBB197_62
; %bb.61:                               ;   in Loop: Header=BB197_10 Depth=1
	v_and_b32_e32 v13, 7, v7
	v_lshrrev_b32_e32 v14, 3, v11
	v_cmp_gt_u32_e64 s[4:5], 8, v11
	v_ffbh_u32_e32 v11, v13
	v_min_u32_e32 v15, 32, v11
	v_subrev_u32_e32 v11, 28, v15
	v_lshlrev_b64 v[11:12], v11, v[7:8]
	v_sub_u32_e32 v7, 29, v15
	v_and_b32_e32 v11, 7, v11
	v_cndmask_b32_e64 v7, v14, v7, s[4:5]
	v_cndmask_b32_e64 v11, v13, v11, s[4:5]
	v_lshlrev_b32_e32 v10, 24, v10
	v_lshlrev_b32_e32 v11, 20, v11
	v_and_b32_e32 v10, 0x80000000, v10
	v_lshl_add_u32 v7, v7, 23, v63
	v_or3_b32 v7, v10, v7, v11
	buffer_store_dword v7, off, s[44:47], 0 offset:24 ; 4-byte Folded Spill
.LBB197_62:                             ;   in Loop: Header=BB197_10 Depth=1
	s_or_b64 exec, exec, s[36:37]
.LBB197_63:                             ;   in Loop: Header=BB197_10 Depth=1
	s_or_b64 exec, exec, s[34:35]
.LBB197_64:                             ;   in Loop: Header=BB197_10 Depth=1
	s_or_b64 exec, exec, s[16:17]
	global_load_ubyte v10, v[5:6], off offset:516
	v_mov_b32_e32 v7, 0
	buffer_store_dword v7, off, s[44:47], 0 offset:32 ; 4-byte Folded Spill
	v_mov_b32_e32 v7, 0
	buffer_store_dword v7, off, s[44:47], 0 offset:36 ; 4-byte Folded Spill
	s_waitcnt vmcnt(2)
	v_cmp_ne_u16_e64 s[4:5], 0, v10
	s_and_saveexec_b64 s[16:17], s[4:5]
	s_cbranch_execz .LBB197_70
; %bb.65:                               ;   in Loop: Header=BB197_10 Depth=1
	v_cmp_ne_u16_e64 s[4:5], s41, v10
	v_bfrev_b32_e32 v7, 1
	buffer_store_dword v7, off, s[44:47], 0 offset:36 ; 4-byte Folded Spill
	s_and_saveexec_b64 s[34:35], s[4:5]
	s_cbranch_execz .LBB197_69
; %bb.66:                               ;   in Loop: Header=BB197_10 Depth=1
	v_and_b32_e32 v7, 0xffff, v10
	v_and_b32_e32 v11, 0x7f, v7
	v_cmp_ne_u32_e64 s[4:5], s42, v11
	v_mov_b32_e32 v12, 0x7f800001
	buffer_store_dword v12, off, s[44:47], 0 offset:36 ; 4-byte Folded Spill
	s_and_saveexec_b64 s[36:37], s[4:5]
	s_cbranch_execz .LBB197_68
; %bb.67:                               ;   in Loop: Header=BB197_10 Depth=1
	v_and_b32_e32 v13, 7, v7
	v_lshrrev_b32_e32 v14, 3, v11
	v_cmp_gt_u32_e64 s[4:5], 8, v11
	v_ffbh_u32_e32 v11, v13
	v_min_u32_e32 v15, 32, v11
	v_subrev_u32_e32 v11, 28, v15
	v_lshlrev_b64 v[11:12], v11, v[7:8]
	v_sub_u32_e32 v7, 29, v15
	v_and_b32_e32 v11, 7, v11
	v_cndmask_b32_e64 v7, v14, v7, s[4:5]
	v_cndmask_b32_e64 v11, v13, v11, s[4:5]
	v_lshlrev_b32_e32 v10, 24, v10
	v_lshlrev_b32_e32 v11, 20, v11
	v_and_b32_e32 v10, 0x80000000, v10
	v_lshl_add_u32 v7, v7, 23, v63
	v_or3_b32 v7, v10, v7, v11
	buffer_store_dword v7, off, s[44:47], 0 offset:36 ; 4-byte Folded Spill
.LBB197_68:                             ;   in Loop: Header=BB197_10 Depth=1
	s_or_b64 exec, exec, s[36:37]
.LBB197_69:                             ;   in Loop: Header=BB197_10 Depth=1
	s_or_b64 exec, exec, s[34:35]
.LBB197_70:                             ;   in Loop: Header=BB197_10 Depth=1
	s_or_b64 exec, exec, s[16:17]
	global_load_ubyte v10, v[5:6], off offset:520
	s_waitcnt vmcnt(0)
	v_cmp_ne_u16_e64 s[4:5], 0, v10
	s_and_saveexec_b64 s[16:17], s[4:5]
	s_cbranch_execz .LBB197_76
; %bb.71:                               ;   in Loop: Header=BB197_10 Depth=1
	v_cmp_ne_u16_e64 s[4:5], s41, v10
	v_bfrev_b32_e32 v7, 1
	buffer_store_dword v7, off, s[44:47], 0 offset:32 ; 4-byte Folded Spill
	s_and_saveexec_b64 s[34:35], s[4:5]
	s_cbranch_execz .LBB197_75
; %bb.72:                               ;   in Loop: Header=BB197_10 Depth=1
	v_and_b32_e32 v7, 0xffff, v10
	v_and_b32_e32 v11, 0x7f, v7
	v_cmp_ne_u32_e64 s[4:5], s42, v11
	v_mov_b32_e32 v12, 0x7f800001
	buffer_store_dword v12, off, s[44:47], 0 offset:32 ; 4-byte Folded Spill
	s_and_saveexec_b64 s[36:37], s[4:5]
	s_cbranch_execz .LBB197_74
; %bb.73:                               ;   in Loop: Header=BB197_10 Depth=1
	v_and_b32_e32 v13, 7, v7
	v_lshrrev_b32_e32 v14, 3, v11
	v_cmp_gt_u32_e64 s[4:5], 8, v11
	v_ffbh_u32_e32 v11, v13
	v_min_u32_e32 v15, 32, v11
	v_subrev_u32_e32 v11, 28, v15
	v_lshlrev_b64 v[11:12], v11, v[7:8]
	v_sub_u32_e32 v7, 29, v15
	v_and_b32_e32 v11, 7, v11
	v_cndmask_b32_e64 v7, v14, v7, s[4:5]
	v_cndmask_b32_e64 v11, v13, v11, s[4:5]
	v_lshlrev_b32_e32 v10, 24, v10
	v_lshlrev_b32_e32 v11, 20, v11
	v_and_b32_e32 v10, 0x80000000, v10
	v_lshl_add_u32 v7, v7, 23, v63
	v_or3_b32 v7, v10, v7, v11
	buffer_store_dword v7, off, s[44:47], 0 offset:32 ; 4-byte Folded Spill
.LBB197_74:                             ;   in Loop: Header=BB197_10 Depth=1
	s_or_b64 exec, exec, s[36:37]
.LBB197_75:                             ;   in Loop: Header=BB197_10 Depth=1
	s_or_b64 exec, exec, s[34:35]
.LBB197_76:                             ;   in Loop: Header=BB197_10 Depth=1
	s_or_b64 exec, exec, s[16:17]
	global_load_ubyte v10, v[5:6], off offset:524
	v_mov_b32_e32 v7, 0
	buffer_store_dword v7, off, s[44:47], 0 offset:40 ; 4-byte Folded Spill
	v_mov_b32_e32 v7, 0
	buffer_store_dword v7, off, s[44:47], 0 offset:44 ; 4-byte Folded Spill
	s_waitcnt vmcnt(2)
	v_cmp_ne_u16_e64 s[4:5], 0, v10
	s_and_saveexec_b64 s[16:17], s[4:5]
	s_cbranch_execz .LBB197_82
; %bb.77:                               ;   in Loop: Header=BB197_10 Depth=1
	v_cmp_ne_u16_e64 s[4:5], s41, v10
	v_bfrev_b32_e32 v7, 1
	buffer_store_dword v7, off, s[44:47], 0 offset:44 ; 4-byte Folded Spill
	s_and_saveexec_b64 s[34:35], s[4:5]
	s_cbranch_execz .LBB197_81
; %bb.78:                               ;   in Loop: Header=BB197_10 Depth=1
	v_and_b32_e32 v7, 0xffff, v10
	v_and_b32_e32 v11, 0x7f, v7
	v_cmp_ne_u32_e64 s[4:5], s42, v11
	v_mov_b32_e32 v12, 0x7f800001
	buffer_store_dword v12, off, s[44:47], 0 offset:44 ; 4-byte Folded Spill
	s_and_saveexec_b64 s[36:37], s[4:5]
	s_cbranch_execz .LBB197_80
; %bb.79:                               ;   in Loop: Header=BB197_10 Depth=1
	v_and_b32_e32 v13, 7, v7
	v_lshrrev_b32_e32 v14, 3, v11
	v_cmp_gt_u32_e64 s[4:5], 8, v11
	v_ffbh_u32_e32 v11, v13
	v_min_u32_e32 v15, 32, v11
	v_subrev_u32_e32 v11, 28, v15
	v_lshlrev_b64 v[11:12], v11, v[7:8]
	v_sub_u32_e32 v7, 29, v15
	v_and_b32_e32 v11, 7, v11
	v_cndmask_b32_e64 v7, v14, v7, s[4:5]
	v_cndmask_b32_e64 v11, v13, v11, s[4:5]
	v_lshlrev_b32_e32 v10, 24, v10
	v_lshlrev_b32_e32 v11, 20, v11
	v_and_b32_e32 v10, 0x80000000, v10
	v_lshl_add_u32 v7, v7, 23, v63
	v_or3_b32 v7, v10, v7, v11
	buffer_store_dword v7, off, s[44:47], 0 offset:44 ; 4-byte Folded Spill
.LBB197_80:                             ;   in Loop: Header=BB197_10 Depth=1
	s_or_b64 exec, exec, s[36:37]
.LBB197_81:                             ;   in Loop: Header=BB197_10 Depth=1
	s_or_b64 exec, exec, s[34:35]
.LBB197_82:                             ;   in Loop: Header=BB197_10 Depth=1
	s_or_b64 exec, exec, s[16:17]
	global_load_ubyte v10, v[5:6], off offset:768
	s_waitcnt vmcnt(0)
	v_cmp_ne_u16_e64 s[4:5], 0, v10
	s_and_saveexec_b64 s[16:17], s[4:5]
	s_cbranch_execz .LBB197_88
; %bb.83:                               ;   in Loop: Header=BB197_10 Depth=1
	v_cmp_ne_u16_e64 s[4:5], s41, v10
	v_bfrev_b32_e32 v7, 1
	buffer_store_dword v7, off, s[44:47], 0 offset:40 ; 4-byte Folded Spill
	s_and_saveexec_b64 s[34:35], s[4:5]
	s_cbranch_execz .LBB197_87
; %bb.84:                               ;   in Loop: Header=BB197_10 Depth=1
	v_and_b32_e32 v7, 0xffff, v10
	v_and_b32_e32 v11, 0x7f, v7
	v_cmp_ne_u32_e64 s[4:5], s42, v11
	v_mov_b32_e32 v12, 0x7f800001
	buffer_store_dword v12, off, s[44:47], 0 offset:40 ; 4-byte Folded Spill
	s_and_saveexec_b64 s[36:37], s[4:5]
	s_cbranch_execz .LBB197_86
; %bb.85:                               ;   in Loop: Header=BB197_10 Depth=1
	v_and_b32_e32 v13, 7, v7
	v_lshrrev_b32_e32 v14, 3, v11
	v_cmp_gt_u32_e64 s[4:5], 8, v11
	v_ffbh_u32_e32 v11, v13
	v_min_u32_e32 v15, 32, v11
	v_subrev_u32_e32 v11, 28, v15
	v_lshlrev_b64 v[11:12], v11, v[7:8]
	v_sub_u32_e32 v7, 29, v15
	v_and_b32_e32 v11, 7, v11
	v_cndmask_b32_e64 v7, v14, v7, s[4:5]
	v_cndmask_b32_e64 v11, v13, v11, s[4:5]
	v_lshlrev_b32_e32 v10, 24, v10
	v_lshlrev_b32_e32 v11, 20, v11
	v_and_b32_e32 v10, 0x80000000, v10
	v_lshl_add_u32 v7, v7, 23, v63
	v_or3_b32 v7, v10, v7, v11
	buffer_store_dword v7, off, s[44:47], 0 offset:40 ; 4-byte Folded Spill
.LBB197_86:                             ;   in Loop: Header=BB197_10 Depth=1
	s_or_b64 exec, exec, s[36:37]
.LBB197_87:                             ;   in Loop: Header=BB197_10 Depth=1
	s_or_b64 exec, exec, s[34:35]
.LBB197_88:                             ;   in Loop: Header=BB197_10 Depth=1
	s_or_b64 exec, exec, s[16:17]
	global_load_ubyte v10, v[5:6], off offset:772
	v_mov_b32_e32 v7, 0
	buffer_store_dword v7, off, s[44:47], 0 offset:48 ; 4-byte Folded Spill
	v_mov_b32_e32 v7, 0
	buffer_store_dword v7, off, s[44:47], 0 offset:52 ; 4-byte Folded Spill
	s_waitcnt vmcnt(2)
	v_cmp_ne_u16_e64 s[4:5], 0, v10
	s_and_saveexec_b64 s[16:17], s[4:5]
	s_cbranch_execz .LBB197_94
; %bb.89:                               ;   in Loop: Header=BB197_10 Depth=1
	v_cmp_ne_u16_e64 s[4:5], s41, v10
	v_bfrev_b32_e32 v7, 1
	buffer_store_dword v7, off, s[44:47], 0 offset:52 ; 4-byte Folded Spill
	s_and_saveexec_b64 s[34:35], s[4:5]
	s_cbranch_execz .LBB197_93
; %bb.90:                               ;   in Loop: Header=BB197_10 Depth=1
	v_and_b32_e32 v7, 0xffff, v10
	v_and_b32_e32 v11, 0x7f, v7
	v_cmp_ne_u32_e64 s[4:5], s42, v11
	v_mov_b32_e32 v12, 0x7f800001
	buffer_store_dword v12, off, s[44:47], 0 offset:52 ; 4-byte Folded Spill
	s_and_saveexec_b64 s[36:37], s[4:5]
	s_cbranch_execz .LBB197_92
; %bb.91:                               ;   in Loop: Header=BB197_10 Depth=1
	v_and_b32_e32 v13, 7, v7
	v_lshrrev_b32_e32 v14, 3, v11
	v_cmp_gt_u32_e64 s[4:5], 8, v11
	v_ffbh_u32_e32 v11, v13
	v_min_u32_e32 v15, 32, v11
	v_subrev_u32_e32 v11, 28, v15
	v_lshlrev_b64 v[11:12], v11, v[7:8]
	v_sub_u32_e32 v7, 29, v15
	v_and_b32_e32 v11, 7, v11
	v_cndmask_b32_e64 v7, v14, v7, s[4:5]
	v_cndmask_b32_e64 v11, v13, v11, s[4:5]
	v_lshlrev_b32_e32 v10, 24, v10
	v_lshlrev_b32_e32 v11, 20, v11
	v_and_b32_e32 v10, 0x80000000, v10
	v_lshl_add_u32 v7, v7, 23, v63
	v_or3_b32 v7, v10, v7, v11
	buffer_store_dword v7, off, s[44:47], 0 offset:52 ; 4-byte Folded Spill
.LBB197_92:                             ;   in Loop: Header=BB197_10 Depth=1
	s_or_b64 exec, exec, s[36:37]
.LBB197_93:                             ;   in Loop: Header=BB197_10 Depth=1
	s_or_b64 exec, exec, s[34:35]
.LBB197_94:                             ;   in Loop: Header=BB197_10 Depth=1
	s_or_b64 exec, exec, s[16:17]
	global_load_ubyte v10, v[5:6], off offset:776
	s_waitcnt vmcnt(0)
	v_cmp_ne_u16_e64 s[4:5], 0, v10
	s_and_saveexec_b64 s[16:17], s[4:5]
	s_cbranch_execz .LBB197_100
; %bb.95:                               ;   in Loop: Header=BB197_10 Depth=1
	v_cmp_ne_u16_e64 s[4:5], s41, v10
	v_bfrev_b32_e32 v7, 1
	buffer_store_dword v7, off, s[44:47], 0 offset:48 ; 4-byte Folded Spill
	s_and_saveexec_b64 s[34:35], s[4:5]
	s_cbranch_execz .LBB197_99
; %bb.96:                               ;   in Loop: Header=BB197_10 Depth=1
	v_and_b32_e32 v7, 0xffff, v10
	v_and_b32_e32 v11, 0x7f, v7
	v_cmp_ne_u32_e64 s[4:5], s42, v11
	v_mov_b32_e32 v12, 0x7f800001
	buffer_store_dword v12, off, s[44:47], 0 offset:48 ; 4-byte Folded Spill
	s_and_saveexec_b64 s[36:37], s[4:5]
	s_cbranch_execz .LBB197_98
; %bb.97:                               ;   in Loop: Header=BB197_10 Depth=1
	v_and_b32_e32 v13, 7, v7
	v_lshrrev_b32_e32 v14, 3, v11
	v_cmp_gt_u32_e64 s[4:5], 8, v11
	v_ffbh_u32_e32 v11, v13
	v_min_u32_e32 v15, 32, v11
	v_subrev_u32_e32 v11, 28, v15
	v_lshlrev_b64 v[11:12], v11, v[7:8]
	v_sub_u32_e32 v7, 29, v15
	v_and_b32_e32 v11, 7, v11
	v_cndmask_b32_e64 v7, v14, v7, s[4:5]
	v_cndmask_b32_e64 v11, v13, v11, s[4:5]
	v_lshlrev_b32_e32 v10, 24, v10
	v_lshlrev_b32_e32 v11, 20, v11
	v_and_b32_e32 v10, 0x80000000, v10
	v_lshl_add_u32 v7, v7, 23, v63
	v_or3_b32 v7, v10, v7, v11
	buffer_store_dword v7, off, s[44:47], 0 offset:48 ; 4-byte Folded Spill
.LBB197_98:                             ;   in Loop: Header=BB197_10 Depth=1
	s_or_b64 exec, exec, s[36:37]
.LBB197_99:                             ;   in Loop: Header=BB197_10 Depth=1
	s_or_b64 exec, exec, s[34:35]
.LBB197_100:                            ;   in Loop: Header=BB197_10 Depth=1
	s_or_b64 exec, exec, s[16:17]
	global_load_ubyte v10, v[5:6], off offset:780
	v_mov_b32_e32 v7, 0
	buffer_store_dword v7, off, s[44:47], 0 offset:56 ; 4-byte Folded Spill
	v_mov_b32_e32 v7, 0
	buffer_store_dword v7, off, s[44:47], 0 offset:60 ; 4-byte Folded Spill
	s_waitcnt vmcnt(2)
	v_cmp_ne_u16_e64 s[4:5], 0, v10
	s_and_saveexec_b64 s[16:17], s[4:5]
	s_cbranch_execz .LBB197_106
; %bb.101:                              ;   in Loop: Header=BB197_10 Depth=1
	v_cmp_ne_u16_e64 s[4:5], s41, v10
	v_bfrev_b32_e32 v7, 1
	buffer_store_dword v7, off, s[44:47], 0 offset:60 ; 4-byte Folded Spill
	s_and_saveexec_b64 s[34:35], s[4:5]
	s_cbranch_execz .LBB197_105
; %bb.102:                              ;   in Loop: Header=BB197_10 Depth=1
	v_and_b32_e32 v7, 0xffff, v10
	v_and_b32_e32 v11, 0x7f, v7
	v_cmp_ne_u32_e64 s[4:5], s42, v11
	v_mov_b32_e32 v12, 0x7f800001
	buffer_store_dword v12, off, s[44:47], 0 offset:60 ; 4-byte Folded Spill
	s_and_saveexec_b64 s[36:37], s[4:5]
	s_cbranch_execz .LBB197_104
; %bb.103:                              ;   in Loop: Header=BB197_10 Depth=1
	v_and_b32_e32 v13, 7, v7
	v_lshrrev_b32_e32 v14, 3, v11
	v_cmp_gt_u32_e64 s[4:5], 8, v11
	v_ffbh_u32_e32 v11, v13
	v_min_u32_e32 v15, 32, v11
	v_subrev_u32_e32 v11, 28, v15
	v_lshlrev_b64 v[11:12], v11, v[7:8]
	v_sub_u32_e32 v7, 29, v15
	v_and_b32_e32 v11, 7, v11
	v_cndmask_b32_e64 v7, v14, v7, s[4:5]
	v_cndmask_b32_e64 v11, v13, v11, s[4:5]
	v_lshlrev_b32_e32 v10, 24, v10
	v_lshlrev_b32_e32 v11, 20, v11
	v_and_b32_e32 v10, 0x80000000, v10
	v_lshl_add_u32 v7, v7, 23, v63
	v_or3_b32 v7, v10, v7, v11
	buffer_store_dword v7, off, s[44:47], 0 offset:60 ; 4-byte Folded Spill
.LBB197_104:                            ;   in Loop: Header=BB197_10 Depth=1
	s_or_b64 exec, exec, s[36:37]
.LBB197_105:                            ;   in Loop: Header=BB197_10 Depth=1
	s_or_b64 exec, exec, s[34:35]
.LBB197_106:                            ;   in Loop: Header=BB197_10 Depth=1
	s_or_b64 exec, exec, s[16:17]
	global_load_ubyte v10, v[5:6], off offset:1024
	s_waitcnt vmcnt(0)
	v_cmp_ne_u16_e64 s[4:5], 0, v10
	s_and_saveexec_b64 s[16:17], s[4:5]
	s_cbranch_execz .LBB197_112
; %bb.107:                              ;   in Loop: Header=BB197_10 Depth=1
	v_cmp_ne_u16_e64 s[4:5], s41, v10
	v_bfrev_b32_e32 v7, 1
	buffer_store_dword v7, off, s[44:47], 0 offset:56 ; 4-byte Folded Spill
	s_and_saveexec_b64 s[34:35], s[4:5]
	s_cbranch_execz .LBB197_111
; %bb.108:                              ;   in Loop: Header=BB197_10 Depth=1
	v_and_b32_e32 v7, 0xffff, v10
	v_and_b32_e32 v11, 0x7f, v7
	v_cmp_ne_u32_e64 s[4:5], s42, v11
	v_mov_b32_e32 v12, 0x7f800001
	buffer_store_dword v12, off, s[44:47], 0 offset:56 ; 4-byte Folded Spill
	s_and_saveexec_b64 s[36:37], s[4:5]
	s_cbranch_execz .LBB197_110
; %bb.109:                              ;   in Loop: Header=BB197_10 Depth=1
	v_and_b32_e32 v13, 7, v7
	v_lshrrev_b32_e32 v14, 3, v11
	v_cmp_gt_u32_e64 s[4:5], 8, v11
	v_ffbh_u32_e32 v11, v13
	v_min_u32_e32 v15, 32, v11
	v_subrev_u32_e32 v11, 28, v15
	v_lshlrev_b64 v[11:12], v11, v[7:8]
	v_sub_u32_e32 v7, 29, v15
	v_and_b32_e32 v11, 7, v11
	v_cndmask_b32_e64 v7, v14, v7, s[4:5]
	v_cndmask_b32_e64 v11, v13, v11, s[4:5]
	v_lshlrev_b32_e32 v10, 24, v10
	v_lshlrev_b32_e32 v11, 20, v11
	v_and_b32_e32 v10, 0x80000000, v10
	v_lshl_add_u32 v7, v7, 23, v63
	v_or3_b32 v7, v10, v7, v11
	buffer_store_dword v7, off, s[44:47], 0 offset:56 ; 4-byte Folded Spill
.LBB197_110:                            ;   in Loop: Header=BB197_10 Depth=1
	s_or_b64 exec, exec, s[36:37]
.LBB197_111:                            ;   in Loop: Header=BB197_10 Depth=1
	s_or_b64 exec, exec, s[34:35]
.LBB197_112:                            ;   in Loop: Header=BB197_10 Depth=1
	s_or_b64 exec, exec, s[16:17]
	global_load_ubyte v10, v[5:6], off offset:1028
	v_mov_b32_e32 v12, 0
	v_mov_b32_e32 v13, 0
	s_waitcnt vmcnt(0)
	v_cmp_ne_u16_e64 s[4:5], 0, v10
	s_and_saveexec_b64 s[16:17], s[4:5]
	s_cbranch_execz .LBB197_118
; %bb.113:                              ;   in Loop: Header=BB197_10 Depth=1
	v_cmp_ne_u16_e64 s[4:5], s41, v10
	v_bfrev_b32_e32 v13, 1
	s_and_saveexec_b64 s[34:35], s[4:5]
	s_cbranch_execz .LBB197_117
; %bb.114:                              ;   in Loop: Header=BB197_10 Depth=1
	v_and_b32_e32 v7, 0xffff, v10
	v_and_b32_e32 v11, 0x7f, v7
	v_cmp_ne_u32_e64 s[4:5], s42, v11
	v_mov_b32_e32 v13, 0x7f800001
	s_and_saveexec_b64 s[36:37], s[4:5]
	s_cbranch_execz .LBB197_116
; %bb.115:                              ;   in Loop: Header=BB197_10 Depth=1
	v_and_b32_e32 v15, 7, v7
	v_lshrrev_b32_e32 v16, 3, v11
	v_cmp_gt_u32_e64 s[4:5], 8, v11
	v_ffbh_u32_e32 v11, v15
	v_min_u32_e32 v11, 32, v11
	v_subrev_u32_e32 v13, 28, v11
	v_lshlrev_b64 v[13:14], v13, v[7:8]
	v_sub_u32_e32 v7, 29, v11
	v_and_b32_e32 v11, 7, v13
	v_cndmask_b32_e64 v7, v16, v7, s[4:5]
	v_cndmask_b32_e64 v11, v15, v11, s[4:5]
	v_lshlrev_b32_e32 v10, 24, v10
	v_lshlrev_b32_e32 v11, 20, v11
	v_and_b32_e32 v10, 0x80000000, v10
	v_lshl_add_u32 v7, v7, 23, v63
	v_or3_b32 v13, v10, v7, v11
.LBB197_116:                            ;   in Loop: Header=BB197_10 Depth=1
	s_or_b64 exec, exec, s[36:37]
.LBB197_117:                            ;   in Loop: Header=BB197_10 Depth=1
	s_or_b64 exec, exec, s[34:35]
.LBB197_118:                            ;   in Loop: Header=BB197_10 Depth=1
	s_or_b64 exec, exec, s[16:17]
	global_load_ubyte v10, v[5:6], off offset:1032
	s_waitcnt vmcnt(0)
	v_cmp_ne_u16_e64 s[4:5], 0, v10
	s_and_saveexec_b64 s[16:17], s[4:5]
	s_cbranch_execz .LBB197_124
; %bb.119:                              ;   in Loop: Header=BB197_10 Depth=1
	v_cmp_ne_u16_e64 s[4:5], s41, v10
	v_bfrev_b32_e32 v12, 1
	s_and_saveexec_b64 s[34:35], s[4:5]
	s_cbranch_execz .LBB197_123
; %bb.120:                              ;   in Loop: Header=BB197_10 Depth=1
	v_and_b32_e32 v7, 0xffff, v10
	v_and_b32_e32 v11, 0x7f, v7
	v_cmp_ne_u32_e64 s[4:5], s42, v11
	v_mov_b32_e32 v12, 0x7f800001
	s_and_saveexec_b64 s[36:37], s[4:5]
	s_cbranch_execz .LBB197_122
; %bb.121:                              ;   in Loop: Header=BB197_10 Depth=1
	v_and_b32_e32 v14, 7, v7
	v_lshrrev_b32_e32 v15, 3, v11
	v_cmp_gt_u32_e64 s[4:5], 8, v11
	v_ffbh_u32_e32 v11, v14
	v_min_u32_e32 v16, 32, v11
	v_subrev_u32_e32 v11, 28, v16
	v_lshlrev_b64 v[11:12], v11, v[7:8]
	v_sub_u32_e32 v7, 29, v16
	v_and_b32_e32 v11, 7, v11
	v_cndmask_b32_e64 v7, v15, v7, s[4:5]
	v_cndmask_b32_e64 v11, v14, v11, s[4:5]
	v_lshlrev_b32_e32 v10, 24, v10
	v_lshlrev_b32_e32 v11, 20, v11
	v_and_b32_e32 v10, 0x80000000, v10
	v_lshl_add_u32 v7, v7, 23, v63
	v_or3_b32 v12, v10, v7, v11
.LBB197_122:                            ;   in Loop: Header=BB197_10 Depth=1
	s_or_b64 exec, exec, s[36:37]
.LBB197_123:                            ;   in Loop: Header=BB197_10 Depth=1
	s_or_b64 exec, exec, s[34:35]
.LBB197_124:                            ;   in Loop: Header=BB197_10 Depth=1
	s_or_b64 exec, exec, s[16:17]
	global_load_ubyte v10, v[5:6], off offset:1036
	v_mov_b32_e32 v14, 0
	v_mov_b32_e32 v15, 0
	s_waitcnt vmcnt(0)
	v_cmp_ne_u16_e64 s[4:5], 0, v10
	s_and_saveexec_b64 s[16:17], s[4:5]
	s_cbranch_execz .LBB197_130
; %bb.125:                              ;   in Loop: Header=BB197_10 Depth=1
	v_cmp_ne_u16_e64 s[4:5], s41, v10
	v_bfrev_b32_e32 v15, 1
	s_and_saveexec_b64 s[34:35], s[4:5]
	s_cbranch_execz .LBB197_129
; %bb.126:                              ;   in Loop: Header=BB197_10 Depth=1
	v_and_b32_e32 v7, 0xffff, v10
	v_and_b32_e32 v11, 0x7f, v7
	v_cmp_ne_u32_e64 s[4:5], s42, v11
	v_mov_b32_e32 v15, 0x7f800001
	s_and_saveexec_b64 s[36:37], s[4:5]
	s_cbranch_execz .LBB197_128
; %bb.127:                              ;   in Loop: Header=BB197_10 Depth=1
	v_and_b32_e32 v17, 7, v7
	v_lshrrev_b32_e32 v18, 3, v11
	v_cmp_gt_u32_e64 s[4:5], 8, v11
	v_ffbh_u32_e32 v11, v17
	v_min_u32_e32 v11, 32, v11
	v_subrev_u32_e32 v15, 28, v11
	v_lshlrev_b64 v[15:16], v15, v[7:8]
	v_sub_u32_e32 v7, 29, v11
	v_and_b32_e32 v11, 7, v15
	v_cndmask_b32_e64 v7, v18, v7, s[4:5]
	v_cndmask_b32_e64 v11, v17, v11, s[4:5]
	v_lshlrev_b32_e32 v10, 24, v10
	v_lshlrev_b32_e32 v11, 20, v11
	v_and_b32_e32 v10, 0x80000000, v10
	v_lshl_add_u32 v7, v7, 23, v63
	v_or3_b32 v15, v10, v7, v11
.LBB197_128:                            ;   in Loop: Header=BB197_10 Depth=1
	s_or_b64 exec, exec, s[36:37]
.LBB197_129:                            ;   in Loop: Header=BB197_10 Depth=1
	s_or_b64 exec, exec, s[34:35]
.LBB197_130:                            ;   in Loop: Header=BB197_10 Depth=1
	s_or_b64 exec, exec, s[16:17]
	global_load_ubyte v10, v[5:6], off offset:1280
	s_waitcnt vmcnt(0)
	v_cmp_ne_u16_e64 s[4:5], 0, v10
	s_and_saveexec_b64 s[16:17], s[4:5]
	s_cbranch_execz .LBB197_136
; %bb.131:                              ;   in Loop: Header=BB197_10 Depth=1
	v_cmp_ne_u16_e64 s[4:5], s41, v10
	v_bfrev_b32_e32 v14, 1
	s_and_saveexec_b64 s[34:35], s[4:5]
	s_cbranch_execz .LBB197_135
; %bb.132:                              ;   in Loop: Header=BB197_10 Depth=1
	v_and_b32_e32 v7, 0xffff, v10
	v_and_b32_e32 v11, 0x7f, v7
	v_cmp_ne_u32_e64 s[4:5], s42, v11
	v_mov_b32_e32 v14, 0x7f800001
	s_and_saveexec_b64 s[36:37], s[4:5]
	s_cbranch_execz .LBB197_134
; %bb.133:                              ;   in Loop: Header=BB197_10 Depth=1
	v_and_b32_e32 v14, 7, v7
	v_lshrrev_b32_e32 v18, 3, v11
	v_cmp_gt_u32_e64 s[4:5], 8, v11
	v_ffbh_u32_e32 v11, v14
	v_min_u32_e32 v11, 32, v11
	v_subrev_u32_e32 v16, 28, v11
	v_lshlrev_b64 v[16:17], v16, v[7:8]
	v_sub_u32_e32 v7, 29, v11
	v_and_b32_e32 v11, 7, v16
	v_cndmask_b32_e64 v7, v18, v7, s[4:5]
	v_cndmask_b32_e64 v11, v14, v11, s[4:5]
	v_lshlrev_b32_e32 v10, 24, v10
	v_lshlrev_b32_e32 v11, 20, v11
	v_and_b32_e32 v10, 0x80000000, v10
	v_lshl_add_u32 v7, v7, 23, v63
	v_or3_b32 v14, v10, v7, v11
.LBB197_134:                            ;   in Loop: Header=BB197_10 Depth=1
	s_or_b64 exec, exec, s[36:37]
.LBB197_135:                            ;   in Loop: Header=BB197_10 Depth=1
	s_or_b64 exec, exec, s[34:35]
.LBB197_136:                            ;   in Loop: Header=BB197_10 Depth=1
	s_or_b64 exec, exec, s[16:17]
	global_load_ubyte v10, v[5:6], off offset:1284
	v_mov_b32_e32 v16, 0
	v_mov_b32_e32 v17, 0
	s_waitcnt vmcnt(0)
	v_cmp_ne_u16_e64 s[4:5], 0, v10
	s_and_saveexec_b64 s[16:17], s[4:5]
	s_cbranch_execz .LBB197_142
; %bb.137:                              ;   in Loop: Header=BB197_10 Depth=1
	v_cmp_ne_u16_e64 s[4:5], s41, v10
	v_bfrev_b32_e32 v17, 1
	s_and_saveexec_b64 s[34:35], s[4:5]
	s_cbranch_execz .LBB197_141
; %bb.138:                              ;   in Loop: Header=BB197_10 Depth=1
	v_and_b32_e32 v7, 0xffff, v10
	v_and_b32_e32 v11, 0x7f, v7
	v_cmp_ne_u32_e64 s[4:5], s42, v11
	v_mov_b32_e32 v17, 0x7f800001
	s_and_saveexec_b64 s[36:37], s[4:5]
	s_cbranch_execz .LBB197_140
; %bb.139:                              ;   in Loop: Header=BB197_10 Depth=1
	v_and_b32_e32 v19, 7, v7
	v_lshrrev_b32_e32 v20, 3, v11
	v_cmp_gt_u32_e64 s[4:5], 8, v11
	v_ffbh_u32_e32 v11, v19
	v_min_u32_e32 v11, 32, v11
	v_subrev_u32_e32 v17, 28, v11
	v_lshlrev_b64 v[17:18], v17, v[7:8]
	v_sub_u32_e32 v7, 29, v11
	v_and_b32_e32 v11, 7, v17
	v_cndmask_b32_e64 v7, v20, v7, s[4:5]
	v_cndmask_b32_e64 v11, v19, v11, s[4:5]
	v_lshlrev_b32_e32 v10, 24, v10
	v_lshlrev_b32_e32 v11, 20, v11
	v_and_b32_e32 v10, 0x80000000, v10
	v_lshl_add_u32 v7, v7, 23, v63
	v_or3_b32 v17, v10, v7, v11
.LBB197_140:                            ;   in Loop: Header=BB197_10 Depth=1
	s_or_b64 exec, exec, s[36:37]
.LBB197_141:                            ;   in Loop: Header=BB197_10 Depth=1
	s_or_b64 exec, exec, s[34:35]
.LBB197_142:                            ;   in Loop: Header=BB197_10 Depth=1
	s_or_b64 exec, exec, s[16:17]
	global_load_ubyte v10, v[5:6], off offset:1288
	s_waitcnt vmcnt(0)
	v_cmp_ne_u16_e64 s[4:5], 0, v10
	s_and_saveexec_b64 s[16:17], s[4:5]
	s_cbranch_execz .LBB197_148
; %bb.143:                              ;   in Loop: Header=BB197_10 Depth=1
	v_cmp_ne_u16_e64 s[4:5], s41, v10
	v_bfrev_b32_e32 v16, 1
	s_and_saveexec_b64 s[34:35], s[4:5]
	s_cbranch_execz .LBB197_147
; %bb.144:                              ;   in Loop: Header=BB197_10 Depth=1
	v_and_b32_e32 v7, 0xffff, v10
	v_and_b32_e32 v11, 0x7f, v7
	v_cmp_ne_u32_e64 s[4:5], s42, v11
	v_mov_b32_e32 v16, 0x7f800001
	s_and_saveexec_b64 s[36:37], s[4:5]
	s_cbranch_execz .LBB197_146
; %bb.145:                              ;   in Loop: Header=BB197_10 Depth=1
	v_and_b32_e32 v16, 7, v7
	v_lshrrev_b32_e32 v20, 3, v11
	v_cmp_gt_u32_e64 s[4:5], 8, v11
	v_ffbh_u32_e32 v11, v16
	v_min_u32_e32 v11, 32, v11
	v_subrev_u32_e32 v18, 28, v11
	v_lshlrev_b64 v[18:19], v18, v[7:8]
	v_sub_u32_e32 v7, 29, v11
	v_and_b32_e32 v11, 7, v18
	v_cndmask_b32_e64 v7, v20, v7, s[4:5]
	v_cndmask_b32_e64 v11, v16, v11, s[4:5]
	v_lshlrev_b32_e32 v10, 24, v10
	v_lshlrev_b32_e32 v11, 20, v11
	v_and_b32_e32 v10, 0x80000000, v10
	v_lshl_add_u32 v7, v7, 23, v63
	v_or3_b32 v16, v10, v7, v11
.LBB197_146:                            ;   in Loop: Header=BB197_10 Depth=1
	s_or_b64 exec, exec, s[36:37]
.LBB197_147:                            ;   in Loop: Header=BB197_10 Depth=1
	s_or_b64 exec, exec, s[34:35]
.LBB197_148:                            ;   in Loop: Header=BB197_10 Depth=1
	s_or_b64 exec, exec, s[16:17]
	global_load_ubyte v10, v[5:6], off offset:1292
	v_mov_b32_e32 v18, 0
	v_mov_b32_e32 v19, 0
	s_waitcnt vmcnt(0)
	v_cmp_ne_u16_e64 s[4:5], 0, v10
	s_and_saveexec_b64 s[16:17], s[4:5]
	s_cbranch_execz .LBB197_154
; %bb.149:                              ;   in Loop: Header=BB197_10 Depth=1
	v_cmp_ne_u16_e64 s[4:5], s41, v10
	v_bfrev_b32_e32 v19, 1
	s_and_saveexec_b64 s[34:35], s[4:5]
	s_cbranch_execz .LBB197_153
; %bb.150:                              ;   in Loop: Header=BB197_10 Depth=1
	v_and_b32_e32 v7, 0xffff, v10
	v_and_b32_e32 v11, 0x7f, v7
	v_cmp_ne_u32_e64 s[4:5], s42, v11
	v_mov_b32_e32 v19, 0x7f800001
	s_and_saveexec_b64 s[36:37], s[4:5]
	s_cbranch_execz .LBB197_152
; %bb.151:                              ;   in Loop: Header=BB197_10 Depth=1
	v_and_b32_e32 v21, 7, v7
	v_lshrrev_b32_e32 v22, 3, v11
	v_cmp_gt_u32_e64 s[4:5], 8, v11
	v_ffbh_u32_e32 v11, v21
	v_min_u32_e32 v11, 32, v11
	v_subrev_u32_e32 v19, 28, v11
	v_lshlrev_b64 v[19:20], v19, v[7:8]
	v_sub_u32_e32 v7, 29, v11
	v_and_b32_e32 v11, 7, v19
	v_cndmask_b32_e64 v7, v22, v7, s[4:5]
	v_cndmask_b32_e64 v11, v21, v11, s[4:5]
	v_lshlrev_b32_e32 v10, 24, v10
	v_lshlrev_b32_e32 v11, 20, v11
	v_and_b32_e32 v10, 0x80000000, v10
	v_lshl_add_u32 v7, v7, 23, v63
	v_or3_b32 v19, v10, v7, v11
.LBB197_152:                            ;   in Loop: Header=BB197_10 Depth=1
	s_or_b64 exec, exec, s[36:37]
.LBB197_153:                            ;   in Loop: Header=BB197_10 Depth=1
	s_or_b64 exec, exec, s[34:35]
.LBB197_154:                            ;   in Loop: Header=BB197_10 Depth=1
	s_or_b64 exec, exec, s[16:17]
	global_load_ubyte v10, v[5:6], off offset:1536
	s_waitcnt vmcnt(0)
	v_cmp_ne_u16_e64 s[4:5], 0, v10
	s_and_saveexec_b64 s[16:17], s[4:5]
	s_cbranch_execz .LBB197_160
; %bb.155:                              ;   in Loop: Header=BB197_10 Depth=1
	v_cmp_ne_u16_e64 s[4:5], s41, v10
	v_bfrev_b32_e32 v18, 1
	s_and_saveexec_b64 s[34:35], s[4:5]
	s_cbranch_execz .LBB197_159
; %bb.156:                              ;   in Loop: Header=BB197_10 Depth=1
	v_and_b32_e32 v7, 0xffff, v10
	v_and_b32_e32 v11, 0x7f, v7
	v_cmp_ne_u32_e64 s[4:5], s42, v11
	v_mov_b32_e32 v18, 0x7f800001
	s_and_saveexec_b64 s[36:37], s[4:5]
	s_cbranch_execz .LBB197_158
; %bb.157:                              ;   in Loop: Header=BB197_10 Depth=1
	v_and_b32_e32 v18, 7, v7
	v_lshrrev_b32_e32 v22, 3, v11
	v_cmp_gt_u32_e64 s[4:5], 8, v11
	v_ffbh_u32_e32 v11, v18
	v_min_u32_e32 v11, 32, v11
	v_subrev_u32_e32 v20, 28, v11
	v_lshlrev_b64 v[20:21], v20, v[7:8]
	v_sub_u32_e32 v7, 29, v11
	v_and_b32_e32 v11, 7, v20
	v_cndmask_b32_e64 v7, v22, v7, s[4:5]
	v_cndmask_b32_e64 v11, v18, v11, s[4:5]
	v_lshlrev_b32_e32 v10, 24, v10
	v_lshlrev_b32_e32 v11, 20, v11
	v_and_b32_e32 v10, 0x80000000, v10
	v_lshl_add_u32 v7, v7, 23, v63
	v_or3_b32 v18, v10, v7, v11
.LBB197_158:                            ;   in Loop: Header=BB197_10 Depth=1
	s_or_b64 exec, exec, s[36:37]
.LBB197_159:                            ;   in Loop: Header=BB197_10 Depth=1
	s_or_b64 exec, exec, s[34:35]
.LBB197_160:                            ;   in Loop: Header=BB197_10 Depth=1
	s_or_b64 exec, exec, s[16:17]
	global_load_ubyte v10, v[5:6], off offset:1540
	v_mov_b32_e32 v20, 0
	v_mov_b32_e32 v21, 0
	s_waitcnt vmcnt(0)
	v_cmp_ne_u16_e64 s[4:5], 0, v10
	s_and_saveexec_b64 s[16:17], s[4:5]
	s_cbranch_execz .LBB197_166
; %bb.161:                              ;   in Loop: Header=BB197_10 Depth=1
	v_cmp_ne_u16_e64 s[4:5], s41, v10
	v_bfrev_b32_e32 v21, 1
	s_and_saveexec_b64 s[34:35], s[4:5]
	s_cbranch_execz .LBB197_165
; %bb.162:                              ;   in Loop: Header=BB197_10 Depth=1
	v_and_b32_e32 v7, 0xffff, v10
	v_and_b32_e32 v11, 0x7f, v7
	v_cmp_ne_u32_e64 s[4:5], s42, v11
	v_mov_b32_e32 v21, 0x7f800001
	s_and_saveexec_b64 s[36:37], s[4:5]
	s_cbranch_execz .LBB197_164
; %bb.163:                              ;   in Loop: Header=BB197_10 Depth=1
	v_and_b32_e32 v23, 7, v7
	v_lshrrev_b32_e32 v24, 3, v11
	v_cmp_gt_u32_e64 s[4:5], 8, v11
	v_ffbh_u32_e32 v11, v23
	v_min_u32_e32 v11, 32, v11
	v_subrev_u32_e32 v21, 28, v11
	v_lshlrev_b64 v[21:22], v21, v[7:8]
	v_sub_u32_e32 v7, 29, v11
	v_and_b32_e32 v11, 7, v21
	v_cndmask_b32_e64 v7, v24, v7, s[4:5]
	v_cndmask_b32_e64 v11, v23, v11, s[4:5]
	v_lshlrev_b32_e32 v10, 24, v10
	v_lshlrev_b32_e32 v11, 20, v11
	v_and_b32_e32 v10, 0x80000000, v10
	v_lshl_add_u32 v7, v7, 23, v63
	v_or3_b32 v21, v10, v7, v11
.LBB197_164:                            ;   in Loop: Header=BB197_10 Depth=1
	s_or_b64 exec, exec, s[36:37]
.LBB197_165:                            ;   in Loop: Header=BB197_10 Depth=1
	s_or_b64 exec, exec, s[34:35]
.LBB197_166:                            ;   in Loop: Header=BB197_10 Depth=1
	s_or_b64 exec, exec, s[16:17]
	global_load_ubyte v10, v[5:6], off offset:1544
	s_waitcnt vmcnt(0)
	v_cmp_ne_u16_e64 s[4:5], 0, v10
	s_and_saveexec_b64 s[16:17], s[4:5]
	s_cbranch_execz .LBB197_172
; %bb.167:                              ;   in Loop: Header=BB197_10 Depth=1
	v_cmp_ne_u16_e64 s[4:5], s41, v10
	v_bfrev_b32_e32 v20, 1
	s_and_saveexec_b64 s[34:35], s[4:5]
	s_cbranch_execz .LBB197_171
; %bb.168:                              ;   in Loop: Header=BB197_10 Depth=1
	v_and_b32_e32 v7, 0xffff, v10
	v_and_b32_e32 v11, 0x7f, v7
	v_cmp_ne_u32_e64 s[4:5], s42, v11
	v_mov_b32_e32 v20, 0x7f800001
	s_and_saveexec_b64 s[36:37], s[4:5]
	s_cbranch_execz .LBB197_170
; %bb.169:                              ;   in Loop: Header=BB197_10 Depth=1
	v_and_b32_e32 v20, 7, v7
	v_lshrrev_b32_e32 v24, 3, v11
	v_cmp_gt_u32_e64 s[4:5], 8, v11
	v_ffbh_u32_e32 v11, v20
	v_min_u32_e32 v11, 32, v11
	v_subrev_u32_e32 v22, 28, v11
	v_lshlrev_b64 v[22:23], v22, v[7:8]
	v_sub_u32_e32 v7, 29, v11
	v_and_b32_e32 v11, 7, v22
	v_cndmask_b32_e64 v7, v24, v7, s[4:5]
	v_cndmask_b32_e64 v11, v20, v11, s[4:5]
	v_lshlrev_b32_e32 v10, 24, v10
	v_lshlrev_b32_e32 v11, 20, v11
	v_and_b32_e32 v10, 0x80000000, v10
	v_lshl_add_u32 v7, v7, 23, v63
	v_or3_b32 v20, v10, v7, v11
.LBB197_170:                            ;   in Loop: Header=BB197_10 Depth=1
	s_or_b64 exec, exec, s[36:37]
.LBB197_171:                            ;   in Loop: Header=BB197_10 Depth=1
	s_or_b64 exec, exec, s[34:35]
.LBB197_172:                            ;   in Loop: Header=BB197_10 Depth=1
	s_or_b64 exec, exec, s[16:17]
	global_load_ubyte v10, v[5:6], off offset:1548
	v_mov_b32_e32 v22, 0
	v_mov_b32_e32 v23, 0
	s_waitcnt vmcnt(0)
	v_cmp_ne_u16_e64 s[4:5], 0, v10
	s_and_saveexec_b64 s[16:17], s[4:5]
	s_cbranch_execz .LBB197_178
; %bb.173:                              ;   in Loop: Header=BB197_10 Depth=1
	v_cmp_ne_u16_e64 s[4:5], s41, v10
	v_bfrev_b32_e32 v23, 1
	s_and_saveexec_b64 s[34:35], s[4:5]
	s_cbranch_execz .LBB197_177
; %bb.174:                              ;   in Loop: Header=BB197_10 Depth=1
	v_and_b32_e32 v7, 0xffff, v10
	v_and_b32_e32 v11, 0x7f, v7
	v_cmp_ne_u32_e64 s[4:5], s42, v11
	v_mov_b32_e32 v23, 0x7f800001
	s_and_saveexec_b64 s[36:37], s[4:5]
	s_cbranch_execz .LBB197_176
; %bb.175:                              ;   in Loop: Header=BB197_10 Depth=1
	v_and_b32_e32 v25, 7, v7
	v_lshrrev_b32_e32 v26, 3, v11
	v_cmp_gt_u32_e64 s[4:5], 8, v11
	v_ffbh_u32_e32 v11, v25
	v_min_u32_e32 v11, 32, v11
	v_subrev_u32_e32 v23, 28, v11
	v_lshlrev_b64 v[23:24], v23, v[7:8]
	v_sub_u32_e32 v7, 29, v11
	v_and_b32_e32 v11, 7, v23
	v_cndmask_b32_e64 v7, v26, v7, s[4:5]
	v_cndmask_b32_e64 v11, v25, v11, s[4:5]
	v_lshlrev_b32_e32 v10, 24, v10
	v_lshlrev_b32_e32 v11, 20, v11
	v_and_b32_e32 v10, 0x80000000, v10
	v_lshl_add_u32 v7, v7, 23, v63
	v_or3_b32 v23, v10, v7, v11
.LBB197_176:                            ;   in Loop: Header=BB197_10 Depth=1
	s_or_b64 exec, exec, s[36:37]
.LBB197_177:                            ;   in Loop: Header=BB197_10 Depth=1
	s_or_b64 exec, exec, s[34:35]
.LBB197_178:                            ;   in Loop: Header=BB197_10 Depth=1
	s_or_b64 exec, exec, s[16:17]
	global_load_ubyte v10, v[5:6], off offset:1792
	s_waitcnt vmcnt(0)
	v_cmp_ne_u16_e64 s[4:5], 0, v10
	s_and_saveexec_b64 s[16:17], s[4:5]
	s_cbranch_execz .LBB197_184
; %bb.179:                              ;   in Loop: Header=BB197_10 Depth=1
	v_cmp_ne_u16_e64 s[4:5], s41, v10
	v_bfrev_b32_e32 v22, 1
	s_and_saveexec_b64 s[34:35], s[4:5]
	s_cbranch_execz .LBB197_183
; %bb.180:                              ;   in Loop: Header=BB197_10 Depth=1
	v_and_b32_e32 v7, 0xffff, v10
	v_and_b32_e32 v11, 0x7f, v7
	v_cmp_ne_u32_e64 s[4:5], s42, v11
	v_mov_b32_e32 v22, 0x7f800001
	s_and_saveexec_b64 s[36:37], s[4:5]
	s_cbranch_execz .LBB197_182
; %bb.181:                              ;   in Loop: Header=BB197_10 Depth=1
	v_and_b32_e32 v22, 7, v7
	v_lshrrev_b32_e32 v26, 3, v11
	v_cmp_gt_u32_e64 s[4:5], 8, v11
	v_ffbh_u32_e32 v11, v22
	v_min_u32_e32 v11, 32, v11
	v_subrev_u32_e32 v24, 28, v11
	v_lshlrev_b64 v[24:25], v24, v[7:8]
	v_sub_u32_e32 v7, 29, v11
	v_and_b32_e32 v11, 7, v24
	v_cndmask_b32_e64 v7, v26, v7, s[4:5]
	v_cndmask_b32_e64 v11, v22, v11, s[4:5]
	v_lshlrev_b32_e32 v10, 24, v10
	v_lshlrev_b32_e32 v11, 20, v11
	v_and_b32_e32 v10, 0x80000000, v10
	v_lshl_add_u32 v7, v7, 23, v63
	v_or3_b32 v22, v10, v7, v11
.LBB197_182:                            ;   in Loop: Header=BB197_10 Depth=1
	s_or_b64 exec, exec, s[36:37]
.LBB197_183:                            ;   in Loop: Header=BB197_10 Depth=1
	s_or_b64 exec, exec, s[34:35]
.LBB197_184:                            ;   in Loop: Header=BB197_10 Depth=1
	s_or_b64 exec, exec, s[16:17]
	global_load_ubyte v10, v[5:6], off offset:1796
	v_mov_b32_e32 v24, 0
	v_mov_b32_e32 v25, 0
	s_waitcnt vmcnt(0)
	v_cmp_ne_u16_e64 s[4:5], 0, v10
	s_and_saveexec_b64 s[16:17], s[4:5]
	s_cbranch_execz .LBB197_190
; %bb.185:                              ;   in Loop: Header=BB197_10 Depth=1
	v_cmp_ne_u16_e64 s[4:5], s41, v10
	v_bfrev_b32_e32 v25, 1
	s_and_saveexec_b64 s[34:35], s[4:5]
	s_cbranch_execz .LBB197_189
; %bb.186:                              ;   in Loop: Header=BB197_10 Depth=1
	v_and_b32_e32 v7, 0xffff, v10
	v_and_b32_e32 v11, 0x7f, v7
	v_cmp_ne_u32_e64 s[4:5], s42, v11
	v_mov_b32_e32 v25, 0x7f800001
	s_and_saveexec_b64 s[36:37], s[4:5]
	s_cbranch_execz .LBB197_188
; %bb.187:                              ;   in Loop: Header=BB197_10 Depth=1
	v_and_b32_e32 v27, 7, v7
	v_lshrrev_b32_e32 v28, 3, v11
	v_cmp_gt_u32_e64 s[4:5], 8, v11
	v_ffbh_u32_e32 v11, v27
	v_min_u32_e32 v11, 32, v11
	v_subrev_u32_e32 v25, 28, v11
	v_lshlrev_b64 v[25:26], v25, v[7:8]
	v_sub_u32_e32 v7, 29, v11
	v_and_b32_e32 v11, 7, v25
	v_cndmask_b32_e64 v7, v28, v7, s[4:5]
	v_cndmask_b32_e64 v11, v27, v11, s[4:5]
	v_lshlrev_b32_e32 v10, 24, v10
	v_lshlrev_b32_e32 v11, 20, v11
	v_and_b32_e32 v10, 0x80000000, v10
	v_lshl_add_u32 v7, v7, 23, v63
	v_or3_b32 v25, v10, v7, v11
.LBB197_188:                            ;   in Loop: Header=BB197_10 Depth=1
	s_or_b64 exec, exec, s[36:37]
.LBB197_189:                            ;   in Loop: Header=BB197_10 Depth=1
	s_or_b64 exec, exec, s[34:35]
.LBB197_190:                            ;   in Loop: Header=BB197_10 Depth=1
	s_or_b64 exec, exec, s[16:17]
	global_load_ubyte v10, v[5:6], off offset:1800
	s_waitcnt vmcnt(0)
	v_cmp_ne_u16_e64 s[4:5], 0, v10
	s_and_saveexec_b64 s[16:17], s[4:5]
	s_cbranch_execz .LBB197_196
; %bb.191:                              ;   in Loop: Header=BB197_10 Depth=1
	v_cmp_ne_u16_e64 s[4:5], s41, v10
	v_bfrev_b32_e32 v24, 1
	s_and_saveexec_b64 s[34:35], s[4:5]
	s_cbranch_execz .LBB197_195
; %bb.192:                              ;   in Loop: Header=BB197_10 Depth=1
	v_and_b32_e32 v7, 0xffff, v10
	v_and_b32_e32 v11, 0x7f, v7
	v_cmp_ne_u32_e64 s[4:5], s42, v11
	v_mov_b32_e32 v24, 0x7f800001
	s_and_saveexec_b64 s[36:37], s[4:5]
	s_cbranch_execz .LBB197_194
; %bb.193:                              ;   in Loop: Header=BB197_10 Depth=1
	v_and_b32_e32 v24, 7, v7
	v_lshrrev_b32_e32 v28, 3, v11
	v_cmp_gt_u32_e64 s[4:5], 8, v11
	v_ffbh_u32_e32 v11, v24
	v_min_u32_e32 v11, 32, v11
	v_subrev_u32_e32 v26, 28, v11
	v_lshlrev_b64 v[26:27], v26, v[7:8]
	v_sub_u32_e32 v7, 29, v11
	v_and_b32_e32 v11, 7, v26
	v_cndmask_b32_e64 v7, v28, v7, s[4:5]
	v_cndmask_b32_e64 v11, v24, v11, s[4:5]
	v_lshlrev_b32_e32 v10, 24, v10
	v_lshlrev_b32_e32 v11, 20, v11
	v_and_b32_e32 v10, 0x80000000, v10
	v_lshl_add_u32 v7, v7, 23, v63
	v_or3_b32 v24, v10, v7, v11
.LBB197_194:                            ;   in Loop: Header=BB197_10 Depth=1
	s_or_b64 exec, exec, s[36:37]
.LBB197_195:                            ;   in Loop: Header=BB197_10 Depth=1
	s_or_b64 exec, exec, s[34:35]
.LBB197_196:                            ;   in Loop: Header=BB197_10 Depth=1
	s_or_b64 exec, exec, s[16:17]
	global_load_ubyte v10, v[5:6], off offset:1804
	v_mov_b32_e32 v26, 0
	v_mov_b32_e32 v27, 0
	s_waitcnt vmcnt(0)
	v_cmp_ne_u16_e64 s[4:5], 0, v10
	s_and_saveexec_b64 s[16:17], s[4:5]
	s_cbranch_execz .LBB197_202
; %bb.197:                              ;   in Loop: Header=BB197_10 Depth=1
	v_cmp_ne_u16_e64 s[4:5], s41, v10
	v_bfrev_b32_e32 v27, 1
	s_and_saveexec_b64 s[34:35], s[4:5]
	s_cbranch_execz .LBB197_201
; %bb.198:                              ;   in Loop: Header=BB197_10 Depth=1
	v_and_b32_e32 v7, 0xffff, v10
	v_and_b32_e32 v11, 0x7f, v7
	v_cmp_ne_u32_e64 s[4:5], s42, v11
	v_mov_b32_e32 v27, 0x7f800001
	s_and_saveexec_b64 s[36:37], s[4:5]
	s_cbranch_execz .LBB197_200
; %bb.199:                              ;   in Loop: Header=BB197_10 Depth=1
	v_and_b32_e32 v29, 7, v7
	v_lshrrev_b32_e32 v30, 3, v11
	v_cmp_gt_u32_e64 s[4:5], 8, v11
	v_ffbh_u32_e32 v11, v29
	v_min_u32_e32 v11, 32, v11
	v_subrev_u32_e32 v27, 28, v11
	v_lshlrev_b64 v[27:28], v27, v[7:8]
	v_sub_u32_e32 v7, 29, v11
	v_and_b32_e32 v11, 7, v27
	v_cndmask_b32_e64 v7, v30, v7, s[4:5]
	v_cndmask_b32_e64 v11, v29, v11, s[4:5]
	v_lshlrev_b32_e32 v10, 24, v10
	v_lshlrev_b32_e32 v11, 20, v11
	v_and_b32_e32 v10, 0x80000000, v10
	v_lshl_add_u32 v7, v7, 23, v63
	v_or3_b32 v27, v10, v7, v11
.LBB197_200:                            ;   in Loop: Header=BB197_10 Depth=1
	s_or_b64 exec, exec, s[36:37]
.LBB197_201:                            ;   in Loop: Header=BB197_10 Depth=1
	s_or_b64 exec, exec, s[34:35]
.LBB197_202:                            ;   in Loop: Header=BB197_10 Depth=1
	s_or_b64 exec, exec, s[16:17]
	global_load_ubyte v10, v[5:6], off offset:2048
	s_waitcnt vmcnt(0)
	v_cmp_ne_u16_e64 s[4:5], 0, v10
	s_and_saveexec_b64 s[16:17], s[4:5]
	s_cbranch_execz .LBB197_208
; %bb.203:                              ;   in Loop: Header=BB197_10 Depth=1
	v_cmp_ne_u16_e64 s[4:5], s41, v10
	v_bfrev_b32_e32 v26, 1
	s_and_saveexec_b64 s[34:35], s[4:5]
	s_cbranch_execz .LBB197_207
; %bb.204:                              ;   in Loop: Header=BB197_10 Depth=1
	v_and_b32_e32 v7, 0xffff, v10
	v_and_b32_e32 v11, 0x7f, v7
	v_cmp_ne_u32_e64 s[4:5], s42, v11
	v_mov_b32_e32 v26, 0x7f800001
	s_and_saveexec_b64 s[36:37], s[4:5]
	s_cbranch_execz .LBB197_206
; %bb.205:                              ;   in Loop: Header=BB197_10 Depth=1
	v_and_b32_e32 v26, 7, v7
	v_lshrrev_b32_e32 v30, 3, v11
	v_cmp_gt_u32_e64 s[4:5], 8, v11
	v_ffbh_u32_e32 v11, v26
	v_min_u32_e32 v11, 32, v11
	v_subrev_u32_e32 v28, 28, v11
	v_lshlrev_b64 v[28:29], v28, v[7:8]
	v_sub_u32_e32 v7, 29, v11
	v_and_b32_e32 v11, 7, v28
	v_cndmask_b32_e64 v7, v30, v7, s[4:5]
	v_cndmask_b32_e64 v11, v26, v11, s[4:5]
	v_lshlrev_b32_e32 v10, 24, v10
	v_lshlrev_b32_e32 v11, 20, v11
	v_and_b32_e32 v10, 0x80000000, v10
	v_lshl_add_u32 v7, v7, 23, v63
	v_or3_b32 v26, v10, v7, v11
.LBB197_206:                            ;   in Loop: Header=BB197_10 Depth=1
	s_or_b64 exec, exec, s[36:37]
.LBB197_207:                            ;   in Loop: Header=BB197_10 Depth=1
	s_or_b64 exec, exec, s[34:35]
.LBB197_208:                            ;   in Loop: Header=BB197_10 Depth=1
	s_or_b64 exec, exec, s[16:17]
	global_load_ubyte v10, v[5:6], off offset:2052
	v_mov_b32_e32 v28, 0
	v_mov_b32_e32 v29, 0
	s_waitcnt vmcnt(0)
	v_cmp_ne_u16_e64 s[4:5], 0, v10
	s_and_saveexec_b64 s[16:17], s[4:5]
	s_cbranch_execz .LBB197_214
; %bb.209:                              ;   in Loop: Header=BB197_10 Depth=1
	v_cmp_ne_u16_e64 s[4:5], s41, v10
	v_bfrev_b32_e32 v29, 1
	s_and_saveexec_b64 s[34:35], s[4:5]
	s_cbranch_execz .LBB197_213
; %bb.210:                              ;   in Loop: Header=BB197_10 Depth=1
	v_and_b32_e32 v7, 0xffff, v10
	v_and_b32_e32 v11, 0x7f, v7
	v_cmp_ne_u32_e64 s[4:5], s42, v11
	v_mov_b32_e32 v29, 0x7f800001
	s_and_saveexec_b64 s[36:37], s[4:5]
	s_cbranch_execz .LBB197_212
; %bb.211:                              ;   in Loop: Header=BB197_10 Depth=1
	v_and_b32_e32 v31, 7, v7
	v_lshrrev_b32_e32 v32, 3, v11
	v_cmp_gt_u32_e64 s[4:5], 8, v11
	v_ffbh_u32_e32 v11, v31
	v_min_u32_e32 v11, 32, v11
	v_subrev_u32_e32 v29, 28, v11
	v_lshlrev_b64 v[29:30], v29, v[7:8]
	v_sub_u32_e32 v7, 29, v11
	v_and_b32_e32 v11, 7, v29
	v_cndmask_b32_e64 v7, v32, v7, s[4:5]
	v_cndmask_b32_e64 v11, v31, v11, s[4:5]
	v_lshlrev_b32_e32 v10, 24, v10
	v_lshlrev_b32_e32 v11, 20, v11
	v_and_b32_e32 v10, 0x80000000, v10
	v_lshl_add_u32 v7, v7, 23, v63
	v_or3_b32 v29, v10, v7, v11
.LBB197_212:                            ;   in Loop: Header=BB197_10 Depth=1
	s_or_b64 exec, exec, s[36:37]
.LBB197_213:                            ;   in Loop: Header=BB197_10 Depth=1
	s_or_b64 exec, exec, s[34:35]
.LBB197_214:                            ;   in Loop: Header=BB197_10 Depth=1
	s_or_b64 exec, exec, s[16:17]
	global_load_ubyte v10, v[5:6], off offset:2056
	s_waitcnt vmcnt(0)
	v_cmp_ne_u16_e64 s[4:5], 0, v10
	s_and_saveexec_b64 s[16:17], s[4:5]
	s_cbranch_execz .LBB197_220
; %bb.215:                              ;   in Loop: Header=BB197_10 Depth=1
	v_cmp_ne_u16_e64 s[4:5], s41, v10
	v_bfrev_b32_e32 v28, 1
	s_and_saveexec_b64 s[34:35], s[4:5]
	s_cbranch_execz .LBB197_219
; %bb.216:                              ;   in Loop: Header=BB197_10 Depth=1
	v_and_b32_e32 v7, 0xffff, v10
	v_and_b32_e32 v11, 0x7f, v7
	v_cmp_ne_u32_e64 s[4:5], s42, v11
	v_mov_b32_e32 v28, 0x7f800001
	s_and_saveexec_b64 s[36:37], s[4:5]
	s_cbranch_execz .LBB197_218
; %bb.217:                              ;   in Loop: Header=BB197_10 Depth=1
	v_and_b32_e32 v28, 7, v7
	v_lshrrev_b32_e32 v32, 3, v11
	v_cmp_gt_u32_e64 s[4:5], 8, v11
	v_ffbh_u32_e32 v11, v28
	v_min_u32_e32 v11, 32, v11
	v_subrev_u32_e32 v30, 28, v11
	v_lshlrev_b64 v[30:31], v30, v[7:8]
	v_sub_u32_e32 v7, 29, v11
	v_and_b32_e32 v11, 7, v30
	v_cndmask_b32_e64 v7, v32, v7, s[4:5]
	v_cndmask_b32_e64 v11, v28, v11, s[4:5]
	v_lshlrev_b32_e32 v10, 24, v10
	v_lshlrev_b32_e32 v11, 20, v11
	v_and_b32_e32 v10, 0x80000000, v10
	v_lshl_add_u32 v7, v7, 23, v63
	v_or3_b32 v28, v10, v7, v11
.LBB197_218:                            ;   in Loop: Header=BB197_10 Depth=1
	s_or_b64 exec, exec, s[36:37]
.LBB197_219:                            ;   in Loop: Header=BB197_10 Depth=1
	s_or_b64 exec, exec, s[34:35]
.LBB197_220:                            ;   in Loop: Header=BB197_10 Depth=1
	s_or_b64 exec, exec, s[16:17]
	global_load_ubyte v10, v[5:6], off offset:2060
	v_mov_b32_e32 v30, 0
	v_mov_b32_e32 v31, 0
	s_waitcnt vmcnt(0)
	v_cmp_ne_u16_e64 s[4:5], 0, v10
	s_and_saveexec_b64 s[16:17], s[4:5]
	s_cbranch_execz .LBB197_226
; %bb.221:                              ;   in Loop: Header=BB197_10 Depth=1
	v_cmp_ne_u16_e64 s[4:5], s41, v10
	v_bfrev_b32_e32 v31, 1
	s_and_saveexec_b64 s[34:35], s[4:5]
	s_cbranch_execz .LBB197_225
; %bb.222:                              ;   in Loop: Header=BB197_10 Depth=1
	v_and_b32_e32 v7, 0xffff, v10
	v_and_b32_e32 v11, 0x7f, v7
	v_cmp_ne_u32_e64 s[4:5], s42, v11
	v_mov_b32_e32 v31, 0x7f800001
	s_and_saveexec_b64 s[36:37], s[4:5]
	s_cbranch_execz .LBB197_224
; %bb.223:                              ;   in Loop: Header=BB197_10 Depth=1
	v_and_b32_e32 v33, 7, v7
	v_lshrrev_b32_e32 v34, 3, v11
	v_cmp_gt_u32_e64 s[4:5], 8, v11
	v_ffbh_u32_e32 v11, v33
	v_min_u32_e32 v11, 32, v11
	v_subrev_u32_e32 v31, 28, v11
	v_lshlrev_b64 v[31:32], v31, v[7:8]
	v_sub_u32_e32 v7, 29, v11
	v_and_b32_e32 v11, 7, v31
	v_cndmask_b32_e64 v7, v34, v7, s[4:5]
	v_cndmask_b32_e64 v11, v33, v11, s[4:5]
	v_lshlrev_b32_e32 v10, 24, v10
	v_lshlrev_b32_e32 v11, 20, v11
	v_and_b32_e32 v10, 0x80000000, v10
	v_lshl_add_u32 v7, v7, 23, v63
	v_or3_b32 v31, v10, v7, v11
.LBB197_224:                            ;   in Loop: Header=BB197_10 Depth=1
	s_or_b64 exec, exec, s[36:37]
.LBB197_225:                            ;   in Loop: Header=BB197_10 Depth=1
	s_or_b64 exec, exec, s[34:35]
.LBB197_226:                            ;   in Loop: Header=BB197_10 Depth=1
	s_or_b64 exec, exec, s[16:17]
	global_load_ubyte v10, v[5:6], off offset:2304
	s_waitcnt vmcnt(0)
	v_cmp_ne_u16_e64 s[4:5], 0, v10
	s_and_saveexec_b64 s[16:17], s[4:5]
	s_cbranch_execz .LBB197_232
; %bb.227:                              ;   in Loop: Header=BB197_10 Depth=1
	v_cmp_ne_u16_e64 s[4:5], s41, v10
	v_bfrev_b32_e32 v30, 1
	s_and_saveexec_b64 s[34:35], s[4:5]
	s_cbranch_execz .LBB197_231
; %bb.228:                              ;   in Loop: Header=BB197_10 Depth=1
	v_and_b32_e32 v7, 0xffff, v10
	v_and_b32_e32 v11, 0x7f, v7
	v_cmp_ne_u32_e64 s[4:5], s42, v11
	v_mov_b32_e32 v30, 0x7f800001
	s_and_saveexec_b64 s[36:37], s[4:5]
	s_cbranch_execz .LBB197_230
; %bb.229:                              ;   in Loop: Header=BB197_10 Depth=1
	v_and_b32_e32 v30, 7, v7
	v_lshrrev_b32_e32 v34, 3, v11
	v_cmp_gt_u32_e64 s[4:5], 8, v11
	v_ffbh_u32_e32 v11, v30
	v_min_u32_e32 v11, 32, v11
	v_subrev_u32_e32 v32, 28, v11
	v_lshlrev_b64 v[32:33], v32, v[7:8]
	v_sub_u32_e32 v7, 29, v11
	v_and_b32_e32 v11, 7, v32
	v_cndmask_b32_e64 v7, v34, v7, s[4:5]
	v_cndmask_b32_e64 v11, v30, v11, s[4:5]
	v_lshlrev_b32_e32 v10, 24, v10
	v_lshlrev_b32_e32 v11, 20, v11
	v_and_b32_e32 v10, 0x80000000, v10
	v_lshl_add_u32 v7, v7, 23, v63
	v_or3_b32 v30, v10, v7, v11
.LBB197_230:                            ;   in Loop: Header=BB197_10 Depth=1
	s_or_b64 exec, exec, s[36:37]
.LBB197_231:                            ;   in Loop: Header=BB197_10 Depth=1
	s_or_b64 exec, exec, s[34:35]
.LBB197_232:                            ;   in Loop: Header=BB197_10 Depth=1
	s_or_b64 exec, exec, s[16:17]
	global_load_ubyte v10, v[5:6], off offset:2308
	v_mov_b32_e32 v32, 0
	v_mov_b32_e32 v33, 0
	s_waitcnt vmcnt(0)
	v_cmp_ne_u16_e64 s[4:5], 0, v10
	s_and_saveexec_b64 s[16:17], s[4:5]
	s_cbranch_execz .LBB197_238
; %bb.233:                              ;   in Loop: Header=BB197_10 Depth=1
	v_cmp_ne_u16_e64 s[4:5], s41, v10
	v_bfrev_b32_e32 v33, 1
	s_and_saveexec_b64 s[34:35], s[4:5]
	s_cbranch_execz .LBB197_237
; %bb.234:                              ;   in Loop: Header=BB197_10 Depth=1
	v_and_b32_e32 v7, 0xffff, v10
	v_and_b32_e32 v11, 0x7f, v7
	v_cmp_ne_u32_e64 s[4:5], s42, v11
	v_mov_b32_e32 v33, 0x7f800001
	s_and_saveexec_b64 s[36:37], s[4:5]
	s_cbranch_execz .LBB197_236
; %bb.235:                              ;   in Loop: Header=BB197_10 Depth=1
	v_and_b32_e32 v35, 7, v7
	v_lshrrev_b32_e32 v36, 3, v11
	v_cmp_gt_u32_e64 s[4:5], 8, v11
	v_ffbh_u32_e32 v11, v35
	v_min_u32_e32 v11, 32, v11
	v_subrev_u32_e32 v33, 28, v11
	v_lshlrev_b64 v[33:34], v33, v[7:8]
	v_sub_u32_e32 v7, 29, v11
	v_and_b32_e32 v11, 7, v33
	v_cndmask_b32_e64 v7, v36, v7, s[4:5]
	v_cndmask_b32_e64 v11, v35, v11, s[4:5]
	v_lshlrev_b32_e32 v10, 24, v10
	v_lshlrev_b32_e32 v11, 20, v11
	v_and_b32_e32 v10, 0x80000000, v10
	v_lshl_add_u32 v7, v7, 23, v63
	v_or3_b32 v33, v10, v7, v11
.LBB197_236:                            ;   in Loop: Header=BB197_10 Depth=1
	s_or_b64 exec, exec, s[36:37]
.LBB197_237:                            ;   in Loop: Header=BB197_10 Depth=1
	s_or_b64 exec, exec, s[34:35]
.LBB197_238:                            ;   in Loop: Header=BB197_10 Depth=1
	s_or_b64 exec, exec, s[16:17]
	global_load_ubyte v10, v[5:6], off offset:2312
	s_waitcnt vmcnt(0)
	v_cmp_ne_u16_e64 s[4:5], 0, v10
	s_and_saveexec_b64 s[16:17], s[4:5]
	s_cbranch_execz .LBB197_244
; %bb.239:                              ;   in Loop: Header=BB197_10 Depth=1
	v_cmp_ne_u16_e64 s[4:5], s41, v10
	v_bfrev_b32_e32 v32, 1
	s_and_saveexec_b64 s[34:35], s[4:5]
	s_cbranch_execz .LBB197_243
; %bb.240:                              ;   in Loop: Header=BB197_10 Depth=1
	v_and_b32_e32 v7, 0xffff, v10
	v_and_b32_e32 v11, 0x7f, v7
	v_cmp_ne_u32_e64 s[4:5], s42, v11
	v_mov_b32_e32 v32, 0x7f800001
	s_and_saveexec_b64 s[36:37], s[4:5]
	s_cbranch_execz .LBB197_242
; %bb.241:                              ;   in Loop: Header=BB197_10 Depth=1
	v_and_b32_e32 v32, 7, v7
	v_lshrrev_b32_e32 v36, 3, v11
	v_cmp_gt_u32_e64 s[4:5], 8, v11
	v_ffbh_u32_e32 v11, v32
	v_min_u32_e32 v11, 32, v11
	v_subrev_u32_e32 v34, 28, v11
	v_lshlrev_b64 v[34:35], v34, v[7:8]
	v_sub_u32_e32 v7, 29, v11
	v_and_b32_e32 v11, 7, v34
	v_cndmask_b32_e64 v7, v36, v7, s[4:5]
	v_cndmask_b32_e64 v11, v32, v11, s[4:5]
	v_lshlrev_b32_e32 v10, 24, v10
	v_lshlrev_b32_e32 v11, 20, v11
	v_and_b32_e32 v10, 0x80000000, v10
	v_lshl_add_u32 v7, v7, 23, v63
	v_or3_b32 v32, v10, v7, v11
.LBB197_242:                            ;   in Loop: Header=BB197_10 Depth=1
	s_or_b64 exec, exec, s[36:37]
.LBB197_243:                            ;   in Loop: Header=BB197_10 Depth=1
	s_or_b64 exec, exec, s[34:35]
.LBB197_244:                            ;   in Loop: Header=BB197_10 Depth=1
	s_or_b64 exec, exec, s[16:17]
	global_load_ubyte v10, v[5:6], off offset:2316
	v_mov_b32_e32 v34, 0
	v_mov_b32_e32 v35, 0
	s_waitcnt vmcnt(0)
	v_cmp_ne_u16_e64 s[4:5], 0, v10
	s_and_saveexec_b64 s[16:17], s[4:5]
	s_cbranch_execz .LBB197_250
; %bb.245:                              ;   in Loop: Header=BB197_10 Depth=1
	v_cmp_ne_u16_e64 s[4:5], s41, v10
	v_bfrev_b32_e32 v35, 1
	s_and_saveexec_b64 s[34:35], s[4:5]
	s_cbranch_execz .LBB197_249
; %bb.246:                              ;   in Loop: Header=BB197_10 Depth=1
	v_and_b32_e32 v7, 0xffff, v10
	v_and_b32_e32 v11, 0x7f, v7
	v_cmp_ne_u32_e64 s[4:5], s42, v11
	v_mov_b32_e32 v35, 0x7f800001
	s_and_saveexec_b64 s[36:37], s[4:5]
	s_cbranch_execz .LBB197_248
; %bb.247:                              ;   in Loop: Header=BB197_10 Depth=1
	v_and_b32_e32 v37, 7, v7
	v_lshrrev_b32_e32 v38, 3, v11
	v_cmp_gt_u32_e64 s[4:5], 8, v11
	v_ffbh_u32_e32 v11, v37
	v_min_u32_e32 v11, 32, v11
	v_subrev_u32_e32 v35, 28, v11
	v_lshlrev_b64 v[35:36], v35, v[7:8]
	v_sub_u32_e32 v7, 29, v11
	v_and_b32_e32 v11, 7, v35
	v_cndmask_b32_e64 v7, v38, v7, s[4:5]
	v_cndmask_b32_e64 v11, v37, v11, s[4:5]
	v_lshlrev_b32_e32 v10, 24, v10
	v_lshlrev_b32_e32 v11, 20, v11
	v_and_b32_e32 v10, 0x80000000, v10
	v_lshl_add_u32 v7, v7, 23, v63
	v_or3_b32 v35, v10, v7, v11
.LBB197_248:                            ;   in Loop: Header=BB197_10 Depth=1
	s_or_b64 exec, exec, s[36:37]
.LBB197_249:                            ;   in Loop: Header=BB197_10 Depth=1
	s_or_b64 exec, exec, s[34:35]
.LBB197_250:                            ;   in Loop: Header=BB197_10 Depth=1
	s_or_b64 exec, exec, s[16:17]
	global_load_ubyte v10, v[5:6], off offset:2560
	s_waitcnt vmcnt(0)
	v_cmp_ne_u16_e64 s[4:5], 0, v10
	s_and_saveexec_b64 s[16:17], s[4:5]
	s_cbranch_execz .LBB197_256
; %bb.251:                              ;   in Loop: Header=BB197_10 Depth=1
	v_cmp_ne_u16_e64 s[4:5], s41, v10
	v_bfrev_b32_e32 v34, 1
	s_and_saveexec_b64 s[34:35], s[4:5]
	s_cbranch_execz .LBB197_255
; %bb.252:                              ;   in Loop: Header=BB197_10 Depth=1
	v_and_b32_e32 v7, 0xffff, v10
	v_and_b32_e32 v11, 0x7f, v7
	v_cmp_ne_u32_e64 s[4:5], s42, v11
	v_mov_b32_e32 v34, 0x7f800001
	s_and_saveexec_b64 s[36:37], s[4:5]
	s_cbranch_execz .LBB197_254
; %bb.253:                              ;   in Loop: Header=BB197_10 Depth=1
	v_and_b32_e32 v34, 7, v7
	v_lshrrev_b32_e32 v38, 3, v11
	v_cmp_gt_u32_e64 s[4:5], 8, v11
	v_ffbh_u32_e32 v11, v34
	v_min_u32_e32 v11, 32, v11
	v_subrev_u32_e32 v36, 28, v11
	v_lshlrev_b64 v[36:37], v36, v[7:8]
	v_sub_u32_e32 v7, 29, v11
	v_and_b32_e32 v11, 7, v36
	v_cndmask_b32_e64 v7, v38, v7, s[4:5]
	v_cndmask_b32_e64 v11, v34, v11, s[4:5]
	v_lshlrev_b32_e32 v10, 24, v10
	v_lshlrev_b32_e32 v11, 20, v11
	v_and_b32_e32 v10, 0x80000000, v10
	v_lshl_add_u32 v7, v7, 23, v63
	v_or3_b32 v34, v10, v7, v11
.LBB197_254:                            ;   in Loop: Header=BB197_10 Depth=1
	s_or_b64 exec, exec, s[36:37]
.LBB197_255:                            ;   in Loop: Header=BB197_10 Depth=1
	s_or_b64 exec, exec, s[34:35]
.LBB197_256:                            ;   in Loop: Header=BB197_10 Depth=1
	s_or_b64 exec, exec, s[16:17]
	global_load_ubyte v10, v[5:6], off offset:2564
	v_mov_b32_e32 v36, 0
	v_mov_b32_e32 v37, 0
	s_waitcnt vmcnt(0)
	v_cmp_ne_u16_e64 s[4:5], 0, v10
	s_and_saveexec_b64 s[16:17], s[4:5]
	s_cbranch_execz .LBB197_262
; %bb.257:                              ;   in Loop: Header=BB197_10 Depth=1
	v_cmp_ne_u16_e64 s[4:5], s41, v10
	v_bfrev_b32_e32 v37, 1
	s_and_saveexec_b64 s[34:35], s[4:5]
	s_cbranch_execz .LBB197_261
; %bb.258:                              ;   in Loop: Header=BB197_10 Depth=1
	v_and_b32_e32 v7, 0xffff, v10
	v_and_b32_e32 v11, 0x7f, v7
	v_cmp_ne_u32_e64 s[4:5], s42, v11
	v_mov_b32_e32 v37, 0x7f800001
	s_and_saveexec_b64 s[36:37], s[4:5]
	s_cbranch_execz .LBB197_260
; %bb.259:                              ;   in Loop: Header=BB197_10 Depth=1
	v_and_b32_e32 v39, 7, v7
	v_lshrrev_b32_e32 v40, 3, v11
	v_cmp_gt_u32_e64 s[4:5], 8, v11
	v_ffbh_u32_e32 v11, v39
	v_min_u32_e32 v11, 32, v11
	v_subrev_u32_e32 v37, 28, v11
	v_lshlrev_b64 v[37:38], v37, v[7:8]
	v_sub_u32_e32 v7, 29, v11
	v_and_b32_e32 v11, 7, v37
	v_cndmask_b32_e64 v7, v40, v7, s[4:5]
	v_cndmask_b32_e64 v11, v39, v11, s[4:5]
	v_lshlrev_b32_e32 v10, 24, v10
	v_lshlrev_b32_e32 v11, 20, v11
	v_and_b32_e32 v10, 0x80000000, v10
	v_lshl_add_u32 v7, v7, 23, v63
	v_or3_b32 v37, v10, v7, v11
.LBB197_260:                            ;   in Loop: Header=BB197_10 Depth=1
	s_or_b64 exec, exec, s[36:37]
.LBB197_261:                            ;   in Loop: Header=BB197_10 Depth=1
	s_or_b64 exec, exec, s[34:35]
.LBB197_262:                            ;   in Loop: Header=BB197_10 Depth=1
	s_or_b64 exec, exec, s[16:17]
	global_load_ubyte v10, v[5:6], off offset:2568
	s_waitcnt vmcnt(0)
	v_cmp_ne_u16_e64 s[4:5], 0, v10
	s_and_saveexec_b64 s[16:17], s[4:5]
	s_cbranch_execz .LBB197_268
; %bb.263:                              ;   in Loop: Header=BB197_10 Depth=1
	v_cmp_ne_u16_e64 s[4:5], s41, v10
	v_bfrev_b32_e32 v36, 1
	s_and_saveexec_b64 s[34:35], s[4:5]
	s_cbranch_execz .LBB197_267
; %bb.264:                              ;   in Loop: Header=BB197_10 Depth=1
	v_and_b32_e32 v7, 0xffff, v10
	v_and_b32_e32 v11, 0x7f, v7
	v_cmp_ne_u32_e64 s[4:5], s42, v11
	v_mov_b32_e32 v36, 0x7f800001
	s_and_saveexec_b64 s[36:37], s[4:5]
	s_cbranch_execz .LBB197_266
; %bb.265:                              ;   in Loop: Header=BB197_10 Depth=1
	v_and_b32_e32 v36, 7, v7
	v_lshrrev_b32_e32 v40, 3, v11
	v_cmp_gt_u32_e64 s[4:5], 8, v11
	v_ffbh_u32_e32 v11, v36
	v_min_u32_e32 v11, 32, v11
	v_subrev_u32_e32 v38, 28, v11
	v_lshlrev_b64 v[38:39], v38, v[7:8]
	v_sub_u32_e32 v7, 29, v11
	v_and_b32_e32 v11, 7, v38
	v_cndmask_b32_e64 v7, v40, v7, s[4:5]
	v_cndmask_b32_e64 v11, v36, v11, s[4:5]
	v_lshlrev_b32_e32 v10, 24, v10
	v_lshlrev_b32_e32 v11, 20, v11
	v_and_b32_e32 v10, 0x80000000, v10
	v_lshl_add_u32 v7, v7, 23, v63
	v_or3_b32 v36, v10, v7, v11
.LBB197_266:                            ;   in Loop: Header=BB197_10 Depth=1
	s_or_b64 exec, exec, s[36:37]
.LBB197_267:                            ;   in Loop: Header=BB197_10 Depth=1
	s_or_b64 exec, exec, s[34:35]
.LBB197_268:                            ;   in Loop: Header=BB197_10 Depth=1
	s_or_b64 exec, exec, s[16:17]
	global_load_ubyte v10, v[5:6], off offset:2572
	v_mov_b32_e32 v38, 0
	v_mov_b32_e32 v39, 0
	s_waitcnt vmcnt(0)
	v_cmp_ne_u16_e64 s[4:5], 0, v10
	s_and_saveexec_b64 s[16:17], s[4:5]
	s_cbranch_execz .LBB197_274
; %bb.269:                              ;   in Loop: Header=BB197_10 Depth=1
	v_cmp_ne_u16_e64 s[4:5], s41, v10
	v_bfrev_b32_e32 v39, 1
	s_and_saveexec_b64 s[34:35], s[4:5]
	s_cbranch_execz .LBB197_273
; %bb.270:                              ;   in Loop: Header=BB197_10 Depth=1
	v_and_b32_e32 v7, 0xffff, v10
	v_and_b32_e32 v11, 0x7f, v7
	v_cmp_ne_u32_e64 s[4:5], s42, v11
	v_mov_b32_e32 v39, 0x7f800001
	s_and_saveexec_b64 s[36:37], s[4:5]
	s_cbranch_execz .LBB197_272
; %bb.271:                              ;   in Loop: Header=BB197_10 Depth=1
	v_and_b32_e32 v41, 7, v7
	v_lshrrev_b32_e32 v42, 3, v11
	v_cmp_gt_u32_e64 s[4:5], 8, v11
	v_ffbh_u32_e32 v11, v41
	v_min_u32_e32 v11, 32, v11
	v_subrev_u32_e32 v39, 28, v11
	v_lshlrev_b64 v[39:40], v39, v[7:8]
	v_sub_u32_e32 v7, 29, v11
	v_and_b32_e32 v11, 7, v39
	v_cndmask_b32_e64 v7, v42, v7, s[4:5]
	v_cndmask_b32_e64 v11, v41, v11, s[4:5]
	v_lshlrev_b32_e32 v10, 24, v10
	v_lshlrev_b32_e32 v11, 20, v11
	v_and_b32_e32 v10, 0x80000000, v10
	v_lshl_add_u32 v7, v7, 23, v63
	v_or3_b32 v39, v10, v7, v11
.LBB197_272:                            ;   in Loop: Header=BB197_10 Depth=1
	s_or_b64 exec, exec, s[36:37]
.LBB197_273:                            ;   in Loop: Header=BB197_10 Depth=1
	s_or_b64 exec, exec, s[34:35]
.LBB197_274:                            ;   in Loop: Header=BB197_10 Depth=1
	s_or_b64 exec, exec, s[16:17]
	global_load_ubyte v10, v[5:6], off offset:2816
	s_waitcnt vmcnt(0)
	v_cmp_ne_u16_e64 s[4:5], 0, v10
	s_and_saveexec_b64 s[16:17], s[4:5]
	s_cbranch_execz .LBB197_280
; %bb.275:                              ;   in Loop: Header=BB197_10 Depth=1
	v_cmp_ne_u16_e64 s[4:5], s41, v10
	v_bfrev_b32_e32 v38, 1
	s_and_saveexec_b64 s[34:35], s[4:5]
	s_cbranch_execz .LBB197_279
; %bb.276:                              ;   in Loop: Header=BB197_10 Depth=1
	v_and_b32_e32 v7, 0xffff, v10
	v_and_b32_e32 v11, 0x7f, v7
	v_cmp_ne_u32_e64 s[4:5], s42, v11
	v_mov_b32_e32 v38, 0x7f800001
	s_and_saveexec_b64 s[36:37], s[4:5]
	s_cbranch_execz .LBB197_278
; %bb.277:                              ;   in Loop: Header=BB197_10 Depth=1
	v_and_b32_e32 v38, 7, v7
	v_lshrrev_b32_e32 v42, 3, v11
	v_cmp_gt_u32_e64 s[4:5], 8, v11
	v_ffbh_u32_e32 v11, v38
	v_min_u32_e32 v11, 32, v11
	v_subrev_u32_e32 v40, 28, v11
	v_lshlrev_b64 v[40:41], v40, v[7:8]
	v_sub_u32_e32 v7, 29, v11
	v_and_b32_e32 v11, 7, v40
	v_cndmask_b32_e64 v7, v42, v7, s[4:5]
	v_cndmask_b32_e64 v11, v38, v11, s[4:5]
	v_lshlrev_b32_e32 v10, 24, v10
	v_lshlrev_b32_e32 v11, 20, v11
	v_and_b32_e32 v10, 0x80000000, v10
	v_lshl_add_u32 v7, v7, 23, v63
	v_or3_b32 v38, v10, v7, v11
.LBB197_278:                            ;   in Loop: Header=BB197_10 Depth=1
	s_or_b64 exec, exec, s[36:37]
.LBB197_279:                            ;   in Loop: Header=BB197_10 Depth=1
	s_or_b64 exec, exec, s[34:35]
.LBB197_280:                            ;   in Loop: Header=BB197_10 Depth=1
	s_or_b64 exec, exec, s[16:17]
	global_load_ubyte v10, v[5:6], off offset:2820
	v_mov_b32_e32 v40, 0
	v_mov_b32_e32 v41, 0
	s_waitcnt vmcnt(0)
	v_cmp_ne_u16_e64 s[4:5], 0, v10
	s_and_saveexec_b64 s[16:17], s[4:5]
	s_cbranch_execz .LBB197_286
; %bb.281:                              ;   in Loop: Header=BB197_10 Depth=1
	v_cmp_ne_u16_e64 s[4:5], s41, v10
	v_bfrev_b32_e32 v41, 1
	s_and_saveexec_b64 s[34:35], s[4:5]
	s_cbranch_execz .LBB197_285
; %bb.282:                              ;   in Loop: Header=BB197_10 Depth=1
	v_and_b32_e32 v7, 0xffff, v10
	v_and_b32_e32 v11, 0x7f, v7
	v_cmp_ne_u32_e64 s[4:5], s42, v11
	v_mov_b32_e32 v41, 0x7f800001
	s_and_saveexec_b64 s[36:37], s[4:5]
	s_cbranch_execz .LBB197_284
; %bb.283:                              ;   in Loop: Header=BB197_10 Depth=1
	v_and_b32_e32 v43, 7, v7
	v_lshrrev_b32_e32 v44, 3, v11
	v_cmp_gt_u32_e64 s[4:5], 8, v11
	v_ffbh_u32_e32 v11, v43
	v_min_u32_e32 v11, 32, v11
	v_subrev_u32_e32 v41, 28, v11
	v_lshlrev_b64 v[41:42], v41, v[7:8]
	v_sub_u32_e32 v7, 29, v11
	v_and_b32_e32 v11, 7, v41
	v_cndmask_b32_e64 v7, v44, v7, s[4:5]
	v_cndmask_b32_e64 v11, v43, v11, s[4:5]
	v_lshlrev_b32_e32 v10, 24, v10
	v_lshlrev_b32_e32 v11, 20, v11
	v_and_b32_e32 v10, 0x80000000, v10
	v_lshl_add_u32 v7, v7, 23, v63
	v_or3_b32 v41, v10, v7, v11
.LBB197_284:                            ;   in Loop: Header=BB197_10 Depth=1
	s_or_b64 exec, exec, s[36:37]
.LBB197_285:                            ;   in Loop: Header=BB197_10 Depth=1
	s_or_b64 exec, exec, s[34:35]
.LBB197_286:                            ;   in Loop: Header=BB197_10 Depth=1
	s_or_b64 exec, exec, s[16:17]
	global_load_ubyte v10, v[5:6], off offset:2824
	s_waitcnt vmcnt(0)
	v_cmp_ne_u16_e64 s[4:5], 0, v10
	s_and_saveexec_b64 s[16:17], s[4:5]
	s_cbranch_execz .LBB197_292
; %bb.287:                              ;   in Loop: Header=BB197_10 Depth=1
	v_cmp_ne_u16_e64 s[4:5], s41, v10
	v_bfrev_b32_e32 v40, 1
	s_and_saveexec_b64 s[34:35], s[4:5]
	s_cbranch_execz .LBB197_291
; %bb.288:                              ;   in Loop: Header=BB197_10 Depth=1
	v_and_b32_e32 v7, 0xffff, v10
	v_and_b32_e32 v11, 0x7f, v7
	v_cmp_ne_u32_e64 s[4:5], s42, v11
	v_mov_b32_e32 v40, 0x7f800001
	s_and_saveexec_b64 s[36:37], s[4:5]
	s_cbranch_execz .LBB197_290
; %bb.289:                              ;   in Loop: Header=BB197_10 Depth=1
	v_and_b32_e32 v40, 7, v7
	v_lshrrev_b32_e32 v44, 3, v11
	v_cmp_gt_u32_e64 s[4:5], 8, v11
	v_ffbh_u32_e32 v11, v40
	v_min_u32_e32 v11, 32, v11
	v_subrev_u32_e32 v42, 28, v11
	v_lshlrev_b64 v[42:43], v42, v[7:8]
	v_sub_u32_e32 v7, 29, v11
	v_and_b32_e32 v11, 7, v42
	v_cndmask_b32_e64 v7, v44, v7, s[4:5]
	v_cndmask_b32_e64 v11, v40, v11, s[4:5]
	v_lshlrev_b32_e32 v10, 24, v10
	v_lshlrev_b32_e32 v11, 20, v11
	v_and_b32_e32 v10, 0x80000000, v10
	v_lshl_add_u32 v7, v7, 23, v63
	v_or3_b32 v40, v10, v7, v11
.LBB197_290:                            ;   in Loop: Header=BB197_10 Depth=1
	s_or_b64 exec, exec, s[36:37]
.LBB197_291:                            ;   in Loop: Header=BB197_10 Depth=1
	s_or_b64 exec, exec, s[34:35]
.LBB197_292:                            ;   in Loop: Header=BB197_10 Depth=1
	s_or_b64 exec, exec, s[16:17]
	global_load_ubyte v10, v[5:6], off offset:2828
	v_mov_b32_e32 v42, 0
	v_mov_b32_e32 v43, 0
	s_waitcnt vmcnt(0)
	v_cmp_ne_u16_e64 s[4:5], 0, v10
	s_and_saveexec_b64 s[16:17], s[4:5]
	s_cbranch_execz .LBB197_298
; %bb.293:                              ;   in Loop: Header=BB197_10 Depth=1
	v_cmp_ne_u16_e64 s[4:5], s41, v10
	v_bfrev_b32_e32 v43, 1
	s_and_saveexec_b64 s[34:35], s[4:5]
	s_cbranch_execz .LBB197_297
; %bb.294:                              ;   in Loop: Header=BB197_10 Depth=1
	v_and_b32_e32 v7, 0xffff, v10
	v_and_b32_e32 v11, 0x7f, v7
	v_cmp_ne_u32_e64 s[4:5], s42, v11
	v_mov_b32_e32 v43, 0x7f800001
	s_and_saveexec_b64 s[36:37], s[4:5]
	s_cbranch_execz .LBB197_296
; %bb.295:                              ;   in Loop: Header=BB197_10 Depth=1
	v_and_b32_e32 v45, 7, v7
	v_lshrrev_b32_e32 v46, 3, v11
	v_cmp_gt_u32_e64 s[4:5], 8, v11
	v_ffbh_u32_e32 v11, v45
	v_min_u32_e32 v11, 32, v11
	v_subrev_u32_e32 v43, 28, v11
	v_lshlrev_b64 v[43:44], v43, v[7:8]
	v_sub_u32_e32 v7, 29, v11
	v_and_b32_e32 v11, 7, v43
	v_cndmask_b32_e64 v7, v46, v7, s[4:5]
	v_cndmask_b32_e64 v11, v45, v11, s[4:5]
	v_lshlrev_b32_e32 v10, 24, v10
	v_lshlrev_b32_e32 v11, 20, v11
	v_and_b32_e32 v10, 0x80000000, v10
	v_lshl_add_u32 v7, v7, 23, v63
	v_or3_b32 v43, v10, v7, v11
.LBB197_296:                            ;   in Loop: Header=BB197_10 Depth=1
	s_or_b64 exec, exec, s[36:37]
.LBB197_297:                            ;   in Loop: Header=BB197_10 Depth=1
	s_or_b64 exec, exec, s[34:35]
.LBB197_298:                            ;   in Loop: Header=BB197_10 Depth=1
	s_or_b64 exec, exec, s[16:17]
	global_load_ubyte v10, v[5:6], off offset:3072
	s_waitcnt vmcnt(0)
	v_cmp_ne_u16_e64 s[4:5], 0, v10
	s_and_saveexec_b64 s[16:17], s[4:5]
	s_cbranch_execz .LBB197_304
; %bb.299:                              ;   in Loop: Header=BB197_10 Depth=1
	v_cmp_ne_u16_e64 s[4:5], s41, v10
	v_bfrev_b32_e32 v42, 1
	s_and_saveexec_b64 s[34:35], s[4:5]
	s_cbranch_execz .LBB197_303
; %bb.300:                              ;   in Loop: Header=BB197_10 Depth=1
	v_and_b32_e32 v7, 0xffff, v10
	v_and_b32_e32 v11, 0x7f, v7
	v_cmp_ne_u32_e64 s[4:5], s42, v11
	v_mov_b32_e32 v42, 0x7f800001
	s_and_saveexec_b64 s[36:37], s[4:5]
	s_cbranch_execz .LBB197_302
; %bb.301:                              ;   in Loop: Header=BB197_10 Depth=1
	v_and_b32_e32 v42, 7, v7
	v_lshrrev_b32_e32 v46, 3, v11
	v_cmp_gt_u32_e64 s[4:5], 8, v11
	v_ffbh_u32_e32 v11, v42
	v_min_u32_e32 v11, 32, v11
	v_subrev_u32_e32 v44, 28, v11
	v_lshlrev_b64 v[44:45], v44, v[7:8]
	v_sub_u32_e32 v7, 29, v11
	v_and_b32_e32 v11, 7, v44
	v_cndmask_b32_e64 v7, v46, v7, s[4:5]
	v_cndmask_b32_e64 v11, v42, v11, s[4:5]
	v_lshlrev_b32_e32 v10, 24, v10
	v_lshlrev_b32_e32 v11, 20, v11
	v_and_b32_e32 v10, 0x80000000, v10
	v_lshl_add_u32 v7, v7, 23, v63
	v_or3_b32 v42, v10, v7, v11
.LBB197_302:                            ;   in Loop: Header=BB197_10 Depth=1
	s_or_b64 exec, exec, s[36:37]
.LBB197_303:                            ;   in Loop: Header=BB197_10 Depth=1
	s_or_b64 exec, exec, s[34:35]
.LBB197_304:                            ;   in Loop: Header=BB197_10 Depth=1
	s_or_b64 exec, exec, s[16:17]
	global_load_ubyte v10, v[5:6], off offset:3076
	v_mov_b32_e32 v44, 0
	v_mov_b32_e32 v45, 0
	s_waitcnt vmcnt(0)
	v_cmp_ne_u16_e64 s[4:5], 0, v10
	s_and_saveexec_b64 s[16:17], s[4:5]
	s_cbranch_execz .LBB197_310
; %bb.305:                              ;   in Loop: Header=BB197_10 Depth=1
	v_cmp_ne_u16_e64 s[4:5], s41, v10
	v_bfrev_b32_e32 v45, 1
	s_and_saveexec_b64 s[34:35], s[4:5]
	s_cbranch_execz .LBB197_309
; %bb.306:                              ;   in Loop: Header=BB197_10 Depth=1
	v_and_b32_e32 v7, 0xffff, v10
	v_and_b32_e32 v11, 0x7f, v7
	v_cmp_ne_u32_e64 s[4:5], s42, v11
	v_mov_b32_e32 v45, 0x7f800001
	s_and_saveexec_b64 s[36:37], s[4:5]
	s_cbranch_execz .LBB197_308
; %bb.307:                              ;   in Loop: Header=BB197_10 Depth=1
	v_and_b32_e32 v47, 7, v7
	v_lshrrev_b32_e32 v48, 3, v11
	v_cmp_gt_u32_e64 s[4:5], 8, v11
	v_ffbh_u32_e32 v11, v47
	v_min_u32_e32 v11, 32, v11
	v_subrev_u32_e32 v45, 28, v11
	v_lshlrev_b64 v[45:46], v45, v[7:8]
	v_sub_u32_e32 v7, 29, v11
	v_and_b32_e32 v11, 7, v45
	v_cndmask_b32_e64 v7, v48, v7, s[4:5]
	v_cndmask_b32_e64 v11, v47, v11, s[4:5]
	v_lshlrev_b32_e32 v10, 24, v10
	v_lshlrev_b32_e32 v11, 20, v11
	v_and_b32_e32 v10, 0x80000000, v10
	v_lshl_add_u32 v7, v7, 23, v63
	v_or3_b32 v45, v10, v7, v11
.LBB197_308:                            ;   in Loop: Header=BB197_10 Depth=1
	s_or_b64 exec, exec, s[36:37]
.LBB197_309:                            ;   in Loop: Header=BB197_10 Depth=1
	s_or_b64 exec, exec, s[34:35]
.LBB197_310:                            ;   in Loop: Header=BB197_10 Depth=1
	s_or_b64 exec, exec, s[16:17]
	global_load_ubyte v10, v[5:6], off offset:3080
	s_waitcnt vmcnt(0)
	v_cmp_ne_u16_e64 s[4:5], 0, v10
	s_and_saveexec_b64 s[16:17], s[4:5]
	s_cbranch_execz .LBB197_316
; %bb.311:                              ;   in Loop: Header=BB197_10 Depth=1
	v_cmp_ne_u16_e64 s[4:5], s41, v10
	v_bfrev_b32_e32 v44, 1
	s_and_saveexec_b64 s[34:35], s[4:5]
	s_cbranch_execz .LBB197_315
; %bb.312:                              ;   in Loop: Header=BB197_10 Depth=1
	v_and_b32_e32 v7, 0xffff, v10
	v_and_b32_e32 v11, 0x7f, v7
	v_cmp_ne_u32_e64 s[4:5], s42, v11
	v_mov_b32_e32 v44, 0x7f800001
	s_and_saveexec_b64 s[36:37], s[4:5]
	s_cbranch_execz .LBB197_314
; %bb.313:                              ;   in Loop: Header=BB197_10 Depth=1
	v_and_b32_e32 v44, 7, v7
	v_lshrrev_b32_e32 v48, 3, v11
	v_cmp_gt_u32_e64 s[4:5], 8, v11
	v_ffbh_u32_e32 v11, v44
	v_min_u32_e32 v11, 32, v11
	v_subrev_u32_e32 v46, 28, v11
	v_lshlrev_b64 v[46:47], v46, v[7:8]
	v_sub_u32_e32 v7, 29, v11
	v_and_b32_e32 v11, 7, v46
	v_cndmask_b32_e64 v7, v48, v7, s[4:5]
	v_cndmask_b32_e64 v11, v44, v11, s[4:5]
	v_lshlrev_b32_e32 v10, 24, v10
	v_lshlrev_b32_e32 v11, 20, v11
	v_and_b32_e32 v10, 0x80000000, v10
	v_lshl_add_u32 v7, v7, 23, v63
	v_or3_b32 v44, v10, v7, v11
.LBB197_314:                            ;   in Loop: Header=BB197_10 Depth=1
	s_or_b64 exec, exec, s[36:37]
.LBB197_315:                            ;   in Loop: Header=BB197_10 Depth=1
	s_or_b64 exec, exec, s[34:35]
.LBB197_316:                            ;   in Loop: Header=BB197_10 Depth=1
	s_or_b64 exec, exec, s[16:17]
	global_load_ubyte v10, v[5:6], off offset:3084
	v_mov_b32_e32 v46, 0
	v_mov_b32_e32 v47, 0
	s_waitcnt vmcnt(0)
	v_cmp_ne_u16_e64 s[4:5], 0, v10
	s_and_saveexec_b64 s[16:17], s[4:5]
	s_cbranch_execz .LBB197_322
; %bb.317:                              ;   in Loop: Header=BB197_10 Depth=1
	v_cmp_ne_u16_e64 s[4:5], s41, v10
	v_bfrev_b32_e32 v47, 1
	s_and_saveexec_b64 s[34:35], s[4:5]
	s_cbranch_execz .LBB197_321
; %bb.318:                              ;   in Loop: Header=BB197_10 Depth=1
	v_and_b32_e32 v7, 0xffff, v10
	v_and_b32_e32 v11, 0x7f, v7
	v_cmp_ne_u32_e64 s[4:5], s42, v11
	v_mov_b32_e32 v47, 0x7f800001
	s_and_saveexec_b64 s[36:37], s[4:5]
	s_cbranch_execz .LBB197_320
; %bb.319:                              ;   in Loop: Header=BB197_10 Depth=1
	v_and_b32_e32 v49, 7, v7
	v_lshrrev_b32_e32 v50, 3, v11
	v_cmp_gt_u32_e64 s[4:5], 8, v11
	v_ffbh_u32_e32 v11, v49
	v_min_u32_e32 v11, 32, v11
	v_subrev_u32_e32 v47, 28, v11
	v_lshlrev_b64 v[47:48], v47, v[7:8]
	v_sub_u32_e32 v7, 29, v11
	v_and_b32_e32 v11, 7, v47
	v_cndmask_b32_e64 v7, v50, v7, s[4:5]
	v_cndmask_b32_e64 v11, v49, v11, s[4:5]
	v_lshlrev_b32_e32 v10, 24, v10
	v_lshlrev_b32_e32 v11, 20, v11
	v_and_b32_e32 v10, 0x80000000, v10
	v_lshl_add_u32 v7, v7, 23, v63
	v_or3_b32 v47, v10, v7, v11
.LBB197_320:                            ;   in Loop: Header=BB197_10 Depth=1
	s_or_b64 exec, exec, s[36:37]
.LBB197_321:                            ;   in Loop: Header=BB197_10 Depth=1
	s_or_b64 exec, exec, s[34:35]
.LBB197_322:                            ;   in Loop: Header=BB197_10 Depth=1
	s_or_b64 exec, exec, s[16:17]
	global_load_ubyte v10, v[5:6], off offset:3328
	s_waitcnt vmcnt(0)
	v_cmp_ne_u16_e64 s[4:5], 0, v10
	s_and_saveexec_b64 s[16:17], s[4:5]
	s_cbranch_execz .LBB197_328
; %bb.323:                              ;   in Loop: Header=BB197_10 Depth=1
	v_cmp_ne_u16_e64 s[4:5], s41, v10
	v_bfrev_b32_e32 v46, 1
	s_and_saveexec_b64 s[34:35], s[4:5]
	s_cbranch_execz .LBB197_327
; %bb.324:                              ;   in Loop: Header=BB197_10 Depth=1
	v_and_b32_e32 v7, 0xffff, v10
	v_and_b32_e32 v11, 0x7f, v7
	v_cmp_ne_u32_e64 s[4:5], s42, v11
	v_mov_b32_e32 v46, 0x7f800001
	s_and_saveexec_b64 s[36:37], s[4:5]
	s_cbranch_execz .LBB197_326
; %bb.325:                              ;   in Loop: Header=BB197_10 Depth=1
	v_and_b32_e32 v46, 7, v7
	v_lshrrev_b32_e32 v50, 3, v11
	v_cmp_gt_u32_e64 s[4:5], 8, v11
	v_ffbh_u32_e32 v11, v46
	v_min_u32_e32 v11, 32, v11
	v_subrev_u32_e32 v48, 28, v11
	v_lshlrev_b64 v[48:49], v48, v[7:8]
	v_sub_u32_e32 v7, 29, v11
	v_and_b32_e32 v11, 7, v48
	v_cndmask_b32_e64 v7, v50, v7, s[4:5]
	v_cndmask_b32_e64 v11, v46, v11, s[4:5]
	v_lshlrev_b32_e32 v10, 24, v10
	v_lshlrev_b32_e32 v11, 20, v11
	v_and_b32_e32 v10, 0x80000000, v10
	v_lshl_add_u32 v7, v7, 23, v63
	v_or3_b32 v46, v10, v7, v11
.LBB197_326:                            ;   in Loop: Header=BB197_10 Depth=1
	s_or_b64 exec, exec, s[36:37]
.LBB197_327:                            ;   in Loop: Header=BB197_10 Depth=1
	s_or_b64 exec, exec, s[34:35]
.LBB197_328:                            ;   in Loop: Header=BB197_10 Depth=1
	s_or_b64 exec, exec, s[16:17]
	global_load_ubyte v10, v[5:6], off offset:3332
	v_mov_b32_e32 v48, 0
	v_mov_b32_e32 v49, 0
	s_waitcnt vmcnt(0)
	v_cmp_ne_u16_e64 s[4:5], 0, v10
	s_and_saveexec_b64 s[16:17], s[4:5]
	s_cbranch_execz .LBB197_334
; %bb.329:                              ;   in Loop: Header=BB197_10 Depth=1
	v_cmp_ne_u16_e64 s[4:5], s41, v10
	v_bfrev_b32_e32 v49, 1
	s_and_saveexec_b64 s[34:35], s[4:5]
	s_cbranch_execz .LBB197_333
; %bb.330:                              ;   in Loop: Header=BB197_10 Depth=1
	v_and_b32_e32 v7, 0xffff, v10
	v_and_b32_e32 v11, 0x7f, v7
	v_cmp_ne_u32_e64 s[4:5], s42, v11
	v_mov_b32_e32 v49, 0x7f800001
	s_and_saveexec_b64 s[36:37], s[4:5]
	s_cbranch_execz .LBB197_332
; %bb.331:                              ;   in Loop: Header=BB197_10 Depth=1
	v_and_b32_e32 v51, 7, v7
	v_lshrrev_b32_e32 v52, 3, v11
	v_cmp_gt_u32_e64 s[4:5], 8, v11
	v_ffbh_u32_e32 v11, v51
	v_min_u32_e32 v11, 32, v11
	v_subrev_u32_e32 v49, 28, v11
	v_lshlrev_b64 v[49:50], v49, v[7:8]
	v_sub_u32_e32 v7, 29, v11
	v_and_b32_e32 v11, 7, v49
	v_cndmask_b32_e64 v7, v52, v7, s[4:5]
	v_cndmask_b32_e64 v11, v51, v11, s[4:5]
	v_lshlrev_b32_e32 v10, 24, v10
	v_lshlrev_b32_e32 v11, 20, v11
	v_and_b32_e32 v10, 0x80000000, v10
	v_lshl_add_u32 v7, v7, 23, v63
	v_or3_b32 v49, v10, v7, v11
.LBB197_332:                            ;   in Loop: Header=BB197_10 Depth=1
	s_or_b64 exec, exec, s[36:37]
.LBB197_333:                            ;   in Loop: Header=BB197_10 Depth=1
	s_or_b64 exec, exec, s[34:35]
.LBB197_334:                            ;   in Loop: Header=BB197_10 Depth=1
	s_or_b64 exec, exec, s[16:17]
	global_load_ubyte v10, v[5:6], off offset:3336
	s_waitcnt vmcnt(0)
	v_cmp_ne_u16_e64 s[4:5], 0, v10
	s_and_saveexec_b64 s[16:17], s[4:5]
	s_cbranch_execz .LBB197_340
; %bb.335:                              ;   in Loop: Header=BB197_10 Depth=1
	v_cmp_ne_u16_e64 s[4:5], s41, v10
	v_bfrev_b32_e32 v48, 1
	s_and_saveexec_b64 s[34:35], s[4:5]
	s_cbranch_execz .LBB197_339
; %bb.336:                              ;   in Loop: Header=BB197_10 Depth=1
	v_and_b32_e32 v7, 0xffff, v10
	v_and_b32_e32 v11, 0x7f, v7
	v_cmp_ne_u32_e64 s[4:5], s42, v11
	v_mov_b32_e32 v48, 0x7f800001
	s_and_saveexec_b64 s[36:37], s[4:5]
	s_cbranch_execz .LBB197_338
; %bb.337:                              ;   in Loop: Header=BB197_10 Depth=1
	v_and_b32_e32 v48, 7, v7
	v_lshrrev_b32_e32 v52, 3, v11
	v_cmp_gt_u32_e64 s[4:5], 8, v11
	v_ffbh_u32_e32 v11, v48
	v_min_u32_e32 v11, 32, v11
	v_subrev_u32_e32 v50, 28, v11
	v_lshlrev_b64 v[50:51], v50, v[7:8]
	v_sub_u32_e32 v7, 29, v11
	v_and_b32_e32 v11, 7, v50
	v_cndmask_b32_e64 v7, v52, v7, s[4:5]
	v_cndmask_b32_e64 v11, v48, v11, s[4:5]
	v_lshlrev_b32_e32 v10, 24, v10
	v_lshlrev_b32_e32 v11, 20, v11
	v_and_b32_e32 v10, 0x80000000, v10
	v_lshl_add_u32 v7, v7, 23, v63
	v_or3_b32 v48, v10, v7, v11
.LBB197_338:                            ;   in Loop: Header=BB197_10 Depth=1
	s_or_b64 exec, exec, s[36:37]
.LBB197_339:                            ;   in Loop: Header=BB197_10 Depth=1
	s_or_b64 exec, exec, s[34:35]
.LBB197_340:                            ;   in Loop: Header=BB197_10 Depth=1
	s_or_b64 exec, exec, s[16:17]
	global_load_ubyte v10, v[5:6], off offset:3340
	v_mov_b32_e32 v50, 0
	v_mov_b32_e32 v51, 0
	s_waitcnt vmcnt(0)
	v_cmp_ne_u16_e64 s[4:5], 0, v10
	s_and_saveexec_b64 s[16:17], s[4:5]
	s_cbranch_execz .LBB197_346
; %bb.341:                              ;   in Loop: Header=BB197_10 Depth=1
	v_cmp_ne_u16_e64 s[4:5], s41, v10
	v_bfrev_b32_e32 v51, 1
	s_and_saveexec_b64 s[34:35], s[4:5]
	s_cbranch_execz .LBB197_345
; %bb.342:                              ;   in Loop: Header=BB197_10 Depth=1
	v_and_b32_e32 v7, 0xffff, v10
	v_and_b32_e32 v11, 0x7f, v7
	v_cmp_ne_u32_e64 s[4:5], s42, v11
	v_mov_b32_e32 v51, 0x7f800001
	s_and_saveexec_b64 s[36:37], s[4:5]
	s_cbranch_execz .LBB197_344
; %bb.343:                              ;   in Loop: Header=BB197_10 Depth=1
	v_and_b32_e32 v53, 7, v7
	v_lshrrev_b32_e32 v54, 3, v11
	v_cmp_gt_u32_e64 s[4:5], 8, v11
	v_ffbh_u32_e32 v11, v53
	v_min_u32_e32 v11, 32, v11
	v_subrev_u32_e32 v51, 28, v11
	v_lshlrev_b64 v[51:52], v51, v[7:8]
	v_sub_u32_e32 v7, 29, v11
	v_and_b32_e32 v11, 7, v51
	v_cndmask_b32_e64 v7, v54, v7, s[4:5]
	v_cndmask_b32_e64 v11, v53, v11, s[4:5]
	v_lshlrev_b32_e32 v10, 24, v10
	v_lshlrev_b32_e32 v11, 20, v11
	v_and_b32_e32 v10, 0x80000000, v10
	v_lshl_add_u32 v7, v7, 23, v63
	v_or3_b32 v51, v10, v7, v11
.LBB197_344:                            ;   in Loop: Header=BB197_10 Depth=1
	s_or_b64 exec, exec, s[36:37]
.LBB197_345:                            ;   in Loop: Header=BB197_10 Depth=1
	s_or_b64 exec, exec, s[34:35]
.LBB197_346:                            ;   in Loop: Header=BB197_10 Depth=1
	s_or_b64 exec, exec, s[16:17]
	global_load_ubyte v10, v[5:6], off offset:3584
	s_waitcnt vmcnt(0)
	v_cmp_ne_u16_e64 s[4:5], 0, v10
	s_and_saveexec_b64 s[16:17], s[4:5]
	s_cbranch_execz .LBB197_352
; %bb.347:                              ;   in Loop: Header=BB197_10 Depth=1
	v_cmp_ne_u16_e64 s[4:5], s41, v10
	v_bfrev_b32_e32 v50, 1
	s_and_saveexec_b64 s[34:35], s[4:5]
	s_cbranch_execz .LBB197_351
; %bb.348:                              ;   in Loop: Header=BB197_10 Depth=1
	v_and_b32_e32 v7, 0xffff, v10
	v_and_b32_e32 v11, 0x7f, v7
	v_cmp_ne_u32_e64 s[4:5], s42, v11
	v_mov_b32_e32 v50, 0x7f800001
	s_and_saveexec_b64 s[36:37], s[4:5]
	s_cbranch_execz .LBB197_350
; %bb.349:                              ;   in Loop: Header=BB197_10 Depth=1
	v_and_b32_e32 v50, 7, v7
	v_lshrrev_b32_e32 v54, 3, v11
	v_cmp_gt_u32_e64 s[4:5], 8, v11
	v_ffbh_u32_e32 v11, v50
	v_min_u32_e32 v11, 32, v11
	v_subrev_u32_e32 v52, 28, v11
	v_lshlrev_b64 v[52:53], v52, v[7:8]
	v_sub_u32_e32 v7, 29, v11
	v_and_b32_e32 v11, 7, v52
	v_cndmask_b32_e64 v7, v54, v7, s[4:5]
	v_cndmask_b32_e64 v11, v50, v11, s[4:5]
	v_lshlrev_b32_e32 v10, 24, v10
	v_lshlrev_b32_e32 v11, 20, v11
	v_and_b32_e32 v10, 0x80000000, v10
	v_lshl_add_u32 v7, v7, 23, v63
	v_or3_b32 v50, v10, v7, v11
.LBB197_350:                            ;   in Loop: Header=BB197_10 Depth=1
	s_or_b64 exec, exec, s[36:37]
.LBB197_351:                            ;   in Loop: Header=BB197_10 Depth=1
	s_or_b64 exec, exec, s[34:35]
.LBB197_352:                            ;   in Loop: Header=BB197_10 Depth=1
	s_or_b64 exec, exec, s[16:17]
	global_load_ubyte v11, v[5:6], off offset:3588
	v_mov_b32_e32 v52, 0
	v_mov_b32_e32 v10, 0
	s_waitcnt vmcnt(0)
	v_cmp_ne_u16_e64 s[4:5], 0, v11
	s_and_saveexec_b64 s[16:17], s[4:5]
	s_cbranch_execz .LBB197_358
; %bb.353:                              ;   in Loop: Header=BB197_10 Depth=1
	v_cmp_ne_u16_e64 s[4:5], s41, v11
	v_bfrev_b32_e32 v10, 1
	s_and_saveexec_b64 s[34:35], s[4:5]
	s_cbranch_execz .LBB197_357
; %bb.354:                              ;   in Loop: Header=BB197_10 Depth=1
	v_and_b32_e32 v7, 0xffff, v11
	v_and_b32_e32 v53, 0x7f, v7
	v_cmp_ne_u32_e64 s[4:5], s42, v53
	v_mov_b32_e32 v10, 0x7f800001
	s_and_saveexec_b64 s[36:37], s[4:5]
	s_cbranch_execz .LBB197_356
; %bb.355:                              ;   in Loop: Header=BB197_10 Depth=1
	v_and_b32_e32 v10, 7, v7
	v_lshrrev_b32_e32 v55, 3, v53
	v_cmp_gt_u32_e64 s[4:5], 8, v53
	v_ffbh_u32_e32 v53, v10
	v_min_u32_e32 v56, 32, v53
	v_subrev_u32_e32 v53, 28, v56
	v_lshlrev_b64 v[53:54], v53, v[7:8]
	v_sub_u32_e32 v7, 29, v56
	v_and_b32_e32 v53, 7, v53
	v_cndmask_b32_e64 v7, v55, v7, s[4:5]
	v_cndmask_b32_e64 v10, v10, v53, s[4:5]
	v_lshlrev_b32_e32 v11, 24, v11
	v_lshlrev_b32_e32 v10, 20, v10
	v_and_b32_e32 v11, 0x80000000, v11
	v_lshl_add_u32 v7, v7, 23, v63
	v_or3_b32 v10, v11, v7, v10
.LBB197_356:                            ;   in Loop: Header=BB197_10 Depth=1
	s_or_b64 exec, exec, s[36:37]
.LBB197_357:                            ;   in Loop: Header=BB197_10 Depth=1
	s_or_b64 exec, exec, s[34:35]
.LBB197_358:                            ;   in Loop: Header=BB197_10 Depth=1
	s_or_b64 exec, exec, s[16:17]
	global_load_ubyte v11, v[5:6], off offset:3592
	s_waitcnt vmcnt(0)
	v_cmp_ne_u16_e64 s[4:5], 0, v11
	s_and_saveexec_b64 s[16:17], s[4:5]
	s_cbranch_execz .LBB197_364
; %bb.359:                              ;   in Loop: Header=BB197_10 Depth=1
	v_cmp_ne_u16_e64 s[4:5], s41, v11
	v_bfrev_b32_e32 v52, 1
	s_and_saveexec_b64 s[34:35], s[4:5]
	s_cbranch_execz .LBB197_363
; %bb.360:                              ;   in Loop: Header=BB197_10 Depth=1
	v_and_b32_e32 v7, 0xffff, v11
	v_and_b32_e32 v53, 0x7f, v7
	v_cmp_ne_u32_e64 s[4:5], s42, v53
	v_mov_b32_e32 v52, 0x7f800001
	s_and_saveexec_b64 s[36:37], s[4:5]
	s_cbranch_execz .LBB197_362
; %bb.361:                              ;   in Loop: Header=BB197_10 Depth=1
	v_and_b32_e32 v54, 7, v7
	v_ffbh_u32_e32 v52, v54
	v_min_u32_e32 v56, 32, v52
	v_subrev_u32_e32 v52, 28, v56
	v_lshrrev_b32_e32 v55, 3, v53
	v_cmp_gt_u32_e64 s[4:5], 8, v53
	v_lshlrev_b64 v[52:53], v52, v[7:8]
	v_sub_u32_e32 v7, 29, v56
	v_and_b32_e32 v52, 7, v52
	v_cndmask_b32_e64 v7, v55, v7, s[4:5]
	v_cndmask_b32_e64 v52, v54, v52, s[4:5]
	v_lshlrev_b32_e32 v11, 24, v11
	v_lshlrev_b32_e32 v52, 20, v52
	v_and_b32_e32 v11, 0x80000000, v11
	v_lshl_add_u32 v7, v7, 23, v63
	v_or3_b32 v52, v11, v7, v52
.LBB197_362:                            ;   in Loop: Header=BB197_10 Depth=1
	s_or_b64 exec, exec, s[36:37]
.LBB197_363:                            ;   in Loop: Header=BB197_10 Depth=1
	s_or_b64 exec, exec, s[34:35]
.LBB197_364:                            ;   in Loop: Header=BB197_10 Depth=1
	s_or_b64 exec, exec, s[16:17]
	global_load_ubyte v54, v[5:6], off offset:3596
	v_mov_b32_e32 v11, 0
	v_mov_b32_e32 v53, 0
	s_waitcnt vmcnt(0)
	v_cmp_ne_u16_e64 s[4:5], 0, v54
	s_and_saveexec_b64 s[16:17], s[4:5]
	s_cbranch_execz .LBB197_370
; %bb.365:                              ;   in Loop: Header=BB197_10 Depth=1
	v_cmp_ne_u16_e64 s[4:5], s41, v54
	v_bfrev_b32_e32 v53, 1
	s_and_saveexec_b64 s[34:35], s[4:5]
	s_cbranch_execz .LBB197_369
; %bb.366:                              ;   in Loop: Header=BB197_10 Depth=1
	v_and_b32_e32 v7, 0xffff, v54
	v_and_b32_e32 v55, 0x7f, v7
	v_cmp_ne_u32_e64 s[4:5], s42, v55
	v_mov_b32_e32 v53, 0x7f800001
	s_and_saveexec_b64 s[36:37], s[4:5]
	s_cbranch_execz .LBB197_368
; %bb.367:                              ;   in Loop: Header=BB197_10 Depth=1
	v_and_b32_e32 v53, 7, v7
	v_lshrrev_b32_e32 v57, 3, v55
	v_cmp_gt_u32_e64 s[4:5], 8, v55
	v_ffbh_u32_e32 v55, v53
	v_mov_b32_e32 v59, v60
	v_mov_b32_e32 v60, v58
	v_min_u32_e32 v58, 32, v55
	v_subrev_u32_e32 v55, 28, v58
	v_lshlrev_b64 v[55:56], v55, v[7:8]
	v_sub_u32_e32 v7, 29, v58
	v_and_b32_e32 v55, 7, v55
	v_cndmask_b32_e64 v7, v57, v7, s[4:5]
	v_cndmask_b32_e64 v53, v53, v55, s[4:5]
	v_lshlrev_b32_e32 v54, 24, v54
	v_lshlrev_b32_e32 v53, 20, v53
	v_and_b32_e32 v54, 0x80000000, v54
	v_lshl_add_u32 v7, v7, 23, v63
	v_mov_b32_e32 v58, v60
	v_mov_b32_e32 v60, v59
	v_or3_b32 v53, v54, v7, v53
.LBB197_368:                            ;   in Loop: Header=BB197_10 Depth=1
	s_or_b64 exec, exec, s[36:37]
.LBB197_369:                            ;   in Loop: Header=BB197_10 Depth=1
	s_or_b64 exec, exec, s[34:35]
.LBB197_370:                            ;   in Loop: Header=BB197_10 Depth=1
	s_or_b64 exec, exec, s[16:17]
	global_load_ubyte v54, v[5:6], off offset:3840
	s_waitcnt vmcnt(0)
	v_cmp_ne_u16_e64 s[4:5], 0, v54
	s_and_saveexec_b64 s[16:17], s[4:5]
	s_cbranch_execz .LBB197_376
; %bb.371:                              ;   in Loop: Header=BB197_10 Depth=1
	v_cmp_ne_u16_e64 s[4:5], s41, v54
	v_bfrev_b32_e32 v11, 1
	s_and_saveexec_b64 s[34:35], s[4:5]
	s_cbranch_execz .LBB197_375
; %bb.372:                              ;   in Loop: Header=BB197_10 Depth=1
	v_and_b32_e32 v7, 0xffff, v54
	v_and_b32_e32 v55, 0x7f, v7
	v_cmp_ne_u32_e64 s[4:5], s42, v55
	v_mov_b32_e32 v11, 0x7f800001
	s_and_saveexec_b64 s[36:37], s[4:5]
	s_cbranch_execz .LBB197_374
; %bb.373:                              ;   in Loop: Header=BB197_10 Depth=1
	v_and_b32_e32 v11, 7, v7
	v_lshrrev_b32_e32 v57, 3, v55
	v_cmp_gt_u32_e64 s[4:5], 8, v55
	v_ffbh_u32_e32 v55, v11
	v_mov_b32_e32 v59, v60
	v_mov_b32_e32 v60, v58
	v_min_u32_e32 v58, 32, v55
	v_subrev_u32_e32 v55, 28, v58
	v_lshlrev_b64 v[55:56], v55, v[7:8]
	v_sub_u32_e32 v7, 29, v58
	v_and_b32_e32 v55, 7, v55
	v_cndmask_b32_e64 v7, v57, v7, s[4:5]
	v_cndmask_b32_e64 v11, v11, v55, s[4:5]
	v_lshlrev_b32_e32 v54, 24, v54
	v_lshlrev_b32_e32 v11, 20, v11
	v_and_b32_e32 v54, 0x80000000, v54
	v_lshl_add_u32 v7, v7, 23, v63
	v_mov_b32_e32 v58, v60
	v_mov_b32_e32 v60, v59
	v_or3_b32 v11, v54, v7, v11
.LBB197_374:                            ;   in Loop: Header=BB197_10 Depth=1
	s_or_b64 exec, exec, s[36:37]
.LBB197_375:                            ;   in Loop: Header=BB197_10 Depth=1
	s_or_b64 exec, exec, s[34:35]
.LBB197_376:                            ;   in Loop: Header=BB197_10 Depth=1
	s_or_b64 exec, exec, s[16:17]
	global_load_ubyte v56, v[5:6], off offset:3844
	v_mov_b32_e32 v54, 0
	v_mov_b32_e32 v55, 0
	s_waitcnt vmcnt(0)
	v_cmp_ne_u16_e64 s[4:5], 0, v56
	s_and_saveexec_b64 s[16:17], s[4:5]
	s_cbranch_execz .LBB197_382
; %bb.377:                              ;   in Loop: Header=BB197_10 Depth=1
	v_cmp_ne_u16_e64 s[4:5], s41, v56
	v_bfrev_b32_e32 v55, 1
	s_and_saveexec_b64 s[34:35], s[4:5]
	s_cbranch_execz .LBB197_381
; %bb.378:                              ;   in Loop: Header=BB197_10 Depth=1
	v_and_b32_e32 v7, 0xffff, v56
	v_and_b32_e32 v57, 0x7f, v7
	v_cmp_ne_u32_e64 s[4:5], s42, v57
	v_mov_b32_e32 v55, 0x7f800001
	s_and_saveexec_b64 s[36:37], s[4:5]
	s_cbranch_execz .LBB197_380
; %bb.379:                              ;   in Loop: Header=BB197_10 Depth=1
	v_and_b32_e32 v55, 7, v7
	v_lshrrev_b32_e32 v59, 3, v57
	v_cmp_gt_u32_e64 s[4:5], 8, v57
	v_ffbh_u32_e32 v57, v55
	v_mov_b32_e32 v1, v60
	v_min_u32_e32 v60, 32, v57
	v_subrev_u32_e32 v57, 28, v60
	v_mov_b32_e32 v2, v58
	v_lshlrev_b64 v[57:58], v57, v[7:8]
	v_mov_b32_e32 v58, v2
	v_sub_u32_e32 v7, 29, v60
	v_mov_b32_e32 v60, v1
	buffer_load_dword v1, off, s[44:47], 0 offset:324 ; 4-byte Folded Reload
	buffer_load_dword v2, off, s[44:47], 0 offset:328 ; 4-byte Folded Reload
	;; [unrolled: 1-line block ×4, first 2 shown]
	v_and_b32_e32 v57, 7, v57
	v_cndmask_b32_e64 v7, v59, v7, s[4:5]
	v_cndmask_b32_e64 v55, v55, v57, s[4:5]
	v_lshlrev_b32_e32 v56, 24, v56
	v_lshlrev_b32_e32 v55, 20, v55
	v_and_b32_e32 v56, 0x80000000, v56
	v_lshl_add_u32 v7, v7, 23, v63
	v_or3_b32 v55, v56, v7, v55
.LBB197_380:                            ;   in Loop: Header=BB197_10 Depth=1
	s_or_b64 exec, exec, s[36:37]
.LBB197_381:                            ;   in Loop: Header=BB197_10 Depth=1
	s_or_b64 exec, exec, s[34:35]
.LBB197_382:                            ;   in Loop: Header=BB197_10 Depth=1
	s_or_b64 exec, exec, s[16:17]
	global_load_ubyte v56, v[5:6], off offset:3848
	s_waitcnt vmcnt(0)
	v_cmp_ne_u16_e64 s[4:5], 0, v56
	s_and_saveexec_b64 s[16:17], s[4:5]
	s_cbranch_execz .LBB197_388
; %bb.383:                              ;   in Loop: Header=BB197_10 Depth=1
	v_cmp_ne_u16_e64 s[4:5], s41, v56
	v_bfrev_b32_e32 v54, 1
	s_and_saveexec_b64 s[34:35], s[4:5]
	s_cbranch_execz .LBB197_387
; %bb.384:                              ;   in Loop: Header=BB197_10 Depth=1
	v_and_b32_e32 v7, 0xffff, v56
	v_and_b32_e32 v57, 0x7f, v7
	v_cmp_ne_u32_e64 s[4:5], s42, v57
	v_mov_b32_e32 v54, 0x7f800001
	s_and_saveexec_b64 s[36:37], s[4:5]
	s_cbranch_execz .LBB197_386
; %bb.385:                              ;   in Loop: Header=BB197_10 Depth=1
	v_and_b32_e32 v54, 7, v7
	v_lshrrev_b32_e32 v59, 3, v57
	v_cmp_gt_u32_e64 s[4:5], 8, v57
	v_ffbh_u32_e32 v57, v54
	v_mov_b32_e32 v1, v60
	v_min_u32_e32 v60, 32, v57
	v_subrev_u32_e32 v57, 28, v60
	v_mov_b32_e32 v2, v58
	v_lshlrev_b64 v[57:58], v57, v[7:8]
	v_mov_b32_e32 v58, v2
	v_sub_u32_e32 v7, 29, v60
	v_mov_b32_e32 v60, v1
	buffer_load_dword v1, off, s[44:47], 0 offset:324 ; 4-byte Folded Reload
	buffer_load_dword v2, off, s[44:47], 0 offset:328 ; 4-byte Folded Reload
	;; [unrolled: 1-line block ×4, first 2 shown]
	v_and_b32_e32 v57, 7, v57
	v_cndmask_b32_e64 v7, v59, v7, s[4:5]
	v_cndmask_b32_e64 v54, v54, v57, s[4:5]
	v_lshlrev_b32_e32 v56, 24, v56
	v_lshlrev_b32_e32 v54, 20, v54
	v_and_b32_e32 v56, 0x80000000, v56
	v_lshl_add_u32 v7, v7, 23, v63
	v_or3_b32 v54, v56, v7, v54
.LBB197_386:                            ;   in Loop: Header=BB197_10 Depth=1
	s_or_b64 exec, exec, s[36:37]
.LBB197_387:                            ;   in Loop: Header=BB197_10 Depth=1
	s_or_b64 exec, exec, s[34:35]
.LBB197_388:                            ;   in Loop: Header=BB197_10 Depth=1
	s_or_b64 exec, exec, s[16:17]
	global_load_ubyte v7, v[5:6], off offset:3852
	v_mov_b32_e32 v6, 0
	s_waitcnt vmcnt(0)
	v_cmp_ne_u16_e64 s[4:5], 0, v7
	s_and_saveexec_b64 s[16:17], s[4:5]
	s_cbranch_execz .LBB197_394
; %bb.389:                              ;   in Loop: Header=BB197_10 Depth=1
	v_cmp_ne_u16_e64 s[4:5], s41, v7
	v_bfrev_b32_e32 v6, 1
	s_and_saveexec_b64 s[34:35], s[4:5]
	s_cbranch_execz .LBB197_393
; %bb.390:                              ;   in Loop: Header=BB197_10 Depth=1
	v_and_b32_e32 v5, 0xffff, v7
	v_and_b32_e32 v56, 0x7f, v5
	v_cmp_ne_u32_e64 s[4:5], s42, v56
	v_mov_b32_e32 v6, 0x7f800001
	s_and_saveexec_b64 s[36:37], s[4:5]
	s_cbranch_execz .LBB197_392
; %bb.391:                              ;   in Loop: Header=BB197_10 Depth=1
	v_and_b32_e32 v57, 7, v5
	v_ffbh_u32_e32 v6, v57
	v_mov_b32_e32 v59, v60
	v_mov_b32_e32 v60, v58
	v_lshrrev_b32_e32 v58, 3, v56
	v_cmp_gt_u32_e64 s[4:5], 8, v56
	v_min_u32_e32 v56, 32, v6
	v_subrev_u32_e32 v6, 28, v56
	v_lshlrev_b64 v[5:6], v6, v[5:6]
	v_sub_u32_e32 v6, 29, v56
	v_and_b32_e32 v5, 7, v5
	v_cndmask_b32_e64 v6, v58, v6, s[4:5]
	v_cndmask_b32_e64 v5, v57, v5, s[4:5]
	v_lshlrev_b32_e32 v7, 24, v7
	v_lshlrev_b32_e32 v5, 20, v5
	v_and_b32_e32 v7, 0x80000000, v7
	v_lshl_add_u32 v6, v6, 23, v63
	v_mov_b32_e32 v58, v60
	v_mov_b32_e32 v60, v59
	v_or3_b32 v6, v7, v6, v5
.LBB197_392:                            ;   in Loop: Header=BB197_10 Depth=1
	s_or_b64 exec, exec, s[36:37]
.LBB197_393:                            ;   in Loop: Header=BB197_10 Depth=1
	s_or_b64 exec, exec, s[34:35]
.LBB197_394:                            ;   in Loop: Header=BB197_10 Depth=1
	s_or_b64 exec, exec, s[16:17]
	buffer_load_dword v7, off, s[44:47], 0 offset:8 ; 4-byte Folded Reload
	v_mul_f32_e32 v5, s39, v58
	buffer_load_dword v56, off, s[44:47], 0 offset:68 ; 4-byte Folded Reload
	buffer_load_dword v57, off, s[44:47], 0 offset:72 ; 4-byte Folded Reload
	;; [unrolled: 1-line block ×4, first 2 shown]
	v_mul_f32_e32 v6, s39, v6
	s_waitcnt vmcnt(2)
	v_mul_f32_e32 v5, v57, v5
	v_mul_f32_e32 v7, s39, v7
	v_fmac_f32_e32 v5, v56, v7
	buffer_load_dword v7, off, s[44:47], 0 offset:4 ; 4-byte Folded Reload
	s_waitcnt vmcnt(0)
	v_mul_f32_e32 v7, s39, v7
	v_fmac_f32_e32 v5, v58, v7
	buffer_load_dword v7, off, s[44:47], 0 offset:12 ; 4-byte Folded Reload
	s_waitcnt vmcnt(0)
	v_mul_f32_e32 v7, s39, v7
	v_fmac_f32_e32 v5, v59, v7
	buffer_load_dword v56, off, s[44:47], 0 offset:84 ; 4-byte Folded Reload
	buffer_load_dword v57, off, s[44:47], 0 offset:88 ; 4-byte Folded Reload
	;; [unrolled: 1-line block ×4, first 2 shown]
	v_mul_f32_e32 v7, s39, v60
	s_waitcnt vmcnt(3)
	v_fmac_f32_e32 v5, v56, v7
	buffer_load_dword v7, off, s[44:47], 0 offset:20 ; 4-byte Folded Reload
	s_waitcnt vmcnt(0)
	v_mul_f32_e32 v7, s39, v7
	v_fmac_f32_e32 v5, v57, v7
	buffer_load_dword v7, off, s[44:47], 0 offset:16 ; 4-byte Folded Reload
	s_waitcnt vmcnt(0)
	v_mul_f32_e32 v7, s39, v7
	v_fmac_f32_e32 v5, v58, v7
	buffer_load_dword v7, off, s[44:47], 0 offset:28 ; 4-byte Folded Reload
	s_waitcnt vmcnt(0)
	v_mul_f32_e32 v7, s39, v7
	v_fmac_f32_e32 v5, v59, v7
	buffer_load_dword v7, off, s[44:47], 0 offset:24 ; 4-byte Folded Reload
	buffer_load_dword v56, off, s[44:47], 0 offset:100 ; 4-byte Folded Reload
	buffer_load_dword v57, off, s[44:47], 0 offset:104 ; 4-byte Folded Reload
	buffer_load_dword v58, off, s[44:47], 0 offset:108 ; 4-byte Folded Reload
	buffer_load_dword v59, off, s[44:47], 0 offset:112 ; 4-byte Folded Reload
	s_waitcnt vmcnt(4)
	v_mul_f32_e32 v7, s39, v7
	s_waitcnt vmcnt(3)
	v_fmac_f32_e32 v5, v56, v7
	buffer_load_dword v7, off, s[44:47], 0 offset:36 ; 4-byte Folded Reload
	s_waitcnt vmcnt(0)
	v_mul_f32_e32 v7, s39, v7
	v_fmac_f32_e32 v5, v57, v7
	buffer_load_dword v7, off, s[44:47], 0 offset:32 ; 4-byte Folded Reload
	s_waitcnt vmcnt(0)
	v_mul_f32_e32 v7, s39, v7
	v_fmac_f32_e32 v5, v58, v7
	buffer_load_dword v7, off, s[44:47], 0 offset:44 ; 4-byte Folded Reload
	s_waitcnt vmcnt(0)
	v_mul_f32_e32 v7, s39, v7
	v_fmac_f32_e32 v5, v59, v7
	buffer_load_dword v7, off, s[44:47], 0 offset:40 ; 4-byte Folded Reload
	buffer_load_dword v56, off, s[44:47], 0 offset:116 ; 4-byte Folded Reload
	buffer_load_dword v57, off, s[44:47], 0 offset:120 ; 4-byte Folded Reload
	buffer_load_dword v58, off, s[44:47], 0 offset:124 ; 4-byte Folded Reload
	buffer_load_dword v59, off, s[44:47], 0 offset:128 ; 4-byte Folded Reload
	s_waitcnt vmcnt(4)
	;; [unrolled: 21-line block ×3, first 2 shown]
	v_mul_f32_e32 v7, s39, v7
	s_waitcnt vmcnt(3)
	v_fmac_f32_e32 v5, v56, v7
	v_mul_f32_e32 v7, s39, v13
	s_waitcnt vmcnt(2)
	v_fmac_f32_e32 v5, v57, v7
	;; [unrolled: 3-line block ×4, first 2 shown]
	v_mul_f32_e32 v7, s39, v14
	buffer_load_dword v12, off, s[44:47], 0 offset:148 ; 4-byte Folded Reload
	buffer_load_dword v13, off, s[44:47], 0 offset:152 ; 4-byte Folded Reload
	;; [unrolled: 1-line block ×4, first 2 shown]
	s_waitcnt vmcnt(3)
	v_fmac_f32_e32 v5, v12, v7
	v_mul_f32_e32 v7, s39, v17
	s_waitcnt vmcnt(2)
	v_fmac_f32_e32 v5, v13, v7
	v_mul_f32_e32 v7, s39, v16
	s_waitcnt vmcnt(1)
	v_fmac_f32_e32 v5, v14, v7
	v_mul_f32_e32 v7, s39, v19
	s_waitcnt vmcnt(0)
	v_fmac_f32_e32 v5, v15, v7
	buffer_load_dword v12, off, s[44:47], 0 offset:164 ; 4-byte Folded Reload
	buffer_load_dword v13, off, s[44:47], 0 offset:168 ; 4-byte Folded Reload
	buffer_load_dword v14, off, s[44:47], 0 offset:172 ; 4-byte Folded Reload
	buffer_load_dword v15, off, s[44:47], 0 offset:176 ; 4-byte Folded Reload
	v_mul_f32_e32 v7, s39, v18
	s_waitcnt vmcnt(3)
	v_fmac_f32_e32 v5, v12, v7
	v_mul_f32_e32 v7, s39, v21
	s_waitcnt vmcnt(2)
	v_fmac_f32_e32 v5, v13, v7
	v_mul_f32_e32 v7, s39, v20
	s_waitcnt vmcnt(1)
	v_fmac_f32_e32 v5, v14, v7
	v_mul_f32_e32 v7, s39, v23
	s_waitcnt vmcnt(0)
	v_fmac_f32_e32 v5, v15, v7
	buffer_load_dword v12, off, s[44:47], 0 offset:180 ; 4-byte Folded Reload
	buffer_load_dword v13, off, s[44:47], 0 offset:184 ; 4-byte Folded Reload
	buffer_load_dword v14, off, s[44:47], 0 offset:188 ; 4-byte Folded Reload
	buffer_load_dword v15, off, s[44:47], 0 offset:192 ; 4-byte Folded Reload
	v_mul_f32_e32 v7, s39, v22
	;; [unrolled: 16-line block ×9, first 2 shown]
	s_waitcnt vmcnt(3)
	v_fmac_f32_e32 v5, v12, v7
	v_mul_f32_e32 v7, s39, v10
	s_waitcnt vmcnt(2)
	v_fmac_f32_e32 v5, v13, v7
	v_mul_f32_e32 v7, s39, v52
	;; [unrolled: 3-line block ×4, first 2 shown]
	v_fmac_f32_e32 v5, v1, v7
	v_mul_f32_e32 v7, s39, v55
	v_fmac_f32_e32 v5, v2, v7
	v_mul_f32_e32 v7, s39, v54
	v_fmac_f32_e32 v5, v3, v7
	v_fmac_f32_e32 v5, v4, v6
	buffer_load_dword v6, off, s[44:47], 0 offset:276 ; 4-byte Folded Reload
	s_waitcnt vmcnt(0)
	ds_bpermute_b32 v6, v6, v5
	s_waitcnt lgkmcnt(0)
	v_add_f32_e32 v5, v5, v6
	buffer_load_dword v6, off, s[44:47], 0 offset:280 ; 4-byte Folded Reload
	s_waitcnt vmcnt(0)
	ds_bpermute_b32 v6, v6, v5
	s_and_saveexec_b64 s[16:17], vcc
	s_cbranch_execz .LBB197_9
; %bb.395:                              ;   in Loop: Header=BB197_10 Depth=1
	buffer_load_dword v10, off, s[44:47], 0 offset:64 ; 4-byte Folded Reload
	v_add_u32_e32 v7, s40, v8
	v_cvt_f32_i32_e32 v7, v7
	s_waitcnt lgkmcnt(0)
	v_add_f32_e32 v5, v5, v6
	v_cmp_gt_i32_e64 s[4:5], s30, v8
	v_mul_f32_e32 v7, s33, v7
	v_cndmask_b32_e64 v7, 0, v7, s[2:3]
	v_fmac_f32_e32 v7, s31, v5
	v_cndmask_b32_e64 v5, 0, v7, s[4:5]
	ds_write_b32 v0, v5
	s_waitcnt vmcnt(0)
	v_max_f32_e32 v6, v10, v10
	v_max_f32_e32 v5, v6, v7
	v_cndmask_b32_e64 v10, v10, v5, s[4:5]
	buffer_store_dword v10, off, s[44:47], 0 offset:64 ; 4-byte Folded Spill
	s_branch .LBB197_9
.LBB197_396:
	s_or_b64 exec, exec, s[14:15]
	buffer_load_dword v8, off, s[44:47], 0 offset:364 ; 4-byte Folded Reload
	buffer_load_dword v11, off, s[44:47], 0 offset:340 ; 4-byte Folded Reload
	;; [unrolled: 1-line block ×6, first 2 shown]
	s_waitcnt vmcnt(1)
	v_add_u32_e32 v14, 64, v9
.LBB197_397:
	s_or_b64 exec, exec, s[6:7]
	v_xor_b32_e32 v0, 32, v13
	v_cmp_lt_i32_e32 vcc, v0, v14
	v_cndmask_b32_e32 v0, v13, v0, vcc
	v_lshlrev_b32_e32 v0, 2, v0
	s_waitcnt vmcnt(0)
	ds_bpermute_b32 v1, v0, v2
	v_xor_b32_e32 v3, 16, v13
	v_max_f32_e32 v2, v2, v2
	v_cmp_lt_i32_e32 vcc, v3, v14
	v_xor_b32_e32 v4, 8, v13
	s_waitcnt lgkmcnt(0)
	v_max_f32_e32 v1, v1, v1
	v_max_f32_e32 v2, v2, v1
	v_cndmask_b32_e32 v1, v13, v3, vcc
	v_lshlrev_b32_e32 v1, 2, v1
	ds_bpermute_b32 v3, v1, v2
	v_cmp_lt_i32_e32 vcc, v4, v14
	v_xor_b32_e32 v5, 4, v13
	v_and_b32_e32 v22, 63, v8
	s_waitcnt lgkmcnt(0)
	v_max_f32_e32 v3, v3, v3
	v_max_f32_e32 v2, v2, v3
	v_cndmask_b32_e32 v3, v13, v4, vcc
	v_lshlrev_b32_e32 v4, 2, v3
	ds_bpermute_b32 v3, v4, v2
	v_cmp_lt_i32_e32 vcc, v5, v14
	s_waitcnt lgkmcnt(0)
	v_max_f32_e32 v3, v3, v3
	v_max_f32_e32 v3, v2, v3
	v_cndmask_b32_e32 v2, v13, v5, vcc
	v_lshlrev_b32_e32 v5, 2, v2
	buffer_load_dword v2, off, s[44:47], 0  ; 4-byte Folded Reload
	ds_bpermute_b32 v6, v5, v3
	v_cmp_eq_u32_e32 vcc, 0, v22
	s_waitcnt vmcnt(0)
	v_lshlrev_b32_e32 v2, 2, v2
	s_and_saveexec_b64 s[2:3], vcc
	s_cbranch_execz .LBB197_399
; %bb.398:
	s_waitcnt lgkmcnt(0)
	v_max_f32_e32 v6, v6, v6
	v_max_f32_e32 v3, v3, v3
	;; [unrolled: 1-line block ×3, first 2 shown]
	ds_write_b32 v2, v3 offset:1024
.LBB197_399:
	s_or_b64 exec, exec, s[2:3]
	v_cmp_gt_u32_e64 s[2:3], 2, v22
	s_waitcnt lgkmcnt(0)
	v_mov_b32_e32 v6, 0xff7fffff
	v_lshlrev_b32_e32 v3, 2, v22
	s_barrier
	s_and_saveexec_b64 s[4:5], s[2:3]
; %bb.400:
	ds_read_b32 v6, v3 offset:1024
; %bb.401:
	s_or_b64 exec, exec, s[4:5]
	v_xor_b32_e32 v7, 1, v13
	v_cmp_lt_i32_e64 s[4:5], v7, v14
	v_cndmask_b32_e64 v7, v13, v7, s[4:5]
	v_lshlrev_b32_e32 v21, 2, v7
	s_waitcnt lgkmcnt(0)
	ds_bpermute_b32 v7, v21, v6
	v_max_f32_e32 v6, v6, v6
	s_lshl_b32 s4, s21, 4
	s_min_i32 s31, s4, s30
	v_cmp_gt_i32_e64 s[4:5], s31, v8
	s_waitcnt lgkmcnt(0)
	v_max_f32_e32 v7, v7, v7
	v_max_f32_e32 v6, v6, v7
	v_lshlrev_b32_e32 v7, 2, v9
	ds_bpermute_b32 v7, v7, v6
	v_mov_b32_e32 v6, 0
	s_and_saveexec_b64 s[14:15], s[4:5]
	s_cbranch_execz .LBB197_405
; %bb.402:
	v_mov_b32_e32 v6, 0x410
	v_mov_b32_e32 v9, v8
	v_lshl_add_u32 v8, v9, 2, v6
	v_mov_b32_e32 v6, 0
	s_mov_b64 s[16:17], 0
.LBB197_403:                            ; =>This Inner Loop Header: Depth=1
	ds_read_b32 v10, v8
	v_add_u32_e32 v9, 0x80, v9
	v_cmp_le_i32_e64 s[6:7], s31, v9
	s_or_b64 s[16:17], s[6:7], s[16:17]
	s_waitcnt lgkmcnt(0)
	v_sub_f32_e32 v10, v10, v7
	v_mul_f32_e32 v10, 0x3fb8aa3b, v10
	v_exp_f32_e32 v10, v10
	ds_write_b32 v8, v10
	v_add_f32_e32 v6, v6, v10
	v_add_u32_e32 v8, 0x200, v8
	s_andn2_b64 exec, exec, s[16:17]
	s_cbranch_execnz .LBB197_403
; %bb.404:
	s_or_b64 exec, exec, s[16:17]
	buffer_load_dword v8, off, s[44:47], 0 offset:364 ; 4-byte Folded Reload
.LBB197_405:
	s_or_b64 exec, exec, s[14:15]
	ds_bpermute_b32 v0, v0, v6
	s_waitcnt lgkmcnt(0)
	v_add_f32_e32 v0, v6, v0
	ds_bpermute_b32 v1, v1, v0
	s_waitcnt lgkmcnt(0)
	v_add_f32_e32 v0, v0, v1
	ds_bpermute_b32 v1, v4, v0
	v_xor_b32_e32 v4, 2, v13
	v_cmp_lt_i32_e64 s[6:7], v4, v14
	v_cndmask_b32_e64 v4, v13, v4, s[6:7]
	v_lshlrev_b32_e32 v17, 2, v4
	s_waitcnt lgkmcnt(0)
	v_add_f32_e32 v0, v0, v1
	ds_bpermute_b32 v1, v5, v0
	s_waitcnt lgkmcnt(0)
	v_add_f32_e32 v0, v0, v1
	ds_bpermute_b32 v1, v17, v0
	;; [unrolled: 3-line block ×3, first 2 shown]
	s_waitcnt lgkmcnt(0)
	v_add_f32_e32 v0, v0, v1
	s_and_saveexec_b64 s[6:7], vcc
; %bb.406:
	ds_write_b32 v2, v0 offset:1032
; %bb.407:
	s_or_b64 exec, exec, s[6:7]
	s_waitcnt vmcnt(0) lgkmcnt(0)
	s_barrier
	s_and_saveexec_b64 s[6:7], s[2:3]
; %bb.408:
	ds_read_b32 v0, v3 offset:1032
; %bb.409:
	s_or_b64 exec, exec, s[6:7]
	s_waitcnt lgkmcnt(0)
	ds_bpermute_b32 v1, v21, v0
	v_lshlrev_b32_e32 v2, 2, v13
	s_waitcnt lgkmcnt(0)
	v_add_f32_e32 v0, v0, v1
	v_and_b32_e32 v1, 0xffffff00, v2
	ds_bpermute_b32 v0, v1, v0
	s_and_saveexec_b64 s[2:3], s[4:5]
	s_cbranch_execz .LBB197_412
; %bb.410:
	s_waitcnt lgkmcnt(0)
	v_add_f32_e32 v1, 0x358637bd, v0
	v_div_scale_f32 v0, s[4:5], v1, v1, 1.0
	v_div_scale_f32 v2, vcc, 1.0, v1, 1.0
	s_mov_b64 s[4:5], 0
	v_rcp_f32_e32 v3, v0
	v_fma_f32 v4, -v0, v3, 1.0
	v_fmac_f32_e32 v3, v4, v3
	v_mul_f32_e32 v4, v2, v3
	v_fma_f32 v5, -v0, v4, v2
	v_fmac_f32_e32 v4, v5, v3
	v_fma_f32 v0, -v0, v4, v2
	v_div_fmas_f32 v2, v0, v3, v4
	v_mov_b32_e32 v0, 0x410
	v_lshl_add_u32 v0, v8, 2, v0
	v_div_fixup_f32 v1, v2, v1, 1.0
.LBB197_411:                            ; =>This Inner Loop Header: Depth=1
	ds_read_b32 v3, v0
	v_add_u32_e32 v8, 0x80, v8
	v_cmp_le_i32_e32 vcc, s31, v8
	s_or_b64 s[4:5], vcc, s[4:5]
	s_waitcnt lgkmcnt(0)
	v_mul_f32_e32 v3, v1, v3
	ds_write_b32 v0, v3
	v_add_u32_e32 v0, 0x200, v0
	s_andn2_b64 exec, exec, s[4:5]
	s_cbranch_execnz .LBB197_411
.LBB197_412:
	s_or_b64 exec, exec, s[2:3]
	v_mov_b32_e32 v46, 0
	v_mov_b32_e32 v31, 0
	;; [unrolled: 1-line block ×16, first 2 shown]
	s_waitcnt lgkmcnt(0)
	s_barrier
	s_and_saveexec_b64 s[2:3], s[0:1]
	s_cbranch_execz .LBB197_832
; %bb.413:
	buffer_store_dword v17, off, s[44:47], 0 offset:388 ; 4-byte Folded Spill
	buffer_store_dword v21, off, s[44:47], 0 offset:384 ; 4-byte Folded Spill
	;; [unrolled: 1-line block ×3, first 2 shown]
	buffer_load_dword v2, off, s[44:47], 0  ; 4-byte Folded Reload
	v_and_b32_e32 v0, 12, v11
	s_ashr_i32 s1, s12, 31
	s_add_u32 s0, s28, s12
	s_load_dword s17, s[18:19], 0x0
	s_addc_u32 s1, s29, s1
	s_add_i32 s19, s21, -1
	s_lshl_b64 s[4:5], s[26:27], 2
	s_add_u32 s4, s24, s4
	s_addc_u32 s5, s25, s5
	v_mov_b32_e32 v5, 0
	s_mov_b32 s16, s13
	v_and_b32_e32 v28, 0xfc, v11
	s_waitcnt lgkmcnt(0)
	s_mov_b32 s18, s17
	v_or_b32_e32 v54, 0xf00, v11
	s_movk_i32 s24, 0x80
	s_movk_i32 s25, 0x7f
	s_brev_b32 s26, 1
	s_mov_b32 s27, 0xffffff
	v_bfrev_b32_e32 v55, 60
	v_bfrev_b32_e32 v6, 1
	v_mov_b32_e32 v27, 7
	v_mov_b32_e32 v32, v5
	;; [unrolled: 1-line block ×17, first 2 shown]
	s_waitcnt vmcnt(0)
	v_lshlrev_b32_e32 v1, 4, v2
	v_or3_b32 v47, v1, v0, 3
	buffer_load_dword v0, off, s[44:47], 0 offset:368 ; 4-byte Folded Reload
	v_mov_b32_e32 v1, s5
	s_waitcnt vmcnt(0)
	v_lshlrev_b32_e32 v0, 4, v0
	v_lshl_or_b32 v0, v2, 6, v0
	v_add_u32_e32 v53, 0x410, v0
	v_and_b32_e32 v0, 60, v12
	v_add_co_u32_e32 v7, vcc, s4, v0
	v_addc_co_u32_e32 v8, vcc, 0, v1, vcc
	v_mov_b32_e32 v0, s0
	s_mov_b64 s[4:5], 0
	v_mov_b32_e32 v1, s1
	v_mov_b32_e32 v12, 0x7f800001
	buffer_store_dword v0, off, s[44:47], 0 offset:356 ; 4-byte Folded Spill
	s_nop 0
	buffer_store_dword v1, off, s[44:47], 0 offset:360 ; 4-byte Folded Spill
	s_branch .LBB197_415
.LBB197_414:                            ;   in Loop: Header=BB197_415 Depth=1
	s_or_b64 exec, exec, s[0:1]
	s_waitcnt lgkmcnt(0)
	v_mul_f32_e32 v16, v1, v29
	v_fmac_f32_e32 v16, v2, v49
	v_fmac_f32_e32 v16, v3, v23
	v_fmac_f32_e32 v16, v4, v22
	v_add_f32_e32 v33, v33, v16
	v_mul_f32_e32 v16, v1, v51
	v_fmac_f32_e32 v16, v2, v26
	v_fmac_f32_e32 v16, v3, v25
	v_fmac_f32_e32 v16, v4, v24
	v_add_f32_e32 v34, v34, v16
	;; [unrolled: 5-line block ×3, first 2 shown]
	v_mul_f32_e32 v16, v1, v59
	v_fmac_f32_e32 v16, v2, v0
	v_mul_f32_e32 v0, v1, v58
	v_fmac_f32_e32 v0, v2, v48
	v_fmac_f32_e32 v0, v3, v50
	;; [unrolled: 1-line block ×3, first 2 shown]
	v_add_f32_e32 v37, v37, v0
	buffer_load_dword v0, off, s[44:47], 0 offset:352 ; 4-byte Folded Reload
	buffer_load_dword v9, off, s[44:47], 0 offset:340 ; 4-byte Folded Reload
	v_fmac_f32_e32 v16, v3, v57
	v_fmac_f32_e32 v16, v4, v56
	v_add_f32_e32 v36, v36, v16
	v_add_u32_e32 v47, 32, v47
	v_add_u32_e32 v53, 0x80, v53
	s_waitcnt vmcnt(1)
	v_mul_f32_e32 v0, v1, v0
	s_waitcnt vmcnt(0)
	v_fmac_f32_e32 v0, v2, v9
	buffer_load_dword v9, off, s[44:47], 0 offset:348 ; 4-byte Folded Reload
	s_waitcnt vmcnt(0)
	v_fmac_f32_e32 v0, v3, v9
	buffer_load_dword v9, off, s[44:47], 0 offset:344 ; 4-byte Folded Reload
	s_waitcnt vmcnt(0)
	v_fmac_f32_e32 v0, v4, v9
	v_add_f32_e32 v38, v38, v0
	buffer_load_dword v0, off, s[44:47], 0 offset:324 ; 4-byte Folded Reload
	buffer_load_dword v9, off, s[44:47], 0 offset:284 ; 4-byte Folded Reload
	s_waitcnt vmcnt(1)
	v_mul_f32_e32 v0, v1, v0
	s_waitcnt vmcnt(0)
	v_fmac_f32_e32 v0, v2, v9
	buffer_load_dword v9, off, s[44:47], 0 offset:316 ; 4-byte Folded Reload
	s_waitcnt vmcnt(0)
	v_fmac_f32_e32 v0, v3, v9
	buffer_load_dword v9, off, s[44:47], 0 offset:300 ; 4-byte Folded Reload
	s_waitcnt vmcnt(0)
	v_fmac_f32_e32 v0, v4, v9
	v_add_f32_e32 v39, v39, v0
	buffer_load_dword v0, off, s[44:47], 0 offset:280 ; 4-byte Folded Reload
	buffer_load_dword v9, off, s[44:47], 0 offset:244 ; 4-byte Folded Reload
	;; [unrolled: 13-line block ×9, first 2 shown]
	s_waitcnt vmcnt(1)
	v_mul_f32_e32 v0, v1, v0
	v_fmac_f32_e32 v0, v2, v30
	s_waitcnt vmcnt(0)
	v_fmac_f32_e32 v0, v3, v9
	buffer_load_dword v9, off, s[44:47], 0 offset:4 ; 4-byte Folded Reload
	s_waitcnt vmcnt(0)
	v_fmac_f32_e32 v0, v4, v9
	v_add_f32_e32 v46, v46, v0
	v_mul_f32_e32 v0, v1, v15
	v_fmac_f32_e32 v0, v2, v11
	v_fmac_f32_e32 v0, v3, v14
	v_fmac_f32_e32 v0, v4, v13
	v_add_f32_e32 v32, v32, v0
	buffer_load_dword v0, off, s[44:47], 0  ; 4-byte Folded Reload
	s_waitcnt vmcnt(0)
	v_add_u32_e32 v0, 2, v0
	v_cmp_le_i32_e32 vcc, s21, v0
	s_or_b64 s[4:5], vcc, s[4:5]
	v_add_co_u32_e32 v7, vcc, 8, v7
	v_addc_co_u32_e32 v8, vcc, 0, v8, vcc
	buffer_store_dword v0, off, s[44:47], 0 ; 4-byte Folded Spill
	s_andn2_b64 exec, exec, s[4:5]
	s_cbranch_execz .LBB197_831
.LBB197_415:                            ; =>This Inner Loop Header: Depth=1
	global_load_dword v0, v[7:8], off
	buffer_load_dword v1, off, s[44:47], 0 offset:356 ; 4-byte Folded Reload
	buffer_load_dword v2, off, s[44:47], 0 offset:360 ; 4-byte Folded Reload
	v_mov_b32_e32 v20, 0
	v_mov_b32_e32 v18, 0
	;; [unrolled: 1-line block ×4, first 2 shown]
	s_waitcnt vmcnt(0)
	v_mad_i64_i32 v[13:14], s[0:1], v0, s16, v[1:2]
	ds_read_b128 v[1:4], v53
	v_add_co_u32_e32 v15, vcc, v13, v28
	v_addc_co_u32_e32 v16, vcc, 0, v14, vcc
	global_load_dword v17, v[15:16], off
	s_waitcnt vmcnt(0)
	v_cmp_ne_u16_sdwa s[6:7], v17, v5 src0_sel:BYTE_0 src1_sel:DWORD
	s_and_saveexec_b64 s[0:1], s[6:7]
	s_cbranch_execz .LBB197_421
; %bb.416:                              ;   in Loop: Header=BB197_415 Depth=1
	v_bfrev_b32_e32 v18, 1
	v_mov_b32_e32 v19, 0
	v_cmp_ne_u16_sdwa s[12:13], v17, s24 src0_sel:BYTE_0 src1_sel:DWORD
	s_and_saveexec_b64 s[6:7], s[12:13]
	s_cbranch_execz .LBB197_420
; %bb.417:                              ;   in Loop: Header=BB197_415 Depth=1
	v_and_b32_e32 v0, 0x7f, v17
	v_mov_b32_e32 v18, 0x7f800001
	v_mov_b32_e32 v19, 0
	v_cmp_ne_u32_e32 vcc, s25, v0
	s_and_saveexec_b64 s[12:13], vcc
	s_cbranch_execz .LBB197_419
; %bb.418:                              ;   in Loop: Header=BB197_415 Depth=1
	v_and_b32_e32 v11, 7, v17
	v_ffbh_u32_e32 v9, v11
	v_min_u32_e32 v19, 32, v9
	v_lshrrev_b32_e32 v18, 3, v0
	v_subrev_u32_e32 v9, 28, v19
	v_lshlrev_b64 v[9:10], v9, v[17:18]
	v_sub_u32_e32 v10, 29, v19
	v_and_b32_e32 v9, 7, v9
	v_cmp_gt_u32_e32 vcc, 8, v0
	v_cndmask_b32_e32 v0, v18, v10, vcc
	v_cndmask_b32_e32 v9, v11, v9, vcc
	v_lshlrev_b32_e32 v9, 20, v9
	v_and_b32_sdwa v10, sext(v17), s26 dst_sel:DWORD dst_unused:UNUSED_PAD src0_sel:BYTE_0 src1_sel:DWORD
	v_lshl_add_u32 v0, v0, 23, v55
	v_or3_b32 v18, v10, v0, v9
	v_mov_b32_e32 v19, v5
.LBB197_419:                            ;   in Loop: Header=BB197_415 Depth=1
	s_or_b64 exec, exec, s[12:13]
.LBB197_420:                            ;   in Loop: Header=BB197_415 Depth=1
	s_or_b64 exec, exec, s[6:7]
.LBB197_421:                            ;   in Loop: Header=BB197_415 Depth=1
	s_or_b64 exec, exec, s[0:1]
	v_cmp_ne_u16_sdwa s[6:7], v17, v5 src0_sel:BYTE_1 src1_sel:DWORD
	s_and_saveexec_b64 s[0:1], s[6:7]
	s_cbranch_execz .LBB197_427
; %bb.422:                              ;   in Loop: Header=BB197_415 Depth=1
	v_mov_b32_e32 v21, v6
	v_cmp_ne_u16_sdwa s[12:13], v17, s24 src0_sel:BYTE_1 src1_sel:DWORD
	v_mov_b32_e32 v20, v5
	s_and_saveexec_b64 s[6:7], s[12:13]
	s_cbranch_execz .LBB197_426
; %bb.423:                              ;   in Loop: Header=BB197_415 Depth=1
	v_and_b32_sdwa v0, v17, s25 dst_sel:DWORD dst_unused:UNUSED_PAD src0_sel:BYTE_1 src1_sel:DWORD
	v_mov_b32_e32 v11, v5
	v_mov_b32_e32 v21, v12
	v_cmp_ne_u32_e32 vcc, s25, v0
	v_mov_b32_e32 v20, v11
	s_and_saveexec_b64 s[12:13], vcc
	s_cbranch_execz .LBB197_425
; %bb.424:                              ;   in Loop: Header=BB197_415 Depth=1
	v_and_b32_sdwa v9, v17, v27 dst_sel:DWORD dst_unused:UNUSED_PAD src0_sel:BYTE_1 src1_sel:DWORD
	v_ffbh_u32_e32 v11, v9
	v_min_u32_e32 v21, 32, v11
	v_mov_b32_e32 v10, v5
	v_subrev_u32_e32 v11, 28, v21
	v_lshlrev_b64 v[10:11], v11, v[9:10]
	v_lshrrev_b32_e32 v20, 3, v0
	v_sub_u32_e32 v11, 29, v21
	v_cmp_gt_u32_e32 vcc, 8, v0
	v_and_b32_e32 v10, 7, v10
	v_cndmask_b32_e32 v0, v20, v11, vcc
	v_cndmask_b32_e32 v9, v9, v10, vcc
	v_lshlrev_b32_e32 v10, 16, v17
	v_lshl_add_u32 v0, v0, 23, v55
	v_and_or_b32 v0, v10, s26, v0
	v_lshlrev_b32_e32 v9, 20, v9
	v_or_b32_e32 v21, v0, v9
	v_mov_b32_e32 v20, v5
.LBB197_425:                            ;   in Loop: Header=BB197_415 Depth=1
	s_or_b64 exec, exec, s[12:13]
.LBB197_426:                            ;   in Loop: Header=BB197_415 Depth=1
	s_or_b64 exec, exec, s[6:7]
.LBB197_427:                            ;   in Loop: Header=BB197_415 Depth=1
	s_or_b64 exec, exec, s[0:1]
	v_lshrrev_b32_e32 v11, 16, v17
	v_mov_b32_e32 v24, 0
	v_mov_b32_e32 v22, 0
	;; [unrolled: 1-line block ×4, first 2 shown]
	v_cmp_ne_u16_sdwa s[6:7], v11, v5 src0_sel:BYTE_0 src1_sel:DWORD
	s_and_saveexec_b64 s[0:1], s[6:7]
	s_cbranch_execz .LBB197_433
; %bb.428:                              ;   in Loop: Header=BB197_415 Depth=1
	v_bfrev_b32_e32 v22, 1
	v_mov_b32_e32 v23, 0
	v_cmp_ne_u16_sdwa s[12:13], v11, s24 src0_sel:BYTE_0 src1_sel:DWORD
	s_and_saveexec_b64 s[6:7], s[12:13]
	s_cbranch_execz .LBB197_432
; %bb.429:                              ;   in Loop: Header=BB197_415 Depth=1
	v_bfe_u32 v0, v17, 16, 7
	v_mov_b32_e32 v22, 0x7f800001
	v_mov_b32_e32 v23, 0
	v_cmp_ne_u32_e32 vcc, s25, v0
	s_and_saveexec_b64 s[12:13], vcc
	s_cbranch_execz .LBB197_431
; %bb.430:                              ;   in Loop: Header=BB197_415 Depth=1
	v_and_b32_e32 v22, 7, v11
	v_ffbh_u32_e32 v9, v22
	v_min_u32_e32 v26, 32, v9
	v_subrev_u32_e32 v9, 28, v26
	v_lshlrev_b64 v[9:10], v9, v[11:12]
	v_lshrrev_b32_e32 v23, 3, v0
	v_sub_u32_e32 v10, 29, v26
	v_and_b32_e32 v9, 7, v9
	v_cmp_gt_u32_e32 vcc, 8, v0
	v_cndmask_b32_e32 v0, v23, v10, vcc
	v_cndmask_b32_e32 v9, v22, v9, vcc
	v_lshlrev_b32_e32 v9, 20, v9
	v_and_b32_sdwa v10, sext(v11), s26 dst_sel:DWORD dst_unused:UNUSED_PAD src0_sel:BYTE_0 src1_sel:DWORD
	v_lshl_add_u32 v0, v0, 23, v55
	v_or3_b32 v22, v10, v0, v9
	v_mov_b32_e32 v23, v5
.LBB197_431:                            ;   in Loop: Header=BB197_415 Depth=1
	s_or_b64 exec, exec, s[12:13]
.LBB197_432:                            ;   in Loop: Header=BB197_415 Depth=1
	s_or_b64 exec, exec, s[6:7]
.LBB197_433:                            ;   in Loop: Header=BB197_415 Depth=1
	s_or_b64 exec, exec, s[0:1]
	v_cmp_lt_u32_e32 vcc, s27, v17
	s_and_saveexec_b64 s[0:1], vcc
	s_cbranch_execz .LBB197_439
; %bb.434:                              ;   in Loop: Header=BB197_415 Depth=1
	v_mov_b32_e32 v25, v6
	v_cmp_ne_u32_sdwa s[12:13], v17, s24 src0_sel:BYTE_3 src1_sel:DWORD
	v_mov_b32_e32 v24, v5
	s_and_saveexec_b64 s[6:7], s[12:13]
	s_cbranch_execz .LBB197_438
; %bb.435:                              ;   in Loop: Header=BB197_415 Depth=1
	v_bfe_u32 v0, v17, 24, 7
	v_mov_b32_e32 v11, v5
	v_mov_b32_e32 v25, v12
	v_cmp_ne_u32_e32 vcc, s25, v0
	v_mov_b32_e32 v24, v11
	s_and_saveexec_b64 s[12:13], vcc
	s_cbranch_execz .LBB197_437
; %bb.436:                              ;   in Loop: Header=BB197_415 Depth=1
	v_and_b32_sdwa v9, v17, v27 dst_sel:DWORD dst_unused:UNUSED_PAD src0_sel:BYTE_3 src1_sel:DWORD
	v_ffbh_u32_e32 v11, v9
	v_min_u32_e32 v25, 32, v11
	v_mov_b32_e32 v10, v5
	v_subrev_u32_e32 v11, 28, v25
	v_lshlrev_b64 v[10:11], v11, v[9:10]
	v_lshrrev_b32_e32 v24, 3, v0
	v_sub_u32_e32 v11, 29, v25
	v_and_b32_e32 v10, 7, v10
	v_cmp_gt_u32_e32 vcc, 8, v0
	v_cndmask_b32_e32 v0, v24, v11, vcc
	v_cndmask_b32_e32 v9, v9, v10, vcc
	v_mov_b32_e32 v10, 24
	v_lshlrev_b32_sdwa v10, v10, v17 dst_sel:DWORD dst_unused:UNUSED_PAD src0_sel:DWORD src1_sel:BYTE_3
	v_lshl_add_u32 v0, v0, 23, v55
	v_and_or_b32 v0, v10, s26, v0
	v_lshlrev_b32_e32 v9, 20, v9
	v_or_b32_e32 v25, v0, v9
	v_mov_b32_e32 v24, v5
.LBB197_437:                            ;   in Loop: Header=BB197_415 Depth=1
	s_or_b64 exec, exec, s[12:13]
.LBB197_438:                            ;   in Loop: Header=BB197_415 Depth=1
	s_or_b64 exec, exec, s[6:7]
.LBB197_439:                            ;   in Loop: Header=BB197_415 Depth=1
	s_or_b64 exec, exec, s[0:1]
	buffer_load_dword v0, off, s[44:47], 0  ; 4-byte Folded Reload
	v_or_b32_e32 v9, v20, v18
	s_waitcnt vmcnt(0)
	v_cmp_eq_u32_e32 vcc, s19, v0
	v_or_b32_e32 v0, v21, v19
	v_mul_f32_e32 v30, s18, v0
	v_mul_f32_e32 v0, s17, v9
	buffer_store_dword v0, off, s[44:47], 0 offset:12 ; 4-byte Folded Spill
	v_or_b32_e32 v0, v25, v23
	v_or_b32_e32 v9, v24, v22
	v_mul_f32_e32 v9, s17, v9
	v_mul_f32_e32 v0, s18, v0
	buffer_store_dword v9, off, s[44:47], 0 offset:8 ; 4-byte Folded Spill
	buffer_store_dword v0, off, s[44:47], 0 offset:4 ; 4-byte Folded Spill
	s_and_saveexec_b64 s[6:7], vcc
	s_cbranch_execz .LBB197_441
; %bb.440:                              ;   in Loop: Header=BB197_415 Depth=1
	v_add_u32_e32 v0, -3, v47
	v_cmp_gt_i32_e64 s[0:1], s30, v0
	buffer_load_dword v0, off, s[44:47], 0 offset:12 ; 4-byte Folded Reload
	s_waitcnt vmcnt(0)
	v_cndmask_b32_e64 v0, 0, v0, s[0:1]
	buffer_store_dword v0, off, s[44:47], 0 offset:12 ; 4-byte Folded Spill
	v_add_u32_e32 v0, -2, v47
	v_cmp_gt_i32_e64 s[0:1], s30, v0
	v_add_u32_e32 v0, -1, v47
	v_cndmask_b32_e64 v30, 0, v30, s[0:1]
	v_cmp_gt_i32_e64 s[0:1], s30, v0
	buffer_load_dword v0, off, s[44:47], 0 offset:8 ; 4-byte Folded Reload
	s_waitcnt vmcnt(0)
	v_cndmask_b32_e64 v0, 0, v0, s[0:1]
	buffer_store_dword v0, off, s[44:47], 0 offset:8 ; 4-byte Folded Spill
	buffer_load_dword v0, off, s[44:47], 0 offset:4 ; 4-byte Folded Reload
	v_cmp_gt_i32_e64 s[0:1], s30, v47
	s_waitcnt vmcnt(0)
	v_cndmask_b32_e64 v0, 0, v0, s[0:1]
	buffer_store_dword v0, off, s[44:47], 0 offset:4 ; 4-byte Folded Spill
.LBB197_441:                            ;   in Loop: Header=BB197_415 Depth=1
	s_or_b64 exec, exec, s[6:7]
	global_load_dword v17, v[15:16], off offset:256
	v_mov_b32_e32 v20, 0
	v_mov_b32_e32 v18, 0
	;; [unrolled: 1-line block ×4, first 2 shown]
	s_waitcnt vmcnt(0)
	v_cmp_ne_u16_sdwa s[0:1], v17, v5 src0_sel:BYTE_0 src1_sel:DWORD
	s_and_saveexec_b64 s[6:7], s[0:1]
	s_cbranch_execz .LBB197_447
; %bb.442:                              ;   in Loop: Header=BB197_415 Depth=1
	v_bfrev_b32_e32 v18, 1
	v_mov_b32_e32 v19, 0
	v_cmp_ne_u16_sdwa s[0:1], v17, s24 src0_sel:BYTE_0 src1_sel:DWORD
	s_and_saveexec_b64 s[12:13], s[0:1]
	s_cbranch_execz .LBB197_446
; %bb.443:                              ;   in Loop: Header=BB197_415 Depth=1
	v_and_b32_e32 v0, 0x7f, v17
	v_mov_b32_e32 v18, 0x7f800001
	v_mov_b32_e32 v19, 0
	v_cmp_ne_u32_e64 s[0:1], s25, v0
	s_and_saveexec_b64 s[14:15], s[0:1]
	s_cbranch_execz .LBB197_445
; %bb.444:                              ;   in Loop: Header=BB197_415 Depth=1
	v_and_b32_e32 v11, 7, v17
	v_ffbh_u32_e32 v9, v11
	v_min_u32_e32 v19, 32, v9
	v_lshrrev_b32_e32 v18, 3, v0
	v_subrev_u32_e32 v9, 28, v19
	v_lshlrev_b64 v[9:10], v9, v[17:18]
	v_sub_u32_e32 v10, 29, v19
	v_and_b32_e32 v9, 7, v9
	v_cmp_gt_u32_e64 s[0:1], 8, v0
	v_cndmask_b32_e64 v0, v18, v10, s[0:1]
	v_cndmask_b32_e64 v9, v11, v9, s[0:1]
	v_lshlrev_b32_e32 v9, 20, v9
	v_and_b32_sdwa v10, sext(v17), s26 dst_sel:DWORD dst_unused:UNUSED_PAD src0_sel:BYTE_0 src1_sel:DWORD
	v_lshl_add_u32 v0, v0, 23, v55
	v_or3_b32 v18, v10, v0, v9
	v_mov_b32_e32 v19, v5
.LBB197_445:                            ;   in Loop: Header=BB197_415 Depth=1
	s_or_b64 exec, exec, s[14:15]
.LBB197_446:                            ;   in Loop: Header=BB197_415 Depth=1
	s_or_b64 exec, exec, s[12:13]
.LBB197_447:                            ;   in Loop: Header=BB197_415 Depth=1
	s_or_b64 exec, exec, s[6:7]
	v_cmp_ne_u16_sdwa s[0:1], v17, v5 src0_sel:BYTE_1 src1_sel:DWORD
	s_and_saveexec_b64 s[6:7], s[0:1]
	s_cbranch_execz .LBB197_453
; %bb.448:                              ;   in Loop: Header=BB197_415 Depth=1
	v_mov_b32_e32 v21, v6
	v_cmp_ne_u16_sdwa s[0:1], v17, s24 src0_sel:BYTE_1 src1_sel:DWORD
	v_mov_b32_e32 v20, v5
	s_and_saveexec_b64 s[12:13], s[0:1]
	s_cbranch_execz .LBB197_452
; %bb.449:                              ;   in Loop: Header=BB197_415 Depth=1
	v_and_b32_sdwa v0, v17, s25 dst_sel:DWORD dst_unused:UNUSED_PAD src0_sel:BYTE_1 src1_sel:DWORD
	v_mov_b32_e32 v11, v5
	v_mov_b32_e32 v21, v12
	v_cmp_ne_u32_e64 s[0:1], s25, v0
	v_mov_b32_e32 v20, v11
	s_and_saveexec_b64 s[14:15], s[0:1]
	s_cbranch_execz .LBB197_451
; %bb.450:                              ;   in Loop: Header=BB197_415 Depth=1
	v_and_b32_sdwa v9, v17, v27 dst_sel:DWORD dst_unused:UNUSED_PAD src0_sel:BYTE_1 src1_sel:DWORD
	v_ffbh_u32_e32 v11, v9
	v_min_u32_e32 v21, 32, v11
	v_mov_b32_e32 v10, v5
	v_subrev_u32_e32 v11, 28, v21
	v_lshlrev_b64 v[10:11], v11, v[9:10]
	v_lshrrev_b32_e32 v20, 3, v0
	v_sub_u32_e32 v11, 29, v21
	v_cmp_gt_u32_e64 s[0:1], 8, v0
	v_and_b32_e32 v10, 7, v10
	v_cndmask_b32_e64 v0, v20, v11, s[0:1]
	v_cndmask_b32_e64 v9, v9, v10, s[0:1]
	v_lshlrev_b32_e32 v10, 16, v17
	v_lshl_add_u32 v0, v0, 23, v55
	v_and_or_b32 v0, v10, s26, v0
	v_lshlrev_b32_e32 v9, 20, v9
	v_or_b32_e32 v21, v0, v9
	v_mov_b32_e32 v20, v5
.LBB197_451:                            ;   in Loop: Header=BB197_415 Depth=1
	s_or_b64 exec, exec, s[14:15]
.LBB197_452:                            ;   in Loop: Header=BB197_415 Depth=1
	s_or_b64 exec, exec, s[12:13]
.LBB197_453:                            ;   in Loop: Header=BB197_415 Depth=1
	s_or_b64 exec, exec, s[6:7]
	v_lshrrev_b32_e32 v11, 16, v17
	v_mov_b32_e32 v24, 0
	v_mov_b32_e32 v22, 0
	;; [unrolled: 1-line block ×4, first 2 shown]
	v_cmp_ne_u16_sdwa s[0:1], v11, v5 src0_sel:BYTE_0 src1_sel:DWORD
	s_and_saveexec_b64 s[6:7], s[0:1]
	s_cbranch_execz .LBB197_459
; %bb.454:                              ;   in Loop: Header=BB197_415 Depth=1
	v_bfrev_b32_e32 v22, 1
	v_mov_b32_e32 v23, 0
	v_cmp_ne_u16_sdwa s[0:1], v11, s24 src0_sel:BYTE_0 src1_sel:DWORD
	s_and_saveexec_b64 s[12:13], s[0:1]
	s_cbranch_execz .LBB197_458
; %bb.455:                              ;   in Loop: Header=BB197_415 Depth=1
	v_bfe_u32 v0, v17, 16, 7
	v_mov_b32_e32 v22, 0x7f800001
	v_mov_b32_e32 v23, 0
	v_cmp_ne_u32_e64 s[0:1], s25, v0
	s_and_saveexec_b64 s[14:15], s[0:1]
	s_cbranch_execz .LBB197_457
; %bb.456:                              ;   in Loop: Header=BB197_415 Depth=1
	v_and_b32_e32 v22, 7, v11
	v_lshrrev_b32_e32 v23, 3, v0
	v_cmp_gt_u32_e64 s[0:1], 8, v0
	v_ffbh_u32_e32 v0, v22
	v_min_u32_e32 v0, 32, v0
	v_subrev_u32_e32 v9, 28, v0
	v_lshlrev_b64 v[9:10], v9, v[11:12]
	v_sub_u32_e32 v0, 29, v0
	v_and_b32_e32 v9, 7, v9
	v_cndmask_b32_e64 v0, v23, v0, s[0:1]
	v_cndmask_b32_e64 v9, v22, v9, s[0:1]
	v_lshlrev_b32_e32 v9, 20, v9
	v_and_b32_sdwa v10, sext(v11), s26 dst_sel:DWORD dst_unused:UNUSED_PAD src0_sel:BYTE_0 src1_sel:DWORD
	v_lshl_add_u32 v0, v0, 23, v55
	v_or3_b32 v22, v10, v0, v9
	v_mov_b32_e32 v23, v5
.LBB197_457:                            ;   in Loop: Header=BB197_415 Depth=1
	s_or_b64 exec, exec, s[14:15]
.LBB197_458:                            ;   in Loop: Header=BB197_415 Depth=1
	s_or_b64 exec, exec, s[12:13]
.LBB197_459:                            ;   in Loop: Header=BB197_415 Depth=1
	s_or_b64 exec, exec, s[6:7]
	v_cmp_lt_u32_e64 s[0:1], s27, v17
	s_and_saveexec_b64 s[6:7], s[0:1]
	s_cbranch_execz .LBB197_465
; %bb.460:                              ;   in Loop: Header=BB197_415 Depth=1
	v_mov_b32_e32 v25, v6
	v_cmp_ne_u32_sdwa s[0:1], v17, s24 src0_sel:BYTE_3 src1_sel:DWORD
	v_mov_b32_e32 v24, v5
	s_and_saveexec_b64 s[12:13], s[0:1]
	s_cbranch_execz .LBB197_464
; %bb.461:                              ;   in Loop: Header=BB197_415 Depth=1
	v_bfe_u32 v0, v17, 24, 7
	v_mov_b32_e32 v11, v5
	v_mov_b32_e32 v25, v12
	v_cmp_ne_u32_e64 s[0:1], s25, v0
	v_mov_b32_e32 v24, v11
	s_and_saveexec_b64 s[14:15], s[0:1]
	s_cbranch_execz .LBB197_463
; %bb.462:                              ;   in Loop: Header=BB197_415 Depth=1
	v_and_b32_sdwa v9, v17, v27 dst_sel:DWORD dst_unused:UNUSED_PAD src0_sel:BYTE_3 src1_sel:DWORD
	v_lshrrev_b32_e32 v24, 3, v0
	v_cmp_gt_u32_e64 s[0:1], 8, v0
	v_ffbh_u32_e32 v0, v9
	v_min_u32_e32 v0, 32, v0
	v_mov_b32_e32 v10, v5
	v_subrev_u32_e32 v11, 28, v0
	v_lshlrev_b64 v[10:11], v11, v[9:10]
	v_sub_u32_e32 v0, 29, v0
	v_and_b32_e32 v10, 7, v10
	v_cndmask_b32_e64 v0, v24, v0, s[0:1]
	v_cndmask_b32_e64 v9, v9, v10, s[0:1]
	v_mov_b32_e32 v10, 24
	v_lshlrev_b32_sdwa v10, v10, v17 dst_sel:DWORD dst_unused:UNUSED_PAD src0_sel:DWORD src1_sel:BYTE_3
	v_lshl_add_u32 v0, v0, 23, v55
	v_and_or_b32 v0, v10, s26, v0
	v_lshlrev_b32_e32 v9, 20, v9
	v_or_b32_e32 v25, v0, v9
	v_mov_b32_e32 v24, v5
.LBB197_463:                            ;   in Loop: Header=BB197_415 Depth=1
	s_or_b64 exec, exec, s[14:15]
.LBB197_464:                            ;   in Loop: Header=BB197_415 Depth=1
	s_or_b64 exec, exec, s[12:13]
.LBB197_465:                            ;   in Loop: Header=BB197_415 Depth=1
	s_or_b64 exec, exec, s[6:7]
	v_or_b32_e32 v0, v21, v19
	v_or_b32_e32 v9, v20, v18
	v_mul_f32_e32 v0, s18, v0
	buffer_store_dword v0, off, s[44:47], 0 offset:16 ; 4-byte Folded Spill
	v_mul_f32_e32 v0, s17, v9
	buffer_store_dword v0, off, s[44:47], 0 offset:28 ; 4-byte Folded Spill
	v_or_b32_e32 v0, v25, v23
	v_or_b32_e32 v9, v24, v22
	v_mul_f32_e32 v9, s17, v9
	v_mul_f32_e32 v0, s18, v0
	buffer_store_dword v9, off, s[44:47], 0 offset:24 ; 4-byte Folded Spill
	buffer_store_dword v0, off, s[44:47], 0 offset:20 ; 4-byte Folded Spill
	s_and_saveexec_b64 s[6:7], vcc
	s_cbranch_execz .LBB197_467
; %bb.466:                              ;   in Loop: Header=BB197_415 Depth=1
	v_add_u32_e32 v0, -3, v47
	v_cmp_gt_i32_e64 s[0:1], s30, v0
	buffer_load_dword v0, off, s[44:47], 0 offset:28 ; 4-byte Folded Reload
	s_waitcnt vmcnt(0)
	v_cndmask_b32_e64 v0, 0, v0, s[0:1]
	buffer_store_dword v0, off, s[44:47], 0 offset:28 ; 4-byte Folded Spill
	v_add_u32_e32 v0, -2, v47
	v_cmp_gt_i32_e64 s[0:1], s30, v0
	buffer_load_dword v0, off, s[44:47], 0 offset:16 ; 4-byte Folded Reload
	s_waitcnt vmcnt(0)
	v_cndmask_b32_e64 v0, 0, v0, s[0:1]
	buffer_store_dword v0, off, s[44:47], 0 offset:16 ; 4-byte Folded Spill
	;; [unrolled: 6-line block ×3, first 2 shown]
	buffer_load_dword v0, off, s[44:47], 0 offset:20 ; 4-byte Folded Reload
	v_cmp_gt_i32_e64 s[0:1], s30, v47
	s_waitcnt vmcnt(0)
	v_cndmask_b32_e64 v0, 0, v0, s[0:1]
	buffer_store_dword v0, off, s[44:47], 0 offset:20 ; 4-byte Folded Spill
.LBB197_467:                            ;   in Loop: Header=BB197_415 Depth=1
	s_or_b64 exec, exec, s[6:7]
	global_load_dword v17, v[15:16], off offset:512
	v_mov_b32_e32 v20, 0
	v_mov_b32_e32 v18, 0
	;; [unrolled: 1-line block ×4, first 2 shown]
	s_waitcnt vmcnt(0)
	v_cmp_ne_u16_sdwa s[0:1], v17, v5 src0_sel:BYTE_0 src1_sel:DWORD
	s_and_saveexec_b64 s[6:7], s[0:1]
	s_cbranch_execz .LBB197_473
; %bb.468:                              ;   in Loop: Header=BB197_415 Depth=1
	v_bfrev_b32_e32 v18, 1
	v_mov_b32_e32 v19, 0
	v_cmp_ne_u16_sdwa s[0:1], v17, s24 src0_sel:BYTE_0 src1_sel:DWORD
	s_and_saveexec_b64 s[12:13], s[0:1]
	s_cbranch_execz .LBB197_472
; %bb.469:                              ;   in Loop: Header=BB197_415 Depth=1
	v_and_b32_e32 v0, 0x7f, v17
	v_mov_b32_e32 v18, 0x7f800001
	v_mov_b32_e32 v19, 0
	v_cmp_ne_u32_e64 s[0:1], s25, v0
	s_and_saveexec_b64 s[14:15], s[0:1]
	s_cbranch_execz .LBB197_471
; %bb.470:                              ;   in Loop: Header=BB197_415 Depth=1
	v_and_b32_e32 v11, 7, v17
	v_lshrrev_b32_e32 v18, 3, v0
	v_cmp_gt_u32_e64 s[0:1], 8, v0
	v_ffbh_u32_e32 v0, v11
	v_min_u32_e32 v0, 32, v0
	v_subrev_u32_e32 v9, 28, v0
	v_lshlrev_b64 v[9:10], v9, v[17:18]
	v_sub_u32_e32 v0, 29, v0
	v_and_b32_e32 v9, 7, v9
	v_cndmask_b32_e64 v0, v18, v0, s[0:1]
	v_cndmask_b32_e64 v9, v11, v9, s[0:1]
	v_lshlrev_b32_e32 v9, 20, v9
	v_and_b32_sdwa v10, sext(v17), s26 dst_sel:DWORD dst_unused:UNUSED_PAD src0_sel:BYTE_0 src1_sel:DWORD
	v_lshl_add_u32 v0, v0, 23, v55
	v_or3_b32 v18, v10, v0, v9
	v_mov_b32_e32 v19, v5
.LBB197_471:                            ;   in Loop: Header=BB197_415 Depth=1
	s_or_b64 exec, exec, s[14:15]
.LBB197_472:                            ;   in Loop: Header=BB197_415 Depth=1
	s_or_b64 exec, exec, s[12:13]
.LBB197_473:                            ;   in Loop: Header=BB197_415 Depth=1
	s_or_b64 exec, exec, s[6:7]
	v_cmp_ne_u16_sdwa s[0:1], v17, v5 src0_sel:BYTE_1 src1_sel:DWORD
	s_and_saveexec_b64 s[6:7], s[0:1]
	s_cbranch_execz .LBB197_479
; %bb.474:                              ;   in Loop: Header=BB197_415 Depth=1
	v_mov_b32_e32 v21, v6
	v_cmp_ne_u16_sdwa s[0:1], v17, s24 src0_sel:BYTE_1 src1_sel:DWORD
	v_mov_b32_e32 v20, v5
	s_and_saveexec_b64 s[12:13], s[0:1]
	s_cbranch_execz .LBB197_478
; %bb.475:                              ;   in Loop: Header=BB197_415 Depth=1
	v_and_b32_sdwa v0, v17, s25 dst_sel:DWORD dst_unused:UNUSED_PAD src0_sel:BYTE_1 src1_sel:DWORD
	v_mov_b32_e32 v11, v5
	v_mov_b32_e32 v21, v12
	v_cmp_ne_u32_e64 s[0:1], s25, v0
	v_mov_b32_e32 v20, v11
	s_and_saveexec_b64 s[14:15], s[0:1]
	s_cbranch_execz .LBB197_477
; %bb.476:                              ;   in Loop: Header=BB197_415 Depth=1
	v_and_b32_sdwa v9, v17, v27 dst_sel:DWORD dst_unused:UNUSED_PAD src0_sel:BYTE_1 src1_sel:DWORD
	v_lshrrev_b32_e32 v20, 3, v0
	v_cmp_gt_u32_e64 s[0:1], 8, v0
	v_ffbh_u32_e32 v0, v9
	v_min_u32_e32 v0, 32, v0
	v_mov_b32_e32 v10, v5
	v_subrev_u32_e32 v11, 28, v0
	v_lshlrev_b64 v[10:11], v11, v[9:10]
	v_sub_u32_e32 v0, 29, v0
	v_and_b32_e32 v10, 7, v10
	v_cndmask_b32_e64 v0, v20, v0, s[0:1]
	v_cndmask_b32_e64 v9, v9, v10, s[0:1]
	v_lshlrev_b32_e32 v10, 16, v17
	v_lshl_add_u32 v0, v0, 23, v55
	v_and_or_b32 v0, v10, s26, v0
	v_lshlrev_b32_e32 v9, 20, v9
	v_or_b32_e32 v21, v0, v9
	v_mov_b32_e32 v20, v5
.LBB197_477:                            ;   in Loop: Header=BB197_415 Depth=1
	s_or_b64 exec, exec, s[14:15]
.LBB197_478:                            ;   in Loop: Header=BB197_415 Depth=1
	s_or_b64 exec, exec, s[12:13]
.LBB197_479:                            ;   in Loop: Header=BB197_415 Depth=1
	s_or_b64 exec, exec, s[6:7]
	v_lshrrev_b32_e32 v11, 16, v17
	v_mov_b32_e32 v24, 0
	v_mov_b32_e32 v22, 0
	;; [unrolled: 1-line block ×4, first 2 shown]
	v_cmp_ne_u16_sdwa s[0:1], v11, v5 src0_sel:BYTE_0 src1_sel:DWORD
	s_and_saveexec_b64 s[6:7], s[0:1]
	s_cbranch_execz .LBB197_485
; %bb.480:                              ;   in Loop: Header=BB197_415 Depth=1
	v_bfrev_b32_e32 v22, 1
	v_mov_b32_e32 v23, 0
	v_cmp_ne_u16_sdwa s[0:1], v11, s24 src0_sel:BYTE_0 src1_sel:DWORD
	s_and_saveexec_b64 s[12:13], s[0:1]
	s_cbranch_execz .LBB197_484
; %bb.481:                              ;   in Loop: Header=BB197_415 Depth=1
	v_bfe_u32 v0, v17, 16, 7
	v_mov_b32_e32 v22, 0x7f800001
	v_mov_b32_e32 v23, 0
	v_cmp_ne_u32_e64 s[0:1], s25, v0
	s_and_saveexec_b64 s[14:15], s[0:1]
	s_cbranch_execz .LBB197_483
; %bb.482:                              ;   in Loop: Header=BB197_415 Depth=1
	v_and_b32_e32 v22, 7, v11
	v_lshrrev_b32_e32 v23, 3, v0
	v_cmp_gt_u32_e64 s[0:1], 8, v0
	v_ffbh_u32_e32 v0, v22
	v_min_u32_e32 v0, 32, v0
	v_subrev_u32_e32 v9, 28, v0
	v_lshlrev_b64 v[9:10], v9, v[11:12]
	v_sub_u32_e32 v0, 29, v0
	v_and_b32_e32 v9, 7, v9
	v_cndmask_b32_e64 v0, v23, v0, s[0:1]
	v_cndmask_b32_e64 v9, v22, v9, s[0:1]
	v_lshlrev_b32_e32 v9, 20, v9
	v_and_b32_sdwa v10, sext(v11), s26 dst_sel:DWORD dst_unused:UNUSED_PAD src0_sel:BYTE_0 src1_sel:DWORD
	v_lshl_add_u32 v0, v0, 23, v55
	v_or3_b32 v22, v10, v0, v9
	v_mov_b32_e32 v23, v5
.LBB197_483:                            ;   in Loop: Header=BB197_415 Depth=1
	s_or_b64 exec, exec, s[14:15]
.LBB197_484:                            ;   in Loop: Header=BB197_415 Depth=1
	s_or_b64 exec, exec, s[12:13]
.LBB197_485:                            ;   in Loop: Header=BB197_415 Depth=1
	s_or_b64 exec, exec, s[6:7]
	v_cmp_lt_u32_e64 s[0:1], s27, v17
	s_and_saveexec_b64 s[6:7], s[0:1]
	s_cbranch_execz .LBB197_491
; %bb.486:                              ;   in Loop: Header=BB197_415 Depth=1
	v_mov_b32_e32 v25, v6
	v_cmp_ne_u32_sdwa s[0:1], v17, s24 src0_sel:BYTE_3 src1_sel:DWORD
	v_mov_b32_e32 v24, v5
	s_and_saveexec_b64 s[12:13], s[0:1]
	s_cbranch_execz .LBB197_490
; %bb.487:                              ;   in Loop: Header=BB197_415 Depth=1
	v_bfe_u32 v0, v17, 24, 7
	v_mov_b32_e32 v11, v5
	v_mov_b32_e32 v25, v12
	v_cmp_ne_u32_e64 s[0:1], s25, v0
	v_mov_b32_e32 v24, v11
	s_and_saveexec_b64 s[14:15], s[0:1]
	s_cbranch_execz .LBB197_489
; %bb.488:                              ;   in Loop: Header=BB197_415 Depth=1
	v_and_b32_sdwa v9, v17, v27 dst_sel:DWORD dst_unused:UNUSED_PAD src0_sel:BYTE_3 src1_sel:DWORD
	v_lshrrev_b32_e32 v24, 3, v0
	v_cmp_gt_u32_e64 s[0:1], 8, v0
	v_ffbh_u32_e32 v0, v9
	v_min_u32_e32 v0, 32, v0
	v_mov_b32_e32 v10, v5
	v_subrev_u32_e32 v11, 28, v0
	v_lshlrev_b64 v[10:11], v11, v[9:10]
	v_sub_u32_e32 v0, 29, v0
	v_and_b32_e32 v10, 7, v10
	v_cndmask_b32_e64 v0, v24, v0, s[0:1]
	v_cndmask_b32_e64 v9, v9, v10, s[0:1]
	v_mov_b32_e32 v10, 24
	v_lshlrev_b32_sdwa v10, v10, v17 dst_sel:DWORD dst_unused:UNUSED_PAD src0_sel:DWORD src1_sel:BYTE_3
	v_lshl_add_u32 v0, v0, 23, v55
	v_and_or_b32 v0, v10, s26, v0
	v_lshlrev_b32_e32 v9, 20, v9
	v_or_b32_e32 v25, v0, v9
	v_mov_b32_e32 v24, v5
.LBB197_489:                            ;   in Loop: Header=BB197_415 Depth=1
	s_or_b64 exec, exec, s[14:15]
.LBB197_490:                            ;   in Loop: Header=BB197_415 Depth=1
	s_or_b64 exec, exec, s[12:13]
.LBB197_491:                            ;   in Loop: Header=BB197_415 Depth=1
	s_or_b64 exec, exec, s[6:7]
	v_or_b32_e32 v0, v21, v19
	v_or_b32_e32 v9, v20, v18
	v_mul_f32_e32 v0, s18, v0
	buffer_store_dword v0, off, s[44:47], 0 offset:32 ; 4-byte Folded Spill
	v_mul_f32_e32 v0, s17, v9
	buffer_store_dword v0, off, s[44:47], 0 offset:44 ; 4-byte Folded Spill
	v_or_b32_e32 v0, v25, v23
	v_or_b32_e32 v9, v24, v22
	v_mul_f32_e32 v9, s17, v9
	v_mul_f32_e32 v0, s18, v0
	buffer_store_dword v9, off, s[44:47], 0 offset:40 ; 4-byte Folded Spill
	buffer_store_dword v0, off, s[44:47], 0 offset:36 ; 4-byte Folded Spill
	s_and_saveexec_b64 s[6:7], vcc
	s_cbranch_execz .LBB197_493
; %bb.492:                              ;   in Loop: Header=BB197_415 Depth=1
	v_add_u32_e32 v0, -3, v47
	v_cmp_gt_i32_e64 s[0:1], s30, v0
	buffer_load_dword v0, off, s[44:47], 0 offset:44 ; 4-byte Folded Reload
	s_waitcnt vmcnt(0)
	v_cndmask_b32_e64 v0, 0, v0, s[0:1]
	buffer_store_dword v0, off, s[44:47], 0 offset:44 ; 4-byte Folded Spill
	v_add_u32_e32 v0, -2, v47
	v_cmp_gt_i32_e64 s[0:1], s30, v0
	buffer_load_dword v0, off, s[44:47], 0 offset:32 ; 4-byte Folded Reload
	s_waitcnt vmcnt(0)
	v_cndmask_b32_e64 v0, 0, v0, s[0:1]
	buffer_store_dword v0, off, s[44:47], 0 offset:32 ; 4-byte Folded Spill
	;; [unrolled: 6-line block ×3, first 2 shown]
	buffer_load_dword v0, off, s[44:47], 0 offset:36 ; 4-byte Folded Reload
	v_cmp_gt_i32_e64 s[0:1], s30, v47
	s_waitcnt vmcnt(0)
	v_cndmask_b32_e64 v0, 0, v0, s[0:1]
	buffer_store_dword v0, off, s[44:47], 0 offset:36 ; 4-byte Folded Spill
.LBB197_493:                            ;   in Loop: Header=BB197_415 Depth=1
	s_or_b64 exec, exec, s[6:7]
	global_load_dword v17, v[15:16], off offset:768
	v_mov_b32_e32 v20, 0
	v_mov_b32_e32 v18, 0
	;; [unrolled: 1-line block ×4, first 2 shown]
	s_waitcnt vmcnt(0)
	v_cmp_ne_u16_sdwa s[0:1], v17, v5 src0_sel:BYTE_0 src1_sel:DWORD
	s_and_saveexec_b64 s[6:7], s[0:1]
	s_cbranch_execz .LBB197_499
; %bb.494:                              ;   in Loop: Header=BB197_415 Depth=1
	v_bfrev_b32_e32 v18, 1
	v_mov_b32_e32 v19, 0
	v_cmp_ne_u16_sdwa s[0:1], v17, s24 src0_sel:BYTE_0 src1_sel:DWORD
	s_and_saveexec_b64 s[12:13], s[0:1]
	s_cbranch_execz .LBB197_498
; %bb.495:                              ;   in Loop: Header=BB197_415 Depth=1
	v_and_b32_e32 v0, 0x7f, v17
	v_mov_b32_e32 v18, 0x7f800001
	v_mov_b32_e32 v19, 0
	v_cmp_ne_u32_e64 s[0:1], s25, v0
	s_and_saveexec_b64 s[14:15], s[0:1]
	s_cbranch_execz .LBB197_497
; %bb.496:                              ;   in Loop: Header=BB197_415 Depth=1
	v_and_b32_e32 v11, 7, v17
	v_lshrrev_b32_e32 v18, 3, v0
	v_cmp_gt_u32_e64 s[0:1], 8, v0
	v_ffbh_u32_e32 v0, v11
	v_min_u32_e32 v0, 32, v0
	v_subrev_u32_e32 v9, 28, v0
	v_lshlrev_b64 v[9:10], v9, v[17:18]
	v_sub_u32_e32 v0, 29, v0
	v_and_b32_e32 v9, 7, v9
	v_cndmask_b32_e64 v0, v18, v0, s[0:1]
	v_cndmask_b32_e64 v9, v11, v9, s[0:1]
	v_lshlrev_b32_e32 v9, 20, v9
	v_and_b32_sdwa v10, sext(v17), s26 dst_sel:DWORD dst_unused:UNUSED_PAD src0_sel:BYTE_0 src1_sel:DWORD
	v_lshl_add_u32 v0, v0, 23, v55
	v_or3_b32 v18, v10, v0, v9
	v_mov_b32_e32 v19, v5
.LBB197_497:                            ;   in Loop: Header=BB197_415 Depth=1
	s_or_b64 exec, exec, s[14:15]
.LBB197_498:                            ;   in Loop: Header=BB197_415 Depth=1
	s_or_b64 exec, exec, s[12:13]
.LBB197_499:                            ;   in Loop: Header=BB197_415 Depth=1
	s_or_b64 exec, exec, s[6:7]
	v_cmp_ne_u16_sdwa s[0:1], v17, v5 src0_sel:BYTE_1 src1_sel:DWORD
	s_and_saveexec_b64 s[6:7], s[0:1]
	s_cbranch_execz .LBB197_505
; %bb.500:                              ;   in Loop: Header=BB197_415 Depth=1
	v_mov_b32_e32 v21, v6
	v_cmp_ne_u16_sdwa s[0:1], v17, s24 src0_sel:BYTE_1 src1_sel:DWORD
	v_mov_b32_e32 v20, v5
	s_and_saveexec_b64 s[12:13], s[0:1]
	s_cbranch_execz .LBB197_504
; %bb.501:                              ;   in Loop: Header=BB197_415 Depth=1
	v_and_b32_sdwa v0, v17, s25 dst_sel:DWORD dst_unused:UNUSED_PAD src0_sel:BYTE_1 src1_sel:DWORD
	v_mov_b32_e32 v11, v5
	v_mov_b32_e32 v21, v12
	v_cmp_ne_u32_e64 s[0:1], s25, v0
	v_mov_b32_e32 v20, v11
	s_and_saveexec_b64 s[14:15], s[0:1]
	s_cbranch_execz .LBB197_503
; %bb.502:                              ;   in Loop: Header=BB197_415 Depth=1
	v_and_b32_sdwa v9, v17, v27 dst_sel:DWORD dst_unused:UNUSED_PAD src0_sel:BYTE_1 src1_sel:DWORD
	v_lshrrev_b32_e32 v20, 3, v0
	v_cmp_gt_u32_e64 s[0:1], 8, v0
	v_ffbh_u32_e32 v0, v9
	v_min_u32_e32 v0, 32, v0
	v_mov_b32_e32 v10, v5
	v_subrev_u32_e32 v11, 28, v0
	v_lshlrev_b64 v[10:11], v11, v[9:10]
	v_sub_u32_e32 v0, 29, v0
	v_and_b32_e32 v10, 7, v10
	v_cndmask_b32_e64 v0, v20, v0, s[0:1]
	v_cndmask_b32_e64 v9, v9, v10, s[0:1]
	v_lshlrev_b32_e32 v10, 16, v17
	v_lshl_add_u32 v0, v0, 23, v55
	v_and_or_b32 v0, v10, s26, v0
	v_lshlrev_b32_e32 v9, 20, v9
	v_or_b32_e32 v21, v0, v9
	v_mov_b32_e32 v20, v5
.LBB197_503:                            ;   in Loop: Header=BB197_415 Depth=1
	s_or_b64 exec, exec, s[14:15]
.LBB197_504:                            ;   in Loop: Header=BB197_415 Depth=1
	s_or_b64 exec, exec, s[12:13]
.LBB197_505:                            ;   in Loop: Header=BB197_415 Depth=1
	s_or_b64 exec, exec, s[6:7]
	v_lshrrev_b32_e32 v11, 16, v17
	v_mov_b32_e32 v24, 0
	v_mov_b32_e32 v22, 0
	;; [unrolled: 1-line block ×4, first 2 shown]
	v_cmp_ne_u16_sdwa s[0:1], v11, v5 src0_sel:BYTE_0 src1_sel:DWORD
	s_and_saveexec_b64 s[6:7], s[0:1]
	s_cbranch_execz .LBB197_511
; %bb.506:                              ;   in Loop: Header=BB197_415 Depth=1
	v_bfrev_b32_e32 v22, 1
	v_mov_b32_e32 v23, 0
	v_cmp_ne_u16_sdwa s[0:1], v11, s24 src0_sel:BYTE_0 src1_sel:DWORD
	s_and_saveexec_b64 s[12:13], s[0:1]
	s_cbranch_execz .LBB197_510
; %bb.507:                              ;   in Loop: Header=BB197_415 Depth=1
	v_bfe_u32 v0, v17, 16, 7
	v_mov_b32_e32 v22, 0x7f800001
	v_mov_b32_e32 v23, 0
	v_cmp_ne_u32_e64 s[0:1], s25, v0
	s_and_saveexec_b64 s[14:15], s[0:1]
	s_cbranch_execz .LBB197_509
; %bb.508:                              ;   in Loop: Header=BB197_415 Depth=1
	v_and_b32_e32 v22, 7, v11
	v_lshrrev_b32_e32 v23, 3, v0
	v_cmp_gt_u32_e64 s[0:1], 8, v0
	v_ffbh_u32_e32 v0, v22
	v_min_u32_e32 v0, 32, v0
	v_subrev_u32_e32 v9, 28, v0
	v_lshlrev_b64 v[9:10], v9, v[11:12]
	v_sub_u32_e32 v0, 29, v0
	v_and_b32_e32 v9, 7, v9
	v_cndmask_b32_e64 v0, v23, v0, s[0:1]
	v_cndmask_b32_e64 v9, v22, v9, s[0:1]
	v_lshlrev_b32_e32 v9, 20, v9
	v_and_b32_sdwa v10, sext(v11), s26 dst_sel:DWORD dst_unused:UNUSED_PAD src0_sel:BYTE_0 src1_sel:DWORD
	v_lshl_add_u32 v0, v0, 23, v55
	v_or3_b32 v22, v10, v0, v9
	v_mov_b32_e32 v23, v5
.LBB197_509:                            ;   in Loop: Header=BB197_415 Depth=1
	s_or_b64 exec, exec, s[14:15]
.LBB197_510:                            ;   in Loop: Header=BB197_415 Depth=1
	s_or_b64 exec, exec, s[12:13]
.LBB197_511:                            ;   in Loop: Header=BB197_415 Depth=1
	s_or_b64 exec, exec, s[6:7]
	v_cmp_lt_u32_e64 s[0:1], s27, v17
	s_and_saveexec_b64 s[6:7], s[0:1]
	s_cbranch_execz .LBB197_517
; %bb.512:                              ;   in Loop: Header=BB197_415 Depth=1
	v_mov_b32_e32 v25, v6
	v_cmp_ne_u32_sdwa s[0:1], v17, s24 src0_sel:BYTE_3 src1_sel:DWORD
	v_mov_b32_e32 v24, v5
	s_and_saveexec_b64 s[12:13], s[0:1]
	s_cbranch_execz .LBB197_516
; %bb.513:                              ;   in Loop: Header=BB197_415 Depth=1
	v_bfe_u32 v0, v17, 24, 7
	v_mov_b32_e32 v11, v5
	v_mov_b32_e32 v25, v12
	v_cmp_ne_u32_e64 s[0:1], s25, v0
	v_mov_b32_e32 v24, v11
	s_and_saveexec_b64 s[14:15], s[0:1]
	s_cbranch_execz .LBB197_515
; %bb.514:                              ;   in Loop: Header=BB197_415 Depth=1
	v_and_b32_sdwa v9, v17, v27 dst_sel:DWORD dst_unused:UNUSED_PAD src0_sel:BYTE_3 src1_sel:DWORD
	v_lshrrev_b32_e32 v24, 3, v0
	v_cmp_gt_u32_e64 s[0:1], 8, v0
	v_ffbh_u32_e32 v0, v9
	v_min_u32_e32 v0, 32, v0
	v_mov_b32_e32 v10, v5
	v_subrev_u32_e32 v11, 28, v0
	v_lshlrev_b64 v[10:11], v11, v[9:10]
	v_sub_u32_e32 v0, 29, v0
	v_and_b32_e32 v10, 7, v10
	v_cndmask_b32_e64 v0, v24, v0, s[0:1]
	v_cndmask_b32_e64 v9, v9, v10, s[0:1]
	v_mov_b32_e32 v10, 24
	v_lshlrev_b32_sdwa v10, v10, v17 dst_sel:DWORD dst_unused:UNUSED_PAD src0_sel:DWORD src1_sel:BYTE_3
	v_lshl_add_u32 v0, v0, 23, v55
	v_and_or_b32 v0, v10, s26, v0
	v_lshlrev_b32_e32 v9, 20, v9
	v_or_b32_e32 v25, v0, v9
	v_mov_b32_e32 v24, v5
.LBB197_515:                            ;   in Loop: Header=BB197_415 Depth=1
	s_or_b64 exec, exec, s[14:15]
.LBB197_516:                            ;   in Loop: Header=BB197_415 Depth=1
	s_or_b64 exec, exec, s[12:13]
.LBB197_517:                            ;   in Loop: Header=BB197_415 Depth=1
	s_or_b64 exec, exec, s[6:7]
	v_or_b32_e32 v0, v21, v19
	v_or_b32_e32 v9, v20, v18
	v_mul_f32_e32 v0, s18, v0
	buffer_store_dword v0, off, s[44:47], 0 offset:48 ; 4-byte Folded Spill
	v_mul_f32_e32 v0, s17, v9
	buffer_store_dword v0, off, s[44:47], 0 offset:60 ; 4-byte Folded Spill
	v_or_b32_e32 v0, v25, v23
	v_or_b32_e32 v9, v24, v22
	v_mul_f32_e32 v9, s17, v9
	v_mul_f32_e32 v0, s18, v0
	buffer_store_dword v9, off, s[44:47], 0 offset:56 ; 4-byte Folded Spill
	buffer_store_dword v0, off, s[44:47], 0 offset:52 ; 4-byte Folded Spill
	s_and_saveexec_b64 s[6:7], vcc
	s_cbranch_execz .LBB197_519
; %bb.518:                              ;   in Loop: Header=BB197_415 Depth=1
	v_add_u32_e32 v0, -3, v47
	v_cmp_gt_i32_e64 s[0:1], s30, v0
	buffer_load_dword v0, off, s[44:47], 0 offset:60 ; 4-byte Folded Reload
	s_waitcnt vmcnt(0)
	v_cndmask_b32_e64 v0, 0, v0, s[0:1]
	buffer_store_dword v0, off, s[44:47], 0 offset:60 ; 4-byte Folded Spill
	v_add_u32_e32 v0, -2, v47
	v_cmp_gt_i32_e64 s[0:1], s30, v0
	buffer_load_dword v0, off, s[44:47], 0 offset:48 ; 4-byte Folded Reload
	s_waitcnt vmcnt(0)
	v_cndmask_b32_e64 v0, 0, v0, s[0:1]
	buffer_store_dword v0, off, s[44:47], 0 offset:48 ; 4-byte Folded Spill
	;; [unrolled: 6-line block ×3, first 2 shown]
	buffer_load_dword v0, off, s[44:47], 0 offset:52 ; 4-byte Folded Reload
	v_cmp_gt_i32_e64 s[0:1], s30, v47
	s_waitcnt vmcnt(0)
	v_cndmask_b32_e64 v0, 0, v0, s[0:1]
	buffer_store_dword v0, off, s[44:47], 0 offset:52 ; 4-byte Folded Spill
.LBB197_519:                            ;   in Loop: Header=BB197_415 Depth=1
	s_or_b64 exec, exec, s[6:7]
	global_load_dword v17, v[15:16], off offset:1024
	v_mov_b32_e32 v20, 0
	v_mov_b32_e32 v18, 0
	;; [unrolled: 1-line block ×4, first 2 shown]
	s_waitcnt vmcnt(0)
	v_cmp_ne_u16_sdwa s[0:1], v17, v5 src0_sel:BYTE_0 src1_sel:DWORD
	s_and_saveexec_b64 s[6:7], s[0:1]
	s_cbranch_execz .LBB197_525
; %bb.520:                              ;   in Loop: Header=BB197_415 Depth=1
	v_bfrev_b32_e32 v18, 1
	v_mov_b32_e32 v19, 0
	v_cmp_ne_u16_sdwa s[0:1], v17, s24 src0_sel:BYTE_0 src1_sel:DWORD
	s_and_saveexec_b64 s[12:13], s[0:1]
	s_cbranch_execz .LBB197_524
; %bb.521:                              ;   in Loop: Header=BB197_415 Depth=1
	v_and_b32_e32 v0, 0x7f, v17
	v_mov_b32_e32 v18, 0x7f800001
	v_mov_b32_e32 v19, 0
	v_cmp_ne_u32_e64 s[0:1], s25, v0
	s_and_saveexec_b64 s[14:15], s[0:1]
	s_cbranch_execz .LBB197_523
; %bb.522:                              ;   in Loop: Header=BB197_415 Depth=1
	v_and_b32_e32 v11, 7, v17
	v_lshrrev_b32_e32 v18, 3, v0
	v_cmp_gt_u32_e64 s[0:1], 8, v0
	v_ffbh_u32_e32 v0, v11
	v_min_u32_e32 v0, 32, v0
	v_subrev_u32_e32 v9, 28, v0
	v_lshlrev_b64 v[9:10], v9, v[17:18]
	v_sub_u32_e32 v0, 29, v0
	v_and_b32_e32 v9, 7, v9
	v_cndmask_b32_e64 v0, v18, v0, s[0:1]
	v_cndmask_b32_e64 v9, v11, v9, s[0:1]
	v_lshlrev_b32_e32 v9, 20, v9
	v_and_b32_sdwa v10, sext(v17), s26 dst_sel:DWORD dst_unused:UNUSED_PAD src0_sel:BYTE_0 src1_sel:DWORD
	v_lshl_add_u32 v0, v0, 23, v55
	v_or3_b32 v18, v10, v0, v9
	v_mov_b32_e32 v19, v5
.LBB197_523:                            ;   in Loop: Header=BB197_415 Depth=1
	s_or_b64 exec, exec, s[14:15]
.LBB197_524:                            ;   in Loop: Header=BB197_415 Depth=1
	s_or_b64 exec, exec, s[12:13]
.LBB197_525:                            ;   in Loop: Header=BB197_415 Depth=1
	s_or_b64 exec, exec, s[6:7]
	v_cmp_ne_u16_sdwa s[0:1], v17, v5 src0_sel:BYTE_1 src1_sel:DWORD
	s_and_saveexec_b64 s[6:7], s[0:1]
	s_cbranch_execz .LBB197_531
; %bb.526:                              ;   in Loop: Header=BB197_415 Depth=1
	v_mov_b32_e32 v21, v6
	v_cmp_ne_u16_sdwa s[0:1], v17, s24 src0_sel:BYTE_1 src1_sel:DWORD
	v_mov_b32_e32 v20, v5
	s_and_saveexec_b64 s[12:13], s[0:1]
	s_cbranch_execz .LBB197_530
; %bb.527:                              ;   in Loop: Header=BB197_415 Depth=1
	v_and_b32_sdwa v0, v17, s25 dst_sel:DWORD dst_unused:UNUSED_PAD src0_sel:BYTE_1 src1_sel:DWORD
	v_mov_b32_e32 v11, v5
	v_mov_b32_e32 v21, v12
	v_cmp_ne_u32_e64 s[0:1], s25, v0
	v_mov_b32_e32 v20, v11
	s_and_saveexec_b64 s[14:15], s[0:1]
	s_cbranch_execz .LBB197_529
; %bb.528:                              ;   in Loop: Header=BB197_415 Depth=1
	v_and_b32_sdwa v9, v17, v27 dst_sel:DWORD dst_unused:UNUSED_PAD src0_sel:BYTE_1 src1_sel:DWORD
	v_lshrrev_b32_e32 v20, 3, v0
	v_cmp_gt_u32_e64 s[0:1], 8, v0
	v_ffbh_u32_e32 v0, v9
	v_min_u32_e32 v0, 32, v0
	v_mov_b32_e32 v10, v5
	v_subrev_u32_e32 v11, 28, v0
	v_lshlrev_b64 v[10:11], v11, v[9:10]
	v_sub_u32_e32 v0, 29, v0
	v_and_b32_e32 v10, 7, v10
	v_cndmask_b32_e64 v0, v20, v0, s[0:1]
	v_cndmask_b32_e64 v9, v9, v10, s[0:1]
	v_lshlrev_b32_e32 v10, 16, v17
	v_lshl_add_u32 v0, v0, 23, v55
	v_and_or_b32 v0, v10, s26, v0
	v_lshlrev_b32_e32 v9, 20, v9
	v_or_b32_e32 v21, v0, v9
	v_mov_b32_e32 v20, v5
.LBB197_529:                            ;   in Loop: Header=BB197_415 Depth=1
	s_or_b64 exec, exec, s[14:15]
.LBB197_530:                            ;   in Loop: Header=BB197_415 Depth=1
	s_or_b64 exec, exec, s[12:13]
.LBB197_531:                            ;   in Loop: Header=BB197_415 Depth=1
	s_or_b64 exec, exec, s[6:7]
	v_lshrrev_b32_e32 v11, 16, v17
	v_mov_b32_e32 v24, 0
	v_mov_b32_e32 v22, 0
	;; [unrolled: 1-line block ×4, first 2 shown]
	v_cmp_ne_u16_sdwa s[0:1], v11, v5 src0_sel:BYTE_0 src1_sel:DWORD
	s_and_saveexec_b64 s[6:7], s[0:1]
	s_cbranch_execz .LBB197_537
; %bb.532:                              ;   in Loop: Header=BB197_415 Depth=1
	v_bfrev_b32_e32 v22, 1
	v_mov_b32_e32 v23, 0
	v_cmp_ne_u16_sdwa s[0:1], v11, s24 src0_sel:BYTE_0 src1_sel:DWORD
	s_and_saveexec_b64 s[12:13], s[0:1]
	s_cbranch_execz .LBB197_536
; %bb.533:                              ;   in Loop: Header=BB197_415 Depth=1
	v_bfe_u32 v0, v17, 16, 7
	v_mov_b32_e32 v22, 0x7f800001
	v_mov_b32_e32 v23, 0
	v_cmp_ne_u32_e64 s[0:1], s25, v0
	s_and_saveexec_b64 s[14:15], s[0:1]
	s_cbranch_execz .LBB197_535
; %bb.534:                              ;   in Loop: Header=BB197_415 Depth=1
	v_and_b32_e32 v22, 7, v11
	v_lshrrev_b32_e32 v23, 3, v0
	v_cmp_gt_u32_e64 s[0:1], 8, v0
	v_ffbh_u32_e32 v0, v22
	v_min_u32_e32 v0, 32, v0
	v_subrev_u32_e32 v9, 28, v0
	v_lshlrev_b64 v[9:10], v9, v[11:12]
	v_sub_u32_e32 v0, 29, v0
	v_and_b32_e32 v9, 7, v9
	v_cndmask_b32_e64 v0, v23, v0, s[0:1]
	v_cndmask_b32_e64 v9, v22, v9, s[0:1]
	v_lshlrev_b32_e32 v9, 20, v9
	v_and_b32_sdwa v10, sext(v11), s26 dst_sel:DWORD dst_unused:UNUSED_PAD src0_sel:BYTE_0 src1_sel:DWORD
	v_lshl_add_u32 v0, v0, 23, v55
	v_or3_b32 v22, v10, v0, v9
	v_mov_b32_e32 v23, v5
.LBB197_535:                            ;   in Loop: Header=BB197_415 Depth=1
	s_or_b64 exec, exec, s[14:15]
.LBB197_536:                            ;   in Loop: Header=BB197_415 Depth=1
	s_or_b64 exec, exec, s[12:13]
.LBB197_537:                            ;   in Loop: Header=BB197_415 Depth=1
	s_or_b64 exec, exec, s[6:7]
	v_cmp_lt_u32_e64 s[0:1], s27, v17
	s_and_saveexec_b64 s[6:7], s[0:1]
	s_cbranch_execz .LBB197_543
; %bb.538:                              ;   in Loop: Header=BB197_415 Depth=1
	v_mov_b32_e32 v25, v6
	v_cmp_ne_u32_sdwa s[0:1], v17, s24 src0_sel:BYTE_3 src1_sel:DWORD
	v_mov_b32_e32 v24, v5
	s_and_saveexec_b64 s[12:13], s[0:1]
	s_cbranch_execz .LBB197_542
; %bb.539:                              ;   in Loop: Header=BB197_415 Depth=1
	v_bfe_u32 v0, v17, 24, 7
	v_mov_b32_e32 v11, v5
	v_mov_b32_e32 v25, v12
	v_cmp_ne_u32_e64 s[0:1], s25, v0
	v_mov_b32_e32 v24, v11
	s_and_saveexec_b64 s[14:15], s[0:1]
	s_cbranch_execz .LBB197_541
; %bb.540:                              ;   in Loop: Header=BB197_415 Depth=1
	v_and_b32_sdwa v9, v17, v27 dst_sel:DWORD dst_unused:UNUSED_PAD src0_sel:BYTE_3 src1_sel:DWORD
	v_lshrrev_b32_e32 v24, 3, v0
	v_cmp_gt_u32_e64 s[0:1], 8, v0
	v_ffbh_u32_e32 v0, v9
	v_min_u32_e32 v0, 32, v0
	v_mov_b32_e32 v10, v5
	v_subrev_u32_e32 v11, 28, v0
	v_lshlrev_b64 v[10:11], v11, v[9:10]
	v_sub_u32_e32 v0, 29, v0
	v_and_b32_e32 v10, 7, v10
	v_cndmask_b32_e64 v0, v24, v0, s[0:1]
	v_cndmask_b32_e64 v9, v9, v10, s[0:1]
	v_mov_b32_e32 v10, 24
	v_lshlrev_b32_sdwa v10, v10, v17 dst_sel:DWORD dst_unused:UNUSED_PAD src0_sel:DWORD src1_sel:BYTE_3
	v_lshl_add_u32 v0, v0, 23, v55
	v_and_or_b32 v0, v10, s26, v0
	v_lshlrev_b32_e32 v9, 20, v9
	v_or_b32_e32 v25, v0, v9
	v_mov_b32_e32 v24, v5
.LBB197_541:                            ;   in Loop: Header=BB197_415 Depth=1
	s_or_b64 exec, exec, s[14:15]
.LBB197_542:                            ;   in Loop: Header=BB197_415 Depth=1
	s_or_b64 exec, exec, s[12:13]
.LBB197_543:                            ;   in Loop: Header=BB197_415 Depth=1
	s_or_b64 exec, exec, s[6:7]
	v_or_b32_e32 v0, v21, v19
	v_or_b32_e32 v9, v20, v18
	v_mul_f32_e32 v0, s18, v0
	buffer_store_dword v0, off, s[44:47], 0 offset:64 ; 4-byte Folded Spill
	v_mul_f32_e32 v0, s17, v9
	buffer_store_dword v0, off, s[44:47], 0 offset:100 ; 4-byte Folded Spill
	v_or_b32_e32 v0, v25, v23
	v_or_b32_e32 v9, v24, v22
	v_mul_f32_e32 v9, s17, v9
	v_mul_f32_e32 v0, s18, v0
	buffer_store_dword v9, off, s[44:47], 0 offset:84 ; 4-byte Folded Spill
	buffer_store_dword v0, off, s[44:47], 0 offset:68 ; 4-byte Folded Spill
	s_and_saveexec_b64 s[6:7], vcc
	s_cbranch_execz .LBB197_545
; %bb.544:                              ;   in Loop: Header=BB197_415 Depth=1
	v_add_u32_e32 v0, -3, v47
	v_cmp_gt_i32_e64 s[0:1], s30, v0
	buffer_load_dword v0, off, s[44:47], 0 offset:100 ; 4-byte Folded Reload
	s_waitcnt vmcnt(0)
	v_cndmask_b32_e64 v0, 0, v0, s[0:1]
	buffer_store_dword v0, off, s[44:47], 0 offset:100 ; 4-byte Folded Spill
	v_add_u32_e32 v0, -2, v47
	v_cmp_gt_i32_e64 s[0:1], s30, v0
	buffer_load_dword v0, off, s[44:47], 0 offset:64 ; 4-byte Folded Reload
	s_waitcnt vmcnt(0)
	v_cndmask_b32_e64 v0, 0, v0, s[0:1]
	buffer_store_dword v0, off, s[44:47], 0 offset:64 ; 4-byte Folded Spill
	;; [unrolled: 6-line block ×3, first 2 shown]
	buffer_load_dword v0, off, s[44:47], 0 offset:68 ; 4-byte Folded Reload
	v_cmp_gt_i32_e64 s[0:1], s30, v47
	s_waitcnt vmcnt(0)
	v_cndmask_b32_e64 v0, 0, v0, s[0:1]
	buffer_store_dword v0, off, s[44:47], 0 offset:68 ; 4-byte Folded Spill
.LBB197_545:                            ;   in Loop: Header=BB197_415 Depth=1
	s_or_b64 exec, exec, s[6:7]
	global_load_dword v17, v[15:16], off offset:1280
	v_mov_b32_e32 v20, 0
	v_mov_b32_e32 v18, 0
	;; [unrolled: 1-line block ×4, first 2 shown]
	s_waitcnt vmcnt(0)
	v_cmp_ne_u16_sdwa s[0:1], v17, v5 src0_sel:BYTE_0 src1_sel:DWORD
	s_and_saveexec_b64 s[6:7], s[0:1]
	s_cbranch_execz .LBB197_551
; %bb.546:                              ;   in Loop: Header=BB197_415 Depth=1
	v_bfrev_b32_e32 v18, 1
	v_mov_b32_e32 v19, 0
	v_cmp_ne_u16_sdwa s[0:1], v17, s24 src0_sel:BYTE_0 src1_sel:DWORD
	s_and_saveexec_b64 s[12:13], s[0:1]
	s_cbranch_execz .LBB197_550
; %bb.547:                              ;   in Loop: Header=BB197_415 Depth=1
	v_and_b32_e32 v0, 0x7f, v17
	v_mov_b32_e32 v18, 0x7f800001
	v_mov_b32_e32 v19, 0
	v_cmp_ne_u32_e64 s[0:1], s25, v0
	s_and_saveexec_b64 s[14:15], s[0:1]
	s_cbranch_execz .LBB197_549
; %bb.548:                              ;   in Loop: Header=BB197_415 Depth=1
	v_and_b32_e32 v11, 7, v17
	v_lshrrev_b32_e32 v18, 3, v0
	v_cmp_gt_u32_e64 s[0:1], 8, v0
	v_ffbh_u32_e32 v0, v11
	v_min_u32_e32 v0, 32, v0
	v_subrev_u32_e32 v9, 28, v0
	v_lshlrev_b64 v[9:10], v9, v[17:18]
	v_sub_u32_e32 v0, 29, v0
	v_and_b32_e32 v9, 7, v9
	v_cndmask_b32_e64 v0, v18, v0, s[0:1]
	v_cndmask_b32_e64 v9, v11, v9, s[0:1]
	v_lshlrev_b32_e32 v9, 20, v9
	v_and_b32_sdwa v10, sext(v17), s26 dst_sel:DWORD dst_unused:UNUSED_PAD src0_sel:BYTE_0 src1_sel:DWORD
	v_lshl_add_u32 v0, v0, 23, v55
	v_or3_b32 v18, v10, v0, v9
	v_mov_b32_e32 v19, v5
.LBB197_549:                            ;   in Loop: Header=BB197_415 Depth=1
	s_or_b64 exec, exec, s[14:15]
.LBB197_550:                            ;   in Loop: Header=BB197_415 Depth=1
	s_or_b64 exec, exec, s[12:13]
.LBB197_551:                            ;   in Loop: Header=BB197_415 Depth=1
	s_or_b64 exec, exec, s[6:7]
	v_cmp_ne_u16_sdwa s[0:1], v17, v5 src0_sel:BYTE_1 src1_sel:DWORD
	s_and_saveexec_b64 s[6:7], s[0:1]
	s_cbranch_execz .LBB197_557
; %bb.552:                              ;   in Loop: Header=BB197_415 Depth=1
	v_mov_b32_e32 v21, v6
	v_cmp_ne_u16_sdwa s[0:1], v17, s24 src0_sel:BYTE_1 src1_sel:DWORD
	v_mov_b32_e32 v20, v5
	s_and_saveexec_b64 s[12:13], s[0:1]
	s_cbranch_execz .LBB197_556
; %bb.553:                              ;   in Loop: Header=BB197_415 Depth=1
	v_and_b32_sdwa v0, v17, s25 dst_sel:DWORD dst_unused:UNUSED_PAD src0_sel:BYTE_1 src1_sel:DWORD
	v_mov_b32_e32 v11, v5
	v_mov_b32_e32 v21, v12
	v_cmp_ne_u32_e64 s[0:1], s25, v0
	v_mov_b32_e32 v20, v11
	s_and_saveexec_b64 s[14:15], s[0:1]
	s_cbranch_execz .LBB197_555
; %bb.554:                              ;   in Loop: Header=BB197_415 Depth=1
	v_and_b32_sdwa v9, v17, v27 dst_sel:DWORD dst_unused:UNUSED_PAD src0_sel:BYTE_1 src1_sel:DWORD
	v_lshrrev_b32_e32 v20, 3, v0
	v_cmp_gt_u32_e64 s[0:1], 8, v0
	v_ffbh_u32_e32 v0, v9
	v_min_u32_e32 v0, 32, v0
	v_mov_b32_e32 v10, v5
	v_subrev_u32_e32 v11, 28, v0
	v_lshlrev_b64 v[10:11], v11, v[9:10]
	v_sub_u32_e32 v0, 29, v0
	v_and_b32_e32 v10, 7, v10
	v_cndmask_b32_e64 v0, v20, v0, s[0:1]
	v_cndmask_b32_e64 v9, v9, v10, s[0:1]
	v_lshlrev_b32_e32 v10, 16, v17
	v_lshl_add_u32 v0, v0, 23, v55
	v_and_or_b32 v0, v10, s26, v0
	v_lshlrev_b32_e32 v9, 20, v9
	v_or_b32_e32 v21, v0, v9
	v_mov_b32_e32 v20, v5
.LBB197_555:                            ;   in Loop: Header=BB197_415 Depth=1
	s_or_b64 exec, exec, s[14:15]
.LBB197_556:                            ;   in Loop: Header=BB197_415 Depth=1
	s_or_b64 exec, exec, s[12:13]
.LBB197_557:                            ;   in Loop: Header=BB197_415 Depth=1
	s_or_b64 exec, exec, s[6:7]
	v_lshrrev_b32_e32 v11, 16, v17
	v_mov_b32_e32 v24, 0
	v_mov_b32_e32 v22, 0
	;; [unrolled: 1-line block ×4, first 2 shown]
	v_cmp_ne_u16_sdwa s[0:1], v11, v5 src0_sel:BYTE_0 src1_sel:DWORD
	s_and_saveexec_b64 s[6:7], s[0:1]
	s_cbranch_execz .LBB197_563
; %bb.558:                              ;   in Loop: Header=BB197_415 Depth=1
	v_bfrev_b32_e32 v22, 1
	v_mov_b32_e32 v23, 0
	v_cmp_ne_u16_sdwa s[0:1], v11, s24 src0_sel:BYTE_0 src1_sel:DWORD
	s_and_saveexec_b64 s[12:13], s[0:1]
	s_cbranch_execz .LBB197_562
; %bb.559:                              ;   in Loop: Header=BB197_415 Depth=1
	v_bfe_u32 v0, v17, 16, 7
	v_mov_b32_e32 v22, 0x7f800001
	v_mov_b32_e32 v23, 0
	v_cmp_ne_u32_e64 s[0:1], s25, v0
	s_and_saveexec_b64 s[14:15], s[0:1]
	s_cbranch_execz .LBB197_561
; %bb.560:                              ;   in Loop: Header=BB197_415 Depth=1
	v_and_b32_e32 v22, 7, v11
	v_lshrrev_b32_e32 v23, 3, v0
	v_cmp_gt_u32_e64 s[0:1], 8, v0
	v_ffbh_u32_e32 v0, v22
	v_min_u32_e32 v0, 32, v0
	v_subrev_u32_e32 v9, 28, v0
	v_lshlrev_b64 v[9:10], v9, v[11:12]
	v_sub_u32_e32 v0, 29, v0
	v_and_b32_e32 v9, 7, v9
	v_cndmask_b32_e64 v0, v23, v0, s[0:1]
	v_cndmask_b32_e64 v9, v22, v9, s[0:1]
	v_lshlrev_b32_e32 v9, 20, v9
	v_and_b32_sdwa v10, sext(v11), s26 dst_sel:DWORD dst_unused:UNUSED_PAD src0_sel:BYTE_0 src1_sel:DWORD
	v_lshl_add_u32 v0, v0, 23, v55
	v_or3_b32 v22, v10, v0, v9
	v_mov_b32_e32 v23, v5
.LBB197_561:                            ;   in Loop: Header=BB197_415 Depth=1
	s_or_b64 exec, exec, s[14:15]
.LBB197_562:                            ;   in Loop: Header=BB197_415 Depth=1
	s_or_b64 exec, exec, s[12:13]
.LBB197_563:                            ;   in Loop: Header=BB197_415 Depth=1
	s_or_b64 exec, exec, s[6:7]
	v_cmp_lt_u32_e64 s[0:1], s27, v17
	s_and_saveexec_b64 s[6:7], s[0:1]
	s_cbranch_execz .LBB197_569
; %bb.564:                              ;   in Loop: Header=BB197_415 Depth=1
	v_mov_b32_e32 v25, v6
	v_cmp_ne_u32_sdwa s[0:1], v17, s24 src0_sel:BYTE_3 src1_sel:DWORD
	v_mov_b32_e32 v24, v5
	s_and_saveexec_b64 s[12:13], s[0:1]
	s_cbranch_execz .LBB197_568
; %bb.565:                              ;   in Loop: Header=BB197_415 Depth=1
	v_bfe_u32 v0, v17, 24, 7
	v_mov_b32_e32 v11, v5
	v_mov_b32_e32 v25, v12
	v_cmp_ne_u32_e64 s[0:1], s25, v0
	v_mov_b32_e32 v24, v11
	s_and_saveexec_b64 s[14:15], s[0:1]
	s_cbranch_execz .LBB197_567
; %bb.566:                              ;   in Loop: Header=BB197_415 Depth=1
	v_and_b32_sdwa v9, v17, v27 dst_sel:DWORD dst_unused:UNUSED_PAD src0_sel:BYTE_3 src1_sel:DWORD
	v_lshrrev_b32_e32 v24, 3, v0
	v_cmp_gt_u32_e64 s[0:1], 8, v0
	v_ffbh_u32_e32 v0, v9
	v_min_u32_e32 v0, 32, v0
	v_mov_b32_e32 v10, v5
	v_subrev_u32_e32 v11, 28, v0
	v_lshlrev_b64 v[10:11], v11, v[9:10]
	v_sub_u32_e32 v0, 29, v0
	v_and_b32_e32 v10, 7, v10
	v_cndmask_b32_e64 v0, v24, v0, s[0:1]
	v_cndmask_b32_e64 v9, v9, v10, s[0:1]
	v_mov_b32_e32 v10, 24
	v_lshlrev_b32_sdwa v10, v10, v17 dst_sel:DWORD dst_unused:UNUSED_PAD src0_sel:DWORD src1_sel:BYTE_3
	v_lshl_add_u32 v0, v0, 23, v55
	v_and_or_b32 v0, v10, s26, v0
	v_lshlrev_b32_e32 v9, 20, v9
	v_or_b32_e32 v25, v0, v9
	v_mov_b32_e32 v24, v5
.LBB197_567:                            ;   in Loop: Header=BB197_415 Depth=1
	s_or_b64 exec, exec, s[14:15]
.LBB197_568:                            ;   in Loop: Header=BB197_415 Depth=1
	s_or_b64 exec, exec, s[12:13]
.LBB197_569:                            ;   in Loop: Header=BB197_415 Depth=1
	s_or_b64 exec, exec, s[6:7]
	v_or_b32_e32 v0, v21, v19
	v_or_b32_e32 v9, v20, v18
	v_mul_f32_e32 v0, s18, v0
	buffer_store_dword v0, off, s[44:47], 0 offset:116 ; 4-byte Folded Spill
	v_mul_f32_e32 v0, s17, v9
	buffer_store_dword v0, off, s[44:47], 0 offset:164 ; 4-byte Folded Spill
	v_or_b32_e32 v0, v25, v23
	v_or_b32_e32 v9, v24, v22
	v_mul_f32_e32 v9, s17, v9
	v_mul_f32_e32 v0, s18, v0
	buffer_store_dword v9, off, s[44:47], 0 offset:148 ; 4-byte Folded Spill
	buffer_store_dword v0, off, s[44:47], 0 offset:132 ; 4-byte Folded Spill
	s_and_saveexec_b64 s[6:7], vcc
	s_cbranch_execz .LBB197_571
; %bb.570:                              ;   in Loop: Header=BB197_415 Depth=1
	v_add_u32_e32 v0, -3, v47
	v_cmp_gt_i32_e64 s[0:1], s30, v0
	buffer_load_dword v0, off, s[44:47], 0 offset:164 ; 4-byte Folded Reload
	s_waitcnt vmcnt(0)
	v_cndmask_b32_e64 v0, 0, v0, s[0:1]
	buffer_store_dword v0, off, s[44:47], 0 offset:164 ; 4-byte Folded Spill
	v_add_u32_e32 v0, -2, v47
	v_cmp_gt_i32_e64 s[0:1], s30, v0
	buffer_load_dword v0, off, s[44:47], 0 offset:116 ; 4-byte Folded Reload
	s_waitcnt vmcnt(0)
	v_cndmask_b32_e64 v0, 0, v0, s[0:1]
	buffer_store_dword v0, off, s[44:47], 0 offset:116 ; 4-byte Folded Spill
	;; [unrolled: 6-line block ×3, first 2 shown]
	buffer_load_dword v0, off, s[44:47], 0 offset:132 ; 4-byte Folded Reload
	v_cmp_gt_i32_e64 s[0:1], s30, v47
	s_waitcnt vmcnt(0)
	v_cndmask_b32_e64 v0, 0, v0, s[0:1]
	buffer_store_dword v0, off, s[44:47], 0 offset:132 ; 4-byte Folded Spill
.LBB197_571:                            ;   in Loop: Header=BB197_415 Depth=1
	s_or_b64 exec, exec, s[6:7]
	global_load_dword v17, v[15:16], off offset:1536
	v_mov_b32_e32 v20, 0
	v_mov_b32_e32 v18, 0
	v_mov_b32_e32 v21, 0
	v_mov_b32_e32 v19, 0
	s_waitcnt vmcnt(0)
	v_cmp_ne_u16_sdwa s[0:1], v17, v5 src0_sel:BYTE_0 src1_sel:DWORD
	s_and_saveexec_b64 s[6:7], s[0:1]
	s_cbranch_execz .LBB197_577
; %bb.572:                              ;   in Loop: Header=BB197_415 Depth=1
	v_bfrev_b32_e32 v18, 1
	v_mov_b32_e32 v19, 0
	v_cmp_ne_u16_sdwa s[0:1], v17, s24 src0_sel:BYTE_0 src1_sel:DWORD
	s_and_saveexec_b64 s[12:13], s[0:1]
	s_cbranch_execz .LBB197_576
; %bb.573:                              ;   in Loop: Header=BB197_415 Depth=1
	v_and_b32_e32 v0, 0x7f, v17
	v_mov_b32_e32 v18, 0x7f800001
	v_mov_b32_e32 v19, 0
	v_cmp_ne_u32_e64 s[0:1], s25, v0
	s_and_saveexec_b64 s[14:15], s[0:1]
	s_cbranch_execz .LBB197_575
; %bb.574:                              ;   in Loop: Header=BB197_415 Depth=1
	v_and_b32_e32 v11, 7, v17
	v_lshrrev_b32_e32 v18, 3, v0
	v_cmp_gt_u32_e64 s[0:1], 8, v0
	v_ffbh_u32_e32 v0, v11
	v_min_u32_e32 v0, 32, v0
	v_subrev_u32_e32 v9, 28, v0
	v_lshlrev_b64 v[9:10], v9, v[17:18]
	v_sub_u32_e32 v0, 29, v0
	v_and_b32_e32 v9, 7, v9
	v_cndmask_b32_e64 v0, v18, v0, s[0:1]
	v_cndmask_b32_e64 v9, v11, v9, s[0:1]
	v_lshlrev_b32_e32 v9, 20, v9
	v_and_b32_sdwa v10, sext(v17), s26 dst_sel:DWORD dst_unused:UNUSED_PAD src0_sel:BYTE_0 src1_sel:DWORD
	v_lshl_add_u32 v0, v0, 23, v55
	v_or3_b32 v18, v10, v0, v9
	v_mov_b32_e32 v19, v5
.LBB197_575:                            ;   in Loop: Header=BB197_415 Depth=1
	s_or_b64 exec, exec, s[14:15]
.LBB197_576:                            ;   in Loop: Header=BB197_415 Depth=1
	s_or_b64 exec, exec, s[12:13]
.LBB197_577:                            ;   in Loop: Header=BB197_415 Depth=1
	s_or_b64 exec, exec, s[6:7]
	v_cmp_ne_u16_sdwa s[0:1], v17, v5 src0_sel:BYTE_1 src1_sel:DWORD
	s_and_saveexec_b64 s[6:7], s[0:1]
	s_cbranch_execz .LBB197_583
; %bb.578:                              ;   in Loop: Header=BB197_415 Depth=1
	v_mov_b32_e32 v21, v6
	v_cmp_ne_u16_sdwa s[0:1], v17, s24 src0_sel:BYTE_1 src1_sel:DWORD
	v_mov_b32_e32 v20, v5
	s_and_saveexec_b64 s[12:13], s[0:1]
	s_cbranch_execz .LBB197_582
; %bb.579:                              ;   in Loop: Header=BB197_415 Depth=1
	v_and_b32_sdwa v0, v17, s25 dst_sel:DWORD dst_unused:UNUSED_PAD src0_sel:BYTE_1 src1_sel:DWORD
	v_mov_b32_e32 v11, v5
	v_mov_b32_e32 v21, v12
	v_cmp_ne_u32_e64 s[0:1], s25, v0
	v_mov_b32_e32 v20, v11
	s_and_saveexec_b64 s[14:15], s[0:1]
	s_cbranch_execz .LBB197_581
; %bb.580:                              ;   in Loop: Header=BB197_415 Depth=1
	v_and_b32_sdwa v9, v17, v27 dst_sel:DWORD dst_unused:UNUSED_PAD src0_sel:BYTE_1 src1_sel:DWORD
	v_lshrrev_b32_e32 v20, 3, v0
	v_cmp_gt_u32_e64 s[0:1], 8, v0
	v_ffbh_u32_e32 v0, v9
	v_min_u32_e32 v0, 32, v0
	v_mov_b32_e32 v10, v5
	v_subrev_u32_e32 v11, 28, v0
	v_lshlrev_b64 v[10:11], v11, v[9:10]
	v_sub_u32_e32 v0, 29, v0
	v_and_b32_e32 v10, 7, v10
	v_cndmask_b32_e64 v0, v20, v0, s[0:1]
	v_cndmask_b32_e64 v9, v9, v10, s[0:1]
	v_lshlrev_b32_e32 v10, 16, v17
	v_lshl_add_u32 v0, v0, 23, v55
	v_and_or_b32 v0, v10, s26, v0
	v_lshlrev_b32_e32 v9, 20, v9
	v_or_b32_e32 v21, v0, v9
	v_mov_b32_e32 v20, v5
.LBB197_581:                            ;   in Loop: Header=BB197_415 Depth=1
	s_or_b64 exec, exec, s[14:15]
.LBB197_582:                            ;   in Loop: Header=BB197_415 Depth=1
	s_or_b64 exec, exec, s[12:13]
.LBB197_583:                            ;   in Loop: Header=BB197_415 Depth=1
	s_or_b64 exec, exec, s[6:7]
	v_lshrrev_b32_e32 v11, 16, v17
	v_mov_b32_e32 v24, 0
	v_mov_b32_e32 v22, 0
	;; [unrolled: 1-line block ×4, first 2 shown]
	v_cmp_ne_u16_sdwa s[0:1], v11, v5 src0_sel:BYTE_0 src1_sel:DWORD
	s_and_saveexec_b64 s[6:7], s[0:1]
	s_cbranch_execz .LBB197_589
; %bb.584:                              ;   in Loop: Header=BB197_415 Depth=1
	v_bfrev_b32_e32 v22, 1
	v_mov_b32_e32 v23, 0
	v_cmp_ne_u16_sdwa s[0:1], v11, s24 src0_sel:BYTE_0 src1_sel:DWORD
	s_and_saveexec_b64 s[12:13], s[0:1]
	s_cbranch_execz .LBB197_588
; %bb.585:                              ;   in Loop: Header=BB197_415 Depth=1
	v_bfe_u32 v0, v17, 16, 7
	v_mov_b32_e32 v22, 0x7f800001
	v_mov_b32_e32 v23, 0
	v_cmp_ne_u32_e64 s[0:1], s25, v0
	s_and_saveexec_b64 s[14:15], s[0:1]
	s_cbranch_execz .LBB197_587
; %bb.586:                              ;   in Loop: Header=BB197_415 Depth=1
	v_and_b32_e32 v22, 7, v11
	v_lshrrev_b32_e32 v23, 3, v0
	v_cmp_gt_u32_e64 s[0:1], 8, v0
	v_ffbh_u32_e32 v0, v22
	v_min_u32_e32 v0, 32, v0
	v_subrev_u32_e32 v9, 28, v0
	v_lshlrev_b64 v[9:10], v9, v[11:12]
	v_sub_u32_e32 v0, 29, v0
	v_and_b32_e32 v9, 7, v9
	v_cndmask_b32_e64 v0, v23, v0, s[0:1]
	v_cndmask_b32_e64 v9, v22, v9, s[0:1]
	v_lshlrev_b32_e32 v9, 20, v9
	v_and_b32_sdwa v10, sext(v11), s26 dst_sel:DWORD dst_unused:UNUSED_PAD src0_sel:BYTE_0 src1_sel:DWORD
	v_lshl_add_u32 v0, v0, 23, v55
	v_or3_b32 v22, v10, v0, v9
	v_mov_b32_e32 v23, v5
.LBB197_587:                            ;   in Loop: Header=BB197_415 Depth=1
	s_or_b64 exec, exec, s[14:15]
.LBB197_588:                            ;   in Loop: Header=BB197_415 Depth=1
	s_or_b64 exec, exec, s[12:13]
.LBB197_589:                            ;   in Loop: Header=BB197_415 Depth=1
	s_or_b64 exec, exec, s[6:7]
	v_cmp_lt_u32_e64 s[0:1], s27, v17
	s_and_saveexec_b64 s[6:7], s[0:1]
	s_cbranch_execz .LBB197_595
; %bb.590:                              ;   in Loop: Header=BB197_415 Depth=1
	v_mov_b32_e32 v25, v6
	v_cmp_ne_u32_sdwa s[0:1], v17, s24 src0_sel:BYTE_3 src1_sel:DWORD
	v_mov_b32_e32 v24, v5
	s_and_saveexec_b64 s[12:13], s[0:1]
	s_cbranch_execz .LBB197_594
; %bb.591:                              ;   in Loop: Header=BB197_415 Depth=1
	v_bfe_u32 v0, v17, 24, 7
	v_mov_b32_e32 v11, v5
	v_mov_b32_e32 v25, v12
	v_cmp_ne_u32_e64 s[0:1], s25, v0
	v_mov_b32_e32 v24, v11
	s_and_saveexec_b64 s[14:15], s[0:1]
	s_cbranch_execz .LBB197_593
; %bb.592:                              ;   in Loop: Header=BB197_415 Depth=1
	v_and_b32_sdwa v9, v17, v27 dst_sel:DWORD dst_unused:UNUSED_PAD src0_sel:BYTE_3 src1_sel:DWORD
	v_lshrrev_b32_e32 v24, 3, v0
	v_cmp_gt_u32_e64 s[0:1], 8, v0
	v_ffbh_u32_e32 v0, v9
	v_min_u32_e32 v0, 32, v0
	v_mov_b32_e32 v10, v5
	v_subrev_u32_e32 v11, 28, v0
	v_lshlrev_b64 v[10:11], v11, v[9:10]
	v_sub_u32_e32 v0, 29, v0
	v_and_b32_e32 v10, 7, v10
	v_cndmask_b32_e64 v0, v24, v0, s[0:1]
	v_cndmask_b32_e64 v9, v9, v10, s[0:1]
	v_mov_b32_e32 v10, 24
	v_lshlrev_b32_sdwa v10, v10, v17 dst_sel:DWORD dst_unused:UNUSED_PAD src0_sel:DWORD src1_sel:BYTE_3
	v_lshl_add_u32 v0, v0, 23, v55
	v_and_or_b32 v0, v10, s26, v0
	v_lshlrev_b32_e32 v9, 20, v9
	v_or_b32_e32 v25, v0, v9
	v_mov_b32_e32 v24, v5
.LBB197_593:                            ;   in Loop: Header=BB197_415 Depth=1
	s_or_b64 exec, exec, s[14:15]
.LBB197_594:                            ;   in Loop: Header=BB197_415 Depth=1
	s_or_b64 exec, exec, s[12:13]
.LBB197_595:                            ;   in Loop: Header=BB197_415 Depth=1
	s_or_b64 exec, exec, s[6:7]
	v_or_b32_e32 v0, v21, v19
	v_or_b32_e32 v9, v20, v18
	v_mul_f32_e32 v0, s18, v0
	buffer_store_dword v0, off, s[44:47], 0 offset:180 ; 4-byte Folded Spill
	v_mul_f32_e32 v0, s17, v9
	buffer_store_dword v0, off, s[44:47], 0 offset:228 ; 4-byte Folded Spill
	v_or_b32_e32 v0, v25, v23
	v_or_b32_e32 v9, v24, v22
	v_mul_f32_e32 v9, s17, v9
	v_mul_f32_e32 v0, s18, v0
	buffer_store_dword v9, off, s[44:47], 0 offset:212 ; 4-byte Folded Spill
	buffer_store_dword v0, off, s[44:47], 0 offset:196 ; 4-byte Folded Spill
	s_and_saveexec_b64 s[6:7], vcc
	s_cbranch_execz .LBB197_597
; %bb.596:                              ;   in Loop: Header=BB197_415 Depth=1
	v_add_u32_e32 v0, -3, v47
	v_cmp_gt_i32_e64 s[0:1], s30, v0
	buffer_load_dword v0, off, s[44:47], 0 offset:228 ; 4-byte Folded Reload
	s_waitcnt vmcnt(0)
	v_cndmask_b32_e64 v0, 0, v0, s[0:1]
	buffer_store_dword v0, off, s[44:47], 0 offset:228 ; 4-byte Folded Spill
	v_add_u32_e32 v0, -2, v47
	v_cmp_gt_i32_e64 s[0:1], s30, v0
	buffer_load_dword v0, off, s[44:47], 0 offset:180 ; 4-byte Folded Reload
	s_waitcnt vmcnt(0)
	v_cndmask_b32_e64 v0, 0, v0, s[0:1]
	buffer_store_dword v0, off, s[44:47], 0 offset:180 ; 4-byte Folded Spill
	;; [unrolled: 6-line block ×3, first 2 shown]
	buffer_load_dword v0, off, s[44:47], 0 offset:196 ; 4-byte Folded Reload
	v_cmp_gt_i32_e64 s[0:1], s30, v47
	s_waitcnt vmcnt(0)
	v_cndmask_b32_e64 v0, 0, v0, s[0:1]
	buffer_store_dword v0, off, s[44:47], 0 offset:196 ; 4-byte Folded Spill
.LBB197_597:                            ;   in Loop: Header=BB197_415 Depth=1
	s_or_b64 exec, exec, s[6:7]
	global_load_dword v17, v[15:16], off offset:1792
	v_mov_b32_e32 v20, 0
	v_mov_b32_e32 v18, 0
	;; [unrolled: 1-line block ×4, first 2 shown]
	s_waitcnt vmcnt(0)
	v_cmp_ne_u16_sdwa s[0:1], v17, v5 src0_sel:BYTE_0 src1_sel:DWORD
	s_and_saveexec_b64 s[6:7], s[0:1]
	s_cbranch_execz .LBB197_603
; %bb.598:                              ;   in Loop: Header=BB197_415 Depth=1
	v_bfrev_b32_e32 v18, 1
	v_mov_b32_e32 v19, 0
	v_cmp_ne_u16_sdwa s[0:1], v17, s24 src0_sel:BYTE_0 src1_sel:DWORD
	s_and_saveexec_b64 s[12:13], s[0:1]
	s_cbranch_execz .LBB197_602
; %bb.599:                              ;   in Loop: Header=BB197_415 Depth=1
	v_and_b32_e32 v0, 0x7f, v17
	v_mov_b32_e32 v18, 0x7f800001
	v_mov_b32_e32 v19, 0
	v_cmp_ne_u32_e64 s[0:1], s25, v0
	s_and_saveexec_b64 s[14:15], s[0:1]
	s_cbranch_execz .LBB197_601
; %bb.600:                              ;   in Loop: Header=BB197_415 Depth=1
	v_and_b32_e32 v11, 7, v17
	v_lshrrev_b32_e32 v18, 3, v0
	v_cmp_gt_u32_e64 s[0:1], 8, v0
	v_ffbh_u32_e32 v0, v11
	v_min_u32_e32 v0, 32, v0
	v_subrev_u32_e32 v9, 28, v0
	v_lshlrev_b64 v[9:10], v9, v[17:18]
	v_sub_u32_e32 v0, 29, v0
	v_and_b32_e32 v9, 7, v9
	v_cndmask_b32_e64 v0, v18, v0, s[0:1]
	v_cndmask_b32_e64 v9, v11, v9, s[0:1]
	v_lshlrev_b32_e32 v9, 20, v9
	v_and_b32_sdwa v10, sext(v17), s26 dst_sel:DWORD dst_unused:UNUSED_PAD src0_sel:BYTE_0 src1_sel:DWORD
	v_lshl_add_u32 v0, v0, 23, v55
	v_or3_b32 v18, v10, v0, v9
	v_mov_b32_e32 v19, v5
.LBB197_601:                            ;   in Loop: Header=BB197_415 Depth=1
	s_or_b64 exec, exec, s[14:15]
.LBB197_602:                            ;   in Loop: Header=BB197_415 Depth=1
	s_or_b64 exec, exec, s[12:13]
.LBB197_603:                            ;   in Loop: Header=BB197_415 Depth=1
	s_or_b64 exec, exec, s[6:7]
	v_cmp_ne_u16_sdwa s[0:1], v17, v5 src0_sel:BYTE_1 src1_sel:DWORD
	s_and_saveexec_b64 s[6:7], s[0:1]
	s_cbranch_execz .LBB197_609
; %bb.604:                              ;   in Loop: Header=BB197_415 Depth=1
	v_mov_b32_e32 v21, v6
	v_cmp_ne_u16_sdwa s[0:1], v17, s24 src0_sel:BYTE_1 src1_sel:DWORD
	v_mov_b32_e32 v20, v5
	s_and_saveexec_b64 s[12:13], s[0:1]
	s_cbranch_execz .LBB197_608
; %bb.605:                              ;   in Loop: Header=BB197_415 Depth=1
	v_and_b32_sdwa v0, v17, s25 dst_sel:DWORD dst_unused:UNUSED_PAD src0_sel:BYTE_1 src1_sel:DWORD
	v_mov_b32_e32 v11, v5
	v_mov_b32_e32 v21, v12
	v_cmp_ne_u32_e64 s[0:1], s25, v0
	v_mov_b32_e32 v20, v11
	s_and_saveexec_b64 s[14:15], s[0:1]
	s_cbranch_execz .LBB197_607
; %bb.606:                              ;   in Loop: Header=BB197_415 Depth=1
	v_and_b32_sdwa v9, v17, v27 dst_sel:DWORD dst_unused:UNUSED_PAD src0_sel:BYTE_1 src1_sel:DWORD
	v_lshrrev_b32_e32 v20, 3, v0
	v_cmp_gt_u32_e64 s[0:1], 8, v0
	v_ffbh_u32_e32 v0, v9
	v_min_u32_e32 v0, 32, v0
	v_mov_b32_e32 v10, v5
	v_subrev_u32_e32 v11, 28, v0
	v_lshlrev_b64 v[10:11], v11, v[9:10]
	v_sub_u32_e32 v0, 29, v0
	v_and_b32_e32 v10, 7, v10
	v_cndmask_b32_e64 v0, v20, v0, s[0:1]
	v_cndmask_b32_e64 v9, v9, v10, s[0:1]
	v_lshlrev_b32_e32 v10, 16, v17
	v_lshl_add_u32 v0, v0, 23, v55
	v_and_or_b32 v0, v10, s26, v0
	v_lshlrev_b32_e32 v9, 20, v9
	v_or_b32_e32 v21, v0, v9
	v_mov_b32_e32 v20, v5
.LBB197_607:                            ;   in Loop: Header=BB197_415 Depth=1
	s_or_b64 exec, exec, s[14:15]
.LBB197_608:                            ;   in Loop: Header=BB197_415 Depth=1
	s_or_b64 exec, exec, s[12:13]
.LBB197_609:                            ;   in Loop: Header=BB197_415 Depth=1
	s_or_b64 exec, exec, s[6:7]
	v_lshrrev_b32_e32 v11, 16, v17
	v_mov_b32_e32 v24, 0
	v_mov_b32_e32 v22, 0
	;; [unrolled: 1-line block ×4, first 2 shown]
	v_cmp_ne_u16_sdwa s[0:1], v11, v5 src0_sel:BYTE_0 src1_sel:DWORD
	s_and_saveexec_b64 s[6:7], s[0:1]
	s_cbranch_execz .LBB197_615
; %bb.610:                              ;   in Loop: Header=BB197_415 Depth=1
	v_bfrev_b32_e32 v22, 1
	v_mov_b32_e32 v23, 0
	v_cmp_ne_u16_sdwa s[0:1], v11, s24 src0_sel:BYTE_0 src1_sel:DWORD
	s_and_saveexec_b64 s[12:13], s[0:1]
	s_cbranch_execz .LBB197_614
; %bb.611:                              ;   in Loop: Header=BB197_415 Depth=1
	v_bfe_u32 v0, v17, 16, 7
	v_mov_b32_e32 v22, 0x7f800001
	v_mov_b32_e32 v23, 0
	v_cmp_ne_u32_e64 s[0:1], s25, v0
	s_and_saveexec_b64 s[14:15], s[0:1]
	s_cbranch_execz .LBB197_613
; %bb.612:                              ;   in Loop: Header=BB197_415 Depth=1
	v_and_b32_e32 v22, 7, v11
	v_lshrrev_b32_e32 v23, 3, v0
	v_cmp_gt_u32_e64 s[0:1], 8, v0
	v_ffbh_u32_e32 v0, v22
	v_min_u32_e32 v0, 32, v0
	v_subrev_u32_e32 v9, 28, v0
	v_lshlrev_b64 v[9:10], v9, v[11:12]
	v_sub_u32_e32 v0, 29, v0
	v_and_b32_e32 v9, 7, v9
	v_cndmask_b32_e64 v0, v23, v0, s[0:1]
	v_cndmask_b32_e64 v9, v22, v9, s[0:1]
	v_lshlrev_b32_e32 v9, 20, v9
	v_and_b32_sdwa v10, sext(v11), s26 dst_sel:DWORD dst_unused:UNUSED_PAD src0_sel:BYTE_0 src1_sel:DWORD
	v_lshl_add_u32 v0, v0, 23, v55
	v_or3_b32 v22, v10, v0, v9
	v_mov_b32_e32 v23, v5
.LBB197_613:                            ;   in Loop: Header=BB197_415 Depth=1
	s_or_b64 exec, exec, s[14:15]
.LBB197_614:                            ;   in Loop: Header=BB197_415 Depth=1
	s_or_b64 exec, exec, s[12:13]
.LBB197_615:                            ;   in Loop: Header=BB197_415 Depth=1
	s_or_b64 exec, exec, s[6:7]
	v_cmp_lt_u32_e64 s[0:1], s27, v17
	s_and_saveexec_b64 s[6:7], s[0:1]
	s_cbranch_execz .LBB197_621
; %bb.616:                              ;   in Loop: Header=BB197_415 Depth=1
	v_mov_b32_e32 v25, v6
	v_cmp_ne_u32_sdwa s[0:1], v17, s24 src0_sel:BYTE_3 src1_sel:DWORD
	v_mov_b32_e32 v24, v5
	s_and_saveexec_b64 s[12:13], s[0:1]
	s_cbranch_execz .LBB197_620
; %bb.617:                              ;   in Loop: Header=BB197_415 Depth=1
	v_bfe_u32 v0, v17, 24, 7
	v_mov_b32_e32 v11, v5
	v_mov_b32_e32 v25, v12
	v_cmp_ne_u32_e64 s[0:1], s25, v0
	v_mov_b32_e32 v24, v11
	s_and_saveexec_b64 s[14:15], s[0:1]
	s_cbranch_execz .LBB197_619
; %bb.618:                              ;   in Loop: Header=BB197_415 Depth=1
	v_and_b32_sdwa v9, v17, v27 dst_sel:DWORD dst_unused:UNUSED_PAD src0_sel:BYTE_3 src1_sel:DWORD
	v_lshrrev_b32_e32 v24, 3, v0
	v_cmp_gt_u32_e64 s[0:1], 8, v0
	v_ffbh_u32_e32 v0, v9
	v_min_u32_e32 v0, 32, v0
	v_mov_b32_e32 v10, v5
	v_subrev_u32_e32 v11, 28, v0
	v_lshlrev_b64 v[10:11], v11, v[9:10]
	v_sub_u32_e32 v0, 29, v0
	v_and_b32_e32 v10, 7, v10
	v_cndmask_b32_e64 v0, v24, v0, s[0:1]
	v_cndmask_b32_e64 v9, v9, v10, s[0:1]
	v_mov_b32_e32 v10, 24
	v_lshlrev_b32_sdwa v10, v10, v17 dst_sel:DWORD dst_unused:UNUSED_PAD src0_sel:DWORD src1_sel:BYTE_3
	v_lshl_add_u32 v0, v0, 23, v55
	v_and_or_b32 v0, v10, s26, v0
	v_lshlrev_b32_e32 v9, 20, v9
	v_or_b32_e32 v25, v0, v9
	v_mov_b32_e32 v24, v5
.LBB197_619:                            ;   in Loop: Header=BB197_415 Depth=1
	s_or_b64 exec, exec, s[14:15]
.LBB197_620:                            ;   in Loop: Header=BB197_415 Depth=1
	s_or_b64 exec, exec, s[12:13]
.LBB197_621:                            ;   in Loop: Header=BB197_415 Depth=1
	s_or_b64 exec, exec, s[6:7]
	v_or_b32_e32 v0, v21, v19
	v_or_b32_e32 v9, v20, v18
	v_mul_f32_e32 v0, s18, v0
	buffer_store_dword v0, off, s[44:47], 0 offset:244 ; 4-byte Folded Spill
	v_mul_f32_e32 v0, s17, v9
	buffer_store_dword v0, off, s[44:47], 0 offset:280 ; 4-byte Folded Spill
	v_or_b32_e32 v0, v25, v23
	v_or_b32_e32 v9, v24, v22
	v_mul_f32_e32 v9, s17, v9
	v_mul_f32_e32 v0, s18, v0
	buffer_store_dword v9, off, s[44:47], 0 offset:276 ; 4-byte Folded Spill
	buffer_store_dword v0, off, s[44:47], 0 offset:260 ; 4-byte Folded Spill
	s_and_saveexec_b64 s[6:7], vcc
	s_cbranch_execz .LBB197_623
; %bb.622:                              ;   in Loop: Header=BB197_415 Depth=1
	v_add_u32_e32 v0, -3, v47
	v_cmp_gt_i32_e64 s[0:1], s30, v0
	buffer_load_dword v0, off, s[44:47], 0 offset:280 ; 4-byte Folded Reload
	s_waitcnt vmcnt(0)
	v_cndmask_b32_e64 v0, 0, v0, s[0:1]
	buffer_store_dword v0, off, s[44:47], 0 offset:280 ; 4-byte Folded Spill
	v_add_u32_e32 v0, -2, v47
	v_cmp_gt_i32_e64 s[0:1], s30, v0
	buffer_load_dword v0, off, s[44:47], 0 offset:244 ; 4-byte Folded Reload
	s_waitcnt vmcnt(0)
	v_cndmask_b32_e64 v0, 0, v0, s[0:1]
	buffer_store_dword v0, off, s[44:47], 0 offset:244 ; 4-byte Folded Spill
	;; [unrolled: 6-line block ×3, first 2 shown]
	buffer_load_dword v0, off, s[44:47], 0 offset:260 ; 4-byte Folded Reload
	v_cmp_gt_i32_e64 s[0:1], s30, v47
	s_waitcnt vmcnt(0)
	v_cndmask_b32_e64 v0, 0, v0, s[0:1]
	buffer_store_dword v0, off, s[44:47], 0 offset:260 ; 4-byte Folded Spill
.LBB197_623:                            ;   in Loop: Header=BB197_415 Depth=1
	s_or_b64 exec, exec, s[6:7]
	global_load_dword v17, v[15:16], off offset:2048
	v_mov_b32_e32 v20, 0
	v_mov_b32_e32 v18, 0
	;; [unrolled: 1-line block ×4, first 2 shown]
	s_waitcnt vmcnt(0)
	v_cmp_ne_u16_sdwa s[0:1], v17, v5 src0_sel:BYTE_0 src1_sel:DWORD
	s_and_saveexec_b64 s[6:7], s[0:1]
	s_cbranch_execz .LBB197_629
; %bb.624:                              ;   in Loop: Header=BB197_415 Depth=1
	v_bfrev_b32_e32 v18, 1
	v_mov_b32_e32 v19, 0
	v_cmp_ne_u16_sdwa s[0:1], v17, s24 src0_sel:BYTE_0 src1_sel:DWORD
	s_and_saveexec_b64 s[12:13], s[0:1]
	s_cbranch_execz .LBB197_628
; %bb.625:                              ;   in Loop: Header=BB197_415 Depth=1
	v_and_b32_e32 v0, 0x7f, v17
	v_mov_b32_e32 v18, 0x7f800001
	v_mov_b32_e32 v19, 0
	v_cmp_ne_u32_e64 s[0:1], s25, v0
	s_and_saveexec_b64 s[14:15], s[0:1]
	s_cbranch_execz .LBB197_627
; %bb.626:                              ;   in Loop: Header=BB197_415 Depth=1
	v_and_b32_e32 v11, 7, v17
	v_lshrrev_b32_e32 v18, 3, v0
	v_cmp_gt_u32_e64 s[0:1], 8, v0
	v_ffbh_u32_e32 v0, v11
	v_min_u32_e32 v0, 32, v0
	v_subrev_u32_e32 v9, 28, v0
	v_lshlrev_b64 v[9:10], v9, v[17:18]
	v_sub_u32_e32 v0, 29, v0
	v_and_b32_e32 v9, 7, v9
	v_cndmask_b32_e64 v0, v18, v0, s[0:1]
	v_cndmask_b32_e64 v9, v11, v9, s[0:1]
	v_lshlrev_b32_e32 v9, 20, v9
	v_and_b32_sdwa v10, sext(v17), s26 dst_sel:DWORD dst_unused:UNUSED_PAD src0_sel:BYTE_0 src1_sel:DWORD
	v_lshl_add_u32 v0, v0, 23, v55
	v_or3_b32 v18, v10, v0, v9
	v_mov_b32_e32 v19, v5
.LBB197_627:                            ;   in Loop: Header=BB197_415 Depth=1
	s_or_b64 exec, exec, s[14:15]
.LBB197_628:                            ;   in Loop: Header=BB197_415 Depth=1
	s_or_b64 exec, exec, s[12:13]
.LBB197_629:                            ;   in Loop: Header=BB197_415 Depth=1
	s_or_b64 exec, exec, s[6:7]
	v_cmp_ne_u16_sdwa s[0:1], v17, v5 src0_sel:BYTE_1 src1_sel:DWORD
	s_and_saveexec_b64 s[6:7], s[0:1]
	s_cbranch_execz .LBB197_635
; %bb.630:                              ;   in Loop: Header=BB197_415 Depth=1
	v_mov_b32_e32 v21, v6
	v_cmp_ne_u16_sdwa s[0:1], v17, s24 src0_sel:BYTE_1 src1_sel:DWORD
	v_mov_b32_e32 v20, v5
	s_and_saveexec_b64 s[12:13], s[0:1]
	s_cbranch_execz .LBB197_634
; %bb.631:                              ;   in Loop: Header=BB197_415 Depth=1
	v_and_b32_sdwa v0, v17, s25 dst_sel:DWORD dst_unused:UNUSED_PAD src0_sel:BYTE_1 src1_sel:DWORD
	v_mov_b32_e32 v11, v5
	v_mov_b32_e32 v21, v12
	v_cmp_ne_u32_e64 s[0:1], s25, v0
	v_mov_b32_e32 v20, v11
	s_and_saveexec_b64 s[14:15], s[0:1]
	s_cbranch_execz .LBB197_633
; %bb.632:                              ;   in Loop: Header=BB197_415 Depth=1
	v_and_b32_sdwa v9, v17, v27 dst_sel:DWORD dst_unused:UNUSED_PAD src0_sel:BYTE_1 src1_sel:DWORD
	v_lshrrev_b32_e32 v20, 3, v0
	v_cmp_gt_u32_e64 s[0:1], 8, v0
	v_ffbh_u32_e32 v0, v9
	v_min_u32_e32 v0, 32, v0
	v_mov_b32_e32 v10, v5
	v_subrev_u32_e32 v11, 28, v0
	v_lshlrev_b64 v[10:11], v11, v[9:10]
	v_sub_u32_e32 v0, 29, v0
	v_and_b32_e32 v10, 7, v10
	v_cndmask_b32_e64 v0, v20, v0, s[0:1]
	v_cndmask_b32_e64 v9, v9, v10, s[0:1]
	v_lshlrev_b32_e32 v10, 16, v17
	v_lshl_add_u32 v0, v0, 23, v55
	v_and_or_b32 v0, v10, s26, v0
	v_lshlrev_b32_e32 v9, 20, v9
	v_or_b32_e32 v21, v0, v9
	v_mov_b32_e32 v20, v5
.LBB197_633:                            ;   in Loop: Header=BB197_415 Depth=1
	s_or_b64 exec, exec, s[14:15]
.LBB197_634:                            ;   in Loop: Header=BB197_415 Depth=1
	s_or_b64 exec, exec, s[12:13]
.LBB197_635:                            ;   in Loop: Header=BB197_415 Depth=1
	s_or_b64 exec, exec, s[6:7]
	v_lshrrev_b32_e32 v11, 16, v17
	v_mov_b32_e32 v24, 0
	v_mov_b32_e32 v22, 0
	;; [unrolled: 1-line block ×4, first 2 shown]
	v_cmp_ne_u16_sdwa s[0:1], v11, v5 src0_sel:BYTE_0 src1_sel:DWORD
	s_and_saveexec_b64 s[6:7], s[0:1]
	s_cbranch_execz .LBB197_641
; %bb.636:                              ;   in Loop: Header=BB197_415 Depth=1
	v_bfrev_b32_e32 v22, 1
	v_mov_b32_e32 v23, 0
	v_cmp_ne_u16_sdwa s[0:1], v11, s24 src0_sel:BYTE_0 src1_sel:DWORD
	s_and_saveexec_b64 s[12:13], s[0:1]
	s_cbranch_execz .LBB197_640
; %bb.637:                              ;   in Loop: Header=BB197_415 Depth=1
	v_bfe_u32 v0, v17, 16, 7
	v_mov_b32_e32 v22, 0x7f800001
	v_mov_b32_e32 v23, 0
	v_cmp_ne_u32_e64 s[0:1], s25, v0
	s_and_saveexec_b64 s[14:15], s[0:1]
	s_cbranch_execz .LBB197_639
; %bb.638:                              ;   in Loop: Header=BB197_415 Depth=1
	v_and_b32_e32 v22, 7, v11
	v_lshrrev_b32_e32 v23, 3, v0
	v_cmp_gt_u32_e64 s[0:1], 8, v0
	v_ffbh_u32_e32 v0, v22
	v_min_u32_e32 v0, 32, v0
	v_subrev_u32_e32 v9, 28, v0
	v_lshlrev_b64 v[9:10], v9, v[11:12]
	v_sub_u32_e32 v0, 29, v0
	v_and_b32_e32 v9, 7, v9
	v_cndmask_b32_e64 v0, v23, v0, s[0:1]
	v_cndmask_b32_e64 v9, v22, v9, s[0:1]
	v_lshlrev_b32_e32 v9, 20, v9
	v_and_b32_sdwa v10, sext(v11), s26 dst_sel:DWORD dst_unused:UNUSED_PAD src0_sel:BYTE_0 src1_sel:DWORD
	v_lshl_add_u32 v0, v0, 23, v55
	v_or3_b32 v22, v10, v0, v9
	v_mov_b32_e32 v23, v5
.LBB197_639:                            ;   in Loop: Header=BB197_415 Depth=1
	s_or_b64 exec, exec, s[14:15]
.LBB197_640:                            ;   in Loop: Header=BB197_415 Depth=1
	s_or_b64 exec, exec, s[12:13]
.LBB197_641:                            ;   in Loop: Header=BB197_415 Depth=1
	s_or_b64 exec, exec, s[6:7]
	v_cmp_lt_u32_e64 s[0:1], s27, v17
	s_and_saveexec_b64 s[6:7], s[0:1]
	s_cbranch_execz .LBB197_647
; %bb.642:                              ;   in Loop: Header=BB197_415 Depth=1
	v_mov_b32_e32 v25, v6
	v_cmp_ne_u32_sdwa s[0:1], v17, s24 src0_sel:BYTE_3 src1_sel:DWORD
	v_mov_b32_e32 v24, v5
	s_and_saveexec_b64 s[12:13], s[0:1]
	s_cbranch_execz .LBB197_646
; %bb.643:                              ;   in Loop: Header=BB197_415 Depth=1
	v_bfe_u32 v0, v17, 24, 7
	v_mov_b32_e32 v11, v5
	v_mov_b32_e32 v25, v12
	v_cmp_ne_u32_e64 s[0:1], s25, v0
	v_mov_b32_e32 v24, v11
	s_and_saveexec_b64 s[14:15], s[0:1]
	s_cbranch_execz .LBB197_645
; %bb.644:                              ;   in Loop: Header=BB197_415 Depth=1
	v_and_b32_sdwa v9, v17, v27 dst_sel:DWORD dst_unused:UNUSED_PAD src0_sel:BYTE_3 src1_sel:DWORD
	v_lshrrev_b32_e32 v24, 3, v0
	v_cmp_gt_u32_e64 s[0:1], 8, v0
	v_ffbh_u32_e32 v0, v9
	v_min_u32_e32 v0, 32, v0
	v_mov_b32_e32 v10, v5
	v_subrev_u32_e32 v11, 28, v0
	v_lshlrev_b64 v[10:11], v11, v[9:10]
	v_sub_u32_e32 v0, 29, v0
	v_and_b32_e32 v10, 7, v10
	v_cndmask_b32_e64 v0, v24, v0, s[0:1]
	v_cndmask_b32_e64 v9, v9, v10, s[0:1]
	v_mov_b32_e32 v10, 24
	v_lshlrev_b32_sdwa v10, v10, v17 dst_sel:DWORD dst_unused:UNUSED_PAD src0_sel:DWORD src1_sel:BYTE_3
	v_lshl_add_u32 v0, v0, 23, v55
	v_and_or_b32 v0, v10, s26, v0
	v_lshlrev_b32_e32 v9, 20, v9
	v_or_b32_e32 v25, v0, v9
	v_mov_b32_e32 v24, v5
.LBB197_645:                            ;   in Loop: Header=BB197_415 Depth=1
	s_or_b64 exec, exec, s[14:15]
.LBB197_646:                            ;   in Loop: Header=BB197_415 Depth=1
	s_or_b64 exec, exec, s[12:13]
.LBB197_647:                            ;   in Loop: Header=BB197_415 Depth=1
	s_or_b64 exec, exec, s[6:7]
	v_or_b32_e32 v0, v21, v19
	v_or_b32_e32 v9, v20, v18
	v_mul_f32_e32 v0, s18, v0
	buffer_store_dword v0, off, s[44:47], 0 offset:284 ; 4-byte Folded Spill
	v_mul_f32_e32 v0, s17, v9
	buffer_store_dword v0, off, s[44:47], 0 offset:324 ; 4-byte Folded Spill
	v_or_b32_e32 v0, v25, v23
	v_or_b32_e32 v9, v24, v22
	v_mul_f32_e32 v9, s17, v9
	v_mul_f32_e32 v0, s18, v0
	buffer_store_dword v9, off, s[44:47], 0 offset:316 ; 4-byte Folded Spill
	buffer_store_dword v0, off, s[44:47], 0 offset:300 ; 4-byte Folded Spill
	s_and_saveexec_b64 s[6:7], vcc
	s_cbranch_execz .LBB197_649
; %bb.648:                              ;   in Loop: Header=BB197_415 Depth=1
	v_add_u32_e32 v0, -3, v47
	v_cmp_gt_i32_e64 s[0:1], s30, v0
	buffer_load_dword v0, off, s[44:47], 0 offset:324 ; 4-byte Folded Reload
	s_waitcnt vmcnt(0)
	v_cndmask_b32_e64 v0, 0, v0, s[0:1]
	buffer_store_dword v0, off, s[44:47], 0 offset:324 ; 4-byte Folded Spill
	v_add_u32_e32 v0, -2, v47
	v_cmp_gt_i32_e64 s[0:1], s30, v0
	buffer_load_dword v0, off, s[44:47], 0 offset:284 ; 4-byte Folded Reload
	s_waitcnt vmcnt(0)
	v_cndmask_b32_e64 v0, 0, v0, s[0:1]
	buffer_store_dword v0, off, s[44:47], 0 offset:284 ; 4-byte Folded Spill
	;; [unrolled: 6-line block ×3, first 2 shown]
	buffer_load_dword v0, off, s[44:47], 0 offset:300 ; 4-byte Folded Reload
	v_cmp_gt_i32_e64 s[0:1], s30, v47
	s_waitcnt vmcnt(0)
	v_cndmask_b32_e64 v0, 0, v0, s[0:1]
	buffer_store_dword v0, off, s[44:47], 0 offset:300 ; 4-byte Folded Spill
.LBB197_649:                            ;   in Loop: Header=BB197_415 Depth=1
	s_or_b64 exec, exec, s[6:7]
	global_load_dword v17, v[15:16], off offset:2304
	v_mov_b32_e32 v20, 0
	v_mov_b32_e32 v18, 0
	;; [unrolled: 1-line block ×4, first 2 shown]
	s_waitcnt vmcnt(0)
	v_cmp_ne_u16_sdwa s[0:1], v17, v5 src0_sel:BYTE_0 src1_sel:DWORD
	s_and_saveexec_b64 s[6:7], s[0:1]
	s_cbranch_execz .LBB197_655
; %bb.650:                              ;   in Loop: Header=BB197_415 Depth=1
	v_bfrev_b32_e32 v18, 1
	v_mov_b32_e32 v19, 0
	v_cmp_ne_u16_sdwa s[0:1], v17, s24 src0_sel:BYTE_0 src1_sel:DWORD
	s_and_saveexec_b64 s[12:13], s[0:1]
	s_cbranch_execz .LBB197_654
; %bb.651:                              ;   in Loop: Header=BB197_415 Depth=1
	v_and_b32_e32 v0, 0x7f, v17
	v_mov_b32_e32 v18, 0x7f800001
	v_mov_b32_e32 v19, 0
	v_cmp_ne_u32_e64 s[0:1], s25, v0
	s_and_saveexec_b64 s[14:15], s[0:1]
	s_cbranch_execz .LBB197_653
; %bb.652:                              ;   in Loop: Header=BB197_415 Depth=1
	v_and_b32_e32 v11, 7, v17
	v_lshrrev_b32_e32 v22, 3, v0
	v_cmp_gt_u32_e64 s[0:1], 8, v0
	v_ffbh_u32_e32 v0, v11
	v_min_u32_e32 v0, 32, v0
	v_subrev_u32_e32 v18, 28, v0
	v_lshlrev_b64 v[18:19], v18, v[17:18]
	v_sub_u32_e32 v0, 29, v0
	v_and_b32_e32 v18, 7, v18
	v_cndmask_b32_e64 v0, v22, v0, s[0:1]
	v_cndmask_b32_e64 v11, v11, v18, s[0:1]
	v_lshlrev_b32_e32 v11, 20, v11
	v_and_b32_sdwa v18, sext(v17), s26 dst_sel:DWORD dst_unused:UNUSED_PAD src0_sel:BYTE_0 src1_sel:DWORD
	v_lshl_add_u32 v0, v0, 23, v55
	v_or3_b32 v18, v18, v0, v11
	v_mov_b32_e32 v19, v5
.LBB197_653:                            ;   in Loop: Header=BB197_415 Depth=1
	s_or_b64 exec, exec, s[14:15]
.LBB197_654:                            ;   in Loop: Header=BB197_415 Depth=1
	s_or_b64 exec, exec, s[12:13]
.LBB197_655:                            ;   in Loop: Header=BB197_415 Depth=1
	s_or_b64 exec, exec, s[6:7]
	v_cmp_ne_u16_sdwa s[0:1], v17, v5 src0_sel:BYTE_1 src1_sel:DWORD
	s_and_saveexec_b64 s[6:7], s[0:1]
	s_cbranch_execz .LBB197_661
; %bb.656:                              ;   in Loop: Header=BB197_415 Depth=1
	v_mov_b32_e32 v21, v6
	v_cmp_ne_u16_sdwa s[0:1], v17, s24 src0_sel:BYTE_1 src1_sel:DWORD
	v_mov_b32_e32 v20, v5
	s_and_saveexec_b64 s[12:13], s[0:1]
	s_cbranch_execz .LBB197_660
; %bb.657:                              ;   in Loop: Header=BB197_415 Depth=1
	v_and_b32_sdwa v0, v17, s25 dst_sel:DWORD dst_unused:UNUSED_PAD src0_sel:BYTE_1 src1_sel:DWORD
	v_mov_b32_e32 v11, v5
	v_mov_b32_e32 v21, v12
	v_cmp_ne_u32_e64 s[0:1], s25, v0
	v_mov_b32_e32 v20, v11
	s_and_saveexec_b64 s[14:15], s[0:1]
	s_cbranch_execz .LBB197_659
; %bb.658:                              ;   in Loop: Header=BB197_415 Depth=1
	v_and_b32_sdwa v20, v17, v27 dst_sel:DWORD dst_unused:UNUSED_PAD src0_sel:BYTE_1 src1_sel:DWORD
	v_lshrrev_b32_e32 v11, 3, v0
	v_cmp_gt_u32_e64 s[0:1], 8, v0
	v_ffbh_u32_e32 v0, v20
	v_min_u32_e32 v0, 32, v0
	v_mov_b32_e32 v21, v5
	v_subrev_u32_e32 v22, 28, v0
	v_lshlrev_b64 v[21:22], v22, v[20:21]
	v_sub_u32_e32 v0, 29, v0
	v_and_b32_e32 v21, 7, v21
	v_cndmask_b32_e64 v0, v11, v0, s[0:1]
	v_cndmask_b32_e64 v11, v20, v21, s[0:1]
	v_lshlrev_b32_e32 v20, 16, v17
	v_lshl_add_u32 v0, v0, 23, v55
	v_and_or_b32 v0, v20, s26, v0
	v_lshlrev_b32_e32 v11, 20, v11
	v_or_b32_e32 v21, v0, v11
	v_mov_b32_e32 v20, v5
.LBB197_659:                            ;   in Loop: Header=BB197_415 Depth=1
	s_or_b64 exec, exec, s[14:15]
.LBB197_660:                            ;   in Loop: Header=BB197_415 Depth=1
	s_or_b64 exec, exec, s[12:13]
.LBB197_661:                            ;   in Loop: Header=BB197_415 Depth=1
	s_or_b64 exec, exec, s[6:7]
	v_lshrrev_b32_e32 v11, 16, v17
	v_mov_b32_e32 v24, 0
	v_mov_b32_e32 v22, 0
	;; [unrolled: 1-line block ×4, first 2 shown]
	v_cmp_ne_u16_sdwa s[0:1], v11, v5 src0_sel:BYTE_0 src1_sel:DWORD
	s_and_saveexec_b64 s[6:7], s[0:1]
	s_cbranch_execz .LBB197_667
; %bb.662:                              ;   in Loop: Header=BB197_415 Depth=1
	v_bfrev_b32_e32 v22, 1
	v_mov_b32_e32 v23, 0
	v_cmp_ne_u16_sdwa s[0:1], v11, s24 src0_sel:BYTE_0 src1_sel:DWORD
	s_and_saveexec_b64 s[12:13], s[0:1]
	s_cbranch_execz .LBB197_666
; %bb.663:                              ;   in Loop: Header=BB197_415 Depth=1
	v_bfe_u32 v0, v17, 16, 7
	v_mov_b32_e32 v22, 0x7f800001
	v_mov_b32_e32 v23, 0
	v_cmp_ne_u32_e64 s[0:1], s25, v0
	s_and_saveexec_b64 s[14:15], s[0:1]
	s_cbranch_execz .LBB197_665
; %bb.664:                              ;   in Loop: Header=BB197_415 Depth=1
	v_and_b32_e32 v26, 7, v11
	v_lshrrev_b32_e32 v27, 3, v0
	v_cmp_gt_u32_e64 s[0:1], 8, v0
	v_ffbh_u32_e32 v0, v26
	v_min_u32_e32 v0, 32, v0
	v_subrev_u32_e32 v22, 28, v0
	v_lshlrev_b64 v[22:23], v22, v[11:12]
	v_sub_u32_e32 v0, 29, v0
	v_and_b32_e32 v22, 7, v22
	v_cndmask_b32_e64 v0, v27, v0, s[0:1]
	v_cndmask_b32_e64 v22, v26, v22, s[0:1]
	v_lshlrev_b32_e32 v22, 20, v22
	v_and_b32_sdwa v11, sext(v11), s26 dst_sel:DWORD dst_unused:UNUSED_PAD src0_sel:BYTE_0 src1_sel:DWORD
	v_lshl_add_u32 v0, v0, 23, v55
	v_mov_b32_e32 v27, 7
	v_or3_b32 v22, v11, v0, v22
	v_mov_b32_e32 v23, v5
.LBB197_665:                            ;   in Loop: Header=BB197_415 Depth=1
	s_or_b64 exec, exec, s[14:15]
.LBB197_666:                            ;   in Loop: Header=BB197_415 Depth=1
	s_or_b64 exec, exec, s[12:13]
.LBB197_667:                            ;   in Loop: Header=BB197_415 Depth=1
	s_or_b64 exec, exec, s[6:7]
	v_cmp_lt_u32_e64 s[0:1], s27, v17
	s_and_saveexec_b64 s[6:7], s[0:1]
	s_cbranch_execz .LBB197_673
; %bb.668:                              ;   in Loop: Header=BB197_415 Depth=1
	v_mov_b32_e32 v25, v6
	v_cmp_ne_u32_sdwa s[0:1], v17, s24 src0_sel:BYTE_3 src1_sel:DWORD
	v_mov_b32_e32 v24, v5
	s_and_saveexec_b64 s[12:13], s[0:1]
	s_cbranch_execz .LBB197_672
; %bb.669:                              ;   in Loop: Header=BB197_415 Depth=1
	v_bfe_u32 v0, v17, 24, 7
	v_mov_b32_e32 v11, v5
	v_mov_b32_e32 v25, v12
	v_cmp_ne_u32_e64 s[0:1], s25, v0
	v_mov_b32_e32 v24, v11
	s_and_saveexec_b64 s[14:15], s[0:1]
	s_cbranch_execz .LBB197_671
; %bb.670:                              ;   in Loop: Header=BB197_415 Depth=1
	v_and_b32_sdwa v24, v17, v27 dst_sel:DWORD dst_unused:UNUSED_PAD src0_sel:BYTE_3 src1_sel:DWORD
	v_lshrrev_b32_e32 v11, 3, v0
	v_cmp_gt_u32_e64 s[0:1], 8, v0
	v_ffbh_u32_e32 v0, v24
	v_min_u32_e32 v0, 32, v0
	v_mov_b32_e32 v25, v5
	v_subrev_u32_e32 v26, 28, v0
	v_lshlrev_b64 v[25:26], v26, v[24:25]
	v_sub_u32_e32 v0, 29, v0
	v_and_b32_e32 v25, 7, v25
	v_cndmask_b32_e64 v0, v11, v0, s[0:1]
	v_mov_b32_e32 v9, 24
	v_cndmask_b32_e64 v11, v24, v25, s[0:1]
	v_lshlrev_b32_sdwa v17, v9, v17 dst_sel:DWORD dst_unused:UNUSED_PAD src0_sel:DWORD src1_sel:BYTE_3
	v_lshl_add_u32 v0, v0, 23, v55
	v_and_or_b32 v0, v17, s26, v0
	v_lshlrev_b32_e32 v11, 20, v11
	v_or_b32_e32 v25, v0, v11
	v_mov_b32_e32 v24, v5
.LBB197_671:                            ;   in Loop: Header=BB197_415 Depth=1
	s_or_b64 exec, exec, s[14:15]
.LBB197_672:                            ;   in Loop: Header=BB197_415 Depth=1
	s_or_b64 exec, exec, s[12:13]
.LBB197_673:                            ;   in Loop: Header=BB197_415 Depth=1
	s_or_b64 exec, exec, s[6:7]
	v_or_b32_e32 v0, v21, v19
	v_or_b32_e32 v11, v20, v18
	v_mul_f32_e32 v0, s18, v0
	buffer_store_dword v0, off, s[44:47], 0 offset:340 ; 4-byte Folded Spill
	v_mul_f32_e32 v0, s17, v11
	buffer_store_dword v0, off, s[44:47], 0 offset:352 ; 4-byte Folded Spill
	v_or_b32_e32 v0, v25, v23
	v_or_b32_e32 v11, v24, v22
	v_mul_f32_e32 v9, s17, v11
	v_mul_f32_e32 v0, s18, v0
	buffer_store_dword v9, off, s[44:47], 0 offset:348 ; 4-byte Folded Spill
	buffer_store_dword v0, off, s[44:47], 0 offset:344 ; 4-byte Folded Spill
	s_and_saveexec_b64 s[6:7], vcc
	s_cbranch_execz .LBB197_675
; %bb.674:                              ;   in Loop: Header=BB197_415 Depth=1
	v_add_u32_e32 v0, -3, v47
	v_cmp_gt_i32_e64 s[0:1], s30, v0
	buffer_load_dword v0, off, s[44:47], 0 offset:352 ; 4-byte Folded Reload
	s_waitcnt vmcnt(0)
	v_cndmask_b32_e64 v0, 0, v0, s[0:1]
	buffer_store_dword v0, off, s[44:47], 0 offset:352 ; 4-byte Folded Spill
	v_add_u32_e32 v0, -2, v47
	v_cmp_gt_i32_e64 s[0:1], s30, v0
	buffer_load_dword v0, off, s[44:47], 0 offset:340 ; 4-byte Folded Reload
	s_waitcnt vmcnt(0)
	v_cndmask_b32_e64 v0, 0, v0, s[0:1]
	buffer_store_dword v0, off, s[44:47], 0 offset:340 ; 4-byte Folded Spill
	;; [unrolled: 6-line block ×3, first 2 shown]
	buffer_load_dword v0, off, s[44:47], 0 offset:344 ; 4-byte Folded Reload
	v_cmp_gt_i32_e64 s[0:1], s30, v47
	s_waitcnt vmcnt(0)
	v_cndmask_b32_e64 v0, 0, v0, s[0:1]
	buffer_store_dword v0, off, s[44:47], 0 offset:344 ; 4-byte Folded Spill
.LBB197_675:                            ;   in Loop: Header=BB197_415 Depth=1
	s_or_b64 exec, exec, s[6:7]
	global_load_dword v17, v[15:16], off offset:2560
	v_mov_b32_e32 v20, 0
	v_mov_b32_e32 v18, 0
	;; [unrolled: 1-line block ×4, first 2 shown]
	s_waitcnt vmcnt(0)
	v_cmp_ne_u16_sdwa s[0:1], v17, v5 src0_sel:BYTE_0 src1_sel:DWORD
	s_and_saveexec_b64 s[6:7], s[0:1]
	s_cbranch_execz .LBB197_681
; %bb.676:                              ;   in Loop: Header=BB197_415 Depth=1
	v_bfrev_b32_e32 v18, 1
	v_mov_b32_e32 v19, 0
	v_cmp_ne_u16_sdwa s[0:1], v17, s24 src0_sel:BYTE_0 src1_sel:DWORD
	s_and_saveexec_b64 s[12:13], s[0:1]
	s_cbranch_execz .LBB197_680
; %bb.677:                              ;   in Loop: Header=BB197_415 Depth=1
	v_and_b32_e32 v0, 0x7f, v17
	v_mov_b32_e32 v18, 0x7f800001
	v_mov_b32_e32 v19, 0
	v_cmp_ne_u32_e64 s[0:1], s25, v0
	s_and_saveexec_b64 s[14:15], s[0:1]
	s_cbranch_execz .LBB197_679
; %bb.678:                              ;   in Loop: Header=BB197_415 Depth=1
	v_and_b32_e32 v11, 7, v17
	v_lshrrev_b32_e32 v22, 3, v0
	v_cmp_gt_u32_e64 s[0:1], 8, v0
	v_ffbh_u32_e32 v0, v11
	v_min_u32_e32 v0, 32, v0
	v_subrev_u32_e32 v18, 28, v0
	v_lshlrev_b64 v[18:19], v18, v[17:18]
	v_sub_u32_e32 v0, 29, v0
	v_and_b32_e32 v18, 7, v18
	v_cndmask_b32_e64 v0, v22, v0, s[0:1]
	v_cndmask_b32_e64 v11, v11, v18, s[0:1]
	v_lshlrev_b32_e32 v11, 20, v11
	v_and_b32_sdwa v18, sext(v17), s26 dst_sel:DWORD dst_unused:UNUSED_PAD src0_sel:BYTE_0 src1_sel:DWORD
	v_lshl_add_u32 v0, v0, 23, v55
	v_or3_b32 v18, v18, v0, v11
	v_mov_b32_e32 v19, v5
.LBB197_679:                            ;   in Loop: Header=BB197_415 Depth=1
	s_or_b64 exec, exec, s[14:15]
.LBB197_680:                            ;   in Loop: Header=BB197_415 Depth=1
	s_or_b64 exec, exec, s[12:13]
.LBB197_681:                            ;   in Loop: Header=BB197_415 Depth=1
	s_or_b64 exec, exec, s[6:7]
	v_cmp_ne_u16_sdwa s[0:1], v17, v5 src0_sel:BYTE_1 src1_sel:DWORD
	s_and_saveexec_b64 s[6:7], s[0:1]
	s_cbranch_execz .LBB197_687
; %bb.682:                              ;   in Loop: Header=BB197_415 Depth=1
	v_mov_b32_e32 v21, v6
	v_cmp_ne_u16_sdwa s[0:1], v17, s24 src0_sel:BYTE_1 src1_sel:DWORD
	v_mov_b32_e32 v20, v5
	s_and_saveexec_b64 s[12:13], s[0:1]
	s_cbranch_execz .LBB197_686
; %bb.683:                              ;   in Loop: Header=BB197_415 Depth=1
	v_and_b32_sdwa v0, v17, s25 dst_sel:DWORD dst_unused:UNUSED_PAD src0_sel:BYTE_1 src1_sel:DWORD
	v_mov_b32_e32 v11, v5
	v_mov_b32_e32 v21, v12
	v_cmp_ne_u32_e64 s[0:1], s25, v0
	v_mov_b32_e32 v20, v11
	s_and_saveexec_b64 s[14:15], s[0:1]
	s_cbranch_execz .LBB197_685
; %bb.684:                              ;   in Loop: Header=BB197_415 Depth=1
	v_and_b32_sdwa v20, v17, v27 dst_sel:DWORD dst_unused:UNUSED_PAD src0_sel:BYTE_1 src1_sel:DWORD
	v_lshrrev_b32_e32 v11, 3, v0
	v_cmp_gt_u32_e64 s[0:1], 8, v0
	v_ffbh_u32_e32 v0, v20
	v_min_u32_e32 v0, 32, v0
	v_mov_b32_e32 v21, v5
	v_subrev_u32_e32 v22, 28, v0
	v_lshlrev_b64 v[21:22], v22, v[20:21]
	v_sub_u32_e32 v0, 29, v0
	v_and_b32_e32 v21, 7, v21
	v_cndmask_b32_e64 v0, v11, v0, s[0:1]
	v_cndmask_b32_e64 v11, v20, v21, s[0:1]
	v_lshlrev_b32_e32 v20, 16, v17
	v_lshl_add_u32 v0, v0, 23, v55
	v_and_or_b32 v0, v20, s26, v0
	v_lshlrev_b32_e32 v11, 20, v11
	v_or_b32_e32 v21, v0, v11
	v_mov_b32_e32 v20, v5
.LBB197_685:                            ;   in Loop: Header=BB197_415 Depth=1
	s_or_b64 exec, exec, s[14:15]
.LBB197_686:                            ;   in Loop: Header=BB197_415 Depth=1
	s_or_b64 exec, exec, s[12:13]
.LBB197_687:                            ;   in Loop: Header=BB197_415 Depth=1
	s_or_b64 exec, exec, s[6:7]
	v_lshrrev_b32_e32 v11, 16, v17
	v_mov_b32_e32 v24, 0
	v_mov_b32_e32 v22, 0
	;; [unrolled: 1-line block ×4, first 2 shown]
	v_cmp_ne_u16_sdwa s[0:1], v11, v5 src0_sel:BYTE_0 src1_sel:DWORD
	s_and_saveexec_b64 s[6:7], s[0:1]
	s_cbranch_execz .LBB197_693
; %bb.688:                              ;   in Loop: Header=BB197_415 Depth=1
	v_bfrev_b32_e32 v22, 1
	v_mov_b32_e32 v23, 0
	v_cmp_ne_u16_sdwa s[0:1], v11, s24 src0_sel:BYTE_0 src1_sel:DWORD
	s_and_saveexec_b64 s[12:13], s[0:1]
	s_cbranch_execz .LBB197_692
; %bb.689:                              ;   in Loop: Header=BB197_415 Depth=1
	v_bfe_u32 v0, v17, 16, 7
	v_mov_b32_e32 v22, 0x7f800001
	v_mov_b32_e32 v23, 0
	v_cmp_ne_u32_e64 s[0:1], s25, v0
	s_and_saveexec_b64 s[14:15], s[0:1]
	s_cbranch_execz .LBB197_691
; %bb.690:                              ;   in Loop: Header=BB197_415 Depth=1
	v_and_b32_e32 v26, 7, v11
	v_lshrrev_b32_e32 v29, 3, v0
	v_cmp_gt_u32_e64 s[0:1], 8, v0
	v_ffbh_u32_e32 v0, v26
	v_min_u32_e32 v0, 32, v0
	v_subrev_u32_e32 v22, 28, v0
	v_lshlrev_b64 v[22:23], v22, v[11:12]
	v_sub_u32_e32 v0, 29, v0
	v_and_b32_e32 v22, 7, v22
	v_cndmask_b32_e64 v0, v29, v0, s[0:1]
	v_cndmask_b32_e64 v22, v26, v22, s[0:1]
	v_lshlrev_b32_e32 v22, 20, v22
	v_and_b32_sdwa v11, sext(v11), s26 dst_sel:DWORD dst_unused:UNUSED_PAD src0_sel:BYTE_0 src1_sel:DWORD
	v_lshl_add_u32 v0, v0, 23, v55
	v_or3_b32 v22, v11, v0, v22
	v_mov_b32_e32 v23, v5
.LBB197_691:                            ;   in Loop: Header=BB197_415 Depth=1
	s_or_b64 exec, exec, s[14:15]
.LBB197_692:                            ;   in Loop: Header=BB197_415 Depth=1
	s_or_b64 exec, exec, s[12:13]
.LBB197_693:                            ;   in Loop: Header=BB197_415 Depth=1
	s_or_b64 exec, exec, s[6:7]
	v_cmp_lt_u32_e64 s[0:1], s27, v17
	s_and_saveexec_b64 s[6:7], s[0:1]
	s_cbranch_execz .LBB197_699
; %bb.694:                              ;   in Loop: Header=BB197_415 Depth=1
	v_mov_b32_e32 v25, v6
	v_cmp_ne_u32_sdwa s[0:1], v17, s24 src0_sel:BYTE_3 src1_sel:DWORD
	v_mov_b32_e32 v24, v5
	s_and_saveexec_b64 s[12:13], s[0:1]
	s_cbranch_execz .LBB197_698
; %bb.695:                              ;   in Loop: Header=BB197_415 Depth=1
	v_bfe_u32 v0, v17, 24, 7
	v_mov_b32_e32 v11, v5
	v_mov_b32_e32 v25, v12
	v_cmp_ne_u32_e64 s[0:1], s25, v0
	v_mov_b32_e32 v24, v11
	s_and_saveexec_b64 s[14:15], s[0:1]
	s_cbranch_execz .LBB197_697
; %bb.696:                              ;   in Loop: Header=BB197_415 Depth=1
	v_and_b32_sdwa v24, v17, v27 dst_sel:DWORD dst_unused:UNUSED_PAD src0_sel:BYTE_3 src1_sel:DWORD
	v_lshrrev_b32_e32 v11, 3, v0
	v_cmp_gt_u32_e64 s[0:1], 8, v0
	v_ffbh_u32_e32 v0, v24
	v_min_u32_e32 v0, 32, v0
	v_mov_b32_e32 v25, v5
	v_subrev_u32_e32 v26, 28, v0
	v_lshlrev_b64 v[25:26], v26, v[24:25]
	v_sub_u32_e32 v0, 29, v0
	v_and_b32_e32 v25, 7, v25
	v_cndmask_b32_e64 v0, v11, v0, s[0:1]
	v_mov_b32_e32 v9, 24
	v_cndmask_b32_e64 v11, v24, v25, s[0:1]
	v_lshlrev_b32_sdwa v17, v9, v17 dst_sel:DWORD dst_unused:UNUSED_PAD src0_sel:DWORD src1_sel:BYTE_3
	v_lshl_add_u32 v0, v0, 23, v55
	v_and_or_b32 v0, v17, s26, v0
	v_lshlrev_b32_e32 v11, 20, v11
	v_or_b32_e32 v25, v0, v11
	v_mov_b32_e32 v24, v5
.LBB197_697:                            ;   in Loop: Header=BB197_415 Depth=1
	s_or_b64 exec, exec, s[14:15]
.LBB197_698:                            ;   in Loop: Header=BB197_415 Depth=1
	s_or_b64 exec, exec, s[12:13]
.LBB197_699:                            ;   in Loop: Header=BB197_415 Depth=1
	s_or_b64 exec, exec, s[6:7]
	v_or_b32_e32 v0, v21, v19
	v_or_b32_e32 v11, v20, v18
	v_mul_f32_e32 v48, s18, v0
	v_mul_f32_e32 v58, s17, v11
	v_or_b32_e32 v0, v25, v23
	v_or_b32_e32 v11, v24, v22
	v_mul_f32_e32 v50, s17, v11
	v_mul_f32_e32 v52, s18, v0
	s_and_saveexec_b64 s[6:7], vcc
	s_cbranch_execz .LBB197_701
; %bb.700:                              ;   in Loop: Header=BB197_415 Depth=1
	v_add_u32_e32 v0, -3, v47
	v_cmp_gt_i32_e64 s[0:1], s30, v0
	v_add_u32_e32 v0, -2, v47
	v_cndmask_b32_e64 v58, 0, v58, s[0:1]
	v_cmp_gt_i32_e64 s[0:1], s30, v0
	v_add_u32_e32 v0, -1, v47
	v_cndmask_b32_e64 v48, 0, v48, s[0:1]
	v_cmp_gt_i32_e64 s[0:1], s30, v0
	v_cndmask_b32_e64 v50, 0, v50, s[0:1]
	v_cmp_gt_i32_e64 s[0:1], s30, v47
	v_cndmask_b32_e64 v52, 0, v52, s[0:1]
.LBB197_701:                            ;   in Loop: Header=BB197_415 Depth=1
	s_or_b64 exec, exec, s[6:7]
	global_load_dword v17, v[15:16], off offset:2816
	v_mov_b32_e32 v20, 0
	v_mov_b32_e32 v18, 0
	;; [unrolled: 1-line block ×4, first 2 shown]
	s_waitcnt vmcnt(0)
	v_cmp_ne_u16_sdwa s[0:1], v17, v5 src0_sel:BYTE_0 src1_sel:DWORD
	s_and_saveexec_b64 s[6:7], s[0:1]
	s_cbranch_execz .LBB197_707
; %bb.702:                              ;   in Loop: Header=BB197_415 Depth=1
	v_bfrev_b32_e32 v18, 1
	v_mov_b32_e32 v19, 0
	v_cmp_ne_u16_sdwa s[0:1], v17, s24 src0_sel:BYTE_0 src1_sel:DWORD
	s_and_saveexec_b64 s[12:13], s[0:1]
	s_cbranch_execz .LBB197_706
; %bb.703:                              ;   in Loop: Header=BB197_415 Depth=1
	v_and_b32_e32 v0, 0x7f, v17
	v_mov_b32_e32 v18, 0x7f800001
	v_mov_b32_e32 v19, 0
	v_cmp_ne_u32_e64 s[0:1], s25, v0
	s_and_saveexec_b64 s[14:15], s[0:1]
	s_cbranch_execz .LBB197_705
; %bb.704:                              ;   in Loop: Header=BB197_415 Depth=1
	v_and_b32_e32 v11, 7, v17
	v_lshrrev_b32_e32 v22, 3, v0
	v_cmp_gt_u32_e64 s[0:1], 8, v0
	v_ffbh_u32_e32 v0, v11
	v_min_u32_e32 v0, 32, v0
	v_subrev_u32_e32 v18, 28, v0
	v_lshlrev_b64 v[18:19], v18, v[17:18]
	v_sub_u32_e32 v0, 29, v0
	v_and_b32_e32 v18, 7, v18
	v_cndmask_b32_e64 v0, v22, v0, s[0:1]
	v_cndmask_b32_e64 v11, v11, v18, s[0:1]
	v_lshlrev_b32_e32 v11, 20, v11
	v_and_b32_sdwa v18, sext(v17), s26 dst_sel:DWORD dst_unused:UNUSED_PAD src0_sel:BYTE_0 src1_sel:DWORD
	v_lshl_add_u32 v0, v0, 23, v55
	v_or3_b32 v18, v18, v0, v11
	v_mov_b32_e32 v19, v5
.LBB197_705:                            ;   in Loop: Header=BB197_415 Depth=1
	s_or_b64 exec, exec, s[14:15]
.LBB197_706:                            ;   in Loop: Header=BB197_415 Depth=1
	s_or_b64 exec, exec, s[12:13]
.LBB197_707:                            ;   in Loop: Header=BB197_415 Depth=1
	s_or_b64 exec, exec, s[6:7]
	v_cmp_ne_u16_sdwa s[0:1], v17, v5 src0_sel:BYTE_1 src1_sel:DWORD
	s_and_saveexec_b64 s[6:7], s[0:1]
	s_cbranch_execz .LBB197_713
; %bb.708:                              ;   in Loop: Header=BB197_415 Depth=1
	v_mov_b32_e32 v21, v6
	v_cmp_ne_u16_sdwa s[0:1], v17, s24 src0_sel:BYTE_1 src1_sel:DWORD
	v_mov_b32_e32 v20, v5
	s_and_saveexec_b64 s[12:13], s[0:1]
	s_cbranch_execz .LBB197_712
; %bb.709:                              ;   in Loop: Header=BB197_415 Depth=1
	v_and_b32_sdwa v0, v17, s25 dst_sel:DWORD dst_unused:UNUSED_PAD src0_sel:BYTE_1 src1_sel:DWORD
	v_mov_b32_e32 v11, v5
	v_mov_b32_e32 v21, v12
	v_cmp_ne_u32_e64 s[0:1], s25, v0
	v_mov_b32_e32 v20, v11
	s_and_saveexec_b64 s[14:15], s[0:1]
	s_cbranch_execz .LBB197_711
; %bb.710:                              ;   in Loop: Header=BB197_415 Depth=1
	v_and_b32_sdwa v20, v17, v27 dst_sel:DWORD dst_unused:UNUSED_PAD src0_sel:BYTE_1 src1_sel:DWORD
	v_lshrrev_b32_e32 v11, 3, v0
	v_cmp_gt_u32_e64 s[0:1], 8, v0
	v_ffbh_u32_e32 v0, v20
	v_min_u32_e32 v0, 32, v0
	v_mov_b32_e32 v21, v5
	v_subrev_u32_e32 v22, 28, v0
	v_lshlrev_b64 v[21:22], v22, v[20:21]
	v_sub_u32_e32 v0, 29, v0
	v_and_b32_e32 v21, 7, v21
	v_cndmask_b32_e64 v0, v11, v0, s[0:1]
	v_cndmask_b32_e64 v11, v20, v21, s[0:1]
	v_lshlrev_b32_e32 v20, 16, v17
	v_lshl_add_u32 v0, v0, 23, v55
	v_and_or_b32 v0, v20, s26, v0
	v_lshlrev_b32_e32 v11, 20, v11
	v_or_b32_e32 v21, v0, v11
	v_mov_b32_e32 v20, v5
.LBB197_711:                            ;   in Loop: Header=BB197_415 Depth=1
	s_or_b64 exec, exec, s[14:15]
.LBB197_712:                            ;   in Loop: Header=BB197_415 Depth=1
	s_or_b64 exec, exec, s[12:13]
.LBB197_713:                            ;   in Loop: Header=BB197_415 Depth=1
	s_or_b64 exec, exec, s[6:7]
	v_lshrrev_b32_e32 v11, 16, v17
	v_mov_b32_e32 v24, 0
	v_mov_b32_e32 v22, 0
	;; [unrolled: 1-line block ×4, first 2 shown]
	v_cmp_ne_u16_sdwa s[0:1], v11, v5 src0_sel:BYTE_0 src1_sel:DWORD
	s_and_saveexec_b64 s[6:7], s[0:1]
	s_cbranch_execz .LBB197_719
; %bb.714:                              ;   in Loop: Header=BB197_415 Depth=1
	v_bfrev_b32_e32 v22, 1
	v_mov_b32_e32 v23, 0
	v_cmp_ne_u16_sdwa s[0:1], v11, s24 src0_sel:BYTE_0 src1_sel:DWORD
	s_and_saveexec_b64 s[12:13], s[0:1]
	s_cbranch_execz .LBB197_718
; %bb.715:                              ;   in Loop: Header=BB197_415 Depth=1
	v_bfe_u32 v0, v17, 16, 7
	v_mov_b32_e32 v22, 0x7f800001
	v_mov_b32_e32 v23, 0
	v_cmp_ne_u32_e64 s[0:1], s25, v0
	s_and_saveexec_b64 s[14:15], s[0:1]
	s_cbranch_execz .LBB197_717
; %bb.716:                              ;   in Loop: Header=BB197_415 Depth=1
	v_and_b32_e32 v26, 7, v11
	v_lshrrev_b32_e32 v29, 3, v0
	v_cmp_gt_u32_e64 s[0:1], 8, v0
	v_ffbh_u32_e32 v0, v26
	v_min_u32_e32 v0, 32, v0
	v_subrev_u32_e32 v22, 28, v0
	v_lshlrev_b64 v[22:23], v22, v[11:12]
	v_sub_u32_e32 v0, 29, v0
	v_and_b32_e32 v22, 7, v22
	v_cndmask_b32_e64 v0, v29, v0, s[0:1]
	v_cndmask_b32_e64 v22, v26, v22, s[0:1]
	v_lshlrev_b32_e32 v22, 20, v22
	v_and_b32_sdwa v11, sext(v11), s26 dst_sel:DWORD dst_unused:UNUSED_PAD src0_sel:BYTE_0 src1_sel:DWORD
	v_lshl_add_u32 v0, v0, 23, v55
	v_or3_b32 v22, v11, v0, v22
	v_mov_b32_e32 v23, v5
.LBB197_717:                            ;   in Loop: Header=BB197_415 Depth=1
	s_or_b64 exec, exec, s[14:15]
.LBB197_718:                            ;   in Loop: Header=BB197_415 Depth=1
	s_or_b64 exec, exec, s[12:13]
.LBB197_719:                            ;   in Loop: Header=BB197_415 Depth=1
	s_or_b64 exec, exec, s[6:7]
	v_cmp_lt_u32_e64 s[0:1], s27, v17
	s_and_saveexec_b64 s[6:7], s[0:1]
	s_cbranch_execz .LBB197_725
; %bb.720:                              ;   in Loop: Header=BB197_415 Depth=1
	v_mov_b32_e32 v25, v6
	v_cmp_ne_u32_sdwa s[0:1], v17, s24 src0_sel:BYTE_3 src1_sel:DWORD
	v_mov_b32_e32 v24, v5
	s_and_saveexec_b64 s[12:13], s[0:1]
	s_cbranch_execz .LBB197_724
; %bb.721:                              ;   in Loop: Header=BB197_415 Depth=1
	v_bfe_u32 v0, v17, 24, 7
	v_mov_b32_e32 v11, v5
	v_mov_b32_e32 v25, v12
	v_cmp_ne_u32_e64 s[0:1], s25, v0
	v_mov_b32_e32 v24, v11
	s_and_saveexec_b64 s[14:15], s[0:1]
	s_cbranch_execz .LBB197_723
; %bb.722:                              ;   in Loop: Header=BB197_415 Depth=1
	v_and_b32_sdwa v24, v17, v27 dst_sel:DWORD dst_unused:UNUSED_PAD src0_sel:BYTE_3 src1_sel:DWORD
	v_lshrrev_b32_e32 v11, 3, v0
	v_cmp_gt_u32_e64 s[0:1], 8, v0
	v_ffbh_u32_e32 v0, v24
	v_min_u32_e32 v0, 32, v0
	v_mov_b32_e32 v25, v5
	v_subrev_u32_e32 v26, 28, v0
	v_lshlrev_b64 v[25:26], v26, v[24:25]
	v_sub_u32_e32 v0, 29, v0
	v_and_b32_e32 v25, 7, v25
	v_cndmask_b32_e64 v0, v11, v0, s[0:1]
	v_mov_b32_e32 v9, 24
	v_cndmask_b32_e64 v11, v24, v25, s[0:1]
	v_lshlrev_b32_sdwa v17, v9, v17 dst_sel:DWORD dst_unused:UNUSED_PAD src0_sel:DWORD src1_sel:BYTE_3
	v_lshl_add_u32 v0, v0, 23, v55
	v_and_or_b32 v0, v17, s26, v0
	v_lshlrev_b32_e32 v11, 20, v11
	v_or_b32_e32 v25, v0, v11
	v_mov_b32_e32 v24, v5
.LBB197_723:                            ;   in Loop: Header=BB197_415 Depth=1
	s_or_b64 exec, exec, s[14:15]
.LBB197_724:                            ;   in Loop: Header=BB197_415 Depth=1
	s_or_b64 exec, exec, s[12:13]
.LBB197_725:                            ;   in Loop: Header=BB197_415 Depth=1
	s_or_b64 exec, exec, s[6:7]
	v_or_b32_e32 v11, v20, v18
	v_or_b32_e32 v0, v21, v19
	v_mul_f32_e32 v59, s17, v11
	v_or_b32_e32 v11, v25, v23
	v_or_b32_e32 v17, v24, v22
	v_mul_f32_e32 v0, s18, v0
	v_mul_f32_e32 v57, s17, v17
	;; [unrolled: 1-line block ×3, first 2 shown]
	s_and_saveexec_b64 s[6:7], vcc
	s_cbranch_execz .LBB197_727
; %bb.726:                              ;   in Loop: Header=BB197_415 Depth=1
	v_add_u32_e32 v9, -3, v47
	v_cmp_gt_i32_e64 s[0:1], s30, v9
	v_add_u32_e32 v9, -2, v47
	v_cndmask_b32_e64 v59, 0, v59, s[0:1]
	v_cmp_gt_i32_e64 s[0:1], s30, v9
	v_add_u32_e32 v9, -1, v47
	v_cndmask_b32_e64 v0, 0, v0, s[0:1]
	v_cmp_gt_i32_e64 s[0:1], s30, v9
	v_cndmask_b32_e64 v57, 0, v57, s[0:1]
	v_cmp_gt_i32_e64 s[0:1], s30, v47
	v_cndmask_b32_e64 v56, 0, v56, s[0:1]
.LBB197_727:                            ;   in Loop: Header=BB197_415 Depth=1
	s_or_b64 exec, exec, s[6:7]
	global_load_dword v17, v[15:16], off offset:3072
	v_mov_b32_e32 v20, 0
	v_mov_b32_e32 v18, 0
	v_mov_b32_e32 v21, 0
	v_mov_b32_e32 v19, 0
	s_waitcnt vmcnt(0)
	v_cmp_ne_u16_sdwa s[0:1], v17, v5 src0_sel:BYTE_0 src1_sel:DWORD
	s_and_saveexec_b64 s[6:7], s[0:1]
	s_cbranch_execz .LBB197_733
; %bb.728:                              ;   in Loop: Header=BB197_415 Depth=1
	v_bfrev_b32_e32 v18, 1
	v_mov_b32_e32 v19, 0
	v_cmp_ne_u16_sdwa s[0:1], v17, s24 src0_sel:BYTE_0 src1_sel:DWORD
	s_and_saveexec_b64 s[12:13], s[0:1]
	s_cbranch_execz .LBB197_732
; %bb.729:                              ;   in Loop: Header=BB197_415 Depth=1
	v_and_b32_e32 v11, 0x7f, v17
	v_mov_b32_e32 v18, 0x7f800001
	v_mov_b32_e32 v19, 0
	v_cmp_ne_u32_e64 s[0:1], s25, v11
	s_and_saveexec_b64 s[14:15], s[0:1]
	s_cbranch_execz .LBB197_731
; %bb.730:                              ;   in Loop: Header=BB197_415 Depth=1
	v_and_b32_e32 v22, 7, v17
	v_lshrrev_b32_e32 v23, 3, v11
	v_cmp_gt_u32_e64 s[0:1], 8, v11
	v_ffbh_u32_e32 v11, v22
	v_min_u32_e32 v11, 32, v11
	v_subrev_u32_e32 v18, 28, v11
	v_lshlrev_b64 v[18:19], v18, v[17:18]
	v_sub_u32_e32 v11, 29, v11
	v_and_b32_e32 v18, 7, v18
	v_cndmask_b32_e64 v11, v23, v11, s[0:1]
	v_cndmask_b32_e64 v18, v22, v18, s[0:1]
	v_lshlrev_b32_e32 v18, 20, v18
	v_and_b32_sdwa v19, sext(v17), s26 dst_sel:DWORD dst_unused:UNUSED_PAD src0_sel:BYTE_0 src1_sel:DWORD
	v_lshl_add_u32 v11, v11, 23, v55
	v_or3_b32 v18, v19, v11, v18
	v_mov_b32_e32 v19, v5
.LBB197_731:                            ;   in Loop: Header=BB197_415 Depth=1
	s_or_b64 exec, exec, s[14:15]
.LBB197_732:                            ;   in Loop: Header=BB197_415 Depth=1
	s_or_b64 exec, exec, s[12:13]
.LBB197_733:                            ;   in Loop: Header=BB197_415 Depth=1
	s_or_b64 exec, exec, s[6:7]
	v_cmp_ne_u16_sdwa s[0:1], v17, v5 src0_sel:BYTE_1 src1_sel:DWORD
	s_and_saveexec_b64 s[6:7], s[0:1]
	s_cbranch_execz .LBB197_739
; %bb.734:                              ;   in Loop: Header=BB197_415 Depth=1
	v_mov_b32_e32 v21, v6
	v_cmp_ne_u16_sdwa s[0:1], v17, s24 src0_sel:BYTE_1 src1_sel:DWORD
	v_mov_b32_e32 v20, v5
	s_and_saveexec_b64 s[12:13], s[0:1]
	s_cbranch_execz .LBB197_738
; %bb.735:                              ;   in Loop: Header=BB197_415 Depth=1
	v_and_b32_sdwa v22, v17, s25 dst_sel:DWORD dst_unused:UNUSED_PAD src0_sel:BYTE_1 src1_sel:DWORD
	v_mov_b32_e32 v11, v5
	v_mov_b32_e32 v21, v12
	v_cmp_ne_u32_e64 s[0:1], s25, v22
	v_mov_b32_e32 v20, v11
	s_and_saveexec_b64 s[14:15], s[0:1]
	s_cbranch_execz .LBB197_737
; %bb.736:                              ;   in Loop: Header=BB197_415 Depth=1
	v_and_b32_sdwa v20, v17, v27 dst_sel:DWORD dst_unused:UNUSED_PAD src0_sel:BYTE_1 src1_sel:DWORD
	v_lshrrev_b32_e32 v11, 3, v22
	v_cmp_gt_u32_e64 s[0:1], 8, v22
	v_ffbh_u32_e32 v22, v20
	v_min_u32_e32 v23, 32, v22
	v_mov_b32_e32 v21, v5
	v_subrev_u32_e32 v22, 28, v23
	v_lshlrev_b64 v[21:22], v22, v[20:21]
	v_sub_u32_e32 v22, 29, v23
	v_and_b32_e32 v21, 7, v21
	v_cndmask_b32_e64 v11, v11, v22, s[0:1]
	v_cndmask_b32_e64 v20, v20, v21, s[0:1]
	v_lshlrev_b32_e32 v21, 16, v17
	v_lshl_add_u32 v11, v11, 23, v55
	v_and_or_b32 v11, v21, s26, v11
	v_lshlrev_b32_e32 v20, 20, v20
	v_or_b32_e32 v21, v11, v20
	v_mov_b32_e32 v20, v5
.LBB197_737:                            ;   in Loop: Header=BB197_415 Depth=1
	s_or_b64 exec, exec, s[14:15]
.LBB197_738:                            ;   in Loop: Header=BB197_415 Depth=1
	s_or_b64 exec, exec, s[12:13]
.LBB197_739:                            ;   in Loop: Header=BB197_415 Depth=1
	s_or_b64 exec, exec, s[6:7]
	v_lshrrev_b32_e32 v11, 16, v17
	v_mov_b32_e32 v24, 0
	v_mov_b32_e32 v22, 0
	;; [unrolled: 1-line block ×4, first 2 shown]
	v_cmp_ne_u16_sdwa s[0:1], v11, v5 src0_sel:BYTE_0 src1_sel:DWORD
	s_and_saveexec_b64 s[6:7], s[0:1]
	s_cbranch_execz .LBB197_745
; %bb.740:                              ;   in Loop: Header=BB197_415 Depth=1
	v_bfrev_b32_e32 v22, 1
	v_mov_b32_e32 v23, 0
	v_cmp_ne_u16_sdwa s[0:1], v11, s24 src0_sel:BYTE_0 src1_sel:DWORD
	s_and_saveexec_b64 s[12:13], s[0:1]
	s_cbranch_execz .LBB197_744
; %bb.741:                              ;   in Loop: Header=BB197_415 Depth=1
	v_bfe_u32 v26, v17, 16, 7
	v_mov_b32_e32 v22, 0x7f800001
	v_mov_b32_e32 v23, 0
	v_cmp_ne_u32_e64 s[0:1], s25, v26
	s_and_saveexec_b64 s[14:15], s[0:1]
	s_cbranch_execz .LBB197_743
; %bb.742:                              ;   in Loop: Header=BB197_415 Depth=1
	v_and_b32_e32 v29, 7, v11
	v_ffbh_u32_e32 v22, v29
	v_mov_b32_e32 v9, v30
	v_lshrrev_b32_e32 v30, 3, v26
	v_cmp_gt_u32_e64 s[0:1], 8, v26
	v_min_u32_e32 v26, 32, v22
	v_subrev_u32_e32 v22, 28, v26
	v_lshlrev_b64 v[22:23], v22, v[11:12]
	v_sub_u32_e32 v23, 29, v26
	v_and_b32_e32 v22, 7, v22
	v_cndmask_b32_e64 v23, v30, v23, s[0:1]
	v_cndmask_b32_e64 v22, v29, v22, s[0:1]
	v_lshlrev_b32_e32 v22, 20, v22
	v_and_b32_sdwa v11, sext(v11), s26 dst_sel:DWORD dst_unused:UNUSED_PAD src0_sel:BYTE_0 src1_sel:DWORD
	v_lshl_add_u32 v23, v23, 23, v55
	v_mov_b32_e32 v30, v9
	v_or3_b32 v22, v11, v23, v22
	v_mov_b32_e32 v23, v5
.LBB197_743:                            ;   in Loop: Header=BB197_415 Depth=1
	s_or_b64 exec, exec, s[14:15]
.LBB197_744:                            ;   in Loop: Header=BB197_415 Depth=1
	s_or_b64 exec, exec, s[12:13]
.LBB197_745:                            ;   in Loop: Header=BB197_415 Depth=1
	s_or_b64 exec, exec, s[6:7]
	v_cmp_lt_u32_e64 s[0:1], s27, v17
	s_and_saveexec_b64 s[6:7], s[0:1]
	s_cbranch_execz .LBB197_751
; %bb.746:                              ;   in Loop: Header=BB197_415 Depth=1
	v_mov_b32_e32 v25, v6
	v_cmp_ne_u32_sdwa s[0:1], v17, s24 src0_sel:BYTE_3 src1_sel:DWORD
	v_mov_b32_e32 v24, v5
	s_and_saveexec_b64 s[12:13], s[0:1]
	s_cbranch_execz .LBB197_750
; %bb.747:                              ;   in Loop: Header=BB197_415 Depth=1
	v_bfe_u32 v26, v17, 24, 7
	v_mov_b32_e32 v11, v5
	v_mov_b32_e32 v25, v12
	v_cmp_ne_u32_e64 s[0:1], s25, v26
	v_mov_b32_e32 v24, v11
	s_and_saveexec_b64 s[14:15], s[0:1]
	s_cbranch_execz .LBB197_749
; %bb.748:                              ;   in Loop: Header=BB197_415 Depth=1
	v_and_b32_sdwa v24, v17, v27 dst_sel:DWORD dst_unused:UNUSED_PAD src0_sel:BYTE_3 src1_sel:DWORD
	v_lshrrev_b32_e32 v11, 3, v26
	v_cmp_gt_u32_e64 s[0:1], 8, v26
	v_ffbh_u32_e32 v26, v24
	v_min_u32_e32 v29, 32, v26
	v_mov_b32_e32 v25, v5
	v_subrev_u32_e32 v26, 28, v29
	v_lshlrev_b64 v[25:26], v26, v[24:25]
	v_sub_u32_e32 v26, 29, v29
	v_and_b32_e32 v25, 7, v25
	v_cndmask_b32_e64 v11, v11, v26, s[0:1]
	v_mov_b32_e32 v9, 24
	v_cndmask_b32_e64 v24, v24, v25, s[0:1]
	v_lshlrev_b32_sdwa v17, v9, v17 dst_sel:DWORD dst_unused:UNUSED_PAD src0_sel:DWORD src1_sel:BYTE_3
	v_lshl_add_u32 v11, v11, 23, v55
	v_and_or_b32 v11, v17, s26, v11
	v_lshlrev_b32_e32 v17, 20, v24
	v_or_b32_e32 v25, v11, v17
	v_mov_b32_e32 v24, v5
.LBB197_749:                            ;   in Loop: Header=BB197_415 Depth=1
	s_or_b64 exec, exec, s[14:15]
.LBB197_750:                            ;   in Loop: Header=BB197_415 Depth=1
	s_or_b64 exec, exec, s[12:13]
.LBB197_751:                            ;   in Loop: Header=BB197_415 Depth=1
	s_or_b64 exec, exec, s[6:7]
	v_or_b32_e32 v11, v21, v19
	v_or_b32_e32 v17, v20, v18
	v_mul_f32_e32 v60, s18, v11
	v_mul_f32_e32 v63, s17, v17
	v_or_b32_e32 v11, v25, v23
	v_or_b32_e32 v17, v24, v22
	v_mul_f32_e32 v62, s17, v17
	v_mul_f32_e32 v61, s18, v11
	s_and_saveexec_b64 s[6:7], vcc
	s_cbranch_execz .LBB197_753
; %bb.752:                              ;   in Loop: Header=BB197_415 Depth=1
	v_add_u32_e32 v9, -3, v47
	v_cmp_gt_i32_e64 s[0:1], s30, v9
	v_add_u32_e32 v9, -2, v47
	v_cndmask_b32_e64 v63, 0, v63, s[0:1]
	v_cmp_gt_i32_e64 s[0:1], s30, v9
	v_add_u32_e32 v9, -1, v47
	v_cndmask_b32_e64 v60, 0, v60, s[0:1]
	v_cmp_gt_i32_e64 s[0:1], s30, v9
	v_cndmask_b32_e64 v62, 0, v62, s[0:1]
	v_cmp_gt_i32_e64 s[0:1], s30, v47
	v_cndmask_b32_e64 v61, 0, v61, s[0:1]
.LBB197_753:                            ;   in Loop: Header=BB197_415 Depth=1
	s_or_b64 exec, exec, s[6:7]
	global_load_dword v17, v[15:16], off offset:3328
	v_mov_b32_e32 v20, 0
	v_mov_b32_e32 v18, 0
	;; [unrolled: 1-line block ×4, first 2 shown]
	s_waitcnt vmcnt(0)
	v_cmp_ne_u16_sdwa s[0:1], v17, v5 src0_sel:BYTE_0 src1_sel:DWORD
	s_and_saveexec_b64 s[6:7], s[0:1]
	s_cbranch_execz .LBB197_759
; %bb.754:                              ;   in Loop: Header=BB197_415 Depth=1
	v_bfrev_b32_e32 v18, 1
	v_mov_b32_e32 v19, 0
	v_cmp_ne_u16_sdwa s[0:1], v17, s24 src0_sel:BYTE_0 src1_sel:DWORD
	s_and_saveexec_b64 s[12:13], s[0:1]
	s_cbranch_execz .LBB197_758
; %bb.755:                              ;   in Loop: Header=BB197_415 Depth=1
	v_and_b32_e32 v11, 0x7f, v17
	v_mov_b32_e32 v18, 0x7f800001
	v_mov_b32_e32 v19, 0
	v_cmp_ne_u32_e64 s[0:1], s25, v11
	s_and_saveexec_b64 s[14:15], s[0:1]
	s_cbranch_execz .LBB197_757
; %bb.756:                              ;   in Loop: Header=BB197_415 Depth=1
	v_and_b32_e32 v22, 7, v17
	v_lshrrev_b32_e32 v23, 3, v11
	v_cmp_gt_u32_e64 s[0:1], 8, v11
	v_ffbh_u32_e32 v11, v22
	v_min_u32_e32 v11, 32, v11
	v_subrev_u32_e32 v18, 28, v11
	v_lshlrev_b64 v[18:19], v18, v[17:18]
	v_sub_u32_e32 v11, 29, v11
	v_and_b32_e32 v18, 7, v18
	v_cndmask_b32_e64 v11, v23, v11, s[0:1]
	v_cndmask_b32_e64 v18, v22, v18, s[0:1]
	v_lshlrev_b32_e32 v18, 20, v18
	v_and_b32_sdwa v19, sext(v17), s26 dst_sel:DWORD dst_unused:UNUSED_PAD src0_sel:BYTE_0 src1_sel:DWORD
	v_lshl_add_u32 v11, v11, 23, v55
	v_or3_b32 v18, v19, v11, v18
	v_mov_b32_e32 v19, v5
.LBB197_757:                            ;   in Loop: Header=BB197_415 Depth=1
	s_or_b64 exec, exec, s[14:15]
.LBB197_758:                            ;   in Loop: Header=BB197_415 Depth=1
	s_or_b64 exec, exec, s[12:13]
.LBB197_759:                            ;   in Loop: Header=BB197_415 Depth=1
	s_or_b64 exec, exec, s[6:7]
	v_cmp_ne_u16_sdwa s[0:1], v17, v5 src0_sel:BYTE_1 src1_sel:DWORD
	s_and_saveexec_b64 s[6:7], s[0:1]
	s_cbranch_execz .LBB197_765
; %bb.760:                              ;   in Loop: Header=BB197_415 Depth=1
	v_mov_b32_e32 v21, v6
	v_cmp_ne_u16_sdwa s[0:1], v17, s24 src0_sel:BYTE_1 src1_sel:DWORD
	v_mov_b32_e32 v20, v5
	s_and_saveexec_b64 s[12:13], s[0:1]
	s_cbranch_execz .LBB197_764
; %bb.761:                              ;   in Loop: Header=BB197_415 Depth=1
	v_and_b32_sdwa v22, v17, s25 dst_sel:DWORD dst_unused:UNUSED_PAD src0_sel:BYTE_1 src1_sel:DWORD
	v_mov_b32_e32 v11, v5
	v_mov_b32_e32 v21, v12
	v_cmp_ne_u32_e64 s[0:1], s25, v22
	v_mov_b32_e32 v20, v11
	s_and_saveexec_b64 s[14:15], s[0:1]
	s_cbranch_execz .LBB197_763
; %bb.762:                              ;   in Loop: Header=BB197_415 Depth=1
	v_and_b32_sdwa v20, v17, v27 dst_sel:DWORD dst_unused:UNUSED_PAD src0_sel:BYTE_1 src1_sel:DWORD
	v_lshrrev_b32_e32 v11, 3, v22
	v_cmp_gt_u32_e64 s[0:1], 8, v22
	v_ffbh_u32_e32 v22, v20
	v_min_u32_e32 v23, 32, v22
	v_mov_b32_e32 v21, v5
	v_subrev_u32_e32 v22, 28, v23
	v_lshlrev_b64 v[21:22], v22, v[20:21]
	v_sub_u32_e32 v22, 29, v23
	v_and_b32_e32 v21, 7, v21
	v_cndmask_b32_e64 v11, v11, v22, s[0:1]
	v_cndmask_b32_e64 v20, v20, v21, s[0:1]
	v_lshlrev_b32_e32 v21, 16, v17
	v_lshl_add_u32 v11, v11, 23, v55
	v_and_or_b32 v11, v21, s26, v11
	v_lshlrev_b32_e32 v20, 20, v20
	v_or_b32_e32 v21, v11, v20
	v_mov_b32_e32 v20, v5
.LBB197_763:                            ;   in Loop: Header=BB197_415 Depth=1
	s_or_b64 exec, exec, s[14:15]
.LBB197_764:                            ;   in Loop: Header=BB197_415 Depth=1
	s_or_b64 exec, exec, s[12:13]
.LBB197_765:                            ;   in Loop: Header=BB197_415 Depth=1
	s_or_b64 exec, exec, s[6:7]
	v_lshrrev_b32_e32 v11, 16, v17
	v_mov_b32_e32 v24, 0
	v_mov_b32_e32 v22, 0
	v_mov_b32_e32 v25, 0
	v_mov_b32_e32 v23, 0
	v_cmp_ne_u16_sdwa s[0:1], v11, v5 src0_sel:BYTE_0 src1_sel:DWORD
	s_and_saveexec_b64 s[6:7], s[0:1]
	s_cbranch_execz .LBB197_771
; %bb.766:                              ;   in Loop: Header=BB197_415 Depth=1
	v_bfrev_b32_e32 v22, 1
	v_mov_b32_e32 v23, 0
	v_cmp_ne_u16_sdwa s[0:1], v11, s24 src0_sel:BYTE_0 src1_sel:DWORD
	s_and_saveexec_b64 s[12:13], s[0:1]
	s_cbranch_execz .LBB197_770
; %bb.767:                              ;   in Loop: Header=BB197_415 Depth=1
	v_bfe_u32 v26, v17, 16, 7
	v_mov_b32_e32 v22, 0x7f800001
	v_mov_b32_e32 v23, 0
	v_cmp_ne_u32_e64 s[0:1], s25, v26
	s_and_saveexec_b64 s[14:15], s[0:1]
	s_cbranch_execz .LBB197_769
; %bb.768:                              ;   in Loop: Header=BB197_415 Depth=1
	v_and_b32_e32 v29, 7, v11
	v_ffbh_u32_e32 v22, v29
	v_mov_b32_e32 v9, v30
	v_lshrrev_b32_e32 v30, 3, v26
	v_cmp_gt_u32_e64 s[0:1], 8, v26
	v_min_u32_e32 v26, 32, v22
	v_subrev_u32_e32 v22, 28, v26
	v_lshlrev_b64 v[22:23], v22, v[11:12]
	v_sub_u32_e32 v23, 29, v26
	v_and_b32_e32 v22, 7, v22
	v_cndmask_b32_e64 v23, v30, v23, s[0:1]
	v_cndmask_b32_e64 v22, v29, v22, s[0:1]
	v_lshlrev_b32_e32 v22, 20, v22
	v_and_b32_sdwa v11, sext(v11), s26 dst_sel:DWORD dst_unused:UNUSED_PAD src0_sel:BYTE_0 src1_sel:DWORD
	v_lshl_add_u32 v23, v23, 23, v55
	v_mov_b32_e32 v30, v9
	v_or3_b32 v22, v11, v23, v22
	v_mov_b32_e32 v23, v5
.LBB197_769:                            ;   in Loop: Header=BB197_415 Depth=1
	s_or_b64 exec, exec, s[14:15]
.LBB197_770:                            ;   in Loop: Header=BB197_415 Depth=1
	s_or_b64 exec, exec, s[12:13]
.LBB197_771:                            ;   in Loop: Header=BB197_415 Depth=1
	s_or_b64 exec, exec, s[6:7]
	v_cmp_lt_u32_e64 s[0:1], s27, v17
	s_and_saveexec_b64 s[6:7], s[0:1]
	s_cbranch_execz .LBB197_777
; %bb.772:                              ;   in Loop: Header=BB197_415 Depth=1
	v_mov_b32_e32 v25, v6
	v_cmp_ne_u32_sdwa s[0:1], v17, s24 src0_sel:BYTE_3 src1_sel:DWORD
	v_mov_b32_e32 v24, v5
	s_and_saveexec_b64 s[12:13], s[0:1]
	s_cbranch_execz .LBB197_776
; %bb.773:                              ;   in Loop: Header=BB197_415 Depth=1
	v_bfe_u32 v26, v17, 24, 7
	v_mov_b32_e32 v11, v5
	v_mov_b32_e32 v25, v12
	v_cmp_ne_u32_e64 s[0:1], s25, v26
	v_mov_b32_e32 v24, v11
	s_and_saveexec_b64 s[14:15], s[0:1]
	s_cbranch_execz .LBB197_775
; %bb.774:                              ;   in Loop: Header=BB197_415 Depth=1
	v_and_b32_sdwa v24, v17, v27 dst_sel:DWORD dst_unused:UNUSED_PAD src0_sel:BYTE_3 src1_sel:DWORD
	v_lshrrev_b32_e32 v11, 3, v26
	v_cmp_gt_u32_e64 s[0:1], 8, v26
	v_ffbh_u32_e32 v26, v24
	v_min_u32_e32 v29, 32, v26
	v_mov_b32_e32 v25, v5
	v_subrev_u32_e32 v26, 28, v29
	v_lshlrev_b64 v[25:26], v26, v[24:25]
	v_sub_u32_e32 v26, 29, v29
	v_and_b32_e32 v25, 7, v25
	v_cndmask_b32_e64 v11, v11, v26, s[0:1]
	v_mov_b32_e32 v9, 24
	v_cndmask_b32_e64 v24, v24, v25, s[0:1]
	v_lshlrev_b32_sdwa v17, v9, v17 dst_sel:DWORD dst_unused:UNUSED_PAD src0_sel:DWORD src1_sel:BYTE_3
	v_lshl_add_u32 v11, v11, 23, v55
	v_and_or_b32 v11, v17, s26, v11
	v_lshlrev_b32_e32 v17, 20, v24
	v_or_b32_e32 v25, v11, v17
	v_mov_b32_e32 v24, v5
.LBB197_775:                            ;   in Loop: Header=BB197_415 Depth=1
	s_or_b64 exec, exec, s[14:15]
.LBB197_776:                            ;   in Loop: Header=BB197_415 Depth=1
	s_or_b64 exec, exec, s[12:13]
.LBB197_777:                            ;   in Loop: Header=BB197_415 Depth=1
	s_or_b64 exec, exec, s[6:7]
	v_or_b32_e32 v11, v21, v19
	v_or_b32_e32 v17, v20, v18
	v_mul_f32_e32 v26, s18, v11
	v_mul_f32_e32 v51, s17, v17
	v_or_b32_e32 v11, v25, v23
	v_or_b32_e32 v17, v24, v22
	v_mul_f32_e32 v25, s17, v17
	v_mul_f32_e32 v24, s18, v11
	s_and_saveexec_b64 s[6:7], vcc
	s_cbranch_execz .LBB197_779
; %bb.778:                              ;   in Loop: Header=BB197_415 Depth=1
	v_add_u32_e32 v9, -3, v47
	v_cmp_gt_i32_e64 s[0:1], s30, v9
	v_add_u32_e32 v9, -2, v47
	v_cndmask_b32_e64 v51, 0, v51, s[0:1]
	v_cmp_gt_i32_e64 s[0:1], s30, v9
	v_add_u32_e32 v9, -1, v47
	v_cndmask_b32_e64 v26, 0, v26, s[0:1]
	v_cmp_gt_i32_e64 s[0:1], s30, v9
	v_cndmask_b32_e64 v25, 0, v25, s[0:1]
	v_cmp_gt_i32_e64 s[0:1], s30, v47
	v_cndmask_b32_e64 v24, 0, v24, s[0:1]
.LBB197_779:                            ;   in Loop: Header=BB197_415 Depth=1
	s_or_b64 exec, exec, s[6:7]
	global_load_dword v15, v[15:16], off offset:3584
	v_mov_b32_e32 v18, 0
	v_mov_b32_e32 v16, 0
	;; [unrolled: 1-line block ×4, first 2 shown]
	s_waitcnt vmcnt(0)
	v_cmp_ne_u16_sdwa s[0:1], v15, v5 src0_sel:BYTE_0 src1_sel:DWORD
	s_and_saveexec_b64 s[6:7], s[0:1]
	s_cbranch_execz .LBB197_785
; %bb.780:                              ;   in Loop: Header=BB197_415 Depth=1
	v_bfrev_b32_e32 v16, 1
	v_mov_b32_e32 v17, 0
	v_cmp_ne_u16_sdwa s[0:1], v15, s24 src0_sel:BYTE_0 src1_sel:DWORD
	s_and_saveexec_b64 s[12:13], s[0:1]
	s_cbranch_execz .LBB197_784
; %bb.781:                              ;   in Loop: Header=BB197_415 Depth=1
	v_and_b32_e32 v11, 0x7f, v15
	v_mov_b32_e32 v16, 0x7f800001
	v_mov_b32_e32 v17, 0
	v_cmp_ne_u32_e64 s[0:1], s25, v11
	s_and_saveexec_b64 s[14:15], s[0:1]
	s_cbranch_execz .LBB197_783
; %bb.782:                              ;   in Loop: Header=BB197_415 Depth=1
	v_and_b32_e32 v20, 7, v15
	v_lshrrev_b32_e32 v21, 3, v11
	v_cmp_gt_u32_e64 s[0:1], 8, v11
	v_ffbh_u32_e32 v11, v20
	v_min_u32_e32 v11, 32, v11
	v_subrev_u32_e32 v16, 28, v11
	v_lshlrev_b64 v[16:17], v16, v[15:16]
	v_sub_u32_e32 v11, 29, v11
	v_and_b32_e32 v16, 7, v16
	v_cndmask_b32_e64 v11, v21, v11, s[0:1]
	v_cndmask_b32_e64 v16, v20, v16, s[0:1]
	v_lshlrev_b32_e32 v16, 20, v16
	v_and_b32_sdwa v17, sext(v15), s26 dst_sel:DWORD dst_unused:UNUSED_PAD src0_sel:BYTE_0 src1_sel:DWORD
	v_lshl_add_u32 v11, v11, 23, v55
	v_or3_b32 v16, v17, v11, v16
	v_mov_b32_e32 v17, v5
.LBB197_783:                            ;   in Loop: Header=BB197_415 Depth=1
	s_or_b64 exec, exec, s[14:15]
.LBB197_784:                            ;   in Loop: Header=BB197_415 Depth=1
	s_or_b64 exec, exec, s[12:13]
.LBB197_785:                            ;   in Loop: Header=BB197_415 Depth=1
	s_or_b64 exec, exec, s[6:7]
	v_cmp_ne_u16_sdwa s[0:1], v15, v5 src0_sel:BYTE_1 src1_sel:DWORD
	s_and_saveexec_b64 s[6:7], s[0:1]
	s_cbranch_execz .LBB197_791
; %bb.786:                              ;   in Loop: Header=BB197_415 Depth=1
	v_mov_b32_e32 v19, v6
	v_cmp_ne_u16_sdwa s[0:1], v15, s24 src0_sel:BYTE_1 src1_sel:DWORD
	v_mov_b32_e32 v18, v5
	s_and_saveexec_b64 s[12:13], s[0:1]
	s_cbranch_execz .LBB197_790
; %bb.787:                              ;   in Loop: Header=BB197_415 Depth=1
	v_and_b32_sdwa v20, v15, s25 dst_sel:DWORD dst_unused:UNUSED_PAD src0_sel:BYTE_1 src1_sel:DWORD
	v_mov_b32_e32 v11, v5
	v_mov_b32_e32 v19, v12
	v_cmp_ne_u32_e64 s[0:1], s25, v20
	v_mov_b32_e32 v18, v11
	s_and_saveexec_b64 s[14:15], s[0:1]
	s_cbranch_execz .LBB197_789
; %bb.788:                              ;   in Loop: Header=BB197_415 Depth=1
	v_and_b32_sdwa v18, v15, v27 dst_sel:DWORD dst_unused:UNUSED_PAD src0_sel:BYTE_1 src1_sel:DWORD
	v_lshrrev_b32_e32 v11, 3, v20
	v_cmp_gt_u32_e64 s[0:1], 8, v20
	v_ffbh_u32_e32 v20, v18
	v_min_u32_e32 v21, 32, v20
	v_mov_b32_e32 v19, v5
	v_subrev_u32_e32 v20, 28, v21
	v_lshlrev_b64 v[19:20], v20, v[18:19]
	v_sub_u32_e32 v20, 29, v21
	v_and_b32_e32 v19, 7, v19
	v_cndmask_b32_e64 v11, v11, v20, s[0:1]
	v_cndmask_b32_e64 v18, v18, v19, s[0:1]
	v_lshlrev_b32_e32 v19, 16, v15
	v_lshl_add_u32 v11, v11, 23, v55
	v_and_or_b32 v11, v19, s26, v11
	v_lshlrev_b32_e32 v18, 20, v18
	v_or_b32_e32 v19, v11, v18
	v_mov_b32_e32 v18, v5
.LBB197_789:                            ;   in Loop: Header=BB197_415 Depth=1
	s_or_b64 exec, exec, s[14:15]
.LBB197_790:                            ;   in Loop: Header=BB197_415 Depth=1
	s_or_b64 exec, exec, s[12:13]
.LBB197_791:                            ;   in Loop: Header=BB197_415 Depth=1
	s_or_b64 exec, exec, s[6:7]
	v_lshrrev_b32_e32 v11, 16, v15
	v_mov_b32_e32 v22, 0
	v_mov_b32_e32 v20, 0
	;; [unrolled: 1-line block ×4, first 2 shown]
	v_cmp_ne_u16_sdwa s[0:1], v11, v5 src0_sel:BYTE_0 src1_sel:DWORD
	s_and_saveexec_b64 s[6:7], s[0:1]
	s_cbranch_execz .LBB197_797
; %bb.792:                              ;   in Loop: Header=BB197_415 Depth=1
	v_bfrev_b32_e32 v20, 1
	v_mov_b32_e32 v21, 0
	v_cmp_ne_u16_sdwa s[0:1], v11, s24 src0_sel:BYTE_0 src1_sel:DWORD
	s_and_saveexec_b64 s[12:13], s[0:1]
	s_cbranch_execz .LBB197_796
; %bb.793:                              ;   in Loop: Header=BB197_415 Depth=1
	v_bfe_u32 v29, v15, 16, 7
	v_mov_b32_e32 v20, 0x7f800001
	v_mov_b32_e32 v21, 0
	v_cmp_ne_u32_e64 s[0:1], s25, v29
	s_and_saveexec_b64 s[14:15], s[0:1]
	s_cbranch_execz .LBB197_795
; %bb.794:                              ;   in Loop: Header=BB197_415 Depth=1
	v_mov_b32_e32 v10, v30
	v_and_b32_e32 v30, 7, v11
	v_ffbh_u32_e32 v20, v30
	v_mov_b32_e32 v9, v31
	v_lshrrev_b32_e32 v31, 3, v29
	v_cmp_gt_u32_e64 s[0:1], 8, v29
	v_min_u32_e32 v29, 32, v20
	v_subrev_u32_e32 v20, 28, v29
	v_lshlrev_b64 v[20:21], v20, v[11:12]
	v_sub_u32_e32 v21, 29, v29
	v_and_b32_e32 v20, 7, v20
	v_cndmask_b32_e64 v21, v31, v21, s[0:1]
	v_cndmask_b32_e64 v20, v30, v20, s[0:1]
	v_lshlrev_b32_e32 v20, 20, v20
	v_and_b32_sdwa v11, sext(v11), s26 dst_sel:DWORD dst_unused:UNUSED_PAD src0_sel:BYTE_0 src1_sel:DWORD
	v_lshl_add_u32 v21, v21, 23, v55
	v_mov_b32_e32 v31, v9
	v_mov_b32_e32 v30, v10
	v_or3_b32 v20, v11, v21, v20
	v_mov_b32_e32 v21, v5
.LBB197_795:                            ;   in Loop: Header=BB197_415 Depth=1
	s_or_b64 exec, exec, s[14:15]
.LBB197_796:                            ;   in Loop: Header=BB197_415 Depth=1
	s_or_b64 exec, exec, s[12:13]
.LBB197_797:                            ;   in Loop: Header=BB197_415 Depth=1
	s_or_b64 exec, exec, s[6:7]
	v_cmp_lt_u32_e64 s[0:1], s27, v15
	s_and_saveexec_b64 s[6:7], s[0:1]
	s_cbranch_execz .LBB197_803
; %bb.798:                              ;   in Loop: Header=BB197_415 Depth=1
	v_mov_b32_e32 v23, v6
	v_cmp_ne_u32_sdwa s[0:1], v15, s24 src0_sel:BYTE_3 src1_sel:DWORD
	v_mov_b32_e32 v22, v5
	s_and_saveexec_b64 s[12:13], s[0:1]
	s_cbranch_execz .LBB197_802
; %bb.799:                              ;   in Loop: Header=BB197_415 Depth=1
	v_bfe_u32 v29, v15, 24, 7
	v_mov_b32_e32 v11, v5
	v_mov_b32_e32 v23, v12
	v_cmp_ne_u32_e64 s[0:1], s25, v29
	v_mov_b32_e32 v22, v11
	s_and_saveexec_b64 s[14:15], s[0:1]
	s_cbranch_execz .LBB197_801
; %bb.800:                              ;   in Loop: Header=BB197_415 Depth=1
	v_and_b32_sdwa v22, v15, v27 dst_sel:DWORD dst_unused:UNUSED_PAD src0_sel:BYTE_3 src1_sel:DWORD
	v_lshrrev_b32_e32 v11, 3, v29
	v_cmp_gt_u32_e64 s[0:1], 8, v29
	v_ffbh_u32_e32 v29, v22
	v_mov_b32_e32 v9, v31
	v_min_u32_e32 v31, 32, v29
	v_mov_b32_e32 v23, v5
	v_subrev_u32_e32 v29, 28, v31
	v_mov_b32_e32 v10, v30
	v_lshlrev_b64 v[29:30], v29, v[22:23]
	v_sub_u32_e32 v23, 29, v31
	v_mov_b32_e32 v31, v9
	v_and_b32_e32 v29, 7, v29
	v_cndmask_b32_e64 v11, v11, v23, s[0:1]
	v_mov_b32_e32 v9, 24
	v_cndmask_b32_e64 v22, v22, v29, s[0:1]
	v_lshlrev_b32_sdwa v15, v9, v15 dst_sel:DWORD dst_unused:UNUSED_PAD src0_sel:DWORD src1_sel:BYTE_3
	v_lshl_add_u32 v11, v11, 23, v55
	v_and_or_b32 v11, v15, s26, v11
	v_lshlrev_b32_e32 v15, 20, v22
	v_mov_b32_e32 v30, v10
	v_or_b32_e32 v23, v11, v15
	v_mov_b32_e32 v22, v5
.LBB197_801:                            ;   in Loop: Header=BB197_415 Depth=1
	s_or_b64 exec, exec, s[14:15]
.LBB197_802:                            ;   in Loop: Header=BB197_415 Depth=1
	s_or_b64 exec, exec, s[12:13]
.LBB197_803:                            ;   in Loop: Header=BB197_415 Depth=1
	s_or_b64 exec, exec, s[6:7]
	v_or_b32_e32 v11, v19, v17
	v_or_b32_e32 v15, v18, v16
	v_mul_f32_e32 v49, s18, v11
	v_mul_f32_e32 v29, s17, v15
	v_or_b32_e32 v11, v23, v21
	v_or_b32_e32 v15, v22, v20
	v_mul_f32_e32 v23, s17, v15
	v_mul_f32_e32 v22, s18, v11
	s_and_saveexec_b64 s[6:7], vcc
	s_cbranch_execz .LBB197_805
; %bb.804:                              ;   in Loop: Header=BB197_415 Depth=1
	v_add_u32_e32 v9, -3, v47
	v_cmp_gt_i32_e64 s[0:1], s30, v9
	v_add_u32_e32 v9, -2, v47
	v_cndmask_b32_e64 v29, 0, v29, s[0:1]
	v_cmp_gt_i32_e64 s[0:1], s30, v9
	v_add_u32_e32 v9, -1, v47
	v_cndmask_b32_e64 v49, 0, v49, s[0:1]
	v_cmp_gt_i32_e64 s[0:1], s30, v9
	v_cndmask_b32_e64 v23, 0, v23, s[0:1]
	v_cmp_gt_i32_e64 s[0:1], s30, v47
	v_cndmask_b32_e64 v22, 0, v22, s[0:1]
.LBB197_805:                            ;   in Loop: Header=BB197_415 Depth=1
	s_or_b64 exec, exec, s[6:7]
	v_add_co_u32_e64 v13, s[0:1], v13, v54
	v_addc_co_u32_e64 v14, s[0:1], 0, v14, s[0:1]
	global_load_dword v13, v[13:14], off
	v_mov_b32_e32 v16, 0
	v_mov_b32_e32 v14, 0
	;; [unrolled: 1-line block ×4, first 2 shown]
	s_waitcnt vmcnt(0)
	v_cmp_ne_u16_sdwa s[0:1], v13, v5 src0_sel:BYTE_0 src1_sel:DWORD
	s_and_saveexec_b64 s[6:7], s[0:1]
	s_cbranch_execz .LBB197_811
; %bb.806:                              ;   in Loop: Header=BB197_415 Depth=1
	v_bfrev_b32_e32 v14, 1
	v_mov_b32_e32 v15, 0
	v_cmp_ne_u16_sdwa s[0:1], v13, s24 src0_sel:BYTE_0 src1_sel:DWORD
	s_and_saveexec_b64 s[12:13], s[0:1]
	s_cbranch_execz .LBB197_810
; %bb.807:                              ;   in Loop: Header=BB197_415 Depth=1
	v_and_b32_e32 v11, 0x7f, v13
	v_mov_b32_e32 v14, 0x7f800001
	v_mov_b32_e32 v15, 0
	v_cmp_ne_u32_e64 s[0:1], s25, v11
	s_and_saveexec_b64 s[14:15], s[0:1]
	s_cbranch_execz .LBB197_809
; %bb.808:                              ;   in Loop: Header=BB197_415 Depth=1
	v_and_b32_e32 v18, 7, v13
	v_lshrrev_b32_e32 v19, 3, v11
	v_cmp_gt_u32_e64 s[0:1], 8, v11
	v_ffbh_u32_e32 v11, v18
	v_min_u32_e32 v11, 32, v11
	v_subrev_u32_e32 v14, 28, v11
	v_lshlrev_b64 v[14:15], v14, v[13:14]
	v_sub_u32_e32 v11, 29, v11
	v_and_b32_e32 v14, 7, v14
	v_cndmask_b32_e64 v11, v19, v11, s[0:1]
	v_cndmask_b32_e64 v14, v18, v14, s[0:1]
	v_lshlrev_b32_e32 v14, 20, v14
	v_and_b32_sdwa v15, sext(v13), s26 dst_sel:DWORD dst_unused:UNUSED_PAD src0_sel:BYTE_0 src1_sel:DWORD
	v_lshl_add_u32 v11, v11, 23, v55
	v_or3_b32 v14, v15, v11, v14
	v_mov_b32_e32 v15, v5
.LBB197_809:                            ;   in Loop: Header=BB197_415 Depth=1
	s_or_b64 exec, exec, s[14:15]
.LBB197_810:                            ;   in Loop: Header=BB197_415 Depth=1
	s_or_b64 exec, exec, s[12:13]
.LBB197_811:                            ;   in Loop: Header=BB197_415 Depth=1
	s_or_b64 exec, exec, s[6:7]
	v_cmp_ne_u16_sdwa s[0:1], v13, v5 src0_sel:BYTE_1 src1_sel:DWORD
	s_and_saveexec_b64 s[6:7], s[0:1]
	s_cbranch_execz .LBB197_817
; %bb.812:                              ;   in Loop: Header=BB197_415 Depth=1
	v_mov_b32_e32 v17, v6
	v_cmp_ne_u16_sdwa s[0:1], v13, s24 src0_sel:BYTE_1 src1_sel:DWORD
	v_mov_b32_e32 v16, v5
	s_and_saveexec_b64 s[12:13], s[0:1]
	s_cbranch_execz .LBB197_816
; %bb.813:                              ;   in Loop: Header=BB197_415 Depth=1
	v_and_b32_sdwa v18, v13, s25 dst_sel:DWORD dst_unused:UNUSED_PAD src0_sel:BYTE_1 src1_sel:DWORD
	v_mov_b32_e32 v11, v5
	v_mov_b32_e32 v17, v12
	v_cmp_ne_u32_e64 s[0:1], s25, v18
	v_mov_b32_e32 v16, v11
	s_and_saveexec_b64 s[14:15], s[0:1]
	s_cbranch_execz .LBB197_815
; %bb.814:                              ;   in Loop: Header=BB197_415 Depth=1
	v_and_b32_sdwa v16, v13, v27 dst_sel:DWORD dst_unused:UNUSED_PAD src0_sel:BYTE_1 src1_sel:DWORD
	v_lshrrev_b32_e32 v11, 3, v18
	v_cmp_gt_u32_e64 s[0:1], 8, v18
	v_ffbh_u32_e32 v18, v16
	v_min_u32_e32 v19, 32, v18
	v_mov_b32_e32 v17, v5
	v_subrev_u32_e32 v18, 28, v19
	v_lshlrev_b64 v[17:18], v18, v[16:17]
	v_sub_u32_e32 v18, 29, v19
	v_and_b32_e32 v17, 7, v17
	v_cndmask_b32_e64 v11, v11, v18, s[0:1]
	v_cndmask_b32_e64 v16, v16, v17, s[0:1]
	v_lshlrev_b32_e32 v17, 16, v13
	v_lshl_add_u32 v11, v11, 23, v55
	v_and_or_b32 v11, v17, s26, v11
	v_lshlrev_b32_e32 v16, 20, v16
	v_or_b32_e32 v17, v11, v16
	v_mov_b32_e32 v16, v5
.LBB197_815:                            ;   in Loop: Header=BB197_415 Depth=1
	s_or_b64 exec, exec, s[14:15]
.LBB197_816:                            ;   in Loop: Header=BB197_415 Depth=1
	s_or_b64 exec, exec, s[12:13]
.LBB197_817:                            ;   in Loop: Header=BB197_415 Depth=1
	s_or_b64 exec, exec, s[6:7]
	v_lshrrev_b32_e32 v11, 16, v13
	v_mov_b32_e32 v20, 0
	v_mov_b32_e32 v18, 0
	;; [unrolled: 1-line block ×4, first 2 shown]
	v_cmp_ne_u16_sdwa s[0:1], v11, v5 src0_sel:BYTE_0 src1_sel:DWORD
	s_and_saveexec_b64 s[6:7], s[0:1]
	s_cbranch_execz .LBB197_823
; %bb.818:                              ;   in Loop: Header=BB197_415 Depth=1
	v_bfrev_b32_e32 v18, 1
	v_mov_b32_e32 v19, 0
	v_cmp_ne_u16_sdwa s[0:1], v11, s24 src0_sel:BYTE_0 src1_sel:DWORD
	s_and_saveexec_b64 s[12:13], s[0:1]
	s_cbranch_execz .LBB197_822
; %bb.819:                              ;   in Loop: Header=BB197_415 Depth=1
	v_mov_b32_e32 v10, v30
	v_bfe_u32 v30, v13, 16, 7
	v_mov_b32_e32 v18, 0x7f800001
	v_mov_b32_e32 v19, 0
	v_cmp_ne_u32_e64 s[0:1], s25, v30
	s_and_saveexec_b64 s[14:15], s[0:1]
	s_cbranch_execz .LBB197_821
; %bb.820:                              ;   in Loop: Header=BB197_415 Depth=1
	v_and_b32_e32 v27, 7, v11
	v_ffbh_u32_e32 v18, v27
	v_mov_b32_e32 v9, v46
	v_mov_b32_e32 v46, v45
	;; [unrolled: 1-line block ×15, first 2 shown]
	v_lshrrev_b32_e32 v32, 3, v30
	v_cmp_gt_u32_e64 s[0:1], 8, v30
	v_min_u32_e32 v30, 32, v18
	v_subrev_u32_e32 v18, 28, v30
	v_lshlrev_b64 v[18:19], v18, v[11:12]
	v_sub_u32_e32 v19, 29, v30
	v_and_b32_e32 v18, 7, v18
	v_cndmask_b32_e64 v19, v32, v19, s[0:1]
	v_cndmask_b32_e64 v18, v27, v18, s[0:1]
	v_lshlrev_b32_e32 v18, 20, v18
	v_and_b32_sdwa v11, sext(v11), s26 dst_sel:DWORD dst_unused:UNUSED_PAD src0_sel:BYTE_0 src1_sel:DWORD
	v_lshl_add_u32 v19, v19, 23, v55
	v_mov_b32_e32 v32, v33
	v_mov_b32_e32 v33, v34
	;; [unrolled: 1-line block ×16, first 2 shown]
	v_or3_b32 v18, v11, v19, v18
	v_mov_b32_e32 v19, v5
.LBB197_821:                            ;   in Loop: Header=BB197_415 Depth=1
	s_or_b64 exec, exec, s[14:15]
	v_mov_b32_e32 v30, v10
.LBB197_822:                            ;   in Loop: Header=BB197_415 Depth=1
	s_or_b64 exec, exec, s[12:13]
.LBB197_823:                            ;   in Loop: Header=BB197_415 Depth=1
	s_or_b64 exec, exec, s[6:7]
	v_cmp_lt_u32_e64 s[0:1], s27, v13
	s_and_saveexec_b64 s[6:7], s[0:1]
	s_cbranch_execz .LBB197_829
; %bb.824:                              ;   in Loop: Header=BB197_415 Depth=1
	v_mov_b32_e32 v21, v6
	v_cmp_ne_u32_sdwa s[0:1], v13, s24 src0_sel:BYTE_3 src1_sel:DWORD
	v_mov_b32_e32 v20, v5
	s_and_saveexec_b64 s[12:13], s[0:1]
	s_cbranch_execz .LBB197_828
; %bb.825:                              ;   in Loop: Header=BB197_415 Depth=1
	v_mov_b32_e32 v10, v30
	v_bfe_u32 v30, v13, 24, 7
	v_mov_b32_e32 v11, v5
	v_mov_b32_e32 v21, v12
	v_cmp_ne_u32_e64 s[0:1], s25, v30
	v_mov_b32_e32 v20, v11
	s_and_saveexec_b64 s[14:15], s[0:1]
	s_cbranch_execz .LBB197_827
; %bb.826:                              ;   in Loop: Header=BB197_415 Depth=1
	v_and_b32_sdwa v20, v13, v27 dst_sel:DWORD dst_unused:UNUSED_PAD src0_sel:BYTE_3 src1_sel:DWORD
	v_lshrrev_b32_e32 v11, 3, v30
	v_cmp_gt_u32_e64 s[0:1], 8, v30
	v_ffbh_u32_e32 v30, v20
	v_mov_b32_e32 v9, v46
	v_mov_b32_e32 v46, v45
	;; [unrolled: 1-line block ×15, first 2 shown]
	v_min_u32_e32 v32, 32, v30
	v_mov_b32_e32 v21, v5
	v_subrev_u32_e32 v30, 28, v32
	v_mov_b32_e32 v27, v54
	v_lshlrev_b64 v[54:55], v30, v[20:21]
	v_sub_u32_e32 v21, 29, v32
	v_bfrev_b32_e32 v55, 60
	v_mov_b32_e32 v32, v33
	v_mov_b32_e32 v33, v34
	;; [unrolled: 1-line block ×15, first 2 shown]
	v_and_b32_e32 v30, 7, v54
	v_cndmask_b32_e64 v11, v11, v21, s[0:1]
	v_mov_b32_e32 v9, 24
	v_cndmask_b32_e64 v20, v20, v30, s[0:1]
	v_lshlrev_b32_sdwa v13, v9, v13 dst_sel:DWORD dst_unused:UNUSED_PAD src0_sel:DWORD src1_sel:BYTE_3
	v_lshl_add_u32 v11, v11, 23, v55
	v_and_or_b32 v11, v13, s26, v11
	v_lshlrev_b32_e32 v13, 20, v20
	v_mov_b32_e32 v54, v27
	v_mov_b32_e32 v27, 7
	v_or_b32_e32 v21, v11, v13
	v_mov_b32_e32 v20, v5
.LBB197_827:                            ;   in Loop: Header=BB197_415 Depth=1
	s_or_b64 exec, exec, s[14:15]
	v_mov_b32_e32 v30, v10
.LBB197_828:                            ;   in Loop: Header=BB197_415 Depth=1
	s_or_b64 exec, exec, s[12:13]
.LBB197_829:                            ;   in Loop: Header=BB197_415 Depth=1
	s_or_b64 exec, exec, s[6:7]
	v_or_b32_e32 v13, v16, v14
	v_or_b32_e32 v11, v17, v15
	v_mul_f32_e32 v15, s17, v13
	v_or_b32_e32 v13, v21, v19
	v_or_b32_e32 v14, v20, v18
	v_mul_f32_e32 v11, s18, v11
	v_mul_f32_e32 v14, s17, v14
	;; [unrolled: 1-line block ×3, first 2 shown]
	s_and_saveexec_b64 s[0:1], vcc
	s_cbranch_execz .LBB197_414
; %bb.830:                              ;   in Loop: Header=BB197_415 Depth=1
	v_add_u32_e32 v9, -3, v47
	v_cmp_gt_i32_e32 vcc, s30, v9
	v_add_u32_e32 v9, -2, v47
	v_cndmask_b32_e32 v15, 0, v15, vcc
	v_cmp_gt_i32_e32 vcc, s30, v9
	v_add_u32_e32 v9, -1, v47
	v_cndmask_b32_e32 v11, 0, v11, vcc
	v_cmp_gt_i32_e32 vcc, s30, v9
	v_cndmask_b32_e32 v14, 0, v14, vcc
	v_cmp_gt_i32_e32 vcc, s30, v47
	v_cndmask_b32_e32 v13, 0, v13, vcc
	s_branch .LBB197_414
.LBB197_831:
	s_or_b64 exec, exec, s[4:5]
	buffer_load_dword v22, off, s[44:47], 0 offset:380 ; 4-byte Folded Reload
	buffer_load_dword v21, off, s[44:47], 0 offset:384 ; 4-byte Folded Reload
	;; [unrolled: 1-line block ×3, first 2 shown]
.LBB197_832:
	s_or_b64 exec, exec, s[2:3]
	s_waitcnt vmcnt(0)
	ds_bpermute_b32 v1, v17, v31
	ds_bpermute_b32 v0, v17, v46
	;; [unrolled: 1-line block ×5, first 2 shown]
	s_waitcnt lgkmcnt(4)
	v_add_f32_e32 v1, v31, v1
	s_waitcnt lgkmcnt(3)
	v_add_f32_e32 v0, v46, v0
	ds_bpermute_b32 v4, v21, v1
	ds_bpermute_b32 v3, v21, v0
	s_waitcnt lgkmcnt(4)
	v_add_f32_e32 v2, v45, v2
	s_waitcnt lgkmcnt(2)
	v_add_f32_e32 v6, v43, v6
	ds_bpermute_b32 v7, v21, v6
	s_waitcnt lgkmcnt(2)
	v_add_f32_e32 v1, v1, v4
	v_add_f32_e32 v4, v44, v5
	s_waitcnt lgkmcnt(1)
	v_add_f32_e32 v0, v0, v3
	ds_bpermute_b32 v3, v21, v2
	ds_bpermute_b32 v5, v21, v4
	;; [unrolled: 1-line block ×4, first 2 shown]
	s_waitcnt lgkmcnt(0)
	v_add_f32_e32 v2, v2, v3
	v_add_f32_e32 v3, v4, v5
	ds_bpermute_b32 v5, v17, v41
	v_add_f32_e32 v4, v6, v7
	v_add_f32_e32 v7, v42, v8
	ds_bpermute_b32 v6, v17, v40
	ds_bpermute_b32 v8, v21, v7
	s_waitcnt lgkmcnt(2)
	v_add_f32_e32 v9, v41, v5
	ds_bpermute_b32 v10, v21, v9
	s_waitcnt lgkmcnt(0)
	s_barrier
	v_add_f32_e32 v11, v40, v6
	v_add_f32_e32 v5, v7, v8
	ds_bpermute_b32 v8, v17, v39
	ds_bpermute_b32 v12, v21, v11
	v_add_f32_e32 v6, v9, v10
	ds_bpermute_b32 v9, v17, v38
	ds_bpermute_b32 v10, v17, v37
	s_waitcnt lgkmcnt(3)
	v_add_f32_e32 v8, v39, v8
	s_waitcnt lgkmcnt(2)
	v_add_f32_e32 v7, v11, v12
	ds_bpermute_b32 v11, v21, v8
	s_waitcnt lgkmcnt(2)
	v_add_f32_e32 v9, v38, v9
	ds_bpermute_b32 v12, v21, v9
	s_waitcnt lgkmcnt(2)
	v_add_f32_e32 v10, v37, v10
	ds_bpermute_b32 v13, v21, v10
	s_waitcnt lgkmcnt(2)
	v_add_f32_e32 v8, v8, v11
	ds_bpermute_b32 v11, v17, v35
	s_waitcnt lgkmcnt(2)
	v_add_f32_e32 v9, v9, v12
	v_add_f32_e32 v12, v36, v14
	s_waitcnt lgkmcnt(1)
	v_add_f32_e32 v10, v10, v13
	ds_bpermute_b32 v13, v21, v12
	s_waitcnt lgkmcnt(1)
	v_add_f32_e32 v15, v35, v11
	ds_bpermute_b32 v11, v17, v33
	ds_bpermute_b32 v16, v21, v15
	s_waitcnt lgkmcnt(0)
	ds_bpermute_b32 v14, v17, v34
	ds_bpermute_b32 v17, v17, v32
	v_add_f32_e32 v19, v33, v11
	v_add_f32_e32 v11, v12, v13
	;; [unrolled: 1-line block ×3, first 2 shown]
	buffer_load_dword v16, off, s[44:47], 0 offset:364 ; 4-byte Folded Reload
	s_waitcnt lgkmcnt(1)
	v_add_f32_e32 v14, v34, v14
	s_waitcnt lgkmcnt(0)
	v_add_f32_e32 v17, v32, v17
	ds_bpermute_b32 v18, v21, v14
	ds_bpermute_b32 v20, v21, v19
	;; [unrolled: 1-line block ×3, first 2 shown]
	s_waitcnt lgkmcnt(2)
	v_add_f32_e32 v13, v14, v18
	s_waitcnt lgkmcnt(1)
	v_add_f32_e32 v14, v19, v20
	;; [unrolled: 2-line block ×3, first 2 shown]
	s_waitcnt vmcnt(0)
	v_and_b32_e32 v16, 0x3c3, v16
	v_cmp_eq_u32_e32 vcc, 64, v16
	s_and_saveexec_b64 s[0:1], vcc
	s_cbranch_execz .LBB197_834
; %bb.833:
	v_add_u32_e32 v17, 0x410, v22
	ds_write2_b32 v17, v0, v1 offset1:16
	ds_write2_b32 v17, v2, v3 offset0:32 offset1:48
	ds_write2_b32 v17, v4, v5 offset0:64 offset1:80
	;; [unrolled: 1-line block ×7, first 2 shown]
.LBB197_834:
	s_or_b64 exec, exec, s[0:1]
	buffer_load_dword v17, off, s[44:47], 0 offset:364 ; 4-byte Folded Reload
	s_waitcnt vmcnt(0) lgkmcnt(0)
	s_barrier
	v_cmp_gt_u32_e32 vcc, 64, v17
	s_and_saveexec_b64 s[0:1], vcc
	s_cbranch_execz .LBB197_853
; %bb.835:
	buffer_load_dword v17, off, s[44:47], 0 offset:368 ; 4-byte Folded Reload
	buffer_load_dword v18, off, s[44:47], 0 offset:376 ; 4-byte Folded Reload
	s_waitcnt vmcnt(1)
	v_cmp_eq_u32_e32 vcc, 0, v17
	v_mov_b32_e32 v17, 0x410
	s_waitcnt vmcnt(0)
	v_lshl_add_u32 v17, v18, 2, v17
	s_and_saveexec_b64 s[2:3], vcc
	s_cbranch_execnz .LBB197_856
; %bb.836:
	s_or_b64 exec, exec, s[2:3]
	s_and_saveexec_b64 s[2:3], vcc
	s_cbranch_execnz .LBB197_857
.LBB197_837:
	s_or_b64 exec, exec, s[2:3]
	s_and_saveexec_b64 s[2:3], vcc
	s_cbranch_execnz .LBB197_858
.LBB197_838:
	s_or_b64 exec, exec, s[2:3]
	s_and_saveexec_b64 s[2:3], vcc
	s_cbranch_execnz .LBB197_859
.LBB197_839:
	s_or_b64 exec, exec, s[2:3]
	s_and_saveexec_b64 s[2:3], vcc
	s_cbranch_execnz .LBB197_860
.LBB197_840:
	s_or_b64 exec, exec, s[2:3]
	s_and_saveexec_b64 s[2:3], vcc
	s_cbranch_execnz .LBB197_861
.LBB197_841:
	s_or_b64 exec, exec, s[2:3]
	s_and_saveexec_b64 s[2:3], vcc
	s_cbranch_execnz .LBB197_862
.LBB197_842:
	s_or_b64 exec, exec, s[2:3]
	s_and_saveexec_b64 s[2:3], vcc
	s_cbranch_execnz .LBB197_863
.LBB197_843:
	s_or_b64 exec, exec, s[2:3]
	s_and_saveexec_b64 s[2:3], vcc
	s_cbranch_execnz .LBB197_864
.LBB197_844:
	s_or_b64 exec, exec, s[2:3]
	s_and_saveexec_b64 s[2:3], vcc
	s_cbranch_execnz .LBB197_865
.LBB197_845:
	s_or_b64 exec, exec, s[2:3]
	s_and_saveexec_b64 s[2:3], vcc
	s_cbranch_execnz .LBB197_866
.LBB197_846:
	s_or_b64 exec, exec, s[2:3]
	s_and_saveexec_b64 s[2:3], vcc
	s_cbranch_execnz .LBB197_867
.LBB197_847:
	s_or_b64 exec, exec, s[2:3]
	s_and_saveexec_b64 s[2:3], vcc
	s_cbranch_execnz .LBB197_868
.LBB197_848:
	s_or_b64 exec, exec, s[2:3]
	s_and_saveexec_b64 s[2:3], vcc
	s_cbranch_execnz .LBB197_869
.LBB197_849:
	s_or_b64 exec, exec, s[2:3]
	s_and_saveexec_b64 s[2:3], vcc
	s_cbranch_execnz .LBB197_870
.LBB197_850:
	s_or_b64 exec, exec, s[2:3]
	s_and_saveexec_b64 s[2:3], vcc
	s_cbranch_execz .LBB197_852
.LBB197_851:
	ds_read_b32 v17, v17 offset:960
	s_waitcnt lgkmcnt(0)
	v_add_f32_e32 v15, v15, v17
.LBB197_852:
	s_or_b64 exec, exec, s[2:3]
.LBB197_853:
	s_or_b64 exec, exec, s[0:1]
	v_cmp_eq_u32_e32 vcc, 0, v16
	s_barrier
	s_and_saveexec_b64 s[0:1], vcc
	s_cbranch_execz .LBB197_855
; %bb.854:
	buffer_load_dword v16, off, s[44:47], 0 offset:372 ; 4-byte Folded Reload
	s_mul_i32 s0, s10, s11
	s_mul_i32 s0, s0, s9
	s_lshl_b32 s0, s0, 8
	s_ashr_i32 s1, s0, 31
	s_lshl_b64 s[0:1], s[0:1], 2
	s_add_u32 s2, s22, s0
	s_mul_i32 s0, s11, s20
	s_addc_u32 s3, s23, s1
	s_ashr_i32 s1, s0, 31
	s_lshl_b64 s[0:1], s[0:1], 2
	s_add_u32 s2, s2, s0
	s_addc_u32 s3, s3, s1
	s_lshl_b32 s0, s8, 8
	s_ashr_i32 s1, s0, 31
	s_lshl_b64 s[0:1], s[0:1], 2
	s_add_u32 s0, s2, s0
	s_addc_u32 s1, s3, s1
	s_waitcnt vmcnt(0)
	global_store_dword v16, v0, s[0:1]
	global_store_dword v16, v1, s[0:1] offset:64
	global_store_dword v16, v2, s[0:1] offset:128
	;; [unrolled: 1-line block ×15, first 2 shown]
.LBB197_855:
	s_endpgm
.LBB197_856:
	ds_read_b32 v18, v17
	s_waitcnt lgkmcnt(0)
	v_add_f32_e32 v0, v0, v18
	s_or_b64 exec, exec, s[2:3]
	s_and_saveexec_b64 s[2:3], vcc
	s_cbranch_execz .LBB197_837
.LBB197_857:
	ds_read_b32 v18, v17 offset:64
	s_waitcnt lgkmcnt(0)
	v_add_f32_e32 v1, v1, v18
	s_or_b64 exec, exec, s[2:3]
	s_and_saveexec_b64 s[2:3], vcc
	s_cbranch_execz .LBB197_838
.LBB197_858:
	ds_read_b32 v18, v17 offset:128
	s_waitcnt lgkmcnt(0)
	v_add_f32_e32 v2, v2, v18
	s_or_b64 exec, exec, s[2:3]
	s_and_saveexec_b64 s[2:3], vcc
	s_cbranch_execz .LBB197_839
.LBB197_859:
	ds_read_b32 v18, v17 offset:192
	s_waitcnt lgkmcnt(0)
	v_add_f32_e32 v3, v3, v18
	s_or_b64 exec, exec, s[2:3]
	s_and_saveexec_b64 s[2:3], vcc
	s_cbranch_execz .LBB197_840
.LBB197_860:
	ds_read_b32 v18, v17 offset:256
	s_waitcnt lgkmcnt(0)
	v_add_f32_e32 v4, v4, v18
	s_or_b64 exec, exec, s[2:3]
	s_and_saveexec_b64 s[2:3], vcc
	s_cbranch_execz .LBB197_841
.LBB197_861:
	ds_read_b32 v18, v17 offset:320
	s_waitcnt lgkmcnt(0)
	v_add_f32_e32 v5, v5, v18
	s_or_b64 exec, exec, s[2:3]
	s_and_saveexec_b64 s[2:3], vcc
	s_cbranch_execz .LBB197_842
.LBB197_862:
	ds_read_b32 v18, v17 offset:384
	s_waitcnt lgkmcnt(0)
	v_add_f32_e32 v6, v6, v18
	s_or_b64 exec, exec, s[2:3]
	s_and_saveexec_b64 s[2:3], vcc
	s_cbranch_execz .LBB197_843
.LBB197_863:
	ds_read_b32 v18, v17 offset:448
	s_waitcnt lgkmcnt(0)
	v_add_f32_e32 v7, v7, v18
	s_or_b64 exec, exec, s[2:3]
	s_and_saveexec_b64 s[2:3], vcc
	s_cbranch_execz .LBB197_844
.LBB197_864:
	ds_read_b32 v18, v17 offset:512
	s_waitcnt lgkmcnt(0)
	v_add_f32_e32 v8, v8, v18
	s_or_b64 exec, exec, s[2:3]
	s_and_saveexec_b64 s[2:3], vcc
	s_cbranch_execz .LBB197_845
.LBB197_865:
	ds_read_b32 v18, v17 offset:576
	s_waitcnt lgkmcnt(0)
	v_add_f32_e32 v9, v9, v18
	s_or_b64 exec, exec, s[2:3]
	s_and_saveexec_b64 s[2:3], vcc
	s_cbranch_execz .LBB197_846
.LBB197_866:
	ds_read_b32 v18, v17 offset:640
	s_waitcnt lgkmcnt(0)
	v_add_f32_e32 v10, v10, v18
	s_or_b64 exec, exec, s[2:3]
	s_and_saveexec_b64 s[2:3], vcc
	s_cbranch_execz .LBB197_847
.LBB197_867:
	ds_read_b32 v18, v17 offset:704
	s_waitcnt lgkmcnt(0)
	v_add_f32_e32 v11, v11, v18
	s_or_b64 exec, exec, s[2:3]
	s_and_saveexec_b64 s[2:3], vcc
	s_cbranch_execz .LBB197_848
.LBB197_868:
	ds_read_b32 v18, v17 offset:768
	s_waitcnt lgkmcnt(0)
	v_add_f32_e32 v12, v12, v18
	s_or_b64 exec, exec, s[2:3]
	s_and_saveexec_b64 s[2:3], vcc
	s_cbranch_execz .LBB197_849
.LBB197_869:
	ds_read_b32 v18, v17 offset:832
	s_waitcnt lgkmcnt(0)
	v_add_f32_e32 v13, v13, v18
	s_or_b64 exec, exec, s[2:3]
	s_and_saveexec_b64 s[2:3], vcc
	s_cbranch_execz .LBB197_850
.LBB197_870:
	ds_read_b32 v18, v17 offset:896
	s_waitcnt lgkmcnt(0)
	v_add_f32_e32 v14, v14, v18
	s_or_b64 exec, exec, s[2:3]
	s_and_saveexec_b64 s[2:3], vcc
	s_cbranch_execnz .LBB197_851
	s_branch .LBB197_852
	.section	.rodata,"a",@progbits
	.p2align	6, 0x0
	.amdhsa_kernel _ZN4vllm25paged_attention_v1_kernelIfhLi256ELi16ELi128ELNS_18Fp8KVCacheDataTypeE1ELb0EEEvPT_PKS2_PKT0_S8_ifPKiSA_iPKfiiiSC_SC_iiiii
		.amdhsa_group_segment_fixed_size 1040
		.amdhsa_private_segment_fixed_size 396
		.amdhsa_kernarg_size 384
		.amdhsa_user_sgpr_count 6
		.amdhsa_user_sgpr_private_segment_buffer 1
		.amdhsa_user_sgpr_dispatch_ptr 0
		.amdhsa_user_sgpr_queue_ptr 0
		.amdhsa_user_sgpr_kernarg_segment_ptr 1
		.amdhsa_user_sgpr_dispatch_id 0
		.amdhsa_user_sgpr_flat_scratch_init 0
		.amdhsa_user_sgpr_private_segment_size 0
		.amdhsa_uses_dynamic_stack 0
		.amdhsa_system_sgpr_private_segment_wavefront_offset 1
		.amdhsa_system_sgpr_workgroup_id_x 1
		.amdhsa_system_sgpr_workgroup_id_y 1
		.amdhsa_system_sgpr_workgroup_id_z 1
		.amdhsa_system_sgpr_workgroup_info 0
		.amdhsa_system_vgpr_workitem_id 0
		.amdhsa_next_free_vgpr 64
		.amdhsa_next_free_sgpr 48
		.amdhsa_reserve_vcc 1
		.amdhsa_reserve_flat_scratch 0
		.amdhsa_float_round_mode_32 0
		.amdhsa_float_round_mode_16_64 0
		.amdhsa_float_denorm_mode_32 3
		.amdhsa_float_denorm_mode_16_64 3
		.amdhsa_dx10_clamp 1
		.amdhsa_ieee_mode 1
		.amdhsa_fp16_overflow 0
		.amdhsa_exception_fp_ieee_invalid_op 0
		.amdhsa_exception_fp_denorm_src 0
		.amdhsa_exception_fp_ieee_div_zero 0
		.amdhsa_exception_fp_ieee_overflow 0
		.amdhsa_exception_fp_ieee_underflow 0
		.amdhsa_exception_fp_ieee_inexact 0
		.amdhsa_exception_int_div_zero 0
	.end_amdhsa_kernel
	.section	.text._ZN4vllm25paged_attention_v1_kernelIfhLi256ELi16ELi128ELNS_18Fp8KVCacheDataTypeE1ELb0EEEvPT_PKS2_PKT0_S8_ifPKiSA_iPKfiiiSC_SC_iiiii,"axG",@progbits,_ZN4vllm25paged_attention_v1_kernelIfhLi256ELi16ELi128ELNS_18Fp8KVCacheDataTypeE1ELb0EEEvPT_PKS2_PKT0_S8_ifPKiSA_iPKfiiiSC_SC_iiiii,comdat
.Lfunc_end197:
	.size	_ZN4vllm25paged_attention_v1_kernelIfhLi256ELi16ELi128ELNS_18Fp8KVCacheDataTypeE1ELb0EEEvPT_PKS2_PKT0_S8_ifPKiSA_iPKfiiiSC_SC_iiiii, .Lfunc_end197-_ZN4vllm25paged_attention_v1_kernelIfhLi256ELi16ELi128ELNS_18Fp8KVCacheDataTypeE1ELb0EEEvPT_PKS2_PKT0_S8_ifPKiSA_iPKfiiiSC_SC_iiiii
                                        ; -- End function
	.set _ZN4vllm25paged_attention_v1_kernelIfhLi256ELi16ELi128ELNS_18Fp8KVCacheDataTypeE1ELb0EEEvPT_PKS2_PKT0_S8_ifPKiSA_iPKfiiiSC_SC_iiiii.num_vgpr, 64
	.set _ZN4vllm25paged_attention_v1_kernelIfhLi256ELi16ELi128ELNS_18Fp8KVCacheDataTypeE1ELb0EEEvPT_PKS2_PKT0_S8_ifPKiSA_iPKfiiiSC_SC_iiiii.num_agpr, 0
	.set _ZN4vllm25paged_attention_v1_kernelIfhLi256ELi16ELi128ELNS_18Fp8KVCacheDataTypeE1ELb0EEEvPT_PKS2_PKT0_S8_ifPKiSA_iPKfiiiSC_SC_iiiii.numbered_sgpr, 48
	.set _ZN4vllm25paged_attention_v1_kernelIfhLi256ELi16ELi128ELNS_18Fp8KVCacheDataTypeE1ELb0EEEvPT_PKS2_PKT0_S8_ifPKiSA_iPKfiiiSC_SC_iiiii.num_named_barrier, 0
	.set _ZN4vllm25paged_attention_v1_kernelIfhLi256ELi16ELi128ELNS_18Fp8KVCacheDataTypeE1ELb0EEEvPT_PKS2_PKT0_S8_ifPKiSA_iPKfiiiSC_SC_iiiii.private_seg_size, 396
	.set _ZN4vllm25paged_attention_v1_kernelIfhLi256ELi16ELi128ELNS_18Fp8KVCacheDataTypeE1ELb0EEEvPT_PKS2_PKT0_S8_ifPKiSA_iPKfiiiSC_SC_iiiii.uses_vcc, 1
	.set _ZN4vllm25paged_attention_v1_kernelIfhLi256ELi16ELi128ELNS_18Fp8KVCacheDataTypeE1ELb0EEEvPT_PKS2_PKT0_S8_ifPKiSA_iPKfiiiSC_SC_iiiii.uses_flat_scratch, 0
	.set _ZN4vllm25paged_attention_v1_kernelIfhLi256ELi16ELi128ELNS_18Fp8KVCacheDataTypeE1ELb0EEEvPT_PKS2_PKT0_S8_ifPKiSA_iPKfiiiSC_SC_iiiii.has_dyn_sized_stack, 0
	.set _ZN4vllm25paged_attention_v1_kernelIfhLi256ELi16ELi128ELNS_18Fp8KVCacheDataTypeE1ELb0EEEvPT_PKS2_PKT0_S8_ifPKiSA_iPKfiiiSC_SC_iiiii.has_recursion, 0
	.set _ZN4vllm25paged_attention_v1_kernelIfhLi256ELi16ELi128ELNS_18Fp8KVCacheDataTypeE1ELb0EEEvPT_PKS2_PKT0_S8_ifPKiSA_iPKfiiiSC_SC_iiiii.has_indirect_call, 0
	.section	.AMDGPU.csdata,"",@progbits
; Kernel info:
; codeLenInByte = 36292
; TotalNumSgprs: 52
; NumVgprs: 64
; ScratchSize: 396
; MemoryBound: 0
; FloatMode: 240
; IeeeMode: 1
; LDSByteSize: 1040 bytes/workgroup (compile time only)
; SGPRBlocks: 6
; VGPRBlocks: 15
; NumSGPRsForWavesPerEU: 52
; NumVGPRsForWavesPerEU: 64
; Occupancy: 4
; WaveLimiterHint : 1
; COMPUTE_PGM_RSRC2:SCRATCH_EN: 1
; COMPUTE_PGM_RSRC2:USER_SGPR: 6
; COMPUTE_PGM_RSRC2:TRAP_HANDLER: 0
; COMPUTE_PGM_RSRC2:TGID_X_EN: 1
; COMPUTE_PGM_RSRC2:TGID_Y_EN: 1
; COMPUTE_PGM_RSRC2:TGID_Z_EN: 1
; COMPUTE_PGM_RSRC2:TIDIG_COMP_CNT: 0
	.section	.text._ZN4vllm25paged_attention_v1_kernelIfhLi32ELi32ELi128ELNS_18Fp8KVCacheDataTypeE1ELb1EEEvPT_PKS2_PKT0_S8_ifPKiSA_iPKfiiiSC_SC_iiiii,"axG",@progbits,_ZN4vllm25paged_attention_v1_kernelIfhLi32ELi32ELi128ELNS_18Fp8KVCacheDataTypeE1ELb1EEEvPT_PKS2_PKT0_S8_ifPKiSA_iPKfiiiSC_SC_iiiii,comdat
	.protected	_ZN4vllm25paged_attention_v1_kernelIfhLi32ELi32ELi128ELNS_18Fp8KVCacheDataTypeE1ELb1EEEvPT_PKS2_PKT0_S8_ifPKiSA_iPKfiiiSC_SC_iiiii ; -- Begin function _ZN4vllm25paged_attention_v1_kernelIfhLi32ELi32ELi128ELNS_18Fp8KVCacheDataTypeE1ELb1EEEvPT_PKS2_PKT0_S8_ifPKiSA_iPKfiiiSC_SC_iiiii
	.globl	_ZN4vllm25paged_attention_v1_kernelIfhLi32ELi32ELi128ELNS_18Fp8KVCacheDataTypeE1ELb1EEEvPT_PKS2_PKT0_S8_ifPKiSA_iPKfiiiSC_SC_iiiii
	.p2align	8
	.type	_ZN4vllm25paged_attention_v1_kernelIfhLi32ELi32ELi128ELNS_18Fp8KVCacheDataTypeE1ELb1EEEvPT_PKS2_PKT0_S8_ifPKiSA_iPKfiiiSC_SC_iiiii,@function
_ZN4vllm25paged_attention_v1_kernelIfhLi32ELi32ELi128ELNS_18Fp8KVCacheDataTypeE1ELb1EEEvPT_PKS2_PKT0_S8_ifPKiSA_iPKfiiiSC_SC_iiiii: ; @_ZN4vllm25paged_attention_v1_kernelIfhLi32ELi32ELi128ELNS_18Fp8KVCacheDataTypeE1ELb1EEEvPT_PKS2_PKT0_S8_ifPKiSA_iPKfiiiSC_SC_iiiii
; %bb.0:
	s_mov_b64 s[58:59], s[2:3]
	s_mov_b64 s[56:57], s[0:1]
	s_add_u32 s56, s56, s9
	s_load_dword s9, s[4:5], 0x80
	s_load_dwordx2 s[0:1], s[4:5], 0x30
	s_load_dwordx2 s[36:37], s[4:5], 0x20
	s_addc_u32 s57, s57, 0
	s_mov_b32 s10, s7
	s_ashr_i32 s11, s7, 31
	s_lshl_b64 s[2:3], s[10:11], 2
	s_waitcnt lgkmcnt(0)
	s_add_u32 s0, s0, s2
	s_addc_u32 s1, s1, s3
	s_abs_i32 s2, s36
	v_mov_b32_e32 v57, v0
	v_cvt_f32_u32_e32 v0, s2
	s_sub_i32 s11, 0, s2
	s_abs_i32 s7, s9
	s_xor_b32 s3, s9, s36
	v_rcp_iflag_f32_e32 v0, v0
	s_ashr_i32 s3, s3, 31
	s_mov_b32 s48, 0
	v_mul_f32_e32 v0, 0x4f7ffffe, v0
	v_cvt_u32_f32_e32 v0, v0
	v_readfirstlane_b32 s12, v0
	s_mul_i32 s11, s11, s12
	s_mul_hi_u32 s11, s12, s11
	s_add_i32 s12, s12, s11
	s_mul_hi_u32 s11, s7, s12
	s_mul_i32 s12, s11, s2
	s_sub_i32 s7, s7, s12
	s_add_i32 s12, s11, 1
	s_sub_i32 s13, s7, s2
	s_cmp_ge_u32 s7, s2
	s_cselect_b32 s11, s12, s11
	s_cselect_b32 s7, s13, s7
	s_add_i32 s12, s11, 1
	s_cmp_ge_u32 s7, s2
	s_cselect_b32 s2, s12, s11
	s_xor_b32 s2, s2, s3
	s_sub_i32 s14, s2, s3
	s_abs_i32 s11, s14
	v_cvt_f32_u32_e32 v0, s11
	s_load_dwordx2 s[2:3], s[4:5], 0x40
	s_sub_i32 s7, 0, s11
	s_abs_i32 s12, s6
	v_rcp_iflag_f32_e32 v0, v0
	v_mul_f32_e32 v0, 0x4f7ffffe, v0
	v_cvt_u32_f32_e32 v0, v0
	v_readfirstlane_b32 s13, v0
	s_mul_i32 s7, s7, s13
	s_mul_hi_u32 s7, s13, s7
	s_add_i32 s13, s13, s7
	s_waitcnt lgkmcnt(0)
	s_cmp_eq_u64 s[2:3], 0
	s_mul_hi_u32 s13, s12, s13
	s_cbranch_scc1 .LBB198_2
; %bb.1:
	s_ashr_i32 s7, s6, 31
	s_lshl_b64 s[16:17], s[6:7], 2
	s_add_u32 s2, s2, s16
	s_addc_u32 s3, s3, s17
	s_load_dword s48, s[2:3], 0x0
.LBB198_2:
	s_load_dword s33, s[0:1], 0x0
	s_load_dwordx4 s[16:19], s[4:5], 0x48
	s_ashr_i32 s3, s6, 31
	s_ashr_i32 s7, s14, 31
	v_and_b32_e32 v1, 1, v57
	s_lshl_b32 s24, s6, 5
	v_cmp_gt_u32_e32 vcc, 16, v57
	v_lshlrev_b32_e32 v12, 2, v57
	s_and_saveexec_b64 s[0:1], vcc
	s_cbranch_execz .LBB198_4
; %bb.3:
	s_load_dwordx2 s[14:15], s[4:5], 0x8
	s_waitcnt lgkmcnt(0)
	s_mul_i32 s20, s16, s10
	s_ashr_i32 s21, s20, 31
	s_lshl_b64 s[20:21], s[20:21], 2
	v_lshlrev_b32_e32 v0, 3, v57
	s_add_u32 s2, s14, s20
	s_addc_u32 s16, s15, s21
	s_ashr_i32 s25, s24, 31
	s_lshl_b64 s[14:15], s[24:25], 2
	s_add_u32 s14, s2, s14
	s_addc_u32 s15, s16, s15
	global_load_dwordx2 v[2:3], v0, s[14:15]
	v_and_b32_e32 v0, 0xff8, v12
	v_lshl_add_u32 v0, v1, 6, v0
	s_waitcnt vmcnt(0)
	ds_write_b64 v0, v[2:3]
.LBB198_4:
	s_or_b64 exec, exec, s[0:1]
	s_mul_i32 s1, s13, s11
	s_sub_i32 s1, s12, s1
	s_xor_b32 s0, s3, s7
	s_add_i32 s3, s13, 1
	s_sub_i32 s7, s1, s11
	s_load_dwordx4 s[20:23], s[4:5], 0x68
	s_load_dword s2, s[4:5], 0x78
	s_cmp_ge_u32 s1, s11
	s_cselect_b32 s3, s3, s13
	s_cselect_b32 s1, s7, s1
	s_add_i32 s7, s3, 1
	s_cmp_ge_u32 s1, s11
	s_cselect_b32 s1, s7, s3
	s_waitcnt lgkmcnt(0)
	s_abs_i32 s25, s23
	v_cvt_f32_u32_e32 v0, s25
	s_xor_b32 s1, s1, s0
	s_sub_i32 s47, s1, s0
	s_sub_i32 s0, 0, s25
	v_rcp_iflag_f32_e32 v0, v0
	s_add_i32 s11, s33, -1
	s_abs_i32 s3, s11
	v_mul_f32_e32 v0, 0x4f7ffffe, v0
	v_cvt_u32_f32_e32 v0, v0
	s_barrier
	v_readfirstlane_b32 s46, v0
	s_mul_i32 s0, s0, s46
	s_mul_hi_u32 s0, s46, s0
	s_add_i32 s46, s46, s0
	s_cmp_lt_i32 s2, 0
	s_mul_hi_u32 s7, s3, s46
	s_cbranch_scc0 .LBB198_6
; %bb.5:
	s_mul_i32 s0, s20, s36
	s_add_i32 s0, s47, s0
	s_mul_i32 s0, s0, s2
	s_sub_i32 s36, 1, s0
	s_mov_b64 s[0:1], 0
	s_branch .LBB198_7
.LBB198_6:
	s_mov_b64 s[0:1], -1
                                        ; implicit-def: $sgpr36
.LBB198_7:
	s_load_dwordx2 s[28:29], s[4:5], 0x28
	s_ashr_i32 s16, s11, 31
	s_andn2_b64 vcc, exec, s[0:1]
	s_ashr_i32 s23, s23, 31
	s_cbranch_vccnz .LBB198_9
; %bb.8:
	s_mul_i32 s0, s9, s20
	s_add_i32 s0, s0, s6
	s_mul_i32 s0, s0, s2
	s_add_i32 s36, s0, 1
.LBB198_9:
	s_load_dword s0, s[4:5], 0x38
	s_load_dwordx2 s[26:27], s[4:5], 0x0
	s_load_dwordx2 s[34:35], s[4:5], 0x18
	s_load_dword s11, s[4:5], 0x88
	s_load_dwordx4 s[12:15], s[4:5], 0x58
	s_mul_i32 s1, s7, s25
	s_waitcnt lgkmcnt(0)
	s_mul_i32 s30, s0, s10
	s_sub_i32 s1, s3, s1
	s_ashr_i32 s31, s30, 31
	s_xor_b32 s0, s16, s23
	s_add_i32 s2, s7, 1
	s_sub_i32 s3, s1, s25
	s_cmp_ge_u32 s1, s25
	s_cselect_b32 s2, s2, s7
	s_cselect_b32 s1, s3, s1
	s_add_i32 s3, s2, 1
	s_cmp_ge_u32 s1, s25
	s_cselect_b32 s1, s3, s2
	s_xor_b32 s1, s1, s0
	s_sub_i32 s16, s1, s0
	s_add_i32 s0, s33, 31
	s_ashr_i32 s1, s0, 31
	s_lshr_b32 s1, s1, 27
	s_add_i32 s0, s0, s1
	s_ashr_i32 s20, s0, 5
	v_lshrrev_b32_e32 v0, 6, v57
	v_cmp_gt_i32_e64 s[0:1], s20, v0
	v_mov_b32_e32 v4, 0xff7fffff
	s_mul_i32 s47, s47, s18
	v_lshrrev_b32_e32 v13, 4, v57
	v_lshlrev_b32_e32 v59, 5, v0
	v_mbcnt_lo_u32_b32 v6, -1, 0
	s_and_saveexec_b64 s[18:19], s[0:1]
	s_cbranch_execz .LBB198_117
; %bb.10:
	s_load_dwordx2 s[2:3], s[4:5], 0x10
	s_sub_i32 s49, s16, s21
	s_ashr_i32 s4, s47, 31
	v_cmp_eq_u32_e32 vcc, 0, v1
	v_lshlrev_b32_e32 v3, 1, v1
	s_waitcnt lgkmcnt(0)
	s_add_u32 s5, s2, s47
	s_addc_u32 s4, s3, s4
	s_abs_i32 s50, s22
	v_cvt_f32_u32_e32 v2, s50
	s_sub_i32 s2, 0, s50
	v_lshlrev_b32_e32 v62, 6, v1
	v_bfe_u32 v61, v57, 1, 5
	v_rcp_iflag_f32_e32 v2, v2
	v_lshlrev_b32_e32 v4, 4, v61
	v_mov_b32_e32 v5, s4
	v_add_co_u32_e64 v4, s[4:5], s5, v4
	v_mul_f32_e32 v2, 0x4f7ffffe, v2
	v_cvt_u32_f32_e32 v2, v2
	v_addc_co_u32_e64 v5, s[4:5], 0, v5, s[4:5]
	buffer_store_dword v12, off, s[56:59], 0 offset:36 ; 4-byte Folded Spill
	v_mul_lo_u32 v1, s2, v2
	buffer_store_dword v57, off, s[56:59], 0 offset:32 ; 4-byte Folded Spill
	s_mov_b32 s51, s17
	v_mov_b32_e32 v17, 0
	v_mul_hi_u32 v1, v2, v1
	v_cmp_neq_f32_e64 s[2:3], s48, 0
	v_lshlrev_b32_e32 v63, 5, v0
	s_mov_b64 s[38:39], 0
	v_add_u32_e32 v60, v2, v1
	v_add_co_u32_e64 v1, s[4:5], v4, v3
	v_addc_co_u32_e64 v2, s[4:5], 0, v5, s[4:5]
	s_lshl_b64 s[4:5], s[30:31], 2
	buffer_store_dword v1, off, s[56:59], 0 offset:12 ; 4-byte Folded Spill
	s_nop 0
	buffer_store_dword v2, off, s[56:59], 0 offset:16 ; 4-byte Folded Spill
	buffer_store_dword v13, off, s[56:59], 0 offset:40 ; 4-byte Folded Spill
	s_add_u32 s4, s28, s4
	v_and_b32_e32 v1, 60, v13
	s_addc_u32 s5, s29, s5
	v_mov_b32_e32 v2, s5
	v_add_co_u32_e64 v21, s[4:5], s4, v1
	v_subrev_u32_e32 v1, s33, v61
	v_add_u32_e32 v1, 1, v1
	buffer_store_dword v1, off, s[56:59], 0 offset:24 ; 4-byte Folded Spill
	v_lshlrev_b32_e32 v1, 2, v61
	v_lshl_or_b32 v1, v0, 7, v1
	v_add_u32_e32 v19, 0x90, v1
	v_mbcnt_hi_u32_b32 v1, -1, v6
	v_addc_co_u32_e64 v22, s[4:5], 0, v2, s[4:5]
	s_movk_i32 s52, 0x80
	s_movk_i32 s53, 0x7f
	s_brev_b32 s54, 1
	v_bfrev_b32_e32 v18, 1
	buffer_store_dword v1, off, s[56:59], 0 offset:20 ; 4-byte Folded Spill
	v_mov_b32_e32 v1, 0xff7fffff
	v_mov_b32_e32 v58, v0
	v_mov_b32_e32 v24, 0x7f800001
	buffer_store_dword v1, off, s[56:59], 0 offset:8 ; 4-byte Folded Spill
	buffer_store_dword v60, off, s[56:59], 0 offset:28 ; 4-byte Folded Spill
	s_branch .LBB198_13
.LBB198_11:                             ;   in Loop: Header=BB198_13 Depth=1
	s_or_b64 exec, exec, s[40:41]
.LBB198_12:                             ;   in Loop: Header=BB198_13 Depth=1
	s_or_b64 exec, exec, s[6:7]
	v_add_co_u32_e64 v21, s[4:5], 8, v21
	v_add_u32_e32 v58, 2, v58
	v_addc_co_u32_e64 v22, s[4:5], 0, v22, s[4:5]
	v_cmp_le_i32_e64 s[4:5], s20, v58
	v_add_u32_e32 v63, 64, v63
	s_or_b64 s[38:39], s[4:5], s[38:39]
	v_add_u32_e32 v19, 0x100, v19
	s_andn2_b64 exec, exec, s[38:39]
	s_cbranch_execz .LBB198_116
.LBB198_13:                             ; =>This Inner Loop Header: Depth=1
	v_mul_hi_u32 v1, v63, s46
	s_waitcnt lgkmcnt(0)
	v_mul_lo_u32 v2, v1, s25
	v_add_u32_e32 v3, 1, v1
	v_sub_u32_e32 v2, v63, v2
	v_cmp_le_u32_e64 s[4:5], s25, v2
	v_cndmask_b32_e64 v1, v1, v3, s[4:5]
	v_subrev_u32_e32 v3, s25, v2
	v_cndmask_b32_e64 v2, v2, v3, s[4:5]
	v_add_u32_e32 v3, 1, v1
	v_cmp_le_u32_e64 s[4:5], s25, v2
	v_cndmask_b32_e64 v1, v1, v3, s[4:5]
	v_xor_b32_e32 v1, s23, v1
	v_subrev_u32_e32 v1, s23, v1
	v_add_u32_e32 v2, s36, v1
	v_sub_u32_e32 v3, 0, v2
	v_max_i32_e32 v3, v2, v3
	v_mul_hi_u32 v4, v3, v60
	v_ashrrev_i32_e32 v2, 31, v2
	v_cmp_ge_i32_e64 s[6:7], s49, v1
	v_mul_lo_u32 v4, v4, s50
	v_sub_u32_e32 v3, v3, v4
	v_subrev_u32_e32 v4, s50, v3
	v_cmp_le_u32_e64 s[4:5], s50, v3
	v_cndmask_b32_e64 v3, v3, v4, s[4:5]
	v_subrev_u32_e32 v4, s50, v3
	v_cmp_le_u32_e64 s[4:5], s50, v3
	v_cndmask_b32_e64 v3, v3, v4, s[4:5]
	v_xor_b32_e32 v3, v3, v2
	v_sub_u32_e32 v2, v3, v2
	v_cmp_ne_u32_e64 s[4:5], 0, v2
	s_and_b64 s[4:5], s[4:5], s[6:7]
	s_and_saveexec_b64 s[6:7], s[4:5]
	s_xor_b64 s[4:5], exec, s[6:7]
	s_cbranch_execz .LBB198_17
; %bb.14:                               ;   in Loop: Header=BB198_13 Depth=1
	s_and_saveexec_b64 s[6:7], vcc
; %bb.15:                               ;   in Loop: Header=BB198_13 Depth=1
	v_mov_b32_e32 v1, 0xff7fffff
	ds_write_b32 v19, v1
; %bb.16:                               ;   in Loop: Header=BB198_13 Depth=1
	s_or_b64 exec, exec, s[6:7]
.LBB198_17:                             ;   in Loop: Header=BB198_13 Depth=1
	s_andn2_saveexec_b64 s[6:7], s[4:5]
	s_cbranch_execz .LBB198_12
; %bb.18:                               ;   in Loop: Header=BB198_13 Depth=1
	global_load_dword v1, v[21:22], off
	buffer_load_dword v2, off, s[56:59], 0 offset:12 ; 4-byte Folded Reload
	buffer_load_dword v3, off, s[56:59], 0 offset:16 ; 4-byte Folded Reload
	v_mov_b32_e32 v27, 0
	v_mov_b32_e32 v28, 0
	s_waitcnt vmcnt(0)
	v_mad_i64_i32 v[33:34], s[4:5], v1, s51, v[2:3]
	v_mov_b32_e32 v2, 0
	v_mov_b32_e32 v3, 0
	global_load_ushort v1, v[33:34], off
	ds_read_b128 v[13:16], v62
	ds_read_b128 v[5:8], v62 offset:16
	s_load_dword s55, s[12:13], 0x0
	buffer_store_dword v2, off, s[56:59], 0 ; 4-byte Folded Spill
	s_nop 0
	buffer_store_dword v3, off, s[56:59], 0 offset:4 ; 4-byte Folded Spill
	s_waitcnt vmcnt(2)
	v_and_b32_e32 v29, 0xffff, v1
	v_cmp_ne_u16_sdwa s[4:5], v1, v17 src0_sel:BYTE_0 src1_sel:DWORD
	ds_read_b128 v[9:12], v62 offset:32
	ds_read_b128 v[1:4], v62 offset:48
	s_and_saveexec_b64 s[40:41], s[4:5]
	s_cbranch_execz .LBB198_24
; %bb.19:                               ;   in Loop: Header=BB198_13 Depth=1
	v_bfrev_b32_e32 v25, 1
	v_mov_b32_e32 v26, 0
	v_cmp_ne_u16_sdwa s[4:5], v29, s52 src0_sel:BYTE_0 src1_sel:DWORD
	buffer_store_dword v25, off, s[56:59], 0 ; 4-byte Folded Spill
	s_nop 0
	buffer_store_dword v26, off, s[56:59], 0 offset:4 ; 4-byte Folded Spill
	s_and_saveexec_b64 s[42:43], s[4:5]
	s_cbranch_execz .LBB198_23
; %bb.20:                               ;   in Loop: Header=BB198_13 Depth=1
	v_and_b32_e32 v23, 0x7f, v29
	v_mov_b32_e32 v25, 0x7f800001
	v_mov_b32_e32 v26, 0
	v_cmp_ne_u32_e64 s[4:5], s53, v23
	buffer_store_dword v25, off, s[56:59], 0 ; 4-byte Folded Spill
	s_nop 0
	buffer_store_dword v26, off, s[56:59], 0 offset:4 ; 4-byte Folded Spill
	s_and_saveexec_b64 s[44:45], s[4:5]
	s_cbranch_execz .LBB198_22
; %bb.21:                               ;   in Loop: Header=BB198_13 Depth=1
	v_and_b32_e32 v20, 7, v29
	v_ffbh_u32_e32 v25, v20
	v_min_u32_e32 v31, 32, v25
	v_lshrrev_b32_e32 v30, 3, v23
	v_subrev_u32_e32 v25, 28, v31
	v_lshlrev_b64 v[25:26], v25, v[29:30]
	v_sub_u32_e32 v26, 29, v31
	v_and_b32_e32 v25, 7, v25
	v_cmp_gt_u32_e64 s[4:5], 8, v23
	v_cndmask_b32_e64 v23, v30, v26, s[4:5]
	v_cndmask_b32_e64 v20, v20, v25, s[4:5]
	v_bfrev_b32_e32 v26, 60
	v_lshlrev_b32_e32 v20, 20, v20
	v_and_b32_sdwa v25, sext(v29), s54 dst_sel:DWORD dst_unused:UNUSED_PAD src0_sel:BYTE_0 src1_sel:DWORD
	v_lshl_add_u32 v23, v23, 23, v26
	v_or3_b32 v25, v25, v23, v20
	v_mov_b32_e32 v26, v17
	buffer_store_dword v25, off, s[56:59], 0 ; 4-byte Folded Spill
	s_nop 0
	buffer_store_dword v26, off, s[56:59], 0 offset:4 ; 4-byte Folded Spill
.LBB198_22:                             ;   in Loop: Header=BB198_13 Depth=1
	s_or_b64 exec, exec, s[44:45]
.LBB198_23:                             ;   in Loop: Header=BB198_13 Depth=1
	s_or_b64 exec, exec, s[42:43]
.LBB198_24:                             ;   in Loop: Header=BB198_13 Depth=1
	s_or_b64 exec, exec, s[40:41]
	v_cmp_ne_u16_sdwa s[4:5], v29, v17 src0_sel:BYTE_1 src1_sel:DWORD
	s_and_saveexec_b64 s[40:41], s[4:5]
	s_cbranch_execz .LBB198_30
; %bb.25:                               ;   in Loop: Header=BB198_13 Depth=1
	v_mov_b32_e32 v28, v18
	v_cmp_ne_u16_sdwa s[4:5], v29, s52 src0_sel:BYTE_1 src1_sel:DWORD
	v_mov_b32_e32 v27, v17
	s_and_saveexec_b64 s[42:43], s[4:5]
	s_cbranch_execz .LBB198_29
; %bb.26:                               ;   in Loop: Header=BB198_13 Depth=1
	v_and_b32_sdwa v30, v29, s53 dst_sel:DWORD dst_unused:UNUSED_PAD src0_sel:BYTE_1 src1_sel:DWORD
	v_mov_b32_e32 v23, v17
	v_mov_b32_e32 v28, v24
	v_cmp_ne_u32_e64 s[4:5], s53, v30
	v_mov_b32_e32 v27, v23
	s_and_saveexec_b64 s[44:45], s[4:5]
	s_cbranch_execz .LBB198_28
; %bb.27:                               ;   in Loop: Header=BB198_13 Depth=1
	v_mov_b32_e32 v20, 7
	v_and_b32_sdwa v27, v29, v20 dst_sel:DWORD dst_unused:UNUSED_PAD src0_sel:BYTE_1 src1_sel:DWORD
	v_ffbh_u32_e32 v23, v27
	v_min_u32_e32 v23, 32, v23
	v_mov_b32_e32 v28, v17
	v_subrev_u32_e32 v31, 28, v23
	v_lshlrev_b64 v[31:32], v31, v[27:28]
	v_lshrrev_b32_e32 v20, 3, v30
	v_sub_u32_e32 v23, 29, v23
	v_cmp_gt_u32_e64 s[4:5], 8, v30
	v_and_b32_e32 v28, 7, v31
	v_cndmask_b32_e64 v20, v20, v23, s[4:5]
	v_bfrev_b32_e32 v25, 60
	v_cndmask_b32_e64 v23, v27, v28, s[4:5]
	v_lshlrev_b32_e32 v27, 16, v29
	v_lshl_add_u32 v20, v20, 23, v25
	v_and_or_b32 v20, v27, s54, v20
	v_lshlrev_b32_e32 v23, 20, v23
	v_or_b32_e32 v28, v20, v23
	v_mov_b32_e32 v27, v17
.LBB198_28:                             ;   in Loop: Header=BB198_13 Depth=1
	s_or_b64 exec, exec, s[44:45]
.LBB198_29:                             ;   in Loop: Header=BB198_13 Depth=1
	s_or_b64 exec, exec, s[42:43]
.LBB198_30:                             ;   in Loop: Header=BB198_13 Depth=1
	s_or_b64 exec, exec, s[40:41]
	global_load_ushort v20, v[33:34], off offset:4
	v_mov_b32_e32 v31, 0
	v_mov_b32_e32 v29, 0
	;; [unrolled: 1-line block ×4, first 2 shown]
	s_waitcnt vmcnt(0)
	v_and_b32_e32 v35, 0xffff, v20
	v_cmp_ne_u16_sdwa s[4:5], v20, v17 src0_sel:BYTE_0 src1_sel:DWORD
	s_and_saveexec_b64 s[40:41], s[4:5]
	s_cbranch_execz .LBB198_36
; %bb.31:                               ;   in Loop: Header=BB198_13 Depth=1
	v_bfrev_b32_e32 v29, 1
	v_mov_b32_e32 v30, 0
	v_cmp_ne_u16_sdwa s[4:5], v35, s52 src0_sel:BYTE_0 src1_sel:DWORD
	s_and_saveexec_b64 s[42:43], s[4:5]
	s_cbranch_execz .LBB198_35
; %bb.32:                               ;   in Loop: Header=BB198_13 Depth=1
	v_and_b32_e32 v23, 0x7f, v35
	v_mov_b32_e32 v29, 0x7f800001
	v_mov_b32_e32 v30, 0
	v_cmp_ne_u32_e64 s[4:5], s53, v23
	s_and_saveexec_b64 s[44:45], s[4:5]
	s_cbranch_execz .LBB198_34
; %bb.33:                               ;   in Loop: Header=BB198_13 Depth=1
	v_and_b32_e32 v20, 7, v35
	v_ffbh_u32_e32 v29, v20
	v_min_u32_e32 v37, 32, v29
	v_lshrrev_b32_e32 v36, 3, v23
	v_subrev_u32_e32 v29, 28, v37
	v_lshlrev_b64 v[29:30], v29, v[35:36]
	v_sub_u32_e32 v30, 29, v37
	v_and_b32_e32 v29, 7, v29
	v_cmp_gt_u32_e64 s[4:5], 8, v23
	v_cndmask_b32_e64 v23, v36, v30, s[4:5]
	v_cndmask_b32_e64 v20, v20, v29, s[4:5]
	v_bfrev_b32_e32 v25, 60
	v_lshlrev_b32_e32 v20, 20, v20
	v_and_b32_sdwa v29, sext(v35), s54 dst_sel:DWORD dst_unused:UNUSED_PAD src0_sel:BYTE_0 src1_sel:DWORD
	v_lshl_add_u32 v23, v23, 23, v25
	v_or3_b32 v29, v29, v23, v20
	v_mov_b32_e32 v30, v17
.LBB198_34:                             ;   in Loop: Header=BB198_13 Depth=1
	s_or_b64 exec, exec, s[44:45]
.LBB198_35:                             ;   in Loop: Header=BB198_13 Depth=1
	s_or_b64 exec, exec, s[42:43]
.LBB198_36:                             ;   in Loop: Header=BB198_13 Depth=1
	s_or_b64 exec, exec, s[40:41]
	v_cmp_ne_u16_sdwa s[4:5], v35, v17 src0_sel:BYTE_1 src1_sel:DWORD
	s_and_saveexec_b64 s[40:41], s[4:5]
	s_cbranch_execz .LBB198_42
; %bb.37:                               ;   in Loop: Header=BB198_13 Depth=1
	v_mov_b32_e32 v32, v18
	v_cmp_ne_u16_sdwa s[4:5], v35, s52 src0_sel:BYTE_1 src1_sel:DWORD
	v_mov_b32_e32 v31, v17
	s_and_saveexec_b64 s[42:43], s[4:5]
	s_cbranch_execz .LBB198_41
; %bb.38:                               ;   in Loop: Header=BB198_13 Depth=1
	v_and_b32_sdwa v36, v35, s53 dst_sel:DWORD dst_unused:UNUSED_PAD src0_sel:BYTE_1 src1_sel:DWORD
	v_mov_b32_e32 v23, v17
	v_mov_b32_e32 v32, v24
	v_cmp_ne_u32_e64 s[4:5], s53, v36
	v_mov_b32_e32 v31, v23
	s_and_saveexec_b64 s[44:45], s[4:5]
	s_cbranch_execz .LBB198_40
; %bb.39:                               ;   in Loop: Header=BB198_13 Depth=1
	v_mov_b32_e32 v20, 7
	v_and_b32_sdwa v31, v35, v20 dst_sel:DWORD dst_unused:UNUSED_PAD src0_sel:BYTE_1 src1_sel:DWORD
	v_ffbh_u32_e32 v23, v31
	v_min_u32_e32 v23, 32, v23
	v_mov_b32_e32 v32, v17
	v_subrev_u32_e32 v37, 28, v23
	v_lshlrev_b64 v[37:38], v37, v[31:32]
	v_lshrrev_b32_e32 v20, 3, v36
	v_sub_u32_e32 v23, 29, v23
	v_cmp_gt_u32_e64 s[4:5], 8, v36
	v_and_b32_e32 v32, 7, v37
	v_cndmask_b32_e64 v20, v20, v23, s[4:5]
	v_bfrev_b32_e32 v25, 60
	v_cndmask_b32_e64 v23, v31, v32, s[4:5]
	v_lshlrev_b32_e32 v31, 16, v35
	v_lshl_add_u32 v20, v20, 23, v25
	v_and_or_b32 v20, v31, s54, v20
	v_lshlrev_b32_e32 v23, 20, v23
	v_or_b32_e32 v32, v20, v23
	v_mov_b32_e32 v31, v17
.LBB198_40:                             ;   in Loop: Header=BB198_13 Depth=1
	s_or_b64 exec, exec, s[44:45]
.LBB198_41:                             ;   in Loop: Header=BB198_13 Depth=1
	s_or_b64 exec, exec, s[42:43]
.LBB198_42:                             ;   in Loop: Header=BB198_13 Depth=1
	s_or_b64 exec, exec, s[40:41]
	global_load_ushort v20, v[33:34], off offset:8
	v_mov_b32_e32 v37, 0
	v_mov_b32_e32 v35, 0
	;; [unrolled: 1-line block ×4, first 2 shown]
	s_waitcnt vmcnt(0)
	v_and_b32_e32 v39, 0xffff, v20
	v_cmp_ne_u16_sdwa s[4:5], v20, v17 src0_sel:BYTE_0 src1_sel:DWORD
	s_and_saveexec_b64 s[40:41], s[4:5]
	s_cbranch_execz .LBB198_48
; %bb.43:                               ;   in Loop: Header=BB198_13 Depth=1
	v_bfrev_b32_e32 v35, 1
	v_mov_b32_e32 v36, 0
	v_cmp_ne_u16_sdwa s[4:5], v39, s52 src0_sel:BYTE_0 src1_sel:DWORD
	s_and_saveexec_b64 s[42:43], s[4:5]
	s_cbranch_execz .LBB198_47
; %bb.44:                               ;   in Loop: Header=BB198_13 Depth=1
	v_and_b32_e32 v23, 0x7f, v39
	v_mov_b32_e32 v35, 0x7f800001
	v_mov_b32_e32 v36, 0
	v_cmp_ne_u32_e64 s[4:5], s53, v23
	s_and_saveexec_b64 s[44:45], s[4:5]
	s_cbranch_execz .LBB198_46
; %bb.45:                               ;   in Loop: Header=BB198_13 Depth=1
	v_and_b32_e32 v20, 7, v39
	v_ffbh_u32_e32 v35, v20
	v_min_u32_e32 v41, 32, v35
	v_lshrrev_b32_e32 v40, 3, v23
	v_subrev_u32_e32 v35, 28, v41
	v_lshlrev_b64 v[35:36], v35, v[39:40]
	v_sub_u32_e32 v36, 29, v41
	v_and_b32_e32 v35, 7, v35
	v_cmp_gt_u32_e64 s[4:5], 8, v23
	v_cndmask_b32_e64 v23, v40, v36, s[4:5]
	v_cndmask_b32_e64 v20, v20, v35, s[4:5]
	v_bfrev_b32_e32 v25, 60
	v_lshlrev_b32_e32 v20, 20, v20
	v_and_b32_sdwa v35, sext(v39), s54 dst_sel:DWORD dst_unused:UNUSED_PAD src0_sel:BYTE_0 src1_sel:DWORD
	v_lshl_add_u32 v23, v23, 23, v25
	v_or3_b32 v35, v35, v23, v20
	v_mov_b32_e32 v36, v17
.LBB198_46:                             ;   in Loop: Header=BB198_13 Depth=1
	s_or_b64 exec, exec, s[44:45]
.LBB198_47:                             ;   in Loop: Header=BB198_13 Depth=1
	s_or_b64 exec, exec, s[42:43]
.LBB198_48:                             ;   in Loop: Header=BB198_13 Depth=1
	s_or_b64 exec, exec, s[40:41]
	v_cmp_ne_u16_sdwa s[4:5], v39, v17 src0_sel:BYTE_1 src1_sel:DWORD
	s_and_saveexec_b64 s[40:41], s[4:5]
	s_cbranch_execz .LBB198_54
; %bb.49:                               ;   in Loop: Header=BB198_13 Depth=1
	v_mov_b32_e32 v38, v18
	v_cmp_ne_u16_sdwa s[4:5], v39, s52 src0_sel:BYTE_1 src1_sel:DWORD
	v_mov_b32_e32 v37, v17
	s_and_saveexec_b64 s[42:43], s[4:5]
	s_cbranch_execz .LBB198_53
; %bb.50:                               ;   in Loop: Header=BB198_13 Depth=1
	v_and_b32_sdwa v40, v39, s53 dst_sel:DWORD dst_unused:UNUSED_PAD src0_sel:BYTE_1 src1_sel:DWORD
	v_mov_b32_e32 v23, v17
	v_mov_b32_e32 v38, v24
	v_cmp_ne_u32_e64 s[4:5], s53, v40
	v_mov_b32_e32 v37, v23
	s_and_saveexec_b64 s[44:45], s[4:5]
	s_cbranch_execz .LBB198_52
; %bb.51:                               ;   in Loop: Header=BB198_13 Depth=1
	v_mov_b32_e32 v20, 7
	v_and_b32_sdwa v37, v39, v20 dst_sel:DWORD dst_unused:UNUSED_PAD src0_sel:BYTE_1 src1_sel:DWORD
	v_ffbh_u32_e32 v23, v37
	v_min_u32_e32 v23, 32, v23
	v_mov_b32_e32 v38, v17
	v_subrev_u32_e32 v41, 28, v23
	v_lshlrev_b64 v[41:42], v41, v[37:38]
	v_lshrrev_b32_e32 v20, 3, v40
	v_sub_u32_e32 v23, 29, v23
	v_cmp_gt_u32_e64 s[4:5], 8, v40
	v_and_b32_e32 v38, 7, v41
	v_cndmask_b32_e64 v20, v20, v23, s[4:5]
	v_bfrev_b32_e32 v25, 60
	v_cndmask_b32_e64 v23, v37, v38, s[4:5]
	v_lshlrev_b32_e32 v37, 16, v39
	v_lshl_add_u32 v20, v20, 23, v25
	v_and_or_b32 v20, v37, s54, v20
	v_lshlrev_b32_e32 v23, 20, v23
	v_or_b32_e32 v38, v20, v23
	v_mov_b32_e32 v37, v17
.LBB198_52:                             ;   in Loop: Header=BB198_13 Depth=1
	s_or_b64 exec, exec, s[44:45]
.LBB198_53:                             ;   in Loop: Header=BB198_13 Depth=1
	s_or_b64 exec, exec, s[42:43]
.LBB198_54:                             ;   in Loop: Header=BB198_13 Depth=1
	s_or_b64 exec, exec, s[40:41]
	global_load_ushort v20, v[33:34], off offset:12
	v_mov_b32_e32 v41, 0
	v_mov_b32_e32 v39, 0
	;; [unrolled: 1-line block ×4, first 2 shown]
	s_waitcnt vmcnt(0)
	v_and_b32_e32 v43, 0xffff, v20
	v_cmp_ne_u16_sdwa s[4:5], v20, v17 src0_sel:BYTE_0 src1_sel:DWORD
	s_and_saveexec_b64 s[40:41], s[4:5]
	s_cbranch_execz .LBB198_60
; %bb.55:                               ;   in Loop: Header=BB198_13 Depth=1
	v_bfrev_b32_e32 v39, 1
	v_mov_b32_e32 v40, 0
	v_cmp_ne_u16_sdwa s[4:5], v43, s52 src0_sel:BYTE_0 src1_sel:DWORD
	s_and_saveexec_b64 s[42:43], s[4:5]
	s_cbranch_execz .LBB198_59
; %bb.56:                               ;   in Loop: Header=BB198_13 Depth=1
	v_and_b32_e32 v20, 0x7f, v43
	v_mov_b32_e32 v39, 0x7f800001
	v_mov_b32_e32 v40, 0
	v_cmp_ne_u32_e64 s[4:5], s53, v20
	s_and_saveexec_b64 s[44:45], s[4:5]
	s_cbranch_execz .LBB198_58
; %bb.57:                               ;   in Loop: Header=BB198_13 Depth=1
	v_and_b32_e32 v23, 7, v43
	v_lshrrev_b32_e32 v44, 3, v20
	v_cmp_gt_u32_e64 s[4:5], 8, v20
	v_ffbh_u32_e32 v20, v23
	v_min_u32_e32 v20, 32, v20
	v_subrev_u32_e32 v39, 28, v20
	v_lshlrev_b64 v[39:40], v39, v[43:44]
	v_sub_u32_e32 v20, 29, v20
	v_and_b32_e32 v39, 7, v39
	v_cndmask_b32_e64 v20, v44, v20, s[4:5]
	v_cndmask_b32_e64 v23, v23, v39, s[4:5]
	v_bfrev_b32_e32 v25, 60
	v_lshlrev_b32_e32 v23, 20, v23
	v_and_b32_sdwa v39, sext(v43), s54 dst_sel:DWORD dst_unused:UNUSED_PAD src0_sel:BYTE_0 src1_sel:DWORD
	v_lshl_add_u32 v20, v20, 23, v25
	v_or3_b32 v39, v39, v20, v23
	v_mov_b32_e32 v40, v17
.LBB198_58:                             ;   in Loop: Header=BB198_13 Depth=1
	s_or_b64 exec, exec, s[44:45]
.LBB198_59:                             ;   in Loop: Header=BB198_13 Depth=1
	s_or_b64 exec, exec, s[42:43]
.LBB198_60:                             ;   in Loop: Header=BB198_13 Depth=1
	s_or_b64 exec, exec, s[40:41]
	v_cmp_ne_u16_sdwa s[4:5], v43, v17 src0_sel:BYTE_1 src1_sel:DWORD
	s_and_saveexec_b64 s[40:41], s[4:5]
	s_cbranch_execz .LBB198_66
; %bb.61:                               ;   in Loop: Header=BB198_13 Depth=1
	v_mov_b32_e32 v42, v18
	v_cmp_ne_u16_sdwa s[4:5], v43, s52 src0_sel:BYTE_1 src1_sel:DWORD
	v_mov_b32_e32 v41, v17
	s_and_saveexec_b64 s[42:43], s[4:5]
	s_cbranch_execz .LBB198_65
; %bb.62:                               ;   in Loop: Header=BB198_13 Depth=1
	v_and_b32_sdwa v44, v43, s53 dst_sel:DWORD dst_unused:UNUSED_PAD src0_sel:BYTE_1 src1_sel:DWORD
	v_mov_b32_e32 v23, v17
	v_mov_b32_e32 v42, v24
	v_cmp_ne_u32_e64 s[4:5], s53, v44
	v_mov_b32_e32 v41, v23
	s_and_saveexec_b64 s[44:45], s[4:5]
	s_cbranch_execz .LBB198_64
; %bb.63:                               ;   in Loop: Header=BB198_13 Depth=1
	v_mov_b32_e32 v20, 7
	v_and_b32_sdwa v41, v43, v20 dst_sel:DWORD dst_unused:UNUSED_PAD src0_sel:BYTE_1 src1_sel:DWORD
	v_ffbh_u32_e32 v23, v41
	v_min_u32_e32 v23, 32, v23
	v_mov_b32_e32 v42, v17
	v_lshrrev_b32_e32 v20, 3, v44
	v_cmp_gt_u32_e64 s[4:5], 8, v44
	v_subrev_u32_e32 v44, 28, v23
	v_lshlrev_b64 v[44:45], v44, v[41:42]
	v_sub_u32_e32 v23, 29, v23
	v_and_b32_e32 v42, 7, v44
	v_cndmask_b32_e64 v20, v20, v23, s[4:5]
	v_bfrev_b32_e32 v25, 60
	v_cndmask_b32_e64 v23, v41, v42, s[4:5]
	v_lshlrev_b32_e32 v41, 16, v43
	v_lshl_add_u32 v20, v20, 23, v25
	v_and_or_b32 v20, v41, s54, v20
	v_lshlrev_b32_e32 v23, 20, v23
	v_or_b32_e32 v42, v20, v23
	v_mov_b32_e32 v41, v17
.LBB198_64:                             ;   in Loop: Header=BB198_13 Depth=1
	s_or_b64 exec, exec, s[44:45]
.LBB198_65:                             ;   in Loop: Header=BB198_13 Depth=1
	s_or_b64 exec, exec, s[42:43]
.LBB198_66:                             ;   in Loop: Header=BB198_13 Depth=1
	s_or_b64 exec, exec, s[40:41]
	global_load_ushort v20, v[33:34], off offset:512
	v_mov_b32_e32 v45, 0
	v_mov_b32_e32 v43, 0
	;; [unrolled: 1-line block ×4, first 2 shown]
	s_waitcnt vmcnt(0)
	v_and_b32_e32 v47, 0xffff, v20
	v_cmp_ne_u16_sdwa s[4:5], v20, v17 src0_sel:BYTE_0 src1_sel:DWORD
	s_and_saveexec_b64 s[40:41], s[4:5]
	s_cbranch_execz .LBB198_72
; %bb.67:                               ;   in Loop: Header=BB198_13 Depth=1
	v_bfrev_b32_e32 v43, 1
	v_mov_b32_e32 v44, 0
	v_cmp_ne_u16_sdwa s[4:5], v47, s52 src0_sel:BYTE_0 src1_sel:DWORD
	s_and_saveexec_b64 s[42:43], s[4:5]
	s_cbranch_execz .LBB198_71
; %bb.68:                               ;   in Loop: Header=BB198_13 Depth=1
	v_and_b32_e32 v20, 0x7f, v47
	v_mov_b32_e32 v43, 0x7f800001
	v_mov_b32_e32 v44, 0
	v_cmp_ne_u32_e64 s[4:5], s53, v20
	s_and_saveexec_b64 s[44:45], s[4:5]
	s_cbranch_execz .LBB198_70
; %bb.69:                               ;   in Loop: Header=BB198_13 Depth=1
	v_and_b32_e32 v23, 7, v47
	v_lshrrev_b32_e32 v48, 3, v20
	v_cmp_gt_u32_e64 s[4:5], 8, v20
	v_ffbh_u32_e32 v20, v23
	v_min_u32_e32 v20, 32, v20
	v_subrev_u32_e32 v43, 28, v20
	v_lshlrev_b64 v[43:44], v43, v[47:48]
	v_sub_u32_e32 v20, 29, v20
	v_and_b32_e32 v43, 7, v43
	v_cndmask_b32_e64 v20, v48, v20, s[4:5]
	v_cndmask_b32_e64 v23, v23, v43, s[4:5]
	v_bfrev_b32_e32 v25, 60
	v_lshlrev_b32_e32 v23, 20, v23
	v_and_b32_sdwa v43, sext(v47), s54 dst_sel:DWORD dst_unused:UNUSED_PAD src0_sel:BYTE_0 src1_sel:DWORD
	v_lshl_add_u32 v20, v20, 23, v25
	v_or3_b32 v43, v43, v20, v23
	v_mov_b32_e32 v44, v17
.LBB198_70:                             ;   in Loop: Header=BB198_13 Depth=1
	s_or_b64 exec, exec, s[44:45]
.LBB198_71:                             ;   in Loop: Header=BB198_13 Depth=1
	s_or_b64 exec, exec, s[42:43]
.LBB198_72:                             ;   in Loop: Header=BB198_13 Depth=1
	s_or_b64 exec, exec, s[40:41]
	v_cmp_ne_u16_sdwa s[4:5], v47, v17 src0_sel:BYTE_1 src1_sel:DWORD
	s_and_saveexec_b64 s[40:41], s[4:5]
	s_cbranch_execz .LBB198_78
; %bb.73:                               ;   in Loop: Header=BB198_13 Depth=1
	v_mov_b32_e32 v46, v18
	v_cmp_ne_u16_sdwa s[4:5], v47, s52 src0_sel:BYTE_1 src1_sel:DWORD
	v_mov_b32_e32 v45, v17
	s_and_saveexec_b64 s[42:43], s[4:5]
	s_cbranch_execz .LBB198_77
; %bb.74:                               ;   in Loop: Header=BB198_13 Depth=1
	v_and_b32_sdwa v48, v47, s53 dst_sel:DWORD dst_unused:UNUSED_PAD src0_sel:BYTE_1 src1_sel:DWORD
	v_mov_b32_e32 v23, v17
	v_mov_b32_e32 v46, v24
	v_cmp_ne_u32_e64 s[4:5], s53, v48
	v_mov_b32_e32 v45, v23
	s_and_saveexec_b64 s[44:45], s[4:5]
	s_cbranch_execz .LBB198_76
; %bb.75:                               ;   in Loop: Header=BB198_13 Depth=1
	v_mov_b32_e32 v20, 7
	v_and_b32_sdwa v45, v47, v20 dst_sel:DWORD dst_unused:UNUSED_PAD src0_sel:BYTE_1 src1_sel:DWORD
	v_ffbh_u32_e32 v23, v45
	v_min_u32_e32 v23, 32, v23
	v_mov_b32_e32 v46, v17
	v_lshrrev_b32_e32 v20, 3, v48
	v_cmp_gt_u32_e64 s[4:5], 8, v48
	v_subrev_u32_e32 v48, 28, v23
	v_lshlrev_b64 v[48:49], v48, v[45:46]
	v_sub_u32_e32 v23, 29, v23
	v_and_b32_e32 v46, 7, v48
	v_cndmask_b32_e64 v20, v20, v23, s[4:5]
	v_bfrev_b32_e32 v25, 60
	v_cndmask_b32_e64 v23, v45, v46, s[4:5]
	v_lshlrev_b32_e32 v45, 16, v47
	v_lshl_add_u32 v20, v20, 23, v25
	v_and_or_b32 v20, v45, s54, v20
	v_lshlrev_b32_e32 v23, 20, v23
	v_or_b32_e32 v46, v20, v23
	v_mov_b32_e32 v45, v17
.LBB198_76:                             ;   in Loop: Header=BB198_13 Depth=1
	s_or_b64 exec, exec, s[44:45]
.LBB198_77:                             ;   in Loop: Header=BB198_13 Depth=1
	s_or_b64 exec, exec, s[42:43]
.LBB198_78:                             ;   in Loop: Header=BB198_13 Depth=1
	s_or_b64 exec, exec, s[40:41]
	global_load_ushort v20, v[33:34], off offset:516
	v_mov_b32_e32 v49, 0
	v_mov_b32_e32 v47, 0
	;; [unrolled: 1-line block ×4, first 2 shown]
	s_waitcnt vmcnt(0)
	v_and_b32_e32 v51, 0xffff, v20
	v_cmp_ne_u16_sdwa s[4:5], v20, v17 src0_sel:BYTE_0 src1_sel:DWORD
	s_and_saveexec_b64 s[40:41], s[4:5]
	s_cbranch_execz .LBB198_84
; %bb.79:                               ;   in Loop: Header=BB198_13 Depth=1
	v_bfrev_b32_e32 v47, 1
	v_mov_b32_e32 v48, 0
	v_cmp_ne_u16_sdwa s[4:5], v51, s52 src0_sel:BYTE_0 src1_sel:DWORD
	s_and_saveexec_b64 s[42:43], s[4:5]
	s_cbranch_execz .LBB198_83
; %bb.80:                               ;   in Loop: Header=BB198_13 Depth=1
	v_and_b32_e32 v20, 0x7f, v51
	v_mov_b32_e32 v47, 0x7f800001
	v_mov_b32_e32 v48, 0
	v_cmp_ne_u32_e64 s[4:5], s53, v20
	s_and_saveexec_b64 s[44:45], s[4:5]
	s_cbranch_execz .LBB198_82
; %bb.81:                               ;   in Loop: Header=BB198_13 Depth=1
	v_and_b32_e32 v23, 7, v51
	v_lshrrev_b32_e32 v52, 3, v20
	v_cmp_gt_u32_e64 s[4:5], 8, v20
	v_ffbh_u32_e32 v20, v23
	v_min_u32_e32 v20, 32, v20
	v_subrev_u32_e32 v47, 28, v20
	v_lshlrev_b64 v[47:48], v47, v[51:52]
	v_sub_u32_e32 v20, 29, v20
	v_and_b32_e32 v47, 7, v47
	v_cndmask_b32_e64 v20, v52, v20, s[4:5]
	v_cndmask_b32_e64 v23, v23, v47, s[4:5]
	v_bfrev_b32_e32 v25, 60
	v_lshlrev_b32_e32 v23, 20, v23
	v_and_b32_sdwa v47, sext(v51), s54 dst_sel:DWORD dst_unused:UNUSED_PAD src0_sel:BYTE_0 src1_sel:DWORD
	v_lshl_add_u32 v20, v20, 23, v25
	v_or3_b32 v47, v47, v20, v23
	v_mov_b32_e32 v48, v17
.LBB198_82:                             ;   in Loop: Header=BB198_13 Depth=1
	s_or_b64 exec, exec, s[44:45]
.LBB198_83:                             ;   in Loop: Header=BB198_13 Depth=1
	s_or_b64 exec, exec, s[42:43]
.LBB198_84:                             ;   in Loop: Header=BB198_13 Depth=1
	s_or_b64 exec, exec, s[40:41]
	v_cmp_ne_u16_sdwa s[4:5], v51, v17 src0_sel:BYTE_1 src1_sel:DWORD
	s_and_saveexec_b64 s[40:41], s[4:5]
	s_cbranch_execz .LBB198_90
; %bb.85:                               ;   in Loop: Header=BB198_13 Depth=1
	v_mov_b32_e32 v50, v18
	v_cmp_ne_u16_sdwa s[4:5], v51, s52 src0_sel:BYTE_1 src1_sel:DWORD
	v_mov_b32_e32 v49, v17
	s_and_saveexec_b64 s[42:43], s[4:5]
	s_cbranch_execz .LBB198_89
; %bb.86:                               ;   in Loop: Header=BB198_13 Depth=1
	v_and_b32_sdwa v52, v51, s53 dst_sel:DWORD dst_unused:UNUSED_PAD src0_sel:BYTE_1 src1_sel:DWORD
	v_mov_b32_e32 v23, v17
	v_mov_b32_e32 v50, v24
	v_cmp_ne_u32_e64 s[4:5], s53, v52
	v_mov_b32_e32 v49, v23
	s_and_saveexec_b64 s[44:45], s[4:5]
	s_cbranch_execz .LBB198_88
; %bb.87:                               ;   in Loop: Header=BB198_13 Depth=1
	v_mov_b32_e32 v20, 7
	v_and_b32_sdwa v49, v51, v20 dst_sel:DWORD dst_unused:UNUSED_PAD src0_sel:BYTE_1 src1_sel:DWORD
	v_ffbh_u32_e32 v23, v49
	v_min_u32_e32 v23, 32, v23
	v_mov_b32_e32 v50, v17
	v_lshrrev_b32_e32 v20, 3, v52
	v_cmp_gt_u32_e64 s[4:5], 8, v52
	v_subrev_u32_e32 v52, 28, v23
	v_lshlrev_b64 v[52:53], v52, v[49:50]
	v_sub_u32_e32 v23, 29, v23
	v_and_b32_e32 v50, 7, v52
	v_cndmask_b32_e64 v20, v20, v23, s[4:5]
	v_bfrev_b32_e32 v25, 60
	v_cndmask_b32_e64 v23, v49, v50, s[4:5]
	v_lshlrev_b32_e32 v49, 16, v51
	v_lshl_add_u32 v20, v20, 23, v25
	v_and_or_b32 v20, v49, s54, v20
	v_lshlrev_b32_e32 v23, 20, v23
	v_or_b32_e32 v50, v20, v23
	v_mov_b32_e32 v49, v17
.LBB198_88:                             ;   in Loop: Header=BB198_13 Depth=1
	s_or_b64 exec, exec, s[44:45]
.LBB198_89:                             ;   in Loop: Header=BB198_13 Depth=1
	s_or_b64 exec, exec, s[42:43]
.LBB198_90:                             ;   in Loop: Header=BB198_13 Depth=1
	s_or_b64 exec, exec, s[40:41]
	global_load_ushort v20, v[33:34], off offset:520
	v_mov_b32_e32 v53, 0
	v_mov_b32_e32 v51, 0
	;; [unrolled: 1-line block ×4, first 2 shown]
	s_waitcnt vmcnt(0)
	v_and_b32_e32 v55, 0xffff, v20
	v_cmp_ne_u16_sdwa s[4:5], v20, v17 src0_sel:BYTE_0 src1_sel:DWORD
	s_and_saveexec_b64 s[40:41], s[4:5]
	s_cbranch_execz .LBB198_96
; %bb.91:                               ;   in Loop: Header=BB198_13 Depth=1
	v_bfrev_b32_e32 v51, 1
	v_mov_b32_e32 v52, 0
	v_cmp_ne_u16_sdwa s[4:5], v55, s52 src0_sel:BYTE_0 src1_sel:DWORD
	s_and_saveexec_b64 s[42:43], s[4:5]
	s_cbranch_execz .LBB198_95
; %bb.92:                               ;   in Loop: Header=BB198_13 Depth=1
	v_and_b32_e32 v20, 0x7f, v55
	v_mov_b32_e32 v51, 0x7f800001
	v_mov_b32_e32 v52, 0
	v_cmp_ne_u32_e64 s[4:5], s53, v20
	s_and_saveexec_b64 s[44:45], s[4:5]
	s_cbranch_execz .LBB198_94
; %bb.93:                               ;   in Loop: Header=BB198_13 Depth=1
	v_and_b32_e32 v23, 7, v55
	v_lshrrev_b32_e32 v56, 3, v20
	v_cmp_gt_u32_e64 s[4:5], 8, v20
	v_ffbh_u32_e32 v20, v23
	v_min_u32_e32 v20, 32, v20
	v_subrev_u32_e32 v51, 28, v20
	v_lshlrev_b64 v[51:52], v51, v[55:56]
	v_sub_u32_e32 v20, 29, v20
	v_and_b32_e32 v51, 7, v51
	v_cndmask_b32_e64 v20, v56, v20, s[4:5]
	v_cndmask_b32_e64 v23, v23, v51, s[4:5]
	v_bfrev_b32_e32 v25, 60
	v_lshlrev_b32_e32 v23, 20, v23
	v_and_b32_sdwa v51, sext(v55), s54 dst_sel:DWORD dst_unused:UNUSED_PAD src0_sel:BYTE_0 src1_sel:DWORD
	v_lshl_add_u32 v20, v20, 23, v25
	v_or3_b32 v51, v51, v20, v23
	v_mov_b32_e32 v52, v17
.LBB198_94:                             ;   in Loop: Header=BB198_13 Depth=1
	s_or_b64 exec, exec, s[44:45]
.LBB198_95:                             ;   in Loop: Header=BB198_13 Depth=1
	s_or_b64 exec, exec, s[42:43]
.LBB198_96:                             ;   in Loop: Header=BB198_13 Depth=1
	s_or_b64 exec, exec, s[40:41]
	v_cmp_ne_u16_sdwa s[4:5], v55, v17 src0_sel:BYTE_1 src1_sel:DWORD
	s_and_saveexec_b64 s[40:41], s[4:5]
	s_cbranch_execz .LBB198_102
; %bb.97:                               ;   in Loop: Header=BB198_13 Depth=1
	v_mov_b32_e32 v54, v18
	v_cmp_ne_u16_sdwa s[4:5], v55, s52 src0_sel:BYTE_1 src1_sel:DWORD
	v_mov_b32_e32 v53, v17
	s_and_saveexec_b64 s[42:43], s[4:5]
	s_cbranch_execz .LBB198_101
; %bb.98:                               ;   in Loop: Header=BB198_13 Depth=1
	v_and_b32_sdwa v56, v55, s53 dst_sel:DWORD dst_unused:UNUSED_PAD src0_sel:BYTE_1 src1_sel:DWORD
	v_mov_b32_e32 v23, v17
	v_mov_b32_e32 v54, v24
	v_cmp_ne_u32_e64 s[4:5], s53, v56
	v_mov_b32_e32 v53, v23
	s_and_saveexec_b64 s[44:45], s[4:5]
	s_cbranch_execz .LBB198_100
; %bb.99:                               ;   in Loop: Header=BB198_13 Depth=1
	v_mov_b32_e32 v20, 7
	v_and_b32_sdwa v53, v55, v20 dst_sel:DWORD dst_unused:UNUSED_PAD src0_sel:BYTE_1 src1_sel:DWORD
	v_ffbh_u32_e32 v23, v53
	v_min_u32_e32 v23, 32, v23
	v_mov_b32_e32 v54, v17
	v_lshrrev_b32_e32 v20, 3, v56
	v_cmp_gt_u32_e64 s[4:5], 8, v56
	v_subrev_u32_e32 v56, 28, v23
	v_lshlrev_b64 v[56:57], v56, v[53:54]
	v_sub_u32_e32 v23, 29, v23
	v_and_b32_e32 v54, 7, v56
	v_cndmask_b32_e64 v20, v20, v23, s[4:5]
	v_bfrev_b32_e32 v25, 60
	v_cndmask_b32_e64 v23, v53, v54, s[4:5]
	v_lshlrev_b32_e32 v53, 16, v55
	v_lshl_add_u32 v20, v20, 23, v25
	v_and_or_b32 v20, v53, s54, v20
	v_lshlrev_b32_e32 v23, 20, v23
	v_or_b32_e32 v54, v20, v23
	v_mov_b32_e32 v53, v17
.LBB198_100:                            ;   in Loop: Header=BB198_13 Depth=1
	s_or_b64 exec, exec, s[44:45]
.LBB198_101:                            ;   in Loop: Header=BB198_13 Depth=1
	s_or_b64 exec, exec, s[42:43]
.LBB198_102:                            ;   in Loop: Header=BB198_13 Depth=1
	s_or_b64 exec, exec, s[40:41]
	global_load_ushort v20, v[33:34], off offset:524
	v_mov_b32_e32 v55, 0
	v_mov_b32_e32 v33, 0
	;; [unrolled: 1-line block ×4, first 2 shown]
	s_waitcnt vmcnt(0)
	v_and_b32_e32 v57, 0xffff, v20
	v_cmp_ne_u16_sdwa s[4:5], v20, v17 src0_sel:BYTE_0 src1_sel:DWORD
	s_and_saveexec_b64 s[40:41], s[4:5]
	s_cbranch_execz .LBB198_108
; %bb.103:                              ;   in Loop: Header=BB198_13 Depth=1
	v_bfrev_b32_e32 v33, 1
	v_mov_b32_e32 v34, 0
	v_cmp_ne_u16_sdwa s[4:5], v57, s52 src0_sel:BYTE_0 src1_sel:DWORD
	s_and_saveexec_b64 s[42:43], s[4:5]
	s_cbranch_execz .LBB198_107
; %bb.104:                              ;   in Loop: Header=BB198_13 Depth=1
	v_and_b32_e32 v20, 0x7f, v57
	v_mov_b32_e32 v33, 0x7f800001
	v_mov_b32_e32 v34, 0
	v_cmp_ne_u32_e64 s[4:5], s53, v20
	s_and_saveexec_b64 s[44:45], s[4:5]
	s_cbranch_execz .LBB198_106
; %bb.105:                              ;   in Loop: Header=BB198_13 Depth=1
	v_and_b32_e32 v23, 7, v57
	v_lshrrev_b32_e32 v60, 3, v20
	v_cmp_gt_u32_e64 s[4:5], 8, v20
	v_ffbh_u32_e32 v20, v23
	v_min_u32_e32 v20, 32, v20
	v_subrev_u32_e32 v33, 28, v20
	v_sub_u32_e32 v20, 29, v20
	v_cndmask_b32_e64 v20, v60, v20, s[4:5]
	buffer_load_dword v60, off, s[56:59], 0 offset:28 ; 4-byte Folded Reload
	v_lshlrev_b64 v[33:34], v33, v[57:58]
	v_bfrev_b32_e32 v25, 60
	v_and_b32_e32 v33, 7, v33
	v_cndmask_b32_e64 v23, v23, v33, s[4:5]
	v_lshlrev_b32_e32 v23, 20, v23
	v_and_b32_sdwa v33, sext(v57), s54 dst_sel:DWORD dst_unused:UNUSED_PAD src0_sel:BYTE_0 src1_sel:DWORD
	v_lshl_add_u32 v20, v20, 23, v25
	v_or3_b32 v33, v33, v20, v23
	v_mov_b32_e32 v34, v17
.LBB198_106:                            ;   in Loop: Header=BB198_13 Depth=1
	s_or_b64 exec, exec, s[44:45]
.LBB198_107:                            ;   in Loop: Header=BB198_13 Depth=1
	s_or_b64 exec, exec, s[42:43]
.LBB198_108:                            ;   in Loop: Header=BB198_13 Depth=1
	s_or_b64 exec, exec, s[40:41]
	v_cmp_ne_u16_sdwa s[4:5], v57, v17 src0_sel:BYTE_1 src1_sel:DWORD
	s_and_saveexec_b64 s[40:41], s[4:5]
	s_cbranch_execz .LBB198_114
; %bb.109:                              ;   in Loop: Header=BB198_13 Depth=1
	v_mov_b32_e32 v56, v18
	v_cmp_ne_u16_sdwa s[4:5], v57, s52 src0_sel:BYTE_1 src1_sel:DWORD
	v_mov_b32_e32 v55, v17
	s_and_saveexec_b64 s[42:43], s[4:5]
	s_cbranch_execz .LBB198_113
; %bb.110:                              ;   in Loop: Header=BB198_13 Depth=1
	v_and_b32_sdwa v20, v57, s53 dst_sel:DWORD dst_unused:UNUSED_PAD src0_sel:BYTE_1 src1_sel:DWORD
	v_mov_b32_e32 v23, v17
	v_mov_b32_e32 v56, v24
	v_cmp_ne_u32_e64 s[4:5], s53, v20
	v_mov_b32_e32 v55, v23
	s_and_saveexec_b64 s[44:45], s[4:5]
	s_cbranch_execz .LBB198_112
; %bb.111:                              ;   in Loop: Header=BB198_13 Depth=1
	v_mov_b32_e32 v23, 7
	v_and_b32_sdwa v55, v57, v23 dst_sel:DWORD dst_unused:UNUSED_PAD src0_sel:BYTE_1 src1_sel:DWORD
	v_lshrrev_b32_e32 v23, 3, v20
	v_cmp_gt_u32_e64 s[4:5], 8, v20
	v_ffbh_u32_e32 v20, v55
	v_min_u32_e32 v20, 32, v20
	v_mov_b32_e32 v56, v17
	s_waitcnt vmcnt(0)
	v_subrev_u32_e32 v60, 28, v20
	v_lshlrev_b64 v[25:26], v60, v[55:56]
	buffer_load_dword v60, off, s[56:59], 0 offset:28 ; 4-byte Folded Reload
	v_sub_u32_e32 v20, 29, v20
	v_and_b32_e32 v56, 7, v25
	v_cndmask_b32_e64 v20, v23, v20, s[4:5]
	v_bfrev_b32_e32 v25, 60
	v_cndmask_b32_e64 v23, v55, v56, s[4:5]
	v_lshlrev_b32_e32 v55, 16, v57
	v_lshl_add_u32 v20, v20, 23, v25
	v_and_or_b32 v20, v55, s54, v20
	v_lshlrev_b32_e32 v23, 20, v23
	v_or_b32_e32 v56, v20, v23
	v_mov_b32_e32 v55, v17
.LBB198_112:                            ;   in Loop: Header=BB198_13 Depth=1
	s_or_b64 exec, exec, s[44:45]
.LBB198_113:                            ;   in Loop: Header=BB198_13 Depth=1
	s_or_b64 exec, exec, s[42:43]
.LBB198_114:                            ;   in Loop: Header=BB198_13 Depth=1
	s_or_b64 exec, exec, s[40:41]
	buffer_load_dword v25, off, s[56:59], 0 ; 4-byte Folded Reload
	buffer_load_dword v26, off, s[56:59], 0 offset:4 ; 4-byte Folded Reload
	v_or_b32_e32 v29, v31, v29
	buffer_load_dword v31, off, s[56:59], 0 offset:20 ; 4-byte Folded Reload
	v_or_b32_e32 v30, v32, v30
	s_waitcnt lgkmcnt(0)
	v_mul_f32_e32 v29, s55, v29
	v_mul_f32_e32 v30, s55, v30
	;; [unrolled: 1-line block ×3, first 2 shown]
	v_or_b32_e32 v36, v38, v36
	v_or_b32_e32 v35, v37, v35
	;; [unrolled: 1-line block ×4, first 2 shown]
	v_mul_f32_e32 v36, s55, v36
	v_mul_f32_e32 v35, s55, v35
	v_or_b32_e32 v44, v46, v44
	v_or_b32_e32 v43, v45, v43
	v_mul_f32_e32 v40, s55, v40
	v_mul_f32_e32 v39, s55, v39
	v_or_b32_e32 v48, v50, v48
	v_or_b32_e32 v47, v49, v47
	v_mul_f32_e32 v44, s55, v44
	v_mul_f32_e32 v43, s55, v43
	v_or_b32_e32 v20, v54, v52
	v_or_b32_e32 v23, v53, v51
	v_mul_f32_e32 v48, s55, v48
	v_mul_f32_e32 v47, s55, v47
	;; [unrolled: 1-line block ×4, first 2 shown]
	s_waitcnt vmcnt(2)
	v_or_b32_e32 v25, v27, v25
	s_waitcnt vmcnt(1)
	v_or_b32_e32 v26, v28, v26
	v_mul_f32_e32 v25, s55, v25
	v_mul_f32_e32 v26, s55, v26
	v_fmac_f32_e32 v15, v13, v25
	v_mul_f32_e32 v13, v16, v30
	v_fmac_f32_e32 v13, v14, v26
	s_waitcnt vmcnt(0)
	v_and_b32_e32 v28, 64, v31
	v_fmac_f32_e32 v15, v5, v35
	v_fmac_f32_e32 v13, v6, v36
	v_xor_b32_e32 v27, 1, v31
	v_add_u32_e32 v28, 64, v28
	v_fmac_f32_e32 v15, v7, v39
	v_fmac_f32_e32 v13, v8, v40
	v_cmp_lt_i32_e64 s[4:5], v27, v28
	v_fmac_f32_e32 v15, v9, v43
	v_fmac_f32_e32 v13, v10, v44
	v_cndmask_b32_e64 v27, v31, v27, s[4:5]
	v_or_b32_e32 v28, v56, v34
	v_or_b32_e32 v31, v55, v33
	v_fmac_f32_e32 v15, v11, v47
	v_fmac_f32_e32 v13, v12, v48
	v_mul_f32_e32 v28, s55, v28
	v_mul_f32_e32 v31, s55, v31
	v_fmac_f32_e32 v15, v1, v23
	v_fmac_f32_e32 v13, v2, v20
	;; [unrolled: 1-line block ×4, first 2 shown]
	v_lshlrev_b32_e32 v27, 2, v27
	v_add_f32_e32 v1, v15, v13
	ds_bpermute_b32 v2, v27, v1
	s_and_saveexec_b64 s[40:41], vcc
	s_cbranch_execz .LBB198_11
; %bb.115:                              ;   in Loop: Header=BB198_13 Depth=1
	buffer_load_dword v3, off, s[56:59], 0 offset:24 ; 4-byte Folded Reload
	s_waitcnt lgkmcnt(0)
	v_add_f32_e32 v1, v1, v2
	v_add_u32_e32 v4, v61, v63
	v_cmp_gt_i32_e64 s[4:5], s33, v4
	s_waitcnt vmcnt(0)
	v_add_u32_e32 v3, v3, v63
	v_cvt_f32_i32_e32 v3, v3
	v_mul_f32_e32 v2, s48, v3
	buffer_load_dword v3, off, s[56:59], 0 offset:8 ; 4-byte Folded Reload
	v_cndmask_b32_e64 v2, 0, v2, s[2:3]
	v_fmac_f32_e32 v2, s37, v1
	v_cndmask_b32_e64 v1, 0, v2, s[4:5]
	ds_write_b32 v19, v1
	s_waitcnt vmcnt(0)
	v_max_f32_e32 v1, v3, v3
	v_max_f32_e32 v1, v1, v2
	v_cndmask_b32_e64 v3, v3, v1, s[4:5]
	buffer_store_dword v3, off, s[56:59], 0 offset:8 ; 4-byte Folded Spill
	s_branch .LBB198_11
.LBB198_116:
	s_or_b64 exec, exec, s[38:39]
	buffer_load_dword v57, off, s[56:59], 0 offset:32 ; 4-byte Folded Reload
	buffer_load_dword v12, off, s[56:59], 0 offset:36 ; 4-byte Folded Reload
	;; [unrolled: 1-line block ×4, first 2 shown]
	v_mbcnt_lo_u32_b32 v6, -1, 0
.LBB198_117:
	s_or_b64 exec, exec, s[18:19]
	v_mbcnt_hi_u32_b32 v1, -1, v6
	v_and_b32_e32 v7, 64, v1
	v_add_u32_e32 v8, 64, v7
	s_waitcnt lgkmcnt(0)
	v_xor_b32_e32 v2, 32, v1
	v_cmp_lt_i32_e32 vcc, v2, v8
	v_cndmask_b32_e32 v2, v1, v2, vcc
	v_lshlrev_b32_e32 v2, 2, v2
	s_waitcnt vmcnt(0)
	ds_bpermute_b32 v3, v2, v4
	v_xor_b32_e32 v5, 16, v1
	v_max_f32_e32 v4, v4, v4
	v_cmp_lt_i32_e32 vcc, v5, v8
	v_xor_b32_e32 v6, 8, v1
	s_waitcnt lgkmcnt(0)
	v_max_f32_e32 v3, v3, v3
	v_max_f32_e32 v4, v4, v3
	v_cndmask_b32_e32 v3, v1, v5, vcc
	v_lshlrev_b32_e32 v3, 2, v3
	ds_bpermute_b32 v5, v3, v4
	v_cmp_lt_i32_e32 vcc, v6, v8
	v_xor_b32_e32 v9, 4, v1
	v_and_b32_e32 v24, 63, v57
	s_waitcnt lgkmcnt(0)
	v_max_f32_e32 v5, v5, v5
	v_max_f32_e32 v5, v4, v5
	v_cndmask_b32_e32 v4, v1, v6, vcc
	v_lshlrev_b32_e32 v4, 2, v4
	ds_bpermute_b32 v6, v4, v5
	v_cmp_lt_i32_e32 vcc, v9, v8
	s_waitcnt lgkmcnt(0)
	v_max_f32_e32 v6, v6, v6
	v_max_f32_e32 v5, v5, v6
	v_cndmask_b32_e32 v6, v1, v9, vcc
	v_lshlrev_b32_e32 v26, 2, v6
	ds_bpermute_b32 v6, v26, v5
	v_xor_b32_e32 v9, 2, v1
	v_cmp_lt_i32_e32 vcc, v9, v8
	s_waitcnt lgkmcnt(0)
	v_max_f32_e32 v6, v6, v6
	v_max_f32_e32 v6, v5, v6
	v_cndmask_b32_e32 v5, v1, v9, vcc
	v_lshlrev_b32_e32 v25, 2, v5
	ds_bpermute_b32 v9, v25, v6
	v_cmp_eq_u32_e32 vcc, 0, v24
	v_lshlrev_b32_e32 v5, 2, v0
	s_and_saveexec_b64 s[2:3], vcc
	s_cbranch_execz .LBB198_119
; %bb.118:
	s_waitcnt lgkmcnt(0)
	v_max_f32_e32 v9, v9, v9
	v_max_f32_e32 v6, v6, v6
	;; [unrolled: 1-line block ×3, first 2 shown]
	ds_write_b32 v5, v6 offset:128
.LBB198_119:
	s_or_b64 exec, exec, s[2:3]
	v_cmp_gt_u32_e64 s[2:3], 2, v24
	s_waitcnt lgkmcnt(0)
	v_mov_b32_e32 v9, 0xff7fffff
	v_lshlrev_b32_e32 v6, 2, v24
	s_barrier
	s_and_saveexec_b64 s[4:5], s[2:3]
; %bb.120:
	ds_read_b32 v9, v6 offset:128
; %bb.121:
	s_or_b64 exec, exec, s[4:5]
	v_xor_b32_e32 v10, 1, v1
	v_cmp_lt_i32_e64 s[4:5], v10, v8
	v_cndmask_b32_e64 v8, v1, v10, s[4:5]
	v_lshlrev_b32_e32 v27, 2, v8
	s_waitcnt lgkmcnt(0)
	ds_bpermute_b32 v8, v27, v9
	v_max_f32_e32 v9, v9, v9
	v_lshlrev_b32_e32 v7, 2, v7
	s_lshl_b32 s4, s20, 5
	s_min_i32 s37, s4, s33
	s_waitcnt lgkmcnt(0)
	v_max_f32_e32 v8, v8, v8
	v_max_f32_e32 v8, v9, v8
	ds_bpermute_b32 v8, v7, v8
	v_cmp_gt_i32_e64 s[4:5], s37, v57
	v_mov_b32_e32 v7, 0
	s_and_saveexec_b64 s[12:13], s[4:5]
	s_cbranch_execz .LBB198_125
; %bb.122:
	v_mov_b32_e32 v7, 0x90
	v_lshl_add_u32 v9, v57, 2, v7
	v_mov_b32_e32 v7, 0
	s_mov_b64 s[18:19], 0
	v_mov_b32_e32 v10, v57
.LBB198_123:                            ; =>This Inner Loop Header: Depth=1
	ds_read_b32 v11, v9
	v_add_u32_e32 v10, 0x80, v10
	v_cmp_le_i32_e64 s[6:7], s37, v10
	s_or_b64 s[18:19], s[6:7], s[18:19]
	s_waitcnt lgkmcnt(0)
	v_sub_f32_e32 v11, v11, v8
	v_mul_f32_e32 v11, 0x3fb8aa3b, v11
	v_exp_f32_e32 v11, v11
	ds_write_b32 v9, v11
	v_add_f32_e32 v7, v7, v11
	v_add_u32_e32 v9, 0x200, v9
	s_andn2_b64 exec, exec, s[18:19]
	s_cbranch_execnz .LBB198_123
; %bb.124:
	s_or_b64 exec, exec, s[18:19]
.LBB198_125:
	s_or_b64 exec, exec, s[12:13]
	ds_bpermute_b32 v2, v2, v7
	s_waitcnt lgkmcnt(0)
	v_add_f32_e32 v2, v7, v2
	ds_bpermute_b32 v3, v3, v2
	s_waitcnt lgkmcnt(0)
	v_add_f32_e32 v2, v2, v3
	ds_bpermute_b32 v3, v4, v2
	s_waitcnt lgkmcnt(0)
	v_add_f32_e32 v2, v2, v3
	ds_bpermute_b32 v3, v26, v2
	s_waitcnt lgkmcnt(0)
	v_add_f32_e32 v2, v2, v3
	ds_bpermute_b32 v3, v25, v2
	s_waitcnt lgkmcnt(0)
	v_add_f32_e32 v2, v2, v3
	ds_bpermute_b32 v3, v27, v2
	s_waitcnt lgkmcnt(0)
	v_add_f32_e32 v2, v2, v3
	s_and_saveexec_b64 s[6:7], vcc
; %bb.126:
	ds_write_b32 v5, v2 offset:136
; %bb.127:
	s_or_b64 exec, exec, s[6:7]
	s_waitcnt lgkmcnt(0)
	s_barrier
	s_and_saveexec_b64 s[6:7], s[2:3]
; %bb.128:
	ds_read_b32 v2, v6 offset:136
; %bb.129:
	s_or_b64 exec, exec, s[6:7]
	s_waitcnt lgkmcnt(0)
	ds_bpermute_b32 v3, v27, v2
	v_lshlrev_b32_e32 v1, 2, v1
	v_and_b32_e32 v1, 0x100, v1
	s_waitcnt lgkmcnt(0)
	v_add_f32_e32 v2, v2, v3
	ds_bpermute_b32 v1, v1, v2
	s_and_saveexec_b64 s[2:3], s[4:5]
	s_cbranch_execz .LBB198_132
; %bb.130:
	s_waitcnt lgkmcnt(0)
	v_add_f32_e32 v2, 0x358637bd, v1
	v_div_scale_f32 v1, s[4:5], v2, v2, 1.0
	v_div_scale_f32 v3, vcc, 1.0, v2, 1.0
	s_mov_b64 s[4:5], 0
	v_rcp_f32_e32 v4, v1
	v_fma_f32 v5, -v1, v4, 1.0
	v_fmac_f32_e32 v4, v5, v4
	v_mul_f32_e32 v5, v3, v4
	v_fma_f32 v6, -v1, v5, v3
	v_fmac_f32_e32 v5, v6, v4
	v_fma_f32 v1, -v1, v5, v3
	v_div_fmas_f32 v3, v1, v4, v5
	v_mov_b32_e32 v1, 0x90
	v_lshl_add_u32 v1, v57, 2, v1
	v_div_fixup_f32 v2, v3, v2, 1.0
	v_mov_b32_e32 v3, v57
.LBB198_131:                            ; =>This Inner Loop Header: Depth=1
	ds_read_b32 v4, v1
	v_add_u32_e32 v3, 0x80, v3
	v_cmp_le_i32_e32 vcc, s37, v3
	s_or_b64 s[4:5], vcc, s[4:5]
	s_waitcnt lgkmcnt(0)
	v_mul_f32_e32 v4, v2, v4
	ds_write_b32 v1, v4
	v_add_u32_e32 v1, 0x200, v1
	s_andn2_b64 exec, exec, s[4:5]
	s_cbranch_execnz .LBB198_131
.LBB198_132:
	s_or_b64 exec, exec, s[2:3]
	v_mov_b32_e32 v32, 0
	v_and_b32_e32 v28, 7, v57
	v_mov_b32_e32 v33, 0
	v_mov_b32_e32 v31, 0
	;; [unrolled: 1-line block ×3, first 2 shown]
	s_waitcnt lgkmcnt(0)
	s_barrier
	s_and_saveexec_b64 s[2:3], s[0:1]
	s_cbranch_execz .LBB198_242
; %bb.133:
	s_sub_i32 s21, s16, s21
	s_ashr_i32 s0, s47, 31
	s_add_u32 s4, s34, s47
	s_addc_u32 s5, s35, s0
	s_abs_i32 s22, s22
	v_cvt_f32_u32_e32 v1, s22
	s_sub_i32 s0, 0, s22
	v_and_b32_e32 v2, 0xfc, v12
	s_add_i32 s35, s20, -1
	v_rcp_iflag_f32_e32 v1, v1
	v_mov_b32_e32 v6, s5
	v_add_co_u32_e32 v7, vcc, s4, v2
	v_mul_f32_e32 v1, 0x4f7ffffe, v1
	v_cvt_u32_f32_e32 v1, v1
	v_and_b32_e32 v3, 60, v13
	v_addc_co_u32_e32 v8, vcc, 0, v6, vcc
	v_mul_lo_u32 v4, s0, v1
	s_lshl_b64 s[0:1], s[30:31], 2
	s_add_u32 s0, s28, s0
	s_addc_u32 s1, s29, s1
	v_mul_hi_u32 v4, v1, v4
	v_add_co_u32_e32 v9, vcc, s0, v3
	v_mov_b32_e32 v5, 0
	v_add_u32_e32 v34, v1, v4
	v_mov_b32_e32 v1, s1
	v_addc_co_u32_e32 v10, vcc, 0, v1, vcc
	v_lshlrev_b32_e32 v1, 4, v28
	v_lshl_or_b32 v1, v0, 7, v1
	v_and_b32_e32 v29, 28, v12
	s_mov_b32 s34, s17
	v_add_u32_e32 v35, 0x90, v1
	s_mov_b64 s[4:5], 0
	s_movk_i32 s28, 0x80
	s_movk_i32 s29, 0x7f
	s_brev_b32 s30, 1
	s_mov_b32 s31, 0xffffff
	v_bfrev_b32_e32 v36, 60
	v_bfrev_b32_e32 v6, 1
	v_mov_b32_e32 v12, 0x7f800001
	v_mov_b32_e32 v37, 7
	;; [unrolled: 1-line block ×7, first 2 shown]
	s_branch .LBB198_136
.LBB198_134:                            ;   in Loop: Header=BB198_136 Depth=1
	s_or_b64 exec, exec, s[0:1]
	v_mul_f32_e32 v16, v1, v52
	v_fmac_f32_e32 v16, v2, v51
	v_fmac_f32_e32 v16, v3, v23
	;; [unrolled: 1-line block ×3, first 2 shown]
	v_add_f32_e32 v31, v31, v16
	v_mul_f32_e32 v16, v1, v50
	v_fmac_f32_e32 v16, v2, v47
	v_fmac_f32_e32 v16, v3, v49
	;; [unrolled: 1-line block ×3, first 2 shown]
	v_add_f32_e32 v33, v33, v16
	v_mul_f32_e32 v16, v1, v42
	v_mul_f32_e32 v1, v1, v15
	v_fmac_f32_e32 v16, v2, v39
	v_fmac_f32_e32 v1, v2, v11
	;; [unrolled: 1-line block ×6, first 2 shown]
	v_add_f32_e32 v32, v32, v16
	v_add_f32_e32 v30, v30, v1
.LBB198_135:                            ;   in Loop: Header=BB198_136 Depth=1
	s_or_b64 exec, exec, s[6:7]
	v_add_co_u32_e32 v9, vcc, 8, v9
	v_add_u32_e32 v0, 2, v0
	v_addc_co_u32_e32 v10, vcc, 0, v10, vcc
	v_cmp_le_i32_e32 vcc, s20, v0
	v_add_u32_e32 v59, 64, v59
	s_or_b64 s[4:5], vcc, s[4:5]
	v_add_u32_e32 v35, 0x100, v35
	s_andn2_b64 exec, exec, s[4:5]
	s_cbranch_execz .LBB198_241
.LBB198_136:                            ; =>This Inner Loop Header: Depth=1
	v_mul_hi_u32 v1, v59, s46
	v_mul_lo_u32 v2, v1, s25
	v_add_u32_e32 v3, 1, v1
	v_sub_u32_e32 v2, v59, v2
	v_cmp_le_u32_e32 vcc, s25, v2
	v_cndmask_b32_e32 v1, v1, v3, vcc
	v_subrev_u32_e32 v3, s25, v2
	v_cndmask_b32_e32 v2, v2, v3, vcc
	v_add_u32_e32 v3, 1, v1
	v_cmp_le_u32_e32 vcc, s25, v2
	v_cndmask_b32_e32 v1, v1, v3, vcc
	v_xor_b32_e32 v1, s23, v1
	v_subrev_u32_e32 v1, s23, v1
	v_add_u32_e32 v2, s36, v1
	v_sub_u32_e32 v3, 0, v2
	v_max_i32_e32 v3, v2, v3
	v_mul_hi_u32 v4, v3, v34
	v_ashrrev_i32_e32 v2, 31, v2
	v_cmp_lt_i32_e64 s[0:1], s21, v1
	v_mul_lo_u32 v4, v4, s22
	v_sub_u32_e32 v3, v3, v4
	v_subrev_u32_e32 v4, s22, v3
	v_cmp_le_u32_e32 vcc, s22, v3
	v_cndmask_b32_e32 v3, v3, v4, vcc
	v_subrev_u32_e32 v4, s22, v3
	v_cmp_le_u32_e32 vcc, s22, v3
	v_cndmask_b32_e32 v3, v3, v4, vcc
	v_xor_b32_e32 v3, v3, v2
	v_sub_u32_e32 v2, v3, v2
	v_cmp_eq_u32_e32 vcc, 0, v2
	s_or_b64 s[0:1], vcc, s[0:1]
	s_and_saveexec_b64 s[6:7], s[0:1]
	s_cbranch_execz .LBB198_135
; %bb.137:                              ;   in Loop: Header=BB198_136 Depth=1
	global_load_dword v1, v[9:10], off
	s_load_dword s37, s[14:15], 0x0
	v_mov_b32_e32 v18, 0
	v_mov_b32_e32 v16, 0
	;; [unrolled: 1-line block ×4, first 2 shown]
	s_waitcnt vmcnt(0)
	v_mad_i64_i32 v[13:14], s[0:1], v1, s34, v[7:8]
	ds_read_b128 v[1:4], v35
	global_load_dword v15, v[13:14], off
	s_waitcnt vmcnt(0)
	v_cmp_ne_u16_sdwa s[12:13], v15, v5 src0_sel:BYTE_0 src1_sel:DWORD
	s_and_saveexec_b64 s[0:1], s[12:13]
	s_cbranch_execz .LBB198_143
; %bb.138:                              ;   in Loop: Header=BB198_136 Depth=1
	v_bfrev_b32_e32 v16, 1
	v_mov_b32_e32 v17, 0
	v_cmp_ne_u16_sdwa s[16:17], v15, s28 src0_sel:BYTE_0 src1_sel:DWORD
	s_and_saveexec_b64 s[12:13], s[16:17]
	s_cbranch_execz .LBB198_142
; %bb.139:                              ;   in Loop: Header=BB198_136 Depth=1
	v_and_b32_e32 v11, 0x7f, v15
	v_mov_b32_e32 v16, 0x7f800001
	v_mov_b32_e32 v17, 0
	v_cmp_ne_u32_e32 vcc, s29, v11
	s_and_saveexec_b64 s[16:17], vcc
	s_cbranch_execz .LBB198_141
; %bb.140:                              ;   in Loop: Header=BB198_136 Depth=1
	v_and_b32_e32 v20, 7, v15
	v_ffbh_u32_e32 v16, v20
	v_min_u32_e32 v22, 32, v16
	v_subrev_u32_e32 v16, 28, v22
	v_lshlrev_b64 v[16:17], v16, v[15:16]
	v_lshrrev_b32_e32 v21, 3, v11
	v_sub_u32_e32 v17, 29, v22
	v_and_b32_e32 v16, 7, v16
	v_cmp_gt_u32_e32 vcc, 8, v11
	v_cndmask_b32_e32 v11, v21, v17, vcc
	v_cndmask_b32_e32 v16, v20, v16, vcc
	v_lshlrev_b32_e32 v16, 20, v16
	v_and_b32_sdwa v17, sext(v15), s30 dst_sel:DWORD dst_unused:UNUSED_PAD src0_sel:BYTE_0 src1_sel:DWORD
	v_lshl_add_u32 v11, v11, 23, v36
	v_or3_b32 v16, v17, v11, v16
	v_mov_b32_e32 v17, v5
.LBB198_141:                            ;   in Loop: Header=BB198_136 Depth=1
	s_or_b64 exec, exec, s[16:17]
.LBB198_142:                            ;   in Loop: Header=BB198_136 Depth=1
	s_or_b64 exec, exec, s[12:13]
.LBB198_143:                            ;   in Loop: Header=BB198_136 Depth=1
	s_or_b64 exec, exec, s[0:1]
	v_cmp_ne_u16_sdwa s[12:13], v15, v5 src0_sel:BYTE_1 src1_sel:DWORD
	s_and_saveexec_b64 s[0:1], s[12:13]
	s_cbranch_execz .LBB198_149
; %bb.144:                              ;   in Loop: Header=BB198_136 Depth=1
	v_mov_b32_e32 v19, v6
	v_cmp_ne_u16_sdwa s[16:17], v15, s28 src0_sel:BYTE_1 src1_sel:DWORD
	v_mov_b32_e32 v18, v5
	s_and_saveexec_b64 s[12:13], s[16:17]
	s_cbranch_execz .LBB198_148
; %bb.145:                              ;   in Loop: Header=BB198_136 Depth=1
	v_and_b32_sdwa v20, v15, s29 dst_sel:DWORD dst_unused:UNUSED_PAD src0_sel:BYTE_1 src1_sel:DWORD
	v_mov_b32_e32 v11, v5
	v_mov_b32_e32 v19, v12
	v_cmp_ne_u32_e32 vcc, s29, v20
	v_mov_b32_e32 v18, v11
	s_and_saveexec_b64 s[16:17], vcc
	s_cbranch_execz .LBB198_147
; %bb.146:                              ;   in Loop: Header=BB198_136 Depth=1
	v_and_b32_sdwa v18, v15, v37 dst_sel:DWORD dst_unused:UNUSED_PAD src0_sel:BYTE_1 src1_sel:DWORD
	v_ffbh_u32_e32 v21, v18
	v_min_u32_e32 v23, 32, v21
	v_mov_b32_e32 v19, v5
	v_subrev_u32_e32 v21, 28, v23
	v_lshlrev_b64 v[21:22], v21, v[18:19]
	v_lshrrev_b32_e32 v11, 3, v20
	v_sub_u32_e32 v19, 29, v23
	v_cmp_gt_u32_e32 vcc, 8, v20
	v_and_b32_e32 v21, 7, v21
	v_cndmask_b32_e32 v11, v11, v19, vcc
	v_cndmask_b32_e32 v18, v18, v21, vcc
	v_lshlrev_b32_e32 v19, 16, v15
	v_lshl_add_u32 v11, v11, 23, v36
	v_and_or_b32 v11, v19, s30, v11
	v_lshlrev_b32_e32 v18, 20, v18
	v_or_b32_e32 v19, v11, v18
	v_mov_b32_e32 v18, v5
.LBB198_147:                            ;   in Loop: Header=BB198_136 Depth=1
	s_or_b64 exec, exec, s[16:17]
.LBB198_148:                            ;   in Loop: Header=BB198_136 Depth=1
	s_or_b64 exec, exec, s[12:13]
.LBB198_149:                            ;   in Loop: Header=BB198_136 Depth=1
	s_or_b64 exec, exec, s[0:1]
	v_lshrrev_b32_e32 v11, 16, v15
	v_mov_b32_e32 v22, 0
	v_mov_b32_e32 v20, 0
	;; [unrolled: 1-line block ×4, first 2 shown]
	v_cmp_ne_u16_sdwa s[12:13], v11, v5 src0_sel:BYTE_0 src1_sel:DWORD
	s_and_saveexec_b64 s[0:1], s[12:13]
	s_cbranch_execz .LBB198_155
; %bb.150:                              ;   in Loop: Header=BB198_136 Depth=1
	v_bfrev_b32_e32 v20, 1
	v_mov_b32_e32 v21, 0
	v_cmp_ne_u16_sdwa s[16:17], v11, s28 src0_sel:BYTE_0 src1_sel:DWORD
	s_and_saveexec_b64 s[12:13], s[16:17]
	s_cbranch_execz .LBB198_154
; %bb.151:                              ;   in Loop: Header=BB198_136 Depth=1
	v_bfe_u32 v39, v15, 16, 7
	v_mov_b32_e32 v20, 0x7f800001
	v_mov_b32_e32 v21, 0
	v_cmp_ne_u32_e32 vcc, s29, v39
	s_and_saveexec_b64 s[16:17], vcc
	s_cbranch_execz .LBB198_153
; %bb.152:                              ;   in Loop: Header=BB198_136 Depth=1
	v_and_b32_e32 v40, 7, v11
	v_ffbh_u32_e32 v20, v40
	v_min_u32_e32 v42, 32, v20
	v_subrev_u32_e32 v20, 28, v42
	v_lshlrev_b64 v[20:21], v20, v[11:12]
	v_lshrrev_b32_e32 v41, 3, v39
	v_sub_u32_e32 v21, 29, v42
	v_and_b32_e32 v20, 7, v20
	v_cmp_gt_u32_e32 vcc, 8, v39
	v_cndmask_b32_e32 v21, v41, v21, vcc
	v_cndmask_b32_e32 v20, v40, v20, vcc
	v_lshlrev_b32_e32 v20, 20, v20
	v_and_b32_sdwa v11, sext(v11), s30 dst_sel:DWORD dst_unused:UNUSED_PAD src0_sel:BYTE_0 src1_sel:DWORD
	v_lshl_add_u32 v21, v21, 23, v36
	v_or3_b32 v20, v11, v21, v20
	v_mov_b32_e32 v21, v5
.LBB198_153:                            ;   in Loop: Header=BB198_136 Depth=1
	s_or_b64 exec, exec, s[16:17]
.LBB198_154:                            ;   in Loop: Header=BB198_136 Depth=1
	s_or_b64 exec, exec, s[12:13]
.LBB198_155:                            ;   in Loop: Header=BB198_136 Depth=1
	s_or_b64 exec, exec, s[0:1]
	v_cmp_lt_u32_e32 vcc, s31, v15
	s_and_saveexec_b64 s[0:1], vcc
	s_cbranch_execz .LBB198_161
; %bb.156:                              ;   in Loop: Header=BB198_136 Depth=1
	v_mov_b32_e32 v23, v6
	v_cmp_ne_u32_sdwa s[16:17], v15, s28 src0_sel:BYTE_3 src1_sel:DWORD
	v_mov_b32_e32 v22, v5
	s_and_saveexec_b64 s[12:13], s[16:17]
	s_cbranch_execz .LBB198_160
; %bb.157:                              ;   in Loop: Header=BB198_136 Depth=1
	v_bfe_u32 v39, v15, 24, 7
	v_mov_b32_e32 v11, v5
	v_mov_b32_e32 v23, v12
	v_cmp_ne_u32_e32 vcc, s29, v39
	v_mov_b32_e32 v22, v11
	s_and_saveexec_b64 s[16:17], vcc
	s_cbranch_execz .LBB198_159
; %bb.158:                              ;   in Loop: Header=BB198_136 Depth=1
	v_and_b32_sdwa v22, v15, v37 dst_sel:DWORD dst_unused:UNUSED_PAD src0_sel:BYTE_3 src1_sel:DWORD
	v_ffbh_u32_e32 v40, v22
	v_min_u32_e32 v42, 32, v40
	v_mov_b32_e32 v23, v5
	v_subrev_u32_e32 v40, 28, v42
	v_lshlrev_b64 v[40:41], v40, v[22:23]
	v_lshrrev_b32_e32 v11, 3, v39
	v_sub_u32_e32 v23, 29, v42
	v_cmp_gt_u32_e32 vcc, 8, v39
	v_and_b32_e32 v40, 7, v40
	v_cndmask_b32_e32 v11, v11, v23, vcc
	v_cndmask_b32_e32 v22, v22, v40, vcc
	v_lshlrev_b32_sdwa v15, v38, v15 dst_sel:DWORD dst_unused:UNUSED_PAD src0_sel:DWORD src1_sel:BYTE_3
	v_lshl_add_u32 v11, v11, 23, v36
	v_and_or_b32 v11, v15, s30, v11
	v_lshlrev_b32_e32 v15, 20, v22
	v_or_b32_e32 v23, v11, v15
	v_mov_b32_e32 v22, v5
.LBB198_159:                            ;   in Loop: Header=BB198_136 Depth=1
	s_or_b64 exec, exec, s[16:17]
.LBB198_160:                            ;   in Loop: Header=BB198_136 Depth=1
	s_or_b64 exec, exec, s[12:13]
.LBB198_161:                            ;   in Loop: Header=BB198_136 Depth=1
	s_or_b64 exec, exec, s[0:1]
	v_or_b32_e32 v11, v19, v17
	v_or_b32_e32 v15, v18, v16
	v_add_u32_e32 v43, v29, v59
	s_waitcnt lgkmcnt(0)
	v_mul_f32_e32 v39, s37, v11
	v_mul_f32_e32 v42, s37, v15
	v_or_b32_e32 v11, v23, v21
	v_or_b32_e32 v15, v22, v20
	v_cmp_eq_u32_e32 vcc, s35, v0
	v_mul_f32_e32 v41, s37, v15
	v_mul_f32_e32 v40, s37, v11
	v_add_u32_e32 v46, 1, v43
	v_add_u32_e32 v45, 2, v43
	;; [unrolled: 1-line block ×3, first 2 shown]
	s_and_saveexec_b64 s[12:13], vcc
; %bb.162:                              ;   in Loop: Header=BB198_136 Depth=1
	v_cmp_gt_i32_e64 s[0:1], s33, v43
	v_cndmask_b32_e64 v42, 0, v42, s[0:1]
	v_cmp_gt_i32_e64 s[0:1], s33, v46
	v_cndmask_b32_e64 v39, 0, v39, s[0:1]
	;; [unrolled: 2-line block ×4, first 2 shown]
; %bb.163:                              ;   in Loop: Header=BB198_136 Depth=1
	s_or_b64 exec, exec, s[12:13]
	global_load_dword v15, v[13:14], off offset:256
	v_mov_b32_e32 v18, 0
	v_mov_b32_e32 v16, 0
	v_mov_b32_e32 v19, 0
	v_mov_b32_e32 v17, 0
	s_waitcnt vmcnt(0)
	v_cmp_ne_u16_sdwa s[0:1], v15, v5 src0_sel:BYTE_0 src1_sel:DWORD
	s_and_saveexec_b64 s[12:13], s[0:1]
	s_cbranch_execz .LBB198_169
; %bb.164:                              ;   in Loop: Header=BB198_136 Depth=1
	v_bfrev_b32_e32 v16, 1
	v_mov_b32_e32 v17, 0
	v_cmp_ne_u16_sdwa s[0:1], v15, s28 src0_sel:BYTE_0 src1_sel:DWORD
	s_and_saveexec_b64 s[16:17], s[0:1]
	s_cbranch_execz .LBB198_168
; %bb.165:                              ;   in Loop: Header=BB198_136 Depth=1
	v_and_b32_e32 v11, 0x7f, v15
	v_mov_b32_e32 v16, 0x7f800001
	v_mov_b32_e32 v17, 0
	v_cmp_ne_u32_e64 s[0:1], s29, v11
	s_and_saveexec_b64 s[18:19], s[0:1]
	s_cbranch_execz .LBB198_167
; %bb.166:                              ;   in Loop: Header=BB198_136 Depth=1
	v_and_b32_e32 v20, 7, v15
	v_ffbh_u32_e32 v16, v20
	v_min_u32_e32 v22, 32, v16
	v_subrev_u32_e32 v16, 28, v22
	v_lshlrev_b64 v[16:17], v16, v[15:16]
	v_lshrrev_b32_e32 v21, 3, v11
	v_sub_u32_e32 v17, 29, v22
	v_and_b32_e32 v16, 7, v16
	v_cmp_gt_u32_e64 s[0:1], 8, v11
	v_cndmask_b32_e64 v11, v21, v17, s[0:1]
	v_cndmask_b32_e64 v16, v20, v16, s[0:1]
	v_lshlrev_b32_e32 v16, 20, v16
	v_and_b32_sdwa v17, sext(v15), s30 dst_sel:DWORD dst_unused:UNUSED_PAD src0_sel:BYTE_0 src1_sel:DWORD
	v_lshl_add_u32 v11, v11, 23, v36
	v_or3_b32 v16, v17, v11, v16
	v_mov_b32_e32 v17, v5
.LBB198_167:                            ;   in Loop: Header=BB198_136 Depth=1
	s_or_b64 exec, exec, s[18:19]
.LBB198_168:                            ;   in Loop: Header=BB198_136 Depth=1
	s_or_b64 exec, exec, s[16:17]
.LBB198_169:                            ;   in Loop: Header=BB198_136 Depth=1
	s_or_b64 exec, exec, s[12:13]
	v_cmp_ne_u16_sdwa s[0:1], v15, v5 src0_sel:BYTE_1 src1_sel:DWORD
	s_and_saveexec_b64 s[12:13], s[0:1]
	s_cbranch_execz .LBB198_175
; %bb.170:                              ;   in Loop: Header=BB198_136 Depth=1
	v_mov_b32_e32 v19, v6
	v_cmp_ne_u16_sdwa s[0:1], v15, s28 src0_sel:BYTE_1 src1_sel:DWORD
	v_mov_b32_e32 v18, v5
	s_and_saveexec_b64 s[16:17], s[0:1]
	s_cbranch_execz .LBB198_174
; %bb.171:                              ;   in Loop: Header=BB198_136 Depth=1
	v_and_b32_sdwa v20, v15, s29 dst_sel:DWORD dst_unused:UNUSED_PAD src0_sel:BYTE_1 src1_sel:DWORD
	v_mov_b32_e32 v11, v5
	v_mov_b32_e32 v19, v12
	v_cmp_ne_u32_e64 s[0:1], s29, v20
	v_mov_b32_e32 v18, v11
	s_and_saveexec_b64 s[18:19], s[0:1]
	s_cbranch_execz .LBB198_173
; %bb.172:                              ;   in Loop: Header=BB198_136 Depth=1
	v_and_b32_sdwa v18, v15, v37 dst_sel:DWORD dst_unused:UNUSED_PAD src0_sel:BYTE_1 src1_sel:DWORD
	v_ffbh_u32_e32 v21, v18
	v_min_u32_e32 v23, 32, v21
	v_mov_b32_e32 v19, v5
	v_subrev_u32_e32 v21, 28, v23
	v_lshlrev_b64 v[21:22], v21, v[18:19]
	v_lshrrev_b32_e32 v11, 3, v20
	v_sub_u32_e32 v19, 29, v23
	v_cmp_gt_u32_e64 s[0:1], 8, v20
	v_and_b32_e32 v21, 7, v21
	v_cndmask_b32_e64 v11, v11, v19, s[0:1]
	v_cndmask_b32_e64 v18, v18, v21, s[0:1]
	v_lshlrev_b32_e32 v19, 16, v15
	v_lshl_add_u32 v11, v11, 23, v36
	v_and_or_b32 v11, v19, s30, v11
	v_lshlrev_b32_e32 v18, 20, v18
	v_or_b32_e32 v19, v11, v18
	v_mov_b32_e32 v18, v5
.LBB198_173:                            ;   in Loop: Header=BB198_136 Depth=1
	s_or_b64 exec, exec, s[18:19]
.LBB198_174:                            ;   in Loop: Header=BB198_136 Depth=1
	s_or_b64 exec, exec, s[16:17]
.LBB198_175:                            ;   in Loop: Header=BB198_136 Depth=1
	s_or_b64 exec, exec, s[12:13]
	v_lshrrev_b32_e32 v11, 16, v15
	v_mov_b32_e32 v22, 0
	v_mov_b32_e32 v20, 0
	;; [unrolled: 1-line block ×4, first 2 shown]
	v_cmp_ne_u16_sdwa s[0:1], v11, v5 src0_sel:BYTE_0 src1_sel:DWORD
	s_and_saveexec_b64 s[12:13], s[0:1]
	s_cbranch_execz .LBB198_181
; %bb.176:                              ;   in Loop: Header=BB198_136 Depth=1
	v_bfrev_b32_e32 v20, 1
	v_mov_b32_e32 v21, 0
	v_cmp_ne_u16_sdwa s[0:1], v11, s28 src0_sel:BYTE_0 src1_sel:DWORD
	s_and_saveexec_b64 s[16:17], s[0:1]
	s_cbranch_execz .LBB198_180
; %bb.177:                              ;   in Loop: Header=BB198_136 Depth=1
	v_bfe_u32 v47, v15, 16, 7
	v_mov_b32_e32 v20, 0x7f800001
	v_mov_b32_e32 v21, 0
	v_cmp_ne_u32_e64 s[0:1], s29, v47
	s_and_saveexec_b64 s[18:19], s[0:1]
	s_cbranch_execz .LBB198_179
; %bb.178:                              ;   in Loop: Header=BB198_136 Depth=1
	v_and_b32_e32 v48, 7, v11
	v_ffbh_u32_e32 v20, v48
	v_min_u32_e32 v50, 32, v20
	v_subrev_u32_e32 v20, 28, v50
	v_lshlrev_b64 v[20:21], v20, v[11:12]
	v_lshrrev_b32_e32 v49, 3, v47
	v_sub_u32_e32 v21, 29, v50
	v_and_b32_e32 v20, 7, v20
	v_cmp_gt_u32_e64 s[0:1], 8, v47
	v_cndmask_b32_e64 v21, v49, v21, s[0:1]
	v_cndmask_b32_e64 v20, v48, v20, s[0:1]
	v_lshlrev_b32_e32 v20, 20, v20
	v_and_b32_sdwa v11, sext(v11), s30 dst_sel:DWORD dst_unused:UNUSED_PAD src0_sel:BYTE_0 src1_sel:DWORD
	v_lshl_add_u32 v21, v21, 23, v36
	v_or3_b32 v20, v11, v21, v20
	v_mov_b32_e32 v21, v5
.LBB198_179:                            ;   in Loop: Header=BB198_136 Depth=1
	s_or_b64 exec, exec, s[18:19]
.LBB198_180:                            ;   in Loop: Header=BB198_136 Depth=1
	s_or_b64 exec, exec, s[16:17]
.LBB198_181:                            ;   in Loop: Header=BB198_136 Depth=1
	s_or_b64 exec, exec, s[12:13]
	v_cmp_lt_u32_e64 s[0:1], s31, v15
	s_and_saveexec_b64 s[12:13], s[0:1]
	s_cbranch_execz .LBB198_187
; %bb.182:                              ;   in Loop: Header=BB198_136 Depth=1
	v_mov_b32_e32 v23, v6
	v_cmp_ne_u32_sdwa s[0:1], v15, s28 src0_sel:BYTE_3 src1_sel:DWORD
	v_mov_b32_e32 v22, v5
	s_and_saveexec_b64 s[16:17], s[0:1]
	s_cbranch_execz .LBB198_186
; %bb.183:                              ;   in Loop: Header=BB198_136 Depth=1
	v_bfe_u32 v47, v15, 24, 7
	v_mov_b32_e32 v11, v5
	v_mov_b32_e32 v23, v12
	v_cmp_ne_u32_e64 s[0:1], s29, v47
	v_mov_b32_e32 v22, v11
	s_and_saveexec_b64 s[18:19], s[0:1]
	s_cbranch_execz .LBB198_185
; %bb.184:                              ;   in Loop: Header=BB198_136 Depth=1
	v_and_b32_sdwa v22, v15, v37 dst_sel:DWORD dst_unused:UNUSED_PAD src0_sel:BYTE_3 src1_sel:DWORD
	v_ffbh_u32_e32 v48, v22
	v_min_u32_e32 v50, 32, v48
	v_mov_b32_e32 v23, v5
	v_subrev_u32_e32 v48, 28, v50
	v_lshlrev_b64 v[48:49], v48, v[22:23]
	v_lshrrev_b32_e32 v11, 3, v47
	v_sub_u32_e32 v23, 29, v50
	v_cmp_gt_u32_e64 s[0:1], 8, v47
	v_and_b32_e32 v48, 7, v48
	v_cndmask_b32_e64 v11, v11, v23, s[0:1]
	v_cndmask_b32_e64 v22, v22, v48, s[0:1]
	v_lshlrev_b32_sdwa v15, v38, v15 dst_sel:DWORD dst_unused:UNUSED_PAD src0_sel:DWORD src1_sel:BYTE_3
	v_lshl_add_u32 v11, v11, 23, v36
	v_and_or_b32 v11, v15, s30, v11
	v_lshlrev_b32_e32 v15, 20, v22
	v_or_b32_e32 v23, v11, v15
	v_mov_b32_e32 v22, v5
.LBB198_185:                            ;   in Loop: Header=BB198_136 Depth=1
	s_or_b64 exec, exec, s[18:19]
.LBB198_186:                            ;   in Loop: Header=BB198_136 Depth=1
	s_or_b64 exec, exec, s[16:17]
.LBB198_187:                            ;   in Loop: Header=BB198_136 Depth=1
	s_or_b64 exec, exec, s[12:13]
	s_mov_b32 s38, s37
	v_or_b32_e32 v11, v19, v17
	v_or_b32_e32 v15, v18, v16
	v_mul_f32_e32 v47, s38, v11
	v_mul_f32_e32 v50, s37, v15
	v_or_b32_e32 v11, v23, v21
	v_or_b32_e32 v15, v22, v20
	v_mul_f32_e32 v49, s37, v15
	v_mul_f32_e32 v48, s38, v11
	s_and_saveexec_b64 s[12:13], vcc
; %bb.188:                              ;   in Loop: Header=BB198_136 Depth=1
	v_cmp_gt_i32_e64 s[0:1], s33, v43
	v_cndmask_b32_e64 v50, 0, v50, s[0:1]
	v_cmp_gt_i32_e64 s[0:1], s33, v46
	v_cndmask_b32_e64 v47, 0, v47, s[0:1]
	;; [unrolled: 2-line block ×4, first 2 shown]
; %bb.189:                              ;   in Loop: Header=BB198_136 Depth=1
	s_or_b64 exec, exec, s[12:13]
	global_load_dword v15, v[13:14], off offset:512
	v_mov_b32_e32 v18, 0
	v_mov_b32_e32 v16, 0
	;; [unrolled: 1-line block ×4, first 2 shown]
	s_waitcnt vmcnt(0)
	v_cmp_ne_u16_sdwa s[0:1], v15, v5 src0_sel:BYTE_0 src1_sel:DWORD
	s_and_saveexec_b64 s[12:13], s[0:1]
	s_cbranch_execz .LBB198_195
; %bb.190:                              ;   in Loop: Header=BB198_136 Depth=1
	v_bfrev_b32_e32 v16, 1
	v_mov_b32_e32 v17, 0
	v_cmp_ne_u16_sdwa s[0:1], v15, s28 src0_sel:BYTE_0 src1_sel:DWORD
	s_and_saveexec_b64 s[16:17], s[0:1]
	s_cbranch_execz .LBB198_194
; %bb.191:                              ;   in Loop: Header=BB198_136 Depth=1
	v_and_b32_e32 v11, 0x7f, v15
	v_mov_b32_e32 v16, 0x7f800001
	v_mov_b32_e32 v17, 0
	v_cmp_ne_u32_e64 s[0:1], s29, v11
	s_and_saveexec_b64 s[18:19], s[0:1]
	s_cbranch_execz .LBB198_193
; %bb.192:                              ;   in Loop: Header=BB198_136 Depth=1
	v_and_b32_e32 v20, 7, v15
	v_ffbh_u32_e32 v16, v20
	v_min_u32_e32 v22, 32, v16
	v_subrev_u32_e32 v16, 28, v22
	v_lshlrev_b64 v[16:17], v16, v[15:16]
	v_lshrrev_b32_e32 v21, 3, v11
	v_sub_u32_e32 v17, 29, v22
	v_and_b32_e32 v16, 7, v16
	v_cmp_gt_u32_e64 s[0:1], 8, v11
	v_cndmask_b32_e64 v11, v21, v17, s[0:1]
	v_cndmask_b32_e64 v16, v20, v16, s[0:1]
	v_lshlrev_b32_e32 v16, 20, v16
	v_and_b32_sdwa v17, sext(v15), s30 dst_sel:DWORD dst_unused:UNUSED_PAD src0_sel:BYTE_0 src1_sel:DWORD
	v_lshl_add_u32 v11, v11, 23, v36
	v_or3_b32 v16, v17, v11, v16
	v_mov_b32_e32 v17, v5
.LBB198_193:                            ;   in Loop: Header=BB198_136 Depth=1
	s_or_b64 exec, exec, s[18:19]
.LBB198_194:                            ;   in Loop: Header=BB198_136 Depth=1
	s_or_b64 exec, exec, s[16:17]
.LBB198_195:                            ;   in Loop: Header=BB198_136 Depth=1
	s_or_b64 exec, exec, s[12:13]
	v_cmp_ne_u16_sdwa s[0:1], v15, v5 src0_sel:BYTE_1 src1_sel:DWORD
	s_and_saveexec_b64 s[12:13], s[0:1]
	s_cbranch_execz .LBB198_201
; %bb.196:                              ;   in Loop: Header=BB198_136 Depth=1
	v_mov_b32_e32 v19, v6
	v_cmp_ne_u16_sdwa s[0:1], v15, s28 src0_sel:BYTE_1 src1_sel:DWORD
	v_mov_b32_e32 v18, v5
	s_and_saveexec_b64 s[16:17], s[0:1]
	s_cbranch_execz .LBB198_200
; %bb.197:                              ;   in Loop: Header=BB198_136 Depth=1
	v_and_b32_sdwa v20, v15, s29 dst_sel:DWORD dst_unused:UNUSED_PAD src0_sel:BYTE_1 src1_sel:DWORD
	v_mov_b32_e32 v11, v5
	v_mov_b32_e32 v19, v12
	v_cmp_ne_u32_e64 s[0:1], s29, v20
	v_mov_b32_e32 v18, v11
	s_and_saveexec_b64 s[18:19], s[0:1]
	s_cbranch_execz .LBB198_199
; %bb.198:                              ;   in Loop: Header=BB198_136 Depth=1
	v_and_b32_sdwa v18, v15, v37 dst_sel:DWORD dst_unused:UNUSED_PAD src0_sel:BYTE_1 src1_sel:DWORD
	v_ffbh_u32_e32 v21, v18
	v_min_u32_e32 v23, 32, v21
	v_mov_b32_e32 v19, v5
	v_subrev_u32_e32 v21, 28, v23
	v_lshlrev_b64 v[21:22], v21, v[18:19]
	v_lshrrev_b32_e32 v11, 3, v20
	v_sub_u32_e32 v19, 29, v23
	v_cmp_gt_u32_e64 s[0:1], 8, v20
	v_and_b32_e32 v21, 7, v21
	v_cndmask_b32_e64 v11, v11, v19, s[0:1]
	v_cndmask_b32_e64 v18, v18, v21, s[0:1]
	v_lshlrev_b32_e32 v19, 16, v15
	v_lshl_add_u32 v11, v11, 23, v36
	v_and_or_b32 v11, v19, s30, v11
	v_lshlrev_b32_e32 v18, 20, v18
	v_or_b32_e32 v19, v11, v18
	v_mov_b32_e32 v18, v5
.LBB198_199:                            ;   in Loop: Header=BB198_136 Depth=1
	s_or_b64 exec, exec, s[18:19]
.LBB198_200:                            ;   in Loop: Header=BB198_136 Depth=1
	s_or_b64 exec, exec, s[16:17]
.LBB198_201:                            ;   in Loop: Header=BB198_136 Depth=1
	s_or_b64 exec, exec, s[12:13]
	v_lshrrev_b32_e32 v11, 16, v15
	v_mov_b32_e32 v22, 0
	v_mov_b32_e32 v20, 0
	;; [unrolled: 1-line block ×4, first 2 shown]
	v_cmp_ne_u16_sdwa s[0:1], v11, v5 src0_sel:BYTE_0 src1_sel:DWORD
	s_and_saveexec_b64 s[12:13], s[0:1]
	s_cbranch_execz .LBB198_207
; %bb.202:                              ;   in Loop: Header=BB198_136 Depth=1
	v_bfrev_b32_e32 v20, 1
	v_mov_b32_e32 v21, 0
	v_cmp_ne_u16_sdwa s[0:1], v11, s28 src0_sel:BYTE_0 src1_sel:DWORD
	s_and_saveexec_b64 s[16:17], s[0:1]
	s_cbranch_execz .LBB198_206
; %bb.203:                              ;   in Loop: Header=BB198_136 Depth=1
	v_bfe_u32 v51, v15, 16, 7
	v_mov_b32_e32 v20, 0x7f800001
	v_mov_b32_e32 v21, 0
	v_cmp_ne_u32_e64 s[0:1], s29, v51
	s_and_saveexec_b64 s[18:19], s[0:1]
	s_cbranch_execz .LBB198_205
; %bb.204:                              ;   in Loop: Header=BB198_136 Depth=1
	v_and_b32_e32 v52, 7, v11
	v_ffbh_u32_e32 v20, v52
	v_min_u32_e32 v54, 32, v20
	v_subrev_u32_e32 v20, 28, v54
	v_lshlrev_b64 v[20:21], v20, v[11:12]
	v_lshrrev_b32_e32 v53, 3, v51
	v_sub_u32_e32 v21, 29, v54
	v_and_b32_e32 v20, 7, v20
	v_cmp_gt_u32_e64 s[0:1], 8, v51
	v_cndmask_b32_e64 v21, v53, v21, s[0:1]
	v_cndmask_b32_e64 v20, v52, v20, s[0:1]
	v_lshlrev_b32_e32 v20, 20, v20
	v_and_b32_sdwa v11, sext(v11), s30 dst_sel:DWORD dst_unused:UNUSED_PAD src0_sel:BYTE_0 src1_sel:DWORD
	v_lshl_add_u32 v21, v21, 23, v36
	v_or3_b32 v20, v11, v21, v20
	v_mov_b32_e32 v21, v5
.LBB198_205:                            ;   in Loop: Header=BB198_136 Depth=1
	s_or_b64 exec, exec, s[18:19]
.LBB198_206:                            ;   in Loop: Header=BB198_136 Depth=1
	s_or_b64 exec, exec, s[16:17]
.LBB198_207:                            ;   in Loop: Header=BB198_136 Depth=1
	s_or_b64 exec, exec, s[12:13]
	v_cmp_lt_u32_e64 s[0:1], s31, v15
	s_and_saveexec_b64 s[12:13], s[0:1]
	s_cbranch_execz .LBB198_213
; %bb.208:                              ;   in Loop: Header=BB198_136 Depth=1
	v_mov_b32_e32 v23, v6
	v_cmp_ne_u32_sdwa s[0:1], v15, s28 src0_sel:BYTE_3 src1_sel:DWORD
	v_mov_b32_e32 v22, v5
	s_and_saveexec_b64 s[16:17], s[0:1]
	s_cbranch_execz .LBB198_212
; %bb.209:                              ;   in Loop: Header=BB198_136 Depth=1
	v_bfe_u32 v51, v15, 24, 7
	v_mov_b32_e32 v11, v5
	v_mov_b32_e32 v23, v12
	v_cmp_ne_u32_e64 s[0:1], s29, v51
	v_mov_b32_e32 v22, v11
	s_and_saveexec_b64 s[18:19], s[0:1]
	s_cbranch_execz .LBB198_211
; %bb.210:                              ;   in Loop: Header=BB198_136 Depth=1
	v_and_b32_sdwa v22, v15, v37 dst_sel:DWORD dst_unused:UNUSED_PAD src0_sel:BYTE_3 src1_sel:DWORD
	v_ffbh_u32_e32 v52, v22
	v_min_u32_e32 v54, 32, v52
	v_mov_b32_e32 v23, v5
	v_subrev_u32_e32 v52, 28, v54
	v_lshlrev_b64 v[52:53], v52, v[22:23]
	v_lshrrev_b32_e32 v11, 3, v51
	v_sub_u32_e32 v23, 29, v54
	v_cmp_gt_u32_e64 s[0:1], 8, v51
	v_and_b32_e32 v52, 7, v52
	v_cndmask_b32_e64 v11, v11, v23, s[0:1]
	v_cndmask_b32_e64 v22, v22, v52, s[0:1]
	v_lshlrev_b32_sdwa v15, v38, v15 dst_sel:DWORD dst_unused:UNUSED_PAD src0_sel:DWORD src1_sel:BYTE_3
	v_lshl_add_u32 v11, v11, 23, v36
	v_and_or_b32 v11, v15, s30, v11
	v_lshlrev_b32_e32 v15, 20, v22
	v_or_b32_e32 v23, v11, v15
	v_mov_b32_e32 v22, v5
.LBB198_211:                            ;   in Loop: Header=BB198_136 Depth=1
	s_or_b64 exec, exec, s[18:19]
.LBB198_212:                            ;   in Loop: Header=BB198_136 Depth=1
	s_or_b64 exec, exec, s[16:17]
.LBB198_213:                            ;   in Loop: Header=BB198_136 Depth=1
	s_or_b64 exec, exec, s[12:13]
	v_or_b32_e32 v11, v19, v17
	v_or_b32_e32 v15, v18, v16
	v_mul_f32_e32 v51, s38, v11
	v_mul_f32_e32 v52, s37, v15
	v_or_b32_e32 v11, v23, v21
	v_or_b32_e32 v15, v22, v20
	v_mul_f32_e32 v23, s37, v15
	v_mul_f32_e32 v22, s38, v11
	s_and_saveexec_b64 s[12:13], vcc
; %bb.214:                              ;   in Loop: Header=BB198_136 Depth=1
	v_cmp_gt_i32_e64 s[0:1], s33, v43
	v_cndmask_b32_e64 v52, 0, v52, s[0:1]
	v_cmp_gt_i32_e64 s[0:1], s33, v46
	v_cndmask_b32_e64 v51, 0, v51, s[0:1]
	;; [unrolled: 2-line block ×4, first 2 shown]
; %bb.215:                              ;   in Loop: Header=BB198_136 Depth=1
	s_or_b64 exec, exec, s[12:13]
	global_load_dword v13, v[13:14], off offset:768
	v_mov_b32_e32 v16, 0
	v_mov_b32_e32 v14, 0
	;; [unrolled: 1-line block ×4, first 2 shown]
	s_waitcnt vmcnt(0)
	v_cmp_ne_u16_sdwa s[0:1], v13, v5 src0_sel:BYTE_0 src1_sel:DWORD
	s_and_saveexec_b64 s[12:13], s[0:1]
	s_cbranch_execz .LBB198_221
; %bb.216:                              ;   in Loop: Header=BB198_136 Depth=1
	v_bfrev_b32_e32 v14, 1
	v_mov_b32_e32 v15, 0
	v_cmp_ne_u16_sdwa s[0:1], v13, s28 src0_sel:BYTE_0 src1_sel:DWORD
	s_and_saveexec_b64 s[16:17], s[0:1]
	s_cbranch_execz .LBB198_220
; %bb.217:                              ;   in Loop: Header=BB198_136 Depth=1
	v_and_b32_e32 v11, 0x7f, v13
	v_mov_b32_e32 v14, 0x7f800001
	v_mov_b32_e32 v15, 0
	v_cmp_ne_u32_e64 s[0:1], s29, v11
	s_and_saveexec_b64 s[18:19], s[0:1]
	s_cbranch_execz .LBB198_219
; %bb.218:                              ;   in Loop: Header=BB198_136 Depth=1
	v_and_b32_e32 v18, 7, v13
	v_ffbh_u32_e32 v14, v18
	v_min_u32_e32 v20, 32, v14
	v_subrev_u32_e32 v14, 28, v20
	v_lshlrev_b64 v[14:15], v14, v[13:14]
	v_lshrrev_b32_e32 v19, 3, v11
	v_sub_u32_e32 v15, 29, v20
	v_and_b32_e32 v14, 7, v14
	v_cmp_gt_u32_e64 s[0:1], 8, v11
	v_cndmask_b32_e64 v11, v19, v15, s[0:1]
	v_cndmask_b32_e64 v14, v18, v14, s[0:1]
	v_lshlrev_b32_e32 v14, 20, v14
	v_and_b32_sdwa v15, sext(v13), s30 dst_sel:DWORD dst_unused:UNUSED_PAD src0_sel:BYTE_0 src1_sel:DWORD
	v_lshl_add_u32 v11, v11, 23, v36
	v_or3_b32 v14, v15, v11, v14
	v_mov_b32_e32 v15, v5
.LBB198_219:                            ;   in Loop: Header=BB198_136 Depth=1
	s_or_b64 exec, exec, s[18:19]
.LBB198_220:                            ;   in Loop: Header=BB198_136 Depth=1
	s_or_b64 exec, exec, s[16:17]
.LBB198_221:                            ;   in Loop: Header=BB198_136 Depth=1
	s_or_b64 exec, exec, s[12:13]
	v_cmp_ne_u16_sdwa s[0:1], v13, v5 src0_sel:BYTE_1 src1_sel:DWORD
	s_and_saveexec_b64 s[12:13], s[0:1]
	s_cbranch_execz .LBB198_227
; %bb.222:                              ;   in Loop: Header=BB198_136 Depth=1
	v_mov_b32_e32 v17, v6
	v_cmp_ne_u16_sdwa s[0:1], v13, s28 src0_sel:BYTE_1 src1_sel:DWORD
	v_mov_b32_e32 v16, v5
	s_and_saveexec_b64 s[16:17], s[0:1]
	s_cbranch_execz .LBB198_226
; %bb.223:                              ;   in Loop: Header=BB198_136 Depth=1
	v_and_b32_sdwa v18, v13, s29 dst_sel:DWORD dst_unused:UNUSED_PAD src0_sel:BYTE_1 src1_sel:DWORD
	v_mov_b32_e32 v11, v5
	v_mov_b32_e32 v17, v12
	v_cmp_ne_u32_e64 s[0:1], s29, v18
	v_mov_b32_e32 v16, v11
	s_and_saveexec_b64 s[18:19], s[0:1]
	s_cbranch_execz .LBB198_225
; %bb.224:                              ;   in Loop: Header=BB198_136 Depth=1
	v_and_b32_sdwa v16, v13, v37 dst_sel:DWORD dst_unused:UNUSED_PAD src0_sel:BYTE_1 src1_sel:DWORD
	v_ffbh_u32_e32 v19, v16
	v_min_u32_e32 v21, 32, v19
	v_mov_b32_e32 v17, v5
	v_subrev_u32_e32 v19, 28, v21
	v_lshlrev_b64 v[19:20], v19, v[16:17]
	v_lshrrev_b32_e32 v11, 3, v18
	v_sub_u32_e32 v17, 29, v21
	v_cmp_gt_u32_e64 s[0:1], 8, v18
	v_and_b32_e32 v19, 7, v19
	v_cndmask_b32_e64 v11, v11, v17, s[0:1]
	v_cndmask_b32_e64 v16, v16, v19, s[0:1]
	v_lshlrev_b32_e32 v17, 16, v13
	v_lshl_add_u32 v11, v11, 23, v36
	v_and_or_b32 v11, v17, s30, v11
	v_lshlrev_b32_e32 v16, 20, v16
	v_or_b32_e32 v17, v11, v16
	v_mov_b32_e32 v16, v5
.LBB198_225:                            ;   in Loop: Header=BB198_136 Depth=1
	s_or_b64 exec, exec, s[18:19]
.LBB198_226:                            ;   in Loop: Header=BB198_136 Depth=1
	s_or_b64 exec, exec, s[16:17]
.LBB198_227:                            ;   in Loop: Header=BB198_136 Depth=1
	s_or_b64 exec, exec, s[12:13]
	v_lshrrev_b32_e32 v11, 16, v13
	v_mov_b32_e32 v20, 0
	v_mov_b32_e32 v18, 0
	;; [unrolled: 1-line block ×4, first 2 shown]
	v_cmp_ne_u16_sdwa s[0:1], v11, v5 src0_sel:BYTE_0 src1_sel:DWORD
	s_and_saveexec_b64 s[12:13], s[0:1]
	s_cbranch_execz .LBB198_233
; %bb.228:                              ;   in Loop: Header=BB198_136 Depth=1
	v_bfrev_b32_e32 v18, 1
	v_mov_b32_e32 v19, 0
	v_cmp_ne_u16_sdwa s[0:1], v11, s28 src0_sel:BYTE_0 src1_sel:DWORD
	s_and_saveexec_b64 s[16:17], s[0:1]
	s_cbranch_execz .LBB198_232
; %bb.229:                              ;   in Loop: Header=BB198_136 Depth=1
	v_bfe_u32 v53, v13, 16, 7
	v_mov_b32_e32 v18, 0x7f800001
	v_mov_b32_e32 v19, 0
	v_cmp_ne_u32_e64 s[0:1], s29, v53
	s_and_saveexec_b64 s[18:19], s[0:1]
	s_cbranch_execz .LBB198_231
; %bb.230:                              ;   in Loop: Header=BB198_136 Depth=1
	v_and_b32_e32 v54, 7, v11
	v_ffbh_u32_e32 v18, v54
	v_min_u32_e32 v56, 32, v18
	v_subrev_u32_e32 v18, 28, v56
	v_lshlrev_b64 v[18:19], v18, v[11:12]
	v_lshrrev_b32_e32 v55, 3, v53
	v_sub_u32_e32 v19, 29, v56
	v_and_b32_e32 v18, 7, v18
	v_cmp_gt_u32_e64 s[0:1], 8, v53
	v_cndmask_b32_e64 v19, v55, v19, s[0:1]
	v_cndmask_b32_e64 v18, v54, v18, s[0:1]
	v_lshlrev_b32_e32 v18, 20, v18
	v_and_b32_sdwa v11, sext(v11), s30 dst_sel:DWORD dst_unused:UNUSED_PAD src0_sel:BYTE_0 src1_sel:DWORD
	v_lshl_add_u32 v19, v19, 23, v36
	v_or3_b32 v18, v11, v19, v18
	v_mov_b32_e32 v19, v5
.LBB198_231:                            ;   in Loop: Header=BB198_136 Depth=1
	s_or_b64 exec, exec, s[18:19]
.LBB198_232:                            ;   in Loop: Header=BB198_136 Depth=1
	s_or_b64 exec, exec, s[16:17]
.LBB198_233:                            ;   in Loop: Header=BB198_136 Depth=1
	s_or_b64 exec, exec, s[12:13]
	v_cmp_lt_u32_e64 s[0:1], s31, v13
	s_and_saveexec_b64 s[12:13], s[0:1]
	s_cbranch_execz .LBB198_239
; %bb.234:                              ;   in Loop: Header=BB198_136 Depth=1
	v_mov_b32_e32 v21, v6
	v_cmp_ne_u32_sdwa s[0:1], v13, s28 src0_sel:BYTE_3 src1_sel:DWORD
	v_mov_b32_e32 v20, v5
	s_and_saveexec_b64 s[16:17], s[0:1]
	s_cbranch_execz .LBB198_238
; %bb.235:                              ;   in Loop: Header=BB198_136 Depth=1
	v_bfe_u32 v53, v13, 24, 7
	v_mov_b32_e32 v11, v5
	v_mov_b32_e32 v21, v12
	v_cmp_ne_u32_e64 s[0:1], s29, v53
	v_mov_b32_e32 v20, v11
	s_and_saveexec_b64 s[18:19], s[0:1]
	s_cbranch_execz .LBB198_237
; %bb.236:                              ;   in Loop: Header=BB198_136 Depth=1
	v_and_b32_sdwa v20, v13, v37 dst_sel:DWORD dst_unused:UNUSED_PAD src0_sel:BYTE_3 src1_sel:DWORD
	v_ffbh_u32_e32 v54, v20
	v_min_u32_e32 v56, 32, v54
	v_mov_b32_e32 v21, v5
	v_subrev_u32_e32 v54, 28, v56
	v_lshlrev_b64 v[54:55], v54, v[20:21]
	v_lshrrev_b32_e32 v11, 3, v53
	v_sub_u32_e32 v21, 29, v56
	v_cmp_gt_u32_e64 s[0:1], 8, v53
	v_and_b32_e32 v54, 7, v54
	v_cndmask_b32_e64 v11, v11, v21, s[0:1]
	v_cndmask_b32_e64 v20, v20, v54, s[0:1]
	v_lshlrev_b32_sdwa v13, v38, v13 dst_sel:DWORD dst_unused:UNUSED_PAD src0_sel:DWORD src1_sel:BYTE_3
	v_lshl_add_u32 v11, v11, 23, v36
	v_and_or_b32 v11, v13, s30, v11
	v_lshlrev_b32_e32 v13, 20, v20
	v_or_b32_e32 v21, v11, v13
	v_mov_b32_e32 v20, v5
.LBB198_237:                            ;   in Loop: Header=BB198_136 Depth=1
	s_or_b64 exec, exec, s[18:19]
.LBB198_238:                            ;   in Loop: Header=BB198_136 Depth=1
	s_or_b64 exec, exec, s[16:17]
.LBB198_239:                            ;   in Loop: Header=BB198_136 Depth=1
	s_or_b64 exec, exec, s[12:13]
	v_or_b32_e32 v13, v16, v14
	v_or_b32_e32 v11, v17, v15
	v_mul_f32_e32 v15, s37, v13
	v_or_b32_e32 v13, v21, v19
	v_or_b32_e32 v14, v20, v18
	v_mul_f32_e32 v11, s38, v11
	v_mul_f32_e32 v14, s37, v14
	v_mul_f32_e32 v13, s38, v13
	s_and_saveexec_b64 s[0:1], vcc
	s_cbranch_execz .LBB198_134
; %bb.240:                              ;   in Loop: Header=BB198_136 Depth=1
	v_cmp_gt_i32_e32 vcc, s33, v43
	v_cndmask_b32_e32 v15, 0, v15, vcc
	v_cmp_gt_i32_e32 vcc, s33, v46
	v_cndmask_b32_e32 v11, 0, v11, vcc
	;; [unrolled: 2-line block ×4, first 2 shown]
	s_branch .LBB198_134
.LBB198_241:
	s_or_b64 exec, exec, s[4:5]
.LBB198_242:
	s_or_b64 exec, exec, s[2:3]
	ds_bpermute_b32 v1, v26, v33
	ds_bpermute_b32 v0, v26, v32
	;; [unrolled: 1-line block ×4, first 2 shown]
	s_waitcnt lgkmcnt(0)
	v_add_f32_e32 v1, v33, v1
	v_add_f32_e32 v0, v32, v0
	;; [unrolled: 1-line block ×4, first 2 shown]
	ds_bpermute_b32 v5, v25, v1
	ds_bpermute_b32 v4, v25, v0
	;; [unrolled: 1-line block ×4, first 2 shown]
	s_waitcnt lgkmcnt(0)
	s_barrier
	v_add_f32_e32 v1, v1, v5
	v_add_f32_e32 v0, v0, v4
	ds_bpermute_b32 v5, v27, v1
	v_add_f32_e32 v2, v2, v6
	v_add_f32_e32 v3, v3, v7
	ds_bpermute_b32 v4, v27, v0
	ds_bpermute_b32 v6, v27, v2
	;; [unrolled: 1-line block ×3, first 2 shown]
	s_waitcnt lgkmcnt(3)
	v_add_f32_e32 v1, v1, v5
	v_and_b32_e32 v5, 0x3c7, v57
	s_waitcnt lgkmcnt(2)
	v_add_f32_e32 v0, v0, v4
	s_waitcnt lgkmcnt(1)
	v_add_f32_e32 v2, v2, v6
	s_waitcnt lgkmcnt(0)
	v_add_f32_e32 v3, v3, v7
	v_cmp_eq_u32_e32 vcc, 64, v5
	s_and_saveexec_b64 s[0:1], vcc
	s_cbranch_execz .LBB198_244
; %bb.243:
	v_lshrrev_b32_e32 v4, 1, v24
	v_add_u32_e32 v4, 0x90, v4
	ds_write2_b32 v4, v0, v1 offset1:8
	ds_write2_b32 v4, v2, v3 offset0:16 offset1:24
.LBB198_244:
	s_or_b64 exec, exec, s[0:1]
	v_cmp_gt_u32_e32 vcc, 64, v57
	v_lshrrev_b32_e32 v4, 3, v57
	s_waitcnt lgkmcnt(0)
	s_barrier
	s_and_saveexec_b64 s[0:1], vcc
	s_cbranch_execz .LBB198_251
; %bb.245:
	v_mov_b32_e32 v6, 0x90
	v_cmp_eq_u32_e32 vcc, 0, v28
	v_lshl_add_u32 v6, v4, 2, v6
	s_and_saveexec_b64 s[2:3], vcc
	s_cbranch_execnz .LBB198_254
; %bb.246:
	s_or_b64 exec, exec, s[2:3]
	s_and_saveexec_b64 s[2:3], vcc
	s_cbranch_execnz .LBB198_255
.LBB198_247:
	s_or_b64 exec, exec, s[2:3]
	s_and_saveexec_b64 s[2:3], vcc
	s_cbranch_execnz .LBB198_256
.LBB198_248:
	s_or_b64 exec, exec, s[2:3]
	s_and_saveexec_b64 s[2:3], vcc
	s_cbranch_execz .LBB198_250
.LBB198_249:
	ds_read_b32 v6, v6 offset:96
	s_waitcnt lgkmcnt(0)
	v_add_f32_e32 v3, v3, v6
.LBB198_250:
	s_or_b64 exec, exec, s[2:3]
.LBB198_251:
	s_or_b64 exec, exec, s[0:1]
	v_cmp_eq_u32_e32 vcc, 0, v5
	s_barrier
	s_and_saveexec_b64 s[0:1], vcc
	s_cbranch_execz .LBB198_253
; %bb.252:
	s_mul_i32 s0, s10, s11
	s_mul_i32 s0, s0, s9
	s_lshl_b32 s0, s0, 5
	s_ashr_i32 s1, s0, 31
	s_lshl_b64 s[0:1], s[0:1], 2
	s_add_u32 s2, s26, s0
	s_mul_i32 s0, s11, s24
	s_addc_u32 s3, s27, s1
	s_ashr_i32 s1, s0, 31
	s_lshl_b64 s[0:1], s[0:1], 2
	s_add_u32 s2, s2, s0
	s_addc_u32 s3, s3, s1
	s_lshl_b32 s0, s8, 5
	s_ashr_i32 s1, s0, 31
	s_lshl_b64 s[0:1], s[0:1], 2
	s_add_u32 s0, s2, s0
	s_addc_u32 s1, s3, s1
	v_lshlrev_b32_e32 v4, 2, v4
	global_store_dword v4, v0, s[0:1]
	global_store_dword v4, v1, s[0:1] offset:32
	global_store_dword v4, v2, s[0:1] offset:64
	;; [unrolled: 1-line block ×3, first 2 shown]
.LBB198_253:
	s_endpgm
.LBB198_254:
	ds_read_b32 v7, v6
	s_waitcnt lgkmcnt(0)
	v_add_f32_e32 v0, v0, v7
	s_or_b64 exec, exec, s[2:3]
	s_and_saveexec_b64 s[2:3], vcc
	s_cbranch_execz .LBB198_247
.LBB198_255:
	ds_read_b32 v7, v6 offset:32
	s_waitcnt lgkmcnt(0)
	v_add_f32_e32 v1, v1, v7
	s_or_b64 exec, exec, s[2:3]
	s_and_saveexec_b64 s[2:3], vcc
	s_cbranch_execz .LBB198_248
.LBB198_256:
	ds_read_b32 v7, v6 offset:64
	s_waitcnt lgkmcnt(0)
	v_add_f32_e32 v2, v2, v7
	s_or_b64 exec, exec, s[2:3]
	s_and_saveexec_b64 s[2:3], vcc
	s_cbranch_execnz .LBB198_249
	s_branch .LBB198_250
	.section	.rodata,"a",@progbits
	.p2align	6, 0x0
	.amdhsa_kernel _ZN4vllm25paged_attention_v1_kernelIfhLi32ELi32ELi128ELNS_18Fp8KVCacheDataTypeE1ELb1EEEvPT_PKS2_PKT0_S8_ifPKiSA_iPKfiiiSC_SC_iiiii
		.amdhsa_group_segment_fixed_size 144
		.amdhsa_private_segment_fixed_size 48
		.amdhsa_kernarg_size 384
		.amdhsa_user_sgpr_count 6
		.amdhsa_user_sgpr_private_segment_buffer 1
		.amdhsa_user_sgpr_dispatch_ptr 0
		.amdhsa_user_sgpr_queue_ptr 0
		.amdhsa_user_sgpr_kernarg_segment_ptr 1
		.amdhsa_user_sgpr_dispatch_id 0
		.amdhsa_user_sgpr_flat_scratch_init 0
		.amdhsa_user_sgpr_private_segment_size 0
		.amdhsa_uses_dynamic_stack 0
		.amdhsa_system_sgpr_private_segment_wavefront_offset 1
		.amdhsa_system_sgpr_workgroup_id_x 1
		.amdhsa_system_sgpr_workgroup_id_y 1
		.amdhsa_system_sgpr_workgroup_id_z 1
		.amdhsa_system_sgpr_workgroup_info 0
		.amdhsa_system_vgpr_workitem_id 0
		.amdhsa_next_free_vgpr 64
		.amdhsa_next_free_sgpr 60
		.amdhsa_reserve_vcc 1
		.amdhsa_reserve_flat_scratch 0
		.amdhsa_float_round_mode_32 0
		.amdhsa_float_round_mode_16_64 0
		.amdhsa_float_denorm_mode_32 3
		.amdhsa_float_denorm_mode_16_64 3
		.amdhsa_dx10_clamp 1
		.amdhsa_ieee_mode 1
		.amdhsa_fp16_overflow 0
		.amdhsa_exception_fp_ieee_invalid_op 0
		.amdhsa_exception_fp_denorm_src 0
		.amdhsa_exception_fp_ieee_div_zero 0
		.amdhsa_exception_fp_ieee_overflow 0
		.amdhsa_exception_fp_ieee_underflow 0
		.amdhsa_exception_fp_ieee_inexact 0
		.amdhsa_exception_int_div_zero 0
	.end_amdhsa_kernel
	.section	.text._ZN4vllm25paged_attention_v1_kernelIfhLi32ELi32ELi128ELNS_18Fp8KVCacheDataTypeE1ELb1EEEvPT_PKS2_PKT0_S8_ifPKiSA_iPKfiiiSC_SC_iiiii,"axG",@progbits,_ZN4vllm25paged_attention_v1_kernelIfhLi32ELi32ELi128ELNS_18Fp8KVCacheDataTypeE1ELb1EEEvPT_PKS2_PKT0_S8_ifPKiSA_iPKfiiiSC_SC_iiiii,comdat
.Lfunc_end198:
	.size	_ZN4vllm25paged_attention_v1_kernelIfhLi32ELi32ELi128ELNS_18Fp8KVCacheDataTypeE1ELb1EEEvPT_PKS2_PKT0_S8_ifPKiSA_iPKfiiiSC_SC_iiiii, .Lfunc_end198-_ZN4vllm25paged_attention_v1_kernelIfhLi32ELi32ELi128ELNS_18Fp8KVCacheDataTypeE1ELb1EEEvPT_PKS2_PKT0_S8_ifPKiSA_iPKfiiiSC_SC_iiiii
                                        ; -- End function
	.set _ZN4vllm25paged_attention_v1_kernelIfhLi32ELi32ELi128ELNS_18Fp8KVCacheDataTypeE1ELb1EEEvPT_PKS2_PKT0_S8_ifPKiSA_iPKfiiiSC_SC_iiiii.num_vgpr, 64
	.set _ZN4vllm25paged_attention_v1_kernelIfhLi32ELi32ELi128ELNS_18Fp8KVCacheDataTypeE1ELb1EEEvPT_PKS2_PKT0_S8_ifPKiSA_iPKfiiiSC_SC_iiiii.num_agpr, 0
	.set _ZN4vllm25paged_attention_v1_kernelIfhLi32ELi32ELi128ELNS_18Fp8KVCacheDataTypeE1ELb1EEEvPT_PKS2_PKT0_S8_ifPKiSA_iPKfiiiSC_SC_iiiii.numbered_sgpr, 60
	.set _ZN4vllm25paged_attention_v1_kernelIfhLi32ELi32ELi128ELNS_18Fp8KVCacheDataTypeE1ELb1EEEvPT_PKS2_PKT0_S8_ifPKiSA_iPKfiiiSC_SC_iiiii.num_named_barrier, 0
	.set _ZN4vllm25paged_attention_v1_kernelIfhLi32ELi32ELi128ELNS_18Fp8KVCacheDataTypeE1ELb1EEEvPT_PKS2_PKT0_S8_ifPKiSA_iPKfiiiSC_SC_iiiii.private_seg_size, 48
	.set _ZN4vllm25paged_attention_v1_kernelIfhLi32ELi32ELi128ELNS_18Fp8KVCacheDataTypeE1ELb1EEEvPT_PKS2_PKT0_S8_ifPKiSA_iPKfiiiSC_SC_iiiii.uses_vcc, 1
	.set _ZN4vllm25paged_attention_v1_kernelIfhLi32ELi32ELi128ELNS_18Fp8KVCacheDataTypeE1ELb1EEEvPT_PKS2_PKT0_S8_ifPKiSA_iPKfiiiSC_SC_iiiii.uses_flat_scratch, 0
	.set _ZN4vllm25paged_attention_v1_kernelIfhLi32ELi32ELi128ELNS_18Fp8KVCacheDataTypeE1ELb1EEEvPT_PKS2_PKT0_S8_ifPKiSA_iPKfiiiSC_SC_iiiii.has_dyn_sized_stack, 0
	.set _ZN4vllm25paged_attention_v1_kernelIfhLi32ELi32ELi128ELNS_18Fp8KVCacheDataTypeE1ELb1EEEvPT_PKS2_PKT0_S8_ifPKiSA_iPKfiiiSC_SC_iiiii.has_recursion, 0
	.set _ZN4vllm25paged_attention_v1_kernelIfhLi32ELi32ELi128ELNS_18Fp8KVCacheDataTypeE1ELb1EEEvPT_PKS2_PKT0_S8_ifPKiSA_iPKfiiiSC_SC_iiiii.has_indirect_call, 0
	.section	.AMDGPU.csdata,"",@progbits
; Kernel info:
; codeLenInByte = 10852
; TotalNumSgprs: 64
; NumVgprs: 64
; ScratchSize: 48
; MemoryBound: 0
; FloatMode: 240
; IeeeMode: 1
; LDSByteSize: 144 bytes/workgroup (compile time only)
; SGPRBlocks: 7
; VGPRBlocks: 15
; NumSGPRsForWavesPerEU: 64
; NumVGPRsForWavesPerEU: 64
; Occupancy: 4
; WaveLimiterHint : 1
; COMPUTE_PGM_RSRC2:SCRATCH_EN: 1
; COMPUTE_PGM_RSRC2:USER_SGPR: 6
; COMPUTE_PGM_RSRC2:TRAP_HANDLER: 0
; COMPUTE_PGM_RSRC2:TGID_X_EN: 1
; COMPUTE_PGM_RSRC2:TGID_Y_EN: 1
; COMPUTE_PGM_RSRC2:TGID_Z_EN: 1
; COMPUTE_PGM_RSRC2:TIDIG_COMP_CNT: 0
	.section	.text._ZN4vllm25paged_attention_v1_kernelIfhLi64ELi32ELi128ELNS_18Fp8KVCacheDataTypeE1ELb1EEEvPT_PKS2_PKT0_S8_ifPKiSA_iPKfiiiSC_SC_iiiii,"axG",@progbits,_ZN4vllm25paged_attention_v1_kernelIfhLi64ELi32ELi128ELNS_18Fp8KVCacheDataTypeE1ELb1EEEvPT_PKS2_PKT0_S8_ifPKiSA_iPKfiiiSC_SC_iiiii,comdat
	.protected	_ZN4vllm25paged_attention_v1_kernelIfhLi64ELi32ELi128ELNS_18Fp8KVCacheDataTypeE1ELb1EEEvPT_PKS2_PKT0_S8_ifPKiSA_iPKfiiiSC_SC_iiiii ; -- Begin function _ZN4vllm25paged_attention_v1_kernelIfhLi64ELi32ELi128ELNS_18Fp8KVCacheDataTypeE1ELb1EEEvPT_PKS2_PKT0_S8_ifPKiSA_iPKfiiiSC_SC_iiiii
	.globl	_ZN4vllm25paged_attention_v1_kernelIfhLi64ELi32ELi128ELNS_18Fp8KVCacheDataTypeE1ELb1EEEvPT_PKS2_PKT0_S8_ifPKiSA_iPKfiiiSC_SC_iiiii
	.p2align	8
	.type	_ZN4vllm25paged_attention_v1_kernelIfhLi64ELi32ELi128ELNS_18Fp8KVCacheDataTypeE1ELb1EEEvPT_PKS2_PKT0_S8_ifPKiSA_iPKfiiiSC_SC_iiiii,@function
_ZN4vllm25paged_attention_v1_kernelIfhLi64ELi32ELi128ELNS_18Fp8KVCacheDataTypeE1ELb1EEEvPT_PKS2_PKT0_S8_ifPKiSA_iPKfiiiSC_SC_iiiii: ; @_ZN4vllm25paged_attention_v1_kernelIfhLi64ELi32ELi128ELNS_18Fp8KVCacheDataTypeE1ELb1EEEvPT_PKS2_PKT0_S8_ifPKiSA_iPKfiiiSC_SC_iiiii
; %bb.0:
	s_mov_b64 s[58:59], s[2:3]
	s_mov_b64 s[56:57], s[0:1]
	s_add_u32 s56, s56, s9
	s_load_dword s9, s[4:5], 0x80
	s_load_dwordx2 s[0:1], s[4:5], 0x30
	s_load_dwordx2 s[36:37], s[4:5], 0x20
	s_addc_u32 s57, s57, 0
	s_mov_b32 s10, s7
	s_ashr_i32 s11, s7, 31
	s_lshl_b64 s[2:3], s[10:11], 2
	s_waitcnt lgkmcnt(0)
	s_add_u32 s0, s0, s2
	s_addc_u32 s1, s1, s3
	s_abs_i32 s2, s36
	v_mov_b32_e32 v11, v0
	v_cvt_f32_u32_e32 v0, s2
	s_sub_i32 s11, 0, s2
	s_abs_i32 s7, s9
	s_xor_b32 s3, s9, s36
	v_rcp_iflag_f32_e32 v0, v0
	s_ashr_i32 s3, s3, 31
	s_mov_b32 s48, 0
	v_mul_f32_e32 v0, 0x4f7ffffe, v0
	v_cvt_u32_f32_e32 v0, v0
	v_readfirstlane_b32 s12, v0
	s_mul_i32 s11, s11, s12
	s_mul_hi_u32 s11, s12, s11
	s_add_i32 s12, s12, s11
	s_mul_hi_u32 s11, s7, s12
	s_mul_i32 s12, s11, s2
	s_sub_i32 s7, s7, s12
	s_add_i32 s12, s11, 1
	s_sub_i32 s13, s7, s2
	s_cmp_ge_u32 s7, s2
	s_cselect_b32 s11, s12, s11
	s_cselect_b32 s7, s13, s7
	s_add_i32 s12, s11, 1
	s_cmp_ge_u32 s7, s2
	s_cselect_b32 s2, s12, s11
	s_xor_b32 s2, s2, s3
	s_sub_i32 s14, s2, s3
	s_abs_i32 s11, s14
	v_cvt_f32_u32_e32 v0, s11
	s_load_dwordx2 s[2:3], s[4:5], 0x40
	s_sub_i32 s7, 0, s11
	s_abs_i32 s12, s6
	v_rcp_iflag_f32_e32 v0, v0
	v_mul_f32_e32 v0, 0x4f7ffffe, v0
	v_cvt_u32_f32_e32 v0, v0
	v_readfirstlane_b32 s13, v0
	s_mul_i32 s7, s7, s13
	s_mul_hi_u32 s7, s13, s7
	s_add_i32 s13, s13, s7
	s_waitcnt lgkmcnt(0)
	s_cmp_eq_u64 s[2:3], 0
	s_mul_hi_u32 s13, s12, s13
	s_cbranch_scc1 .LBB199_2
; %bb.1:
	s_ashr_i32 s7, s6, 31
	s_lshl_b64 s[16:17], s[6:7], 2
	s_add_u32 s2, s2, s16
	s_addc_u32 s3, s3, s17
	s_load_dword s48, s[2:3], 0x0
.LBB199_2:
	s_load_dword s33, s[0:1], 0x0
	s_load_dwordx4 s[16:19], s[4:5], 0x48
	s_ashr_i32 s3, s6, 31
	s_ashr_i32 s7, s14, 31
	v_and_b32_e32 v0, 1, v11
	s_lshl_b32 s24, s6, 6
	v_cmp_gt_u32_e32 vcc, 32, v11
	v_lshlrev_b32_e32 v12, 2, v11
	s_and_saveexec_b64 s[0:1], vcc
	s_cbranch_execz .LBB199_4
; %bb.3:
	s_load_dwordx2 s[14:15], s[4:5], 0x8
	s_waitcnt lgkmcnt(0)
	s_mul_i32 s20, s16, s10
	s_ashr_i32 s21, s20, 31
	s_lshl_b64 s[20:21], s[20:21], 2
	v_lshlrev_b32_e32 v1, 3, v11
	s_add_u32 s2, s14, s20
	s_addc_u32 s16, s15, s21
	s_ashr_i32 s25, s24, 31
	s_lshl_b64 s[14:15], s[24:25], 2
	s_add_u32 s14, s2, s14
	s_addc_u32 s15, s16, s15
	global_load_dwordx2 v[1:2], v1, s[14:15]
	v_and_b32_e32 v3, 0xff8, v12
	v_lshl_add_u32 v3, v0, 7, v3
	s_waitcnt vmcnt(0)
	ds_write_b64 v3, v[1:2]
.LBB199_4:
	s_or_b64 exec, exec, s[0:1]
	s_mul_i32 s1, s13, s11
	s_sub_i32 s1, s12, s1
	s_xor_b32 s0, s3, s7
	s_add_i32 s3, s13, 1
	s_sub_i32 s7, s1, s11
	s_load_dwordx4 s[20:23], s[4:5], 0x68
	s_load_dword s2, s[4:5], 0x78
	s_cmp_ge_u32 s1, s11
	s_cselect_b32 s3, s3, s13
	s_cselect_b32 s1, s7, s1
	s_add_i32 s7, s3, 1
	s_cmp_ge_u32 s1, s11
	s_cselect_b32 s1, s7, s3
	s_waitcnt lgkmcnt(0)
	s_abs_i32 s25, s23
	v_cvt_f32_u32_e32 v1, s25
	s_xor_b32 s1, s1, s0
	s_sub_i32 s47, s1, s0
	s_sub_i32 s0, 0, s25
	v_rcp_iflag_f32_e32 v1, v1
	s_add_i32 s11, s33, -1
	s_abs_i32 s3, s11
	v_mul_f32_e32 v1, 0x4f7ffffe, v1
	v_cvt_u32_f32_e32 v1, v1
	s_barrier
	v_readfirstlane_b32 s46, v1
	s_mul_i32 s0, s0, s46
	s_mul_hi_u32 s0, s46, s0
	s_add_i32 s46, s46, s0
	s_cmp_lt_i32 s2, 0
	s_mul_hi_u32 s7, s3, s46
	s_cbranch_scc0 .LBB199_6
; %bb.5:
	s_mul_i32 s0, s20, s36
	s_add_i32 s0, s47, s0
	s_mul_i32 s0, s0, s2
	s_sub_i32 s36, 1, s0
	s_mov_b64 s[0:1], 0
	s_branch .LBB199_7
.LBB199_6:
	s_mov_b64 s[0:1], -1
                                        ; implicit-def: $sgpr36
.LBB199_7:
	s_load_dwordx2 s[28:29], s[4:5], 0x28
	s_ashr_i32 s16, s11, 31
	s_andn2_b64 vcc, exec, s[0:1]
	s_ashr_i32 s23, s23, 31
	s_cbranch_vccnz .LBB199_9
; %bb.8:
	s_mul_i32 s0, s9, s20
	s_add_i32 s0, s0, s6
	s_mul_i32 s0, s0, s2
	s_add_i32 s36, s0, 1
.LBB199_9:
	s_load_dword s0, s[4:5], 0x38
	s_load_dwordx2 s[26:27], s[4:5], 0x0
	s_load_dwordx2 s[34:35], s[4:5], 0x18
	s_load_dword s11, s[4:5], 0x88
	s_load_dwordx4 s[12:15], s[4:5], 0x58
	s_mul_i32 s1, s7, s25
	s_waitcnt lgkmcnt(0)
	s_mul_i32 s30, s0, s10
	s_sub_i32 s1, s3, s1
	s_ashr_i32 s31, s30, 31
	s_xor_b32 s0, s16, s23
	s_add_i32 s2, s7, 1
	s_sub_i32 s3, s1, s25
	s_cmp_ge_u32 s1, s25
	s_cselect_b32 s2, s2, s7
	s_cselect_b32 s1, s3, s1
	s_add_i32 s3, s2, 1
	s_cmp_ge_u32 s1, s25
	s_cselect_b32 s1, s3, s2
	s_xor_b32 s1, s1, s0
	s_sub_i32 s16, s1, s0
	s_add_i32 s0, s33, 31
	s_ashr_i32 s1, s0, 31
	s_lshr_b32 s1, s1, 27
	s_add_i32 s0, s0, s1
	s_ashr_i32 s20, s0, 5
	v_lshrrev_b32_e32 v55, 6, v11
	v_cmp_gt_i32_e64 s[0:1], s20, v55
	v_mov_b32_e32 v3, 0xff7fffff
	s_mul_i32 s47, s47, s18
	v_lshrrev_b32_e32 v13, 4, v11
	v_lshlrev_b32_e32 v31, 5, v55
	v_mbcnt_lo_u32_b32 v5, -1, 0
	s_mov_b64 s[18:19], exec
	s_and_b64 s[2:3], s[18:19], s[0:1]
	buffer_store_dword v11, off, s[56:59], 0 offset:220 ; 4-byte Folded Spill
	s_mov_b64 exec, s[2:3]
	s_cbranch_execz .LBB199_213
; %bb.10:
	s_load_dwordx2 s[2:3], s[4:5], 0x10
	s_sub_i32 s49, s16, s21
	s_ashr_i32 s4, s47, 31
	v_cmp_eq_u32_e32 vcc, 0, v0
	v_lshlrev_b32_e32 v2, 1, v0
	s_waitcnt lgkmcnt(0)
	s_add_u32 s5, s2, s47
	s_addc_u32 s4, s3, s4
	s_abs_i32 s50, s22
	v_cvt_f32_u32_e32 v1, s50
	s_sub_i32 s2, 0, s50
	v_lshlrev_b32_e32 v63, 7, v0
	v_bfe_u32 v6, v11, 1, 5
	v_rcp_iflag_f32_e32 v1, v1
	v_lshlrev_b32_e32 v3, 4, v6
	v_mov_b32_e32 v4, s4
	v_add_co_u32_e64 v3, s[4:5], s5, v3
	v_mul_f32_e32 v1, 0x4f7ffffe, v1
	v_cvt_u32_f32_e32 v1, v1
	v_addc_co_u32_e64 v4, s[4:5], 0, v4, s[4:5]
	buffer_store_dword v12, off, s[56:59], 0 offset:224 ; 4-byte Folded Spill
	v_mul_lo_u32 v0, s2, v1
	s_mov_b32 s51, s17
	v_mov_b32_e32 v33, 0
	v_cmp_neq_f32_e64 s[2:3], s48, 0
	v_mul_hi_u32 v0, v1, v0
	s_mov_b64 s[38:39], 0
	s_movk_i32 s52, 0x80
	s_movk_i32 s53, 0x7f
	v_add_u32_e32 v0, v1, v0
	buffer_store_dword v0, off, s[56:59], 0 offset:64 ; 4-byte Folded Spill
	v_add_co_u32_e64 v0, s[4:5], v3, v2
	v_addc_co_u32_e64 v1, s[4:5], 0, v4, s[4:5]
	s_lshl_b64 s[4:5], s[30:31], 2
	buffer_store_dword v0, off, s[56:59], 0 offset:200 ; 4-byte Folded Spill
	s_nop 0
	buffer_store_dword v1, off, s[56:59], 0 offset:204 ; 4-byte Folded Spill
	buffer_store_dword v13, off, s[56:59], 0 offset:228 ; 4-byte Folded Spill
	s_add_u32 s4, s28, s4
	v_and_b32_e32 v0, 60, v13
	s_addc_u32 s5, s29, s5
	v_mov_b32_e32 v1, s5
	v_add_co_u32_e64 v37, s[4:5], s4, v0
	v_addc_co_u32_e64 v38, s[4:5], 0, v1, s[4:5]
	v_subrev_u32_e32 v1, s33, v6
	v_add_u32_e32 v1, 1, v1
	buffer_store_dword v1, off, s[56:59], 0 offset:216 ; 4-byte Folded Spill
	buffer_store_dword v6, off, s[56:59], 0 offset:212 ; 4-byte Folded Spill
	v_lshlrev_b32_e32 v1, 2, v6
	v_lshl_or_b32 v1, v55, 7, v1
	v_add_u32_e32 v32, 0x110, v1
	v_mbcnt_hi_u32_b32 v1, -1, v5
	v_lshlrev_b32_e32 v0, 5, v55
	s_brev_b32 s54, 1
	v_bfrev_b32_e32 v34, 1
	buffer_store_dword v1, off, s[56:59], 0 offset:208 ; 4-byte Folded Spill
	v_mov_b32_e32 v1, 0xff7fffff
	v_mov_b32_e32 v30, v55
	;; [unrolled: 1-line block ×3, first 2 shown]
	buffer_store_dword v1, off, s[56:59], 0 offset:196 ; 4-byte Folded Spill
	s_branch .LBB199_13
.LBB199_11:                             ;   in Loop: Header=BB199_13 Depth=1
	s_or_b64 exec, exec, s[40:41]
.LBB199_12:                             ;   in Loop: Header=BB199_13 Depth=1
	s_or_b64 exec, exec, s[6:7]
	v_add_co_u32_e64 v37, s[4:5], 8, v37
	v_add_u32_e32 v30, 2, v30
	v_addc_co_u32_e64 v38, s[4:5], 0, v38, s[4:5]
	v_cmp_le_i32_e64 s[4:5], s20, v30
	v_add_u32_e32 v0, 64, v0
	s_or_b64 s[38:39], s[4:5], s[38:39]
	v_add_u32_e32 v32, 0x100, v32
	s_andn2_b64 exec, exec, s[38:39]
	s_cbranch_execz .LBB199_212
.LBB199_13:                             ; =>This Inner Loop Header: Depth=1
	buffer_load_dword v4, off, s[56:59], 0 offset:64 ; 4-byte Folded Reload
	v_mul_hi_u32 v1, v0, s46
	s_waitcnt lgkmcnt(0)
	v_mul_lo_u32 v2, v1, s25
	v_add_u32_e32 v3, 1, v1
	v_sub_u32_e32 v2, v0, v2
	v_cmp_le_u32_e64 s[4:5], s25, v2
	v_cndmask_b32_e64 v1, v1, v3, s[4:5]
	v_subrev_u32_e32 v3, s25, v2
	v_cndmask_b32_e64 v2, v2, v3, s[4:5]
	v_add_u32_e32 v3, 1, v1
	v_cmp_le_u32_e64 s[4:5], s25, v2
	v_cndmask_b32_e64 v1, v1, v3, s[4:5]
	v_xor_b32_e32 v1, s23, v1
	v_subrev_u32_e32 v1, s23, v1
	v_add_u32_e32 v2, s36, v1
	v_sub_u32_e32 v3, 0, v2
	v_max_i32_e32 v3, v2, v3
	v_ashrrev_i32_e32 v2, 31, v2
	v_cmp_ge_i32_e64 s[6:7], s49, v1
	s_waitcnt vmcnt(0)
	v_mul_hi_u32 v4, v3, v4
	v_mul_lo_u32 v4, v4, s50
	v_sub_u32_e32 v3, v3, v4
	v_subrev_u32_e32 v4, s50, v3
	v_cmp_le_u32_e64 s[4:5], s50, v3
	v_cndmask_b32_e64 v3, v3, v4, s[4:5]
	v_subrev_u32_e32 v4, s50, v3
	v_cmp_le_u32_e64 s[4:5], s50, v3
	v_cndmask_b32_e64 v3, v3, v4, s[4:5]
	v_xor_b32_e32 v3, v3, v2
	v_sub_u32_e32 v2, v3, v2
	v_cmp_ne_u32_e64 s[4:5], 0, v2
	s_and_b64 s[4:5], s[4:5], s[6:7]
	s_and_saveexec_b64 s[6:7], s[4:5]
	s_xor_b64 s[4:5], exec, s[6:7]
	s_cbranch_execz .LBB199_17
; %bb.14:                               ;   in Loop: Header=BB199_13 Depth=1
	s_and_saveexec_b64 s[6:7], vcc
; %bb.15:                               ;   in Loop: Header=BB199_13 Depth=1
	v_mov_b32_e32 v1, 0xff7fffff
	ds_write_b32 v32, v1
; %bb.16:                               ;   in Loop: Header=BB199_13 Depth=1
	s_or_b64 exec, exec, s[6:7]
.LBB199_17:                             ;   in Loop: Header=BB199_13 Depth=1
	s_andn2_saveexec_b64 s[6:7], s[4:5]
	s_cbranch_execz .LBB199_12
; %bb.18:                               ;   in Loop: Header=BB199_13 Depth=1
	global_load_dword v1, v[37:38], off
	buffer_load_dword v2, off, s[56:59], 0 offset:200 ; 4-byte Folded Reload
	buffer_load_dword v3, off, s[56:59], 0 offset:204 ; 4-byte Folded Reload
	v_mov_b32_e32 v61, 0
	v_mov_b32_e32 v59, 0
	v_mov_b32_e32 v62, 0
	v_mov_b32_e32 v60, 0
	s_waitcnt vmcnt(0)
	v_mad_i64_i32 v[49:50], s[4:5], v1, s51, v[2:3]
	ds_read_b128 v[3:6], v63
	global_load_ushort v2, v[49:50], off
	s_waitcnt lgkmcnt(0)
	buffer_store_dword v3, off, s[56:59], 0 offset:180 ; 4-byte Folded Spill
	s_nop 0
	buffer_store_dword v4, off, s[56:59], 0 offset:184 ; 4-byte Folded Spill
	buffer_store_dword v5, off, s[56:59], 0 offset:188 ; 4-byte Folded Spill
	;; [unrolled: 1-line block ×3, first 2 shown]
	ds_read_b128 v[3:6], v63 offset:16
	s_waitcnt lgkmcnt(0)
	buffer_store_dword v3, off, s[56:59], 0 offset:164 ; 4-byte Folded Spill
	s_nop 0
	buffer_store_dword v4, off, s[56:59], 0 offset:168 ; 4-byte Folded Spill
	buffer_store_dword v5, off, s[56:59], 0 offset:172 ; 4-byte Folded Spill
	;; [unrolled: 1-line block ×3, first 2 shown]
	s_load_dword s55, s[12:13], 0x0
	s_waitcnt vmcnt(8)
	v_and_b32_e32 v1, 0xffff, v2
	v_cmp_ne_u16_sdwa s[4:5], v2, v33 src0_sel:BYTE_0 src1_sel:DWORD
	ds_read_b128 v[2:5], v63 offset:32
	s_waitcnt lgkmcnt(0)
	buffer_store_dword v2, off, s[56:59], 0 offset:148 ; 4-byte Folded Spill
	s_nop 0
	buffer_store_dword v3, off, s[56:59], 0 offset:152 ; 4-byte Folded Spill
	buffer_store_dword v4, off, s[56:59], 0 offset:156 ; 4-byte Folded Spill
	buffer_store_dword v5, off, s[56:59], 0 offset:160 ; 4-byte Folded Spill
	ds_read_b128 v[2:5], v63 offset:48
	s_waitcnt lgkmcnt(0)
	buffer_store_dword v2, off, s[56:59], 0 offset:132 ; 4-byte Folded Spill
	s_nop 0
	buffer_store_dword v3, off, s[56:59], 0 offset:136 ; 4-byte Folded Spill
	buffer_store_dword v4, off, s[56:59], 0 offset:140 ; 4-byte Folded Spill
	buffer_store_dword v5, off, s[56:59], 0 offset:144 ; 4-byte Folded Spill
	;; [unrolled: 7-line block ×6, first 2 shown]
	s_and_saveexec_b64 s[40:41], s[4:5]
	s_cbranch_execz .LBB199_24
; %bb.19:                               ;   in Loop: Header=BB199_13 Depth=1
	v_bfrev_b32_e32 v59, 1
	v_mov_b32_e32 v60, 0
	v_cmp_ne_u16_sdwa s[4:5], v1, s52 src0_sel:BYTE_0 src1_sel:DWORD
	s_and_saveexec_b64 s[42:43], s[4:5]
	s_cbranch_execz .LBB199_23
; %bb.20:                               ;   in Loop: Header=BB199_13 Depth=1
	v_and_b32_e32 v2, 0x7f, v1
	v_mov_b32_e32 v59, 0x7f800001
	v_mov_b32_e32 v60, 0
	v_cmp_ne_u32_e64 s[4:5], s53, v2
	s_and_saveexec_b64 s[44:45], s[4:5]
	s_cbranch_execz .LBB199_22
; %bb.21:                               ;   in Loop: Header=BB199_13 Depth=1
	v_and_b32_e32 v4, 7, v1
	v_lshrrev_b32_e32 v5, 3, v2
	v_cmp_gt_u32_e64 s[4:5], 8, v2
	v_ffbh_u32_e32 v2, v4
	v_min_u32_e32 v6, 32, v2
	v_subrev_u32_e32 v2, 28, v6
	v_lshlrev_b64 v[2:3], v2, v[1:2]
	v_sub_u32_e32 v3, 29, v6
	v_and_b32_e32 v2, 7, v2
	v_cndmask_b32_e64 v3, v5, v3, s[4:5]
	v_cndmask_b32_e64 v2, v4, v2, s[4:5]
	v_bfrev_b32_e32 v5, 60
	v_lshlrev_b32_e32 v2, 20, v2
	v_and_b32_sdwa v4, sext(v1), s54 dst_sel:DWORD dst_unused:UNUSED_PAD src0_sel:BYTE_0 src1_sel:DWORD
	v_lshl_add_u32 v3, v3, 23, v5
	v_or3_b32 v59, v4, v3, v2
	v_mov_b32_e32 v60, v33
.LBB199_22:                             ;   in Loop: Header=BB199_13 Depth=1
	s_or_b64 exec, exec, s[44:45]
.LBB199_23:                             ;   in Loop: Header=BB199_13 Depth=1
	s_or_b64 exec, exec, s[42:43]
.LBB199_24:                             ;   in Loop: Header=BB199_13 Depth=1
	s_or_b64 exec, exec, s[40:41]
	v_cmp_ne_u16_sdwa s[4:5], v1, v33 src0_sel:BYTE_1 src1_sel:DWORD
	s_and_saveexec_b64 s[40:41], s[4:5]
	s_cbranch_execz .LBB199_30
; %bb.25:                               ;   in Loop: Header=BB199_13 Depth=1
	v_mov_b32_e32 v62, v34
	v_cmp_ne_u16_sdwa s[4:5], v1, s52 src0_sel:BYTE_1 src1_sel:DWORD
	v_mov_b32_e32 v61, v33
	s_and_saveexec_b64 s[42:43], s[4:5]
	s_cbranch_execz .LBB199_29
; %bb.26:                               ;   in Loop: Header=BB199_13 Depth=1
	v_and_b32_sdwa v2, v1, s53 dst_sel:DWORD dst_unused:UNUSED_PAD src0_sel:BYTE_1 src1_sel:DWORD
	v_mov_b32_e32 v57, v33
	v_mov_b32_e32 v62, v58
	v_cmp_ne_u32_e64 s[4:5], s53, v2
	v_mov_b32_e32 v61, v57
	s_and_saveexec_b64 s[44:45], s[4:5]
	s_cbranch_execz .LBB199_28
; %bb.27:                               ;   in Loop: Header=BB199_13 Depth=1
	v_mov_b32_e32 v3, 7
	v_and_b32_sdwa v3, v1, v3 dst_sel:DWORD dst_unused:UNUSED_PAD src0_sel:BYTE_1 src1_sel:DWORD
	v_lshrrev_b32_e32 v6, 3, v2
	v_cmp_gt_u32_e64 s[4:5], 8, v2
	v_ffbh_u32_e32 v2, v3
	v_min_u32_e32 v2, 32, v2
	v_mov_b32_e32 v4, v33
	v_subrev_u32_e32 v5, 28, v2
	v_lshlrev_b64 v[4:5], v5, v[3:4]
	v_sub_u32_e32 v2, 29, v2
	v_and_b32_e32 v4, 7, v4
	v_cndmask_b32_e64 v2, v6, v2, s[4:5]
	v_cndmask_b32_e64 v3, v3, v4, s[4:5]
	v_bfrev_b32_e32 v4, 60
	v_lshlrev_b32_e32 v1, 16, v1
	v_lshl_add_u32 v2, v2, 23, v4
	v_and_or_b32 v1, v1, s54, v2
	v_lshlrev_b32_e32 v2, 20, v3
	v_or_b32_e32 v62, v1, v2
	v_mov_b32_e32 v61, v33
.LBB199_28:                             ;   in Loop: Header=BB199_13 Depth=1
	s_or_b64 exec, exec, s[44:45]
.LBB199_29:                             ;   in Loop: Header=BB199_13 Depth=1
	s_or_b64 exec, exec, s[42:43]
.LBB199_30:                             ;   in Loop: Header=BB199_13 Depth=1
	s_or_b64 exec, exec, s[40:41]
	global_load_ushort v2, v[49:50], off offset:4
	v_mov_b32_e32 v35, 0
	v_mov_b32_e32 v25, 0
	;; [unrolled: 1-line block ×4, first 2 shown]
	s_waitcnt vmcnt(0)
	v_and_b32_e32 v1, 0xffff, v2
	v_cmp_ne_u16_sdwa s[4:5], v2, v33 src0_sel:BYTE_0 src1_sel:DWORD
	s_and_saveexec_b64 s[40:41], s[4:5]
	s_cbranch_execz .LBB199_36
; %bb.31:                               ;   in Loop: Header=BB199_13 Depth=1
	v_bfrev_b32_e32 v25, 1
	v_mov_b32_e32 v26, 0
	v_cmp_ne_u16_sdwa s[4:5], v1, s52 src0_sel:BYTE_0 src1_sel:DWORD
	s_and_saveexec_b64 s[42:43], s[4:5]
	s_cbranch_execz .LBB199_35
; %bb.32:                               ;   in Loop: Header=BB199_13 Depth=1
	v_and_b32_e32 v2, 0x7f, v1
	v_mov_b32_e32 v25, 0x7f800001
	v_mov_b32_e32 v26, 0
	v_cmp_ne_u32_e64 s[4:5], s53, v2
	s_and_saveexec_b64 s[44:45], s[4:5]
	s_cbranch_execz .LBB199_34
; %bb.33:                               ;   in Loop: Header=BB199_13 Depth=1
	v_and_b32_e32 v4, 7, v1
	v_lshrrev_b32_e32 v5, 3, v2
	v_cmp_gt_u32_e64 s[4:5], 8, v2
	v_ffbh_u32_e32 v2, v4
	v_min_u32_e32 v6, 32, v2
	v_subrev_u32_e32 v2, 28, v6
	v_lshlrev_b64 v[2:3], v2, v[1:2]
	v_sub_u32_e32 v3, 29, v6
	v_and_b32_e32 v2, 7, v2
	v_cndmask_b32_e64 v3, v5, v3, s[4:5]
	v_cndmask_b32_e64 v2, v4, v2, s[4:5]
	v_bfrev_b32_e32 v5, 60
	v_lshlrev_b32_e32 v2, 20, v2
	v_and_b32_sdwa v4, sext(v1), s54 dst_sel:DWORD dst_unused:UNUSED_PAD src0_sel:BYTE_0 src1_sel:DWORD
	v_lshl_add_u32 v3, v3, 23, v5
	v_or3_b32 v25, v4, v3, v2
	v_mov_b32_e32 v26, v33
.LBB199_34:                             ;   in Loop: Header=BB199_13 Depth=1
	s_or_b64 exec, exec, s[44:45]
.LBB199_35:                             ;   in Loop: Header=BB199_13 Depth=1
	s_or_b64 exec, exec, s[42:43]
.LBB199_36:                             ;   in Loop: Header=BB199_13 Depth=1
	s_or_b64 exec, exec, s[40:41]
	v_cmp_ne_u16_sdwa s[4:5], v1, v33 src0_sel:BYTE_1 src1_sel:DWORD
	s_and_saveexec_b64 s[40:41], s[4:5]
	s_cbranch_execz .LBB199_42
; %bb.37:                               ;   in Loop: Header=BB199_13 Depth=1
	v_mov_b32_e32 v36, v34
	v_cmp_ne_u16_sdwa s[4:5], v1, s52 src0_sel:BYTE_1 src1_sel:DWORD
	v_mov_b32_e32 v35, v33
	s_and_saveexec_b64 s[42:43], s[4:5]
	s_cbranch_execz .LBB199_41
; %bb.38:                               ;   in Loop: Header=BB199_13 Depth=1
	v_mov_b32_e32 v57, v33
	v_and_b32_sdwa v2, v1, s53 dst_sel:DWORD dst_unused:UNUSED_PAD src0_sel:BYTE_1 src1_sel:DWORD
	v_mov_b32_e32 v35, v57
	v_cmp_ne_u32_e64 s[4:5], s53, v2
	v_mov_b32_e32 v36, v58
	s_and_saveexec_b64 s[44:45], s[4:5]
	s_cbranch_execz .LBB199_40
; %bb.39:                               ;   in Loop: Header=BB199_13 Depth=1
	v_mov_b32_e32 v3, 7
	v_and_b32_sdwa v3, v1, v3 dst_sel:DWORD dst_unused:UNUSED_PAD src0_sel:BYTE_1 src1_sel:DWORD
	v_lshrrev_b32_e32 v6, 3, v2
	v_cmp_gt_u32_e64 s[4:5], 8, v2
	v_ffbh_u32_e32 v2, v3
	v_min_u32_e32 v2, 32, v2
	v_mov_b32_e32 v4, v33
	v_subrev_u32_e32 v5, 28, v2
	v_lshlrev_b64 v[4:5], v5, v[3:4]
	v_sub_u32_e32 v2, 29, v2
	v_and_b32_e32 v4, 7, v4
	v_cndmask_b32_e64 v2, v6, v2, s[4:5]
	v_cndmask_b32_e64 v3, v3, v4, s[4:5]
	v_bfrev_b32_e32 v4, 60
	v_lshlrev_b32_e32 v1, 16, v1
	v_lshl_add_u32 v2, v2, 23, v4
	v_and_or_b32 v1, v1, s54, v2
	v_lshlrev_b32_e32 v2, 20, v3
	v_or_b32_e32 v36, v1, v2
	v_mov_b32_e32 v35, v33
.LBB199_40:                             ;   in Loop: Header=BB199_13 Depth=1
	s_or_b64 exec, exec, s[44:45]
.LBB199_41:                             ;   in Loop: Header=BB199_13 Depth=1
	s_or_b64 exec, exec, s[42:43]
.LBB199_42:                             ;   in Loop: Header=BB199_13 Depth=1
	s_or_b64 exec, exec, s[40:41]
	global_load_ushort v2, v[49:50], off offset:8
	v_mov_b32_e32 v45, 0
	v_mov_b32_e32 v46, 0
	s_waitcnt vmcnt(0)
	v_and_b32_e32 v1, 0xffff, v2
	v_cmp_ne_u16_sdwa s[4:5], v2, v33 src0_sel:BYTE_0 src1_sel:DWORD
	v_mov_b32_e32 v2, 0
	v_mov_b32_e32 v3, 0
	buffer_store_dword v2, off, s[56:59], 0 ; 4-byte Folded Spill
	s_nop 0
	buffer_store_dword v3, off, s[56:59], 0 offset:4 ; 4-byte Folded Spill
	s_and_saveexec_b64 s[40:41], s[4:5]
	s_cbranch_execz .LBB199_48
; %bb.43:                               ;   in Loop: Header=BB199_13 Depth=1
	v_bfrev_b32_e32 v45, 1
	v_mov_b32_e32 v46, 0
	v_cmp_ne_u16_sdwa s[4:5], v1, s52 src0_sel:BYTE_0 src1_sel:DWORD
	s_and_saveexec_b64 s[42:43], s[4:5]
	s_cbranch_execz .LBB199_47
; %bb.44:                               ;   in Loop: Header=BB199_13 Depth=1
	v_and_b32_e32 v2, 0x7f, v1
	v_mov_b32_e32 v45, 0x7f800001
	v_mov_b32_e32 v46, 0
	v_cmp_ne_u32_e64 s[4:5], s53, v2
	s_and_saveexec_b64 s[44:45], s[4:5]
	s_cbranch_execz .LBB199_46
; %bb.45:                               ;   in Loop: Header=BB199_13 Depth=1
	v_and_b32_e32 v4, 7, v1
	v_lshrrev_b32_e32 v5, 3, v2
	v_cmp_gt_u32_e64 s[4:5], 8, v2
	v_ffbh_u32_e32 v2, v4
	v_min_u32_e32 v6, 32, v2
	v_subrev_u32_e32 v2, 28, v6
	v_lshlrev_b64 v[2:3], v2, v[1:2]
	v_sub_u32_e32 v3, 29, v6
	v_and_b32_e32 v2, 7, v2
	v_cndmask_b32_e64 v3, v5, v3, s[4:5]
	v_cndmask_b32_e64 v2, v4, v2, s[4:5]
	v_bfrev_b32_e32 v5, 60
	v_lshlrev_b32_e32 v2, 20, v2
	v_and_b32_sdwa v4, sext(v1), s54 dst_sel:DWORD dst_unused:UNUSED_PAD src0_sel:BYTE_0 src1_sel:DWORD
	v_lshl_add_u32 v3, v3, 23, v5
	v_or3_b32 v45, v4, v3, v2
	v_mov_b32_e32 v46, v33
.LBB199_46:                             ;   in Loop: Header=BB199_13 Depth=1
	s_or_b64 exec, exec, s[44:45]
.LBB199_47:                             ;   in Loop: Header=BB199_13 Depth=1
	s_or_b64 exec, exec, s[42:43]
.LBB199_48:                             ;   in Loop: Header=BB199_13 Depth=1
	s_or_b64 exec, exec, s[40:41]
	v_cmp_ne_u16_sdwa s[4:5], v1, v33 src0_sel:BYTE_1 src1_sel:DWORD
	s_and_saveexec_b64 s[40:41], s[4:5]
	s_cbranch_execz .LBB199_54
; %bb.49:                               ;   in Loop: Header=BB199_13 Depth=1
	v_cmp_ne_u16_sdwa s[4:5], v1, s52 src0_sel:BYTE_1 src1_sel:DWORD
	buffer_store_dword v33, off, s[56:59], 0 ; 4-byte Folded Spill
	s_nop 0
	buffer_store_dword v34, off, s[56:59], 0 offset:4 ; 4-byte Folded Spill
	s_and_saveexec_b64 s[42:43], s[4:5]
	s_cbranch_execz .LBB199_53
; %bb.50:                               ;   in Loop: Header=BB199_13 Depth=1
	v_and_b32_sdwa v2, v1, s53 dst_sel:DWORD dst_unused:UNUSED_PAD src0_sel:BYTE_1 src1_sel:DWORD
	v_cmp_ne_u32_e64 s[4:5], s53, v2
	v_mov_b32_e32 v57, v33
	buffer_store_dword v57, off, s[56:59], 0 ; 4-byte Folded Spill
	s_nop 0
	buffer_store_dword v58, off, s[56:59], 0 offset:4 ; 4-byte Folded Spill
	s_and_saveexec_b64 s[44:45], s[4:5]
	s_cbranch_execz .LBB199_52
; %bb.51:                               ;   in Loop: Header=BB199_13 Depth=1
	v_mov_b32_e32 v3, 7
	v_and_b32_sdwa v3, v1, v3 dst_sel:DWORD dst_unused:UNUSED_PAD src0_sel:BYTE_1 src1_sel:DWORD
	v_lshrrev_b32_e32 v6, 3, v2
	v_cmp_gt_u32_e64 s[4:5], 8, v2
	v_ffbh_u32_e32 v2, v3
	v_min_u32_e32 v2, 32, v2
	v_mov_b32_e32 v4, v33
	v_subrev_u32_e32 v5, 28, v2
	v_lshlrev_b64 v[4:5], v5, v[3:4]
	v_sub_u32_e32 v2, 29, v2
	v_and_b32_e32 v4, 7, v4
	v_cndmask_b32_e64 v2, v6, v2, s[4:5]
	v_cndmask_b32_e64 v3, v3, v4, s[4:5]
	v_bfrev_b32_e32 v4, 60
	v_lshlrev_b32_e32 v1, 16, v1
	v_lshl_add_u32 v2, v2, 23, v4
	v_and_or_b32 v1, v1, s54, v2
	v_lshlrev_b32_e32 v2, 20, v3
	v_or_b32_e32 v2, v1, v2
	v_mov_b32_e32 v1, v33
	buffer_store_dword v1, off, s[56:59], 0 ; 4-byte Folded Spill
	s_nop 0
	buffer_store_dword v2, off, s[56:59], 0 offset:4 ; 4-byte Folded Spill
.LBB199_52:                             ;   in Loop: Header=BB199_13 Depth=1
	s_or_b64 exec, exec, s[44:45]
.LBB199_53:                             ;   in Loop: Header=BB199_13 Depth=1
	s_or_b64 exec, exec, s[42:43]
.LBB199_54:                             ;   in Loop: Header=BB199_13 Depth=1
	s_or_b64 exec, exec, s[40:41]
	global_load_ushort v2, v[49:50], off offset:12
	s_waitcnt vmcnt(0)
	v_and_b32_e32 v1, 0xffff, v2
	v_cmp_ne_u16_sdwa s[4:5], v2, v33 src0_sel:BYTE_0 src1_sel:DWORD
	v_mov_b32_e32 v2, 0
	v_mov_b32_e32 v3, 0
	buffer_store_dword v2, off, s[56:59], 0 offset:16 ; 4-byte Folded Spill
	s_nop 0
	buffer_store_dword v3, off, s[56:59], 0 offset:20 ; 4-byte Folded Spill
	v_mov_b32_e32 v2, 0
	v_mov_b32_e32 v3, 0
	buffer_store_dword v2, off, s[56:59], 0 offset:8 ; 4-byte Folded Spill
	s_nop 0
	buffer_store_dword v3, off, s[56:59], 0 offset:12 ; 4-byte Folded Spill
	s_and_saveexec_b64 s[40:41], s[4:5]
	s_cbranch_execz .LBB199_60
; %bb.55:                               ;   in Loop: Header=BB199_13 Depth=1
	v_bfrev_b32_e32 v2, 1
	v_mov_b32_e32 v3, 0
	v_cmp_ne_u16_sdwa s[4:5], v1, s52 src0_sel:BYTE_0 src1_sel:DWORD
	buffer_store_dword v2, off, s[56:59], 0 offset:8 ; 4-byte Folded Spill
	s_nop 0
	buffer_store_dword v3, off, s[56:59], 0 offset:12 ; 4-byte Folded Spill
	s_and_saveexec_b64 s[42:43], s[4:5]
	s_cbranch_execz .LBB199_59
; %bb.56:                               ;   in Loop: Header=BB199_13 Depth=1
	v_and_b32_e32 v2, 0x7f, v1
	v_mov_b32_e32 v3, 0x7f800001
	v_mov_b32_e32 v4, 0
	v_cmp_ne_u32_e64 s[4:5], s53, v2
	buffer_store_dword v3, off, s[56:59], 0 offset:8 ; 4-byte Folded Spill
	s_nop 0
	buffer_store_dword v4, off, s[56:59], 0 offset:12 ; 4-byte Folded Spill
	s_and_saveexec_b64 s[44:45], s[4:5]
	s_cbranch_execz .LBB199_58
; %bb.57:                               ;   in Loop: Header=BB199_13 Depth=1
	v_and_b32_e32 v4, 7, v1
	v_lshrrev_b32_e32 v5, 3, v2
	v_cmp_gt_u32_e64 s[4:5], 8, v2
	v_ffbh_u32_e32 v2, v4
	v_min_u32_e32 v6, 32, v2
	v_subrev_u32_e32 v2, 28, v6
	v_lshlrev_b64 v[2:3], v2, v[1:2]
	v_sub_u32_e32 v3, 29, v6
	v_and_b32_e32 v2, 7, v2
	v_cndmask_b32_e64 v3, v5, v3, s[4:5]
	v_cndmask_b32_e64 v2, v4, v2, s[4:5]
	v_bfrev_b32_e32 v5, 60
	v_lshlrev_b32_e32 v2, 20, v2
	v_and_b32_sdwa v4, sext(v1), s54 dst_sel:DWORD dst_unused:UNUSED_PAD src0_sel:BYTE_0 src1_sel:DWORD
	v_lshl_add_u32 v3, v3, 23, v5
	v_or3_b32 v2, v4, v3, v2
	v_mov_b32_e32 v3, v33
	buffer_store_dword v2, off, s[56:59], 0 offset:8 ; 4-byte Folded Spill
	s_nop 0
	buffer_store_dword v3, off, s[56:59], 0 offset:12 ; 4-byte Folded Spill
.LBB199_58:                             ;   in Loop: Header=BB199_13 Depth=1
	s_or_b64 exec, exec, s[44:45]
.LBB199_59:                             ;   in Loop: Header=BB199_13 Depth=1
	s_or_b64 exec, exec, s[42:43]
.LBB199_60:                             ;   in Loop: Header=BB199_13 Depth=1
	s_or_b64 exec, exec, s[40:41]
	v_cmp_ne_u16_sdwa s[4:5], v1, v33 src0_sel:BYTE_1 src1_sel:DWORD
	s_and_saveexec_b64 s[40:41], s[4:5]
	s_cbranch_execz .LBB199_66
; %bb.61:                               ;   in Loop: Header=BB199_13 Depth=1
	v_cmp_ne_u16_sdwa s[4:5], v1, s52 src0_sel:BYTE_1 src1_sel:DWORD
	buffer_store_dword v33, off, s[56:59], 0 offset:16 ; 4-byte Folded Spill
	s_nop 0
	buffer_store_dword v34, off, s[56:59], 0 offset:20 ; 4-byte Folded Spill
	s_and_saveexec_b64 s[42:43], s[4:5]
	s_cbranch_execz .LBB199_65
; %bb.62:                               ;   in Loop: Header=BB199_13 Depth=1
	v_and_b32_sdwa v2, v1, s53 dst_sel:DWORD dst_unused:UNUSED_PAD src0_sel:BYTE_1 src1_sel:DWORD
	v_cmp_ne_u32_e64 s[4:5], s53, v2
	v_mov_b32_e32 v57, v33
	buffer_store_dword v57, off, s[56:59], 0 offset:16 ; 4-byte Folded Spill
	s_nop 0
	buffer_store_dword v58, off, s[56:59], 0 offset:20 ; 4-byte Folded Spill
	s_and_saveexec_b64 s[44:45], s[4:5]
	s_cbranch_execz .LBB199_64
; %bb.63:                               ;   in Loop: Header=BB199_13 Depth=1
	v_mov_b32_e32 v3, 7
	v_and_b32_sdwa v3, v1, v3 dst_sel:DWORD dst_unused:UNUSED_PAD src0_sel:BYTE_1 src1_sel:DWORD
	v_lshrrev_b32_e32 v6, 3, v2
	v_cmp_gt_u32_e64 s[4:5], 8, v2
	v_ffbh_u32_e32 v2, v3
	v_min_u32_e32 v2, 32, v2
	v_mov_b32_e32 v4, v33
	v_subrev_u32_e32 v5, 28, v2
	v_lshlrev_b64 v[4:5], v5, v[3:4]
	v_sub_u32_e32 v2, 29, v2
	v_and_b32_e32 v4, 7, v4
	v_cndmask_b32_e64 v2, v6, v2, s[4:5]
	v_cndmask_b32_e64 v3, v3, v4, s[4:5]
	v_bfrev_b32_e32 v4, 60
	v_lshlrev_b32_e32 v1, 16, v1
	v_lshl_add_u32 v2, v2, 23, v4
	v_and_or_b32 v1, v1, s54, v2
	v_lshlrev_b32_e32 v2, 20, v3
	v_or_b32_e32 v2, v1, v2
	v_mov_b32_e32 v1, v33
	buffer_store_dword v1, off, s[56:59], 0 offset:16 ; 4-byte Folded Spill
	s_nop 0
	buffer_store_dword v2, off, s[56:59], 0 offset:20 ; 4-byte Folded Spill
.LBB199_64:                             ;   in Loop: Header=BB199_13 Depth=1
	s_or_b64 exec, exec, s[44:45]
.LBB199_65:                             ;   in Loop: Header=BB199_13 Depth=1
	s_or_b64 exec, exec, s[42:43]
.LBB199_66:                             ;   in Loop: Header=BB199_13 Depth=1
	s_or_b64 exec, exec, s[40:41]
	global_load_ushort v2, v[49:50], off offset:512
	s_waitcnt vmcnt(0)
	v_and_b32_e32 v1, 0xffff, v2
	v_cmp_ne_u16_sdwa s[4:5], v2, v33 src0_sel:BYTE_0 src1_sel:DWORD
	v_mov_b32_e32 v2, 0
	v_mov_b32_e32 v3, 0
	buffer_store_dword v2, off, s[56:59], 0 offset:32 ; 4-byte Folded Spill
	s_nop 0
	buffer_store_dword v3, off, s[56:59], 0 offset:36 ; 4-byte Folded Spill
	v_mov_b32_e32 v2, 0
	v_mov_b32_e32 v3, 0
	buffer_store_dword v2, off, s[56:59], 0 offset:24 ; 4-byte Folded Spill
	s_nop 0
	buffer_store_dword v3, off, s[56:59], 0 offset:28 ; 4-byte Folded Spill
	s_and_saveexec_b64 s[40:41], s[4:5]
	s_cbranch_execz .LBB199_72
; %bb.67:                               ;   in Loop: Header=BB199_13 Depth=1
	v_bfrev_b32_e32 v2, 1
	v_mov_b32_e32 v3, 0
	v_cmp_ne_u16_sdwa s[4:5], v1, s52 src0_sel:BYTE_0 src1_sel:DWORD
	buffer_store_dword v2, off, s[56:59], 0 offset:24 ; 4-byte Folded Spill
	s_nop 0
	buffer_store_dword v3, off, s[56:59], 0 offset:28 ; 4-byte Folded Spill
	s_and_saveexec_b64 s[42:43], s[4:5]
	s_cbranch_execz .LBB199_71
; %bb.68:                               ;   in Loop: Header=BB199_13 Depth=1
	v_and_b32_e32 v2, 0x7f, v1
	v_mov_b32_e32 v3, 0x7f800001
	v_mov_b32_e32 v4, 0
	v_cmp_ne_u32_e64 s[4:5], s53, v2
	buffer_store_dword v3, off, s[56:59], 0 offset:24 ; 4-byte Folded Spill
	s_nop 0
	buffer_store_dword v4, off, s[56:59], 0 offset:28 ; 4-byte Folded Spill
	s_and_saveexec_b64 s[44:45], s[4:5]
	s_cbranch_execz .LBB199_70
; %bb.69:                               ;   in Loop: Header=BB199_13 Depth=1
	v_and_b32_e32 v4, 7, v1
	v_lshrrev_b32_e32 v5, 3, v2
	v_cmp_gt_u32_e64 s[4:5], 8, v2
	v_ffbh_u32_e32 v2, v4
	v_min_u32_e32 v6, 32, v2
	v_subrev_u32_e32 v2, 28, v6
	v_lshlrev_b64 v[2:3], v2, v[1:2]
	v_sub_u32_e32 v3, 29, v6
	v_and_b32_e32 v2, 7, v2
	v_cndmask_b32_e64 v3, v5, v3, s[4:5]
	v_cndmask_b32_e64 v2, v4, v2, s[4:5]
	v_bfrev_b32_e32 v5, 60
	v_lshlrev_b32_e32 v2, 20, v2
	v_and_b32_sdwa v4, sext(v1), s54 dst_sel:DWORD dst_unused:UNUSED_PAD src0_sel:BYTE_0 src1_sel:DWORD
	v_lshl_add_u32 v3, v3, 23, v5
	v_or3_b32 v2, v4, v3, v2
	v_mov_b32_e32 v3, v33
	buffer_store_dword v2, off, s[56:59], 0 offset:24 ; 4-byte Folded Spill
	s_nop 0
	buffer_store_dword v3, off, s[56:59], 0 offset:28 ; 4-byte Folded Spill
.LBB199_70:                             ;   in Loop: Header=BB199_13 Depth=1
	s_or_b64 exec, exec, s[44:45]
.LBB199_71:                             ;   in Loop: Header=BB199_13 Depth=1
	s_or_b64 exec, exec, s[42:43]
.LBB199_72:                             ;   in Loop: Header=BB199_13 Depth=1
	s_or_b64 exec, exec, s[40:41]
	v_cmp_ne_u16_sdwa s[4:5], v1, v33 src0_sel:BYTE_1 src1_sel:DWORD
	s_and_saveexec_b64 s[40:41], s[4:5]
	s_cbranch_execz .LBB199_78
; %bb.73:                               ;   in Loop: Header=BB199_13 Depth=1
	v_cmp_ne_u16_sdwa s[4:5], v1, s52 src0_sel:BYTE_1 src1_sel:DWORD
	buffer_store_dword v33, off, s[56:59], 0 offset:32 ; 4-byte Folded Spill
	s_nop 0
	buffer_store_dword v34, off, s[56:59], 0 offset:36 ; 4-byte Folded Spill
	s_and_saveexec_b64 s[42:43], s[4:5]
	s_cbranch_execz .LBB199_77
; %bb.74:                               ;   in Loop: Header=BB199_13 Depth=1
	v_and_b32_sdwa v2, v1, s53 dst_sel:DWORD dst_unused:UNUSED_PAD src0_sel:BYTE_1 src1_sel:DWORD
	v_cmp_ne_u32_e64 s[4:5], s53, v2
	v_mov_b32_e32 v57, v33
	buffer_store_dword v57, off, s[56:59], 0 offset:32 ; 4-byte Folded Spill
	s_nop 0
	buffer_store_dword v58, off, s[56:59], 0 offset:36 ; 4-byte Folded Spill
	s_and_saveexec_b64 s[44:45], s[4:5]
	s_cbranch_execz .LBB199_76
; %bb.75:                               ;   in Loop: Header=BB199_13 Depth=1
	v_mov_b32_e32 v3, 7
	v_and_b32_sdwa v3, v1, v3 dst_sel:DWORD dst_unused:UNUSED_PAD src0_sel:BYTE_1 src1_sel:DWORD
	v_lshrrev_b32_e32 v6, 3, v2
	v_cmp_gt_u32_e64 s[4:5], 8, v2
	v_ffbh_u32_e32 v2, v3
	v_min_u32_e32 v2, 32, v2
	v_mov_b32_e32 v4, v33
	v_subrev_u32_e32 v5, 28, v2
	v_lshlrev_b64 v[4:5], v5, v[3:4]
	v_sub_u32_e32 v2, 29, v2
	v_and_b32_e32 v4, 7, v4
	v_cndmask_b32_e64 v2, v6, v2, s[4:5]
	v_cndmask_b32_e64 v3, v3, v4, s[4:5]
	v_bfrev_b32_e32 v4, 60
	v_lshlrev_b32_e32 v1, 16, v1
	v_lshl_add_u32 v2, v2, 23, v4
	v_and_or_b32 v1, v1, s54, v2
	v_lshlrev_b32_e32 v2, 20, v3
	v_or_b32_e32 v2, v1, v2
	v_mov_b32_e32 v1, v33
	buffer_store_dword v1, off, s[56:59], 0 offset:32 ; 4-byte Folded Spill
	s_nop 0
	buffer_store_dword v2, off, s[56:59], 0 offset:36 ; 4-byte Folded Spill
.LBB199_76:                             ;   in Loop: Header=BB199_13 Depth=1
	s_or_b64 exec, exec, s[44:45]
.LBB199_77:                             ;   in Loop: Header=BB199_13 Depth=1
	s_or_b64 exec, exec, s[42:43]
.LBB199_78:                             ;   in Loop: Header=BB199_13 Depth=1
	s_or_b64 exec, exec, s[40:41]
	global_load_ushort v2, v[49:50], off offset:516
	s_waitcnt vmcnt(0)
	v_and_b32_e32 v1, 0xffff, v2
	v_cmp_ne_u16_sdwa s[4:5], v2, v33 src0_sel:BYTE_0 src1_sel:DWORD
	v_mov_b32_e32 v2, 0
	v_mov_b32_e32 v3, 0
	buffer_store_dword v2, off, s[56:59], 0 offset:48 ; 4-byte Folded Spill
	s_nop 0
	buffer_store_dword v3, off, s[56:59], 0 offset:52 ; 4-byte Folded Spill
	v_mov_b32_e32 v2, 0
	v_mov_b32_e32 v3, 0
	buffer_store_dword v2, off, s[56:59], 0 offset:40 ; 4-byte Folded Spill
	s_nop 0
	buffer_store_dword v3, off, s[56:59], 0 offset:44 ; 4-byte Folded Spill
	s_and_saveexec_b64 s[40:41], s[4:5]
	s_cbranch_execz .LBB199_84
; %bb.79:                               ;   in Loop: Header=BB199_13 Depth=1
	v_bfrev_b32_e32 v2, 1
	v_mov_b32_e32 v3, 0
	v_cmp_ne_u16_sdwa s[4:5], v1, s52 src0_sel:BYTE_0 src1_sel:DWORD
	buffer_store_dword v2, off, s[56:59], 0 offset:40 ; 4-byte Folded Spill
	s_nop 0
	buffer_store_dword v3, off, s[56:59], 0 offset:44 ; 4-byte Folded Spill
	s_and_saveexec_b64 s[42:43], s[4:5]
	s_cbranch_execz .LBB199_83
; %bb.80:                               ;   in Loop: Header=BB199_13 Depth=1
	v_and_b32_e32 v2, 0x7f, v1
	v_mov_b32_e32 v3, 0x7f800001
	v_mov_b32_e32 v4, 0
	v_cmp_ne_u32_e64 s[4:5], s53, v2
	buffer_store_dword v3, off, s[56:59], 0 offset:40 ; 4-byte Folded Spill
	s_nop 0
	buffer_store_dword v4, off, s[56:59], 0 offset:44 ; 4-byte Folded Spill
	s_and_saveexec_b64 s[44:45], s[4:5]
	s_cbranch_execz .LBB199_82
; %bb.81:                               ;   in Loop: Header=BB199_13 Depth=1
	v_and_b32_e32 v4, 7, v1
	v_lshrrev_b32_e32 v5, 3, v2
	v_cmp_gt_u32_e64 s[4:5], 8, v2
	v_ffbh_u32_e32 v2, v4
	v_min_u32_e32 v6, 32, v2
	v_subrev_u32_e32 v2, 28, v6
	v_lshlrev_b64 v[2:3], v2, v[1:2]
	v_sub_u32_e32 v3, 29, v6
	v_and_b32_e32 v2, 7, v2
	v_cndmask_b32_e64 v3, v5, v3, s[4:5]
	v_cndmask_b32_e64 v2, v4, v2, s[4:5]
	v_bfrev_b32_e32 v5, 60
	v_lshlrev_b32_e32 v2, 20, v2
	v_and_b32_sdwa v4, sext(v1), s54 dst_sel:DWORD dst_unused:UNUSED_PAD src0_sel:BYTE_0 src1_sel:DWORD
	v_lshl_add_u32 v3, v3, 23, v5
	v_or3_b32 v2, v4, v3, v2
	v_mov_b32_e32 v3, v33
	buffer_store_dword v2, off, s[56:59], 0 offset:40 ; 4-byte Folded Spill
	s_nop 0
	buffer_store_dword v3, off, s[56:59], 0 offset:44 ; 4-byte Folded Spill
.LBB199_82:                             ;   in Loop: Header=BB199_13 Depth=1
	s_or_b64 exec, exec, s[44:45]
.LBB199_83:                             ;   in Loop: Header=BB199_13 Depth=1
	s_or_b64 exec, exec, s[42:43]
.LBB199_84:                             ;   in Loop: Header=BB199_13 Depth=1
	s_or_b64 exec, exec, s[40:41]
	v_cmp_ne_u16_sdwa s[4:5], v1, v33 src0_sel:BYTE_1 src1_sel:DWORD
	s_and_saveexec_b64 s[40:41], s[4:5]
	s_cbranch_execz .LBB199_90
; %bb.85:                               ;   in Loop: Header=BB199_13 Depth=1
	v_cmp_ne_u16_sdwa s[4:5], v1, s52 src0_sel:BYTE_1 src1_sel:DWORD
	buffer_store_dword v33, off, s[56:59], 0 offset:48 ; 4-byte Folded Spill
	s_nop 0
	buffer_store_dword v34, off, s[56:59], 0 offset:52 ; 4-byte Folded Spill
	s_and_saveexec_b64 s[42:43], s[4:5]
	s_cbranch_execz .LBB199_89
; %bb.86:                               ;   in Loop: Header=BB199_13 Depth=1
	v_and_b32_sdwa v2, v1, s53 dst_sel:DWORD dst_unused:UNUSED_PAD src0_sel:BYTE_1 src1_sel:DWORD
	v_cmp_ne_u32_e64 s[4:5], s53, v2
	v_mov_b32_e32 v57, v33
	buffer_store_dword v57, off, s[56:59], 0 offset:48 ; 4-byte Folded Spill
	s_nop 0
	buffer_store_dword v58, off, s[56:59], 0 offset:52 ; 4-byte Folded Spill
	s_and_saveexec_b64 s[44:45], s[4:5]
	s_cbranch_execz .LBB199_88
; %bb.87:                               ;   in Loop: Header=BB199_13 Depth=1
	v_mov_b32_e32 v3, 7
	v_and_b32_sdwa v3, v1, v3 dst_sel:DWORD dst_unused:UNUSED_PAD src0_sel:BYTE_1 src1_sel:DWORD
	v_lshrrev_b32_e32 v6, 3, v2
	v_cmp_gt_u32_e64 s[4:5], 8, v2
	v_ffbh_u32_e32 v2, v3
	v_min_u32_e32 v2, 32, v2
	v_mov_b32_e32 v4, v33
	v_subrev_u32_e32 v5, 28, v2
	v_lshlrev_b64 v[4:5], v5, v[3:4]
	v_sub_u32_e32 v2, 29, v2
	v_and_b32_e32 v4, 7, v4
	v_cndmask_b32_e64 v2, v6, v2, s[4:5]
	v_cndmask_b32_e64 v3, v3, v4, s[4:5]
	v_bfrev_b32_e32 v4, 60
	v_lshlrev_b32_e32 v1, 16, v1
	v_lshl_add_u32 v2, v2, 23, v4
	v_and_or_b32 v1, v1, s54, v2
	v_lshlrev_b32_e32 v2, 20, v3
	v_or_b32_e32 v2, v1, v2
	v_mov_b32_e32 v1, v33
	buffer_store_dword v1, off, s[56:59], 0 offset:48 ; 4-byte Folded Spill
	s_nop 0
	buffer_store_dword v2, off, s[56:59], 0 offset:52 ; 4-byte Folded Spill
.LBB199_88:                             ;   in Loop: Header=BB199_13 Depth=1
	s_or_b64 exec, exec, s[44:45]
.LBB199_89:                             ;   in Loop: Header=BB199_13 Depth=1
	s_or_b64 exec, exec, s[42:43]
.LBB199_90:                             ;   in Loop: Header=BB199_13 Depth=1
	s_or_b64 exec, exec, s[40:41]
	global_load_ushort v2, v[49:50], off offset:520
	v_mov_b32_e32 v43, 0
	v_mov_b32_e32 v44, 0
	s_waitcnt vmcnt(0)
	v_and_b32_e32 v1, 0xffff, v2
	v_cmp_ne_u16_sdwa s[4:5], v2, v33 src0_sel:BYTE_0 src1_sel:DWORD
	v_mov_b32_e32 v2, 0
	v_mov_b32_e32 v3, 0
	buffer_store_dword v2, off, s[56:59], 0 offset:56 ; 4-byte Folded Spill
	s_nop 0
	buffer_store_dword v3, off, s[56:59], 0 offset:60 ; 4-byte Folded Spill
	s_and_saveexec_b64 s[40:41], s[4:5]
	s_cbranch_execz .LBB199_96
; %bb.91:                               ;   in Loop: Header=BB199_13 Depth=1
	v_bfrev_b32_e32 v2, 1
	v_mov_b32_e32 v3, 0
	v_cmp_ne_u16_sdwa s[4:5], v1, s52 src0_sel:BYTE_0 src1_sel:DWORD
	buffer_store_dword v2, off, s[56:59], 0 offset:56 ; 4-byte Folded Spill
	s_nop 0
	buffer_store_dword v3, off, s[56:59], 0 offset:60 ; 4-byte Folded Spill
	s_and_saveexec_b64 s[42:43], s[4:5]
	s_cbranch_execz .LBB199_95
; %bb.92:                               ;   in Loop: Header=BB199_13 Depth=1
	v_and_b32_e32 v2, 0x7f, v1
	v_mov_b32_e32 v3, 0x7f800001
	v_mov_b32_e32 v4, 0
	v_cmp_ne_u32_e64 s[4:5], s53, v2
	buffer_store_dword v3, off, s[56:59], 0 offset:56 ; 4-byte Folded Spill
	s_nop 0
	buffer_store_dword v4, off, s[56:59], 0 offset:60 ; 4-byte Folded Spill
	s_and_saveexec_b64 s[44:45], s[4:5]
	s_cbranch_execz .LBB199_94
; %bb.93:                               ;   in Loop: Header=BB199_13 Depth=1
	v_and_b32_e32 v4, 7, v1
	v_lshrrev_b32_e32 v5, 3, v2
	v_cmp_gt_u32_e64 s[4:5], 8, v2
	v_ffbh_u32_e32 v2, v4
	v_min_u32_e32 v6, 32, v2
	v_subrev_u32_e32 v2, 28, v6
	v_lshlrev_b64 v[2:3], v2, v[1:2]
	v_sub_u32_e32 v3, 29, v6
	v_and_b32_e32 v2, 7, v2
	v_cndmask_b32_e64 v3, v5, v3, s[4:5]
	v_cndmask_b32_e64 v2, v4, v2, s[4:5]
	v_bfrev_b32_e32 v5, 60
	v_lshlrev_b32_e32 v2, 20, v2
	v_and_b32_sdwa v4, sext(v1), s54 dst_sel:DWORD dst_unused:UNUSED_PAD src0_sel:BYTE_0 src1_sel:DWORD
	v_lshl_add_u32 v3, v3, 23, v5
	v_or3_b32 v2, v4, v3, v2
	v_mov_b32_e32 v3, v33
	buffer_store_dword v2, off, s[56:59], 0 offset:56 ; 4-byte Folded Spill
	s_nop 0
	buffer_store_dword v3, off, s[56:59], 0 offset:60 ; 4-byte Folded Spill
.LBB199_94:                             ;   in Loop: Header=BB199_13 Depth=1
	s_or_b64 exec, exec, s[44:45]
.LBB199_95:                             ;   in Loop: Header=BB199_13 Depth=1
	s_or_b64 exec, exec, s[42:43]
.LBB199_96:                             ;   in Loop: Header=BB199_13 Depth=1
	s_or_b64 exec, exec, s[40:41]
	v_cmp_ne_u16_sdwa s[4:5], v1, v33 src0_sel:BYTE_1 src1_sel:DWORD
	s_and_saveexec_b64 s[40:41], s[4:5]
	s_cbranch_execz .LBB199_102
; %bb.97:                               ;   in Loop: Header=BB199_13 Depth=1
	v_mov_b32_e32 v44, v34
	v_cmp_ne_u16_sdwa s[4:5], v1, s52 src0_sel:BYTE_1 src1_sel:DWORD
	v_mov_b32_e32 v43, v33
	s_and_saveexec_b64 s[42:43], s[4:5]
	s_cbranch_execz .LBB199_101
; %bb.98:                               ;   in Loop: Header=BB199_13 Depth=1
	v_mov_b32_e32 v57, v33
	v_and_b32_sdwa v2, v1, s53 dst_sel:DWORD dst_unused:UNUSED_PAD src0_sel:BYTE_1 src1_sel:DWORD
	v_mov_b32_e32 v43, v57
	v_cmp_ne_u32_e64 s[4:5], s53, v2
	v_mov_b32_e32 v44, v58
	s_and_saveexec_b64 s[44:45], s[4:5]
	s_cbranch_execz .LBB199_100
; %bb.99:                               ;   in Loop: Header=BB199_13 Depth=1
	v_mov_b32_e32 v3, 7
	v_and_b32_sdwa v3, v1, v3 dst_sel:DWORD dst_unused:UNUSED_PAD src0_sel:BYTE_1 src1_sel:DWORD
	v_lshrrev_b32_e32 v6, 3, v2
	v_cmp_gt_u32_e64 s[4:5], 8, v2
	v_ffbh_u32_e32 v2, v3
	v_min_u32_e32 v2, 32, v2
	v_mov_b32_e32 v4, v33
	v_subrev_u32_e32 v5, 28, v2
	v_lshlrev_b64 v[4:5], v5, v[3:4]
	v_sub_u32_e32 v2, 29, v2
	v_and_b32_e32 v4, 7, v4
	v_cndmask_b32_e64 v2, v6, v2, s[4:5]
	v_cndmask_b32_e64 v3, v3, v4, s[4:5]
	v_bfrev_b32_e32 v4, 60
	v_lshlrev_b32_e32 v1, 16, v1
	v_lshl_add_u32 v2, v2, 23, v4
	v_and_or_b32 v1, v1, s54, v2
	v_lshlrev_b32_e32 v2, 20, v3
	v_or_b32_e32 v44, v1, v2
	v_mov_b32_e32 v43, v33
.LBB199_100:                            ;   in Loop: Header=BB199_13 Depth=1
	s_or_b64 exec, exec, s[44:45]
.LBB199_101:                            ;   in Loop: Header=BB199_13 Depth=1
	s_or_b64 exec, exec, s[42:43]
.LBB199_102:                            ;   in Loop: Header=BB199_13 Depth=1
	s_or_b64 exec, exec, s[40:41]
	global_load_ushort v1, v[49:50], off offset:524
	v_mov_b32_e32 v47, 0
	v_mov_b32_e32 v48, 0
	s_waitcnt vmcnt(0)
	v_and_b32_e32 v3, 0xffff, v1
	v_cmp_ne_u16_sdwa s[4:5], v1, v33 src0_sel:BYTE_0 src1_sel:DWORD
	v_mov_b32_e32 v1, 0
	v_mov_b32_e32 v2, 0
	s_and_saveexec_b64 s[40:41], s[4:5]
	s_cbranch_execz .LBB199_108
; %bb.103:                              ;   in Loop: Header=BB199_13 Depth=1
	v_bfrev_b32_e32 v47, 1
	v_mov_b32_e32 v48, 0
	v_cmp_ne_u16_sdwa s[4:5], v3, s52 src0_sel:BYTE_0 src1_sel:DWORD
	s_and_saveexec_b64 s[42:43], s[4:5]
	s_cbranch_execz .LBB199_107
; %bb.104:                              ;   in Loop: Header=BB199_13 Depth=1
	v_and_b32_e32 v4, 0x7f, v3
	v_mov_b32_e32 v47, 0x7f800001
	v_mov_b32_e32 v48, 0
	v_cmp_ne_u32_e64 s[4:5], s53, v4
	s_and_saveexec_b64 s[44:45], s[4:5]
	s_cbranch_execz .LBB199_106
; %bb.105:                              ;   in Loop: Header=BB199_13 Depth=1
	v_and_b32_e32 v6, 7, v3
	v_lshrrev_b32_e32 v7, 3, v4
	v_cmp_gt_u32_e64 s[4:5], 8, v4
	v_ffbh_u32_e32 v4, v6
	v_min_u32_e32 v8, 32, v4
	v_subrev_u32_e32 v4, 28, v8
	v_lshlrev_b64 v[4:5], v4, v[3:4]
	v_sub_u32_e32 v5, 29, v8
	v_and_b32_e32 v4, 7, v4
	v_cndmask_b32_e64 v5, v7, v5, s[4:5]
	v_cndmask_b32_e64 v4, v6, v4, s[4:5]
	v_bfrev_b32_e32 v7, 60
	v_lshlrev_b32_e32 v4, 20, v4
	v_and_b32_sdwa v6, sext(v3), s54 dst_sel:DWORD dst_unused:UNUSED_PAD src0_sel:BYTE_0 src1_sel:DWORD
	v_lshl_add_u32 v5, v5, 23, v7
	v_or3_b32 v47, v6, v5, v4
	v_mov_b32_e32 v48, v33
.LBB199_106:                            ;   in Loop: Header=BB199_13 Depth=1
	s_or_b64 exec, exec, s[44:45]
.LBB199_107:                            ;   in Loop: Header=BB199_13 Depth=1
	s_or_b64 exec, exec, s[42:43]
.LBB199_108:                            ;   in Loop: Header=BB199_13 Depth=1
	s_or_b64 exec, exec, s[40:41]
	v_cmp_ne_u16_sdwa s[4:5], v3, v33 src0_sel:BYTE_1 src1_sel:DWORD
	s_and_saveexec_b64 s[40:41], s[4:5]
	s_cbranch_execz .LBB199_114
; %bb.109:                              ;   in Loop: Header=BB199_13 Depth=1
	v_mov_b32_e32 v1, v33
	v_cmp_ne_u16_sdwa s[4:5], v3, s52 src0_sel:BYTE_1 src1_sel:DWORD
	v_mov_b32_e32 v2, v34
	s_and_saveexec_b64 s[42:43], s[4:5]
	s_cbranch_execz .LBB199_113
; %bb.110:                              ;   in Loop: Header=BB199_13 Depth=1
	v_mov_b32_e32 v57, v33
	v_and_b32_sdwa v4, v3, s53 dst_sel:DWORD dst_unused:UNUSED_PAD src0_sel:BYTE_1 src1_sel:DWORD
	v_mov_b32_e32 v1, v57
	v_cmp_ne_u32_e64 s[4:5], s53, v4
	v_mov_b32_e32 v2, v58
	s_and_saveexec_b64 s[44:45], s[4:5]
	s_cbranch_execz .LBB199_112
; %bb.111:                              ;   in Loop: Header=BB199_13 Depth=1
	v_mov_b32_e32 v1, 7
	v_and_b32_sdwa v1, v3, v1 dst_sel:DWORD dst_unused:UNUSED_PAD src0_sel:BYTE_1 src1_sel:DWORD
	v_lshrrev_b32_e32 v6, 3, v4
	v_cmp_gt_u32_e64 s[4:5], 8, v4
	v_ffbh_u32_e32 v4, v1
	v_min_u32_e32 v7, 32, v4
	v_mov_b32_e32 v2, v33
	v_subrev_u32_e32 v4, 28, v7
	v_lshlrev_b64 v[4:5], v4, v[1:2]
	v_sub_u32_e32 v2, 29, v7
	v_and_b32_e32 v4, 7, v4
	v_cndmask_b32_e64 v2, v6, v2, s[4:5]
	v_cndmask_b32_e64 v1, v1, v4, s[4:5]
	v_bfrev_b32_e32 v4, 60
	v_lshlrev_b32_e32 v3, 16, v3
	v_lshl_add_u32 v2, v2, 23, v4
	v_and_or_b32 v2, v3, s54, v2
	v_lshlrev_b32_e32 v1, 20, v1
	v_or_b32_e32 v2, v2, v1
	v_mov_b32_e32 v1, v33
.LBB199_112:                            ;   in Loop: Header=BB199_13 Depth=1
	s_or_b64 exec, exec, s[44:45]
.LBB199_113:                            ;   in Loop: Header=BB199_13 Depth=1
	s_or_b64 exec, exec, s[42:43]
.LBB199_114:                            ;   in Loop: Header=BB199_13 Depth=1
	s_or_b64 exec, exec, s[40:41]
	global_load_ushort v3, v[49:50], off offset:1024
	v_mov_b32_e32 v5, 0
	v_mov_b32_e32 v6, 0
	s_waitcnt vmcnt(0)
	v_and_b32_e32 v7, 0xffff, v3
	v_cmp_ne_u16_sdwa s[4:5], v3, v33 src0_sel:BYTE_0 src1_sel:DWORD
	v_mov_b32_e32 v3, 0
	v_mov_b32_e32 v4, 0
	s_and_saveexec_b64 s[40:41], s[4:5]
	s_cbranch_execz .LBB199_120
; %bb.115:                              ;   in Loop: Header=BB199_13 Depth=1
	v_bfrev_b32_e32 v3, 1
	v_mov_b32_e32 v4, 0
	v_cmp_ne_u16_sdwa s[4:5], v7, s52 src0_sel:BYTE_0 src1_sel:DWORD
	s_and_saveexec_b64 s[42:43], s[4:5]
	s_cbranch_execz .LBB199_119
; %bb.116:                              ;   in Loop: Header=BB199_13 Depth=1
	v_and_b32_e32 v8, 0x7f, v7
	v_mov_b32_e32 v3, 0x7f800001
	v_mov_b32_e32 v4, 0
	v_cmp_ne_u32_e64 s[4:5], s53, v8
	s_and_saveexec_b64 s[44:45], s[4:5]
	s_cbranch_execz .LBB199_118
; %bb.117:                              ;   in Loop: Header=BB199_13 Depth=1
	v_and_b32_e32 v9, 7, v7
	v_ffbh_u32_e32 v3, v9
	v_lshrrev_b32_e32 v10, 3, v8
	v_cmp_gt_u32_e64 s[4:5], 8, v8
	v_min_u32_e32 v8, 32, v3
	v_subrev_u32_e32 v3, 28, v8
	v_lshlrev_b64 v[3:4], v3, v[7:8]
	v_sub_u32_e32 v4, 29, v8
	v_and_b32_e32 v3, 7, v3
	v_cndmask_b32_e64 v4, v10, v4, s[4:5]
	v_cndmask_b32_e64 v3, v9, v3, s[4:5]
	v_bfrev_b32_e32 v9, 60
	v_lshlrev_b32_e32 v3, 20, v3
	v_and_b32_sdwa v8, sext(v7), s54 dst_sel:DWORD dst_unused:UNUSED_PAD src0_sel:BYTE_0 src1_sel:DWORD
	v_lshl_add_u32 v4, v4, 23, v9
	v_or3_b32 v3, v8, v4, v3
	v_mov_b32_e32 v4, v33
.LBB199_118:                            ;   in Loop: Header=BB199_13 Depth=1
	s_or_b64 exec, exec, s[44:45]
.LBB199_119:                            ;   in Loop: Header=BB199_13 Depth=1
	s_or_b64 exec, exec, s[42:43]
.LBB199_120:                            ;   in Loop: Header=BB199_13 Depth=1
	s_or_b64 exec, exec, s[40:41]
	v_cmp_ne_u16_sdwa s[4:5], v7, v33 src0_sel:BYTE_1 src1_sel:DWORD
	s_and_saveexec_b64 s[40:41], s[4:5]
	s_cbranch_execz .LBB199_126
; %bb.121:                              ;   in Loop: Header=BB199_13 Depth=1
	v_mov_b32_e32 v5, v33
	v_cmp_ne_u16_sdwa s[4:5], v7, s52 src0_sel:BYTE_1 src1_sel:DWORD
	v_mov_b32_e32 v6, v34
	s_and_saveexec_b64 s[42:43], s[4:5]
	s_cbranch_execz .LBB199_125
; %bb.122:                              ;   in Loop: Header=BB199_13 Depth=1
	v_mov_b32_e32 v57, v33
	v_and_b32_sdwa v8, v7, s53 dst_sel:DWORD dst_unused:UNUSED_PAD src0_sel:BYTE_1 src1_sel:DWORD
	v_mov_b32_e32 v5, v57
	v_cmp_ne_u32_e64 s[4:5], s53, v8
	v_mov_b32_e32 v6, v58
	s_and_saveexec_b64 s[44:45], s[4:5]
	s_cbranch_execz .LBB199_124
; %bb.123:                              ;   in Loop: Header=BB199_13 Depth=1
	v_mov_b32_e32 v5, 7
	v_and_b32_sdwa v5, v7, v5 dst_sel:DWORD dst_unused:UNUSED_PAD src0_sel:BYTE_1 src1_sel:DWORD
	v_lshrrev_b32_e32 v10, 3, v8
	v_cmp_gt_u32_e64 s[4:5], 8, v8
	v_ffbh_u32_e32 v8, v5
	v_min_u32_e32 v11, 32, v8
	v_mov_b32_e32 v6, v33
	v_subrev_u32_e32 v8, 28, v11
	v_lshlrev_b64 v[8:9], v8, v[5:6]
	v_sub_u32_e32 v6, 29, v11
	v_and_b32_e32 v8, 7, v8
	v_cndmask_b32_e64 v6, v10, v6, s[4:5]
	v_cndmask_b32_e64 v5, v5, v8, s[4:5]
	v_bfrev_b32_e32 v8, 60
	v_lshlrev_b32_e32 v7, 16, v7
	v_lshl_add_u32 v6, v6, 23, v8
	v_and_or_b32 v6, v7, s54, v6
	v_lshlrev_b32_e32 v5, 20, v5
	v_or_b32_e32 v6, v6, v5
	v_mov_b32_e32 v5, v33
.LBB199_124:                            ;   in Loop: Header=BB199_13 Depth=1
	s_or_b64 exec, exec, s[44:45]
.LBB199_125:                            ;   in Loop: Header=BB199_13 Depth=1
	s_or_b64 exec, exec, s[42:43]
.LBB199_126:                            ;   in Loop: Header=BB199_13 Depth=1
	s_or_b64 exec, exec, s[40:41]
	global_load_ushort v7, v[49:50], off offset:1028
	v_mov_b32_e32 v9, 0
	v_mov_b32_e32 v10, 0
	s_waitcnt vmcnt(0)
	v_and_b32_e32 v11, 0xffff, v7
	v_cmp_ne_u16_sdwa s[4:5], v7, v33 src0_sel:BYTE_0 src1_sel:DWORD
	v_mov_b32_e32 v7, 0
	v_mov_b32_e32 v8, 0
	s_and_saveexec_b64 s[40:41], s[4:5]
	s_cbranch_execz .LBB199_132
; %bb.127:                              ;   in Loop: Header=BB199_13 Depth=1
	v_bfrev_b32_e32 v7, 1
	v_mov_b32_e32 v8, 0
	v_cmp_ne_u16_sdwa s[4:5], v11, s52 src0_sel:BYTE_0 src1_sel:DWORD
	s_and_saveexec_b64 s[42:43], s[4:5]
	s_cbranch_execz .LBB199_131
; %bb.128:                              ;   in Loop: Header=BB199_13 Depth=1
	v_and_b32_e32 v12, 0x7f, v11
	v_mov_b32_e32 v7, 0x7f800001
	v_mov_b32_e32 v8, 0
	v_cmp_ne_u32_e64 s[4:5], s53, v12
	s_and_saveexec_b64 s[44:45], s[4:5]
	s_cbranch_execz .LBB199_130
; %bb.129:                              ;   in Loop: Header=BB199_13 Depth=1
	v_and_b32_e32 v13, 7, v11
	v_ffbh_u32_e32 v7, v13
	v_lshrrev_b32_e32 v14, 3, v12
	v_cmp_gt_u32_e64 s[4:5], 8, v12
	v_min_u32_e32 v12, 32, v7
	v_subrev_u32_e32 v7, 28, v12
	v_lshlrev_b64 v[7:8], v7, v[11:12]
	v_sub_u32_e32 v8, 29, v12
	v_and_b32_e32 v7, 7, v7
	v_cndmask_b32_e64 v8, v14, v8, s[4:5]
	v_cndmask_b32_e64 v7, v13, v7, s[4:5]
	v_bfrev_b32_e32 v13, 60
	v_lshlrev_b32_e32 v7, 20, v7
	v_and_b32_sdwa v12, sext(v11), s54 dst_sel:DWORD dst_unused:UNUSED_PAD src0_sel:BYTE_0 src1_sel:DWORD
	v_lshl_add_u32 v8, v8, 23, v13
	v_or3_b32 v7, v12, v8, v7
	v_mov_b32_e32 v8, v33
.LBB199_130:                            ;   in Loop: Header=BB199_13 Depth=1
	s_or_b64 exec, exec, s[44:45]
.LBB199_131:                            ;   in Loop: Header=BB199_13 Depth=1
	s_or_b64 exec, exec, s[42:43]
.LBB199_132:                            ;   in Loop: Header=BB199_13 Depth=1
	s_or_b64 exec, exec, s[40:41]
	v_cmp_ne_u16_sdwa s[4:5], v11, v33 src0_sel:BYTE_1 src1_sel:DWORD
	s_and_saveexec_b64 s[40:41], s[4:5]
	s_cbranch_execz .LBB199_138
; %bb.133:                              ;   in Loop: Header=BB199_13 Depth=1
	v_mov_b32_e32 v9, v33
	v_cmp_ne_u16_sdwa s[4:5], v11, s52 src0_sel:BYTE_1 src1_sel:DWORD
	v_mov_b32_e32 v10, v34
	s_and_saveexec_b64 s[42:43], s[4:5]
	s_cbranch_execz .LBB199_137
; %bb.134:                              ;   in Loop: Header=BB199_13 Depth=1
	v_mov_b32_e32 v57, v33
	v_and_b32_sdwa v12, v11, s53 dst_sel:DWORD dst_unused:UNUSED_PAD src0_sel:BYTE_1 src1_sel:DWORD
	v_mov_b32_e32 v9, v57
	v_cmp_ne_u32_e64 s[4:5], s53, v12
	v_mov_b32_e32 v10, v58
	s_and_saveexec_b64 s[44:45], s[4:5]
	s_cbranch_execz .LBB199_136
; %bb.135:                              ;   in Loop: Header=BB199_13 Depth=1
	v_mov_b32_e32 v9, 7
	v_and_b32_sdwa v9, v11, v9 dst_sel:DWORD dst_unused:UNUSED_PAD src0_sel:BYTE_1 src1_sel:DWORD
	v_lshrrev_b32_e32 v14, 3, v12
	v_cmp_gt_u32_e64 s[4:5], 8, v12
	v_ffbh_u32_e32 v12, v9
	v_min_u32_e32 v15, 32, v12
	v_mov_b32_e32 v10, v33
	v_subrev_u32_e32 v12, 28, v15
	v_lshlrev_b64 v[12:13], v12, v[9:10]
	v_sub_u32_e32 v10, 29, v15
	v_and_b32_e32 v12, 7, v12
	v_cndmask_b32_e64 v10, v14, v10, s[4:5]
	v_cndmask_b32_e64 v9, v9, v12, s[4:5]
	v_bfrev_b32_e32 v12, 60
	v_lshlrev_b32_e32 v11, 16, v11
	v_lshl_add_u32 v10, v10, 23, v12
	v_and_or_b32 v10, v11, s54, v10
	v_lshlrev_b32_e32 v9, 20, v9
	v_or_b32_e32 v10, v10, v9
	v_mov_b32_e32 v9, v33
.LBB199_136:                            ;   in Loop: Header=BB199_13 Depth=1
	s_or_b64 exec, exec, s[44:45]
.LBB199_137:                            ;   in Loop: Header=BB199_13 Depth=1
	s_or_b64 exec, exec, s[42:43]
.LBB199_138:                            ;   in Loop: Header=BB199_13 Depth=1
	s_or_b64 exec, exec, s[40:41]
	global_load_ushort v11, v[49:50], off offset:1032
	v_mov_b32_e32 v39, 0
	v_mov_b32_e32 v40, 0
	s_waitcnt vmcnt(0)
	v_and_b32_e32 v13, 0xffff, v11
	v_cmp_ne_u16_sdwa s[4:5], v11, v33 src0_sel:BYTE_0 src1_sel:DWORD
	v_mov_b32_e32 v11, 0
	v_mov_b32_e32 v12, 0
	s_and_saveexec_b64 s[40:41], s[4:5]
	s_cbranch_execz .LBB199_144
; %bb.139:                              ;   in Loop: Header=BB199_13 Depth=1
	v_bfrev_b32_e32 v11, 1
	v_mov_b32_e32 v12, 0
	v_cmp_ne_u16_sdwa s[4:5], v13, s52 src0_sel:BYTE_0 src1_sel:DWORD
	s_and_saveexec_b64 s[42:43], s[4:5]
	s_cbranch_execz .LBB199_143
; %bb.140:                              ;   in Loop: Header=BB199_13 Depth=1
	v_and_b32_e32 v14, 0x7f, v13
	v_mov_b32_e32 v11, 0x7f800001
	v_mov_b32_e32 v12, 0
	v_cmp_ne_u32_e64 s[4:5], s53, v14
	s_and_saveexec_b64 s[44:45], s[4:5]
	s_cbranch_execz .LBB199_142
; %bb.141:                              ;   in Loop: Header=BB199_13 Depth=1
	v_and_b32_e32 v15, 7, v13
	v_ffbh_u32_e32 v11, v15
	v_lshrrev_b32_e32 v16, 3, v14
	v_cmp_gt_u32_e64 s[4:5], 8, v14
	v_min_u32_e32 v14, 32, v11
	v_subrev_u32_e32 v11, 28, v14
	v_lshlrev_b64 v[11:12], v11, v[13:14]
	v_sub_u32_e32 v12, 29, v14
	v_and_b32_e32 v11, 7, v11
	v_cndmask_b32_e64 v12, v16, v12, s[4:5]
	v_cndmask_b32_e64 v11, v15, v11, s[4:5]
	v_bfrev_b32_e32 v15, 60
	v_lshlrev_b32_e32 v11, 20, v11
	v_and_b32_sdwa v14, sext(v13), s54 dst_sel:DWORD dst_unused:UNUSED_PAD src0_sel:BYTE_0 src1_sel:DWORD
	v_lshl_add_u32 v12, v12, 23, v15
	v_or3_b32 v11, v14, v12, v11
	v_mov_b32_e32 v12, v33
.LBB199_142:                            ;   in Loop: Header=BB199_13 Depth=1
	s_or_b64 exec, exec, s[44:45]
.LBB199_143:                            ;   in Loop: Header=BB199_13 Depth=1
	s_or_b64 exec, exec, s[42:43]
.LBB199_144:                            ;   in Loop: Header=BB199_13 Depth=1
	s_or_b64 exec, exec, s[40:41]
	v_cmp_ne_u16_sdwa s[4:5], v13, v33 src0_sel:BYTE_1 src1_sel:DWORD
	s_and_saveexec_b64 s[40:41], s[4:5]
	s_cbranch_execz .LBB199_150
; %bb.145:                              ;   in Loop: Header=BB199_13 Depth=1
	v_mov_b32_e32 v40, v34
	v_cmp_ne_u16_sdwa s[4:5], v13, s52 src0_sel:BYTE_1 src1_sel:DWORD
	v_mov_b32_e32 v39, v33
	s_and_saveexec_b64 s[42:43], s[4:5]
	s_cbranch_execz .LBB199_149
; %bb.146:                              ;   in Loop: Header=BB199_13 Depth=1
	v_mov_b32_e32 v57, v33
	v_and_b32_sdwa v14, v13, s53 dst_sel:DWORD dst_unused:UNUSED_PAD src0_sel:BYTE_1 src1_sel:DWORD
	v_mov_b32_e32 v39, v57
	v_cmp_ne_u32_e64 s[4:5], s53, v14
	v_mov_b32_e32 v40, v58
	s_and_saveexec_b64 s[44:45], s[4:5]
	s_cbranch_execz .LBB199_148
; %bb.147:                              ;   in Loop: Header=BB199_13 Depth=1
	v_mov_b32_e32 v15, 7
	v_and_b32_sdwa v15, v13, v15 dst_sel:DWORD dst_unused:UNUSED_PAD src0_sel:BYTE_1 src1_sel:DWORD
	v_lshrrev_b32_e32 v18, 3, v14
	v_cmp_gt_u32_e64 s[4:5], 8, v14
	v_ffbh_u32_e32 v14, v15
	v_min_u32_e32 v14, 32, v14
	v_mov_b32_e32 v16, v33
	v_subrev_u32_e32 v17, 28, v14
	v_lshlrev_b64 v[16:17], v17, v[15:16]
	v_sub_u32_e32 v14, 29, v14
	v_and_b32_e32 v16, 7, v16
	v_cndmask_b32_e64 v14, v18, v14, s[4:5]
	v_cndmask_b32_e64 v15, v15, v16, s[4:5]
	v_bfrev_b32_e32 v16, 60
	v_lshlrev_b32_e32 v13, 16, v13
	v_lshl_add_u32 v14, v14, 23, v16
	v_and_or_b32 v13, v13, s54, v14
	v_lshlrev_b32_e32 v14, 20, v15
	v_or_b32_e32 v40, v13, v14
	v_mov_b32_e32 v39, v33
.LBB199_148:                            ;   in Loop: Header=BB199_13 Depth=1
	s_or_b64 exec, exec, s[44:45]
.LBB199_149:                            ;   in Loop: Header=BB199_13 Depth=1
	s_or_b64 exec, exec, s[42:43]
.LBB199_150:                            ;   in Loop: Header=BB199_13 Depth=1
	s_or_b64 exec, exec, s[40:41]
	global_load_ushort v14, v[49:50], off offset:1036
	v_mov_b32_e32 v53, 0
	v_mov_b32_e32 v15, 0
	;; [unrolled: 1-line block ×4, first 2 shown]
	s_waitcnt vmcnt(0)
	v_and_b32_e32 v13, 0xffff, v14
	v_cmp_ne_u16_sdwa s[4:5], v14, v33 src0_sel:BYTE_0 src1_sel:DWORD
	s_and_saveexec_b64 s[40:41], s[4:5]
	s_cbranch_execz .LBB199_156
; %bb.151:                              ;   in Loop: Header=BB199_13 Depth=1
	v_bfrev_b32_e32 v15, 1
	v_mov_b32_e32 v16, 0
	v_cmp_ne_u16_sdwa s[4:5], v13, s52 src0_sel:BYTE_0 src1_sel:DWORD
	s_and_saveexec_b64 s[42:43], s[4:5]
	s_cbranch_execz .LBB199_155
; %bb.152:                              ;   in Loop: Header=BB199_13 Depth=1
	v_and_b32_e32 v14, 0x7f, v13
	v_mov_b32_e32 v15, 0x7f800001
	v_mov_b32_e32 v16, 0
	v_cmp_ne_u32_e64 s[4:5], s53, v14
	s_and_saveexec_b64 s[44:45], s[4:5]
	s_cbranch_execz .LBB199_154
; %bb.153:                              ;   in Loop: Header=BB199_13 Depth=1
	v_and_b32_e32 v16, 7, v13
	v_lshrrev_b32_e32 v17, 3, v14
	v_cmp_gt_u32_e64 s[4:5], 8, v14
	v_ffbh_u32_e32 v14, v16
	v_min_u32_e32 v18, 32, v14
	v_subrev_u32_e32 v14, 28, v18
	v_lshlrev_b64 v[14:15], v14, v[13:14]
	v_sub_u32_e32 v15, 29, v18
	v_and_b32_e32 v14, 7, v14
	v_cndmask_b32_e64 v15, v17, v15, s[4:5]
	v_cndmask_b32_e64 v14, v16, v14, s[4:5]
	v_bfrev_b32_e32 v17, 60
	v_lshlrev_b32_e32 v14, 20, v14
	v_and_b32_sdwa v16, sext(v13), s54 dst_sel:DWORD dst_unused:UNUSED_PAD src0_sel:BYTE_0 src1_sel:DWORD
	v_lshl_add_u32 v15, v15, 23, v17
	v_or3_b32 v15, v16, v15, v14
	v_mov_b32_e32 v16, v33
.LBB199_154:                            ;   in Loop: Header=BB199_13 Depth=1
	s_or_b64 exec, exec, s[44:45]
.LBB199_155:                            ;   in Loop: Header=BB199_13 Depth=1
	s_or_b64 exec, exec, s[42:43]
.LBB199_156:                            ;   in Loop: Header=BB199_13 Depth=1
	s_or_b64 exec, exec, s[40:41]
	v_cmp_ne_u16_sdwa s[4:5], v13, v33 src0_sel:BYTE_1 src1_sel:DWORD
	s_and_saveexec_b64 s[40:41], s[4:5]
	s_cbranch_execz .LBB199_162
; %bb.157:                              ;   in Loop: Header=BB199_13 Depth=1
	v_mov_b32_e32 v54, v34
	v_cmp_ne_u16_sdwa s[4:5], v13, s52 src0_sel:BYTE_1 src1_sel:DWORD
	v_mov_b32_e32 v53, v33
	s_and_saveexec_b64 s[42:43], s[4:5]
	s_cbranch_execz .LBB199_161
; %bb.158:                              ;   in Loop: Header=BB199_13 Depth=1
	v_mov_b32_e32 v57, v33
	v_and_b32_sdwa v14, v13, s53 dst_sel:DWORD dst_unused:UNUSED_PAD src0_sel:BYTE_1 src1_sel:DWORD
	v_mov_b32_e32 v53, v57
	v_cmp_ne_u32_e64 s[4:5], s53, v14
	v_mov_b32_e32 v54, v58
	s_and_saveexec_b64 s[44:45], s[4:5]
	s_cbranch_execz .LBB199_160
; %bb.159:                              ;   in Loop: Header=BB199_13 Depth=1
	v_mov_b32_e32 v17, 7
	v_and_b32_sdwa v17, v13, v17 dst_sel:DWORD dst_unused:UNUSED_PAD src0_sel:BYTE_1 src1_sel:DWORD
	v_lshrrev_b32_e32 v20, 3, v14
	v_cmp_gt_u32_e64 s[4:5], 8, v14
	v_ffbh_u32_e32 v14, v17
	v_min_u32_e32 v14, 32, v14
	v_mov_b32_e32 v18, v33
	v_subrev_u32_e32 v19, 28, v14
	v_lshlrev_b64 v[18:19], v19, v[17:18]
	v_sub_u32_e32 v14, 29, v14
	v_and_b32_e32 v18, 7, v18
	v_cndmask_b32_e64 v14, v20, v14, s[4:5]
	v_cndmask_b32_e64 v17, v17, v18, s[4:5]
	v_bfrev_b32_e32 v18, 60
	v_lshlrev_b32_e32 v13, 16, v13
	v_lshl_add_u32 v14, v14, 23, v18
	v_and_or_b32 v13, v13, s54, v14
	v_lshlrev_b32_e32 v14, 20, v17
	v_or_b32_e32 v54, v13, v14
	v_mov_b32_e32 v53, v33
.LBB199_160:                            ;   in Loop: Header=BB199_13 Depth=1
	s_or_b64 exec, exec, s[44:45]
.LBB199_161:                            ;   in Loop: Header=BB199_13 Depth=1
	s_or_b64 exec, exec, s[42:43]
.LBB199_162:                            ;   in Loop: Header=BB199_13 Depth=1
	s_or_b64 exec, exec, s[40:41]
	global_load_ushort v13, v[49:50], off offset:1536
	v_mov_b32_e32 v19, 0
	v_mov_b32_e32 v20, 0
	s_waitcnt vmcnt(0)
	v_and_b32_e32 v17, 0xffff, v13
	v_cmp_ne_u16_sdwa s[4:5], v13, v33 src0_sel:BYTE_0 src1_sel:DWORD
	v_mov_b32_e32 v13, 0
	v_mov_b32_e32 v14, 0
	s_and_saveexec_b64 s[40:41], s[4:5]
	s_cbranch_execz .LBB199_168
; %bb.163:                              ;   in Loop: Header=BB199_13 Depth=1
	v_bfrev_b32_e32 v19, 1
	v_mov_b32_e32 v20, 0
	v_cmp_ne_u16_sdwa s[4:5], v17, s52 src0_sel:BYTE_0 src1_sel:DWORD
	s_and_saveexec_b64 s[42:43], s[4:5]
	s_cbranch_execz .LBB199_167
; %bb.164:                              ;   in Loop: Header=BB199_13 Depth=1
	v_and_b32_e32 v18, 0x7f, v17
	v_mov_b32_e32 v19, 0x7f800001
	v_mov_b32_e32 v20, 0
	v_cmp_ne_u32_e64 s[4:5], s53, v18
	s_and_saveexec_b64 s[44:45], s[4:5]
	s_cbranch_execz .LBB199_166
; %bb.165:                              ;   in Loop: Header=BB199_13 Depth=1
	v_and_b32_e32 v20, 7, v17
	v_lshrrev_b32_e32 v21, 3, v18
	v_cmp_gt_u32_e64 s[4:5], 8, v18
	v_ffbh_u32_e32 v18, v20
	v_min_u32_e32 v22, 32, v18
	v_subrev_u32_e32 v18, 28, v22
	v_lshlrev_b64 v[18:19], v18, v[17:18]
	v_sub_u32_e32 v19, 29, v22
	v_and_b32_e32 v18, 7, v18
	v_cndmask_b32_e64 v19, v21, v19, s[4:5]
	v_cndmask_b32_e64 v18, v20, v18, s[4:5]
	v_bfrev_b32_e32 v21, 60
	v_lshlrev_b32_e32 v18, 20, v18
	v_and_b32_sdwa v20, sext(v17), s54 dst_sel:DWORD dst_unused:UNUSED_PAD src0_sel:BYTE_0 src1_sel:DWORD
	v_lshl_add_u32 v19, v19, 23, v21
	v_or3_b32 v19, v20, v19, v18
	v_mov_b32_e32 v20, v33
.LBB199_166:                            ;   in Loop: Header=BB199_13 Depth=1
	s_or_b64 exec, exec, s[44:45]
.LBB199_167:                            ;   in Loop: Header=BB199_13 Depth=1
	s_or_b64 exec, exec, s[42:43]
.LBB199_168:                            ;   in Loop: Header=BB199_13 Depth=1
	s_or_b64 exec, exec, s[40:41]
	v_cmp_ne_u16_sdwa s[4:5], v17, v33 src0_sel:BYTE_1 src1_sel:DWORD
	s_and_saveexec_b64 s[40:41], s[4:5]
	s_cbranch_execz .LBB199_174
; %bb.169:                              ;   in Loop: Header=BB199_13 Depth=1
	v_mov_b32_e32 v13, v33
	v_cmp_ne_u16_sdwa s[4:5], v17, s52 src0_sel:BYTE_1 src1_sel:DWORD
	v_mov_b32_e32 v14, v34
	s_and_saveexec_b64 s[42:43], s[4:5]
	s_cbranch_execz .LBB199_173
; %bb.170:                              ;   in Loop: Header=BB199_13 Depth=1
	v_mov_b32_e32 v57, v33
	v_and_b32_sdwa v18, v17, s53 dst_sel:DWORD dst_unused:UNUSED_PAD src0_sel:BYTE_1 src1_sel:DWORD
	v_mov_b32_e32 v13, v57
	v_cmp_ne_u32_e64 s[4:5], s53, v18
	v_mov_b32_e32 v14, v58
	s_and_saveexec_b64 s[44:45], s[4:5]
	s_cbranch_execz .LBB199_172
; %bb.171:                              ;   in Loop: Header=BB199_13 Depth=1
	v_mov_b32_e32 v13, 7
	v_and_b32_sdwa v13, v17, v13 dst_sel:DWORD dst_unused:UNUSED_PAD src0_sel:BYTE_1 src1_sel:DWORD
	v_lshrrev_b32_e32 v23, 3, v18
	v_cmp_gt_u32_e64 s[4:5], 8, v18
	v_ffbh_u32_e32 v18, v13
	v_min_u32_e32 v18, 32, v18
	v_mov_b32_e32 v14, v33
	v_subrev_u32_e32 v21, 28, v18
	v_lshlrev_b64 v[21:22], v21, v[13:14]
	v_sub_u32_e32 v14, 29, v18
	v_and_b32_e32 v18, 7, v21
	v_cndmask_b32_e64 v14, v23, v14, s[4:5]
	v_cndmask_b32_e64 v13, v13, v18, s[4:5]
	v_bfrev_b32_e32 v18, 60
	v_lshlrev_b32_e32 v17, 16, v17
	v_lshl_add_u32 v14, v14, 23, v18
	v_and_or_b32 v14, v17, s54, v14
	v_lshlrev_b32_e32 v13, 20, v13
	v_or_b32_e32 v14, v14, v13
	v_mov_b32_e32 v13, v33
.LBB199_172:                            ;   in Loop: Header=BB199_13 Depth=1
	s_or_b64 exec, exec, s[44:45]
.LBB199_173:                            ;   in Loop: Header=BB199_13 Depth=1
	s_or_b64 exec, exec, s[42:43]
.LBB199_174:                            ;   in Loop: Header=BB199_13 Depth=1
	s_or_b64 exec, exec, s[40:41]
	global_load_ushort v17, v[49:50], off offset:1540
	v_mov_b32_e32 v23, 0
	v_mov_b32_e32 v24, 0
	s_waitcnt vmcnt(0)
	v_and_b32_e32 v21, 0xffff, v17
	v_cmp_ne_u16_sdwa s[4:5], v17, v33 src0_sel:BYTE_0 src1_sel:DWORD
	v_mov_b32_e32 v17, 0
	v_mov_b32_e32 v18, 0
	s_and_saveexec_b64 s[40:41], s[4:5]
	s_cbranch_execz .LBB199_180
; %bb.175:                              ;   in Loop: Header=BB199_13 Depth=1
	v_bfrev_b32_e32 v23, 1
	v_mov_b32_e32 v24, 0
	v_cmp_ne_u16_sdwa s[4:5], v21, s52 src0_sel:BYTE_0 src1_sel:DWORD
	s_and_saveexec_b64 s[42:43], s[4:5]
	s_cbranch_execz .LBB199_179
; %bb.176:                              ;   in Loop: Header=BB199_13 Depth=1
	v_and_b32_e32 v22, 0x7f, v21
	v_mov_b32_e32 v23, 0x7f800001
	v_mov_b32_e32 v24, 0
	v_cmp_ne_u32_e64 s[4:5], s53, v22
	s_and_saveexec_b64 s[44:45], s[4:5]
	s_cbranch_execz .LBB199_178
; %bb.177:                              ;   in Loop: Header=BB199_13 Depth=1
	v_and_b32_e32 v24, 7, v21
	v_lshrrev_b32_e32 v27, 3, v22
	v_cmp_gt_u32_e64 s[4:5], 8, v22
	v_ffbh_u32_e32 v22, v24
	v_min_u32_e32 v28, 32, v22
	v_subrev_u32_e32 v22, 28, v28
	v_lshlrev_b64 v[22:23], v22, v[21:22]
	v_sub_u32_e32 v23, 29, v28
	v_and_b32_e32 v22, 7, v22
	v_cndmask_b32_e64 v23, v27, v23, s[4:5]
	v_mov_b32_e32 v27, v26
	v_cndmask_b32_e64 v22, v24, v22, s[4:5]
	v_mov_b32_e32 v26, v25
	v_bfrev_b32_e32 v25, 60
	v_lshlrev_b32_e32 v22, 20, v22
	v_and_b32_sdwa v24, sext(v21), s54 dst_sel:DWORD dst_unused:UNUSED_PAD src0_sel:BYTE_0 src1_sel:DWORD
	v_lshl_add_u32 v23, v23, 23, v25
	v_mov_b32_e32 v25, v26
	v_mov_b32_e32 v26, v27
	v_or3_b32 v23, v24, v23, v22
	v_mov_b32_e32 v24, v33
.LBB199_178:                            ;   in Loop: Header=BB199_13 Depth=1
	s_or_b64 exec, exec, s[44:45]
.LBB199_179:                            ;   in Loop: Header=BB199_13 Depth=1
	s_or_b64 exec, exec, s[42:43]
.LBB199_180:                            ;   in Loop: Header=BB199_13 Depth=1
	s_or_b64 exec, exec, s[40:41]
	v_cmp_ne_u16_sdwa s[4:5], v21, v33 src0_sel:BYTE_1 src1_sel:DWORD
	s_and_saveexec_b64 s[40:41], s[4:5]
	s_cbranch_execz .LBB199_186
; %bb.181:                              ;   in Loop: Header=BB199_13 Depth=1
	v_mov_b32_e32 v17, v33
	v_cmp_ne_u16_sdwa s[4:5], v21, s52 src0_sel:BYTE_1 src1_sel:DWORD
	v_mov_b32_e32 v18, v34
	s_and_saveexec_b64 s[42:43], s[4:5]
	s_cbranch_execz .LBB199_185
; %bb.182:                              ;   in Loop: Header=BB199_13 Depth=1
	v_mov_b32_e32 v57, v33
	v_and_b32_sdwa v22, v21, s53 dst_sel:DWORD dst_unused:UNUSED_PAD src0_sel:BYTE_1 src1_sel:DWORD
	v_mov_b32_e32 v17, v57
	v_cmp_ne_u32_e64 s[4:5], s53, v22
	v_mov_b32_e32 v18, v58
	s_and_saveexec_b64 s[44:45], s[4:5]
	s_cbranch_execz .LBB199_184
; %bb.183:                              ;   in Loop: Header=BB199_13 Depth=1
	v_mov_b32_e32 v17, 7
	v_and_b32_sdwa v17, v21, v17 dst_sel:DWORD dst_unused:UNUSED_PAD src0_sel:BYTE_1 src1_sel:DWORD
	v_lshrrev_b32_e32 v29, 3, v22
	v_cmp_gt_u32_e64 s[4:5], 8, v22
	v_ffbh_u32_e32 v22, v17
	v_min_u32_e32 v22, 32, v22
	v_mov_b32_e32 v18, v33
	v_subrev_u32_e32 v27, 28, v22
	v_lshlrev_b64 v[27:28], v27, v[17:18]
	v_sub_u32_e32 v18, 29, v22
	v_and_b32_e32 v22, 7, v27
	v_cndmask_b32_e64 v18, v29, v18, s[4:5]
	v_cndmask_b32_e64 v17, v17, v22, s[4:5]
	v_bfrev_b32_e32 v22, 60
	v_lshlrev_b32_e32 v21, 16, v21
	v_lshl_add_u32 v18, v18, 23, v22
	v_and_or_b32 v18, v21, s54, v18
	v_lshlrev_b32_e32 v17, 20, v17
	v_or_b32_e32 v18, v18, v17
	v_mov_b32_e32 v17, v33
.LBB199_184:                            ;   in Loop: Header=BB199_13 Depth=1
	s_or_b64 exec, exec, s[44:45]
.LBB199_185:                            ;   in Loop: Header=BB199_13 Depth=1
	s_or_b64 exec, exec, s[42:43]
.LBB199_186:                            ;   in Loop: Header=BB199_13 Depth=1
	s_or_b64 exec, exec, s[40:41]
	global_load_ushort v21, v[49:50], off offset:1544
	v_mov_b32_e32 v51, 0
	v_mov_b32_e32 v52, 0
	s_waitcnt vmcnt(0)
	v_and_b32_e32 v27, 0xffff, v21
	v_cmp_ne_u16_sdwa s[4:5], v21, v33 src0_sel:BYTE_0 src1_sel:DWORD
	v_mov_b32_e32 v21, 0
	v_mov_b32_e32 v22, 0
	s_and_saveexec_b64 s[40:41], s[4:5]
	s_cbranch_execz .LBB199_192
; %bb.187:                              ;   in Loop: Header=BB199_13 Depth=1
	v_bfrev_b32_e32 v51, 1
	v_mov_b32_e32 v52, 0
	v_cmp_ne_u16_sdwa s[4:5], v27, s52 src0_sel:BYTE_0 src1_sel:DWORD
	s_and_saveexec_b64 s[42:43], s[4:5]
	s_cbranch_execz .LBB199_191
; %bb.188:                              ;   in Loop: Header=BB199_13 Depth=1
	v_and_b32_e32 v28, 0x7f, v27
	v_mov_b32_e32 v51, 0x7f800001
	v_mov_b32_e32 v52, 0
	v_cmp_ne_u32_e64 s[4:5], s53, v28
	s_and_saveexec_b64 s[44:45], s[4:5]
	s_cbranch_execz .LBB199_190
; %bb.189:                              ;   in Loop: Header=BB199_13 Depth=1
	v_and_b32_e32 v51, 7, v27
	v_lshrrev_b32_e32 v52, 3, v28
	v_cmp_gt_u32_e64 s[4:5], 8, v28
	v_ffbh_u32_e32 v28, v51
	v_min_u32_e32 v56, 32, v28
	v_subrev_u32_e32 v28, 28, v56
	v_lshlrev_b64 v[28:29], v28, v[27:28]
	v_sub_u32_e32 v29, 29, v56
	v_and_b32_e32 v28, 7, v28
	v_mov_b32_e32 v57, v26
	v_cndmask_b32_e64 v29, v52, v29, s[4:5]
	v_cndmask_b32_e64 v28, v51, v28, s[4:5]
	v_mov_b32_e32 v56, v25
	v_bfrev_b32_e32 v25, 60
	v_lshlrev_b32_e32 v28, 20, v28
	v_and_b32_sdwa v51, sext(v27), s54 dst_sel:DWORD dst_unused:UNUSED_PAD src0_sel:BYTE_0 src1_sel:DWORD
	v_lshl_add_u32 v29, v29, 23, v25
	v_mov_b32_e32 v25, v56
	v_mov_b32_e32 v26, v57
	v_or3_b32 v51, v51, v29, v28
	v_mov_b32_e32 v52, v33
.LBB199_190:                            ;   in Loop: Header=BB199_13 Depth=1
	s_or_b64 exec, exec, s[44:45]
.LBB199_191:                            ;   in Loop: Header=BB199_13 Depth=1
	s_or_b64 exec, exec, s[42:43]
.LBB199_192:                            ;   in Loop: Header=BB199_13 Depth=1
	s_or_b64 exec, exec, s[40:41]
	v_cmp_ne_u16_sdwa s[4:5], v27, v33 src0_sel:BYTE_1 src1_sel:DWORD
	s_and_saveexec_b64 s[40:41], s[4:5]
	s_cbranch_execz .LBB199_198
; %bb.193:                              ;   in Loop: Header=BB199_13 Depth=1
	v_mov_b32_e32 v21, v33
	v_cmp_ne_u16_sdwa s[4:5], v27, s52 src0_sel:BYTE_1 src1_sel:DWORD
	v_mov_b32_e32 v22, v34
	s_and_saveexec_b64 s[42:43], s[4:5]
	s_cbranch_execz .LBB199_197
; %bb.194:                              ;   in Loop: Header=BB199_13 Depth=1
	v_mov_b32_e32 v57, v33
	v_and_b32_sdwa v28, v27, s53 dst_sel:DWORD dst_unused:UNUSED_PAD src0_sel:BYTE_1 src1_sel:DWORD
	v_mov_b32_e32 v21, v57
	v_cmp_ne_u32_e64 s[4:5], s53, v28
	v_mov_b32_e32 v22, v58
	s_and_saveexec_b64 s[44:45], s[4:5]
	s_cbranch_execz .LBB199_196
; %bb.195:                              ;   in Loop: Header=BB199_13 Depth=1
	v_mov_b32_e32 v21, 7
	v_and_b32_sdwa v21, v27, v21 dst_sel:DWORD dst_unused:UNUSED_PAD src0_sel:BYTE_1 src1_sel:DWORD
	v_lshrrev_b32_e32 v56, 3, v28
	v_cmp_gt_u32_e64 s[4:5], 8, v28
	v_ffbh_u32_e32 v28, v21
	v_min_u32_e32 v57, 32, v28
	v_mov_b32_e32 v22, v33
	v_subrev_u32_e32 v28, 28, v57
	v_lshlrev_b64 v[28:29], v28, v[21:22]
	v_sub_u32_e32 v22, 29, v57
	v_and_b32_e32 v28, 7, v28
	v_cndmask_b32_e64 v21, v21, v28, s[4:5]
	v_mov_b32_e32 v29, v26
	v_cndmask_b32_e64 v22, v56, v22, s[4:5]
	v_mov_b32_e32 v28, v25
	v_bfrev_b32_e32 v25, 60
	v_lshlrev_b32_e32 v27, 16, v27
	v_lshl_add_u32 v22, v22, 23, v25
	v_mov_b32_e32 v25, v28
	v_and_or_b32 v22, v27, s54, v22
	v_lshlrev_b32_e32 v21, 20, v21
	v_mov_b32_e32 v26, v29
	v_or_b32_e32 v22, v22, v21
	v_mov_b32_e32 v21, v33
.LBB199_196:                            ;   in Loop: Header=BB199_13 Depth=1
	s_or_b64 exec, exec, s[44:45]
.LBB199_197:                            ;   in Loop: Header=BB199_13 Depth=1
	s_or_b64 exec, exec, s[42:43]
.LBB199_198:                            ;   in Loop: Header=BB199_13 Depth=1
	s_or_b64 exec, exec, s[40:41]
	global_load_ushort v27, v[49:50], off offset:1548
	v_mov_b32_e32 v49, 0
	v_mov_b32_e32 v50, 0
	s_waitcnt vmcnt(0)
	v_and_b32_e32 v29, 0xffff, v27
	v_cmp_ne_u16_sdwa s[4:5], v27, v33 src0_sel:BYTE_0 src1_sel:DWORD
	v_mov_b32_e32 v27, 0
	v_mov_b32_e32 v28, 0
	s_and_saveexec_b64 s[40:41], s[4:5]
	s_cbranch_execz .LBB199_204
; %bb.199:                              ;   in Loop: Header=BB199_13 Depth=1
	v_bfrev_b32_e32 v27, 1
	v_mov_b32_e32 v28, 0
	v_cmp_ne_u16_sdwa s[4:5], v29, s52 src0_sel:BYTE_0 src1_sel:DWORD
	s_and_saveexec_b64 s[42:43], s[4:5]
	s_cbranch_execz .LBB199_203
; %bb.200:                              ;   in Loop: Header=BB199_13 Depth=1
	v_and_b32_e32 v56, 0x7f, v29
	v_mov_b32_e32 v27, 0x7f800001
	v_mov_b32_e32 v28, 0
	v_cmp_ne_u32_e64 s[4:5], s53, v56
	s_and_saveexec_b64 s[44:45], s[4:5]
	s_cbranch_execz .LBB199_202
; %bb.201:                              ;   in Loop: Header=BB199_13 Depth=1
	v_mov_b32_e32 v42, v36
	v_mov_b32_e32 v41, v35
	;; [unrolled: 1-line block ×5, first 2 shown]
	v_and_b32_e32 v57, 7, v29
	v_mov_b32_e32 v61, v59
	v_mov_b32_e32 v60, v26
	;; [unrolled: 1-line block ×3, first 2 shown]
	v_ffbh_u32_e32 v26, v57
	v_min_u32_e32 v26, 32, v26
	v_subrev_u32_e32 v27, 28, v26
	v_lshlrev_b64 v[27:28], v27, v[29:30]
	v_lshrrev_b32_e32 v25, 3, v56
	v_cmp_gt_u32_e64 s[4:5], 8, v56
	v_sub_u32_e32 v26, 29, v26
	v_and_b32_e32 v27, 7, v27
	v_cndmask_b32_e64 v25, v25, v26, s[4:5]
	v_cndmask_b32_e64 v26, v57, v27, s[4:5]
	v_bfrev_b32_e32 v28, 60
	v_lshlrev_b32_e32 v26, 20, v26
	v_and_b32_sdwa v27, sext(v29), s54 dst_sel:DWORD dst_unused:UNUSED_PAD src0_sel:BYTE_0 src1_sel:DWORD
	v_lshl_add_u32 v25, v25, 23, v28
	v_or3_b32 v27, v27, v25, v26
	v_mov_b32_e32 v25, v59
	v_mov_b32_e32 v26, v60
	;; [unrolled: 1-line block ×9, first 2 shown]
.LBB199_202:                            ;   in Loop: Header=BB199_13 Depth=1
	s_or_b64 exec, exec, s[44:45]
.LBB199_203:                            ;   in Loop: Header=BB199_13 Depth=1
	s_or_b64 exec, exec, s[42:43]
.LBB199_204:                            ;   in Loop: Header=BB199_13 Depth=1
	s_or_b64 exec, exec, s[40:41]
	v_cmp_ne_u16_sdwa s[4:5], v29, v33 src0_sel:BYTE_1 src1_sel:DWORD
	s_and_saveexec_b64 s[40:41], s[4:5]
	s_cbranch_execz .LBB199_210
; %bb.205:                              ;   in Loop: Header=BB199_13 Depth=1
	v_mov_b32_e32 v50, v34
	v_cmp_ne_u16_sdwa s[4:5], v29, s52 src0_sel:BYTE_1 src1_sel:DWORD
	v_mov_b32_e32 v49, v33
	s_and_saveexec_b64 s[42:43], s[4:5]
	s_cbranch_execz .LBB199_209
; %bb.206:                              ;   in Loop: Header=BB199_13 Depth=1
	v_mov_b32_e32 v57, v33
	v_and_b32_sdwa v56, v29, s53 dst_sel:DWORD dst_unused:UNUSED_PAD src0_sel:BYTE_1 src1_sel:DWORD
	v_mov_b32_e32 v49, v57
	v_cmp_ne_u32_e64 s[4:5], s53, v56
	v_mov_b32_e32 v50, v58
	s_and_saveexec_b64 s[44:45], s[4:5]
	s_cbranch_execz .LBB199_208
; %bb.207:                              ;   in Loop: Header=BB199_13 Depth=1
	v_mov_b32_e32 v42, v36
	v_mov_b32_e32 v41, v35
	;; [unrolled: 1-line block ×9, first 2 shown]
	v_and_b32_sdwa v49, v29, v25 dst_sel:DWORD dst_unused:UNUSED_PAD src0_sel:BYTE_1 src1_sel:DWORD
	v_ffbh_u32_e32 v26, v49
	v_min_u32_e32 v26, 32, v26
	v_mov_b32_e32 v50, v33
	v_lshrrev_b32_e32 v25, 3, v56
	v_cmp_gt_u32_e64 s[4:5], 8, v56
	v_subrev_u32_e32 v56, 28, v26
	v_lshlrev_b64 v[56:57], v56, v[49:50]
	v_sub_u32_e32 v26, 29, v26
	v_and_b32_e32 v50, 7, v56
	v_cndmask_b32_e64 v25, v25, v26, s[4:5]
	v_cndmask_b32_e64 v26, v49, v50, s[4:5]
	v_bfrev_b32_e32 v49, 60
	v_lshlrev_b32_e32 v29, 16, v29
	v_lshl_add_u32 v25, v25, 23, v49
	v_and_or_b32 v25, v29, s54, v25
	v_lshlrev_b32_e32 v26, 20, v26
	v_or_b32_e32 v50, v25, v26
	v_mov_b32_e32 v25, v59
	v_mov_b32_e32 v26, v60
	;; [unrolled: 1-line block ×9, first 2 shown]
.LBB199_208:                            ;   in Loop: Header=BB199_13 Depth=1
	s_or_b64 exec, exec, s[44:45]
.LBB199_209:                            ;   in Loop: Header=BB199_13 Depth=1
	s_or_b64 exec, exec, s[42:43]
.LBB199_210:                            ;   in Loop: Header=BB199_13 Depth=1
	s_or_b64 exec, exec, s[40:41]
	v_mov_b32_e32 v57, v26
	v_mov_b32_e32 v56, v25
	v_or_b32_e32 v26, v35, v56
	v_or_b32_e32 v56, v62, v60
	;; [unrolled: 1-line block ×3, first 2 shown]
	buffer_load_dword v59, off, s[56:59], 0 offset:180 ; 4-byte Folded Reload
	buffer_load_dword v60, off, s[56:59], 0 offset:184 ; 4-byte Folded Reload
	buffer_load_dword v61, off, s[56:59], 0 offset:188 ; 4-byte Folded Reload
	buffer_load_dword v62, off, s[56:59], 0 offset:192 ; 4-byte Folded Reload
	v_or_b32_e32 v25, v36, v57
	v_mul_f32_e32 v26, s55, v26
	v_mul_f32_e32 v25, s55, v25
	;; [unrolled: 1-line block ×3, first 2 shown]
	v_or_b32_e32 v18, v18, v24
	v_or_b32_e32 v17, v17, v23
	;; [unrolled: 1-line block ×14, first 2 shown]
	v_mul_f32_e32 v7, s55, v16
	v_mul_f32_e32 v8, s55, v15
	;; [unrolled: 1-line block ×10, first 2 shown]
	v_or_b32_e32 v28, v50, v28
	v_or_b32_e32 v27, v49, v27
	v_mul_f32_e32 v28, s55, v28
	v_mul_f32_e32 v27, s55, v27
	s_waitcnt vmcnt(1)
	v_mul_f32_e32 v29, v61, v26
	v_mul_f32_e32 v26, s55, v56
	s_waitcnt vmcnt(0)
	v_mul_f32_e32 v56, v62, v25
	v_fmac_f32_e32 v56, v60, v26
	v_or_b32_e32 v25, v2, v48
	v_or_b32_e32 v26, v1, v47
	buffer_load_dword v1, off, s[56:59], 0 offset:56 ; 4-byte Folded Reload
	buffer_load_dword v2, off, s[56:59], 0 offset:60 ; 4-byte Folded Reload
	v_fmac_f32_e32 v29, v59, v57
	v_mul_f32_e32 v15, s55, v25
	v_mul_f32_e32 v16, s55, v26
	s_waitcnt vmcnt(1)
	v_or_b32_e32 v40, v43, v1
	s_waitcnt vmcnt(0)
	v_or_b32_e32 v39, v44, v2
	buffer_load_dword v1, off, s[56:59], 0 offset:40 ; 4-byte Folded Reload
	buffer_load_dword v2, off, s[56:59], 0 offset:44 ; 4-byte Folded Reload
	buffer_load_dword v3, off, s[56:59], 0 offset:48 ; 4-byte Folded Reload
	buffer_load_dword v4, off, s[56:59], 0 offset:52 ; 4-byte Folded Reload
	s_waitcnt vmcnt(1)
	v_or_b32_e32 v35, v3, v1
	s_waitcnt vmcnt(0)
	v_or_b32_e32 v36, v4, v2
	buffer_load_dword v1, off, s[56:59], 0 offset:24 ; 4-byte Folded Reload
	buffer_load_dword v2, off, s[56:59], 0 offset:28 ; 4-byte Folded Reload
	;; [unrolled: 1-line block ×4, first 2 shown]
	v_mul_f32_e32 v19, s55, v36
	v_mul_f32_e32 v20, s55, v35
	s_waitcnt vmcnt(1)
	v_or_b32_e32 v42, v3, v1
	s_waitcnt vmcnt(0)
	v_or_b32_e32 v41, v4, v2
	buffer_load_dword v1, off, s[56:59], 0 offset:8 ; 4-byte Folded Reload
	buffer_load_dword v2, off, s[56:59], 0 offset:12 ; 4-byte Folded Reload
	;; [unrolled: 1-line block ×4, first 2 shown]
	s_waitcnt vmcnt(1)
	v_or_b32_e32 v44, v3, v1
	s_waitcnt vmcnt(0)
	v_or_b32_e32 v43, v4, v2
	buffer_load_dword v3, off, s[56:59], 0  ; 4-byte Folded Reload
	buffer_load_dword v4, off, s[56:59], 0 offset:4 ; 4-byte Folded Reload
	buffer_load_dword v48, off, s[56:59], 0 offset:208 ; 4-byte Folded Reload
	v_mov_b32_e32 v1, v45
	v_mov_b32_e32 v2, v46
	v_mul_f32_e32 v23, s55, v43
	v_mul_f32_e32 v24, s55, v44
	s_waitcnt vmcnt(2)
	v_or_b32_e32 v46, v3, v1
	s_waitcnt vmcnt(1)
	v_or_b32_e32 v45, v4, v2
	s_waitcnt vmcnt(0)
	v_and_b32_e32 v1, 64, v48
	v_add_u32_e32 v1, 64, v1
	v_xor_b32_e32 v47, 1, v48
	v_cmp_lt_i32_e64 s[4:5], v47, v1
	v_mul_f32_e32 v1, s55, v22
	v_mul_f32_e32 v2, s55, v21
	;; [unrolled: 1-line block ×8, first 2 shown]
	buffer_load_dword v39, off, s[56:59], 0 offset:164 ; 4-byte Folded Reload
	buffer_load_dword v40, off, s[56:59], 0 offset:168 ; 4-byte Folded Reload
	;; [unrolled: 1-line block ×4, first 2 shown]
	v_mul_f32_e32 v25, s55, v45
	v_mul_f32_e32 v26, s55, v46
	v_cndmask_b32_e64 v35, v48, v47, s[4:5]
	v_lshlrev_b32_e32 v35, 2, v35
	s_waitcnt vmcnt(3)
	v_fmac_f32_e32 v29, v39, v26
	s_waitcnt vmcnt(2)
	v_fmac_f32_e32 v56, v40, v25
	s_waitcnt vmcnt(1)
	v_fmac_f32_e32 v29, v41, v24
	s_waitcnt vmcnt(0)
	v_fmac_f32_e32 v56, v42, v23
	buffer_load_dword v23, off, s[56:59], 0 offset:148 ; 4-byte Folded Reload
	buffer_load_dword v24, off, s[56:59], 0 offset:152 ; 4-byte Folded Reload
	buffer_load_dword v25, off, s[56:59], 0 offset:156 ; 4-byte Folded Reload
	buffer_load_dword v26, off, s[56:59], 0 offset:160 ; 4-byte Folded Reload
	s_waitcnt vmcnt(3)
	v_fmac_f32_e32 v29, v23, v22
	s_waitcnt vmcnt(2)
	v_fmac_f32_e32 v56, v24, v21
	s_waitcnt vmcnt(1)
	v_fmac_f32_e32 v29, v25, v20
	s_waitcnt vmcnt(0)
	v_fmac_f32_e32 v56, v26, v19
	buffer_load_dword v19, off, s[56:59], 0 offset:132 ; 4-byte Folded Reload
	buffer_load_dword v20, off, s[56:59], 0 offset:136 ; 4-byte Folded Reload
	buffer_load_dword v21, off, s[56:59], 0 offset:140 ; 4-byte Folded Reload
	buffer_load_dword v22, off, s[56:59], 0 offset:144 ; 4-byte Folded Reload
	s_waitcnt vmcnt(3)
	v_fmac_f32_e32 v29, v19, v18
	s_waitcnt vmcnt(2)
	v_fmac_f32_e32 v56, v20, v17
	s_waitcnt vmcnt(1)
	v_fmac_f32_e32 v29, v21, v16
	s_waitcnt vmcnt(0)
	v_fmac_f32_e32 v56, v22, v15
	buffer_load_dword v15, off, s[56:59], 0 offset:116 ; 4-byte Folded Reload
	buffer_load_dword v16, off, s[56:59], 0 offset:120 ; 4-byte Folded Reload
	buffer_load_dword v17, off, s[56:59], 0 offset:124 ; 4-byte Folded Reload
	buffer_load_dword v18, off, s[56:59], 0 offset:128 ; 4-byte Folded Reload
	s_waitcnt vmcnt(3)
	v_fmac_f32_e32 v29, v15, v14
	s_waitcnt vmcnt(2)
	v_fmac_f32_e32 v56, v16, v13
	s_waitcnt vmcnt(1)
	v_fmac_f32_e32 v29, v17, v12
	s_waitcnt vmcnt(0)
	v_fmac_f32_e32 v56, v18, v11
	buffer_load_dword v11, off, s[56:59], 0 offset:100 ; 4-byte Folded Reload
	buffer_load_dword v12, off, s[56:59], 0 offset:104 ; 4-byte Folded Reload
	buffer_load_dword v13, off, s[56:59], 0 offset:108 ; 4-byte Folded Reload
	buffer_load_dword v14, off, s[56:59], 0 offset:112 ; 4-byte Folded Reload
	s_waitcnt vmcnt(3)
	v_fmac_f32_e32 v29, v11, v10
	s_waitcnt vmcnt(2)
	v_fmac_f32_e32 v56, v12, v9
	s_waitcnt vmcnt(1)
	v_fmac_f32_e32 v29, v13, v8
	s_waitcnt vmcnt(0)
	v_fmac_f32_e32 v56, v14, v7
	buffer_load_dword v7, off, s[56:59], 0 offset:84 ; 4-byte Folded Reload
	buffer_load_dword v8, off, s[56:59], 0 offset:88 ; 4-byte Folded Reload
	buffer_load_dword v9, off, s[56:59], 0 offset:92 ; 4-byte Folded Reload
	buffer_load_dword v10, off, s[56:59], 0 offset:96 ; 4-byte Folded Reload
	s_waitcnt vmcnt(3)
	v_fmac_f32_e32 v29, v7, v6
	s_waitcnt vmcnt(2)
	v_fmac_f32_e32 v56, v8, v5
	s_waitcnt vmcnt(1)
	v_fmac_f32_e32 v29, v9, v4
	s_waitcnt vmcnt(0)
	v_fmac_f32_e32 v56, v10, v3
	buffer_load_dword v3, off, s[56:59], 0 offset:68 ; 4-byte Folded Reload
	buffer_load_dword v4, off, s[56:59], 0 offset:72 ; 4-byte Folded Reload
	buffer_load_dword v5, off, s[56:59], 0 offset:76 ; 4-byte Folded Reload
	buffer_load_dword v6, off, s[56:59], 0 offset:80 ; 4-byte Folded Reload
	s_waitcnt vmcnt(3)
	v_fmac_f32_e32 v29, v3, v2
	s_waitcnt vmcnt(2)
	v_fmac_f32_e32 v56, v4, v1
	;; [unrolled: 2-line block ×4, first 2 shown]
	v_add_f32_e32 v1, v29, v56
	ds_bpermute_b32 v2, v35, v1
	s_and_saveexec_b64 s[40:41], vcc
	s_cbranch_execz .LBB199_11
; %bb.211:                              ;   in Loop: Header=BB199_13 Depth=1
	buffer_load_dword v3, off, s[56:59], 0 offset:216 ; 4-byte Folded Reload
	buffer_load_dword v4, off, s[56:59], 0 offset:212 ; 4-byte Folded Reload
	s_waitcnt lgkmcnt(0)
	v_add_f32_e32 v1, v1, v2
	s_waitcnt vmcnt(1)
	v_add_u32_e32 v3, v3, v0
	v_cvt_f32_i32_e32 v3, v3
	v_mul_f32_e32 v2, s48, v3
	buffer_load_dword v3, off, s[56:59], 0 offset:196 ; 4-byte Folded Reload
	s_waitcnt vmcnt(1)
	v_add_u32_e32 v4, v4, v0
	v_cndmask_b32_e64 v2, 0, v2, s[2:3]
	v_fmac_f32_e32 v2, s37, v1
	v_cmp_gt_i32_e64 s[4:5], s33, v4
	v_cndmask_b32_e64 v1, 0, v2, s[4:5]
	ds_write_b32 v32, v1
	s_waitcnt vmcnt(0)
	v_max_f32_e32 v1, v3, v3
	v_max_f32_e32 v1, v1, v2
	v_cndmask_b32_e64 v3, v3, v1, s[4:5]
	buffer_store_dword v3, off, s[56:59], 0 offset:196 ; 4-byte Folded Spill
	s_branch .LBB199_11
.LBB199_212:
	s_or_b64 exec, exec, s[38:39]
	buffer_load_dword v11, off, s[56:59], 0 offset:220 ; 4-byte Folded Reload
	buffer_load_dword v12, off, s[56:59], 0 offset:224 ; 4-byte Folded Reload
	;; [unrolled: 1-line block ×4, first 2 shown]
	v_mbcnt_lo_u32_b32 v5, -1, 0
.LBB199_213:
	s_or_b64 exec, exec, s[18:19]
	v_mbcnt_hi_u32_b32 v0, -1, v5
	v_and_b32_e32 v6, 64, v0
	v_add_u32_e32 v7, 64, v6
	v_xor_b32_e32 v1, 32, v0
	v_cmp_lt_i32_e32 vcc, v1, v7
	v_cndmask_b32_e32 v1, v0, v1, vcc
	v_lshlrev_b32_e32 v1, 2, v1
	s_waitcnt vmcnt(0) lgkmcnt(0)
	ds_bpermute_b32 v2, v1, v3
	v_xor_b32_e32 v4, 16, v0
	v_max_f32_e32 v3, v3, v3
	v_cmp_lt_i32_e32 vcc, v4, v7
	v_xor_b32_e32 v5, 8, v0
	s_waitcnt lgkmcnt(0)
	v_max_f32_e32 v2, v2, v2
	v_max_f32_e32 v3, v3, v2
	v_cndmask_b32_e32 v2, v0, v4, vcc
	v_lshlrev_b32_e32 v2, 2, v2
	ds_bpermute_b32 v4, v2, v3
	v_cmp_lt_i32_e32 vcc, v5, v7
	v_xor_b32_e32 v8, 4, v0
	v_and_b32_e32 v14, 63, v11
	s_waitcnt lgkmcnt(0)
	v_max_f32_e32 v4, v4, v4
	v_max_f32_e32 v4, v3, v4
	v_cndmask_b32_e32 v3, v0, v5, vcc
	v_lshlrev_b32_e32 v3, 2, v3
	ds_bpermute_b32 v5, v3, v4
	v_cmp_lt_i32_e32 vcc, v8, v7
	s_waitcnt lgkmcnt(0)
	v_max_f32_e32 v5, v5, v5
	v_max_f32_e32 v4, v4, v5
	v_cndmask_b32_e32 v5, v0, v8, vcc
	v_lshlrev_b32_e32 v15, 2, v5
	ds_bpermute_b32 v5, v15, v4
	v_xor_b32_e32 v8, 2, v0
	v_cmp_lt_i32_e32 vcc, v8, v7
	s_waitcnt lgkmcnt(0)
	v_max_f32_e32 v5, v5, v5
	v_max_f32_e32 v5, v4, v5
	v_cndmask_b32_e32 v4, v0, v8, vcc
	v_lshlrev_b32_e32 v16, 2, v4
	ds_bpermute_b32 v8, v16, v5
	v_cmp_eq_u32_e32 vcc, 0, v14
	v_lshlrev_b32_e32 v4, 2, v55
	s_and_saveexec_b64 s[2:3], vcc
	s_cbranch_execz .LBB199_215
; %bb.214:
	s_waitcnt lgkmcnt(0)
	v_max_f32_e32 v8, v8, v8
	v_max_f32_e32 v5, v5, v5
	v_max_f32_e32 v5, v5, v8
	ds_write_b32 v4, v5 offset:256
.LBB199_215:
	s_or_b64 exec, exec, s[2:3]
	v_cmp_gt_u32_e64 s[2:3], 2, v14
	s_waitcnt lgkmcnt(0)
	v_mov_b32_e32 v8, 0xff7fffff
	v_lshlrev_b32_e32 v5, 2, v14
	s_barrier
	s_and_saveexec_b64 s[4:5], s[2:3]
; %bb.216:
	ds_read_b32 v8, v5 offset:256
; %bb.217:
	s_or_b64 exec, exec, s[4:5]
	v_xor_b32_e32 v9, 1, v0
	v_cmp_lt_i32_e64 s[4:5], v9, v7
	v_cndmask_b32_e64 v7, v0, v9, s[4:5]
	v_lshlrev_b32_e32 v17, 2, v7
	s_waitcnt lgkmcnt(0)
	ds_bpermute_b32 v7, v17, v8
	v_max_f32_e32 v8, v8, v8
	v_lshlrev_b32_e32 v6, 2, v6
	s_lshl_b32 s4, s20, 5
	s_min_i32 s37, s4, s33
	s_waitcnt lgkmcnt(0)
	v_max_f32_e32 v7, v7, v7
	v_max_f32_e32 v7, v8, v7
	ds_bpermute_b32 v7, v6, v7
	v_cmp_gt_i32_e64 s[4:5], s37, v11
	v_mov_b32_e32 v6, 0
	s_and_saveexec_b64 s[12:13], s[4:5]
	s_cbranch_execz .LBB199_221
; %bb.218:
	v_mov_b32_e32 v6, 0x110
	v_lshl_add_u32 v8, v11, 2, v6
	v_mov_b32_e32 v6, 0
	s_mov_b64 s[18:19], 0
	v_mov_b32_e32 v9, v11
.LBB199_219:                            ; =>This Inner Loop Header: Depth=1
	ds_read_b32 v10, v8
	v_add_u32_e32 v9, 0x80, v9
	v_cmp_le_i32_e64 s[6:7], s37, v9
	s_or_b64 s[18:19], s[6:7], s[18:19]
	s_waitcnt lgkmcnt(0)
	v_sub_f32_e32 v10, v10, v7
	v_mul_f32_e32 v10, 0x3fb8aa3b, v10
	v_exp_f32_e32 v10, v10
	ds_write_b32 v8, v10
	v_add_f32_e32 v6, v6, v10
	v_add_u32_e32 v8, 0x200, v8
	s_andn2_b64 exec, exec, s[18:19]
	s_cbranch_execnz .LBB199_219
; %bb.220:
	s_or_b64 exec, exec, s[18:19]
.LBB199_221:
	s_or_b64 exec, exec, s[12:13]
	ds_bpermute_b32 v1, v1, v6
	s_waitcnt lgkmcnt(0)
	v_add_f32_e32 v1, v6, v1
	ds_bpermute_b32 v2, v2, v1
	s_waitcnt lgkmcnt(0)
	v_add_f32_e32 v1, v1, v2
	;; [unrolled: 3-line block ×6, first 2 shown]
	s_and_saveexec_b64 s[6:7], vcc
; %bb.222:
	ds_write_b32 v4, v1 offset:264
; %bb.223:
	s_or_b64 exec, exec, s[6:7]
	s_waitcnt lgkmcnt(0)
	s_barrier
	s_and_saveexec_b64 s[6:7], s[2:3]
; %bb.224:
	ds_read_b32 v1, v5 offset:264
; %bb.225:
	s_or_b64 exec, exec, s[6:7]
	s_waitcnt lgkmcnt(0)
	ds_bpermute_b32 v2, v17, v1
	v_lshlrev_b32_e32 v0, 2, v0
	v_and_b32_e32 v0, 0x100, v0
	s_waitcnt lgkmcnt(0)
	v_add_f32_e32 v1, v1, v2
	ds_bpermute_b32 v0, v0, v1
	s_and_saveexec_b64 s[2:3], s[4:5]
	s_cbranch_execz .LBB199_228
; %bb.226:
	s_waitcnt lgkmcnt(0)
	v_add_f32_e32 v1, 0x358637bd, v0
	v_div_scale_f32 v0, s[4:5], v1, v1, 1.0
	v_div_scale_f32 v2, vcc, 1.0, v1, 1.0
	s_mov_b64 s[4:5], 0
	v_rcp_f32_e32 v3, v0
	v_fma_f32 v4, -v0, v3, 1.0
	v_fmac_f32_e32 v3, v4, v3
	v_mul_f32_e32 v4, v2, v3
	v_fma_f32 v5, -v0, v4, v2
	v_fmac_f32_e32 v4, v5, v3
	v_fma_f32 v0, -v0, v4, v2
	v_div_fmas_f32 v2, v0, v3, v4
	v_mov_b32_e32 v0, 0x110
	v_lshl_add_u32 v0, v11, 2, v0
	v_div_fixup_f32 v1, v2, v1, 1.0
	v_mov_b32_e32 v2, v11
.LBB199_227:                            ; =>This Inner Loop Header: Depth=1
	ds_read_b32 v3, v0
	v_add_u32_e32 v2, 0x80, v2
	v_cmp_le_i32_e32 vcc, s37, v2
	s_or_b64 s[4:5], vcc, s[4:5]
	s_waitcnt lgkmcnt(0)
	v_mul_f32_e32 v3, v1, v3
	ds_write_b32 v0, v3
	v_add_u32_e32 v0, 0x200, v0
	s_andn2_b64 exec, exec, s[4:5]
	s_cbranch_execnz .LBB199_227
.LBB199_228:
	s_or_b64 exec, exec, s[2:3]
	v_mov_b32_e32 v35, 0
	v_and_b32_e32 v18, 7, v11
	v_mov_b32_e32 v36, 0
	v_mov_b32_e32 v34, 0
	;; [unrolled: 1-line block ×7, first 2 shown]
	s_waitcnt lgkmcnt(0)
	s_barrier
	s_and_saveexec_b64 s[2:3], s[0:1]
	s_cbranch_execz .LBB199_442
; %bb.229:
	s_sub_i32 s21, s16, s21
	s_ashr_i32 s0, s47, 31
	s_add_u32 s4, s34, s47
	s_addc_u32 s5, s35, s0
	s_abs_i32 s22, s22
	v_cvt_f32_u32_e32 v0, s22
	s_sub_i32 s0, 0, s22
	v_and_b32_e32 v1, 28, v12
	buffer_store_dword v17, off, s[56:59], 0 offset:64 ; 4-byte Folded Spill
	buffer_store_dword v16, off, s[56:59], 0 offset:56 ; 4-byte Folded Spill
	;; [unrolled: 1-line block ×4, first 2 shown]
	v_rcp_iflag_f32_e32 v0, v0
	buffer_store_dword v1, off, s[56:59], 0 offset:16 ; 4-byte Folded Spill
	v_and_b32_e32 v1, 0xfc, v12
	s_add_i32 s35, s20, -1
	v_mul_f32_e32 v0, 0x4f7ffffe, v0
	v_cvt_u32_f32_e32 v0, v0
	v_mov_b32_e32 v4, s5
	v_add_co_u32_e32 v6, vcc, s4, v1
	v_mul_lo_u32 v3, s0, v0
	s_lshl_b64 s[0:1], s[30:31], 2
	s_add_u32 s0, s28, s0
	v_and_b32_e32 v2, 60, v13
	v_mul_hi_u32 v3, v0, v3
	v_addc_co_u32_e32 v7, vcc, 0, v4, vcc
	s_addc_u32 s1, s29, s1
	v_add_u32_e32 v28, v0, v3
	v_mov_b32_e32 v0, s1
	v_add_co_u32_e32 v9, vcc, s0, v2
	v_addc_co_u32_e32 v10, vcc, 0, v0, vcc
	v_lshlrev_b32_e32 v0, 4, v18
	v_mov_b32_e32 v5, 0
	buffer_store_dword v6, off, s[56:59], 0 offset:24 ; 4-byte Folded Spill
	s_nop 0
	buffer_store_dword v7, off, s[56:59], 0 offset:28 ; 4-byte Folded Spill
	v_lshl_or_b32 v0, v55, 7, v0
	s_mov_b32 s34, s17
	v_add_u32_e32 v39, 0x110, v0
	s_mov_b64 s[4:5], 0
	s_movk_i32 s28, 0x80
	s_movk_i32 s29, 0x7f
	s_brev_b32 s30, 1
	s_mov_b32 s31, 0xffffff
	v_bfrev_b32_e32 v40, 60
	v_bfrev_b32_e32 v6, 1
	v_mov_b32_e32 v12, 0x7f800001
	v_mov_b32_e32 v44, 7
	;; [unrolled: 1-line block ×11, first 2 shown]
	buffer_store_dword v18, off, s[56:59], 0 offset:68 ; 4-byte Folded Spill
	buffer_store_dword v28, off, s[56:59], 0 offset:32 ; 4-byte Folded Spill
	s_branch .LBB199_232
.LBB199_230:                            ;   in Loop: Header=BB199_232 Depth=1
	s_or_b64 exec, exec, s[0:1]
	v_mul_f32_e32 v0, v1, v0
	v_fmac_f32_e32 v0, v2, v26
	v_fmac_f32_e32 v0, v3, v23
	;; [unrolled: 1-line block ×3, first 2 shown]
	v_add_f32_e32 v29, v29, v0
	v_mul_f32_e32 v0, v1, v25
	v_fmac_f32_e32 v0, v2, v37
	v_fmac_f32_e32 v0, v3, v8
	;; [unrolled: 1-line block ×3, first 2 shown]
	v_add_f32_e32 v30, v30, v0
	buffer_load_dword v0, off, s[56:59], 0 offset:8 ; 4-byte Folded Reload
	buffer_load_dword v7, off, s[56:59], 0  ; 4-byte Folded Reload
	s_waitcnt vmcnt(1)
	v_mul_f32_e32 v0, v1, v0
	v_fmac_f32_e32 v0, v2, v42
	s_waitcnt vmcnt(0)
	v_fmac_f32_e32 v0, v3, v7
	v_fmac_f32_e32 v0, v4, v41
	v_add_f32_e32 v32, v32, v0
	v_mul_f32_e32 v0, v1, v24
	v_fmac_f32_e32 v0, v2, v62
	v_fmac_f32_e32 v0, v3, v27
	v_fmac_f32_e32 v0, v4, v63
	v_add_f32_e32 v33, v33, v0
	v_mul_f32_e32 v0, v1, v61
	v_fmac_f32_e32 v0, v2, v58
	;; [unrolled: 5-line block ×5, first 2 shown]
	v_fmac_f32_e32 v0, v3, v14
	v_fmac_f32_e32 v0, v4, v13
	v_add_f32_e32 v38, v38, v0
.LBB199_231:                            ;   in Loop: Header=BB199_232 Depth=1
	s_or_b64 exec, exec, s[6:7]
	v_add_co_u32_e32 v9, vcc, 8, v9
	v_add_u32_e32 v55, 2, v55
	v_addc_co_u32_e32 v10, vcc, 0, v10, vcc
	v_cmp_le_i32_e32 vcc, s20, v55
	v_add_u32_e32 v31, 64, v31
	s_or_b64 s[4:5], vcc, s[4:5]
	v_add_u32_e32 v39, 0x100, v39
	s_andn2_b64 exec, exec, s[4:5]
	s_cbranch_execz .LBB199_441
.LBB199_232:                            ; =>This Inner Loop Header: Depth=1
	v_mul_hi_u32 v0, v31, s46
	v_mul_lo_u32 v1, v0, s25
	v_add_u32_e32 v2, 1, v0
	v_sub_u32_e32 v1, v31, v1
	v_cmp_le_u32_e32 vcc, s25, v1
	v_cndmask_b32_e32 v0, v0, v2, vcc
	v_subrev_u32_e32 v2, s25, v1
	v_cndmask_b32_e32 v1, v1, v2, vcc
	v_add_u32_e32 v2, 1, v0
	v_cmp_le_u32_e32 vcc, s25, v1
	v_cndmask_b32_e32 v0, v0, v2, vcc
	v_xor_b32_e32 v0, s23, v0
	v_subrev_u32_e32 v0, s23, v0
	v_add_u32_e32 v1, s36, v0
	v_sub_u32_e32 v2, 0, v1
	v_max_i32_e32 v2, v1, v2
	v_mul_hi_u32 v3, v2, v28
	v_ashrrev_i32_e32 v1, 31, v1
	v_cmp_lt_i32_e64 s[0:1], s21, v0
	v_mul_lo_u32 v3, v3, s22
	v_sub_u32_e32 v2, v2, v3
	v_subrev_u32_e32 v3, s22, v2
	v_cmp_le_u32_e32 vcc, s22, v2
	v_cndmask_b32_e32 v2, v2, v3, vcc
	v_subrev_u32_e32 v3, s22, v2
	v_cmp_le_u32_e32 vcc, s22, v2
	v_cndmask_b32_e32 v2, v2, v3, vcc
	v_xor_b32_e32 v2, v2, v1
	v_sub_u32_e32 v1, v2, v1
	v_cmp_eq_u32_e32 vcc, 0, v1
	s_or_b64 s[0:1], vcc, s[0:1]
	s_and_saveexec_b64 s[6:7], s[0:1]
	s_cbranch_execz .LBB199_231
; %bb.233:                              ;   in Loop: Header=BB199_232 Depth=1
	global_load_dword v0, v[9:10], off
	buffer_load_dword v1, off, s[56:59], 0 offset:24 ; 4-byte Folded Reload
	buffer_load_dword v2, off, s[56:59], 0 offset:28 ; 4-byte Folded Reload
	s_load_dword s37, s[14:15], 0x0
	v_mov_b32_e32 v18, 0
	v_mov_b32_e32 v16, 0
	;; [unrolled: 1-line block ×4, first 2 shown]
	s_waitcnt vmcnt(0)
	v_mad_i64_i32 v[13:14], s[0:1], v0, s34, v[1:2]
	ds_read_b128 v[1:4], v39
	global_load_dword v15, v[13:14], off
	s_waitcnt vmcnt(0)
	v_cmp_ne_u16_sdwa s[12:13], v15, v5 src0_sel:BYTE_0 src1_sel:DWORD
	s_and_saveexec_b64 s[0:1], s[12:13]
	s_cbranch_execz .LBB199_239
; %bb.234:                              ;   in Loop: Header=BB199_232 Depth=1
	v_bfrev_b32_e32 v16, 1
	v_mov_b32_e32 v17, 0
	v_cmp_ne_u16_sdwa s[16:17], v15, s28 src0_sel:BYTE_0 src1_sel:DWORD
	s_and_saveexec_b64 s[12:13], s[16:17]
	s_cbranch_execz .LBB199_238
; %bb.235:                              ;   in Loop: Header=BB199_232 Depth=1
	v_and_b32_e32 v0, 0x7f, v15
	v_mov_b32_e32 v16, 0x7f800001
	v_mov_b32_e32 v17, 0
	v_cmp_ne_u32_e32 vcc, s29, v0
	s_and_saveexec_b64 s[16:17], vcc
	s_cbranch_execz .LBB199_237
; %bb.236:                              ;   in Loop: Header=BB199_232 Depth=1
	v_and_b32_e32 v11, 7, v15
	v_ffbh_u32_e32 v7, v11
	v_min_u32_e32 v17, 32, v7
	v_lshrrev_b32_e32 v16, 3, v0
	v_subrev_u32_e32 v7, 28, v17
	v_lshlrev_b64 v[7:8], v7, v[15:16]
	v_sub_u32_e32 v8, 29, v17
	v_and_b32_e32 v7, 7, v7
	v_cmp_gt_u32_e32 vcc, 8, v0
	v_cndmask_b32_e32 v0, v16, v8, vcc
	v_cndmask_b32_e32 v7, v11, v7, vcc
	v_lshlrev_b32_e32 v7, 20, v7
	v_and_b32_sdwa v8, sext(v15), s30 dst_sel:DWORD dst_unused:UNUSED_PAD src0_sel:BYTE_0 src1_sel:DWORD
	v_lshl_add_u32 v0, v0, 23, v40
	v_or3_b32 v16, v8, v0, v7
	v_mov_b32_e32 v17, v5
.LBB199_237:                            ;   in Loop: Header=BB199_232 Depth=1
	s_or_b64 exec, exec, s[16:17]
.LBB199_238:                            ;   in Loop: Header=BB199_232 Depth=1
	s_or_b64 exec, exec, s[12:13]
.LBB199_239:                            ;   in Loop: Header=BB199_232 Depth=1
	s_or_b64 exec, exec, s[0:1]
	v_cmp_ne_u16_sdwa s[12:13], v15, v5 src0_sel:BYTE_1 src1_sel:DWORD
	s_and_saveexec_b64 s[0:1], s[12:13]
	s_cbranch_execz .LBB199_245
; %bb.240:                              ;   in Loop: Header=BB199_232 Depth=1
	v_mov_b32_e32 v19, v6
	v_cmp_ne_u16_sdwa s[16:17], v15, s28 src0_sel:BYTE_1 src1_sel:DWORD
	v_mov_b32_e32 v18, v5
	s_and_saveexec_b64 s[12:13], s[16:17]
	s_cbranch_execz .LBB199_244
; %bb.241:                              ;   in Loop: Header=BB199_232 Depth=1
	v_and_b32_sdwa v0, v15, s29 dst_sel:DWORD dst_unused:UNUSED_PAD src0_sel:BYTE_1 src1_sel:DWORD
	v_mov_b32_e32 v11, v5
	v_mov_b32_e32 v19, v12
	v_cmp_ne_u32_e32 vcc, s29, v0
	v_mov_b32_e32 v18, v11
	s_and_saveexec_b64 s[16:17], vcc
	s_cbranch_execz .LBB199_243
; %bb.242:                              ;   in Loop: Header=BB199_232 Depth=1
	v_and_b32_sdwa v7, v15, v44 dst_sel:DWORD dst_unused:UNUSED_PAD src0_sel:BYTE_1 src1_sel:DWORD
	v_ffbh_u32_e32 v18, v7
	v_min_u32_e32 v20, 32, v18
	v_mov_b32_e32 v8, v5
	v_subrev_u32_e32 v18, 28, v20
	v_lshlrev_b64 v[18:19], v18, v[7:8]
	v_lshrrev_b32_e32 v11, 3, v0
	v_sub_u32_e32 v8, 29, v20
	v_cmp_gt_u32_e32 vcc, 8, v0
	v_and_b32_e32 v18, 7, v18
	v_cndmask_b32_e32 v0, v11, v8, vcc
	v_cndmask_b32_e32 v7, v7, v18, vcc
	v_lshlrev_b32_e32 v8, 16, v15
	v_lshl_add_u32 v0, v0, 23, v40
	v_and_or_b32 v0, v8, s30, v0
	v_lshlrev_b32_e32 v7, 20, v7
	v_or_b32_e32 v19, v0, v7
	v_mov_b32_e32 v18, v5
.LBB199_243:                            ;   in Loop: Header=BB199_232 Depth=1
	s_or_b64 exec, exec, s[16:17]
.LBB199_244:                            ;   in Loop: Header=BB199_232 Depth=1
	s_or_b64 exec, exec, s[12:13]
.LBB199_245:                            ;   in Loop: Header=BB199_232 Depth=1
	s_or_b64 exec, exec, s[0:1]
	v_lshrrev_b32_e32 v11, 16, v15
	v_mov_b32_e32 v22, 0
	v_mov_b32_e32 v20, 0
	;; [unrolled: 1-line block ×4, first 2 shown]
	v_cmp_ne_u16_sdwa s[12:13], v11, v5 src0_sel:BYTE_0 src1_sel:DWORD
	s_and_saveexec_b64 s[0:1], s[12:13]
	s_cbranch_execz .LBB199_251
; %bb.246:                              ;   in Loop: Header=BB199_232 Depth=1
	v_bfrev_b32_e32 v20, 1
	v_mov_b32_e32 v21, 0
	v_cmp_ne_u16_sdwa s[16:17], v11, s28 src0_sel:BYTE_0 src1_sel:DWORD
	s_and_saveexec_b64 s[12:13], s[16:17]
	s_cbranch_execz .LBB199_250
; %bb.247:                              ;   in Loop: Header=BB199_232 Depth=1
	v_bfe_u32 v0, v15, 16, 7
	v_mov_b32_e32 v20, 0x7f800001
	v_mov_b32_e32 v21, 0
	v_cmp_ne_u32_e32 vcc, s29, v0
	s_and_saveexec_b64 s[16:17], vcc
	s_cbranch_execz .LBB199_249
; %bb.248:                              ;   in Loop: Header=BB199_232 Depth=1
	v_and_b32_e32 v20, 7, v11
	v_ffbh_u32_e32 v7, v20
	v_min_u32_e32 v24, 32, v7
	v_subrev_u32_e32 v7, 28, v24
	v_lshlrev_b64 v[7:8], v7, v[11:12]
	v_lshrrev_b32_e32 v21, 3, v0
	v_sub_u32_e32 v8, 29, v24
	v_and_b32_e32 v7, 7, v7
	v_cmp_gt_u32_e32 vcc, 8, v0
	v_cndmask_b32_e32 v0, v21, v8, vcc
	v_cndmask_b32_e32 v7, v20, v7, vcc
	v_lshlrev_b32_e32 v7, 20, v7
	v_and_b32_sdwa v8, sext(v11), s30 dst_sel:DWORD dst_unused:UNUSED_PAD src0_sel:BYTE_0 src1_sel:DWORD
	v_lshl_add_u32 v0, v0, 23, v40
	v_or3_b32 v20, v8, v0, v7
	v_mov_b32_e32 v21, v5
.LBB199_249:                            ;   in Loop: Header=BB199_232 Depth=1
	s_or_b64 exec, exec, s[16:17]
.LBB199_250:                            ;   in Loop: Header=BB199_232 Depth=1
	s_or_b64 exec, exec, s[12:13]
.LBB199_251:                            ;   in Loop: Header=BB199_232 Depth=1
	s_or_b64 exec, exec, s[0:1]
	v_cmp_lt_u32_e32 vcc, s31, v15
	s_and_saveexec_b64 s[0:1], vcc
	s_cbranch_execz .LBB199_257
; %bb.252:                              ;   in Loop: Header=BB199_232 Depth=1
	v_mov_b32_e32 v23, v6
	v_cmp_ne_u32_sdwa s[16:17], v15, s28 src0_sel:BYTE_3 src1_sel:DWORD
	v_mov_b32_e32 v22, v5
	s_and_saveexec_b64 s[12:13], s[16:17]
	s_cbranch_execz .LBB199_256
; %bb.253:                              ;   in Loop: Header=BB199_232 Depth=1
	v_bfe_u32 v0, v15, 24, 7
	v_mov_b32_e32 v11, v5
	v_mov_b32_e32 v23, v12
	v_cmp_ne_u32_e32 vcc, s29, v0
	v_mov_b32_e32 v22, v11
	s_and_saveexec_b64 s[16:17], vcc
	s_cbranch_execz .LBB199_255
; %bb.254:                              ;   in Loop: Header=BB199_232 Depth=1
	v_and_b32_sdwa v7, v15, v44 dst_sel:DWORD dst_unused:UNUSED_PAD src0_sel:BYTE_3 src1_sel:DWORD
	v_ffbh_u32_e32 v22, v7
	v_min_u32_e32 v24, 32, v22
	v_mov_b32_e32 v8, v5
	v_subrev_u32_e32 v22, 28, v24
	v_lshlrev_b64 v[22:23], v22, v[7:8]
	v_lshrrev_b32_e32 v11, 3, v0
	v_sub_u32_e32 v8, 29, v24
	v_cmp_gt_u32_e32 vcc, 8, v0
	v_and_b32_e32 v22, 7, v22
	v_cndmask_b32_e32 v0, v11, v8, vcc
	v_cndmask_b32_e32 v7, v7, v22, vcc
	v_lshlrev_b32_sdwa v8, v43, v15 dst_sel:DWORD dst_unused:UNUSED_PAD src0_sel:DWORD src1_sel:BYTE_3
	v_lshl_add_u32 v0, v0, 23, v40
	v_and_or_b32 v0, v8, s30, v0
	v_lshlrev_b32_e32 v7, 20, v7
	v_or_b32_e32 v23, v0, v7
	v_mov_b32_e32 v22, v5
.LBB199_255:                            ;   in Loop: Header=BB199_232 Depth=1
	s_or_b64 exec, exec, s[16:17]
.LBB199_256:                            ;   in Loop: Header=BB199_232 Depth=1
	s_or_b64 exec, exec, s[12:13]
.LBB199_257:                            ;   in Loop: Header=BB199_232 Depth=1
	s_or_b64 exec, exec, s[0:1]
	buffer_load_dword v0, off, s[56:59], 0 offset:16 ; 4-byte Folded Reload
	v_or_b32_e32 v7, v18, v16
	s_waitcnt lgkmcnt(0)
	v_mul_f32_e32 v52, s37, v7
	v_or_b32_e32 v7, v22, v20
	v_cmp_eq_u32_e32 vcc, s35, v55
	v_mul_f32_e32 v51, s37, v7
	s_waitcnt vmcnt(0)
	v_add_u32_e32 v47, v0, v31
	v_or_b32_e32 v0, v19, v17
	v_mul_f32_e32 v45, s37, v0
	v_or_b32_e32 v0, v23, v21
	v_mul_f32_e32 v46, s37, v0
	v_add_u32_e32 v50, 1, v47
	v_add_u32_e32 v49, 2, v47
	v_add_u32_e32 v48, 3, v47
	s_and_saveexec_b64 s[12:13], vcc
; %bb.258:                              ;   in Loop: Header=BB199_232 Depth=1
	v_cmp_gt_i32_e64 s[0:1], s33, v47
	v_cndmask_b32_e64 v52, 0, v52, s[0:1]
	v_cmp_gt_i32_e64 s[0:1], s33, v50
	v_cndmask_b32_e64 v45, 0, v45, s[0:1]
	;; [unrolled: 2-line block ×4, first 2 shown]
; %bb.259:                              ;   in Loop: Header=BB199_232 Depth=1
	s_or_b64 exec, exec, s[12:13]
	global_load_dword v15, v[13:14], off offset:256
	v_mov_b32_e32 v18, 0
	v_mov_b32_e32 v16, 0
	;; [unrolled: 1-line block ×4, first 2 shown]
	s_waitcnt vmcnt(0)
	v_cmp_ne_u16_sdwa s[0:1], v15, v5 src0_sel:BYTE_0 src1_sel:DWORD
	s_and_saveexec_b64 s[12:13], s[0:1]
	s_cbranch_execz .LBB199_265
; %bb.260:                              ;   in Loop: Header=BB199_232 Depth=1
	v_bfrev_b32_e32 v16, 1
	v_mov_b32_e32 v17, 0
	v_cmp_ne_u16_sdwa s[0:1], v15, s28 src0_sel:BYTE_0 src1_sel:DWORD
	s_and_saveexec_b64 s[16:17], s[0:1]
	s_cbranch_execz .LBB199_264
; %bb.261:                              ;   in Loop: Header=BB199_232 Depth=1
	v_and_b32_e32 v0, 0x7f, v15
	v_mov_b32_e32 v16, 0x7f800001
	v_mov_b32_e32 v17, 0
	v_cmp_ne_u32_e64 s[0:1], s29, v0
	s_and_saveexec_b64 s[18:19], s[0:1]
	s_cbranch_execz .LBB199_263
; %bb.262:                              ;   in Loop: Header=BB199_232 Depth=1
	v_and_b32_e32 v11, 7, v15
	v_ffbh_u32_e32 v7, v11
	v_min_u32_e32 v17, 32, v7
	v_lshrrev_b32_e32 v16, 3, v0
	v_subrev_u32_e32 v7, 28, v17
	v_lshlrev_b64 v[7:8], v7, v[15:16]
	v_sub_u32_e32 v8, 29, v17
	v_and_b32_e32 v7, 7, v7
	v_cmp_gt_u32_e64 s[0:1], 8, v0
	v_cndmask_b32_e64 v0, v16, v8, s[0:1]
	v_cndmask_b32_e64 v7, v11, v7, s[0:1]
	v_lshlrev_b32_e32 v7, 20, v7
	v_and_b32_sdwa v8, sext(v15), s30 dst_sel:DWORD dst_unused:UNUSED_PAD src0_sel:BYTE_0 src1_sel:DWORD
	v_lshl_add_u32 v0, v0, 23, v40
	v_or3_b32 v16, v8, v0, v7
	v_mov_b32_e32 v17, v5
.LBB199_263:                            ;   in Loop: Header=BB199_232 Depth=1
	s_or_b64 exec, exec, s[18:19]
.LBB199_264:                            ;   in Loop: Header=BB199_232 Depth=1
	s_or_b64 exec, exec, s[16:17]
.LBB199_265:                            ;   in Loop: Header=BB199_232 Depth=1
	s_or_b64 exec, exec, s[12:13]
	v_cmp_ne_u16_sdwa s[0:1], v15, v5 src0_sel:BYTE_1 src1_sel:DWORD
	s_and_saveexec_b64 s[12:13], s[0:1]
	s_cbranch_execz .LBB199_271
; %bb.266:                              ;   in Loop: Header=BB199_232 Depth=1
	v_mov_b32_e32 v19, v6
	v_cmp_ne_u16_sdwa s[0:1], v15, s28 src0_sel:BYTE_1 src1_sel:DWORD
	v_mov_b32_e32 v18, v5
	s_and_saveexec_b64 s[16:17], s[0:1]
	s_cbranch_execz .LBB199_270
; %bb.267:                              ;   in Loop: Header=BB199_232 Depth=1
	v_and_b32_sdwa v0, v15, s29 dst_sel:DWORD dst_unused:UNUSED_PAD src0_sel:BYTE_1 src1_sel:DWORD
	v_mov_b32_e32 v11, v5
	v_mov_b32_e32 v19, v12
	v_cmp_ne_u32_e64 s[0:1], s29, v0
	v_mov_b32_e32 v18, v11
	s_and_saveexec_b64 s[18:19], s[0:1]
	s_cbranch_execz .LBB199_269
; %bb.268:                              ;   in Loop: Header=BB199_232 Depth=1
	v_and_b32_sdwa v7, v15, v44 dst_sel:DWORD dst_unused:UNUSED_PAD src0_sel:BYTE_1 src1_sel:DWORD
	v_ffbh_u32_e32 v18, v7
	v_min_u32_e32 v20, 32, v18
	v_mov_b32_e32 v8, v5
	v_subrev_u32_e32 v18, 28, v20
	v_lshlrev_b64 v[18:19], v18, v[7:8]
	v_lshrrev_b32_e32 v11, 3, v0
	v_sub_u32_e32 v8, 29, v20
	v_cmp_gt_u32_e64 s[0:1], 8, v0
	v_and_b32_e32 v18, 7, v18
	v_cndmask_b32_e64 v0, v11, v8, s[0:1]
	v_cndmask_b32_e64 v7, v7, v18, s[0:1]
	v_lshlrev_b32_e32 v8, 16, v15
	v_lshl_add_u32 v0, v0, 23, v40
	v_and_or_b32 v0, v8, s30, v0
	v_lshlrev_b32_e32 v7, 20, v7
	v_or_b32_e32 v19, v0, v7
	v_mov_b32_e32 v18, v5
.LBB199_269:                            ;   in Loop: Header=BB199_232 Depth=1
	s_or_b64 exec, exec, s[18:19]
.LBB199_270:                            ;   in Loop: Header=BB199_232 Depth=1
	s_or_b64 exec, exec, s[16:17]
.LBB199_271:                            ;   in Loop: Header=BB199_232 Depth=1
	s_or_b64 exec, exec, s[12:13]
	v_lshrrev_b32_e32 v11, 16, v15
	v_mov_b32_e32 v22, 0
	v_mov_b32_e32 v20, 0
	;; [unrolled: 1-line block ×4, first 2 shown]
	v_cmp_ne_u16_sdwa s[0:1], v11, v5 src0_sel:BYTE_0 src1_sel:DWORD
	s_and_saveexec_b64 s[12:13], s[0:1]
	s_cbranch_execz .LBB199_277
; %bb.272:                              ;   in Loop: Header=BB199_232 Depth=1
	v_bfrev_b32_e32 v20, 1
	v_mov_b32_e32 v21, 0
	v_cmp_ne_u16_sdwa s[0:1], v11, s28 src0_sel:BYTE_0 src1_sel:DWORD
	s_and_saveexec_b64 s[16:17], s[0:1]
	s_cbranch_execz .LBB199_276
; %bb.273:                              ;   in Loop: Header=BB199_232 Depth=1
	v_bfe_u32 v0, v15, 16, 7
	v_mov_b32_e32 v20, 0x7f800001
	v_mov_b32_e32 v21, 0
	v_cmp_ne_u32_e64 s[0:1], s29, v0
	s_and_saveexec_b64 s[18:19], s[0:1]
	s_cbranch_execz .LBB199_275
; %bb.274:                              ;   in Loop: Header=BB199_232 Depth=1
	v_and_b32_e32 v20, 7, v11
	v_ffbh_u32_e32 v7, v20
	v_min_u32_e32 v24, 32, v7
	v_subrev_u32_e32 v7, 28, v24
	v_lshlrev_b64 v[7:8], v7, v[11:12]
	v_lshrrev_b32_e32 v21, 3, v0
	v_sub_u32_e32 v8, 29, v24
	v_and_b32_e32 v7, 7, v7
	v_cmp_gt_u32_e64 s[0:1], 8, v0
	v_cndmask_b32_e64 v0, v21, v8, s[0:1]
	v_cndmask_b32_e64 v7, v20, v7, s[0:1]
	v_lshlrev_b32_e32 v7, 20, v7
	v_and_b32_sdwa v8, sext(v11), s30 dst_sel:DWORD dst_unused:UNUSED_PAD src0_sel:BYTE_0 src1_sel:DWORD
	v_lshl_add_u32 v0, v0, 23, v40
	v_or3_b32 v20, v8, v0, v7
	v_mov_b32_e32 v21, v5
.LBB199_275:                            ;   in Loop: Header=BB199_232 Depth=1
	s_or_b64 exec, exec, s[18:19]
.LBB199_276:                            ;   in Loop: Header=BB199_232 Depth=1
	s_or_b64 exec, exec, s[16:17]
.LBB199_277:                            ;   in Loop: Header=BB199_232 Depth=1
	s_or_b64 exec, exec, s[12:13]
	v_cmp_lt_u32_e64 s[0:1], s31, v15
	s_and_saveexec_b64 s[12:13], s[0:1]
	s_cbranch_execz .LBB199_283
; %bb.278:                              ;   in Loop: Header=BB199_232 Depth=1
	v_mov_b32_e32 v23, v6
	v_cmp_ne_u32_sdwa s[0:1], v15, s28 src0_sel:BYTE_3 src1_sel:DWORD
	v_mov_b32_e32 v22, v5
	s_and_saveexec_b64 s[16:17], s[0:1]
	s_cbranch_execz .LBB199_282
; %bb.279:                              ;   in Loop: Header=BB199_232 Depth=1
	v_bfe_u32 v0, v15, 24, 7
	v_mov_b32_e32 v11, v5
	v_mov_b32_e32 v23, v12
	v_cmp_ne_u32_e64 s[0:1], s29, v0
	v_mov_b32_e32 v22, v11
	s_and_saveexec_b64 s[18:19], s[0:1]
	s_cbranch_execz .LBB199_281
; %bb.280:                              ;   in Loop: Header=BB199_232 Depth=1
	v_and_b32_sdwa v7, v15, v44 dst_sel:DWORD dst_unused:UNUSED_PAD src0_sel:BYTE_3 src1_sel:DWORD
	v_ffbh_u32_e32 v22, v7
	v_min_u32_e32 v24, 32, v22
	v_mov_b32_e32 v8, v5
	v_subrev_u32_e32 v22, 28, v24
	v_lshlrev_b64 v[22:23], v22, v[7:8]
	v_lshrrev_b32_e32 v11, 3, v0
	v_sub_u32_e32 v8, 29, v24
	v_cmp_gt_u32_e64 s[0:1], 8, v0
	v_and_b32_e32 v22, 7, v22
	v_cndmask_b32_e64 v0, v11, v8, s[0:1]
	v_cndmask_b32_e64 v7, v7, v22, s[0:1]
	v_lshlrev_b32_sdwa v8, v43, v15 dst_sel:DWORD dst_unused:UNUSED_PAD src0_sel:DWORD src1_sel:BYTE_3
	v_lshl_add_u32 v0, v0, 23, v40
	v_and_or_b32 v0, v8, s30, v0
	v_lshlrev_b32_e32 v7, 20, v7
	v_or_b32_e32 v23, v0, v7
	v_mov_b32_e32 v22, v5
.LBB199_281:                            ;   in Loop: Header=BB199_232 Depth=1
	s_or_b64 exec, exec, s[18:19]
.LBB199_282:                            ;   in Loop: Header=BB199_232 Depth=1
	s_or_b64 exec, exec, s[16:17]
.LBB199_283:                            ;   in Loop: Header=BB199_232 Depth=1
	s_or_b64 exec, exec, s[12:13]
	s_mov_b32 s38, s37
	v_or_b32_e32 v0, v19, v17
	v_or_b32_e32 v7, v18, v16
	v_mul_f32_e32 v53, s38, v0
	v_mul_f32_e32 v57, s37, v7
	v_or_b32_e32 v0, v23, v21
	v_or_b32_e32 v7, v22, v20
	v_mul_f32_e32 v56, s37, v7
	v_mul_f32_e32 v54, s38, v0
	s_and_saveexec_b64 s[12:13], vcc
; %bb.284:                              ;   in Loop: Header=BB199_232 Depth=1
	v_cmp_gt_i32_e64 s[0:1], s33, v47
	v_cndmask_b32_e64 v57, 0, v57, s[0:1]
	v_cmp_gt_i32_e64 s[0:1], s33, v50
	v_cndmask_b32_e64 v53, 0, v53, s[0:1]
	;; [unrolled: 2-line block ×4, first 2 shown]
; %bb.285:                              ;   in Loop: Header=BB199_232 Depth=1
	s_or_b64 exec, exec, s[12:13]
	global_load_dword v15, v[13:14], off offset:512
	v_mov_b32_e32 v18, 0
	v_mov_b32_e32 v16, 0
	;; [unrolled: 1-line block ×4, first 2 shown]
	s_waitcnt vmcnt(0)
	v_cmp_ne_u16_sdwa s[0:1], v15, v5 src0_sel:BYTE_0 src1_sel:DWORD
	s_and_saveexec_b64 s[12:13], s[0:1]
	s_cbranch_execz .LBB199_291
; %bb.286:                              ;   in Loop: Header=BB199_232 Depth=1
	v_bfrev_b32_e32 v16, 1
	v_mov_b32_e32 v17, 0
	v_cmp_ne_u16_sdwa s[0:1], v15, s28 src0_sel:BYTE_0 src1_sel:DWORD
	s_and_saveexec_b64 s[16:17], s[0:1]
	s_cbranch_execz .LBB199_290
; %bb.287:                              ;   in Loop: Header=BB199_232 Depth=1
	v_and_b32_e32 v0, 0x7f, v15
	v_mov_b32_e32 v16, 0x7f800001
	v_mov_b32_e32 v17, 0
	v_cmp_ne_u32_e64 s[0:1], s29, v0
	s_and_saveexec_b64 s[18:19], s[0:1]
	s_cbranch_execz .LBB199_289
; %bb.288:                              ;   in Loop: Header=BB199_232 Depth=1
	v_and_b32_e32 v11, 7, v15
	v_ffbh_u32_e32 v7, v11
	v_min_u32_e32 v17, 32, v7
	v_lshrrev_b32_e32 v16, 3, v0
	v_subrev_u32_e32 v7, 28, v17
	v_lshlrev_b64 v[7:8], v7, v[15:16]
	v_sub_u32_e32 v8, 29, v17
	v_and_b32_e32 v7, 7, v7
	v_cmp_gt_u32_e64 s[0:1], 8, v0
	v_cndmask_b32_e64 v0, v16, v8, s[0:1]
	v_cndmask_b32_e64 v7, v11, v7, s[0:1]
	v_lshlrev_b32_e32 v7, 20, v7
	v_and_b32_sdwa v8, sext(v15), s30 dst_sel:DWORD dst_unused:UNUSED_PAD src0_sel:BYTE_0 src1_sel:DWORD
	v_lshl_add_u32 v0, v0, 23, v40
	v_or3_b32 v16, v8, v0, v7
	v_mov_b32_e32 v17, v5
.LBB199_289:                            ;   in Loop: Header=BB199_232 Depth=1
	s_or_b64 exec, exec, s[18:19]
.LBB199_290:                            ;   in Loop: Header=BB199_232 Depth=1
	s_or_b64 exec, exec, s[16:17]
.LBB199_291:                            ;   in Loop: Header=BB199_232 Depth=1
	s_or_b64 exec, exec, s[12:13]
	v_cmp_ne_u16_sdwa s[0:1], v15, v5 src0_sel:BYTE_1 src1_sel:DWORD
	s_and_saveexec_b64 s[12:13], s[0:1]
	s_cbranch_execz .LBB199_297
; %bb.292:                              ;   in Loop: Header=BB199_232 Depth=1
	v_mov_b32_e32 v19, v6
	v_cmp_ne_u16_sdwa s[0:1], v15, s28 src0_sel:BYTE_1 src1_sel:DWORD
	v_mov_b32_e32 v18, v5
	s_and_saveexec_b64 s[16:17], s[0:1]
	s_cbranch_execz .LBB199_296
; %bb.293:                              ;   in Loop: Header=BB199_232 Depth=1
	v_and_b32_sdwa v0, v15, s29 dst_sel:DWORD dst_unused:UNUSED_PAD src0_sel:BYTE_1 src1_sel:DWORD
	v_mov_b32_e32 v11, v5
	v_mov_b32_e32 v19, v12
	v_cmp_ne_u32_e64 s[0:1], s29, v0
	v_mov_b32_e32 v18, v11
	s_and_saveexec_b64 s[18:19], s[0:1]
	s_cbranch_execz .LBB199_295
; %bb.294:                              ;   in Loop: Header=BB199_232 Depth=1
	v_and_b32_sdwa v7, v15, v44 dst_sel:DWORD dst_unused:UNUSED_PAD src0_sel:BYTE_1 src1_sel:DWORD
	v_ffbh_u32_e32 v18, v7
	v_min_u32_e32 v20, 32, v18
	v_mov_b32_e32 v8, v5
	v_subrev_u32_e32 v18, 28, v20
	v_lshlrev_b64 v[18:19], v18, v[7:8]
	v_lshrrev_b32_e32 v11, 3, v0
	v_sub_u32_e32 v8, 29, v20
	v_cmp_gt_u32_e64 s[0:1], 8, v0
	v_and_b32_e32 v18, 7, v18
	v_cndmask_b32_e64 v0, v11, v8, s[0:1]
	v_cndmask_b32_e64 v7, v7, v18, s[0:1]
	v_lshlrev_b32_e32 v8, 16, v15
	v_lshl_add_u32 v0, v0, 23, v40
	v_and_or_b32 v0, v8, s30, v0
	v_lshlrev_b32_e32 v7, 20, v7
	v_or_b32_e32 v19, v0, v7
	v_mov_b32_e32 v18, v5
.LBB199_295:                            ;   in Loop: Header=BB199_232 Depth=1
	s_or_b64 exec, exec, s[18:19]
.LBB199_296:                            ;   in Loop: Header=BB199_232 Depth=1
	s_or_b64 exec, exec, s[16:17]
.LBB199_297:                            ;   in Loop: Header=BB199_232 Depth=1
	s_or_b64 exec, exec, s[12:13]
	v_lshrrev_b32_e32 v11, 16, v15
	v_mov_b32_e32 v22, 0
	v_mov_b32_e32 v20, 0
	;; [unrolled: 1-line block ×4, first 2 shown]
	v_cmp_ne_u16_sdwa s[0:1], v11, v5 src0_sel:BYTE_0 src1_sel:DWORD
	s_and_saveexec_b64 s[12:13], s[0:1]
	s_cbranch_execz .LBB199_303
; %bb.298:                              ;   in Loop: Header=BB199_232 Depth=1
	v_bfrev_b32_e32 v20, 1
	v_mov_b32_e32 v21, 0
	v_cmp_ne_u16_sdwa s[0:1], v11, s28 src0_sel:BYTE_0 src1_sel:DWORD
	s_and_saveexec_b64 s[16:17], s[0:1]
	s_cbranch_execz .LBB199_302
; %bb.299:                              ;   in Loop: Header=BB199_232 Depth=1
	v_bfe_u32 v0, v15, 16, 7
	v_mov_b32_e32 v20, 0x7f800001
	v_mov_b32_e32 v21, 0
	v_cmp_ne_u32_e64 s[0:1], s29, v0
	s_and_saveexec_b64 s[18:19], s[0:1]
	s_cbranch_execz .LBB199_301
; %bb.300:                              ;   in Loop: Header=BB199_232 Depth=1
	v_and_b32_e32 v20, 7, v11
	v_ffbh_u32_e32 v7, v20
	v_min_u32_e32 v24, 32, v7
	v_subrev_u32_e32 v7, 28, v24
	v_lshlrev_b64 v[7:8], v7, v[11:12]
	v_lshrrev_b32_e32 v21, 3, v0
	v_sub_u32_e32 v8, 29, v24
	v_and_b32_e32 v7, 7, v7
	v_cmp_gt_u32_e64 s[0:1], 8, v0
	v_cndmask_b32_e64 v0, v21, v8, s[0:1]
	v_cndmask_b32_e64 v7, v20, v7, s[0:1]
	v_lshlrev_b32_e32 v7, 20, v7
	v_and_b32_sdwa v8, sext(v11), s30 dst_sel:DWORD dst_unused:UNUSED_PAD src0_sel:BYTE_0 src1_sel:DWORD
	v_lshl_add_u32 v0, v0, 23, v40
	v_or3_b32 v20, v8, v0, v7
	v_mov_b32_e32 v21, v5
.LBB199_301:                            ;   in Loop: Header=BB199_232 Depth=1
	s_or_b64 exec, exec, s[18:19]
.LBB199_302:                            ;   in Loop: Header=BB199_232 Depth=1
	s_or_b64 exec, exec, s[16:17]
.LBB199_303:                            ;   in Loop: Header=BB199_232 Depth=1
	s_or_b64 exec, exec, s[12:13]
	v_cmp_lt_u32_e64 s[0:1], s31, v15
	s_and_saveexec_b64 s[12:13], s[0:1]
	s_cbranch_execz .LBB199_309
; %bb.304:                              ;   in Loop: Header=BB199_232 Depth=1
	v_mov_b32_e32 v23, v6
	v_cmp_ne_u32_sdwa s[0:1], v15, s28 src0_sel:BYTE_3 src1_sel:DWORD
	v_mov_b32_e32 v22, v5
	s_and_saveexec_b64 s[16:17], s[0:1]
	s_cbranch_execz .LBB199_308
; %bb.305:                              ;   in Loop: Header=BB199_232 Depth=1
	v_bfe_u32 v0, v15, 24, 7
	v_mov_b32_e32 v11, v5
	v_mov_b32_e32 v23, v12
	v_cmp_ne_u32_e64 s[0:1], s29, v0
	v_mov_b32_e32 v22, v11
	s_and_saveexec_b64 s[18:19], s[0:1]
	s_cbranch_execz .LBB199_307
; %bb.306:                              ;   in Loop: Header=BB199_232 Depth=1
	v_and_b32_sdwa v7, v15, v44 dst_sel:DWORD dst_unused:UNUSED_PAD src0_sel:BYTE_3 src1_sel:DWORD
	v_ffbh_u32_e32 v22, v7
	v_min_u32_e32 v24, 32, v22
	v_mov_b32_e32 v8, v5
	v_subrev_u32_e32 v22, 28, v24
	v_lshlrev_b64 v[22:23], v22, v[7:8]
	v_lshrrev_b32_e32 v11, 3, v0
	v_sub_u32_e32 v8, 29, v24
	v_cmp_gt_u32_e64 s[0:1], 8, v0
	v_and_b32_e32 v22, 7, v22
	v_cndmask_b32_e64 v0, v11, v8, s[0:1]
	v_cndmask_b32_e64 v7, v7, v22, s[0:1]
	v_lshlrev_b32_sdwa v8, v43, v15 dst_sel:DWORD dst_unused:UNUSED_PAD src0_sel:DWORD src1_sel:BYTE_3
	v_lshl_add_u32 v0, v0, 23, v40
	v_and_or_b32 v0, v8, s30, v0
	v_lshlrev_b32_e32 v7, 20, v7
	v_or_b32_e32 v23, v0, v7
	v_mov_b32_e32 v22, v5
.LBB199_307:                            ;   in Loop: Header=BB199_232 Depth=1
	s_or_b64 exec, exec, s[18:19]
.LBB199_308:                            ;   in Loop: Header=BB199_232 Depth=1
	s_or_b64 exec, exec, s[16:17]
.LBB199_309:                            ;   in Loop: Header=BB199_232 Depth=1
	s_or_b64 exec, exec, s[12:13]
	v_or_b32_e32 v0, v19, v17
	v_or_b32_e32 v7, v18, v16
	v_mul_f32_e32 v58, s38, v0
	v_mul_f32_e32 v61, s37, v7
	v_or_b32_e32 v0, v23, v21
	v_or_b32_e32 v7, v22, v20
	v_mul_f32_e32 v60, s37, v7
	v_mul_f32_e32 v59, s38, v0
	s_and_saveexec_b64 s[12:13], vcc
; %bb.310:                              ;   in Loop: Header=BB199_232 Depth=1
	v_cmp_gt_i32_e64 s[0:1], s33, v47
	v_cndmask_b32_e64 v61, 0, v61, s[0:1]
	v_cmp_gt_i32_e64 s[0:1], s33, v50
	v_cndmask_b32_e64 v58, 0, v58, s[0:1]
	v_cmp_gt_i32_e64 s[0:1], s33, v49
	v_cndmask_b32_e64 v60, 0, v60, s[0:1]
	v_cmp_gt_i32_e64 s[0:1], s33, v48
	v_cndmask_b32_e64 v59, 0, v59, s[0:1]
; %bb.311:                              ;   in Loop: Header=BB199_232 Depth=1
	s_or_b64 exec, exec, s[12:13]
	global_load_dword v15, v[13:14], off offset:768
	v_mov_b32_e32 v18, 0
	v_mov_b32_e32 v16, 0
	;; [unrolled: 1-line block ×4, first 2 shown]
	s_waitcnt vmcnt(0)
	v_cmp_ne_u16_sdwa s[0:1], v15, v5 src0_sel:BYTE_0 src1_sel:DWORD
	s_and_saveexec_b64 s[12:13], s[0:1]
	s_cbranch_execz .LBB199_317
; %bb.312:                              ;   in Loop: Header=BB199_232 Depth=1
	v_bfrev_b32_e32 v16, 1
	v_mov_b32_e32 v17, 0
	v_cmp_ne_u16_sdwa s[0:1], v15, s28 src0_sel:BYTE_0 src1_sel:DWORD
	s_and_saveexec_b64 s[16:17], s[0:1]
	s_cbranch_execz .LBB199_316
; %bb.313:                              ;   in Loop: Header=BB199_232 Depth=1
	v_and_b32_e32 v0, 0x7f, v15
	v_mov_b32_e32 v16, 0x7f800001
	v_mov_b32_e32 v17, 0
	v_cmp_ne_u32_e64 s[0:1], s29, v0
	s_and_saveexec_b64 s[18:19], s[0:1]
	s_cbranch_execz .LBB199_315
; %bb.314:                              ;   in Loop: Header=BB199_232 Depth=1
	v_and_b32_e32 v11, 7, v15
	v_ffbh_u32_e32 v7, v11
	v_min_u32_e32 v17, 32, v7
	v_lshrrev_b32_e32 v16, 3, v0
	v_subrev_u32_e32 v7, 28, v17
	v_lshlrev_b64 v[7:8], v7, v[15:16]
	v_sub_u32_e32 v8, 29, v17
	v_and_b32_e32 v7, 7, v7
	v_cmp_gt_u32_e64 s[0:1], 8, v0
	v_cndmask_b32_e64 v0, v16, v8, s[0:1]
	v_cndmask_b32_e64 v7, v11, v7, s[0:1]
	v_lshlrev_b32_e32 v7, 20, v7
	v_and_b32_sdwa v8, sext(v15), s30 dst_sel:DWORD dst_unused:UNUSED_PAD src0_sel:BYTE_0 src1_sel:DWORD
	v_lshl_add_u32 v0, v0, 23, v40
	v_or3_b32 v16, v8, v0, v7
	v_mov_b32_e32 v17, v5
.LBB199_315:                            ;   in Loop: Header=BB199_232 Depth=1
	s_or_b64 exec, exec, s[18:19]
.LBB199_316:                            ;   in Loop: Header=BB199_232 Depth=1
	s_or_b64 exec, exec, s[16:17]
.LBB199_317:                            ;   in Loop: Header=BB199_232 Depth=1
	s_or_b64 exec, exec, s[12:13]
	v_cmp_ne_u16_sdwa s[0:1], v15, v5 src0_sel:BYTE_1 src1_sel:DWORD
	s_and_saveexec_b64 s[12:13], s[0:1]
	s_cbranch_execz .LBB199_323
; %bb.318:                              ;   in Loop: Header=BB199_232 Depth=1
	v_mov_b32_e32 v19, v6
	v_cmp_ne_u16_sdwa s[0:1], v15, s28 src0_sel:BYTE_1 src1_sel:DWORD
	v_mov_b32_e32 v18, v5
	s_and_saveexec_b64 s[16:17], s[0:1]
	s_cbranch_execz .LBB199_322
; %bb.319:                              ;   in Loop: Header=BB199_232 Depth=1
	v_and_b32_sdwa v0, v15, s29 dst_sel:DWORD dst_unused:UNUSED_PAD src0_sel:BYTE_1 src1_sel:DWORD
	v_mov_b32_e32 v11, v5
	v_mov_b32_e32 v19, v12
	v_cmp_ne_u32_e64 s[0:1], s29, v0
	v_mov_b32_e32 v18, v11
	s_and_saveexec_b64 s[18:19], s[0:1]
	s_cbranch_execz .LBB199_321
; %bb.320:                              ;   in Loop: Header=BB199_232 Depth=1
	v_and_b32_sdwa v7, v15, v44 dst_sel:DWORD dst_unused:UNUSED_PAD src0_sel:BYTE_1 src1_sel:DWORD
	v_ffbh_u32_e32 v18, v7
	v_min_u32_e32 v20, 32, v18
	v_mov_b32_e32 v8, v5
	v_subrev_u32_e32 v18, 28, v20
	v_lshlrev_b64 v[18:19], v18, v[7:8]
	v_lshrrev_b32_e32 v11, 3, v0
	v_sub_u32_e32 v8, 29, v20
	v_cmp_gt_u32_e64 s[0:1], 8, v0
	v_and_b32_e32 v18, 7, v18
	v_cndmask_b32_e64 v0, v11, v8, s[0:1]
	v_cndmask_b32_e64 v7, v7, v18, s[0:1]
	v_lshlrev_b32_e32 v8, 16, v15
	v_lshl_add_u32 v0, v0, 23, v40
	v_and_or_b32 v0, v8, s30, v0
	v_lshlrev_b32_e32 v7, 20, v7
	v_or_b32_e32 v19, v0, v7
	v_mov_b32_e32 v18, v5
.LBB199_321:                            ;   in Loop: Header=BB199_232 Depth=1
	s_or_b64 exec, exec, s[18:19]
.LBB199_322:                            ;   in Loop: Header=BB199_232 Depth=1
	s_or_b64 exec, exec, s[16:17]
.LBB199_323:                            ;   in Loop: Header=BB199_232 Depth=1
	s_or_b64 exec, exec, s[12:13]
	v_lshrrev_b32_e32 v11, 16, v15
	v_mov_b32_e32 v22, 0
	v_mov_b32_e32 v20, 0
	;; [unrolled: 1-line block ×4, first 2 shown]
	v_cmp_ne_u16_sdwa s[0:1], v11, v5 src0_sel:BYTE_0 src1_sel:DWORD
	s_and_saveexec_b64 s[12:13], s[0:1]
	s_cbranch_execz .LBB199_329
; %bb.324:                              ;   in Loop: Header=BB199_232 Depth=1
	v_bfrev_b32_e32 v20, 1
	v_mov_b32_e32 v21, 0
	v_cmp_ne_u16_sdwa s[0:1], v11, s28 src0_sel:BYTE_0 src1_sel:DWORD
	s_and_saveexec_b64 s[16:17], s[0:1]
	s_cbranch_execz .LBB199_328
; %bb.325:                              ;   in Loop: Header=BB199_232 Depth=1
	v_bfe_u32 v0, v15, 16, 7
	v_mov_b32_e32 v20, 0x7f800001
	v_mov_b32_e32 v21, 0
	v_cmp_ne_u32_e64 s[0:1], s29, v0
	s_and_saveexec_b64 s[18:19], s[0:1]
	s_cbranch_execz .LBB199_327
; %bb.326:                              ;   in Loop: Header=BB199_232 Depth=1
	v_and_b32_e32 v20, 7, v11
	v_lshrrev_b32_e32 v21, 3, v0
	v_cmp_gt_u32_e64 s[0:1], 8, v0
	v_ffbh_u32_e32 v0, v20
	v_min_u32_e32 v0, 32, v0
	v_subrev_u32_e32 v7, 28, v0
	v_lshlrev_b64 v[7:8], v7, v[11:12]
	v_sub_u32_e32 v0, 29, v0
	v_and_b32_e32 v7, 7, v7
	v_cndmask_b32_e64 v0, v21, v0, s[0:1]
	v_cndmask_b32_e64 v7, v20, v7, s[0:1]
	v_lshlrev_b32_e32 v7, 20, v7
	v_and_b32_sdwa v8, sext(v11), s30 dst_sel:DWORD dst_unused:UNUSED_PAD src0_sel:BYTE_0 src1_sel:DWORD
	v_lshl_add_u32 v0, v0, 23, v40
	v_or3_b32 v20, v8, v0, v7
	v_mov_b32_e32 v21, v5
.LBB199_327:                            ;   in Loop: Header=BB199_232 Depth=1
	s_or_b64 exec, exec, s[18:19]
.LBB199_328:                            ;   in Loop: Header=BB199_232 Depth=1
	s_or_b64 exec, exec, s[16:17]
.LBB199_329:                            ;   in Loop: Header=BB199_232 Depth=1
	s_or_b64 exec, exec, s[12:13]
	v_cmp_lt_u32_e64 s[0:1], s31, v15
	s_and_saveexec_b64 s[12:13], s[0:1]
	s_cbranch_execz .LBB199_335
; %bb.330:                              ;   in Loop: Header=BB199_232 Depth=1
	v_mov_b32_e32 v23, v6
	v_cmp_ne_u32_sdwa s[0:1], v15, s28 src0_sel:BYTE_3 src1_sel:DWORD
	v_mov_b32_e32 v22, v5
	s_and_saveexec_b64 s[16:17], s[0:1]
	s_cbranch_execz .LBB199_334
; %bb.331:                              ;   in Loop: Header=BB199_232 Depth=1
	v_bfe_u32 v0, v15, 24, 7
	v_mov_b32_e32 v11, v5
	v_mov_b32_e32 v23, v12
	v_cmp_ne_u32_e64 s[0:1], s29, v0
	v_mov_b32_e32 v22, v11
	s_and_saveexec_b64 s[18:19], s[0:1]
	s_cbranch_execz .LBB199_333
; %bb.332:                              ;   in Loop: Header=BB199_232 Depth=1
	v_and_b32_sdwa v7, v15, v44 dst_sel:DWORD dst_unused:UNUSED_PAD src0_sel:BYTE_3 src1_sel:DWORD
	v_lshrrev_b32_e32 v11, 3, v0
	v_cmp_gt_u32_e64 s[0:1], 8, v0
	v_ffbh_u32_e32 v0, v7
	v_min_u32_e32 v0, 32, v0
	v_mov_b32_e32 v8, v5
	v_subrev_u32_e32 v22, 28, v0
	v_lshlrev_b64 v[22:23], v22, v[7:8]
	v_sub_u32_e32 v0, 29, v0
	v_and_b32_e32 v8, 7, v22
	v_cndmask_b32_e64 v0, v11, v0, s[0:1]
	v_cndmask_b32_e64 v7, v7, v8, s[0:1]
	v_lshlrev_b32_sdwa v8, v43, v15 dst_sel:DWORD dst_unused:UNUSED_PAD src0_sel:DWORD src1_sel:BYTE_3
	v_lshl_add_u32 v0, v0, 23, v40
	v_and_or_b32 v0, v8, s30, v0
	v_lshlrev_b32_e32 v7, 20, v7
	v_or_b32_e32 v23, v0, v7
	v_mov_b32_e32 v22, v5
.LBB199_333:                            ;   in Loop: Header=BB199_232 Depth=1
	s_or_b64 exec, exec, s[18:19]
.LBB199_334:                            ;   in Loop: Header=BB199_232 Depth=1
	s_or_b64 exec, exec, s[16:17]
.LBB199_335:                            ;   in Loop: Header=BB199_232 Depth=1
	s_or_b64 exec, exec, s[12:13]
	v_or_b32_e32 v0, v19, v17
	v_or_b32_e32 v7, v18, v16
	v_mul_f32_e32 v62, s38, v0
	v_mul_f32_e32 v24, s37, v7
	v_or_b32_e32 v0, v23, v21
	v_or_b32_e32 v7, v22, v20
	v_mul_f32_e32 v27, s37, v7
	v_mul_f32_e32 v63, s38, v0
	s_and_saveexec_b64 s[12:13], vcc
; %bb.336:                              ;   in Loop: Header=BB199_232 Depth=1
	v_cmp_gt_i32_e64 s[0:1], s33, v47
	v_cndmask_b32_e64 v24, 0, v24, s[0:1]
	v_cmp_gt_i32_e64 s[0:1], s33, v50
	v_cndmask_b32_e64 v62, 0, v62, s[0:1]
	;; [unrolled: 2-line block ×4, first 2 shown]
; %bb.337:                              ;   in Loop: Header=BB199_232 Depth=1
	s_or_b64 exec, exec, s[12:13]
	global_load_dword v15, v[13:14], off offset:1024
	v_mov_b32_e32 v18, 0
	v_mov_b32_e32 v16, 0
	;; [unrolled: 1-line block ×4, first 2 shown]
	s_waitcnt vmcnt(0)
	v_cmp_ne_u16_sdwa s[0:1], v15, v5 src0_sel:BYTE_0 src1_sel:DWORD
	s_and_saveexec_b64 s[12:13], s[0:1]
	s_cbranch_execz .LBB199_343
; %bb.338:                              ;   in Loop: Header=BB199_232 Depth=1
	v_bfrev_b32_e32 v16, 1
	v_mov_b32_e32 v17, 0
	v_cmp_ne_u16_sdwa s[0:1], v15, s28 src0_sel:BYTE_0 src1_sel:DWORD
	s_and_saveexec_b64 s[16:17], s[0:1]
	s_cbranch_execz .LBB199_342
; %bb.339:                              ;   in Loop: Header=BB199_232 Depth=1
	v_and_b32_e32 v0, 0x7f, v15
	v_mov_b32_e32 v16, 0x7f800001
	v_mov_b32_e32 v17, 0
	v_cmp_ne_u32_e64 s[0:1], s29, v0
	s_and_saveexec_b64 s[18:19], s[0:1]
	s_cbranch_execz .LBB199_341
; %bb.340:                              ;   in Loop: Header=BB199_232 Depth=1
	v_and_b32_e32 v11, 7, v15
	v_lshrrev_b32_e32 v16, 3, v0
	v_cmp_gt_u32_e64 s[0:1], 8, v0
	v_ffbh_u32_e32 v0, v11
	v_min_u32_e32 v0, 32, v0
	v_subrev_u32_e32 v7, 28, v0
	v_lshlrev_b64 v[7:8], v7, v[15:16]
	v_sub_u32_e32 v0, 29, v0
	v_and_b32_e32 v7, 7, v7
	v_cndmask_b32_e64 v0, v16, v0, s[0:1]
	v_cndmask_b32_e64 v7, v11, v7, s[0:1]
	v_lshlrev_b32_e32 v7, 20, v7
	v_and_b32_sdwa v8, sext(v15), s30 dst_sel:DWORD dst_unused:UNUSED_PAD src0_sel:BYTE_0 src1_sel:DWORD
	v_lshl_add_u32 v0, v0, 23, v40
	v_or3_b32 v16, v8, v0, v7
	v_mov_b32_e32 v17, v5
.LBB199_341:                            ;   in Loop: Header=BB199_232 Depth=1
	s_or_b64 exec, exec, s[18:19]
.LBB199_342:                            ;   in Loop: Header=BB199_232 Depth=1
	s_or_b64 exec, exec, s[16:17]
.LBB199_343:                            ;   in Loop: Header=BB199_232 Depth=1
	s_or_b64 exec, exec, s[12:13]
	v_cmp_ne_u16_sdwa s[0:1], v15, v5 src0_sel:BYTE_1 src1_sel:DWORD
	s_and_saveexec_b64 s[12:13], s[0:1]
	s_cbranch_execz .LBB199_349
; %bb.344:                              ;   in Loop: Header=BB199_232 Depth=1
	v_mov_b32_e32 v19, v6
	v_cmp_ne_u16_sdwa s[0:1], v15, s28 src0_sel:BYTE_1 src1_sel:DWORD
	v_mov_b32_e32 v18, v5
	s_and_saveexec_b64 s[16:17], s[0:1]
	s_cbranch_execz .LBB199_348
; %bb.345:                              ;   in Loop: Header=BB199_232 Depth=1
	v_and_b32_sdwa v0, v15, s29 dst_sel:DWORD dst_unused:UNUSED_PAD src0_sel:BYTE_1 src1_sel:DWORD
	v_mov_b32_e32 v11, v5
	v_mov_b32_e32 v19, v12
	v_cmp_ne_u32_e64 s[0:1], s29, v0
	v_mov_b32_e32 v18, v11
	s_and_saveexec_b64 s[18:19], s[0:1]
	s_cbranch_execz .LBB199_347
; %bb.346:                              ;   in Loop: Header=BB199_232 Depth=1
	v_and_b32_sdwa v7, v15, v44 dst_sel:DWORD dst_unused:UNUSED_PAD src0_sel:BYTE_1 src1_sel:DWORD
	v_lshrrev_b32_e32 v11, 3, v0
	v_cmp_gt_u32_e64 s[0:1], 8, v0
	v_ffbh_u32_e32 v0, v7
	v_min_u32_e32 v0, 32, v0
	v_mov_b32_e32 v8, v5
	v_subrev_u32_e32 v18, 28, v0
	v_lshlrev_b64 v[18:19], v18, v[7:8]
	v_sub_u32_e32 v0, 29, v0
	v_and_b32_e32 v8, 7, v18
	v_cndmask_b32_e64 v0, v11, v0, s[0:1]
	v_cndmask_b32_e64 v7, v7, v8, s[0:1]
	v_lshlrev_b32_e32 v8, 16, v15
	v_lshl_add_u32 v0, v0, 23, v40
	v_and_or_b32 v0, v8, s30, v0
	v_lshlrev_b32_e32 v7, 20, v7
	v_or_b32_e32 v19, v0, v7
	v_mov_b32_e32 v18, v5
.LBB199_347:                            ;   in Loop: Header=BB199_232 Depth=1
	s_or_b64 exec, exec, s[18:19]
.LBB199_348:                            ;   in Loop: Header=BB199_232 Depth=1
	s_or_b64 exec, exec, s[16:17]
.LBB199_349:                            ;   in Loop: Header=BB199_232 Depth=1
	s_or_b64 exec, exec, s[12:13]
	v_lshrrev_b32_e32 v11, 16, v15
	v_mov_b32_e32 v22, 0
	v_mov_b32_e32 v20, 0
	;; [unrolled: 1-line block ×4, first 2 shown]
	v_cmp_ne_u16_sdwa s[0:1], v11, v5 src0_sel:BYTE_0 src1_sel:DWORD
	s_and_saveexec_b64 s[12:13], s[0:1]
	s_cbranch_execz .LBB199_355
; %bb.350:                              ;   in Loop: Header=BB199_232 Depth=1
	v_bfrev_b32_e32 v20, 1
	v_mov_b32_e32 v21, 0
	v_cmp_ne_u16_sdwa s[0:1], v11, s28 src0_sel:BYTE_0 src1_sel:DWORD
	s_and_saveexec_b64 s[16:17], s[0:1]
	s_cbranch_execz .LBB199_354
; %bb.351:                              ;   in Loop: Header=BB199_232 Depth=1
	v_bfe_u32 v0, v15, 16, 7
	v_mov_b32_e32 v20, 0x7f800001
	v_mov_b32_e32 v21, 0
	v_cmp_ne_u32_e64 s[0:1], s29, v0
	s_and_saveexec_b64 s[18:19], s[0:1]
	s_cbranch_execz .LBB199_353
; %bb.352:                              ;   in Loop: Header=BB199_232 Depth=1
	v_and_b32_e32 v20, 7, v11
	v_lshrrev_b32_e32 v21, 3, v0
	v_cmp_gt_u32_e64 s[0:1], 8, v0
	v_ffbh_u32_e32 v0, v20
	v_min_u32_e32 v0, 32, v0
	v_subrev_u32_e32 v7, 28, v0
	v_lshlrev_b64 v[7:8], v7, v[11:12]
	v_sub_u32_e32 v0, 29, v0
	v_and_b32_e32 v7, 7, v7
	v_cndmask_b32_e64 v0, v21, v0, s[0:1]
	v_cndmask_b32_e64 v7, v20, v7, s[0:1]
	v_lshlrev_b32_e32 v7, 20, v7
	v_and_b32_sdwa v8, sext(v11), s30 dst_sel:DWORD dst_unused:UNUSED_PAD src0_sel:BYTE_0 src1_sel:DWORD
	v_lshl_add_u32 v0, v0, 23, v40
	v_or3_b32 v20, v8, v0, v7
	v_mov_b32_e32 v21, v5
.LBB199_353:                            ;   in Loop: Header=BB199_232 Depth=1
	s_or_b64 exec, exec, s[18:19]
.LBB199_354:                            ;   in Loop: Header=BB199_232 Depth=1
	s_or_b64 exec, exec, s[16:17]
.LBB199_355:                            ;   in Loop: Header=BB199_232 Depth=1
	s_or_b64 exec, exec, s[12:13]
	v_cmp_lt_u32_e64 s[0:1], s31, v15
	s_and_saveexec_b64 s[12:13], s[0:1]
	s_cbranch_execz .LBB199_361
; %bb.356:                              ;   in Loop: Header=BB199_232 Depth=1
	v_mov_b32_e32 v23, v6
	v_cmp_ne_u32_sdwa s[0:1], v15, s28 src0_sel:BYTE_3 src1_sel:DWORD
	v_mov_b32_e32 v22, v5
	s_and_saveexec_b64 s[16:17], s[0:1]
	s_cbranch_execz .LBB199_360
; %bb.357:                              ;   in Loop: Header=BB199_232 Depth=1
	v_bfe_u32 v0, v15, 24, 7
	v_mov_b32_e32 v11, v5
	v_mov_b32_e32 v23, v12
	v_cmp_ne_u32_e64 s[0:1], s29, v0
	v_mov_b32_e32 v22, v11
	s_and_saveexec_b64 s[18:19], s[0:1]
	s_cbranch_execz .LBB199_359
; %bb.358:                              ;   in Loop: Header=BB199_232 Depth=1
	v_and_b32_sdwa v7, v15, v44 dst_sel:DWORD dst_unused:UNUSED_PAD src0_sel:BYTE_3 src1_sel:DWORD
	v_lshrrev_b32_e32 v11, 3, v0
	v_cmp_gt_u32_e64 s[0:1], 8, v0
	v_ffbh_u32_e32 v0, v7
	v_min_u32_e32 v0, 32, v0
	v_mov_b32_e32 v8, v5
	v_subrev_u32_e32 v22, 28, v0
	v_lshlrev_b64 v[22:23], v22, v[7:8]
	v_sub_u32_e32 v0, 29, v0
	v_and_b32_e32 v8, 7, v22
	v_cndmask_b32_e64 v0, v11, v0, s[0:1]
	v_cndmask_b32_e64 v7, v7, v8, s[0:1]
	v_lshlrev_b32_sdwa v8, v43, v15 dst_sel:DWORD dst_unused:UNUSED_PAD src0_sel:DWORD src1_sel:BYTE_3
	v_lshl_add_u32 v0, v0, 23, v40
	v_and_or_b32 v0, v8, s30, v0
	v_lshlrev_b32_e32 v7, 20, v7
	v_or_b32_e32 v23, v0, v7
	v_mov_b32_e32 v22, v5
.LBB199_359:                            ;   in Loop: Header=BB199_232 Depth=1
	s_or_b64 exec, exec, s[18:19]
.LBB199_360:                            ;   in Loop: Header=BB199_232 Depth=1
	s_or_b64 exec, exec, s[16:17]
.LBB199_361:                            ;   in Loop: Header=BB199_232 Depth=1
	s_or_b64 exec, exec, s[12:13]
	v_or_b32_e32 v0, v19, v17
	v_or_b32_e32 v7, v18, v16
	v_mul_f32_e32 v42, s38, v0
	v_mul_f32_e32 v0, s37, v7
	buffer_store_dword v0, off, s[56:59], 0 offset:8 ; 4-byte Folded Spill
	v_or_b32_e32 v0, v23, v21
	v_or_b32_e32 v7, v22, v20
	v_mul_f32_e32 v7, s37, v7
	v_mul_f32_e32 v41, s38, v0
	buffer_store_dword v7, off, s[56:59], 0 ; 4-byte Folded Spill
	s_and_saveexec_b64 s[12:13], vcc
	s_cbranch_execz .LBB199_363
; %bb.362:                              ;   in Loop: Header=BB199_232 Depth=1
	buffer_load_dword v0, off, s[56:59], 0 offset:8 ; 4-byte Folded Reload
	v_cmp_gt_i32_e64 s[0:1], s33, v47
	s_waitcnt vmcnt(0)
	v_cndmask_b32_e64 v0, 0, v0, s[0:1]
	buffer_store_dword v0, off, s[56:59], 0 offset:8 ; 4-byte Folded Spill
	buffer_load_dword v0, off, s[56:59], 0  ; 4-byte Folded Reload
	v_cmp_gt_i32_e64 s[0:1], s33, v50
	v_cndmask_b32_e64 v42, 0, v42, s[0:1]
	v_cmp_gt_i32_e64 s[0:1], s33, v49
	s_waitcnt vmcnt(0)
	v_cndmask_b32_e64 v0, 0, v0, s[0:1]
	v_cmp_gt_i32_e64 s[0:1], s33, v48
	v_cndmask_b32_e64 v41, 0, v41, s[0:1]
	buffer_store_dword v0, off, s[56:59], 0 ; 4-byte Folded Spill
.LBB199_363:                            ;   in Loop: Header=BB199_232 Depth=1
	s_or_b64 exec, exec, s[12:13]
	global_load_dword v15, v[13:14], off offset:1280
	v_mov_b32_e32 v18, 0
	v_mov_b32_e32 v16, 0
	;; [unrolled: 1-line block ×4, first 2 shown]
	s_waitcnt vmcnt(0)
	v_cmp_ne_u16_sdwa s[0:1], v15, v5 src0_sel:BYTE_0 src1_sel:DWORD
	s_and_saveexec_b64 s[12:13], s[0:1]
	s_cbranch_execz .LBB199_369
; %bb.364:                              ;   in Loop: Header=BB199_232 Depth=1
	v_bfrev_b32_e32 v16, 1
	v_mov_b32_e32 v17, 0
	v_cmp_ne_u16_sdwa s[0:1], v15, s28 src0_sel:BYTE_0 src1_sel:DWORD
	s_and_saveexec_b64 s[16:17], s[0:1]
	s_cbranch_execz .LBB199_368
; %bb.365:                              ;   in Loop: Header=BB199_232 Depth=1
	v_and_b32_e32 v0, 0x7f, v15
	v_mov_b32_e32 v16, 0x7f800001
	v_mov_b32_e32 v17, 0
	v_cmp_ne_u32_e64 s[0:1], s29, v0
	s_and_saveexec_b64 s[18:19], s[0:1]
	s_cbranch_execz .LBB199_367
; %bb.366:                              ;   in Loop: Header=BB199_232 Depth=1
	v_and_b32_e32 v11, 7, v15
	v_lshrrev_b32_e32 v16, 3, v0
	v_cmp_gt_u32_e64 s[0:1], 8, v0
	v_ffbh_u32_e32 v0, v11
	v_min_u32_e32 v0, 32, v0
	v_subrev_u32_e32 v7, 28, v0
	v_lshlrev_b64 v[7:8], v7, v[15:16]
	v_sub_u32_e32 v0, 29, v0
	v_and_b32_e32 v7, 7, v7
	v_cndmask_b32_e64 v0, v16, v0, s[0:1]
	v_cndmask_b32_e64 v7, v11, v7, s[0:1]
	v_lshlrev_b32_e32 v7, 20, v7
	v_and_b32_sdwa v8, sext(v15), s30 dst_sel:DWORD dst_unused:UNUSED_PAD src0_sel:BYTE_0 src1_sel:DWORD
	v_lshl_add_u32 v0, v0, 23, v40
	v_or3_b32 v16, v8, v0, v7
	v_mov_b32_e32 v17, v5
.LBB199_367:                            ;   in Loop: Header=BB199_232 Depth=1
	s_or_b64 exec, exec, s[18:19]
.LBB199_368:                            ;   in Loop: Header=BB199_232 Depth=1
	s_or_b64 exec, exec, s[16:17]
.LBB199_369:                            ;   in Loop: Header=BB199_232 Depth=1
	s_or_b64 exec, exec, s[12:13]
	v_cmp_ne_u16_sdwa s[0:1], v15, v5 src0_sel:BYTE_1 src1_sel:DWORD
	s_and_saveexec_b64 s[12:13], s[0:1]
	s_cbranch_execz .LBB199_375
; %bb.370:                              ;   in Loop: Header=BB199_232 Depth=1
	v_mov_b32_e32 v19, v6
	v_cmp_ne_u16_sdwa s[0:1], v15, s28 src0_sel:BYTE_1 src1_sel:DWORD
	v_mov_b32_e32 v18, v5
	s_and_saveexec_b64 s[16:17], s[0:1]
	s_cbranch_execz .LBB199_374
; %bb.371:                              ;   in Loop: Header=BB199_232 Depth=1
	v_and_b32_sdwa v0, v15, s29 dst_sel:DWORD dst_unused:UNUSED_PAD src0_sel:BYTE_1 src1_sel:DWORD
	v_mov_b32_e32 v11, v5
	v_mov_b32_e32 v19, v12
	v_cmp_ne_u32_e64 s[0:1], s29, v0
	v_mov_b32_e32 v18, v11
	s_and_saveexec_b64 s[18:19], s[0:1]
	s_cbranch_execz .LBB199_373
; %bb.372:                              ;   in Loop: Header=BB199_232 Depth=1
	v_and_b32_sdwa v7, v15, v44 dst_sel:DWORD dst_unused:UNUSED_PAD src0_sel:BYTE_1 src1_sel:DWORD
	v_lshrrev_b32_e32 v11, 3, v0
	v_cmp_gt_u32_e64 s[0:1], 8, v0
	v_ffbh_u32_e32 v0, v7
	v_min_u32_e32 v0, 32, v0
	v_mov_b32_e32 v8, v5
	v_subrev_u32_e32 v18, 28, v0
	v_lshlrev_b64 v[18:19], v18, v[7:8]
	v_sub_u32_e32 v0, 29, v0
	v_and_b32_e32 v8, 7, v18
	v_cndmask_b32_e64 v0, v11, v0, s[0:1]
	v_cndmask_b32_e64 v7, v7, v8, s[0:1]
	v_lshlrev_b32_e32 v8, 16, v15
	v_lshl_add_u32 v0, v0, 23, v40
	v_and_or_b32 v0, v8, s30, v0
	v_lshlrev_b32_e32 v7, 20, v7
	v_or_b32_e32 v19, v0, v7
	v_mov_b32_e32 v18, v5
.LBB199_373:                            ;   in Loop: Header=BB199_232 Depth=1
	s_or_b64 exec, exec, s[18:19]
.LBB199_374:                            ;   in Loop: Header=BB199_232 Depth=1
	s_or_b64 exec, exec, s[16:17]
.LBB199_375:                            ;   in Loop: Header=BB199_232 Depth=1
	s_or_b64 exec, exec, s[12:13]
	v_lshrrev_b32_e32 v11, 16, v15
	v_mov_b32_e32 v22, 0
	v_mov_b32_e32 v20, 0
	;; [unrolled: 1-line block ×4, first 2 shown]
	v_cmp_ne_u16_sdwa s[0:1], v11, v5 src0_sel:BYTE_0 src1_sel:DWORD
	s_and_saveexec_b64 s[12:13], s[0:1]
	s_cbranch_execz .LBB199_381
; %bb.376:                              ;   in Loop: Header=BB199_232 Depth=1
	v_bfrev_b32_e32 v20, 1
	v_mov_b32_e32 v21, 0
	v_cmp_ne_u16_sdwa s[0:1], v11, s28 src0_sel:BYTE_0 src1_sel:DWORD
	s_and_saveexec_b64 s[16:17], s[0:1]
	s_cbranch_execz .LBB199_380
; %bb.377:                              ;   in Loop: Header=BB199_232 Depth=1
	v_bfe_u32 v0, v15, 16, 7
	v_mov_b32_e32 v20, 0x7f800001
	v_mov_b32_e32 v21, 0
	v_cmp_ne_u32_e64 s[0:1], s29, v0
	s_and_saveexec_b64 s[18:19], s[0:1]
	s_cbranch_execz .LBB199_379
; %bb.378:                              ;   in Loop: Header=BB199_232 Depth=1
	v_and_b32_e32 v20, 7, v11
	v_lshrrev_b32_e32 v21, 3, v0
	v_cmp_gt_u32_e64 s[0:1], 8, v0
	v_ffbh_u32_e32 v0, v20
	v_min_u32_e32 v0, 32, v0
	v_subrev_u32_e32 v7, 28, v0
	v_lshlrev_b64 v[7:8], v7, v[11:12]
	v_sub_u32_e32 v0, 29, v0
	v_and_b32_e32 v7, 7, v7
	v_cndmask_b32_e64 v0, v21, v0, s[0:1]
	v_cndmask_b32_e64 v7, v20, v7, s[0:1]
	v_lshlrev_b32_e32 v7, 20, v7
	v_and_b32_sdwa v8, sext(v11), s30 dst_sel:DWORD dst_unused:UNUSED_PAD src0_sel:BYTE_0 src1_sel:DWORD
	v_lshl_add_u32 v0, v0, 23, v40
	v_or3_b32 v20, v8, v0, v7
	v_mov_b32_e32 v21, v5
.LBB199_379:                            ;   in Loop: Header=BB199_232 Depth=1
	s_or_b64 exec, exec, s[18:19]
.LBB199_380:                            ;   in Loop: Header=BB199_232 Depth=1
	s_or_b64 exec, exec, s[16:17]
.LBB199_381:                            ;   in Loop: Header=BB199_232 Depth=1
	s_or_b64 exec, exec, s[12:13]
	v_cmp_lt_u32_e64 s[0:1], s31, v15
	s_and_saveexec_b64 s[12:13], s[0:1]
	s_cbranch_execz .LBB199_387
; %bb.382:                              ;   in Loop: Header=BB199_232 Depth=1
	v_mov_b32_e32 v23, v6
	v_cmp_ne_u32_sdwa s[0:1], v15, s28 src0_sel:BYTE_3 src1_sel:DWORD
	v_mov_b32_e32 v22, v5
	s_and_saveexec_b64 s[16:17], s[0:1]
	s_cbranch_execz .LBB199_386
; %bb.383:                              ;   in Loop: Header=BB199_232 Depth=1
	v_bfe_u32 v0, v15, 24, 7
	v_mov_b32_e32 v11, v5
	v_mov_b32_e32 v23, v12
	v_cmp_ne_u32_e64 s[0:1], s29, v0
	v_mov_b32_e32 v22, v11
	s_and_saveexec_b64 s[18:19], s[0:1]
	s_cbranch_execz .LBB199_385
; %bb.384:                              ;   in Loop: Header=BB199_232 Depth=1
	v_and_b32_sdwa v7, v15, v44 dst_sel:DWORD dst_unused:UNUSED_PAD src0_sel:BYTE_3 src1_sel:DWORD
	v_lshrrev_b32_e32 v11, 3, v0
	v_cmp_gt_u32_e64 s[0:1], 8, v0
	v_ffbh_u32_e32 v0, v7
	v_min_u32_e32 v0, 32, v0
	v_mov_b32_e32 v8, v5
	v_subrev_u32_e32 v22, 28, v0
	v_lshlrev_b64 v[22:23], v22, v[7:8]
	v_sub_u32_e32 v0, 29, v0
	v_and_b32_e32 v8, 7, v22
	v_cndmask_b32_e64 v0, v11, v0, s[0:1]
	v_cndmask_b32_e64 v7, v7, v8, s[0:1]
	v_lshlrev_b32_sdwa v8, v43, v15 dst_sel:DWORD dst_unused:UNUSED_PAD src0_sel:DWORD src1_sel:BYTE_3
	v_lshl_add_u32 v0, v0, 23, v40
	v_and_or_b32 v0, v8, s30, v0
	v_lshlrev_b32_e32 v7, 20, v7
	v_or_b32_e32 v23, v0, v7
	v_mov_b32_e32 v22, v5
.LBB199_385:                            ;   in Loop: Header=BB199_232 Depth=1
	s_or_b64 exec, exec, s[18:19]
.LBB199_386:                            ;   in Loop: Header=BB199_232 Depth=1
	s_or_b64 exec, exec, s[16:17]
.LBB199_387:                            ;   in Loop: Header=BB199_232 Depth=1
	s_or_b64 exec, exec, s[12:13]
	v_or_b32_e32 v0, v19, v17
	v_or_b32_e32 v7, v18, v16
	v_mul_f32_e32 v37, s38, v0
	v_mul_f32_e32 v25, s37, v7
	v_or_b32_e32 v0, v23, v21
	v_or_b32_e32 v7, v22, v20
	v_mul_f32_e32 v8, s37, v7
	v_mul_f32_e32 v7, s38, v0
	s_and_saveexec_b64 s[12:13], vcc
; %bb.388:                              ;   in Loop: Header=BB199_232 Depth=1
	v_cmp_gt_i32_e64 s[0:1], s33, v47
	v_cndmask_b32_e64 v25, 0, v25, s[0:1]
	v_cmp_gt_i32_e64 s[0:1], s33, v50
	v_cndmask_b32_e64 v37, 0, v37, s[0:1]
	;; [unrolled: 2-line block ×4, first 2 shown]
; %bb.389:                              ;   in Loop: Header=BB199_232 Depth=1
	s_or_b64 exec, exec, s[12:13]
	global_load_dword v15, v[13:14], off offset:1536
	v_mov_b32_e32 v18, 0
	v_mov_b32_e32 v16, 0
	v_mov_b32_e32 v19, 0
	v_mov_b32_e32 v17, 0
	s_waitcnt vmcnt(0)
	v_cmp_ne_u16_sdwa s[0:1], v15, v5 src0_sel:BYTE_0 src1_sel:DWORD
	s_and_saveexec_b64 s[12:13], s[0:1]
	s_cbranch_execz .LBB199_395
; %bb.390:                              ;   in Loop: Header=BB199_232 Depth=1
	v_bfrev_b32_e32 v16, 1
	v_mov_b32_e32 v17, 0
	v_cmp_ne_u16_sdwa s[0:1], v15, s28 src0_sel:BYTE_0 src1_sel:DWORD
	s_and_saveexec_b64 s[16:17], s[0:1]
	s_cbranch_execz .LBB199_394
; %bb.391:                              ;   in Loop: Header=BB199_232 Depth=1
	v_and_b32_e32 v0, 0x7f, v15
	v_mov_b32_e32 v16, 0x7f800001
	v_mov_b32_e32 v17, 0
	v_cmp_ne_u32_e64 s[0:1], s29, v0
	s_and_saveexec_b64 s[18:19], s[0:1]
	s_cbranch_execz .LBB199_393
; %bb.392:                              ;   in Loop: Header=BB199_232 Depth=1
	v_and_b32_e32 v11, 7, v15
	v_lshrrev_b32_e32 v20, 3, v0
	v_cmp_gt_u32_e64 s[0:1], 8, v0
	v_ffbh_u32_e32 v0, v11
	v_min_u32_e32 v0, 32, v0
	v_subrev_u32_e32 v16, 28, v0
	v_lshlrev_b64 v[16:17], v16, v[15:16]
	v_sub_u32_e32 v0, 29, v0
	v_and_b32_e32 v16, 7, v16
	v_cndmask_b32_e64 v0, v20, v0, s[0:1]
	v_cndmask_b32_e64 v11, v11, v16, s[0:1]
	v_lshlrev_b32_e32 v11, 20, v11
	v_and_b32_sdwa v16, sext(v15), s30 dst_sel:DWORD dst_unused:UNUSED_PAD src0_sel:BYTE_0 src1_sel:DWORD
	v_lshl_add_u32 v0, v0, 23, v40
	v_or3_b32 v16, v16, v0, v11
	v_mov_b32_e32 v17, v5
.LBB199_393:                            ;   in Loop: Header=BB199_232 Depth=1
	s_or_b64 exec, exec, s[18:19]
.LBB199_394:                            ;   in Loop: Header=BB199_232 Depth=1
	s_or_b64 exec, exec, s[16:17]
.LBB199_395:                            ;   in Loop: Header=BB199_232 Depth=1
	s_or_b64 exec, exec, s[12:13]
	v_cmp_ne_u16_sdwa s[0:1], v15, v5 src0_sel:BYTE_1 src1_sel:DWORD
	s_and_saveexec_b64 s[12:13], s[0:1]
	s_cbranch_execz .LBB199_401
; %bb.396:                              ;   in Loop: Header=BB199_232 Depth=1
	v_mov_b32_e32 v19, v6
	v_cmp_ne_u16_sdwa s[0:1], v15, s28 src0_sel:BYTE_1 src1_sel:DWORD
	v_mov_b32_e32 v18, v5
	s_and_saveexec_b64 s[16:17], s[0:1]
	s_cbranch_execz .LBB199_400
; %bb.397:                              ;   in Loop: Header=BB199_232 Depth=1
	v_and_b32_sdwa v0, v15, s29 dst_sel:DWORD dst_unused:UNUSED_PAD src0_sel:BYTE_1 src1_sel:DWORD
	v_mov_b32_e32 v11, v5
	v_mov_b32_e32 v19, v12
	v_cmp_ne_u32_e64 s[0:1], s29, v0
	v_mov_b32_e32 v18, v11
	s_and_saveexec_b64 s[18:19], s[0:1]
	s_cbranch_execz .LBB199_399
; %bb.398:                              ;   in Loop: Header=BB199_232 Depth=1
	v_and_b32_sdwa v18, v15, v44 dst_sel:DWORD dst_unused:UNUSED_PAD src0_sel:BYTE_1 src1_sel:DWORD
	v_lshrrev_b32_e32 v11, 3, v0
	v_cmp_gt_u32_e64 s[0:1], 8, v0
	v_ffbh_u32_e32 v0, v18
	v_min_u32_e32 v0, 32, v0
	v_mov_b32_e32 v19, v5
	v_subrev_u32_e32 v20, 28, v0
	v_lshlrev_b64 v[19:20], v20, v[18:19]
	v_sub_u32_e32 v0, 29, v0
	v_and_b32_e32 v19, 7, v19
	v_cndmask_b32_e64 v0, v11, v0, s[0:1]
	v_cndmask_b32_e64 v11, v18, v19, s[0:1]
	v_lshlrev_b32_e32 v18, 16, v15
	v_lshl_add_u32 v0, v0, 23, v40
	v_and_or_b32 v0, v18, s30, v0
	v_lshlrev_b32_e32 v11, 20, v11
	v_or_b32_e32 v19, v0, v11
	v_mov_b32_e32 v18, v5
.LBB199_399:                            ;   in Loop: Header=BB199_232 Depth=1
	s_or_b64 exec, exec, s[18:19]
.LBB199_400:                            ;   in Loop: Header=BB199_232 Depth=1
	s_or_b64 exec, exec, s[16:17]
.LBB199_401:                            ;   in Loop: Header=BB199_232 Depth=1
	s_or_b64 exec, exec, s[12:13]
	v_lshrrev_b32_e32 v11, 16, v15
	v_mov_b32_e32 v22, 0
	v_mov_b32_e32 v20, 0
	;; [unrolled: 1-line block ×4, first 2 shown]
	v_cmp_ne_u16_sdwa s[0:1], v11, v5 src0_sel:BYTE_0 src1_sel:DWORD
	s_and_saveexec_b64 s[12:13], s[0:1]
	s_cbranch_execz .LBB199_407
; %bb.402:                              ;   in Loop: Header=BB199_232 Depth=1
	v_bfrev_b32_e32 v20, 1
	v_mov_b32_e32 v21, 0
	v_cmp_ne_u16_sdwa s[0:1], v11, s28 src0_sel:BYTE_0 src1_sel:DWORD
	s_and_saveexec_b64 s[16:17], s[0:1]
	s_cbranch_execz .LBB199_406
; %bb.403:                              ;   in Loop: Header=BB199_232 Depth=1
	v_bfe_u32 v0, v15, 16, 7
	v_mov_b32_e32 v20, 0x7f800001
	v_mov_b32_e32 v21, 0
	v_cmp_ne_u32_e64 s[0:1], s29, v0
	s_and_saveexec_b64 s[18:19], s[0:1]
	s_cbranch_execz .LBB199_405
; %bb.404:                              ;   in Loop: Header=BB199_232 Depth=1
	v_and_b32_e32 v26, 7, v11
	v_lshrrev_b32_e32 v28, 3, v0
	v_cmp_gt_u32_e64 s[0:1], 8, v0
	v_ffbh_u32_e32 v0, v26
	v_min_u32_e32 v0, 32, v0
	v_subrev_u32_e32 v20, 28, v0
	v_sub_u32_e32 v0, 29, v0
	v_cndmask_b32_e64 v0, v28, v0, s[0:1]
	buffer_load_dword v28, off, s[56:59], 0 offset:32 ; 4-byte Folded Reload
	v_lshlrev_b64 v[20:21], v20, v[11:12]
	v_and_b32_sdwa v11, sext(v11), s30 dst_sel:DWORD dst_unused:UNUSED_PAD src0_sel:BYTE_0 src1_sel:DWORD
	v_and_b32_e32 v20, 7, v20
	v_cndmask_b32_e64 v20, v26, v20, s[0:1]
	v_lshlrev_b32_e32 v20, 20, v20
	v_lshl_add_u32 v0, v0, 23, v40
	v_or3_b32 v20, v11, v0, v20
	v_mov_b32_e32 v21, v5
.LBB199_405:                            ;   in Loop: Header=BB199_232 Depth=1
	s_or_b64 exec, exec, s[18:19]
.LBB199_406:                            ;   in Loop: Header=BB199_232 Depth=1
	s_or_b64 exec, exec, s[16:17]
.LBB199_407:                            ;   in Loop: Header=BB199_232 Depth=1
	s_or_b64 exec, exec, s[12:13]
	v_cmp_lt_u32_e64 s[0:1], s31, v15
	s_and_saveexec_b64 s[12:13], s[0:1]
	s_cbranch_execz .LBB199_413
; %bb.408:                              ;   in Loop: Header=BB199_232 Depth=1
	v_mov_b32_e32 v23, v6
	v_cmp_ne_u32_sdwa s[0:1], v15, s28 src0_sel:BYTE_3 src1_sel:DWORD
	v_mov_b32_e32 v22, v5
	s_and_saveexec_b64 s[16:17], s[0:1]
	s_cbranch_execz .LBB199_412
; %bb.409:                              ;   in Loop: Header=BB199_232 Depth=1
	v_bfe_u32 v0, v15, 24, 7
	v_mov_b32_e32 v11, v5
	v_mov_b32_e32 v23, v12
	v_cmp_ne_u32_e64 s[0:1], s29, v0
	v_mov_b32_e32 v22, v11
	s_and_saveexec_b64 s[18:19], s[0:1]
	s_cbranch_execz .LBB199_411
; %bb.410:                              ;   in Loop: Header=BB199_232 Depth=1
	v_and_b32_sdwa v22, v15, v44 dst_sel:DWORD dst_unused:UNUSED_PAD src0_sel:BYTE_3 src1_sel:DWORD
	v_lshrrev_b32_e32 v11, 3, v0
	v_cmp_gt_u32_e64 s[0:1], 8, v0
	v_ffbh_u32_e32 v0, v22
	v_min_u32_e32 v0, 32, v0
	v_mov_b32_e32 v23, v5
	v_subrev_u32_e32 v26, 28, v0
	v_mov_b32_e32 v40, v36
	v_mov_b32_e32 v36, v35
	;; [unrolled: 1-line block ×8, first 2 shown]
	s_waitcnt vmcnt(0)
	v_lshlrev_b64 v[28:29], v26, v[22:23]
	v_sub_u32_e32 v0, 29, v0
	v_and_b32_e32 v23, 7, v28
	buffer_load_dword v28, off, s[56:59], 0 offset:32 ; 4-byte Folded Reload
	v_mov_b32_e32 v29, v38
	v_mov_b32_e32 v38, v30
	v_mov_b32_e32 v30, v32
	v_mov_b32_e32 v32, v33
	v_mov_b32_e32 v33, v34
	v_mov_b32_e32 v34, v35
	v_mov_b32_e32 v35, v36
	v_mov_b32_e32 v36, v40
	v_bfrev_b32_e32 v40, 60
	v_cndmask_b32_e64 v0, v11, v0, s[0:1]
	v_cndmask_b32_e64 v11, v22, v23, s[0:1]
	v_lshlrev_b32_sdwa v15, v43, v15 dst_sel:DWORD dst_unused:UNUSED_PAD src0_sel:DWORD src1_sel:BYTE_3
	v_lshl_add_u32 v0, v0, 23, v40
	v_and_or_b32 v0, v15, s30, v0
	v_lshlrev_b32_e32 v11, 20, v11
	v_or_b32_e32 v23, v0, v11
	v_mov_b32_e32 v22, v5
.LBB199_411:                            ;   in Loop: Header=BB199_232 Depth=1
	s_or_b64 exec, exec, s[18:19]
.LBB199_412:                            ;   in Loop: Header=BB199_232 Depth=1
	s_or_b64 exec, exec, s[16:17]
.LBB199_413:                            ;   in Loop: Header=BB199_232 Depth=1
	s_or_b64 exec, exec, s[12:13]
	v_or_b32_e32 v0, v19, v17
	v_or_b32_e32 v11, v18, v16
	v_mul_f32_e32 v26, s38, v0
	v_mul_f32_e32 v0, s37, v11
	v_or_b32_e32 v11, v23, v21
	v_or_b32_e32 v15, v22, v20
	v_mul_f32_e32 v23, s37, v15
	v_mul_f32_e32 v22, s38, v11
	s_and_saveexec_b64 s[12:13], vcc
; %bb.414:                              ;   in Loop: Header=BB199_232 Depth=1
	v_cmp_gt_i32_e64 s[0:1], s33, v47
	v_cndmask_b32_e64 v0, 0, v0, s[0:1]
	v_cmp_gt_i32_e64 s[0:1], s33, v50
	v_cndmask_b32_e64 v26, 0, v26, s[0:1]
	;; [unrolled: 2-line block ×4, first 2 shown]
; %bb.415:                              ;   in Loop: Header=BB199_232 Depth=1
	s_or_b64 exec, exec, s[12:13]
	global_load_dword v13, v[13:14], off offset:1792
	v_mov_b32_e32 v16, 0
	v_mov_b32_e32 v14, 0
	;; [unrolled: 1-line block ×4, first 2 shown]
	s_waitcnt vmcnt(0)
	v_cmp_ne_u16_sdwa s[0:1], v13, v5 src0_sel:BYTE_0 src1_sel:DWORD
	s_and_saveexec_b64 s[12:13], s[0:1]
	s_cbranch_execz .LBB199_421
; %bb.416:                              ;   in Loop: Header=BB199_232 Depth=1
	v_bfrev_b32_e32 v14, 1
	v_mov_b32_e32 v15, 0
	v_cmp_ne_u16_sdwa s[0:1], v13, s28 src0_sel:BYTE_0 src1_sel:DWORD
	s_and_saveexec_b64 s[16:17], s[0:1]
	s_cbranch_execz .LBB199_420
; %bb.417:                              ;   in Loop: Header=BB199_232 Depth=1
	v_and_b32_e32 v11, 0x7f, v13
	v_mov_b32_e32 v14, 0x7f800001
	v_mov_b32_e32 v15, 0
	v_cmp_ne_u32_e64 s[0:1], s29, v11
	s_and_saveexec_b64 s[18:19], s[0:1]
	s_cbranch_execz .LBB199_419
; %bb.418:                              ;   in Loop: Header=BB199_232 Depth=1
	v_and_b32_e32 v18, 7, v13
	v_lshrrev_b32_e32 v19, 3, v11
	v_cmp_gt_u32_e64 s[0:1], 8, v11
	v_ffbh_u32_e32 v11, v18
	v_min_u32_e32 v11, 32, v11
	v_subrev_u32_e32 v14, 28, v11
	v_lshlrev_b64 v[14:15], v14, v[13:14]
	v_sub_u32_e32 v11, 29, v11
	v_and_b32_e32 v14, 7, v14
	v_cndmask_b32_e64 v11, v19, v11, s[0:1]
	v_cndmask_b32_e64 v14, v18, v14, s[0:1]
	v_lshlrev_b32_e32 v14, 20, v14
	v_and_b32_sdwa v15, sext(v13), s30 dst_sel:DWORD dst_unused:UNUSED_PAD src0_sel:BYTE_0 src1_sel:DWORD
	v_lshl_add_u32 v11, v11, 23, v40
	v_or3_b32 v14, v15, v11, v14
	v_mov_b32_e32 v15, v5
.LBB199_419:                            ;   in Loop: Header=BB199_232 Depth=1
	s_or_b64 exec, exec, s[18:19]
.LBB199_420:                            ;   in Loop: Header=BB199_232 Depth=1
	s_or_b64 exec, exec, s[16:17]
.LBB199_421:                            ;   in Loop: Header=BB199_232 Depth=1
	s_or_b64 exec, exec, s[12:13]
	v_cmp_ne_u16_sdwa s[0:1], v13, v5 src0_sel:BYTE_1 src1_sel:DWORD
	s_and_saveexec_b64 s[12:13], s[0:1]
	s_cbranch_execz .LBB199_427
; %bb.422:                              ;   in Loop: Header=BB199_232 Depth=1
	v_mov_b32_e32 v17, v6
	v_cmp_ne_u16_sdwa s[0:1], v13, s28 src0_sel:BYTE_1 src1_sel:DWORD
	v_mov_b32_e32 v16, v5
	s_and_saveexec_b64 s[16:17], s[0:1]
	s_cbranch_execz .LBB199_426
; %bb.423:                              ;   in Loop: Header=BB199_232 Depth=1
	v_and_b32_sdwa v18, v13, s29 dst_sel:DWORD dst_unused:UNUSED_PAD src0_sel:BYTE_1 src1_sel:DWORD
	v_mov_b32_e32 v11, v5
	v_mov_b32_e32 v17, v12
	v_cmp_ne_u32_e64 s[0:1], s29, v18
	v_mov_b32_e32 v16, v11
	s_and_saveexec_b64 s[18:19], s[0:1]
	s_cbranch_execz .LBB199_425
; %bb.424:                              ;   in Loop: Header=BB199_232 Depth=1
	v_and_b32_sdwa v16, v13, v44 dst_sel:DWORD dst_unused:UNUSED_PAD src0_sel:BYTE_1 src1_sel:DWORD
	v_lshrrev_b32_e32 v11, 3, v18
	v_cmp_gt_u32_e64 s[0:1], 8, v18
	v_ffbh_u32_e32 v18, v16
	v_min_u32_e32 v19, 32, v18
	v_mov_b32_e32 v17, v5
	v_subrev_u32_e32 v18, 28, v19
	v_lshlrev_b64 v[17:18], v18, v[16:17]
	v_sub_u32_e32 v18, 29, v19
	v_and_b32_e32 v17, 7, v17
	v_cndmask_b32_e64 v11, v11, v18, s[0:1]
	v_cndmask_b32_e64 v16, v16, v17, s[0:1]
	v_lshlrev_b32_e32 v17, 16, v13
	v_lshl_add_u32 v11, v11, 23, v40
	v_and_or_b32 v11, v17, s30, v11
	v_lshlrev_b32_e32 v16, 20, v16
	v_or_b32_e32 v17, v11, v16
	v_mov_b32_e32 v16, v5
.LBB199_425:                            ;   in Loop: Header=BB199_232 Depth=1
	s_or_b64 exec, exec, s[18:19]
.LBB199_426:                            ;   in Loop: Header=BB199_232 Depth=1
	s_or_b64 exec, exec, s[16:17]
.LBB199_427:                            ;   in Loop: Header=BB199_232 Depth=1
	s_or_b64 exec, exec, s[12:13]
	v_lshrrev_b32_e32 v11, 16, v13
	v_mov_b32_e32 v20, 0
	v_mov_b32_e32 v18, 0
	v_mov_b32_e32 v21, 0
	v_mov_b32_e32 v19, 0
	v_cmp_ne_u16_sdwa s[0:1], v11, v5 src0_sel:BYTE_0 src1_sel:DWORD
	s_and_saveexec_b64 s[12:13], s[0:1]
	s_cbranch_execz .LBB199_433
; %bb.428:                              ;   in Loop: Header=BB199_232 Depth=1
	v_bfrev_b32_e32 v18, 1
	v_mov_b32_e32 v19, 0
	v_cmp_ne_u16_sdwa s[0:1], v11, s28 src0_sel:BYTE_0 src1_sel:DWORD
	s_and_saveexec_b64 s[16:17], s[0:1]
	s_cbranch_execz .LBB199_432
; %bb.429:                              ;   in Loop: Header=BB199_232 Depth=1
	v_bfe_u32 v40, v13, 16, 7
	v_mov_b32_e32 v18, 0x7f800001
	v_bfrev_b32_e32 v44, 60
	v_mov_b32_e32 v19, 0
	v_cmp_ne_u32_e64 s[0:1], s29, v40
	s_and_saveexec_b64 s[18:19], s[0:1]
	s_cbranch_execz .LBB199_431
; %bb.430:                              ;   in Loop: Header=BB199_232 Depth=1
	v_and_b32_e32 v28, 7, v11
	v_ffbh_u32_e32 v18, v28
	v_mov_b32_e32 v43, v36
	v_mov_b32_e32 v36, v35
	;; [unrolled: 1-line block ×8, first 2 shown]
	v_lshrrev_b32_e32 v29, 3, v40
	v_cmp_gt_u32_e64 s[0:1], 8, v40
	v_min_u32_e32 v40, 32, v18
	v_subrev_u32_e32 v18, 28, v40
	v_lshlrev_b64 v[18:19], v18, v[11:12]
	v_sub_u32_e32 v19, 29, v40
	v_and_b32_e32 v18, 7, v18
	v_cndmask_b32_e64 v18, v28, v18, s[0:1]
	buffer_load_dword v28, off, s[56:59], 0 offset:32 ; 4-byte Folded Reload
	v_cndmask_b32_e64 v19, v29, v19, s[0:1]
	v_lshlrev_b32_e32 v18, 20, v18
	v_and_b32_sdwa v11, sext(v11), s30 dst_sel:DWORD dst_unused:UNUSED_PAD src0_sel:BYTE_0 src1_sel:DWORD
	v_lshl_add_u32 v19, v19, 23, v44
	v_mov_b32_e32 v29, v38
	v_mov_b32_e32 v38, v30
	;; [unrolled: 1-line block ×9, first 2 shown]
	v_or3_b32 v18, v11, v19, v18
	v_mov_b32_e32 v19, v5
.LBB199_431:                            ;   in Loop: Header=BB199_232 Depth=1
	s_or_b64 exec, exec, s[18:19]
	v_bfrev_b32_e32 v40, 60
	v_mov_b32_e32 v44, 7
.LBB199_432:                            ;   in Loop: Header=BB199_232 Depth=1
	s_or_b64 exec, exec, s[16:17]
.LBB199_433:                            ;   in Loop: Header=BB199_232 Depth=1
	s_or_b64 exec, exec, s[12:13]
	v_cmp_lt_u32_e64 s[0:1], s31, v13
	s_and_saveexec_b64 s[12:13], s[0:1]
	s_cbranch_execz .LBB199_439
; %bb.434:                              ;   in Loop: Header=BB199_232 Depth=1
	v_mov_b32_e32 v21, v6
	v_cmp_ne_u32_sdwa s[0:1], v13, s28 src0_sel:BYTE_3 src1_sel:DWORD
	v_mov_b32_e32 v20, v5
	s_and_saveexec_b64 s[16:17], s[0:1]
	s_cbranch_execz .LBB199_438
; %bb.435:                              ;   in Loop: Header=BB199_232 Depth=1
	v_bfe_u32 v40, v13, 24, 7
	v_mov_b32_e32 v11, v5
	v_mov_b32_e32 v21, v12
	;; [unrolled: 1-line block ×4, first 2 shown]
	v_cmp_ne_u32_e64 s[0:1], s29, v40
	v_mov_b32_e32 v20, v11
	s_and_saveexec_b64 s[18:19], s[0:1]
	s_cbranch_execz .LBB199_437
; %bb.436:                              ;   in Loop: Header=BB199_232 Depth=1
	v_and_b32_sdwa v20, v13, v43 dst_sel:DWORD dst_unused:UNUSED_PAD src0_sel:BYTE_3 src1_sel:DWORD
	s_waitcnt vmcnt(0)
	v_ffbh_u32_e32 v28, v20
	v_lshrrev_b32_e32 v11, 3, v40
	v_cmp_gt_u32_e64 s[0:1], 8, v40
	v_min_u32_e32 v40, 32, v28
	v_mov_b32_e32 v21, v5
	v_subrev_u32_e32 v28, 28, v40
	v_mov_b32_e32 v43, v36
	v_mov_b32_e32 v36, v35
	v_mov_b32_e32 v35, v34
	v_mov_b32_e32 v34, v33
	v_mov_b32_e32 v33, v32
	v_mov_b32_e32 v32, v30
	v_mov_b32_e32 v30, v38
	v_mov_b32_e32 v38, v29
	v_lshlrev_b64 v[28:29], v28, v[20:21]
	v_sub_u32_e32 v21, 29, v40
	v_and_b32_e32 v28, 7, v28
	v_cndmask_b32_e64 v20, v20, v28, s[0:1]
	buffer_load_dword v28, off, s[56:59], 0 offset:32 ; 4-byte Folded Reload
	v_cndmask_b32_e64 v11, v11, v21, s[0:1]
	v_bfrev_b32_e32 v21, 60
	v_lshlrev_b32_sdwa v13, v44, v13 dst_sel:DWORD dst_unused:UNUSED_PAD src0_sel:DWORD src1_sel:BYTE_3
	v_lshl_add_u32 v11, v11, 23, v21
	v_and_or_b32 v11, v13, s30, v11
	v_lshlrev_b32_e32 v13, 20, v20
	v_mov_b32_e32 v29, v38
	v_mov_b32_e32 v38, v30
	;; [unrolled: 1-line block ×8, first 2 shown]
	v_or_b32_e32 v21, v11, v13
	v_mov_b32_e32 v20, v5
.LBB199_437:                            ;   in Loop: Header=BB199_232 Depth=1
	s_or_b64 exec, exec, s[18:19]
	v_bfrev_b32_e32 v40, 60
	v_mov_b32_e32 v44, 7
	v_mov_b32_e32 v43, 24
.LBB199_438:                            ;   in Loop: Header=BB199_232 Depth=1
	s_or_b64 exec, exec, s[16:17]
.LBB199_439:                            ;   in Loop: Header=BB199_232 Depth=1
	s_or_b64 exec, exec, s[12:13]
	v_or_b32_e32 v13, v16, v14
	v_or_b32_e32 v11, v17, v15
	v_mul_f32_e32 v15, s37, v13
	v_or_b32_e32 v13, v21, v19
	v_or_b32_e32 v14, v20, v18
	v_mul_f32_e32 v11, s38, v11
	v_mul_f32_e32 v14, s37, v14
	;; [unrolled: 1-line block ×3, first 2 shown]
	s_and_saveexec_b64 s[0:1], vcc
	s_cbranch_execz .LBB199_230
; %bb.440:                              ;   in Loop: Header=BB199_232 Depth=1
	v_cmp_gt_i32_e32 vcc, s33, v47
	v_cndmask_b32_e32 v15, 0, v15, vcc
	v_cmp_gt_i32_e32 vcc, s33, v50
	v_cndmask_b32_e32 v11, 0, v11, vcc
	;; [unrolled: 2-line block ×4, first 2 shown]
	s_branch .LBB199_230
.LBB199_441:
	s_or_b64 exec, exec, s[4:5]
	buffer_load_dword v14, off, s[56:59], 0 offset:40 ; 4-byte Folded Reload
	buffer_load_dword v15, off, s[56:59], 0 offset:48 ; 4-byte Folded Reload
	;; [unrolled: 1-line block ×5, first 2 shown]
.LBB199_442:
	s_or_b64 exec, exec, s[2:3]
	s_waitcnt vmcnt(3)
	ds_bpermute_b32 v2, v15, v34
	ds_bpermute_b32 v1, v15, v36
	;; [unrolled: 1-line block ×5, first 2 shown]
	s_waitcnt lgkmcnt(4)
	v_add_f32_e32 v2, v34, v2
	s_waitcnt vmcnt(2)
	ds_bpermute_b32 v6, v16, v2
	s_waitcnt lgkmcnt(4)
	v_add_f32_e32 v1, v36, v1
	s_waitcnt lgkmcnt(3)
	v_add_f32_e32 v0, v35, v0
	ds_bpermute_b32 v5, v16, v1
	ds_bpermute_b32 v4, v16, v0
	s_waitcnt lgkmcnt(2)
	v_add_f32_e32 v2, v2, v6
	s_waitcnt vmcnt(1)
	ds_bpermute_b32 v6, v17, v2
	v_add_f32_e32 v3, v33, v3
	s_waitcnt lgkmcnt(2)
	v_add_f32_e32 v1, v1, v5
	s_waitcnt lgkmcnt(1)
	v_add_f32_e32 v0, v0, v4
	ds_bpermute_b32 v5, v17, v1
	s_waitcnt lgkmcnt(1)
	v_add_f32_e32 v2, v2, v6
	ds_bpermute_b32 v6, v15, v30
	ds_bpermute_b32 v4, v17, v0
	s_waitcnt lgkmcnt(0)
	v_add_f32_e32 v1, v1, v5
	v_add_f32_e32 v5, v32, v7
	;; [unrolled: 1-line block ×4, first 2 shown]
	ds_bpermute_b32 v4, v16, v3
	ds_bpermute_b32 v7, v16, v5
	;; [unrolled: 1-line block ×3, first 2 shown]
	s_waitcnt vmcnt(0) lgkmcnt(0)
	s_barrier
	v_add_f32_e32 v3, v3, v4
	v_add_f32_e32 v5, v5, v7
	;; [unrolled: 1-line block ×3, first 2 shown]
	ds_bpermute_b32 v4, v17, v3
	ds_bpermute_b32 v8, v17, v5
	;; [unrolled: 1-line block ×5, first 2 shown]
	s_waitcnt lgkmcnt(4)
	v_add_f32_e32 v3, v3, v4
	s_waitcnt lgkmcnt(3)
	v_add_f32_e32 v4, v5, v8
	;; [unrolled: 2-line block ×3, first 2 shown]
	buffer_load_dword v10, off, s[56:59], 0 offset:220 ; 4-byte Folded Reload
	s_waitcnt lgkmcnt(1)
	v_add_f32_e32 v7, v29, v7
	s_waitcnt lgkmcnt(0)
	v_add_f32_e32 v9, v38, v9
	ds_bpermute_b32 v11, v16, v7
	ds_bpermute_b32 v12, v16, v9
	s_waitcnt lgkmcnt(1)
	v_add_f32_e32 v7, v7, v11
	s_waitcnt lgkmcnt(0)
	v_add_f32_e32 v9, v9, v12
	ds_bpermute_b32 v11, v17, v7
	ds_bpermute_b32 v12, v17, v9
	s_waitcnt lgkmcnt(1)
	v_add_f32_e32 v6, v7, v11
	s_waitcnt lgkmcnt(0)
	v_add_f32_e32 v7, v9, v12
	s_waitcnt vmcnt(0)
	v_and_b32_e32 v9, 0x3c7, v10
	v_cmp_eq_u32_e32 vcc, 64, v9
	s_and_saveexec_b64 s[0:1], vcc
	s_cbranch_execz .LBB199_444
; %bb.443:
	v_lshrrev_b32_e32 v8, 1, v14
	v_add_u32_e32 v8, 0x110, v8
	ds_write2_b32 v8, v0, v1 offset1:8
	ds_write2_b32 v8, v2, v3 offset0:16 offset1:24
	ds_write2_b32 v8, v4, v5 offset0:32 offset1:40
	;; [unrolled: 1-line block ×3, first 2 shown]
.LBB199_444:
	s_or_b64 exec, exec, s[0:1]
	v_cmp_gt_u32_e32 vcc, 64, v10
	v_lshrrev_b32_e32 v8, 3, v10
	s_waitcnt lgkmcnt(0)
	s_barrier
	s_and_saveexec_b64 s[0:1], vcc
	s_cbranch_execz .LBB199_455
; %bb.445:
	v_mov_b32_e32 v10, 0x110
	v_cmp_eq_u32_e32 vcc, 0, v18
	v_lshl_add_u32 v10, v8, 2, v10
	s_and_saveexec_b64 s[2:3], vcc
	s_cbranch_execnz .LBB199_458
; %bb.446:
	s_or_b64 exec, exec, s[2:3]
	s_and_saveexec_b64 s[2:3], vcc
	s_cbranch_execnz .LBB199_459
.LBB199_447:
	s_or_b64 exec, exec, s[2:3]
	s_and_saveexec_b64 s[2:3], vcc
	s_cbranch_execnz .LBB199_460
.LBB199_448:
	s_or_b64 exec, exec, s[2:3]
	s_and_saveexec_b64 s[2:3], vcc
	s_cbranch_execnz .LBB199_461
.LBB199_449:
	s_or_b64 exec, exec, s[2:3]
	s_and_saveexec_b64 s[2:3], vcc
	s_cbranch_execnz .LBB199_462
.LBB199_450:
	s_or_b64 exec, exec, s[2:3]
	s_and_saveexec_b64 s[2:3], vcc
	s_cbranch_execnz .LBB199_463
.LBB199_451:
	s_or_b64 exec, exec, s[2:3]
	s_and_saveexec_b64 s[2:3], vcc
	s_cbranch_execnz .LBB199_464
.LBB199_452:
	s_or_b64 exec, exec, s[2:3]
	s_and_saveexec_b64 s[2:3], vcc
	s_cbranch_execz .LBB199_454
.LBB199_453:
	ds_read_b32 v10, v10 offset:224
	s_waitcnt lgkmcnt(0)
	v_add_f32_e32 v7, v7, v10
.LBB199_454:
	s_or_b64 exec, exec, s[2:3]
.LBB199_455:
	s_or_b64 exec, exec, s[0:1]
	v_cmp_eq_u32_e32 vcc, 0, v9
	s_barrier
	s_and_saveexec_b64 s[0:1], vcc
	s_cbranch_execz .LBB199_457
; %bb.456:
	s_mul_i32 s0, s10, s11
	s_mul_i32 s0, s0, s9
	s_lshl_b32 s0, s0, 6
	s_ashr_i32 s1, s0, 31
	s_lshl_b64 s[0:1], s[0:1], 2
	s_add_u32 s2, s26, s0
	s_mul_i32 s0, s11, s24
	s_addc_u32 s3, s27, s1
	s_ashr_i32 s1, s0, 31
	s_lshl_b64 s[0:1], s[0:1], 2
	s_add_u32 s2, s2, s0
	s_addc_u32 s3, s3, s1
	s_lshl_b32 s0, s8, 6
	s_ashr_i32 s1, s0, 31
	s_lshl_b64 s[0:1], s[0:1], 2
	s_add_u32 s0, s2, s0
	s_addc_u32 s1, s3, s1
	v_lshlrev_b32_e32 v8, 2, v8
	global_store_dword v8, v0, s[0:1]
	global_store_dword v8, v1, s[0:1] offset:32
	global_store_dword v8, v2, s[0:1] offset:64
	;; [unrolled: 1-line block ×7, first 2 shown]
.LBB199_457:
	s_endpgm
.LBB199_458:
	ds_read_b32 v11, v10
	s_waitcnt lgkmcnt(0)
	v_add_f32_e32 v0, v0, v11
	s_or_b64 exec, exec, s[2:3]
	s_and_saveexec_b64 s[2:3], vcc
	s_cbranch_execz .LBB199_447
.LBB199_459:
	ds_read_b32 v11, v10 offset:32
	s_waitcnt lgkmcnt(0)
	v_add_f32_e32 v1, v1, v11
	s_or_b64 exec, exec, s[2:3]
	s_and_saveexec_b64 s[2:3], vcc
	s_cbranch_execz .LBB199_448
.LBB199_460:
	ds_read_b32 v11, v10 offset:64
	s_waitcnt lgkmcnt(0)
	v_add_f32_e32 v2, v2, v11
	s_or_b64 exec, exec, s[2:3]
	s_and_saveexec_b64 s[2:3], vcc
	s_cbranch_execz .LBB199_449
.LBB199_461:
	ds_read_b32 v11, v10 offset:96
	s_waitcnt lgkmcnt(0)
	v_add_f32_e32 v3, v3, v11
	s_or_b64 exec, exec, s[2:3]
	s_and_saveexec_b64 s[2:3], vcc
	s_cbranch_execz .LBB199_450
.LBB199_462:
	ds_read_b32 v11, v10 offset:128
	s_waitcnt lgkmcnt(0)
	v_add_f32_e32 v4, v4, v11
	s_or_b64 exec, exec, s[2:3]
	s_and_saveexec_b64 s[2:3], vcc
	s_cbranch_execz .LBB199_451
.LBB199_463:
	ds_read_b32 v11, v10 offset:160
	s_waitcnt lgkmcnt(0)
	v_add_f32_e32 v5, v5, v11
	s_or_b64 exec, exec, s[2:3]
	s_and_saveexec_b64 s[2:3], vcc
	s_cbranch_execz .LBB199_452
.LBB199_464:
	ds_read_b32 v11, v10 offset:192
	s_waitcnt lgkmcnt(0)
	v_add_f32_e32 v6, v6, v11
	s_or_b64 exec, exec, s[2:3]
	s_and_saveexec_b64 s[2:3], vcc
	s_cbranch_execnz .LBB199_453
	s_branch .LBB199_454
	.section	.rodata,"a",@progbits
	.p2align	6, 0x0
	.amdhsa_kernel _ZN4vllm25paged_attention_v1_kernelIfhLi64ELi32ELi128ELNS_18Fp8KVCacheDataTypeE1ELb1EEEvPT_PKS2_PKT0_S8_ifPKiSA_iPKfiiiSC_SC_iiiii
		.amdhsa_group_segment_fixed_size 272
		.amdhsa_private_segment_fixed_size 236
		.amdhsa_kernarg_size 384
		.amdhsa_user_sgpr_count 6
		.amdhsa_user_sgpr_private_segment_buffer 1
		.amdhsa_user_sgpr_dispatch_ptr 0
		.amdhsa_user_sgpr_queue_ptr 0
		.amdhsa_user_sgpr_kernarg_segment_ptr 1
		.amdhsa_user_sgpr_dispatch_id 0
		.amdhsa_user_sgpr_flat_scratch_init 0
		.amdhsa_user_sgpr_private_segment_size 0
		.amdhsa_uses_dynamic_stack 0
		.amdhsa_system_sgpr_private_segment_wavefront_offset 1
		.amdhsa_system_sgpr_workgroup_id_x 1
		.amdhsa_system_sgpr_workgroup_id_y 1
		.amdhsa_system_sgpr_workgroup_id_z 1
		.amdhsa_system_sgpr_workgroup_info 0
		.amdhsa_system_vgpr_workitem_id 0
		.amdhsa_next_free_vgpr 64
		.amdhsa_next_free_sgpr 60
		.amdhsa_reserve_vcc 1
		.amdhsa_reserve_flat_scratch 0
		.amdhsa_float_round_mode_32 0
		.amdhsa_float_round_mode_16_64 0
		.amdhsa_float_denorm_mode_32 3
		.amdhsa_float_denorm_mode_16_64 3
		.amdhsa_dx10_clamp 1
		.amdhsa_ieee_mode 1
		.amdhsa_fp16_overflow 0
		.amdhsa_exception_fp_ieee_invalid_op 0
		.amdhsa_exception_fp_denorm_src 0
		.amdhsa_exception_fp_ieee_div_zero 0
		.amdhsa_exception_fp_ieee_overflow 0
		.amdhsa_exception_fp_ieee_underflow 0
		.amdhsa_exception_fp_ieee_inexact 0
		.amdhsa_exception_int_div_zero 0
	.end_amdhsa_kernel
	.section	.text._ZN4vllm25paged_attention_v1_kernelIfhLi64ELi32ELi128ELNS_18Fp8KVCacheDataTypeE1ELb1EEEvPT_PKS2_PKT0_S8_ifPKiSA_iPKfiiiSC_SC_iiiii,"axG",@progbits,_ZN4vllm25paged_attention_v1_kernelIfhLi64ELi32ELi128ELNS_18Fp8KVCacheDataTypeE1ELb1EEEvPT_PKS2_PKT0_S8_ifPKiSA_iPKfiiiSC_SC_iiiii,comdat
.Lfunc_end199:
	.size	_ZN4vllm25paged_attention_v1_kernelIfhLi64ELi32ELi128ELNS_18Fp8KVCacheDataTypeE1ELb1EEEvPT_PKS2_PKT0_S8_ifPKiSA_iPKfiiiSC_SC_iiiii, .Lfunc_end199-_ZN4vllm25paged_attention_v1_kernelIfhLi64ELi32ELi128ELNS_18Fp8KVCacheDataTypeE1ELb1EEEvPT_PKS2_PKT0_S8_ifPKiSA_iPKfiiiSC_SC_iiiii
                                        ; -- End function
	.set _ZN4vllm25paged_attention_v1_kernelIfhLi64ELi32ELi128ELNS_18Fp8KVCacheDataTypeE1ELb1EEEvPT_PKS2_PKT0_S8_ifPKiSA_iPKfiiiSC_SC_iiiii.num_vgpr, 64
	.set _ZN4vllm25paged_attention_v1_kernelIfhLi64ELi32ELi128ELNS_18Fp8KVCacheDataTypeE1ELb1EEEvPT_PKS2_PKT0_S8_ifPKiSA_iPKfiiiSC_SC_iiiii.num_agpr, 0
	.set _ZN4vllm25paged_attention_v1_kernelIfhLi64ELi32ELi128ELNS_18Fp8KVCacheDataTypeE1ELb1EEEvPT_PKS2_PKT0_S8_ifPKiSA_iPKfiiiSC_SC_iiiii.numbered_sgpr, 60
	.set _ZN4vllm25paged_attention_v1_kernelIfhLi64ELi32ELi128ELNS_18Fp8KVCacheDataTypeE1ELb1EEEvPT_PKS2_PKT0_S8_ifPKiSA_iPKfiiiSC_SC_iiiii.num_named_barrier, 0
	.set _ZN4vllm25paged_attention_v1_kernelIfhLi64ELi32ELi128ELNS_18Fp8KVCacheDataTypeE1ELb1EEEvPT_PKS2_PKT0_S8_ifPKiSA_iPKfiiiSC_SC_iiiii.private_seg_size, 236
	.set _ZN4vllm25paged_attention_v1_kernelIfhLi64ELi32ELi128ELNS_18Fp8KVCacheDataTypeE1ELb1EEEvPT_PKS2_PKT0_S8_ifPKiSA_iPKfiiiSC_SC_iiiii.uses_vcc, 1
	.set _ZN4vllm25paged_attention_v1_kernelIfhLi64ELi32ELi128ELNS_18Fp8KVCacheDataTypeE1ELb1EEEvPT_PKS2_PKT0_S8_ifPKiSA_iPKfiiiSC_SC_iiiii.uses_flat_scratch, 0
	.set _ZN4vllm25paged_attention_v1_kernelIfhLi64ELi32ELi128ELNS_18Fp8KVCacheDataTypeE1ELb1EEEvPT_PKS2_PKT0_S8_ifPKiSA_iPKfiiiSC_SC_iiiii.has_dyn_sized_stack, 0
	.set _ZN4vllm25paged_attention_v1_kernelIfhLi64ELi32ELi128ELNS_18Fp8KVCacheDataTypeE1ELb1EEEvPT_PKS2_PKT0_S8_ifPKiSA_iPKfiiiSC_SC_iiiii.has_recursion, 0
	.set _ZN4vllm25paged_attention_v1_kernelIfhLi64ELi32ELi128ELNS_18Fp8KVCacheDataTypeE1ELb1EEEvPT_PKS2_PKT0_S8_ifPKiSA_iPKfiiiSC_SC_iiiii.has_indirect_call, 0
	.section	.AMDGPU.csdata,"",@progbits
; Kernel info:
; codeLenInByte = 20552
; TotalNumSgprs: 64
; NumVgprs: 64
; ScratchSize: 236
; MemoryBound: 0
; FloatMode: 240
; IeeeMode: 1
; LDSByteSize: 272 bytes/workgroup (compile time only)
; SGPRBlocks: 7
; VGPRBlocks: 15
; NumSGPRsForWavesPerEU: 64
; NumVGPRsForWavesPerEU: 64
; Occupancy: 4
; WaveLimiterHint : 1
; COMPUTE_PGM_RSRC2:SCRATCH_EN: 1
; COMPUTE_PGM_RSRC2:USER_SGPR: 6
; COMPUTE_PGM_RSRC2:TRAP_HANDLER: 0
; COMPUTE_PGM_RSRC2:TGID_X_EN: 1
; COMPUTE_PGM_RSRC2:TGID_Y_EN: 1
; COMPUTE_PGM_RSRC2:TGID_Z_EN: 1
; COMPUTE_PGM_RSRC2:TIDIG_COMP_CNT: 0
	.section	.text._ZN4vllm25paged_attention_v1_kernelIfhLi80ELi32ELi128ELNS_18Fp8KVCacheDataTypeE1ELb1EEEvPT_PKS2_PKT0_S8_ifPKiSA_iPKfiiiSC_SC_iiiii,"axG",@progbits,_ZN4vllm25paged_attention_v1_kernelIfhLi80ELi32ELi128ELNS_18Fp8KVCacheDataTypeE1ELb1EEEvPT_PKS2_PKT0_S8_ifPKiSA_iPKfiiiSC_SC_iiiii,comdat
	.protected	_ZN4vllm25paged_attention_v1_kernelIfhLi80ELi32ELi128ELNS_18Fp8KVCacheDataTypeE1ELb1EEEvPT_PKS2_PKT0_S8_ifPKiSA_iPKfiiiSC_SC_iiiii ; -- Begin function _ZN4vllm25paged_attention_v1_kernelIfhLi80ELi32ELi128ELNS_18Fp8KVCacheDataTypeE1ELb1EEEvPT_PKS2_PKT0_S8_ifPKiSA_iPKfiiiSC_SC_iiiii
	.globl	_ZN4vllm25paged_attention_v1_kernelIfhLi80ELi32ELi128ELNS_18Fp8KVCacheDataTypeE1ELb1EEEvPT_PKS2_PKT0_S8_ifPKiSA_iPKfiiiSC_SC_iiiii
	.p2align	8
	.type	_ZN4vllm25paged_attention_v1_kernelIfhLi80ELi32ELi128ELNS_18Fp8KVCacheDataTypeE1ELb1EEEvPT_PKS2_PKT0_S8_ifPKiSA_iPKfiiiSC_SC_iiiii,@function
_ZN4vllm25paged_attention_v1_kernelIfhLi80ELi32ELi128ELNS_18Fp8KVCacheDataTypeE1ELb1EEEvPT_PKS2_PKT0_S8_ifPKiSA_iPKfiiiSC_SC_iiiii: ; @_ZN4vllm25paged_attention_v1_kernelIfhLi80ELi32ELi128ELNS_18Fp8KVCacheDataTypeE1ELb1EEEvPT_PKS2_PKT0_S8_ifPKiSA_iPKfiiiSC_SC_iiiii
; %bb.0:
	s_mov_b64 s[58:59], s[2:3]
	s_mov_b64 s[56:57], s[0:1]
	s_add_u32 s56, s56, s9
	s_load_dword s9, s[4:5], 0x80
	s_load_dwordx2 s[0:1], s[4:5], 0x30
	s_load_dwordx2 s[36:37], s[4:5], 0x20
	s_addc_u32 s57, s57, 0
	s_mov_b32 s10, s7
	s_ashr_i32 s11, s7, 31
	s_lshl_b64 s[2:3], s[10:11], 2
	s_waitcnt lgkmcnt(0)
	s_add_u32 s0, s0, s2
	s_addc_u32 s1, s1, s3
	s_abs_i32 s2, s36
	v_mov_b32_e32 v16, v0
	v_cvt_f32_u32_e32 v0, s2
	s_sub_i32 s11, 0, s2
	s_abs_i32 s7, s9
	s_xor_b32 s3, s9, s36
	v_rcp_iflag_f32_e32 v0, v0
	s_ashr_i32 s3, s3, 31
	s_mov_b32 s48, 0
	v_mul_f32_e32 v0, 0x4f7ffffe, v0
	v_cvt_u32_f32_e32 v0, v0
	v_readfirstlane_b32 s12, v0
	s_mul_i32 s11, s11, s12
	s_mul_hi_u32 s11, s12, s11
	s_add_i32 s12, s12, s11
	s_mul_hi_u32 s11, s7, s12
	s_mul_i32 s12, s11, s2
	s_sub_i32 s7, s7, s12
	s_add_i32 s12, s11, 1
	s_sub_i32 s13, s7, s2
	s_cmp_ge_u32 s7, s2
	s_cselect_b32 s11, s12, s11
	s_cselect_b32 s7, s13, s7
	s_add_i32 s12, s11, 1
	s_cmp_ge_u32 s7, s2
	s_cselect_b32 s2, s12, s11
	s_xor_b32 s2, s2, s3
	s_sub_i32 s14, s2, s3
	s_abs_i32 s11, s14
	v_cvt_f32_u32_e32 v0, s11
	s_load_dwordx2 s[2:3], s[4:5], 0x40
	s_sub_i32 s7, 0, s11
	s_abs_i32 s12, s6
	v_rcp_iflag_f32_e32 v0, v0
	v_mul_f32_e32 v0, 0x4f7ffffe, v0
	v_cvt_u32_f32_e32 v0, v0
	v_readfirstlane_b32 s13, v0
	s_mul_i32 s7, s7, s13
	s_mul_hi_u32 s7, s13, s7
	s_add_i32 s13, s13, s7
	s_waitcnt lgkmcnt(0)
	s_cmp_eq_u64 s[2:3], 0
	s_mul_hi_u32 s13, s12, s13
	s_cbranch_scc1 .LBB200_2
; %bb.1:
	s_ashr_i32 s7, s6, 31
	s_lshl_b64 s[16:17], s[6:7], 2
	s_add_u32 s2, s2, s16
	s_addc_u32 s3, s3, s17
	s_load_dword s48, s[2:3], 0x0
.LBB200_2:
	s_load_dword s33, s[0:1], 0x0
	s_load_dwordx4 s[16:19], s[4:5], 0x48
	s_ashr_i32 s3, s6, 31
	s_ashr_i32 s7, s14, 31
	v_and_b32_e32 v0, 1, v16
	s_mul_i32 s24, s6, 0x50
	v_cmp_gt_u32_e32 vcc, 40, v16
	v_lshlrev_b32_e32 v12, 2, v16
	s_and_saveexec_b64 s[0:1], vcc
	s_cbranch_execz .LBB200_4
; %bb.3:
	s_load_dwordx2 s[14:15], s[4:5], 0x8
	s_waitcnt lgkmcnt(0)
	s_mul_i32 s20, s16, s10
	s_ashr_i32 s21, s20, 31
	s_lshl_b64 s[20:21], s[20:21], 2
	v_lshlrev_b32_e32 v1, 3, v16
	s_add_u32 s2, s14, s20
	s_addc_u32 s16, s15, s21
	s_ashr_i32 s25, s24, 31
	s_lshl_b64 s[14:15], s[24:25], 2
	s_add_u32 s14, s2, s14
	s_addc_u32 s15, s16, s15
	global_load_dwordx2 v[1:2], v1, s[14:15]
	v_and_b32_e32 v3, 0xff8, v12
	s_movk_i32 s2, 0xa0
	v_mad_u32_u24 v3, v0, s2, v3
	s_waitcnt vmcnt(0)
	ds_write_b64 v3, v[1:2]
.LBB200_4:
	s_or_b64 exec, exec, s[0:1]
	s_mul_i32 s1, s13, s11
	s_sub_i32 s1, s12, s1
	s_xor_b32 s0, s3, s7
	s_add_i32 s3, s13, 1
	s_sub_i32 s7, s1, s11
	s_load_dwordx4 s[20:23], s[4:5], 0x68
	s_load_dword s2, s[4:5], 0x78
	s_cmp_ge_u32 s1, s11
	s_cselect_b32 s3, s3, s13
	s_cselect_b32 s1, s7, s1
	s_add_i32 s7, s3, 1
	s_cmp_ge_u32 s1, s11
	s_cselect_b32 s1, s7, s3
	s_waitcnt lgkmcnt(0)
	s_abs_i32 s25, s23
	v_cvt_f32_u32_e32 v1, s25
	s_xor_b32 s1, s1, s0
	s_sub_i32 s47, s1, s0
	s_sub_i32 s0, 0, s25
	v_rcp_iflag_f32_e32 v1, v1
	s_add_i32 s11, s33, -1
	s_abs_i32 s3, s11
	v_mul_f32_e32 v1, 0x4f7ffffe, v1
	v_cvt_u32_f32_e32 v1, v1
	s_barrier
	v_readfirstlane_b32 s46, v1
	s_mul_i32 s0, s0, s46
	s_mul_hi_u32 s0, s46, s0
	s_add_i32 s46, s46, s0
	s_cmp_lt_i32 s2, 0
	s_mul_hi_u32 s7, s3, s46
	s_cbranch_scc0 .LBB200_6
; %bb.5:
	s_mul_i32 s0, s20, s36
	s_add_i32 s0, s47, s0
	s_mul_i32 s0, s0, s2
	s_sub_i32 s36, 1, s0
	s_mov_b64 s[0:1], 0
	s_branch .LBB200_7
.LBB200_6:
	s_mov_b64 s[0:1], -1
                                        ; implicit-def: $sgpr36
.LBB200_7:
	s_load_dwordx2 s[28:29], s[4:5], 0x28
	s_ashr_i32 s16, s11, 31
	s_andn2_b64 vcc, exec, s[0:1]
	s_ashr_i32 s23, s23, 31
	s_cbranch_vccnz .LBB200_9
; %bb.8:
	s_mul_i32 s0, s9, s20
	s_add_i32 s0, s0, s6
	s_mul_i32 s0, s0, s2
	s_add_i32 s36, s0, 1
.LBB200_9:
	s_load_dword s0, s[4:5], 0x38
	s_load_dwordx2 s[26:27], s[4:5], 0x0
	s_load_dwordx2 s[34:35], s[4:5], 0x18
	s_load_dword s11, s[4:5], 0x88
	s_load_dwordx4 s[12:15], s[4:5], 0x58
	s_mul_i32 s1, s7, s25
	s_waitcnt lgkmcnt(0)
	s_mul_i32 s30, s0, s10
	s_sub_i32 s1, s3, s1
	s_ashr_i32 s31, s30, 31
	s_xor_b32 s0, s16, s23
	s_add_i32 s2, s7, 1
	s_sub_i32 s3, s1, s25
	s_cmp_ge_u32 s1, s25
	s_cselect_b32 s2, s2, s7
	s_cselect_b32 s1, s3, s1
	s_add_i32 s3, s2, 1
	s_cmp_ge_u32 s1, s25
	s_cselect_b32 s1, s3, s2
	s_xor_b32 s1, s1, s0
	s_sub_i32 s16, s1, s0
	s_add_i32 s0, s33, 31
	s_ashr_i32 s1, s0, 31
	s_lshr_b32 s1, s1, 27
	s_add_i32 s0, s0, s1
	s_ashr_i32 s20, s0, 5
	v_lshrrev_b32_e32 v42, 6, v16
	v_cmp_gt_i32_e64 s[0:1], s20, v42
	v_mov_b32_e32 v3, 0xff7fffff
	s_mul_i32 s47, s47, s18
	v_lshrrev_b32_e32 v13, 4, v16
	v_lshlrev_b32_e32 v7, 5, v42
	v_mbcnt_lo_u32_b32 v5, -1, 0
	s_mov_b64 s[18:19], exec
	s_and_b64 s[2:3], s[18:19], s[0:1]
	buffer_store_dword v16, off, s[56:59], 0 offset:324 ; 4-byte Folded Spill
	s_mov_b64 exec, s[2:3]
	s_cbranch_execz .LBB200_261
; %bb.10:
	s_load_dwordx2 s[2:3], s[4:5], 0x10
	s_sub_i32 s49, s16, s21
	s_ashr_i32 s4, s47, 31
	v_cmp_eq_u32_e32 vcc, 0, v0
	v_lshlrev_b32_e32 v2, 1, v0
	s_waitcnt lgkmcnt(0)
	s_add_u32 s5, s2, s47
	s_addc_u32 s4, s3, s4
	s_abs_i32 s50, s22
	v_cvt_f32_u32_e32 v1, s50
	s_sub_i32 s2, 0, s50
	v_mul_u32_u24_e32 v8, 0xa0, v0
	v_bfe_u32 v6, v16, 1, 5
	v_rcp_iflag_f32_e32 v1, v1
	v_lshlrev_b32_e32 v3, 4, v6
	v_mov_b32_e32 v4, s4
	v_add_co_u32_e64 v3, s[4:5], s5, v3
	v_mul_f32_e32 v1, 0x4f7ffffe, v1
	v_cvt_u32_f32_e32 v1, v1
	v_addc_co_u32_e64 v4, s[4:5], 0, v4, s[4:5]
	buffer_store_dword v12, off, s[56:59], 0 offset:332 ; 4-byte Folded Spill
	v_mul_lo_u32 v0, s2, v1
	s_mov_b32 s51, s17
	v_mov_b32_e32 v41, 0
	v_cmp_neq_f32_e64 s[2:3], s48, 0
	v_mul_hi_u32 v0, v1, v0
	s_mov_b64 s[38:39], 0
	s_movk_i32 s52, 0x80
	s_movk_i32 s53, 0x7f
	v_add_u32_e32 v0, v1, v0
	buffer_store_dword v0, off, s[56:59], 0 offset:128 ; 4-byte Folded Spill
	v_add_co_u32_e64 v0, s[4:5], v3, v2
	v_addc_co_u32_e64 v1, s[4:5], 0, v4, s[4:5]
	s_lshl_b64 s[4:5], s[30:31], 2
	buffer_store_dword v0, off, s[56:59], 0 offset:304 ; 4-byte Folded Spill
	s_nop 0
	buffer_store_dword v1, off, s[56:59], 0 offset:308 ; 4-byte Folded Spill
	buffer_store_dword v13, off, s[56:59], 0 offset:336 ; 4-byte Folded Spill
	s_add_u32 s4, s28, s4
	v_and_b32_e32 v0, 60, v13
	s_addc_u32 s5, s29, s5
	v_mov_b32_e32 v1, s5
	v_add_co_u32_e64 v45, s[4:5], s4, v0
	v_addc_co_u32_e64 v46, s[4:5], 0, v1, s[4:5]
	v_subrev_u32_e32 v1, s33, v6
	v_add_u32_e32 v1, 1, v1
	buffer_store_dword v1, off, s[56:59], 0 offset:320 ; 4-byte Folded Spill
	buffer_store_dword v6, off, s[56:59], 0 offset:316 ; 4-byte Folded Spill
	v_lshlrev_b32_e32 v1, 2, v6
	v_lshl_or_b32 v1, v42, 7, v1
	v_add_u32_e32 v4, 0x150, v1
	v_mbcnt_hi_u32_b32 v1, -1, v5
	v_lshlrev_b32_e32 v0, 5, v42
	s_brev_b32 s54, 1
	v_mov_b32_e32 v63, v42
	v_bfrev_b32_e32 v42, 1
	buffer_store_dword v1, off, s[56:59], 0 offset:312 ; 4-byte Folded Spill
	v_mov_b32_e32 v1, 0xff7fffff
	v_mov_b32_e32 v56, 0x7f800001
	buffer_store_dword v1, off, s[56:59], 0 offset:300 ; 4-byte Folded Spill
	buffer_store_dword v63, off, s[56:59], 0 offset:328 ; 4-byte Folded Spill
	s_branch .LBB200_13
.LBB200_11:                             ;   in Loop: Header=BB200_13 Depth=1
	s_or_b64 exec, exec, s[40:41]
.LBB200_12:                             ;   in Loop: Header=BB200_13 Depth=1
	s_or_b64 exec, exec, s[6:7]
	v_add_co_u32_e64 v45, s[4:5], 8, v45
	v_add_u32_e32 v63, 2, v63
	v_addc_co_u32_e64 v46, s[4:5], 0, v46, s[4:5]
	v_cmp_le_i32_e64 s[4:5], s20, v63
	v_add_u32_e32 v0, 64, v0
	s_or_b64 s[38:39], s[4:5], s[38:39]
	v_add_u32_e32 v4, 0x100, v4
	s_andn2_b64 exec, exec, s[38:39]
	s_cbranch_execz .LBB200_260
.LBB200_13:                             ; =>This Inner Loop Header: Depth=1
	buffer_load_dword v5, off, s[56:59], 0 offset:128 ; 4-byte Folded Reload
	v_mul_hi_u32 v1, v0, s46
	s_waitcnt lgkmcnt(0)
	v_mul_lo_u32 v2, v1, s25
	v_add_u32_e32 v3, 1, v1
	v_sub_u32_e32 v2, v0, v2
	v_cmp_le_u32_e64 s[4:5], s25, v2
	v_cndmask_b32_e64 v1, v1, v3, s[4:5]
	v_subrev_u32_e32 v3, s25, v2
	v_cndmask_b32_e64 v2, v2, v3, s[4:5]
	v_add_u32_e32 v3, 1, v1
	v_cmp_le_u32_e64 s[4:5], s25, v2
	v_cndmask_b32_e64 v1, v1, v3, s[4:5]
	v_xor_b32_e32 v1, s23, v1
	v_subrev_u32_e32 v1, s23, v1
	v_add_u32_e32 v2, s36, v1
	v_sub_u32_e32 v3, 0, v2
	v_max_i32_e32 v3, v2, v3
	v_ashrrev_i32_e32 v2, 31, v2
	v_cmp_ge_i32_e64 s[6:7], s49, v1
	s_waitcnt vmcnt(0)
	v_mul_hi_u32 v5, v3, v5
	v_mul_lo_u32 v5, v5, s50
	v_sub_u32_e32 v3, v3, v5
	v_subrev_u32_e32 v5, s50, v3
	v_cmp_le_u32_e64 s[4:5], s50, v3
	v_cndmask_b32_e64 v3, v3, v5, s[4:5]
	v_subrev_u32_e32 v5, s50, v3
	v_cmp_le_u32_e64 s[4:5], s50, v3
	v_cndmask_b32_e64 v3, v3, v5, s[4:5]
	v_xor_b32_e32 v3, v3, v2
	v_sub_u32_e32 v2, v3, v2
	v_cmp_ne_u32_e64 s[4:5], 0, v2
	s_and_b64 s[4:5], s[4:5], s[6:7]
	s_and_saveexec_b64 s[6:7], s[4:5]
	s_xor_b64 s[4:5], exec, s[6:7]
	s_cbranch_execz .LBB200_17
; %bb.14:                               ;   in Loop: Header=BB200_13 Depth=1
	s_and_saveexec_b64 s[6:7], vcc
; %bb.15:                               ;   in Loop: Header=BB200_13 Depth=1
	v_mov_b32_e32 v1, 0xff7fffff
	ds_write_b32 v4, v1
; %bb.16:                               ;   in Loop: Header=BB200_13 Depth=1
	s_or_b64 exec, exec, s[6:7]
.LBB200_17:                             ;   in Loop: Header=BB200_13 Depth=1
	s_andn2_saveexec_b64 s[6:7], s[4:5]
	s_cbranch_execz .LBB200_12
; %bb.18:                               ;   in Loop: Header=BB200_13 Depth=1
	global_load_dword v1, v[45:46], off
	buffer_load_dword v2, off, s[56:59], 0 offset:304 ; 4-byte Folded Reload
	buffer_load_dword v3, off, s[56:59], 0 offset:308 ; 4-byte Folded Reload
	ds_read_b128 v[9:12], v8
	v_mov_b32_e32 v5, 0
	v_mov_b32_e32 v6, 0
	s_waitcnt vmcnt(0)
	v_mad_i64_i32 v[57:58], s[4:5], v1, s51, v[2:3]
	global_load_ushort v2, v[57:58], off
	s_waitcnt lgkmcnt(0)
	buffer_store_dword v9, off, s[56:59], 0 offset:276 ; 4-byte Folded Spill
	s_nop 0
	buffer_store_dword v10, off, s[56:59], 0 offset:280 ; 4-byte Folded Spill
	buffer_store_dword v11, off, s[56:59], 0 offset:284 ; 4-byte Folded Spill
	;; [unrolled: 1-line block ×3, first 2 shown]
	ds_read_b128 v[9:12], v8 offset:16
	s_waitcnt lgkmcnt(0)
	buffer_store_dword v9, off, s[56:59], 0 offset:260 ; 4-byte Folded Spill
	s_nop 0
	buffer_store_dword v10, off, s[56:59], 0 offset:264 ; 4-byte Folded Spill
	buffer_store_dword v11, off, s[56:59], 0 offset:268 ; 4-byte Folded Spill
	;; [unrolled: 1-line block ×3, first 2 shown]
	s_load_dword s55, s[12:13], 0x0
	buffer_store_dword v5, off, s[56:59], 0 ; 4-byte Folded Spill
	s_nop 0
	buffer_store_dword v6, off, s[56:59], 0 offset:4 ; 4-byte Folded Spill
	ds_read_b128 v[9:12], v8 offset:32
	s_waitcnt lgkmcnt(0)
	buffer_store_dword v9, off, s[56:59], 0 offset:244 ; 4-byte Folded Spill
	s_nop 0
	buffer_store_dword v10, off, s[56:59], 0 offset:248 ; 4-byte Folded Spill
	buffer_store_dword v11, off, s[56:59], 0 offset:252 ; 4-byte Folded Spill
	buffer_store_dword v12, off, s[56:59], 0 offset:256 ; 4-byte Folded Spill
	ds_read_b128 v[9:12], v8 offset:48
	s_waitcnt lgkmcnt(0)
	buffer_store_dword v9, off, s[56:59], 0 offset:228 ; 4-byte Folded Spill
	s_nop 0
	buffer_store_dword v10, off, s[56:59], 0 offset:232 ; 4-byte Folded Spill
	buffer_store_dword v11, off, s[56:59], 0 offset:236 ; 4-byte Folded Spill
	;; [unrolled: 7-line block ×8, first 2 shown]
	buffer_store_dword v12, off, s[56:59], 0 offset:144 ; 4-byte Folded Spill
	v_mov_b32_e32 v11, 0
	v_mov_b32_e32 v12, 0
	s_waitcnt vmcnt(42)
	v_and_b32_e32 v1, 0xffff, v2
	v_cmp_ne_u16_sdwa s[4:5], v2, v41 src0_sel:BYTE_0 src1_sel:DWORD
	s_and_saveexec_b64 s[40:41], s[4:5]
	s_cbranch_execz .LBB200_24
; %bb.19:                               ;   in Loop: Header=BB200_13 Depth=1
	v_bfrev_b32_e32 v11, 1
	v_mov_b32_e32 v12, 0
	v_cmp_ne_u16_sdwa s[4:5], v1, s52 src0_sel:BYTE_0 src1_sel:DWORD
	s_and_saveexec_b64 s[42:43], s[4:5]
	s_cbranch_execz .LBB200_23
; %bb.20:                               ;   in Loop: Header=BB200_13 Depth=1
	v_and_b32_e32 v2, 0x7f, v1
	v_mov_b32_e32 v11, 0x7f800001
	v_mov_b32_e32 v12, 0
	v_cmp_ne_u32_e64 s[4:5], s53, v2
	s_and_saveexec_b64 s[44:45], s[4:5]
	s_cbranch_execz .LBB200_22
; %bb.21:                               ;   in Loop: Header=BB200_13 Depth=1
	v_and_b32_e32 v5, 7, v1
	v_lshrrev_b32_e32 v6, 3, v2
	v_cmp_gt_u32_e64 s[4:5], 8, v2
	v_ffbh_u32_e32 v2, v5
	v_min_u32_e32 v9, 32, v2
	v_subrev_u32_e32 v2, 28, v9
	v_lshlrev_b64 v[2:3], v2, v[1:2]
	v_sub_u32_e32 v3, 29, v9
	v_and_b32_e32 v2, 7, v2
	v_cndmask_b32_e64 v3, v6, v3, s[4:5]
	v_cndmask_b32_e64 v2, v5, v2, s[4:5]
	v_bfrev_b32_e32 v6, 60
	v_lshlrev_b32_e32 v2, 20, v2
	v_and_b32_sdwa v5, sext(v1), s54 dst_sel:DWORD dst_unused:UNUSED_PAD src0_sel:BYTE_0 src1_sel:DWORD
	v_lshl_add_u32 v3, v3, 23, v6
	v_or3_b32 v11, v5, v3, v2
	v_mov_b32_e32 v12, v41
.LBB200_22:                             ;   in Loop: Header=BB200_13 Depth=1
	s_or_b64 exec, exec, s[44:45]
.LBB200_23:                             ;   in Loop: Header=BB200_13 Depth=1
	s_or_b64 exec, exec, s[42:43]
.LBB200_24:                             ;   in Loop: Header=BB200_13 Depth=1
	s_or_b64 exec, exec, s[40:41]
	v_cmp_ne_u16_sdwa s[4:5], v1, v41 src0_sel:BYTE_1 src1_sel:DWORD
	s_and_saveexec_b64 s[40:41], s[4:5]
	s_cbranch_execz .LBB200_30
; %bb.25:                               ;   in Loop: Header=BB200_13 Depth=1
	v_cmp_ne_u16_sdwa s[4:5], v1, s52 src0_sel:BYTE_1 src1_sel:DWORD
	buffer_store_dword v41, off, s[56:59], 0 ; 4-byte Folded Spill
	s_nop 0
	buffer_store_dword v42, off, s[56:59], 0 offset:4 ; 4-byte Folded Spill
	s_and_saveexec_b64 s[42:43], s[4:5]
	s_cbranch_execz .LBB200_29
; %bb.26:                               ;   in Loop: Header=BB200_13 Depth=1
	v_and_b32_sdwa v2, v1, s53 dst_sel:DWORD dst_unused:UNUSED_PAD src0_sel:BYTE_1 src1_sel:DWORD
	v_cmp_ne_u32_e64 s[4:5], s53, v2
	v_mov_b32_e32 v55, v41
	buffer_store_dword v55, off, s[56:59], 0 ; 4-byte Folded Spill
	s_nop 0
	buffer_store_dword v56, off, s[56:59], 0 offset:4 ; 4-byte Folded Spill
	s_and_saveexec_b64 s[44:45], s[4:5]
	s_cbranch_execz .LBB200_28
; %bb.27:                               ;   in Loop: Header=BB200_13 Depth=1
	v_mov_b32_e32 v3, 7
	v_and_b32_sdwa v5, v1, v3 dst_sel:DWORD dst_unused:UNUSED_PAD src0_sel:BYTE_1 src1_sel:DWORD
	v_lshrrev_b32_e32 v9, 3, v2
	v_cmp_gt_u32_e64 s[4:5], 8, v2
	v_ffbh_u32_e32 v2, v5
	v_min_u32_e32 v10, 32, v2
	v_mov_b32_e32 v6, v41
	v_subrev_u32_e32 v2, 28, v10
	v_lshlrev_b64 v[2:3], v2, v[5:6]
	v_sub_u32_e32 v3, 29, v10
	v_and_b32_e32 v2, 7, v2
	v_cndmask_b32_e64 v3, v9, v3, s[4:5]
	v_cndmask_b32_e64 v2, v5, v2, s[4:5]
	v_bfrev_b32_e32 v5, 60
	v_lshlrev_b32_e32 v1, 16, v1
	v_lshl_add_u32 v3, v3, 23, v5
	v_and_or_b32 v1, v1, s54, v3
	v_lshlrev_b32_e32 v2, 20, v2
	v_or_b32_e32 v2, v1, v2
	v_mov_b32_e32 v1, v41
	buffer_store_dword v1, off, s[56:59], 0 ; 4-byte Folded Spill
	s_nop 0
	buffer_store_dword v2, off, s[56:59], 0 offset:4 ; 4-byte Folded Spill
.LBB200_28:                             ;   in Loop: Header=BB200_13 Depth=1
	s_or_b64 exec, exec, s[44:45]
.LBB200_29:                             ;   in Loop: Header=BB200_13 Depth=1
	s_or_b64 exec, exec, s[42:43]
.LBB200_30:                             ;   in Loop: Header=BB200_13 Depth=1
	s_or_b64 exec, exec, s[40:41]
	global_load_ushort v2, v[57:58], off offset:4
	s_waitcnt vmcnt(0)
	v_and_b32_e32 v1, 0xffff, v2
	v_cmp_ne_u16_sdwa s[4:5], v2, v41 src0_sel:BYTE_0 src1_sel:DWORD
	v_mov_b32_e32 v2, 0
	v_mov_b32_e32 v3, 0
	buffer_store_dword v2, off, s[56:59], 0 offset:16 ; 4-byte Folded Spill
	s_nop 0
	buffer_store_dword v3, off, s[56:59], 0 offset:20 ; 4-byte Folded Spill
	v_mov_b32_e32 v2, 0
	v_mov_b32_e32 v3, 0
	buffer_store_dword v2, off, s[56:59], 0 offset:8 ; 4-byte Folded Spill
	s_nop 0
	buffer_store_dword v3, off, s[56:59], 0 offset:12 ; 4-byte Folded Spill
	s_and_saveexec_b64 s[40:41], s[4:5]
	s_cbranch_execz .LBB200_36
; %bb.31:                               ;   in Loop: Header=BB200_13 Depth=1
	v_bfrev_b32_e32 v2, 1
	v_mov_b32_e32 v3, 0
	v_cmp_ne_u16_sdwa s[4:5], v1, s52 src0_sel:BYTE_0 src1_sel:DWORD
	buffer_store_dword v2, off, s[56:59], 0 offset:8 ; 4-byte Folded Spill
	s_nop 0
	buffer_store_dword v3, off, s[56:59], 0 offset:12 ; 4-byte Folded Spill
	s_and_saveexec_b64 s[42:43], s[4:5]
	s_cbranch_execz .LBB200_35
; %bb.32:                               ;   in Loop: Header=BB200_13 Depth=1
	v_and_b32_e32 v2, 0x7f, v1
	v_mov_b32_e32 v5, 0x7f800001
	v_mov_b32_e32 v6, 0
	v_cmp_ne_u32_e64 s[4:5], s53, v2
	buffer_store_dword v5, off, s[56:59], 0 offset:8 ; 4-byte Folded Spill
	s_nop 0
	buffer_store_dword v6, off, s[56:59], 0 offset:12 ; 4-byte Folded Spill
	s_and_saveexec_b64 s[44:45], s[4:5]
	s_cbranch_execz .LBB200_34
; %bb.33:                               ;   in Loop: Header=BB200_13 Depth=1
	v_and_b32_e32 v5, 7, v1
	v_lshrrev_b32_e32 v6, 3, v2
	v_cmp_gt_u32_e64 s[4:5], 8, v2
	v_ffbh_u32_e32 v2, v5
	v_min_u32_e32 v9, 32, v2
	v_subrev_u32_e32 v2, 28, v9
	v_lshlrev_b64 v[2:3], v2, v[1:2]
	v_sub_u32_e32 v3, 29, v9
	v_and_b32_e32 v2, 7, v2
	v_cndmask_b32_e64 v3, v6, v3, s[4:5]
	v_cndmask_b32_e64 v2, v5, v2, s[4:5]
	v_bfrev_b32_e32 v6, 60
	v_lshlrev_b32_e32 v2, 20, v2
	v_and_b32_sdwa v5, sext(v1), s54 dst_sel:DWORD dst_unused:UNUSED_PAD src0_sel:BYTE_0 src1_sel:DWORD
	v_lshl_add_u32 v3, v3, 23, v6
	v_or3_b32 v2, v5, v3, v2
	v_mov_b32_e32 v3, v41
	buffer_store_dword v2, off, s[56:59], 0 offset:8 ; 4-byte Folded Spill
	s_nop 0
	buffer_store_dword v3, off, s[56:59], 0 offset:12 ; 4-byte Folded Spill
.LBB200_34:                             ;   in Loop: Header=BB200_13 Depth=1
	s_or_b64 exec, exec, s[44:45]
.LBB200_35:                             ;   in Loop: Header=BB200_13 Depth=1
	s_or_b64 exec, exec, s[42:43]
.LBB200_36:                             ;   in Loop: Header=BB200_13 Depth=1
	s_or_b64 exec, exec, s[40:41]
	v_cmp_ne_u16_sdwa s[4:5], v1, v41 src0_sel:BYTE_1 src1_sel:DWORD
	s_and_saveexec_b64 s[40:41], s[4:5]
	s_cbranch_execz .LBB200_42
; %bb.37:                               ;   in Loop: Header=BB200_13 Depth=1
	v_cmp_ne_u16_sdwa s[4:5], v1, s52 src0_sel:BYTE_1 src1_sel:DWORD
	buffer_store_dword v41, off, s[56:59], 0 offset:16 ; 4-byte Folded Spill
	s_nop 0
	buffer_store_dword v42, off, s[56:59], 0 offset:20 ; 4-byte Folded Spill
	s_and_saveexec_b64 s[42:43], s[4:5]
	s_cbranch_execz .LBB200_41
; %bb.38:                               ;   in Loop: Header=BB200_13 Depth=1
	v_and_b32_sdwa v2, v1, s53 dst_sel:DWORD dst_unused:UNUSED_PAD src0_sel:BYTE_1 src1_sel:DWORD
	v_cmp_ne_u32_e64 s[4:5], s53, v2
	v_mov_b32_e32 v55, v41
	buffer_store_dword v55, off, s[56:59], 0 offset:16 ; 4-byte Folded Spill
	s_nop 0
	buffer_store_dword v56, off, s[56:59], 0 offset:20 ; 4-byte Folded Spill
	s_and_saveexec_b64 s[44:45], s[4:5]
	s_cbranch_execz .LBB200_40
; %bb.39:                               ;   in Loop: Header=BB200_13 Depth=1
	v_mov_b32_e32 v3, 7
	v_and_b32_sdwa v5, v1, v3 dst_sel:DWORD dst_unused:UNUSED_PAD src0_sel:BYTE_1 src1_sel:DWORD
	v_lshrrev_b32_e32 v9, 3, v2
	v_cmp_gt_u32_e64 s[4:5], 8, v2
	v_ffbh_u32_e32 v2, v5
	v_min_u32_e32 v10, 32, v2
	v_mov_b32_e32 v6, v41
	v_subrev_u32_e32 v2, 28, v10
	v_lshlrev_b64 v[2:3], v2, v[5:6]
	v_sub_u32_e32 v3, 29, v10
	v_and_b32_e32 v2, 7, v2
	v_cndmask_b32_e64 v3, v9, v3, s[4:5]
	v_cndmask_b32_e64 v2, v5, v2, s[4:5]
	v_bfrev_b32_e32 v5, 60
	v_lshlrev_b32_e32 v1, 16, v1
	v_lshl_add_u32 v3, v3, 23, v5
	v_and_or_b32 v1, v1, s54, v3
	v_lshlrev_b32_e32 v2, 20, v2
	v_or_b32_e32 v2, v1, v2
	v_mov_b32_e32 v1, v41
	buffer_store_dword v1, off, s[56:59], 0 offset:16 ; 4-byte Folded Spill
	s_nop 0
	buffer_store_dword v2, off, s[56:59], 0 offset:20 ; 4-byte Folded Spill
.LBB200_40:                             ;   in Loop: Header=BB200_13 Depth=1
	s_or_b64 exec, exec, s[44:45]
.LBB200_41:                             ;   in Loop: Header=BB200_13 Depth=1
	s_or_b64 exec, exec, s[42:43]
.LBB200_42:                             ;   in Loop: Header=BB200_13 Depth=1
	s_or_b64 exec, exec, s[40:41]
	global_load_ushort v2, v[57:58], off offset:8
	s_waitcnt vmcnt(0)
	v_and_b32_e32 v1, 0xffff, v2
	v_cmp_ne_u16_sdwa s[4:5], v2, v41 src0_sel:BYTE_0 src1_sel:DWORD
	v_mov_b32_e32 v2, 0
	v_mov_b32_e32 v3, 0
	buffer_store_dword v2, off, s[56:59], 0 offset:32 ; 4-byte Folded Spill
	s_nop 0
	buffer_store_dword v3, off, s[56:59], 0 offset:36 ; 4-byte Folded Spill
	v_mov_b32_e32 v2, 0
	v_mov_b32_e32 v3, 0
	buffer_store_dword v2, off, s[56:59], 0 offset:24 ; 4-byte Folded Spill
	s_nop 0
	buffer_store_dword v3, off, s[56:59], 0 offset:28 ; 4-byte Folded Spill
	s_and_saveexec_b64 s[40:41], s[4:5]
	s_cbranch_execz .LBB200_48
; %bb.43:                               ;   in Loop: Header=BB200_13 Depth=1
	v_bfrev_b32_e32 v2, 1
	v_mov_b32_e32 v3, 0
	v_cmp_ne_u16_sdwa s[4:5], v1, s52 src0_sel:BYTE_0 src1_sel:DWORD
	buffer_store_dword v2, off, s[56:59], 0 offset:24 ; 4-byte Folded Spill
	s_nop 0
	buffer_store_dword v3, off, s[56:59], 0 offset:28 ; 4-byte Folded Spill
	s_and_saveexec_b64 s[42:43], s[4:5]
	s_cbranch_execz .LBB200_47
; %bb.44:                               ;   in Loop: Header=BB200_13 Depth=1
	v_and_b32_e32 v2, 0x7f, v1
	v_mov_b32_e32 v5, 0x7f800001
	v_mov_b32_e32 v6, 0
	v_cmp_ne_u32_e64 s[4:5], s53, v2
	buffer_store_dword v5, off, s[56:59], 0 offset:24 ; 4-byte Folded Spill
	s_nop 0
	buffer_store_dword v6, off, s[56:59], 0 offset:28 ; 4-byte Folded Spill
	s_and_saveexec_b64 s[44:45], s[4:5]
	s_cbranch_execz .LBB200_46
; %bb.45:                               ;   in Loop: Header=BB200_13 Depth=1
	v_and_b32_e32 v5, 7, v1
	v_lshrrev_b32_e32 v6, 3, v2
	v_cmp_gt_u32_e64 s[4:5], 8, v2
	v_ffbh_u32_e32 v2, v5
	v_min_u32_e32 v9, 32, v2
	v_subrev_u32_e32 v2, 28, v9
	v_lshlrev_b64 v[2:3], v2, v[1:2]
	v_sub_u32_e32 v3, 29, v9
	v_and_b32_e32 v2, 7, v2
	v_cndmask_b32_e64 v3, v6, v3, s[4:5]
	v_cndmask_b32_e64 v2, v5, v2, s[4:5]
	v_bfrev_b32_e32 v6, 60
	v_lshlrev_b32_e32 v2, 20, v2
	v_and_b32_sdwa v5, sext(v1), s54 dst_sel:DWORD dst_unused:UNUSED_PAD src0_sel:BYTE_0 src1_sel:DWORD
	v_lshl_add_u32 v3, v3, 23, v6
	v_or3_b32 v2, v5, v3, v2
	v_mov_b32_e32 v3, v41
	buffer_store_dword v2, off, s[56:59], 0 offset:24 ; 4-byte Folded Spill
	s_nop 0
	buffer_store_dword v3, off, s[56:59], 0 offset:28 ; 4-byte Folded Spill
.LBB200_46:                             ;   in Loop: Header=BB200_13 Depth=1
	s_or_b64 exec, exec, s[44:45]
.LBB200_47:                             ;   in Loop: Header=BB200_13 Depth=1
	s_or_b64 exec, exec, s[42:43]
.LBB200_48:                             ;   in Loop: Header=BB200_13 Depth=1
	s_or_b64 exec, exec, s[40:41]
	v_cmp_ne_u16_sdwa s[4:5], v1, v41 src0_sel:BYTE_1 src1_sel:DWORD
	s_and_saveexec_b64 s[40:41], s[4:5]
	s_cbranch_execz .LBB200_54
; %bb.49:                               ;   in Loop: Header=BB200_13 Depth=1
	v_cmp_ne_u16_sdwa s[4:5], v1, s52 src0_sel:BYTE_1 src1_sel:DWORD
	buffer_store_dword v41, off, s[56:59], 0 offset:32 ; 4-byte Folded Spill
	s_nop 0
	buffer_store_dword v42, off, s[56:59], 0 offset:36 ; 4-byte Folded Spill
	s_and_saveexec_b64 s[42:43], s[4:5]
	s_cbranch_execz .LBB200_53
; %bb.50:                               ;   in Loop: Header=BB200_13 Depth=1
	v_and_b32_sdwa v2, v1, s53 dst_sel:DWORD dst_unused:UNUSED_PAD src0_sel:BYTE_1 src1_sel:DWORD
	v_cmp_ne_u32_e64 s[4:5], s53, v2
	v_mov_b32_e32 v55, v41
	buffer_store_dword v55, off, s[56:59], 0 offset:32 ; 4-byte Folded Spill
	s_nop 0
	buffer_store_dword v56, off, s[56:59], 0 offset:36 ; 4-byte Folded Spill
	s_and_saveexec_b64 s[44:45], s[4:5]
	s_cbranch_execz .LBB200_52
; %bb.51:                               ;   in Loop: Header=BB200_13 Depth=1
	v_mov_b32_e32 v3, 7
	v_and_b32_sdwa v5, v1, v3 dst_sel:DWORD dst_unused:UNUSED_PAD src0_sel:BYTE_1 src1_sel:DWORD
	v_lshrrev_b32_e32 v9, 3, v2
	v_cmp_gt_u32_e64 s[4:5], 8, v2
	v_ffbh_u32_e32 v2, v5
	v_min_u32_e32 v10, 32, v2
	v_mov_b32_e32 v6, v41
	v_subrev_u32_e32 v2, 28, v10
	v_lshlrev_b64 v[2:3], v2, v[5:6]
	v_sub_u32_e32 v3, 29, v10
	v_and_b32_e32 v2, 7, v2
	v_cndmask_b32_e64 v3, v9, v3, s[4:5]
	v_cndmask_b32_e64 v2, v5, v2, s[4:5]
	v_bfrev_b32_e32 v5, 60
	v_lshlrev_b32_e32 v1, 16, v1
	v_lshl_add_u32 v3, v3, 23, v5
	v_and_or_b32 v1, v1, s54, v3
	v_lshlrev_b32_e32 v2, 20, v2
	v_or_b32_e32 v2, v1, v2
	v_mov_b32_e32 v1, v41
	buffer_store_dword v1, off, s[56:59], 0 offset:32 ; 4-byte Folded Spill
	s_nop 0
	buffer_store_dword v2, off, s[56:59], 0 offset:36 ; 4-byte Folded Spill
.LBB200_52:                             ;   in Loop: Header=BB200_13 Depth=1
	s_or_b64 exec, exec, s[44:45]
.LBB200_53:                             ;   in Loop: Header=BB200_13 Depth=1
	s_or_b64 exec, exec, s[42:43]
.LBB200_54:                             ;   in Loop: Header=BB200_13 Depth=1
	s_or_b64 exec, exec, s[40:41]
	global_load_ushort v2, v[57:58], off offset:12
	s_waitcnt vmcnt(0)
	v_and_b32_e32 v1, 0xffff, v2
	v_cmp_ne_u16_sdwa s[4:5], v2, v41 src0_sel:BYTE_0 src1_sel:DWORD
	v_mov_b32_e32 v2, 0
	v_mov_b32_e32 v3, 0
	buffer_store_dword v2, off, s[56:59], 0 offset:48 ; 4-byte Folded Spill
	s_nop 0
	buffer_store_dword v3, off, s[56:59], 0 offset:52 ; 4-byte Folded Spill
	v_mov_b32_e32 v2, 0
	v_mov_b32_e32 v3, 0
	buffer_store_dword v2, off, s[56:59], 0 offset:40 ; 4-byte Folded Spill
	s_nop 0
	buffer_store_dword v3, off, s[56:59], 0 offset:44 ; 4-byte Folded Spill
	s_and_saveexec_b64 s[40:41], s[4:5]
	s_cbranch_execz .LBB200_60
; %bb.55:                               ;   in Loop: Header=BB200_13 Depth=1
	v_bfrev_b32_e32 v2, 1
	v_mov_b32_e32 v3, 0
	v_cmp_ne_u16_sdwa s[4:5], v1, s52 src0_sel:BYTE_0 src1_sel:DWORD
	buffer_store_dword v2, off, s[56:59], 0 offset:40 ; 4-byte Folded Spill
	s_nop 0
	buffer_store_dword v3, off, s[56:59], 0 offset:44 ; 4-byte Folded Spill
	s_and_saveexec_b64 s[42:43], s[4:5]
	s_cbranch_execz .LBB200_59
; %bb.56:                               ;   in Loop: Header=BB200_13 Depth=1
	v_and_b32_e32 v2, 0x7f, v1
	v_mov_b32_e32 v5, 0x7f800001
	v_mov_b32_e32 v6, 0
	v_cmp_ne_u32_e64 s[4:5], s53, v2
	buffer_store_dword v5, off, s[56:59], 0 offset:40 ; 4-byte Folded Spill
	s_nop 0
	buffer_store_dword v6, off, s[56:59], 0 offset:44 ; 4-byte Folded Spill
	s_and_saveexec_b64 s[44:45], s[4:5]
	s_cbranch_execz .LBB200_58
; %bb.57:                               ;   in Loop: Header=BB200_13 Depth=1
	v_and_b32_e32 v5, 7, v1
	v_lshrrev_b32_e32 v6, 3, v2
	v_cmp_gt_u32_e64 s[4:5], 8, v2
	v_ffbh_u32_e32 v2, v5
	v_min_u32_e32 v9, 32, v2
	v_subrev_u32_e32 v2, 28, v9
	v_lshlrev_b64 v[2:3], v2, v[1:2]
	v_sub_u32_e32 v3, 29, v9
	v_and_b32_e32 v2, 7, v2
	v_cndmask_b32_e64 v3, v6, v3, s[4:5]
	v_cndmask_b32_e64 v2, v5, v2, s[4:5]
	v_bfrev_b32_e32 v6, 60
	v_lshlrev_b32_e32 v2, 20, v2
	v_and_b32_sdwa v5, sext(v1), s54 dst_sel:DWORD dst_unused:UNUSED_PAD src0_sel:BYTE_0 src1_sel:DWORD
	v_lshl_add_u32 v3, v3, 23, v6
	v_or3_b32 v2, v5, v3, v2
	v_mov_b32_e32 v3, v41
	buffer_store_dword v2, off, s[56:59], 0 offset:40 ; 4-byte Folded Spill
	s_nop 0
	buffer_store_dword v3, off, s[56:59], 0 offset:44 ; 4-byte Folded Spill
.LBB200_58:                             ;   in Loop: Header=BB200_13 Depth=1
	s_or_b64 exec, exec, s[44:45]
.LBB200_59:                             ;   in Loop: Header=BB200_13 Depth=1
	s_or_b64 exec, exec, s[42:43]
.LBB200_60:                             ;   in Loop: Header=BB200_13 Depth=1
	s_or_b64 exec, exec, s[40:41]
	v_cmp_ne_u16_sdwa s[4:5], v1, v41 src0_sel:BYTE_1 src1_sel:DWORD
	s_and_saveexec_b64 s[40:41], s[4:5]
	s_cbranch_execz .LBB200_66
; %bb.61:                               ;   in Loop: Header=BB200_13 Depth=1
	v_cmp_ne_u16_sdwa s[4:5], v1, s52 src0_sel:BYTE_1 src1_sel:DWORD
	buffer_store_dword v41, off, s[56:59], 0 offset:48 ; 4-byte Folded Spill
	s_nop 0
	buffer_store_dword v42, off, s[56:59], 0 offset:52 ; 4-byte Folded Spill
	s_and_saveexec_b64 s[42:43], s[4:5]
	s_cbranch_execz .LBB200_65
; %bb.62:                               ;   in Loop: Header=BB200_13 Depth=1
	v_and_b32_sdwa v2, v1, s53 dst_sel:DWORD dst_unused:UNUSED_PAD src0_sel:BYTE_1 src1_sel:DWORD
	v_cmp_ne_u32_e64 s[4:5], s53, v2
	v_mov_b32_e32 v55, v41
	buffer_store_dword v55, off, s[56:59], 0 offset:48 ; 4-byte Folded Spill
	s_nop 0
	buffer_store_dword v56, off, s[56:59], 0 offset:52 ; 4-byte Folded Spill
	s_and_saveexec_b64 s[44:45], s[4:5]
	s_cbranch_execz .LBB200_64
; %bb.63:                               ;   in Loop: Header=BB200_13 Depth=1
	v_mov_b32_e32 v3, 7
	v_and_b32_sdwa v5, v1, v3 dst_sel:DWORD dst_unused:UNUSED_PAD src0_sel:BYTE_1 src1_sel:DWORD
	v_lshrrev_b32_e32 v9, 3, v2
	v_cmp_gt_u32_e64 s[4:5], 8, v2
	v_ffbh_u32_e32 v2, v5
	v_min_u32_e32 v10, 32, v2
	v_mov_b32_e32 v6, v41
	v_subrev_u32_e32 v2, 28, v10
	v_lshlrev_b64 v[2:3], v2, v[5:6]
	v_sub_u32_e32 v3, 29, v10
	v_and_b32_e32 v2, 7, v2
	v_cndmask_b32_e64 v3, v9, v3, s[4:5]
	v_cndmask_b32_e64 v2, v5, v2, s[4:5]
	v_bfrev_b32_e32 v5, 60
	v_lshlrev_b32_e32 v1, 16, v1
	v_lshl_add_u32 v3, v3, 23, v5
	v_and_or_b32 v1, v1, s54, v3
	v_lshlrev_b32_e32 v2, 20, v2
	v_or_b32_e32 v2, v1, v2
	v_mov_b32_e32 v1, v41
	buffer_store_dword v1, off, s[56:59], 0 offset:48 ; 4-byte Folded Spill
	s_nop 0
	buffer_store_dword v2, off, s[56:59], 0 offset:52 ; 4-byte Folded Spill
.LBB200_64:                             ;   in Loop: Header=BB200_13 Depth=1
	s_or_b64 exec, exec, s[44:45]
.LBB200_65:                             ;   in Loop: Header=BB200_13 Depth=1
	s_or_b64 exec, exec, s[42:43]
.LBB200_66:                             ;   in Loop: Header=BB200_13 Depth=1
	s_or_b64 exec, exec, s[40:41]
	global_load_ushort v2, v[57:58], off offset:512
	s_waitcnt vmcnt(0)
	v_and_b32_e32 v1, 0xffff, v2
	v_cmp_ne_u16_sdwa s[4:5], v2, v41 src0_sel:BYTE_0 src1_sel:DWORD
	v_mov_b32_e32 v2, 0
	v_mov_b32_e32 v3, 0
	buffer_store_dword v2, off, s[56:59], 0 offset:64 ; 4-byte Folded Spill
	s_nop 0
	buffer_store_dword v3, off, s[56:59], 0 offset:68 ; 4-byte Folded Spill
	v_mov_b32_e32 v2, 0
	v_mov_b32_e32 v3, 0
	buffer_store_dword v2, off, s[56:59], 0 offset:56 ; 4-byte Folded Spill
	s_nop 0
	buffer_store_dword v3, off, s[56:59], 0 offset:60 ; 4-byte Folded Spill
	s_and_saveexec_b64 s[40:41], s[4:5]
	s_cbranch_execz .LBB200_72
; %bb.67:                               ;   in Loop: Header=BB200_13 Depth=1
	v_bfrev_b32_e32 v2, 1
	v_mov_b32_e32 v3, 0
	v_cmp_ne_u16_sdwa s[4:5], v1, s52 src0_sel:BYTE_0 src1_sel:DWORD
	buffer_store_dword v2, off, s[56:59], 0 offset:56 ; 4-byte Folded Spill
	s_nop 0
	buffer_store_dword v3, off, s[56:59], 0 offset:60 ; 4-byte Folded Spill
	s_and_saveexec_b64 s[42:43], s[4:5]
	s_cbranch_execz .LBB200_71
; %bb.68:                               ;   in Loop: Header=BB200_13 Depth=1
	v_and_b32_e32 v2, 0x7f, v1
	v_mov_b32_e32 v5, 0x7f800001
	v_mov_b32_e32 v6, 0
	v_cmp_ne_u32_e64 s[4:5], s53, v2
	buffer_store_dword v5, off, s[56:59], 0 offset:56 ; 4-byte Folded Spill
	s_nop 0
	buffer_store_dword v6, off, s[56:59], 0 offset:60 ; 4-byte Folded Spill
	s_and_saveexec_b64 s[44:45], s[4:5]
	s_cbranch_execz .LBB200_70
; %bb.69:                               ;   in Loop: Header=BB200_13 Depth=1
	v_and_b32_e32 v5, 7, v1
	v_lshrrev_b32_e32 v6, 3, v2
	v_cmp_gt_u32_e64 s[4:5], 8, v2
	v_ffbh_u32_e32 v2, v5
	v_min_u32_e32 v9, 32, v2
	v_subrev_u32_e32 v2, 28, v9
	v_lshlrev_b64 v[2:3], v2, v[1:2]
	v_sub_u32_e32 v3, 29, v9
	v_and_b32_e32 v2, 7, v2
	v_cndmask_b32_e64 v3, v6, v3, s[4:5]
	v_cndmask_b32_e64 v2, v5, v2, s[4:5]
	v_bfrev_b32_e32 v6, 60
	v_lshlrev_b32_e32 v2, 20, v2
	v_and_b32_sdwa v5, sext(v1), s54 dst_sel:DWORD dst_unused:UNUSED_PAD src0_sel:BYTE_0 src1_sel:DWORD
	v_lshl_add_u32 v3, v3, 23, v6
	v_or3_b32 v2, v5, v3, v2
	v_mov_b32_e32 v3, v41
	buffer_store_dword v2, off, s[56:59], 0 offset:56 ; 4-byte Folded Spill
	s_nop 0
	buffer_store_dword v3, off, s[56:59], 0 offset:60 ; 4-byte Folded Spill
.LBB200_70:                             ;   in Loop: Header=BB200_13 Depth=1
	s_or_b64 exec, exec, s[44:45]
.LBB200_71:                             ;   in Loop: Header=BB200_13 Depth=1
	s_or_b64 exec, exec, s[42:43]
.LBB200_72:                             ;   in Loop: Header=BB200_13 Depth=1
	s_or_b64 exec, exec, s[40:41]
	v_cmp_ne_u16_sdwa s[4:5], v1, v41 src0_sel:BYTE_1 src1_sel:DWORD
	s_and_saveexec_b64 s[40:41], s[4:5]
	s_cbranch_execz .LBB200_78
; %bb.73:                               ;   in Loop: Header=BB200_13 Depth=1
	v_cmp_ne_u16_sdwa s[4:5], v1, s52 src0_sel:BYTE_1 src1_sel:DWORD
	buffer_store_dword v41, off, s[56:59], 0 offset:64 ; 4-byte Folded Spill
	s_nop 0
	buffer_store_dword v42, off, s[56:59], 0 offset:68 ; 4-byte Folded Spill
	s_and_saveexec_b64 s[42:43], s[4:5]
	s_cbranch_execz .LBB200_77
; %bb.74:                               ;   in Loop: Header=BB200_13 Depth=1
	v_and_b32_sdwa v2, v1, s53 dst_sel:DWORD dst_unused:UNUSED_PAD src0_sel:BYTE_1 src1_sel:DWORD
	v_cmp_ne_u32_e64 s[4:5], s53, v2
	v_mov_b32_e32 v55, v41
	buffer_store_dword v55, off, s[56:59], 0 offset:64 ; 4-byte Folded Spill
	s_nop 0
	buffer_store_dword v56, off, s[56:59], 0 offset:68 ; 4-byte Folded Spill
	s_and_saveexec_b64 s[44:45], s[4:5]
	s_cbranch_execz .LBB200_76
; %bb.75:                               ;   in Loop: Header=BB200_13 Depth=1
	v_mov_b32_e32 v3, 7
	v_and_b32_sdwa v5, v1, v3 dst_sel:DWORD dst_unused:UNUSED_PAD src0_sel:BYTE_1 src1_sel:DWORD
	v_lshrrev_b32_e32 v9, 3, v2
	v_cmp_gt_u32_e64 s[4:5], 8, v2
	v_ffbh_u32_e32 v2, v5
	v_min_u32_e32 v10, 32, v2
	v_mov_b32_e32 v6, v41
	v_subrev_u32_e32 v2, 28, v10
	v_lshlrev_b64 v[2:3], v2, v[5:6]
	v_sub_u32_e32 v3, 29, v10
	v_and_b32_e32 v2, 7, v2
	v_cndmask_b32_e64 v3, v9, v3, s[4:5]
	v_cndmask_b32_e64 v2, v5, v2, s[4:5]
	v_bfrev_b32_e32 v5, 60
	v_lshlrev_b32_e32 v1, 16, v1
	v_lshl_add_u32 v3, v3, 23, v5
	v_and_or_b32 v1, v1, s54, v3
	v_lshlrev_b32_e32 v2, 20, v2
	v_or_b32_e32 v2, v1, v2
	v_mov_b32_e32 v1, v41
	buffer_store_dword v1, off, s[56:59], 0 offset:64 ; 4-byte Folded Spill
	s_nop 0
	buffer_store_dword v2, off, s[56:59], 0 offset:68 ; 4-byte Folded Spill
.LBB200_76:                             ;   in Loop: Header=BB200_13 Depth=1
	s_or_b64 exec, exec, s[44:45]
.LBB200_77:                             ;   in Loop: Header=BB200_13 Depth=1
	s_or_b64 exec, exec, s[42:43]
.LBB200_78:                             ;   in Loop: Header=BB200_13 Depth=1
	s_or_b64 exec, exec, s[40:41]
	global_load_ushort v2, v[57:58], off offset:516
	s_waitcnt vmcnt(0)
	v_and_b32_e32 v1, 0xffff, v2
	v_cmp_ne_u16_sdwa s[4:5], v2, v41 src0_sel:BYTE_0 src1_sel:DWORD
	v_mov_b32_e32 v2, 0
	v_mov_b32_e32 v3, 0
	buffer_store_dword v2, off, s[56:59], 0 offset:80 ; 4-byte Folded Spill
	s_nop 0
	buffer_store_dword v3, off, s[56:59], 0 offset:84 ; 4-byte Folded Spill
	v_mov_b32_e32 v2, 0
	v_mov_b32_e32 v3, 0
	buffer_store_dword v2, off, s[56:59], 0 offset:72 ; 4-byte Folded Spill
	s_nop 0
	buffer_store_dword v3, off, s[56:59], 0 offset:76 ; 4-byte Folded Spill
	s_and_saveexec_b64 s[40:41], s[4:5]
	s_cbranch_execz .LBB200_84
; %bb.79:                               ;   in Loop: Header=BB200_13 Depth=1
	v_bfrev_b32_e32 v2, 1
	v_mov_b32_e32 v3, 0
	v_cmp_ne_u16_sdwa s[4:5], v1, s52 src0_sel:BYTE_0 src1_sel:DWORD
	buffer_store_dword v2, off, s[56:59], 0 offset:72 ; 4-byte Folded Spill
	s_nop 0
	buffer_store_dword v3, off, s[56:59], 0 offset:76 ; 4-byte Folded Spill
	s_and_saveexec_b64 s[42:43], s[4:5]
	s_cbranch_execz .LBB200_83
; %bb.80:                               ;   in Loop: Header=BB200_13 Depth=1
	v_and_b32_e32 v2, 0x7f, v1
	v_mov_b32_e32 v5, 0x7f800001
	v_mov_b32_e32 v6, 0
	v_cmp_ne_u32_e64 s[4:5], s53, v2
	buffer_store_dword v5, off, s[56:59], 0 offset:72 ; 4-byte Folded Spill
	s_nop 0
	buffer_store_dword v6, off, s[56:59], 0 offset:76 ; 4-byte Folded Spill
	s_and_saveexec_b64 s[44:45], s[4:5]
	s_cbranch_execz .LBB200_82
; %bb.81:                               ;   in Loop: Header=BB200_13 Depth=1
	v_and_b32_e32 v5, 7, v1
	v_lshrrev_b32_e32 v6, 3, v2
	v_cmp_gt_u32_e64 s[4:5], 8, v2
	v_ffbh_u32_e32 v2, v5
	v_min_u32_e32 v9, 32, v2
	v_subrev_u32_e32 v2, 28, v9
	v_lshlrev_b64 v[2:3], v2, v[1:2]
	v_sub_u32_e32 v3, 29, v9
	v_and_b32_e32 v2, 7, v2
	v_cndmask_b32_e64 v3, v6, v3, s[4:5]
	v_cndmask_b32_e64 v2, v5, v2, s[4:5]
	v_bfrev_b32_e32 v6, 60
	v_lshlrev_b32_e32 v2, 20, v2
	v_and_b32_sdwa v5, sext(v1), s54 dst_sel:DWORD dst_unused:UNUSED_PAD src0_sel:BYTE_0 src1_sel:DWORD
	v_lshl_add_u32 v3, v3, 23, v6
	v_or3_b32 v2, v5, v3, v2
	v_mov_b32_e32 v3, v41
	buffer_store_dword v2, off, s[56:59], 0 offset:72 ; 4-byte Folded Spill
	s_nop 0
	buffer_store_dword v3, off, s[56:59], 0 offset:76 ; 4-byte Folded Spill
.LBB200_82:                             ;   in Loop: Header=BB200_13 Depth=1
	s_or_b64 exec, exec, s[44:45]
.LBB200_83:                             ;   in Loop: Header=BB200_13 Depth=1
	s_or_b64 exec, exec, s[42:43]
.LBB200_84:                             ;   in Loop: Header=BB200_13 Depth=1
	s_or_b64 exec, exec, s[40:41]
	v_cmp_ne_u16_sdwa s[4:5], v1, v41 src0_sel:BYTE_1 src1_sel:DWORD
	s_and_saveexec_b64 s[40:41], s[4:5]
	s_cbranch_execz .LBB200_90
; %bb.85:                               ;   in Loop: Header=BB200_13 Depth=1
	v_cmp_ne_u16_sdwa s[4:5], v1, s52 src0_sel:BYTE_1 src1_sel:DWORD
	buffer_store_dword v41, off, s[56:59], 0 offset:80 ; 4-byte Folded Spill
	s_nop 0
	buffer_store_dword v42, off, s[56:59], 0 offset:84 ; 4-byte Folded Spill
	s_and_saveexec_b64 s[42:43], s[4:5]
	s_cbranch_execz .LBB200_89
; %bb.86:                               ;   in Loop: Header=BB200_13 Depth=1
	v_and_b32_sdwa v2, v1, s53 dst_sel:DWORD dst_unused:UNUSED_PAD src0_sel:BYTE_1 src1_sel:DWORD
	v_cmp_ne_u32_e64 s[4:5], s53, v2
	v_mov_b32_e32 v55, v41
	buffer_store_dword v55, off, s[56:59], 0 offset:80 ; 4-byte Folded Spill
	s_nop 0
	buffer_store_dword v56, off, s[56:59], 0 offset:84 ; 4-byte Folded Spill
	s_and_saveexec_b64 s[44:45], s[4:5]
	s_cbranch_execz .LBB200_88
; %bb.87:                               ;   in Loop: Header=BB200_13 Depth=1
	v_mov_b32_e32 v3, 7
	v_and_b32_sdwa v5, v1, v3 dst_sel:DWORD dst_unused:UNUSED_PAD src0_sel:BYTE_1 src1_sel:DWORD
	v_lshrrev_b32_e32 v9, 3, v2
	v_cmp_gt_u32_e64 s[4:5], 8, v2
	v_ffbh_u32_e32 v2, v5
	v_min_u32_e32 v10, 32, v2
	v_mov_b32_e32 v6, v41
	v_subrev_u32_e32 v2, 28, v10
	v_lshlrev_b64 v[2:3], v2, v[5:6]
	v_sub_u32_e32 v3, 29, v10
	v_and_b32_e32 v2, 7, v2
	v_cndmask_b32_e64 v3, v9, v3, s[4:5]
	v_cndmask_b32_e64 v2, v5, v2, s[4:5]
	v_bfrev_b32_e32 v5, 60
	v_lshlrev_b32_e32 v1, 16, v1
	v_lshl_add_u32 v3, v3, 23, v5
	v_and_or_b32 v1, v1, s54, v3
	v_lshlrev_b32_e32 v2, 20, v2
	v_or_b32_e32 v2, v1, v2
	v_mov_b32_e32 v1, v41
	buffer_store_dword v1, off, s[56:59], 0 offset:80 ; 4-byte Folded Spill
	s_nop 0
	buffer_store_dword v2, off, s[56:59], 0 offset:84 ; 4-byte Folded Spill
.LBB200_88:                             ;   in Loop: Header=BB200_13 Depth=1
	s_or_b64 exec, exec, s[44:45]
.LBB200_89:                             ;   in Loop: Header=BB200_13 Depth=1
	s_or_b64 exec, exec, s[42:43]
.LBB200_90:                             ;   in Loop: Header=BB200_13 Depth=1
	s_or_b64 exec, exec, s[40:41]
	global_load_ushort v2, v[57:58], off offset:520
	s_waitcnt vmcnt(0)
	v_and_b32_e32 v1, 0xffff, v2
	v_cmp_ne_u16_sdwa s[4:5], v2, v41 src0_sel:BYTE_0 src1_sel:DWORD
	v_mov_b32_e32 v2, 0
	v_mov_b32_e32 v3, 0
	buffer_store_dword v2, off, s[56:59], 0 offset:96 ; 4-byte Folded Spill
	s_nop 0
	buffer_store_dword v3, off, s[56:59], 0 offset:100 ; 4-byte Folded Spill
	v_mov_b32_e32 v2, 0
	v_mov_b32_e32 v3, 0
	buffer_store_dword v2, off, s[56:59], 0 offset:88 ; 4-byte Folded Spill
	s_nop 0
	buffer_store_dword v3, off, s[56:59], 0 offset:92 ; 4-byte Folded Spill
	s_and_saveexec_b64 s[40:41], s[4:5]
	s_cbranch_execz .LBB200_96
; %bb.91:                               ;   in Loop: Header=BB200_13 Depth=1
	v_bfrev_b32_e32 v2, 1
	v_mov_b32_e32 v3, 0
	v_cmp_ne_u16_sdwa s[4:5], v1, s52 src0_sel:BYTE_0 src1_sel:DWORD
	buffer_store_dword v2, off, s[56:59], 0 offset:88 ; 4-byte Folded Spill
	s_nop 0
	buffer_store_dword v3, off, s[56:59], 0 offset:92 ; 4-byte Folded Spill
	s_and_saveexec_b64 s[42:43], s[4:5]
	s_cbranch_execz .LBB200_95
; %bb.92:                               ;   in Loop: Header=BB200_13 Depth=1
	v_and_b32_e32 v2, 0x7f, v1
	v_mov_b32_e32 v5, 0x7f800001
	v_mov_b32_e32 v6, 0
	v_cmp_ne_u32_e64 s[4:5], s53, v2
	buffer_store_dword v5, off, s[56:59], 0 offset:88 ; 4-byte Folded Spill
	s_nop 0
	buffer_store_dword v6, off, s[56:59], 0 offset:92 ; 4-byte Folded Spill
	s_and_saveexec_b64 s[44:45], s[4:5]
	s_cbranch_execz .LBB200_94
; %bb.93:                               ;   in Loop: Header=BB200_13 Depth=1
	v_and_b32_e32 v5, 7, v1
	v_lshrrev_b32_e32 v6, 3, v2
	v_cmp_gt_u32_e64 s[4:5], 8, v2
	v_ffbh_u32_e32 v2, v5
	v_min_u32_e32 v9, 32, v2
	v_subrev_u32_e32 v2, 28, v9
	v_lshlrev_b64 v[2:3], v2, v[1:2]
	v_sub_u32_e32 v3, 29, v9
	v_and_b32_e32 v2, 7, v2
	v_cndmask_b32_e64 v3, v6, v3, s[4:5]
	v_cndmask_b32_e64 v2, v5, v2, s[4:5]
	v_bfrev_b32_e32 v6, 60
	v_lshlrev_b32_e32 v2, 20, v2
	v_and_b32_sdwa v5, sext(v1), s54 dst_sel:DWORD dst_unused:UNUSED_PAD src0_sel:BYTE_0 src1_sel:DWORD
	v_lshl_add_u32 v3, v3, 23, v6
	v_or3_b32 v2, v5, v3, v2
	v_mov_b32_e32 v3, v41
	buffer_store_dword v2, off, s[56:59], 0 offset:88 ; 4-byte Folded Spill
	s_nop 0
	buffer_store_dword v3, off, s[56:59], 0 offset:92 ; 4-byte Folded Spill
.LBB200_94:                             ;   in Loop: Header=BB200_13 Depth=1
	s_or_b64 exec, exec, s[44:45]
.LBB200_95:                             ;   in Loop: Header=BB200_13 Depth=1
	s_or_b64 exec, exec, s[42:43]
.LBB200_96:                             ;   in Loop: Header=BB200_13 Depth=1
	s_or_b64 exec, exec, s[40:41]
	v_cmp_ne_u16_sdwa s[4:5], v1, v41 src0_sel:BYTE_1 src1_sel:DWORD
	s_and_saveexec_b64 s[40:41], s[4:5]
	s_cbranch_execz .LBB200_102
; %bb.97:                               ;   in Loop: Header=BB200_13 Depth=1
	v_cmp_ne_u16_sdwa s[4:5], v1, s52 src0_sel:BYTE_1 src1_sel:DWORD
	buffer_store_dword v41, off, s[56:59], 0 offset:96 ; 4-byte Folded Spill
	s_nop 0
	buffer_store_dword v42, off, s[56:59], 0 offset:100 ; 4-byte Folded Spill
	s_and_saveexec_b64 s[42:43], s[4:5]
	s_cbranch_execz .LBB200_101
; %bb.98:                               ;   in Loop: Header=BB200_13 Depth=1
	v_and_b32_sdwa v2, v1, s53 dst_sel:DWORD dst_unused:UNUSED_PAD src0_sel:BYTE_1 src1_sel:DWORD
	v_cmp_ne_u32_e64 s[4:5], s53, v2
	v_mov_b32_e32 v55, v41
	buffer_store_dword v55, off, s[56:59], 0 offset:96 ; 4-byte Folded Spill
	s_nop 0
	buffer_store_dword v56, off, s[56:59], 0 offset:100 ; 4-byte Folded Spill
	s_and_saveexec_b64 s[44:45], s[4:5]
	s_cbranch_execz .LBB200_100
; %bb.99:                               ;   in Loop: Header=BB200_13 Depth=1
	v_mov_b32_e32 v3, 7
	v_and_b32_sdwa v5, v1, v3 dst_sel:DWORD dst_unused:UNUSED_PAD src0_sel:BYTE_1 src1_sel:DWORD
	v_lshrrev_b32_e32 v9, 3, v2
	v_cmp_gt_u32_e64 s[4:5], 8, v2
	v_ffbh_u32_e32 v2, v5
	v_min_u32_e32 v10, 32, v2
	v_mov_b32_e32 v6, v41
	v_subrev_u32_e32 v2, 28, v10
	v_lshlrev_b64 v[2:3], v2, v[5:6]
	v_sub_u32_e32 v3, 29, v10
	v_and_b32_e32 v2, 7, v2
	v_cndmask_b32_e64 v3, v9, v3, s[4:5]
	v_cndmask_b32_e64 v2, v5, v2, s[4:5]
	v_bfrev_b32_e32 v5, 60
	v_lshlrev_b32_e32 v1, 16, v1
	v_lshl_add_u32 v3, v3, 23, v5
	v_and_or_b32 v1, v1, s54, v3
	v_lshlrev_b32_e32 v2, 20, v2
	v_or_b32_e32 v2, v1, v2
	v_mov_b32_e32 v1, v41
	buffer_store_dword v1, off, s[56:59], 0 offset:96 ; 4-byte Folded Spill
	s_nop 0
	buffer_store_dword v2, off, s[56:59], 0 offset:100 ; 4-byte Folded Spill
.LBB200_100:                            ;   in Loop: Header=BB200_13 Depth=1
	s_or_b64 exec, exec, s[44:45]
.LBB200_101:                            ;   in Loop: Header=BB200_13 Depth=1
	s_or_b64 exec, exec, s[42:43]
.LBB200_102:                            ;   in Loop: Header=BB200_13 Depth=1
	s_or_b64 exec, exec, s[40:41]
	global_load_ushort v2, v[57:58], off offset:524
	s_waitcnt vmcnt(0)
	v_and_b32_e32 v1, 0xffff, v2
	v_cmp_ne_u16_sdwa s[4:5], v2, v41 src0_sel:BYTE_0 src1_sel:DWORD
	v_mov_b32_e32 v2, 0
	v_mov_b32_e32 v3, 0
	buffer_store_dword v2, off, s[56:59], 0 offset:104 ; 4-byte Folded Spill
	s_nop 0
	buffer_store_dword v3, off, s[56:59], 0 offset:108 ; 4-byte Folded Spill
	v_mov_b32_e32 v2, 0
	v_mov_b32_e32 v3, 0
	s_and_saveexec_b64 s[40:41], s[4:5]
	s_cbranch_execz .LBB200_108
; %bb.103:                              ;   in Loop: Header=BB200_13 Depth=1
	v_bfrev_b32_e32 v2, 1
	v_mov_b32_e32 v3, 0
	v_cmp_ne_u16_sdwa s[4:5], v1, s52 src0_sel:BYTE_0 src1_sel:DWORD
	s_and_saveexec_b64 s[42:43], s[4:5]
	s_cbranch_execz .LBB200_107
; %bb.104:                              ;   in Loop: Header=BB200_13 Depth=1
	v_and_b32_e32 v5, 0x7f, v1
	v_mov_b32_e32 v2, 0x7f800001
	v_mov_b32_e32 v3, 0
	v_cmp_ne_u32_e64 s[4:5], s53, v5
	s_and_saveexec_b64 s[44:45], s[4:5]
	s_cbranch_execz .LBB200_106
; %bb.105:                              ;   in Loop: Header=BB200_13 Depth=1
	v_and_b32_e32 v9, 7, v1
	v_lshrrev_b32_e32 v10, 3, v5
	v_cmp_gt_u32_e64 s[4:5], 8, v5
	v_ffbh_u32_e32 v5, v9
	v_mov_b32_e32 v2, v11
	v_mov_b32_e32 v3, v12
	v_min_u32_e32 v11, 32, v5
	v_subrev_u32_e32 v5, 28, v11
	v_lshlrev_b64 v[5:6], v5, v[1:2]
	v_sub_u32_e32 v6, 29, v11
	v_mov_b32_e32 v12, v3
	v_and_b32_e32 v5, 7, v5
	v_mov_b32_e32 v11, v2
	v_cndmask_b32_e64 v6, v10, v6, s[4:5]
	v_cndmask_b32_e64 v5, v9, v5, s[4:5]
	v_bfrev_b32_e32 v2, 60
	v_lshlrev_b32_e32 v5, 20, v5
	v_and_b32_sdwa v9, sext(v1), s54 dst_sel:DWORD dst_unused:UNUSED_PAD src0_sel:BYTE_0 src1_sel:DWORD
	v_lshl_add_u32 v6, v6, 23, v2
	v_or3_b32 v2, v9, v6, v5
	v_mov_b32_e32 v3, v41
.LBB200_106:                            ;   in Loop: Header=BB200_13 Depth=1
	s_or_b64 exec, exec, s[44:45]
.LBB200_107:                            ;   in Loop: Header=BB200_13 Depth=1
	s_or_b64 exec, exec, s[42:43]
.LBB200_108:                            ;   in Loop: Header=BB200_13 Depth=1
	s_or_b64 exec, exec, s[40:41]
	v_cmp_ne_u16_sdwa s[4:5], v1, v41 src0_sel:BYTE_1 src1_sel:DWORD
	buffer_store_dword v2, off, s[56:59], 0 offset:292 ; 4-byte Folded Spill
	s_nop 0
	buffer_store_dword v3, off, s[56:59], 0 offset:296 ; 4-byte Folded Spill
	s_and_saveexec_b64 s[40:41], s[4:5]
	s_cbranch_execz .LBB200_114
; %bb.109:                              ;   in Loop: Header=BB200_13 Depth=1
	v_cmp_ne_u16_sdwa s[4:5], v1, s52 src0_sel:BYTE_1 src1_sel:DWORD
	buffer_store_dword v41, off, s[56:59], 0 offset:104 ; 4-byte Folded Spill
	s_nop 0
	buffer_store_dword v42, off, s[56:59], 0 offset:108 ; 4-byte Folded Spill
	s_and_saveexec_b64 s[42:43], s[4:5]
	s_cbranch_execz .LBB200_113
; %bb.110:                              ;   in Loop: Header=BB200_13 Depth=1
	v_and_b32_sdwa v9, v1, s53 dst_sel:DWORD dst_unused:UNUSED_PAD src0_sel:BYTE_1 src1_sel:DWORD
	v_cmp_ne_u32_e64 s[4:5], s53, v9
	v_mov_b32_e32 v55, v41
	buffer_store_dword v55, off, s[56:59], 0 offset:104 ; 4-byte Folded Spill
	s_nop 0
	buffer_store_dword v56, off, s[56:59], 0 offset:108 ; 4-byte Folded Spill
	s_and_saveexec_b64 s[44:45], s[4:5]
	s_cbranch_execz .LBB200_112
; %bb.111:                              ;   in Loop: Header=BB200_13 Depth=1
	v_mov_b32_e32 v2, 7
	v_and_b32_sdwa v2, v1, v2 dst_sel:DWORD dst_unused:UNUSED_PAD src0_sel:BYTE_1 src1_sel:DWORD
	v_ffbh_u32_e32 v5, v2
	v_lshrrev_b32_e32 v10, 3, v9
	v_cmp_gt_u32_e64 s[4:5], 8, v9
	v_min_u32_e32 v9, 32, v5
	v_mov_b32_e32 v3, v41
	v_subrev_u32_e32 v5, 28, v9
	v_lshlrev_b64 v[5:6], v5, v[2:3]
	v_sub_u32_e32 v3, 29, v9
	v_and_b32_e32 v5, 7, v5
	v_cndmask_b32_e64 v3, v10, v3, s[4:5]
	v_cndmask_b32_e64 v2, v2, v5, s[4:5]
	v_bfrev_b32_e32 v5, 60
	v_lshlrev_b32_e32 v1, 16, v1
	v_lshl_add_u32 v3, v3, 23, v5
	v_and_or_b32 v1, v1, s54, v3
	v_lshlrev_b32_e32 v2, 20, v2
	v_or_b32_e32 v2, v1, v2
	v_mov_b32_e32 v1, v41
	buffer_store_dword v1, off, s[56:59], 0 offset:104 ; 4-byte Folded Spill
	s_nop 0
	buffer_store_dword v2, off, s[56:59], 0 offset:108 ; 4-byte Folded Spill
.LBB200_112:                            ;   in Loop: Header=BB200_13 Depth=1
	s_or_b64 exec, exec, s[44:45]
.LBB200_113:                            ;   in Loop: Header=BB200_13 Depth=1
	s_or_b64 exec, exec, s[42:43]
.LBB200_114:                            ;   in Loop: Header=BB200_13 Depth=1
	s_or_b64 exec, exec, s[40:41]
	global_load_ushort v5, v[57:58], off offset:1024
	v_mov_b32_e32 v2, 0
	v_mov_b32_e32 v9, 0
	;; [unrolled: 1-line block ×4, first 2 shown]
	buffer_store_dword v2, off, s[56:59], 0 offset:112 ; 4-byte Folded Spill
	s_nop 0
	buffer_store_dword v3, off, s[56:59], 0 offset:116 ; 4-byte Folded Spill
	s_waitcnt vmcnt(2)
	v_and_b32_e32 v1, 0xffff, v5
	v_cmp_ne_u16_sdwa s[4:5], v5, v41 src0_sel:BYTE_0 src1_sel:DWORD
	s_and_saveexec_b64 s[40:41], s[4:5]
	s_cbranch_execz .LBB200_120
; %bb.115:                              ;   in Loop: Header=BB200_13 Depth=1
	v_bfrev_b32_e32 v9, 1
	v_mov_b32_e32 v10, 0
	v_cmp_ne_u16_sdwa s[4:5], v1, s52 src0_sel:BYTE_0 src1_sel:DWORD
	s_and_saveexec_b64 s[42:43], s[4:5]
	s_cbranch_execz .LBB200_119
; %bb.116:                              ;   in Loop: Header=BB200_13 Depth=1
	v_and_b32_e32 v5, 0x7f, v1
	v_mov_b32_e32 v9, 0x7f800001
	v_mov_b32_e32 v10, 0
	v_cmp_ne_u32_e64 s[4:5], s53, v5
	s_and_saveexec_b64 s[44:45], s[4:5]
	s_cbranch_execz .LBB200_118
; %bb.117:                              ;   in Loop: Header=BB200_13 Depth=1
	v_and_b32_e32 v9, 7, v1
	v_lshrrev_b32_e32 v10, 3, v5
	v_cmp_gt_u32_e64 s[4:5], 8, v5
	v_ffbh_u32_e32 v5, v9
	v_min_u32_e32 v13, 32, v5
	v_subrev_u32_e32 v5, 28, v13
	v_lshlrev_b64 v[5:6], v5, v[1:2]
	v_sub_u32_e32 v6, 29, v13
	v_and_b32_e32 v5, 7, v5
	v_cndmask_b32_e64 v6, v10, v6, s[4:5]
	v_cndmask_b32_e64 v5, v9, v5, s[4:5]
	v_bfrev_b32_e32 v2, 60
	v_lshlrev_b32_e32 v5, 20, v5
	v_and_b32_sdwa v9, sext(v1), s54 dst_sel:DWORD dst_unused:UNUSED_PAD src0_sel:BYTE_0 src1_sel:DWORD
	v_lshl_add_u32 v6, v6, 23, v2
	v_or3_b32 v9, v9, v6, v5
	v_mov_b32_e32 v10, v41
.LBB200_118:                            ;   in Loop: Header=BB200_13 Depth=1
	s_or_b64 exec, exec, s[44:45]
.LBB200_119:                            ;   in Loop: Header=BB200_13 Depth=1
	s_or_b64 exec, exec, s[42:43]
.LBB200_120:                            ;   in Loop: Header=BB200_13 Depth=1
	s_or_b64 exec, exec, s[40:41]
	v_cmp_ne_u16_sdwa s[4:5], v1, v41 src0_sel:BYTE_1 src1_sel:DWORD
	s_and_saveexec_b64 s[40:41], s[4:5]
	s_cbranch_execz .LBB200_126
; %bb.121:                              ;   in Loop: Header=BB200_13 Depth=1
	v_cmp_ne_u16_sdwa s[4:5], v1, s52 src0_sel:BYTE_1 src1_sel:DWORD
	buffer_store_dword v41, off, s[56:59], 0 offset:112 ; 4-byte Folded Spill
	s_nop 0
	buffer_store_dword v42, off, s[56:59], 0 offset:116 ; 4-byte Folded Spill
	s_and_saveexec_b64 s[42:43], s[4:5]
	s_cbranch_execz .LBB200_125
; %bb.122:                              ;   in Loop: Header=BB200_13 Depth=1
	v_and_b32_sdwa v13, v1, s53 dst_sel:DWORD dst_unused:UNUSED_PAD src0_sel:BYTE_1 src1_sel:DWORD
	v_cmp_ne_u32_e64 s[4:5], s53, v13
	v_mov_b32_e32 v55, v41
	buffer_store_dword v55, off, s[56:59], 0 offset:112 ; 4-byte Folded Spill
	s_nop 0
	buffer_store_dword v56, off, s[56:59], 0 offset:116 ; 4-byte Folded Spill
	s_and_saveexec_b64 s[44:45], s[4:5]
	s_cbranch_execz .LBB200_124
; %bb.123:                              ;   in Loop: Header=BB200_13 Depth=1
	v_mov_b32_e32 v2, 7
	v_and_b32_sdwa v5, v1, v2 dst_sel:DWORD dst_unused:UNUSED_PAD src0_sel:BYTE_1 src1_sel:DWORD
	v_mov_b32_e32 v2, v11
	v_mov_b32_e32 v3, v12
	v_ffbh_u32_e32 v11, v5
	v_lshrrev_b32_e32 v14, 3, v13
	v_cmp_gt_u32_e64 s[4:5], 8, v13
	v_min_u32_e32 v13, 32, v11
	v_mov_b32_e32 v6, v41
	v_subrev_u32_e32 v11, 28, v13
	v_lshlrev_b64 v[11:12], v11, v[5:6]
	v_sub_u32_e32 v6, 29, v13
	v_and_b32_e32 v11, 7, v11
	v_cndmask_b32_e64 v5, v5, v11, s[4:5]
	v_mov_b32_e32 v12, v3
	v_cndmask_b32_e64 v6, v14, v6, s[4:5]
	v_mov_b32_e32 v11, v2
	v_bfrev_b32_e32 v2, 60
	v_lshlrev_b32_e32 v1, 16, v1
	v_lshl_add_u32 v6, v6, 23, v2
	v_and_or_b32 v1, v1, s54, v6
	v_lshlrev_b32_e32 v5, 20, v5
	v_or_b32_e32 v2, v1, v5
	v_mov_b32_e32 v1, v41
	buffer_store_dword v1, off, s[56:59], 0 offset:112 ; 4-byte Folded Spill
	s_nop 0
	buffer_store_dword v2, off, s[56:59], 0 offset:116 ; 4-byte Folded Spill
.LBB200_124:                            ;   in Loop: Header=BB200_13 Depth=1
	s_or_b64 exec, exec, s[44:45]
.LBB200_125:                            ;   in Loop: Header=BB200_13 Depth=1
	s_or_b64 exec, exec, s[42:43]
.LBB200_126:                            ;   in Loop: Header=BB200_13 Depth=1
	s_or_b64 exec, exec, s[40:41]
	global_load_ushort v5, v[57:58], off offset:1028
	v_mov_b32_e32 v15, 0
	v_mov_b32_e32 v2, 0
	;; [unrolled: 1-line block ×4, first 2 shown]
	buffer_store_dword v2, off, s[56:59], 0 offset:120 ; 4-byte Folded Spill
	s_nop 0
	buffer_store_dword v3, off, s[56:59], 0 offset:124 ; 4-byte Folded Spill
	s_waitcnt vmcnt(2)
	v_and_b32_e32 v1, 0xffff, v5
	v_cmp_ne_u16_sdwa s[4:5], v5, v41 src0_sel:BYTE_0 src1_sel:DWORD
	s_and_saveexec_b64 s[40:41], s[4:5]
	s_cbranch_execz .LBB200_132
; %bb.127:                              ;   in Loop: Header=BB200_13 Depth=1
	v_bfrev_b32_e32 v2, 1
	v_mov_b32_e32 v3, 0
	v_cmp_ne_u16_sdwa s[4:5], v1, s52 src0_sel:BYTE_0 src1_sel:DWORD
	buffer_store_dword v2, off, s[56:59], 0 offset:120 ; 4-byte Folded Spill
	s_nop 0
	buffer_store_dword v3, off, s[56:59], 0 offset:124 ; 4-byte Folded Spill
	s_and_saveexec_b64 s[42:43], s[4:5]
	s_cbranch_execz .LBB200_131
; %bb.128:                              ;   in Loop: Header=BB200_13 Depth=1
	v_and_b32_e32 v5, 0x7f, v1
	v_mov_b32_e32 v2, 0x7f800001
	v_mov_b32_e32 v3, 0
	v_cmp_ne_u32_e64 s[4:5], s53, v5
	buffer_store_dword v2, off, s[56:59], 0 offset:120 ; 4-byte Folded Spill
	s_nop 0
	buffer_store_dword v3, off, s[56:59], 0 offset:124 ; 4-byte Folded Spill
	s_and_saveexec_b64 s[44:45], s[4:5]
	s_cbranch_execz .LBB200_130
; %bb.129:                              ;   in Loop: Header=BB200_13 Depth=1
	v_and_b32_e32 v13, 7, v1
	v_lshrrev_b32_e32 v14, 3, v5
	v_cmp_gt_u32_e64 s[4:5], 8, v5
	v_ffbh_u32_e32 v5, v13
	v_min_u32_e32 v17, 32, v5
	v_subrev_u32_e32 v5, 28, v17
	v_lshlrev_b64 v[5:6], v5, v[1:2]
	v_sub_u32_e32 v6, 29, v17
	v_and_b32_e32 v5, 7, v5
	v_cndmask_b32_e64 v6, v14, v6, s[4:5]
	v_cndmask_b32_e64 v5, v13, v5, s[4:5]
	v_bfrev_b32_e32 v2, 60
	v_lshlrev_b32_e32 v5, 20, v5
	v_and_b32_sdwa v13, sext(v1), s54 dst_sel:DWORD dst_unused:UNUSED_PAD src0_sel:BYTE_0 src1_sel:DWORD
	v_lshl_add_u32 v6, v6, 23, v2
	v_or3_b32 v2, v13, v6, v5
	v_mov_b32_e32 v3, v41
	buffer_store_dword v2, off, s[56:59], 0 offset:120 ; 4-byte Folded Spill
	s_nop 0
	buffer_store_dword v3, off, s[56:59], 0 offset:124 ; 4-byte Folded Spill
.LBB200_130:                            ;   in Loop: Header=BB200_13 Depth=1
	s_or_b64 exec, exec, s[44:45]
.LBB200_131:                            ;   in Loop: Header=BB200_13 Depth=1
	s_or_b64 exec, exec, s[42:43]
.LBB200_132:                            ;   in Loop: Header=BB200_13 Depth=1
	s_or_b64 exec, exec, s[40:41]
	v_cmp_ne_u16_sdwa s[4:5], v1, v41 src0_sel:BYTE_1 src1_sel:DWORD
	s_and_saveexec_b64 s[40:41], s[4:5]
	s_cbranch_execz .LBB200_138
; %bb.133:                              ;   in Loop: Header=BB200_13 Depth=1
	v_mov_b32_e32 v15, v41
	v_cmp_ne_u16_sdwa s[4:5], v1, s52 src0_sel:BYTE_1 src1_sel:DWORD
	v_mov_b32_e32 v16, v42
	s_and_saveexec_b64 s[42:43], s[4:5]
	s_cbranch_execz .LBB200_137
; %bb.134:                              ;   in Loop: Header=BB200_13 Depth=1
	v_mov_b32_e32 v55, v41
	v_and_b32_sdwa v17, v1, s53 dst_sel:DWORD dst_unused:UNUSED_PAD src0_sel:BYTE_1 src1_sel:DWORD
	v_mov_b32_e32 v15, v55
	v_cmp_ne_u32_e64 s[4:5], s53, v17
	v_mov_b32_e32 v16, v56
	s_and_saveexec_b64 s[44:45], s[4:5]
	s_cbranch_execz .LBB200_136
; %bb.135:                              ;   in Loop: Header=BB200_13 Depth=1
	v_mov_b32_e32 v2, 7
	v_and_b32_sdwa v5, v1, v2 dst_sel:DWORD dst_unused:UNUSED_PAD src0_sel:BYTE_1 src1_sel:DWORD
	v_ffbh_u32_e32 v15, v5
	v_lshrrev_b32_e32 v18, 3, v17
	v_cmp_gt_u32_e64 s[4:5], 8, v17
	v_min_u32_e32 v17, 32, v15
	v_mov_b32_e32 v6, v41
	v_subrev_u32_e32 v15, 28, v17
	v_lshlrev_b64 v[15:16], v15, v[5:6]
	v_sub_u32_e32 v6, 29, v17
	v_and_b32_e32 v15, 7, v15
	v_cndmask_b32_e64 v6, v18, v6, s[4:5]
	v_bfrev_b32_e32 v2, 60
	v_cndmask_b32_e64 v5, v5, v15, s[4:5]
	v_lshlrev_b32_e32 v1, 16, v1
	v_lshl_add_u32 v6, v6, 23, v2
	v_and_or_b32 v1, v1, s54, v6
	v_lshlrev_b32_e32 v5, 20, v5
	v_or_b32_e32 v16, v1, v5
	v_mov_b32_e32 v15, v41
.LBB200_136:                            ;   in Loop: Header=BB200_13 Depth=1
	s_or_b64 exec, exec, s[44:45]
.LBB200_137:                            ;   in Loop: Header=BB200_13 Depth=1
	s_or_b64 exec, exec, s[42:43]
.LBB200_138:                            ;   in Loop: Header=BB200_13 Depth=1
	s_or_b64 exec, exec, s[40:41]
	global_load_ushort v5, v[57:58], off offset:1032
	v_mov_b32_e32 v19, 0
	v_mov_b32_e32 v17, 0
	;; [unrolled: 1-line block ×4, first 2 shown]
	s_waitcnt vmcnt(0)
	v_and_b32_e32 v1, 0xffff, v5
	v_cmp_ne_u16_sdwa s[4:5], v5, v41 src0_sel:BYTE_0 src1_sel:DWORD
	s_and_saveexec_b64 s[40:41], s[4:5]
	s_cbranch_execz .LBB200_144
; %bb.139:                              ;   in Loop: Header=BB200_13 Depth=1
	v_bfrev_b32_e32 v17, 1
	v_mov_b32_e32 v18, 0
	v_cmp_ne_u16_sdwa s[4:5], v1, s52 src0_sel:BYTE_0 src1_sel:DWORD
	s_and_saveexec_b64 s[42:43], s[4:5]
	s_cbranch_execz .LBB200_143
; %bb.140:                              ;   in Loop: Header=BB200_13 Depth=1
	v_and_b32_e32 v5, 0x7f, v1
	v_mov_b32_e32 v17, 0x7f800001
	v_mov_b32_e32 v18, 0
	v_cmp_ne_u32_e64 s[4:5], s53, v5
	s_and_saveexec_b64 s[44:45], s[4:5]
	s_cbranch_execz .LBB200_142
; %bb.141:                              ;   in Loop: Header=BB200_13 Depth=1
	v_and_b32_e32 v17, 7, v1
	v_lshrrev_b32_e32 v18, 3, v5
	v_cmp_gt_u32_e64 s[4:5], 8, v5
	v_ffbh_u32_e32 v5, v17
	v_min_u32_e32 v21, 32, v5
	v_subrev_u32_e32 v5, 28, v21
	v_lshlrev_b64 v[5:6], v5, v[1:2]
	v_sub_u32_e32 v6, 29, v21
	v_and_b32_e32 v5, 7, v5
	v_cndmask_b32_e64 v6, v18, v6, s[4:5]
	v_cndmask_b32_e64 v5, v17, v5, s[4:5]
	v_bfrev_b32_e32 v2, 60
	v_lshlrev_b32_e32 v5, 20, v5
	v_and_b32_sdwa v17, sext(v1), s54 dst_sel:DWORD dst_unused:UNUSED_PAD src0_sel:BYTE_0 src1_sel:DWORD
	v_lshl_add_u32 v6, v6, 23, v2
	v_or3_b32 v17, v17, v6, v5
	v_mov_b32_e32 v18, v41
.LBB200_142:                            ;   in Loop: Header=BB200_13 Depth=1
	s_or_b64 exec, exec, s[44:45]
.LBB200_143:                            ;   in Loop: Header=BB200_13 Depth=1
	s_or_b64 exec, exec, s[42:43]
.LBB200_144:                            ;   in Loop: Header=BB200_13 Depth=1
	s_or_b64 exec, exec, s[40:41]
	v_cmp_ne_u16_sdwa s[4:5], v1, v41 src0_sel:BYTE_1 src1_sel:DWORD
	s_and_saveexec_b64 s[40:41], s[4:5]
	s_cbranch_execz .LBB200_150
; %bb.145:                              ;   in Loop: Header=BB200_13 Depth=1
	v_mov_b32_e32 v19, v41
	v_cmp_ne_u16_sdwa s[4:5], v1, s52 src0_sel:BYTE_1 src1_sel:DWORD
	v_mov_b32_e32 v20, v42
	s_and_saveexec_b64 s[42:43], s[4:5]
	s_cbranch_execz .LBB200_149
; %bb.146:                              ;   in Loop: Header=BB200_13 Depth=1
	v_mov_b32_e32 v55, v41
	v_and_b32_sdwa v21, v1, s53 dst_sel:DWORD dst_unused:UNUSED_PAD src0_sel:BYTE_1 src1_sel:DWORD
	v_mov_b32_e32 v19, v55
	v_cmp_ne_u32_e64 s[4:5], s53, v21
	v_mov_b32_e32 v20, v56
	s_and_saveexec_b64 s[44:45], s[4:5]
	s_cbranch_execz .LBB200_148
; %bb.147:                              ;   in Loop: Header=BB200_13 Depth=1
	v_mov_b32_e32 v2, 7
	v_and_b32_sdwa v5, v1, v2 dst_sel:DWORD dst_unused:UNUSED_PAD src0_sel:BYTE_1 src1_sel:DWORD
	v_ffbh_u32_e32 v19, v5
	v_lshrrev_b32_e32 v22, 3, v21
	v_cmp_gt_u32_e64 s[4:5], 8, v21
	v_min_u32_e32 v21, 32, v19
	v_mov_b32_e32 v6, v41
	v_subrev_u32_e32 v19, 28, v21
	v_lshlrev_b64 v[19:20], v19, v[5:6]
	v_sub_u32_e32 v6, 29, v21
	v_and_b32_e32 v19, 7, v19
	v_cndmask_b32_e64 v6, v22, v6, s[4:5]
	v_bfrev_b32_e32 v2, 60
	v_cndmask_b32_e64 v5, v5, v19, s[4:5]
	v_lshlrev_b32_e32 v1, 16, v1
	v_lshl_add_u32 v6, v6, 23, v2
	v_and_or_b32 v1, v1, s54, v6
	v_lshlrev_b32_e32 v5, 20, v5
	v_or_b32_e32 v20, v1, v5
	v_mov_b32_e32 v19, v41
.LBB200_148:                            ;   in Loop: Header=BB200_13 Depth=1
	s_or_b64 exec, exec, s[44:45]
.LBB200_149:                            ;   in Loop: Header=BB200_13 Depth=1
	s_or_b64 exec, exec, s[42:43]
.LBB200_150:                            ;   in Loop: Header=BB200_13 Depth=1
	s_or_b64 exec, exec, s[40:41]
	global_load_ushort v5, v[57:58], off offset:1036
	v_mov_b32_e32 v21, 0
	v_mov_b32_e32 v61, 0
	v_mov_b32_e32 v22, 0
	v_mov_b32_e32 v62, 0
	s_waitcnt vmcnt(0)
	v_and_b32_e32 v1, 0xffff, v5
	v_cmp_ne_u16_sdwa s[4:5], v5, v41 src0_sel:BYTE_0 src1_sel:DWORD
	s_and_saveexec_b64 s[40:41], s[4:5]
	s_cbranch_execz .LBB200_156
; %bb.151:                              ;   in Loop: Header=BB200_13 Depth=1
	v_bfrev_b32_e32 v61, 1
	v_mov_b32_e32 v62, 0
	v_cmp_ne_u16_sdwa s[4:5], v1, s52 src0_sel:BYTE_0 src1_sel:DWORD
	s_and_saveexec_b64 s[42:43], s[4:5]
	s_cbranch_execz .LBB200_155
; %bb.152:                              ;   in Loop: Header=BB200_13 Depth=1
	v_and_b32_e32 v5, 0x7f, v1
	v_mov_b32_e32 v61, 0x7f800001
	v_mov_b32_e32 v62, 0
	v_cmp_ne_u32_e64 s[4:5], s53, v5
	s_and_saveexec_b64 s[44:45], s[4:5]
	s_cbranch_execz .LBB200_154
; %bb.153:                              ;   in Loop: Header=BB200_13 Depth=1
	v_and_b32_e32 v23, 7, v1
	v_lshrrev_b32_e32 v24, 3, v5
	v_cmp_gt_u32_e64 s[4:5], 8, v5
	v_ffbh_u32_e32 v5, v23
	v_min_u32_e32 v25, 32, v5
	v_subrev_u32_e32 v5, 28, v25
	v_lshlrev_b64 v[5:6], v5, v[1:2]
	v_sub_u32_e32 v6, 29, v25
	v_and_b32_e32 v5, 7, v5
	v_cndmask_b32_e64 v6, v24, v6, s[4:5]
	v_cndmask_b32_e64 v5, v23, v5, s[4:5]
	v_bfrev_b32_e32 v2, 60
	v_lshlrev_b32_e32 v5, 20, v5
	v_and_b32_sdwa v23, sext(v1), s54 dst_sel:DWORD dst_unused:UNUSED_PAD src0_sel:BYTE_0 src1_sel:DWORD
	v_lshl_add_u32 v6, v6, 23, v2
	v_or3_b32 v61, v23, v6, v5
	v_mov_b32_e32 v62, v41
.LBB200_154:                            ;   in Loop: Header=BB200_13 Depth=1
	s_or_b64 exec, exec, s[44:45]
.LBB200_155:                            ;   in Loop: Header=BB200_13 Depth=1
	s_or_b64 exec, exec, s[42:43]
.LBB200_156:                            ;   in Loop: Header=BB200_13 Depth=1
	s_or_b64 exec, exec, s[40:41]
	v_cmp_ne_u16_sdwa s[4:5], v1, v41 src0_sel:BYTE_1 src1_sel:DWORD
	s_and_saveexec_b64 s[40:41], s[4:5]
	s_cbranch_execz .LBB200_162
; %bb.157:                              ;   in Loop: Header=BB200_13 Depth=1
	v_mov_b32_e32 v21, v41
	v_cmp_ne_u16_sdwa s[4:5], v1, s52 src0_sel:BYTE_1 src1_sel:DWORD
	v_mov_b32_e32 v22, v42
	s_and_saveexec_b64 s[42:43], s[4:5]
	s_cbranch_execz .LBB200_161
; %bb.158:                              ;   in Loop: Header=BB200_13 Depth=1
	v_mov_b32_e32 v55, v41
	v_and_b32_sdwa v23, v1, s53 dst_sel:DWORD dst_unused:UNUSED_PAD src0_sel:BYTE_1 src1_sel:DWORD
	v_mov_b32_e32 v21, v55
	v_cmp_ne_u32_e64 s[4:5], s53, v23
	v_mov_b32_e32 v22, v56
	s_and_saveexec_b64 s[44:45], s[4:5]
	s_cbranch_execz .LBB200_160
; %bb.159:                              ;   in Loop: Header=BB200_13 Depth=1
	v_mov_b32_e32 v2, 7
	v_and_b32_sdwa v5, v1, v2 dst_sel:DWORD dst_unused:UNUSED_PAD src0_sel:BYTE_1 src1_sel:DWORD
	v_ffbh_u32_e32 v21, v5
	v_lshrrev_b32_e32 v24, 3, v23
	v_cmp_gt_u32_e64 s[4:5], 8, v23
	v_min_u32_e32 v23, 32, v21
	v_mov_b32_e32 v6, v41
	v_subrev_u32_e32 v21, 28, v23
	v_lshlrev_b64 v[21:22], v21, v[5:6]
	v_sub_u32_e32 v6, 29, v23
	v_and_b32_e32 v21, 7, v21
	v_cndmask_b32_e64 v6, v24, v6, s[4:5]
	v_bfrev_b32_e32 v2, 60
	v_cndmask_b32_e64 v5, v5, v21, s[4:5]
	v_lshlrev_b32_e32 v1, 16, v1
	v_lshl_add_u32 v6, v6, 23, v2
	v_and_or_b32 v1, v1, s54, v6
	v_lshlrev_b32_e32 v5, 20, v5
	v_or_b32_e32 v22, v1, v5
	v_mov_b32_e32 v21, v41
.LBB200_160:                            ;   in Loop: Header=BB200_13 Depth=1
	s_or_b64 exec, exec, s[44:45]
.LBB200_161:                            ;   in Loop: Header=BB200_13 Depth=1
	s_or_b64 exec, exec, s[42:43]
.LBB200_162:                            ;   in Loop: Header=BB200_13 Depth=1
	s_or_b64 exec, exec, s[40:41]
	global_load_ushort v5, v[57:58], off offset:1536
	v_mov_b32_e32 v25, 0
	v_mov_b32_e32 v23, 0
	;; [unrolled: 1-line block ×4, first 2 shown]
	s_waitcnt vmcnt(0)
	v_and_b32_e32 v1, 0xffff, v5
	v_cmp_ne_u16_sdwa s[4:5], v5, v41 src0_sel:BYTE_0 src1_sel:DWORD
	s_and_saveexec_b64 s[40:41], s[4:5]
	s_cbranch_execz .LBB200_168
; %bb.163:                              ;   in Loop: Header=BB200_13 Depth=1
	v_bfrev_b32_e32 v23, 1
	v_mov_b32_e32 v24, 0
	v_cmp_ne_u16_sdwa s[4:5], v1, s52 src0_sel:BYTE_0 src1_sel:DWORD
	s_and_saveexec_b64 s[42:43], s[4:5]
	s_cbranch_execz .LBB200_167
; %bb.164:                              ;   in Loop: Header=BB200_13 Depth=1
	v_and_b32_e32 v5, 0x7f, v1
	v_mov_b32_e32 v23, 0x7f800001
	v_mov_b32_e32 v24, 0
	v_cmp_ne_u32_e64 s[4:5], s53, v5
	s_and_saveexec_b64 s[44:45], s[4:5]
	s_cbranch_execz .LBB200_166
; %bb.165:                              ;   in Loop: Header=BB200_13 Depth=1
	v_and_b32_e32 v23, 7, v1
	v_lshrrev_b32_e32 v24, 3, v5
	v_cmp_gt_u32_e64 s[4:5], 8, v5
	v_ffbh_u32_e32 v5, v23
	v_min_u32_e32 v27, 32, v5
	v_subrev_u32_e32 v5, 28, v27
	v_lshlrev_b64 v[5:6], v5, v[1:2]
	v_sub_u32_e32 v6, 29, v27
	v_and_b32_e32 v5, 7, v5
	v_cndmask_b32_e64 v6, v24, v6, s[4:5]
	v_cndmask_b32_e64 v5, v23, v5, s[4:5]
	v_bfrev_b32_e32 v2, 60
	v_lshlrev_b32_e32 v5, 20, v5
	v_and_b32_sdwa v23, sext(v1), s54 dst_sel:DWORD dst_unused:UNUSED_PAD src0_sel:BYTE_0 src1_sel:DWORD
	v_lshl_add_u32 v6, v6, 23, v2
	v_or3_b32 v23, v23, v6, v5
	v_mov_b32_e32 v24, v41
.LBB200_166:                            ;   in Loop: Header=BB200_13 Depth=1
	s_or_b64 exec, exec, s[44:45]
.LBB200_167:                            ;   in Loop: Header=BB200_13 Depth=1
	s_or_b64 exec, exec, s[42:43]
.LBB200_168:                            ;   in Loop: Header=BB200_13 Depth=1
	s_or_b64 exec, exec, s[40:41]
	v_cmp_ne_u16_sdwa s[4:5], v1, v41 src0_sel:BYTE_1 src1_sel:DWORD
	s_and_saveexec_b64 s[40:41], s[4:5]
	s_cbranch_execz .LBB200_174
; %bb.169:                              ;   in Loop: Header=BB200_13 Depth=1
	v_mov_b32_e32 v25, v41
	v_cmp_ne_u16_sdwa s[4:5], v1, s52 src0_sel:BYTE_1 src1_sel:DWORD
	v_mov_b32_e32 v26, v42
	s_and_saveexec_b64 s[42:43], s[4:5]
	s_cbranch_execz .LBB200_173
; %bb.170:                              ;   in Loop: Header=BB200_13 Depth=1
	v_mov_b32_e32 v55, v41
	v_and_b32_sdwa v27, v1, s53 dst_sel:DWORD dst_unused:UNUSED_PAD src0_sel:BYTE_1 src1_sel:DWORD
	v_mov_b32_e32 v25, v55
	v_cmp_ne_u32_e64 s[4:5], s53, v27
	v_mov_b32_e32 v26, v56
	s_and_saveexec_b64 s[44:45], s[4:5]
	s_cbranch_execz .LBB200_172
; %bb.171:                              ;   in Loop: Header=BB200_13 Depth=1
	v_mov_b32_e32 v2, 7
	v_and_b32_sdwa v5, v1, v2 dst_sel:DWORD dst_unused:UNUSED_PAD src0_sel:BYTE_1 src1_sel:DWORD
	v_ffbh_u32_e32 v25, v5
	v_lshrrev_b32_e32 v28, 3, v27
	v_cmp_gt_u32_e64 s[4:5], 8, v27
	v_min_u32_e32 v27, 32, v25
	v_mov_b32_e32 v6, v41
	v_subrev_u32_e32 v25, 28, v27
	v_lshlrev_b64 v[25:26], v25, v[5:6]
	v_sub_u32_e32 v6, 29, v27
	v_and_b32_e32 v25, 7, v25
	v_cndmask_b32_e64 v6, v28, v6, s[4:5]
	v_bfrev_b32_e32 v2, 60
	v_cndmask_b32_e64 v5, v5, v25, s[4:5]
	v_lshlrev_b32_e32 v1, 16, v1
	v_lshl_add_u32 v6, v6, 23, v2
	v_and_or_b32 v1, v1, s54, v6
	v_lshlrev_b32_e32 v5, 20, v5
	v_or_b32_e32 v26, v1, v5
	v_mov_b32_e32 v25, v41
.LBB200_172:                            ;   in Loop: Header=BB200_13 Depth=1
	s_or_b64 exec, exec, s[44:45]
.LBB200_173:                            ;   in Loop: Header=BB200_13 Depth=1
	s_or_b64 exec, exec, s[42:43]
.LBB200_174:                            ;   in Loop: Header=BB200_13 Depth=1
	s_or_b64 exec, exec, s[40:41]
	global_load_ushort v5, v[57:58], off offset:1540
	v_mov_b32_e32 v43, 0
	v_mov_b32_e32 v27, 0
	v_mov_b32_e32 v44, 0
	v_mov_b32_e32 v28, 0
	s_waitcnt vmcnt(0)
	v_and_b32_e32 v1, 0xffff, v5
	v_cmp_ne_u16_sdwa s[4:5], v5, v41 src0_sel:BYTE_0 src1_sel:DWORD
	s_and_saveexec_b64 s[40:41], s[4:5]
	s_cbranch_execz .LBB200_180
; %bb.175:                              ;   in Loop: Header=BB200_13 Depth=1
	v_bfrev_b32_e32 v27, 1
	v_mov_b32_e32 v28, 0
	v_cmp_ne_u16_sdwa s[4:5], v1, s52 src0_sel:BYTE_0 src1_sel:DWORD
	s_and_saveexec_b64 s[42:43], s[4:5]
	s_cbranch_execz .LBB200_179
; %bb.176:                              ;   in Loop: Header=BB200_13 Depth=1
	v_and_b32_e32 v5, 0x7f, v1
	v_mov_b32_e32 v27, 0x7f800001
	v_mov_b32_e32 v28, 0
	v_cmp_ne_u32_e64 s[4:5], s53, v5
	s_and_saveexec_b64 s[44:45], s[4:5]
	s_cbranch_execz .LBB200_178
; %bb.177:                              ;   in Loop: Header=BB200_13 Depth=1
	v_and_b32_e32 v27, 7, v1
	v_lshrrev_b32_e32 v28, 3, v5
	v_cmp_gt_u32_e64 s[4:5], 8, v5
	v_ffbh_u32_e32 v5, v27
	v_min_u32_e32 v29, 32, v5
	v_subrev_u32_e32 v5, 28, v29
	v_lshlrev_b64 v[5:6], v5, v[1:2]
	v_sub_u32_e32 v6, 29, v29
	v_and_b32_e32 v5, 7, v5
	v_cndmask_b32_e64 v6, v28, v6, s[4:5]
	v_cndmask_b32_e64 v5, v27, v5, s[4:5]
	v_bfrev_b32_e32 v2, 60
	v_lshlrev_b32_e32 v5, 20, v5
	v_and_b32_sdwa v27, sext(v1), s54 dst_sel:DWORD dst_unused:UNUSED_PAD src0_sel:BYTE_0 src1_sel:DWORD
	v_lshl_add_u32 v6, v6, 23, v2
	v_or3_b32 v27, v27, v6, v5
	v_mov_b32_e32 v28, v41
.LBB200_178:                            ;   in Loop: Header=BB200_13 Depth=1
	s_or_b64 exec, exec, s[44:45]
.LBB200_179:                            ;   in Loop: Header=BB200_13 Depth=1
	s_or_b64 exec, exec, s[42:43]
.LBB200_180:                            ;   in Loop: Header=BB200_13 Depth=1
	s_or_b64 exec, exec, s[40:41]
	v_cmp_ne_u16_sdwa s[4:5], v1, v41 src0_sel:BYTE_1 src1_sel:DWORD
	s_and_saveexec_b64 s[40:41], s[4:5]
	s_cbranch_execz .LBB200_186
; %bb.181:                              ;   in Loop: Header=BB200_13 Depth=1
	v_mov_b32_e32 v44, v42
	v_cmp_ne_u16_sdwa s[4:5], v1, s52 src0_sel:BYTE_1 src1_sel:DWORD
	v_mov_b32_e32 v43, v41
	s_and_saveexec_b64 s[42:43], s[4:5]
	s_cbranch_execz .LBB200_185
; %bb.182:                              ;   in Loop: Header=BB200_13 Depth=1
	v_mov_b32_e32 v55, v41
	v_and_b32_sdwa v29, v1, s53 dst_sel:DWORD dst_unused:UNUSED_PAD src0_sel:BYTE_1 src1_sel:DWORD
	v_mov_b32_e32 v43, v55
	v_cmp_ne_u32_e64 s[4:5], s53, v29
	v_mov_b32_e32 v44, v56
	s_and_saveexec_b64 s[44:45], s[4:5]
	s_cbranch_execz .LBB200_184
; %bb.183:                              ;   in Loop: Header=BB200_13 Depth=1
	v_mov_b32_e32 v2, 7
	v_and_b32_sdwa v5, v1, v2 dst_sel:DWORD dst_unused:UNUSED_PAD src0_sel:BYTE_1 src1_sel:DWORD
	v_lshrrev_b32_e32 v31, 3, v29
	v_cmp_gt_u32_e64 s[4:5], 8, v29
	v_ffbh_u32_e32 v29, v5
	v_min_u32_e32 v32, 32, v29
	v_mov_b32_e32 v6, v41
	v_subrev_u32_e32 v29, 28, v32
	v_lshlrev_b64 v[29:30], v29, v[5:6]
	v_sub_u32_e32 v6, 29, v32
	v_and_b32_e32 v29, 7, v29
	v_cndmask_b32_e64 v6, v31, v6, s[4:5]
	v_bfrev_b32_e32 v2, 60
	v_cndmask_b32_e64 v5, v5, v29, s[4:5]
	v_lshlrev_b32_e32 v1, 16, v1
	v_lshl_add_u32 v6, v6, 23, v2
	v_and_or_b32 v1, v1, s54, v6
	v_lshlrev_b32_e32 v5, 20, v5
	v_or_b32_e32 v44, v1, v5
	v_mov_b32_e32 v43, v41
.LBB200_184:                            ;   in Loop: Header=BB200_13 Depth=1
	s_or_b64 exec, exec, s[44:45]
.LBB200_185:                            ;   in Loop: Header=BB200_13 Depth=1
	s_or_b64 exec, exec, s[42:43]
.LBB200_186:                            ;   in Loop: Header=BB200_13 Depth=1
	s_or_b64 exec, exec, s[40:41]
	global_load_ushort v5, v[57:58], off offset:1544
	v_mov_b32_e32 v29, 0
	v_mov_b32_e32 v49, 0
	;; [unrolled: 1-line block ×4, first 2 shown]
	s_waitcnt vmcnt(0)
	v_and_b32_e32 v1, 0xffff, v5
	v_cmp_ne_u16_sdwa s[4:5], v5, v41 src0_sel:BYTE_0 src1_sel:DWORD
	s_and_saveexec_b64 s[40:41], s[4:5]
	s_cbranch_execz .LBB200_192
; %bb.187:                              ;   in Loop: Header=BB200_13 Depth=1
	v_bfrev_b32_e32 v49, 1
	v_mov_b32_e32 v50, 0
	v_cmp_ne_u16_sdwa s[4:5], v1, s52 src0_sel:BYTE_0 src1_sel:DWORD
	s_and_saveexec_b64 s[42:43], s[4:5]
	s_cbranch_execz .LBB200_191
; %bb.188:                              ;   in Loop: Header=BB200_13 Depth=1
	v_and_b32_e32 v5, 0x7f, v1
	v_mov_b32_e32 v49, 0x7f800001
	v_mov_b32_e32 v50, 0
	v_cmp_ne_u32_e64 s[4:5], s53, v5
	s_and_saveexec_b64 s[44:45], s[4:5]
	s_cbranch_execz .LBB200_190
; %bb.189:                              ;   in Loop: Header=BB200_13 Depth=1
	v_and_b32_e32 v31, 7, v1
	v_lshrrev_b32_e32 v32, 3, v5
	v_cmp_gt_u32_e64 s[4:5], 8, v5
	v_ffbh_u32_e32 v5, v31
	v_min_u32_e32 v33, 32, v5
	v_subrev_u32_e32 v5, 28, v33
	v_lshlrev_b64 v[5:6], v5, v[1:2]
	v_sub_u32_e32 v6, 29, v33
	v_and_b32_e32 v5, 7, v5
	v_cndmask_b32_e64 v6, v32, v6, s[4:5]
	v_cndmask_b32_e64 v5, v31, v5, s[4:5]
	v_bfrev_b32_e32 v2, 60
	v_lshlrev_b32_e32 v5, 20, v5
	v_and_b32_sdwa v31, sext(v1), s54 dst_sel:DWORD dst_unused:UNUSED_PAD src0_sel:BYTE_0 src1_sel:DWORD
	v_lshl_add_u32 v6, v6, 23, v2
	v_or3_b32 v49, v31, v6, v5
	v_mov_b32_e32 v50, v41
.LBB200_190:                            ;   in Loop: Header=BB200_13 Depth=1
	s_or_b64 exec, exec, s[44:45]
.LBB200_191:                            ;   in Loop: Header=BB200_13 Depth=1
	s_or_b64 exec, exec, s[42:43]
.LBB200_192:                            ;   in Loop: Header=BB200_13 Depth=1
	s_or_b64 exec, exec, s[40:41]
	v_cmp_ne_u16_sdwa s[4:5], v1, v41 src0_sel:BYTE_1 src1_sel:DWORD
	s_and_saveexec_b64 s[40:41], s[4:5]
	s_cbranch_execz .LBB200_198
; %bb.193:                              ;   in Loop: Header=BB200_13 Depth=1
	v_mov_b32_e32 v29, v41
	v_cmp_ne_u16_sdwa s[4:5], v1, s52 src0_sel:BYTE_1 src1_sel:DWORD
	v_mov_b32_e32 v30, v42
	s_and_saveexec_b64 s[42:43], s[4:5]
	s_cbranch_execz .LBB200_197
; %bb.194:                              ;   in Loop: Header=BB200_13 Depth=1
	v_mov_b32_e32 v55, v41
	v_and_b32_sdwa v31, v1, s53 dst_sel:DWORD dst_unused:UNUSED_PAD src0_sel:BYTE_1 src1_sel:DWORD
	v_mov_b32_e32 v29, v55
	v_cmp_ne_u32_e64 s[4:5], s53, v31
	v_mov_b32_e32 v30, v56
	s_and_saveexec_b64 s[44:45], s[4:5]
	s_cbranch_execz .LBB200_196
; %bb.195:                              ;   in Loop: Header=BB200_13 Depth=1
	v_mov_b32_e32 v2, 7
	v_and_b32_sdwa v5, v1, v2 dst_sel:DWORD dst_unused:UNUSED_PAD src0_sel:BYTE_1 src1_sel:DWORD
	v_ffbh_u32_e32 v29, v5
	v_lshrrev_b32_e32 v32, 3, v31
	v_cmp_gt_u32_e64 s[4:5], 8, v31
	v_min_u32_e32 v31, 32, v29
	v_mov_b32_e32 v6, v41
	v_subrev_u32_e32 v29, 28, v31
	v_lshlrev_b64 v[29:30], v29, v[5:6]
	v_sub_u32_e32 v6, 29, v31
	v_and_b32_e32 v29, 7, v29
	v_cndmask_b32_e64 v6, v32, v6, s[4:5]
	v_bfrev_b32_e32 v2, 60
	v_cndmask_b32_e64 v5, v5, v29, s[4:5]
	v_lshlrev_b32_e32 v1, 16, v1
	v_lshl_add_u32 v6, v6, 23, v2
	v_and_or_b32 v1, v1, s54, v6
	v_lshlrev_b32_e32 v5, 20, v5
	v_or_b32_e32 v30, v1, v5
	v_mov_b32_e32 v29, v41
.LBB200_196:                            ;   in Loop: Header=BB200_13 Depth=1
	s_or_b64 exec, exec, s[44:45]
.LBB200_197:                            ;   in Loop: Header=BB200_13 Depth=1
	s_or_b64 exec, exec, s[42:43]
.LBB200_198:                            ;   in Loop: Header=BB200_13 Depth=1
	s_or_b64 exec, exec, s[40:41]
	global_load_ushort v5, v[57:58], off offset:1548
	v_mov_b32_e32 v47, 0
	v_mov_b32_e32 v31, 0
	;; [unrolled: 1-line block ×4, first 2 shown]
	s_waitcnt vmcnt(0)
	v_and_b32_e32 v1, 0xffff, v5
	v_cmp_ne_u16_sdwa s[4:5], v5, v41 src0_sel:BYTE_0 src1_sel:DWORD
	s_and_saveexec_b64 s[40:41], s[4:5]
	s_cbranch_execz .LBB200_204
; %bb.199:                              ;   in Loop: Header=BB200_13 Depth=1
	v_bfrev_b32_e32 v31, 1
	v_mov_b32_e32 v32, 0
	v_cmp_ne_u16_sdwa s[4:5], v1, s52 src0_sel:BYTE_0 src1_sel:DWORD
	s_and_saveexec_b64 s[42:43], s[4:5]
	s_cbranch_execz .LBB200_203
; %bb.200:                              ;   in Loop: Header=BB200_13 Depth=1
	v_and_b32_e32 v5, 0x7f, v1
	v_mov_b32_e32 v31, 0x7f800001
	v_mov_b32_e32 v32, 0
	v_cmp_ne_u32_e64 s[4:5], s53, v5
	s_and_saveexec_b64 s[44:45], s[4:5]
	s_cbranch_execz .LBB200_202
; %bb.201:                              ;   in Loop: Header=BB200_13 Depth=1
	v_and_b32_e32 v31, 7, v1
	v_lshrrev_b32_e32 v32, 3, v5
	v_cmp_gt_u32_e64 s[4:5], 8, v5
	v_ffbh_u32_e32 v5, v31
	v_min_u32_e32 v33, 32, v5
	v_subrev_u32_e32 v5, 28, v33
	v_lshlrev_b64 v[5:6], v5, v[1:2]
	v_sub_u32_e32 v6, 29, v33
	v_and_b32_e32 v5, 7, v5
	v_cndmask_b32_e64 v6, v32, v6, s[4:5]
	v_cndmask_b32_e64 v5, v31, v5, s[4:5]
	v_bfrev_b32_e32 v2, 60
	v_lshlrev_b32_e32 v5, 20, v5
	v_and_b32_sdwa v31, sext(v1), s54 dst_sel:DWORD dst_unused:UNUSED_PAD src0_sel:BYTE_0 src1_sel:DWORD
	v_lshl_add_u32 v6, v6, 23, v2
	v_or3_b32 v31, v31, v6, v5
	v_mov_b32_e32 v32, v41
.LBB200_202:                            ;   in Loop: Header=BB200_13 Depth=1
	s_or_b64 exec, exec, s[44:45]
.LBB200_203:                            ;   in Loop: Header=BB200_13 Depth=1
	s_or_b64 exec, exec, s[42:43]
.LBB200_204:                            ;   in Loop: Header=BB200_13 Depth=1
	s_or_b64 exec, exec, s[40:41]
	v_cmp_ne_u16_sdwa s[4:5], v1, v41 src0_sel:BYTE_1 src1_sel:DWORD
	s_and_saveexec_b64 s[40:41], s[4:5]
	s_cbranch_execz .LBB200_210
; %bb.205:                              ;   in Loop: Header=BB200_13 Depth=1
	v_mov_b32_e32 v48, v42
	v_cmp_ne_u16_sdwa s[4:5], v1, s52 src0_sel:BYTE_1 src1_sel:DWORD
	v_mov_b32_e32 v47, v41
	s_and_saveexec_b64 s[42:43], s[4:5]
	s_cbranch_execz .LBB200_209
; %bb.206:                              ;   in Loop: Header=BB200_13 Depth=1
	v_mov_b32_e32 v55, v41
	v_and_b32_sdwa v33, v1, s53 dst_sel:DWORD dst_unused:UNUSED_PAD src0_sel:BYTE_1 src1_sel:DWORD
	v_mov_b32_e32 v47, v55
	v_cmp_ne_u32_e64 s[4:5], s53, v33
	v_mov_b32_e32 v48, v56
	s_and_saveexec_b64 s[44:45], s[4:5]
	s_cbranch_execz .LBB200_208
; %bb.207:                              ;   in Loop: Header=BB200_13 Depth=1
	v_mov_b32_e32 v2, 7
	v_and_b32_sdwa v5, v1, v2 dst_sel:DWORD dst_unused:UNUSED_PAD src0_sel:BYTE_1 src1_sel:DWORD
	v_lshrrev_b32_e32 v35, 3, v33
	v_cmp_gt_u32_e64 s[4:5], 8, v33
	v_ffbh_u32_e32 v33, v5
	v_min_u32_e32 v36, 32, v33
	v_mov_b32_e32 v6, v41
	v_subrev_u32_e32 v33, 28, v36
	v_lshlrev_b64 v[33:34], v33, v[5:6]
	v_sub_u32_e32 v6, 29, v36
	v_and_b32_e32 v33, 7, v33
	v_cndmask_b32_e64 v6, v35, v6, s[4:5]
	v_bfrev_b32_e32 v2, 60
	v_cndmask_b32_e64 v5, v5, v33, s[4:5]
	v_lshlrev_b32_e32 v1, 16, v1
	v_lshl_add_u32 v6, v6, 23, v2
	v_and_or_b32 v1, v1, s54, v6
	v_lshlrev_b32_e32 v5, 20, v5
	v_or_b32_e32 v48, v1, v5
	v_mov_b32_e32 v47, v41
.LBB200_208:                            ;   in Loop: Header=BB200_13 Depth=1
	s_or_b64 exec, exec, s[44:45]
.LBB200_209:                            ;   in Loop: Header=BB200_13 Depth=1
	s_or_b64 exec, exec, s[42:43]
.LBB200_210:                            ;   in Loop: Header=BB200_13 Depth=1
	s_or_b64 exec, exec, s[40:41]
	global_load_ushort v5, v[57:58], off offset:2048
	v_mov_b32_e32 v53, 0
	v_mov_b32_e32 v35, 0
	;; [unrolled: 1-line block ×4, first 2 shown]
	s_waitcnt vmcnt(0)
	v_and_b32_e32 v1, 0xffff, v5
	v_cmp_ne_u16_sdwa s[4:5], v5, v41 src0_sel:BYTE_0 src1_sel:DWORD
	s_and_saveexec_b64 s[40:41], s[4:5]
	s_cbranch_execz .LBB200_216
; %bb.211:                              ;   in Loop: Header=BB200_13 Depth=1
	v_bfrev_b32_e32 v35, 1
	v_mov_b32_e32 v36, 0
	v_cmp_ne_u16_sdwa s[4:5], v1, s52 src0_sel:BYTE_0 src1_sel:DWORD
	s_and_saveexec_b64 s[42:43], s[4:5]
	s_cbranch_execz .LBB200_215
; %bb.212:                              ;   in Loop: Header=BB200_13 Depth=1
	v_and_b32_e32 v5, 0x7f, v1
	v_mov_b32_e32 v35, 0x7f800001
	v_mov_b32_e32 v36, 0
	v_cmp_ne_u32_e64 s[4:5], s53, v5
	s_and_saveexec_b64 s[44:45], s[4:5]
	s_cbranch_execz .LBB200_214
; %bb.213:                              ;   in Loop: Header=BB200_13 Depth=1
	v_and_b32_e32 v33, 7, v1
	v_lshrrev_b32_e32 v34, 3, v5
	v_cmp_gt_u32_e64 s[4:5], 8, v5
	v_ffbh_u32_e32 v5, v33
	v_min_u32_e32 v35, 32, v5
	v_subrev_u32_e32 v5, 28, v35
	v_lshlrev_b64 v[5:6], v5, v[1:2]
	v_sub_u32_e32 v6, 29, v35
	v_and_b32_e32 v5, 7, v5
	v_cndmask_b32_e64 v6, v34, v6, s[4:5]
	v_cndmask_b32_e64 v5, v33, v5, s[4:5]
	v_bfrev_b32_e32 v2, 60
	v_lshlrev_b32_e32 v5, 20, v5
	v_and_b32_sdwa v33, sext(v1), s54 dst_sel:DWORD dst_unused:UNUSED_PAD src0_sel:BYTE_0 src1_sel:DWORD
	v_lshl_add_u32 v6, v6, 23, v2
	v_or3_b32 v35, v33, v6, v5
	v_mov_b32_e32 v36, v41
.LBB200_214:                            ;   in Loop: Header=BB200_13 Depth=1
	s_or_b64 exec, exec, s[44:45]
.LBB200_215:                            ;   in Loop: Header=BB200_13 Depth=1
	s_or_b64 exec, exec, s[42:43]
.LBB200_216:                            ;   in Loop: Header=BB200_13 Depth=1
	s_or_b64 exec, exec, s[40:41]
	v_cmp_ne_u16_sdwa s[4:5], v1, v41 src0_sel:BYTE_1 src1_sel:DWORD
	s_and_saveexec_b64 s[40:41], s[4:5]
	s_cbranch_execz .LBB200_222
; %bb.217:                              ;   in Loop: Header=BB200_13 Depth=1
	v_mov_b32_e32 v54, v42
	v_cmp_ne_u16_sdwa s[4:5], v1, s52 src0_sel:BYTE_1 src1_sel:DWORD
	v_mov_b32_e32 v53, v41
	s_and_saveexec_b64 s[42:43], s[4:5]
	s_cbranch_execz .LBB200_221
; %bb.218:                              ;   in Loop: Header=BB200_13 Depth=1
	v_mov_b32_e32 v55, v41
	v_and_b32_sdwa v33, v1, s53 dst_sel:DWORD dst_unused:UNUSED_PAD src0_sel:BYTE_1 src1_sel:DWORD
	v_mov_b32_e32 v53, v55
	v_cmp_ne_u32_e64 s[4:5], s53, v33
	v_mov_b32_e32 v54, v56
	s_and_saveexec_b64 s[44:45], s[4:5]
	s_cbranch_execz .LBB200_220
; %bb.219:                              ;   in Loop: Header=BB200_13 Depth=1
	v_mov_b32_e32 v2, 7
	v_and_b32_sdwa v5, v1, v2 dst_sel:DWORD dst_unused:UNUSED_PAD src0_sel:BYTE_1 src1_sel:DWORD
	v_lshrrev_b32_e32 v37, 3, v33
	v_cmp_gt_u32_e64 s[4:5], 8, v33
	v_ffbh_u32_e32 v33, v5
	v_min_u32_e32 v38, 32, v33
	v_mov_b32_e32 v6, v41
	v_subrev_u32_e32 v33, 28, v38
	v_lshlrev_b64 v[33:34], v33, v[5:6]
	v_sub_u32_e32 v6, 29, v38
	v_and_b32_e32 v33, 7, v33
	v_cndmask_b32_e64 v6, v37, v6, s[4:5]
	v_bfrev_b32_e32 v2, 60
	v_cndmask_b32_e64 v5, v5, v33, s[4:5]
	v_lshlrev_b32_e32 v1, 16, v1
	v_lshl_add_u32 v6, v6, 23, v2
	v_and_or_b32 v1, v1, s54, v6
	v_lshlrev_b32_e32 v5, 20, v5
	v_or_b32_e32 v54, v1, v5
	v_mov_b32_e32 v53, v41
.LBB200_220:                            ;   in Loop: Header=BB200_13 Depth=1
	s_or_b64 exec, exec, s[44:45]
.LBB200_221:                            ;   in Loop: Header=BB200_13 Depth=1
	s_or_b64 exec, exec, s[42:43]
.LBB200_222:                            ;   in Loop: Header=BB200_13 Depth=1
	s_or_b64 exec, exec, s[40:41]
	global_load_ushort v5, v[57:58], off offset:2052
	v_mov_b32_e32 v33, 0
	v_mov_b32_e32 v39, 0
	;; [unrolled: 1-line block ×4, first 2 shown]
	s_waitcnt vmcnt(0)
	v_and_b32_e32 v1, 0xffff, v5
	v_cmp_ne_u16_sdwa s[4:5], v5, v41 src0_sel:BYTE_0 src1_sel:DWORD
	s_and_saveexec_b64 s[40:41], s[4:5]
	s_cbranch_execz .LBB200_228
; %bb.223:                              ;   in Loop: Header=BB200_13 Depth=1
	v_bfrev_b32_e32 v39, 1
	v_mov_b32_e32 v40, 0
	v_cmp_ne_u16_sdwa s[4:5], v1, s52 src0_sel:BYTE_0 src1_sel:DWORD
	s_and_saveexec_b64 s[42:43], s[4:5]
	s_cbranch_execz .LBB200_227
; %bb.224:                              ;   in Loop: Header=BB200_13 Depth=1
	v_and_b32_e32 v5, 0x7f, v1
	v_mov_b32_e32 v39, 0x7f800001
	v_mov_b32_e32 v40, 0
	v_cmp_ne_u32_e64 s[4:5], s53, v5
	s_and_saveexec_b64 s[44:45], s[4:5]
	s_cbranch_execz .LBB200_226
; %bb.225:                              ;   in Loop: Header=BB200_13 Depth=1
	v_and_b32_e32 v37, 7, v1
	v_lshrrev_b32_e32 v38, 3, v5
	v_cmp_gt_u32_e64 s[4:5], 8, v5
	v_ffbh_u32_e32 v5, v37
	v_min_u32_e32 v39, 32, v5
	v_subrev_u32_e32 v5, 28, v39
	v_lshlrev_b64 v[5:6], v5, v[1:2]
	v_sub_u32_e32 v6, 29, v39
	v_and_b32_e32 v5, 7, v5
	v_cndmask_b32_e64 v6, v38, v6, s[4:5]
	v_cndmask_b32_e64 v5, v37, v5, s[4:5]
	v_bfrev_b32_e32 v2, 60
	v_lshlrev_b32_e32 v5, 20, v5
	v_and_b32_sdwa v37, sext(v1), s54 dst_sel:DWORD dst_unused:UNUSED_PAD src0_sel:BYTE_0 src1_sel:DWORD
	v_lshl_add_u32 v6, v6, 23, v2
	v_or3_b32 v39, v37, v6, v5
	v_mov_b32_e32 v40, v41
.LBB200_226:                            ;   in Loop: Header=BB200_13 Depth=1
	s_or_b64 exec, exec, s[44:45]
.LBB200_227:                            ;   in Loop: Header=BB200_13 Depth=1
	s_or_b64 exec, exec, s[42:43]
.LBB200_228:                            ;   in Loop: Header=BB200_13 Depth=1
	s_or_b64 exec, exec, s[40:41]
	v_cmp_ne_u16_sdwa s[4:5], v1, v41 src0_sel:BYTE_1 src1_sel:DWORD
	s_and_saveexec_b64 s[40:41], s[4:5]
	s_cbranch_execz .LBB200_234
; %bb.229:                              ;   in Loop: Header=BB200_13 Depth=1
	v_mov_b32_e32 v33, v41
	v_cmp_ne_u16_sdwa s[4:5], v1, s52 src0_sel:BYTE_1 src1_sel:DWORD
	v_mov_b32_e32 v34, v42
	s_and_saveexec_b64 s[42:43], s[4:5]
	s_cbranch_execz .LBB200_233
; %bb.230:                              ;   in Loop: Header=BB200_13 Depth=1
	v_mov_b32_e32 v55, v41
	v_and_b32_sdwa v37, v1, s53 dst_sel:DWORD dst_unused:UNUSED_PAD src0_sel:BYTE_1 src1_sel:DWORD
	v_mov_b32_e32 v33, v55
	v_cmp_ne_u32_e64 s[4:5], s53, v37
	v_mov_b32_e32 v34, v56
	s_and_saveexec_b64 s[44:45], s[4:5]
	s_cbranch_execz .LBB200_232
; %bb.231:                              ;   in Loop: Header=BB200_13 Depth=1
	v_mov_b32_e32 v2, 7
	v_and_b32_sdwa v5, v1, v2 dst_sel:DWORD dst_unused:UNUSED_PAD src0_sel:BYTE_1 src1_sel:DWORD
	v_ffbh_u32_e32 v33, v5
	v_lshrrev_b32_e32 v38, 3, v37
	v_cmp_gt_u32_e64 s[4:5], 8, v37
	v_min_u32_e32 v37, 32, v33
	v_mov_b32_e32 v6, v41
	v_subrev_u32_e32 v33, 28, v37
	v_lshlrev_b64 v[33:34], v33, v[5:6]
	v_sub_u32_e32 v6, 29, v37
	v_and_b32_e32 v33, 7, v33
	v_cndmask_b32_e64 v6, v38, v6, s[4:5]
	v_bfrev_b32_e32 v2, 60
	v_cndmask_b32_e64 v5, v5, v33, s[4:5]
	v_lshlrev_b32_e32 v1, 16, v1
	v_lshl_add_u32 v6, v6, 23, v2
	v_and_or_b32 v1, v1, s54, v6
	v_lshlrev_b32_e32 v5, 20, v5
	v_or_b32_e32 v34, v1, v5
	v_mov_b32_e32 v33, v41
.LBB200_232:                            ;   in Loop: Header=BB200_13 Depth=1
	s_or_b64 exec, exec, s[44:45]
.LBB200_233:                            ;   in Loop: Header=BB200_13 Depth=1
	s_or_b64 exec, exec, s[42:43]
.LBB200_234:                            ;   in Loop: Header=BB200_13 Depth=1
	s_or_b64 exec, exec, s[40:41]
	global_load_ushort v5, v[57:58], off offset:2056
	v_mov_b32_e32 v37, 0
	v_mov_b32_e32 v51, 0
	;; [unrolled: 1-line block ×4, first 2 shown]
	s_waitcnt vmcnt(0)
	v_and_b32_e32 v1, 0xffff, v5
	v_cmp_ne_u16_sdwa s[4:5], v5, v41 src0_sel:BYTE_0 src1_sel:DWORD
	s_and_saveexec_b64 s[40:41], s[4:5]
	s_cbranch_execz .LBB200_240
; %bb.235:                              ;   in Loop: Header=BB200_13 Depth=1
	v_bfrev_b32_e32 v51, 1
	v_mov_b32_e32 v52, 0
	v_cmp_ne_u16_sdwa s[4:5], v1, s52 src0_sel:BYTE_0 src1_sel:DWORD
	s_and_saveexec_b64 s[42:43], s[4:5]
	s_cbranch_execz .LBB200_239
; %bb.236:                              ;   in Loop: Header=BB200_13 Depth=1
	v_and_b32_e32 v5, 0x7f, v1
	v_mov_b32_e32 v51, 0x7f800001
	v_mov_b32_e32 v52, 0
	v_cmp_ne_u32_e64 s[4:5], s53, v5
	s_and_saveexec_b64 s[44:45], s[4:5]
	s_cbranch_execz .LBB200_238
; %bb.237:                              ;   in Loop: Header=BB200_13 Depth=1
	v_and_b32_e32 v51, 7, v1
	v_lshrrev_b32_e32 v52, 3, v5
	v_cmp_gt_u32_e64 s[4:5], 8, v5
	v_ffbh_u32_e32 v5, v51
	v_min_u32_e32 v55, 32, v5
	v_subrev_u32_e32 v5, 28, v55
	v_lshlrev_b64 v[5:6], v5, v[1:2]
	v_sub_u32_e32 v6, 29, v55
	v_and_b32_e32 v5, 7, v5
	v_cndmask_b32_e64 v6, v52, v6, s[4:5]
	v_cndmask_b32_e64 v5, v51, v5, s[4:5]
	v_bfrev_b32_e32 v2, 60
	v_lshlrev_b32_e32 v5, 20, v5
	v_and_b32_sdwa v51, sext(v1), s54 dst_sel:DWORD dst_unused:UNUSED_PAD src0_sel:BYTE_0 src1_sel:DWORD
	v_lshl_add_u32 v6, v6, 23, v2
	v_or3_b32 v51, v51, v6, v5
	v_mov_b32_e32 v52, v41
.LBB200_238:                            ;   in Loop: Header=BB200_13 Depth=1
	s_or_b64 exec, exec, s[44:45]
.LBB200_239:                            ;   in Loop: Header=BB200_13 Depth=1
	s_or_b64 exec, exec, s[42:43]
.LBB200_240:                            ;   in Loop: Header=BB200_13 Depth=1
	s_or_b64 exec, exec, s[40:41]
	v_cmp_ne_u16_sdwa s[4:5], v1, v41 src0_sel:BYTE_1 src1_sel:DWORD
	s_and_saveexec_b64 s[40:41], s[4:5]
	s_cbranch_execz .LBB200_246
; %bb.241:                              ;   in Loop: Header=BB200_13 Depth=1
	v_mov_b32_e32 v37, v41
	v_cmp_ne_u16_sdwa s[4:5], v1, s52 src0_sel:BYTE_1 src1_sel:DWORD
	v_mov_b32_e32 v38, v42
	s_and_saveexec_b64 s[42:43], s[4:5]
	s_cbranch_execz .LBB200_245
; %bb.242:                              ;   in Loop: Header=BB200_13 Depth=1
	v_mov_b32_e32 v55, v41
	v_and_b32_sdwa v59, v1, s53 dst_sel:DWORD dst_unused:UNUSED_PAD src0_sel:BYTE_1 src1_sel:DWORD
	v_mov_b32_e32 v37, v55
	v_cmp_ne_u32_e64 s[4:5], s53, v59
	v_mov_b32_e32 v38, v56
	s_and_saveexec_b64 s[44:45], s[4:5]
	s_cbranch_execz .LBB200_244
; %bb.243:                              ;   in Loop: Header=BB200_13 Depth=1
	v_mov_b32_e32 v2, 7
	v_and_b32_sdwa v5, v1, v2 dst_sel:DWORD dst_unused:UNUSED_PAD src0_sel:BYTE_1 src1_sel:DWORD
	v_ffbh_u32_e32 v37, v5
	v_lshrrev_b32_e32 v55, 3, v59
	v_cmp_gt_u32_e64 s[4:5], 8, v59
	v_min_u32_e32 v59, 32, v37
	v_mov_b32_e32 v6, v41
	v_subrev_u32_e32 v37, 28, v59
	v_lshlrev_b64 v[37:38], v37, v[5:6]
	v_sub_u32_e32 v6, 29, v59
	v_and_b32_e32 v37, 7, v37
	v_cndmask_b32_e64 v6, v55, v6, s[4:5]
	v_bfrev_b32_e32 v2, 60
	v_cndmask_b32_e64 v5, v5, v37, s[4:5]
	v_lshlrev_b32_e32 v1, 16, v1
	v_lshl_add_u32 v6, v6, 23, v2
	v_and_or_b32 v1, v1, s54, v6
	v_lshlrev_b32_e32 v5, 20, v5
	v_or_b32_e32 v38, v1, v5
	v_mov_b32_e32 v37, v41
.LBB200_244:                            ;   in Loop: Header=BB200_13 Depth=1
	s_or_b64 exec, exec, s[44:45]
.LBB200_245:                            ;   in Loop: Header=BB200_13 Depth=1
	s_or_b64 exec, exec, s[42:43]
.LBB200_246:                            ;   in Loop: Header=BB200_13 Depth=1
	s_or_b64 exec, exec, s[40:41]
	global_load_ushort v5, v[57:58], off offset:2060
	v_mov_b32_e32 v59, 0
	v_mov_b32_e32 v57, 0
	;; [unrolled: 1-line block ×4, first 2 shown]
	s_waitcnt vmcnt(0)
	v_and_b32_e32 v1, 0xffff, v5
	v_cmp_ne_u16_sdwa s[4:5], v5, v41 src0_sel:BYTE_0 src1_sel:DWORD
	s_and_saveexec_b64 s[40:41], s[4:5]
	s_cbranch_execz .LBB200_252
; %bb.247:                              ;   in Loop: Header=BB200_13 Depth=1
	v_bfrev_b32_e32 v57, 1
	v_mov_b32_e32 v58, 0
	v_cmp_ne_u16_sdwa s[4:5], v1, s52 src0_sel:BYTE_0 src1_sel:DWORD
	s_and_saveexec_b64 s[42:43], s[4:5]
	s_cbranch_execz .LBB200_251
; %bb.248:                              ;   in Loop: Header=BB200_13 Depth=1
	v_and_b32_e32 v5, 0x7f, v1
	v_mov_b32_e32 v57, 0x7f800001
	v_mov_b32_e32 v58, 0
	v_cmp_ne_u32_e64 s[4:5], s53, v5
	s_and_saveexec_b64 s[44:45], s[4:5]
	s_cbranch_execz .LBB200_250
; %bb.249:                              ;   in Loop: Header=BB200_13 Depth=1
	v_and_b32_e32 v55, 7, v1
	v_lshrrev_b32_e32 v57, 3, v5
	v_cmp_gt_u32_e64 s[4:5], 8, v5
	v_ffbh_u32_e32 v5, v55
	v_min_u32_e32 v58, 32, v5
	v_subrev_u32_e32 v5, 28, v58
	v_lshlrev_b64 v[5:6], v5, v[1:2]
	v_sub_u32_e32 v6, 29, v58
	v_and_b32_e32 v5, 7, v5
	v_cndmask_b32_e64 v6, v57, v6, s[4:5]
	v_cndmask_b32_e64 v5, v55, v5, s[4:5]
	v_bfrev_b32_e32 v2, 60
	v_lshlrev_b32_e32 v5, 20, v5
	v_and_b32_sdwa v55, sext(v1), s54 dst_sel:DWORD dst_unused:UNUSED_PAD src0_sel:BYTE_0 src1_sel:DWORD
	v_lshl_add_u32 v6, v6, 23, v2
	v_or3_b32 v57, v55, v6, v5
	v_mov_b32_e32 v58, v41
.LBB200_250:                            ;   in Loop: Header=BB200_13 Depth=1
	s_or_b64 exec, exec, s[44:45]
.LBB200_251:                            ;   in Loop: Header=BB200_13 Depth=1
	s_or_b64 exec, exec, s[42:43]
.LBB200_252:                            ;   in Loop: Header=BB200_13 Depth=1
	s_or_b64 exec, exec, s[40:41]
	v_mov_b32_e32 v14, v10
	v_mov_b32_e32 v13, v9
	v_cmp_ne_u16_sdwa s[4:5], v1, v41 src0_sel:BYTE_1 src1_sel:DWORD
	s_and_saveexec_b64 s[40:41], s[4:5]
	s_cbranch_execz .LBB200_258
; %bb.253:                              ;   in Loop: Header=BB200_13 Depth=1
	v_mov_b32_e32 v60, v42
	v_cmp_ne_u16_sdwa s[4:5], v1, s52 src0_sel:BYTE_1 src1_sel:DWORD
	v_mov_b32_e32 v59, v41
	s_and_saveexec_b64 s[42:43], s[4:5]
	s_cbranch_execz .LBB200_257
; %bb.254:                              ;   in Loop: Header=BB200_13 Depth=1
	v_and_b32_sdwa v5, v1, s53 dst_sel:DWORD dst_unused:UNUSED_PAD src0_sel:BYTE_1 src1_sel:DWORD
	v_mov_b32_e32 v55, v41
	v_mov_b32_e32 v60, v56
	v_cmp_ne_u32_e64 s[4:5], s53, v5
	v_mov_b32_e32 v59, v55
	s_and_saveexec_b64 s[44:45], s[4:5]
	s_cbranch_execz .LBB200_256
; %bb.255:                              ;   in Loop: Header=BB200_13 Depth=1
	v_mov_b32_e32 v2, 7
	v_and_b32_sdwa v59, v1, v2 dst_sel:DWORD dst_unused:UNUSED_PAD src0_sel:BYTE_1 src1_sel:DWORD
	v_lshrrev_b32_e32 v55, 3, v5
	v_cmp_gt_u32_e64 s[4:5], 8, v5
	v_ffbh_u32_e32 v5, v59
	v_min_u32_e32 v2, 32, v5
	v_mov_b32_e32 v60, v41
	v_subrev_u32_e32 v3, 28, v2
	v_lshlrev_b64 v[5:6], v3, v[59:60]
	v_sub_u32_e32 v2, 29, v2
	v_and_b32_e32 v3, 7, v5
	v_cndmask_b32_e64 v2, v55, v2, s[4:5]
	v_bfrev_b32_e32 v5, 60
	v_cndmask_b32_e64 v3, v59, v3, s[4:5]
	v_lshlrev_b32_e32 v1, 16, v1
	v_lshl_add_u32 v2, v2, 23, v5
	v_and_or_b32 v1, v1, s54, v2
	v_lshlrev_b32_e32 v2, 20, v3
	v_or_b32_e32 v60, v1, v2
	v_mov_b32_e32 v59, v41
.LBB200_256:                            ;   in Loop: Header=BB200_13 Depth=1
	s_or_b64 exec, exec, s[44:45]
.LBB200_257:                            ;   in Loop: Header=BB200_13 Depth=1
	s_or_b64 exec, exec, s[42:43]
.LBB200_258:                            ;   in Loop: Header=BB200_13 Depth=1
	s_or_b64 exec, exec, s[40:41]
	buffer_load_dword v1, off, s[56:59], 0 offset:8 ; 4-byte Folded Reload
	buffer_load_dword v2, off, s[56:59], 0 offset:12 ; 4-byte Folded Reload
	buffer_load_dword v5, off, s[56:59], 0 offset:16 ; 4-byte Folded Reload
	buffer_load_dword v6, off, s[56:59], 0 offset:20 ; 4-byte Folded Reload
	v_or_b32_e32 v24, v26, v24
	v_or_b32_e32 v23, v25, v23
	;; [unrolled: 1-line block ×6, first 2 shown]
	v_mul_f32_e32 v17, s55, v24
	v_mul_f32_e32 v18, s55, v23
	;; [unrolled: 1-line block ×4, first 2 shown]
	v_or_b32_e32 v30, v30, v50
	v_or_b32_e32 v27, v43, v27
	;; [unrolled: 1-line block ×4, first 2 shown]
	v_mul_f32_e32 v20, s55, v20
	v_mul_f32_e32 v21, s55, v21
	v_or_b32_e32 v32, v48, v32
	v_or_b32_e32 v31, v47, v31
	;; [unrolled: 1-line block ×4, first 2 shown]
	s_waitcnt vmcnt(1)
	v_or_b32_e32 v1, v5, v1
	s_waitcnt vmcnt(0)
	v_or_b32_e32 v2, v6, v2
	buffer_load_dword v5, off, s[56:59], 0  ; 4-byte Folded Reload
	buffer_load_dword v6, off, s[56:59], 0 offset:4 ; 4-byte Folded Reload
	v_mul_f32_e32 v1, s55, v1
	v_mul_f32_e32 v2, s55, v2
	s_waitcnt vmcnt(1)
	v_or_b32_e32 v5, v5, v11
	s_waitcnt vmcnt(0)
	v_or_b32_e32 v3, v6, v12
	buffer_load_dword v9, off, s[56:59], 0 offset:276 ; 4-byte Folded Reload
	buffer_load_dword v10, off, s[56:59], 0 offset:280 ; 4-byte Folded Reload
	;; [unrolled: 1-line block ×4, first 2 shown]
	v_mul_f32_e32 v5, s55, v5
	v_mul_f32_e32 v3, s55, v3
	s_waitcnt vmcnt(1)
	v_mul_f32_e32 v1, v11, v1
	s_waitcnt vmcnt(0)
	v_mul_f32_e32 v55, v12, v2
	v_fmac_f32_e32 v1, v9, v5
	v_fmac_f32_e32 v55, v10, v3
	buffer_load_dword v5, off, s[56:59], 0 offset:40 ; 4-byte Folded Reload
	buffer_load_dword v6, off, s[56:59], 0 offset:44 ; 4-byte Folded Reload
	;; [unrolled: 1-line block ×4, first 2 shown]
	s_waitcnt vmcnt(1)
	v_or_b32_e32 v3, v9, v5
	s_waitcnt vmcnt(0)
	v_or_b32_e32 v2, v10, v6
	buffer_load_dword v9, off, s[56:59], 0 offset:24 ; 4-byte Folded Reload
	buffer_load_dword v10, off, s[56:59], 0 offset:28 ; 4-byte Folded Reload
	;; [unrolled: 1-line block ×4, first 2 shown]
	v_mul_f32_e32 v3, s55, v3
	v_mul_f32_e32 v2, s55, v2
	s_waitcnt vmcnt(1)
	v_or_b32_e32 v6, v11, v9
	s_waitcnt vmcnt(0)
	v_or_b32_e32 v5, v12, v10
	buffer_load_dword v9, off, s[56:59], 0 offset:260 ; 4-byte Folded Reload
	buffer_load_dword v10, off, s[56:59], 0 offset:264 ; 4-byte Folded Reload
	;; [unrolled: 1-line block ×4, first 2 shown]
	v_mul_f32_e32 v6, s55, v6
	v_mul_f32_e32 v5, s55, v5
	s_waitcnt vmcnt(3)
	v_fmac_f32_e32 v1, v9, v6
	s_waitcnt vmcnt(2)
	v_fmac_f32_e32 v55, v10, v5
	buffer_load_dword v5, off, s[56:59], 0 offset:72 ; 4-byte Folded Reload
	buffer_load_dword v6, off, s[56:59], 0 offset:76 ; 4-byte Folded Reload
	buffer_load_dword v9, off, s[56:59], 0 offset:80 ; 4-byte Folded Reload
	buffer_load_dword v10, off, s[56:59], 0 offset:84 ; 4-byte Folded Reload
	s_waitcnt vmcnt(5)
	v_fmac_f32_e32 v1, v11, v3
	s_waitcnt vmcnt(4)
	v_fmac_f32_e32 v55, v12, v2
	s_waitcnt vmcnt(1)
	v_or_b32_e32 v3, v9, v5
	s_waitcnt vmcnt(0)
	v_or_b32_e32 v2, v10, v6
	buffer_load_dword v9, off, s[56:59], 0 offset:56 ; 4-byte Folded Reload
	buffer_load_dword v10, off, s[56:59], 0 offset:60 ; 4-byte Folded Reload
	;; [unrolled: 1-line block ×4, first 2 shown]
	v_mul_f32_e32 v3, s55, v3
	v_mul_f32_e32 v2, s55, v2
	s_waitcnt vmcnt(1)
	v_or_b32_e32 v6, v11, v9
	s_waitcnt vmcnt(0)
	v_or_b32_e32 v5, v12, v10
	buffer_load_dword v9, off, s[56:59], 0 offset:244 ; 4-byte Folded Reload
	buffer_load_dword v10, off, s[56:59], 0 offset:248 ; 4-byte Folded Reload
	;; [unrolled: 1-line block ×4, first 2 shown]
	v_mul_f32_e32 v6, s55, v6
	v_mul_f32_e32 v5, s55, v5
	s_waitcnt vmcnt(3)
	v_fmac_f32_e32 v1, v9, v6
	s_waitcnt vmcnt(2)
	v_fmac_f32_e32 v55, v10, v5
	buffer_load_dword v9, off, s[56:59], 0 offset:120 ; 4-byte Folded Reload
	buffer_load_dword v10, off, s[56:59], 0 offset:124 ; 4-byte Folded Reload
	v_or_b32_e32 v5, v34, v40
	v_or_b32_e32 v34, v53, v35
	s_waitcnt vmcnt(3)
	v_fmac_f32_e32 v1, v11, v3
	s_waitcnt vmcnt(2)
	v_fmac_f32_e32 v55, v12, v2
	v_or_b32_e32 v3, v37, v51
	v_or_b32_e32 v6, v33, v39
	;; [unrolled: 1-line block ×4, first 2 shown]
	v_mul_f32_e32 v5, s55, v5
	v_mul_f32_e32 v6, s55, v6
	;; [unrolled: 1-line block ×4, first 2 shown]
	s_waitcnt vmcnt(1)
	v_or_b32_e32 v35, v15, v9
	s_waitcnt vmcnt(0)
	v_or_b32_e32 v26, v16, v10
	buffer_load_dword v9, off, s[56:59], 0 offset:112 ; 4-byte Folded Reload
	buffer_load_dword v10, off, s[56:59], 0 offset:116 ; 4-byte Folded Reload
	v_mul_f32_e32 v23, s55, v26
	v_mul_f32_e32 v24, s55, v35
	;; [unrolled: 1-line block ×4, first 2 shown]
	s_waitcnt vmcnt(1)
	v_or_b32_e32 v37, v9, v13
	s_waitcnt vmcnt(0)
	v_or_b32_e32 v36, v10, v14
	buffer_load_dword v9, off, s[56:59], 0 offset:292 ; 4-byte Folded Reload
	buffer_load_dword v10, off, s[56:59], 0 offset:296 ; 4-byte Folded Reload
	;; [unrolled: 1-line block ×4, first 2 shown]
	v_mul_f32_e32 v25, s55, v36
	v_mul_f32_e32 v26, s55, v37
	;; [unrolled: 1-line block ×4, first 2 shown]
	s_waitcnt vmcnt(1)
	v_or_b32_e32 v39, v11, v9
	s_waitcnt vmcnt(0)
	v_or_b32_e32 v38, v12, v10
	buffer_load_dword v9, off, s[56:59], 0 offset:88 ; 4-byte Folded Reload
	buffer_load_dword v10, off, s[56:59], 0 offset:92 ; 4-byte Folded Reload
	;; [unrolled: 1-line block ×5, first 2 shown]
	v_mul_f32_e32 v27, s55, v38
	v_mul_f32_e32 v28, s55, v39
	s_waitcnt vmcnt(2)
	v_or_b32_e32 v43, v11, v9
	s_waitcnt vmcnt(1)
	v_or_b32_e32 v40, v12, v10
	v_mul_f32_e32 v10, s55, v34
	buffer_load_dword v34, off, s[56:59], 0 offset:228 ; 4-byte Folded Reload
	buffer_load_dword v35, off, s[56:59], 0 offset:232 ; 4-byte Folded Reload
	;; [unrolled: 1-line block ×4, first 2 shown]
	v_mul_f32_e32 v29, s55, v40
	v_mul_f32_e32 v30, s55, v43
	;; [unrolled: 1-line block ×4, first 2 shown]
	s_waitcnt vmcnt(4)
	v_and_b32_e32 v9, 64, v49
	v_add_u32_e32 v9, 64, v9
	v_xor_b32_e32 v48, 1, v49
	v_cmp_lt_i32_e64 s[4:5], v48, v9
	v_mul_f32_e32 v9, s55, v33
	v_mul_f32_e32 v32, s55, v44
	;; [unrolled: 1-line block ×3, first 2 shown]
	v_cndmask_b32_e64 v31, v49, v48, s[4:5]
	v_lshlrev_b32_e32 v31, 2, v31
	s_waitcnt vmcnt(3)
	v_fmac_f32_e32 v1, v34, v30
	s_waitcnt vmcnt(2)
	v_fmac_f32_e32 v55, v35, v29
	s_waitcnt vmcnt(1)
	v_fmac_f32_e32 v1, v36, v28
	s_waitcnt vmcnt(0)
	v_fmac_f32_e32 v55, v37, v27
	buffer_load_dword v27, off, s[56:59], 0 offset:212 ; 4-byte Folded Reload
	buffer_load_dword v28, off, s[56:59], 0 offset:216 ; 4-byte Folded Reload
	buffer_load_dword v29, off, s[56:59], 0 offset:220 ; 4-byte Folded Reload
	buffer_load_dword v30, off, s[56:59], 0 offset:224 ; 4-byte Folded Reload
	s_waitcnt vmcnt(3)
	v_fmac_f32_e32 v1, v27, v26
	s_waitcnt vmcnt(2)
	v_fmac_f32_e32 v55, v28, v25
	s_waitcnt vmcnt(1)
	v_fmac_f32_e32 v1, v29, v24
	s_waitcnt vmcnt(0)
	v_fmac_f32_e32 v55, v30, v23
	buffer_load_dword v23, off, s[56:59], 0 offset:196 ; 4-byte Folded Reload
	buffer_load_dword v24, off, s[56:59], 0 offset:200 ; 4-byte Folded Reload
	buffer_load_dword v25, off, s[56:59], 0 offset:204 ; 4-byte Folded Reload
	buffer_load_dword v26, off, s[56:59], 0 offset:208 ; 4-byte Folded Reload
	;; [unrolled: 12-line block ×5, first 2 shown]
	s_waitcnt vmcnt(3)
	v_fmac_f32_e32 v1, v11, v10
	s_waitcnt vmcnt(2)
	v_fmac_f32_e32 v55, v12, v9
	buffer_load_dword v9, off, s[56:59], 0 offset:132 ; 4-byte Folded Reload
	buffer_load_dword v10, off, s[56:59], 0 offset:136 ; 4-byte Folded Reload
	;; [unrolled: 1-line block ×4, first 2 shown]
	s_waitcnt vmcnt(5)
	v_fmac_f32_e32 v1, v13, v6
	s_waitcnt vmcnt(4)
	v_fmac_f32_e32 v55, v14, v5
	s_waitcnt vmcnt(3)
	v_fmac_f32_e32 v1, v9, v3
	s_waitcnt vmcnt(2)
	v_fmac_f32_e32 v55, v10, v2
	s_waitcnt vmcnt(1)
	v_fmac_f32_e32 v1, v11, v33
	s_waitcnt vmcnt(0)
	v_fmac_f32_e32 v55, v12, v32
	v_add_f32_e32 v1, v1, v55
	ds_bpermute_b32 v2, v31, v1
	s_and_saveexec_b64 s[40:41], vcc
	s_cbranch_execz .LBB200_11
; %bb.259:                              ;   in Loop: Header=BB200_13 Depth=1
	buffer_load_dword v3, off, s[56:59], 0 offset:320 ; 4-byte Folded Reload
	buffer_load_dword v5, off, s[56:59], 0 offset:316 ; 4-byte Folded Reload
	s_waitcnt lgkmcnt(0)
	v_add_f32_e32 v1, v1, v2
	s_waitcnt vmcnt(1)
	v_add_u32_e32 v3, v3, v0
	v_cvt_f32_i32_e32 v3, v3
	v_mul_f32_e32 v2, s48, v3
	buffer_load_dword v3, off, s[56:59], 0 offset:300 ; 4-byte Folded Reload
	s_waitcnt vmcnt(1)
	v_add_u32_e32 v5, v5, v0
	v_cndmask_b32_e64 v2, 0, v2, s[2:3]
	v_fmac_f32_e32 v2, s37, v1
	v_cmp_gt_i32_e64 s[4:5], s33, v5
	v_cndmask_b32_e64 v1, 0, v2, s[4:5]
	ds_write_b32 v4, v1
	s_waitcnt vmcnt(0)
	v_max_f32_e32 v1, v3, v3
	v_max_f32_e32 v1, v1, v2
	v_cndmask_b32_e64 v3, v3, v1, s[4:5]
	buffer_store_dword v3, off, s[56:59], 0 offset:300 ; 4-byte Folded Spill
	s_branch .LBB200_11
.LBB200_260:
	s_or_b64 exec, exec, s[38:39]
	buffer_load_dword v16, off, s[56:59], 0 offset:324 ; 4-byte Folded Reload
	buffer_load_dword v42, off, s[56:59], 0 offset:328 ; 4-byte Folded Reload
	;; [unrolled: 1-line block ×5, first 2 shown]
	v_mbcnt_lo_u32_b32 v5, -1, 0
.LBB200_261:
	s_or_b64 exec, exec, s[18:19]
	v_mbcnt_hi_u32_b32 v0, -1, v5
	v_and_b32_e32 v6, 64, v0
	v_add_u32_e32 v8, 64, v6
	v_xor_b32_e32 v1, 32, v0
	v_cmp_lt_i32_e32 vcc, v1, v8
	v_cndmask_b32_e32 v1, v0, v1, vcc
	v_lshlrev_b32_e32 v1, 2, v1
	s_waitcnt vmcnt(0) lgkmcnt(0)
	ds_bpermute_b32 v2, v1, v3
	v_xor_b32_e32 v4, 16, v0
	v_max_f32_e32 v3, v3, v3
	v_cmp_lt_i32_e32 vcc, v4, v8
	v_xor_b32_e32 v5, 8, v0
	s_waitcnt lgkmcnt(0)
	v_max_f32_e32 v2, v2, v2
	v_max_f32_e32 v3, v3, v2
	v_cndmask_b32_e32 v2, v0, v4, vcc
	v_lshlrev_b32_e32 v2, 2, v2
	ds_bpermute_b32 v4, v2, v3
	v_cmp_lt_i32_e32 vcc, v5, v8
	v_xor_b32_e32 v9, 4, v0
	v_and_b32_e32 v17, 63, v16
	s_waitcnt lgkmcnt(0)
	v_max_f32_e32 v4, v4, v4
	v_max_f32_e32 v4, v3, v4
	v_cndmask_b32_e32 v3, v0, v5, vcc
	v_lshlrev_b32_e32 v3, 2, v3
	ds_bpermute_b32 v5, v3, v4
	v_cmp_lt_i32_e32 vcc, v9, v8
	s_waitcnt lgkmcnt(0)
	v_max_f32_e32 v5, v5, v5
	v_max_f32_e32 v4, v4, v5
	v_cndmask_b32_e32 v5, v0, v9, vcc
	v_lshlrev_b32_e32 v14, 2, v5
	ds_bpermute_b32 v5, v14, v4
	v_xor_b32_e32 v9, 2, v0
	v_cmp_lt_i32_e32 vcc, v9, v8
	s_waitcnt lgkmcnt(0)
	v_max_f32_e32 v5, v5, v5
	v_max_f32_e32 v5, v4, v5
	v_cndmask_b32_e32 v4, v0, v9, vcc
	v_lshlrev_b32_e32 v15, 2, v4
	ds_bpermute_b32 v9, v15, v5
	v_cmp_eq_u32_e32 vcc, 0, v17
	v_lshlrev_b32_e32 v4, 2, v42
	s_and_saveexec_b64 s[2:3], vcc
	s_cbranch_execz .LBB200_263
; %bb.262:
	s_waitcnt lgkmcnt(0)
	v_max_f32_e32 v9, v9, v9
	v_max_f32_e32 v5, v5, v5
	v_max_f32_e32 v5, v5, v9
	ds_write_b32 v4, v5 offset:320
.LBB200_263:
	s_or_b64 exec, exec, s[2:3]
	v_cmp_gt_u32_e64 s[2:3], 2, v17
	s_waitcnt lgkmcnt(0)
	v_mov_b32_e32 v9, 0xff7fffff
	v_lshlrev_b32_e32 v5, 2, v17
	s_barrier
	s_and_saveexec_b64 s[4:5], s[2:3]
; %bb.264:
	ds_read_b32 v9, v5 offset:320
; %bb.265:
	s_or_b64 exec, exec, s[4:5]
	v_xor_b32_e32 v10, 1, v0
	v_cmp_lt_i32_e64 s[4:5], v10, v8
	v_cndmask_b32_e64 v8, v0, v10, s[4:5]
	v_lshlrev_b32_e32 v18, 2, v8
	s_waitcnt lgkmcnt(0)
	ds_bpermute_b32 v8, v18, v9
	v_max_f32_e32 v9, v9, v9
	v_lshlrev_b32_e32 v6, 2, v6
	s_lshl_b32 s4, s20, 5
	s_min_i32 s37, s4, s33
	s_waitcnt lgkmcnt(0)
	v_max_f32_e32 v8, v8, v8
	v_max_f32_e32 v8, v9, v8
	ds_bpermute_b32 v8, v6, v8
	v_cmp_gt_i32_e64 s[4:5], s37, v16
	v_mov_b32_e32 v6, 0
	s_and_saveexec_b64 s[12:13], s[4:5]
	s_cbranch_execz .LBB200_269
; %bb.266:
	v_mov_b32_e32 v6, 0x150
	v_lshl_add_u32 v9, v16, 2, v6
	v_mov_b32_e32 v6, 0
	s_mov_b64 s[18:19], 0
	v_mov_b32_e32 v10, v16
.LBB200_267:                            ; =>This Inner Loop Header: Depth=1
	ds_read_b32 v11, v9
	v_add_u32_e32 v10, 0x80, v10
	v_cmp_le_i32_e64 s[6:7], s37, v10
	s_or_b64 s[18:19], s[6:7], s[18:19]
	s_waitcnt lgkmcnt(0)
	v_sub_f32_e32 v11, v11, v8
	v_mul_f32_e32 v11, 0x3fb8aa3b, v11
	v_exp_f32_e32 v11, v11
	ds_write_b32 v9, v11
	v_add_f32_e32 v6, v6, v11
	v_add_u32_e32 v9, 0x200, v9
	s_andn2_b64 exec, exec, s[18:19]
	s_cbranch_execnz .LBB200_267
; %bb.268:
	s_or_b64 exec, exec, s[18:19]
.LBB200_269:
	s_or_b64 exec, exec, s[12:13]
	ds_bpermute_b32 v1, v1, v6
	s_waitcnt lgkmcnt(0)
	v_add_f32_e32 v1, v6, v1
	ds_bpermute_b32 v2, v2, v1
	s_waitcnt lgkmcnt(0)
	v_add_f32_e32 v1, v1, v2
	;; [unrolled: 3-line block ×6, first 2 shown]
	s_and_saveexec_b64 s[6:7], vcc
; %bb.270:
	ds_write_b32 v4, v1 offset:328
; %bb.271:
	s_or_b64 exec, exec, s[6:7]
	s_waitcnt lgkmcnt(0)
	s_barrier
	s_and_saveexec_b64 s[6:7], s[2:3]
; %bb.272:
	ds_read_b32 v1, v5 offset:328
; %bb.273:
	s_or_b64 exec, exec, s[6:7]
	s_waitcnt lgkmcnt(0)
	ds_bpermute_b32 v2, v18, v1
	v_lshlrev_b32_e32 v0, 2, v0
	v_and_b32_e32 v0, 0x100, v0
	s_waitcnt lgkmcnt(0)
	v_add_f32_e32 v1, v1, v2
	ds_bpermute_b32 v0, v0, v1
	s_and_saveexec_b64 s[2:3], s[4:5]
	s_cbranch_execz .LBB200_276
; %bb.274:
	s_waitcnt lgkmcnt(0)
	v_add_f32_e32 v1, 0x358637bd, v0
	v_div_scale_f32 v0, s[4:5], v1, v1, 1.0
	v_div_scale_f32 v2, vcc, 1.0, v1, 1.0
	s_mov_b64 s[4:5], 0
	v_rcp_f32_e32 v3, v0
	v_fma_f32 v4, -v0, v3, 1.0
	v_fmac_f32_e32 v3, v4, v3
	v_mul_f32_e32 v4, v2, v3
	v_fma_f32 v5, -v0, v4, v2
	v_fmac_f32_e32 v4, v5, v3
	v_fma_f32 v0, -v0, v4, v2
	v_div_fmas_f32 v2, v0, v3, v4
	v_mov_b32_e32 v0, 0x150
	v_lshl_add_u32 v0, v16, 2, v0
	v_div_fixup_f32 v1, v2, v1, 1.0
	v_mov_b32_e32 v2, v16
.LBB200_275:                            ; =>This Inner Loop Header: Depth=1
	ds_read_b32 v3, v0
	v_add_u32_e32 v2, 0x80, v2
	v_cmp_le_i32_e32 vcc, s37, v2
	s_or_b64 s[4:5], vcc, s[4:5]
	s_waitcnt lgkmcnt(0)
	v_mul_f32_e32 v3, v1, v3
	ds_write_b32 v0, v3
	v_add_u32_e32 v0, 0x200, v0
	s_andn2_b64 exec, exec, s[4:5]
	s_cbranch_execnz .LBB200_275
.LBB200_276:
	s_or_b64 exec, exec, s[2:3]
	s_waitcnt lgkmcnt(0)
	v_mov_b32_e32 v0, 0
	s_barrier
	buffer_store_dword v0, off, s[56:59], 0 offset:104 ; 4-byte Folded Spill
	v_mov_b32_e32 v0, 0
	buffer_store_dword v0, off, s[56:59], 0 offset:96 ; 4-byte Folded Spill
	v_mov_b32_e32 v0, 0
	v_and_b32_e32 v19, 7, v16
	v_mov_b32_e32 v60, 0
	v_mov_b32_e32 v58, 0
	;; [unrolled: 1-line block ×3, first 2 shown]
	buffer_store_dword v0, off, s[56:59], 0 offset:88 ; 4-byte Folded Spill
	v_mov_b32_e32 v54, 0
	v_mov_b32_e32 v0, 0
	;; [unrolled: 1-line block ×4, first 2 shown]
	buffer_store_dword v0, off, s[56:59], 0 offset:80 ; 4-byte Folded Spill
	s_and_saveexec_b64 s[2:3], s[0:1]
	s_cbranch_execz .LBB200_542
; %bb.277:
	s_sub_i32 s21, s16, s21
	s_ashr_i32 s0, s47, 31
	s_add_u32 s4, s34, s47
	s_addc_u32 s5, s35, s0
	s_abs_i32 s22, s22
	v_cvt_f32_u32_e32 v0, s22
	s_sub_i32 s0, 0, s22
	v_and_b32_e32 v1, 28, v12
	buffer_store_dword v18, off, s[56:59], 0 offset:180 ; 4-byte Folded Spill
	buffer_store_dword v15, off, s[56:59], 0 offset:164 ; 4-byte Folded Spill
	buffer_store_dword v14, off, s[56:59], 0 offset:148 ; 4-byte Folded Spill
	buffer_store_dword v17, off, s[56:59], 0 offset:132 ; 4-byte Folded Spill
	v_rcp_iflag_f32_e32 v0, v0
	buffer_store_dword v1, off, s[56:59], 0 offset:120 ; 4-byte Folded Spill
	v_and_b32_e32 v1, 0xfc, v12
	s_add_i32 s35, s20, -1
	v_mul_f32_e32 v0, 0x4f7ffffe, v0
	v_cvt_u32_f32_e32 v0, v0
	v_and_b32_e32 v2, 60, v13
	v_mov_b32_e32 v4, s5
	v_add_co_u32_e32 v13, vcc, s4, v1
	v_mul_lo_u32 v3, s0, v0
	s_lshl_b64 s[0:1], s[30:31], 2
	s_add_u32 s0, s28, s0
	v_addc_co_u32_e32 v14, vcc, 0, v4, vcc
	v_mul_hi_u32 v3, v0, v3
	s_addc_u32 s1, s29, s1
	v_add_co_u32_e32 v9, vcc, s0, v2
	v_add_u32_e32 v45, v0, v3
	v_mov_b32_e32 v0, s1
	v_addc_co_u32_e32 v10, vcc, 0, v0, vcc
	v_lshlrev_b32_e32 v0, 4, v19
	v_mov_b32_e32 v5, 0
	v_lshl_or_b32 v0, v42, 7, v0
	s_mov_b32 s34, s17
	v_add_u32_e32 v41, 0x150, v0
	s_mov_b64 s[4:5], 0
	s_movk_i32 s28, 0x80
	s_movk_i32 s29, 0x7f
	s_brev_b32 s30, 1
	s_mov_b32 s31, 0xffffff
	v_bfrev_b32_e32 v37, 60
	v_bfrev_b32_e32 v6, 1
	v_mov_b32_e32 v12, 0x7f800001
	v_mov_b32_e32 v61, 24
	;; [unrolled: 1-line block ×9, first 2 shown]
	buffer_store_dword v19, off, s[56:59], 0 offset:196 ; 4-byte Folded Spill
	buffer_store_dword v0, off, s[56:59], 0 offset:80 ; 4-byte Folded Spill
	;; [unrolled: 1-line block ×6, first 2 shown]
	s_nop 0
	buffer_store_dword v14, off, s[56:59], 0 offset:116 ; 4-byte Folded Spill
	buffer_store_dword v45, off, s[56:59], 0 offset:128 ; 4-byte Folded Spill
	s_branch .LBB200_280
.LBB200_278:                            ;   in Loop: Header=BB200_280 Depth=1
	s_or_b64 exec, exec, s[0:1]
	buffer_load_dword v17, off, s[56:59], 0 offset:80 ; 4-byte Folded Reload
	v_mul_f32_e32 v16, v1, v36
	v_fmac_f32_e32 v16, v2, v35
	v_fmac_f32_e32 v16, v3, v23
	;; [unrolled: 1-line block ×3, first 2 shown]
	v_add_f32_e32 v47, v47, v16
	v_mul_f32_e32 v16, v1, v34
	v_fmac_f32_e32 v16, v2, v31
	v_fmac_f32_e32 v16, v3, v33
	;; [unrolled: 1-line block ×3, first 2 shown]
	v_mul_f32_e32 v0, v1, v26
	s_waitcnt vmcnt(0)
	v_add_f32_e32 v17, v17, v16
	v_mul_f32_e32 v16, v1, v30
	v_fmac_f32_e32 v16, v2, v48
	v_fmac_f32_e32 v16, v3, v29
	;; [unrolled: 1-line block ×3, first 2 shown]
	v_add_f32_e32 v54, v54, v16
	buffer_load_dword v16, off, s[56:59], 0 offset:72 ; 4-byte Folded Reload
	s_waitcnt vmcnt(0)
	v_fmac_f32_e32 v0, v2, v16
	buffer_load_dword v16, off, s[56:59], 0 offset:88 ; 4-byte Folded Reload
	v_fmac_f32_e32 v0, v3, v62
	v_fmac_f32_e32 v0, v4, v27
	buffer_store_dword v17, off, s[56:59], 0 offset:80 ; 4-byte Folded Spill
	s_waitcnt vmcnt(1)
	v_add_f32_e32 v16, v16, v0
	buffer_load_dword v0, off, s[56:59], 0 offset:64 ; 4-byte Folded Reload
	s_nop 0
	buffer_store_dword v16, off, s[56:59], 0 offset:88 ; 4-byte Folded Spill
	buffer_load_dword v16, off, s[56:59], 0 offset:56 ; 4-byte Folded Reload
	s_waitcnt vmcnt(2)
	v_mul_f32_e32 v0, v1, v0
	v_fmac_f32_e32 v0, v2, v43
	s_waitcnt vmcnt(0)
	v_fmac_f32_e32 v0, v3, v16
	v_fmac_f32_e32 v0, v4, v8
	buffer_load_dword v8, off, s[56:59], 0 offset:96 ; 4-byte Folded Reload
	v_add_f32_e32 v56, v56, v0
	v_mul_f32_e32 v0, v1, v25
	v_fmac_f32_e32 v0, v2, v44
	v_fmac_f32_e32 v0, v3, v24
	;; [unrolled: 1-line block ×3, first 2 shown]
	s_waitcnt vmcnt(0)
	v_add_f32_e32 v8, v8, v0
	v_mul_f32_e32 v0, v1, v57
	v_fmac_f32_e32 v0, v2, v46
	v_fmac_f32_e32 v0, v3, v55
	;; [unrolled: 1-line block ×3, first 2 shown]
	v_add_f32_e32 v58, v58, v0
	buffer_load_dword v0, off, s[56:59], 0 offset:48 ; 4-byte Folded Reload
	s_nop 0
	buffer_store_dword v8, off, s[56:59], 0 offset:96 ; 4-byte Folded Spill
	buffer_load_dword v8, off, s[56:59], 0 offset:24 ; 4-byte Folded Reload
	s_waitcnt vmcnt(2)
	v_mul_f32_e32 v0, v1, v0
	s_waitcnt vmcnt(0)
	v_fmac_f32_e32 v0, v2, v8
	buffer_load_dword v8, off, s[56:59], 0 offset:40 ; 4-byte Folded Reload
	s_waitcnt vmcnt(0)
	v_fmac_f32_e32 v0, v3, v8
	buffer_load_dword v8, off, s[56:59], 0 offset:32 ; 4-byte Folded Reload
	s_waitcnt vmcnt(0)
	v_fmac_f32_e32 v0, v4, v8
	v_add_f32_e32 v60, v60, v0
	buffer_load_dword v0, off, s[56:59], 0 offset:16 ; 4-byte Folded Reload
	buffer_load_dword v8, off, s[56:59], 0 offset:8 ; 4-byte Folded Reload
	s_waitcnt vmcnt(1)
	v_mul_f32_e32 v0, v1, v0
	v_fmac_f32_e32 v0, v2, v59
	s_waitcnt vmcnt(0)
	v_fmac_f32_e32 v0, v3, v8
	buffer_load_dword v8, off, s[56:59], 0  ; 4-byte Folded Reload
	s_waitcnt vmcnt(0)
	v_fmac_f32_e32 v0, v4, v8
	buffer_load_dword v8, off, s[56:59], 0 offset:104 ; 4-byte Folded Reload
	s_waitcnt vmcnt(0)
	v_add_f32_e32 v8, v8, v0
	v_mul_f32_e32 v0, v1, v15
	v_fmac_f32_e32 v0, v2, v11
	v_fmac_f32_e32 v0, v3, v14
	;; [unrolled: 1-line block ×3, first 2 shown]
	v_add_f32_e32 v38, v38, v0
	buffer_store_dword v8, off, s[56:59], 0 offset:104 ; 4-byte Folded Spill
.LBB200_279:                            ;   in Loop: Header=BB200_280 Depth=1
	s_or_b64 exec, exec, s[6:7]
	v_add_co_u32_e32 v9, vcc, 8, v9
	v_add_u32_e32 v42, 2, v42
	v_addc_co_u32_e32 v10, vcc, 0, v10, vcc
	v_cmp_le_i32_e32 vcc, s20, v42
	v_add_u32_e32 v7, 64, v7
	s_or_b64 s[4:5], vcc, s[4:5]
	v_add_u32_e32 v41, 0x100, v41
	s_andn2_b64 exec, exec, s[4:5]
	s_cbranch_execz .LBB200_541
.LBB200_280:                            ; =>This Inner Loop Header: Depth=1
	v_mul_hi_u32 v0, v7, s46
	v_mul_lo_u32 v1, v0, s25
	v_add_u32_e32 v2, 1, v0
	v_sub_u32_e32 v1, v7, v1
	v_cmp_le_u32_e32 vcc, s25, v1
	v_cndmask_b32_e32 v0, v0, v2, vcc
	v_subrev_u32_e32 v2, s25, v1
	v_cndmask_b32_e32 v1, v1, v2, vcc
	v_add_u32_e32 v2, 1, v0
	v_cmp_le_u32_e32 vcc, s25, v1
	v_cndmask_b32_e32 v0, v0, v2, vcc
	v_xor_b32_e32 v0, s23, v0
	v_subrev_u32_e32 v0, s23, v0
	v_add_u32_e32 v1, s36, v0
	v_sub_u32_e32 v2, 0, v1
	v_max_i32_e32 v2, v1, v2
	v_mul_hi_u32 v3, v2, v45
	v_ashrrev_i32_e32 v1, 31, v1
	v_cmp_lt_i32_e64 s[0:1], s21, v0
	v_mul_lo_u32 v3, v3, s22
	v_sub_u32_e32 v2, v2, v3
	v_subrev_u32_e32 v3, s22, v2
	v_cmp_le_u32_e32 vcc, s22, v2
	v_cndmask_b32_e32 v2, v2, v3, vcc
	v_subrev_u32_e32 v3, s22, v2
	v_cmp_le_u32_e32 vcc, s22, v2
	v_cndmask_b32_e32 v2, v2, v3, vcc
	v_xor_b32_e32 v2, v2, v1
	v_sub_u32_e32 v1, v2, v1
	v_cmp_eq_u32_e32 vcc, 0, v1
	s_or_b64 s[0:1], vcc, s[0:1]
	s_and_saveexec_b64 s[6:7], s[0:1]
	s_cbranch_execz .LBB200_279
; %bb.281:                              ;   in Loop: Header=BB200_280 Depth=1
	global_load_dword v0, v[9:10], off
	buffer_load_dword v1, off, s[56:59], 0 offset:112 ; 4-byte Folded Reload
	buffer_load_dword v2, off, s[56:59], 0 offset:116 ; 4-byte Folded Reload
	s_load_dword s37, s[14:15], 0x0
	v_mov_b32_e32 v18, 0
	v_mov_b32_e32 v16, 0
	;; [unrolled: 1-line block ×4, first 2 shown]
	s_waitcnt vmcnt(0)
	v_mad_i64_i32 v[13:14], s[0:1], v0, s34, v[1:2]
	ds_read_b128 v[1:4], v41
	global_load_dword v15, v[13:14], off
	s_waitcnt vmcnt(0)
	v_cmp_ne_u16_sdwa s[12:13], v15, v5 src0_sel:BYTE_0 src1_sel:DWORD
	s_and_saveexec_b64 s[0:1], s[12:13]
	s_cbranch_execz .LBB200_287
; %bb.282:                              ;   in Loop: Header=BB200_280 Depth=1
	v_bfrev_b32_e32 v16, 1
	v_mov_b32_e32 v17, 0
	v_cmp_ne_u16_sdwa s[16:17], v15, s28 src0_sel:BYTE_0 src1_sel:DWORD
	s_and_saveexec_b64 s[12:13], s[16:17]
	s_cbranch_execz .LBB200_286
; %bb.283:                              ;   in Loop: Header=BB200_280 Depth=1
	v_and_b32_e32 v0, 0x7f, v15
	v_mov_b32_e32 v16, 0x7f800001
	v_mov_b32_e32 v17, 0
	v_cmp_ne_u32_e32 vcc, s29, v0
	s_and_saveexec_b64 s[16:17], vcc
	s_cbranch_execz .LBB200_285
; %bb.284:                              ;   in Loop: Header=BB200_280 Depth=1
	v_and_b32_e32 v8, 7, v15
	v_ffbh_u32_e32 v16, v8
	v_min_u32_e32 v20, 32, v16
	v_subrev_u32_e32 v16, 28, v20
	v_lshlrev_b64 v[16:17], v16, v[15:16]
	v_lshrrev_b32_e32 v11, 3, v0
	v_sub_u32_e32 v17, 29, v20
	v_and_b32_e32 v16, 7, v16
	v_cmp_gt_u32_e32 vcc, 8, v0
	v_cndmask_b32_e32 v0, v11, v17, vcc
	v_cndmask_b32_e32 v8, v8, v16, vcc
	v_lshlrev_b32_e32 v8, 20, v8
	v_and_b32_sdwa v11, sext(v15), s30 dst_sel:DWORD dst_unused:UNUSED_PAD src0_sel:BYTE_0 src1_sel:DWORD
	v_lshl_add_u32 v0, v0, 23, v37
	v_or3_b32 v16, v11, v0, v8
	v_mov_b32_e32 v17, v5
.LBB200_285:                            ;   in Loop: Header=BB200_280 Depth=1
	s_or_b64 exec, exec, s[16:17]
.LBB200_286:                            ;   in Loop: Header=BB200_280 Depth=1
	s_or_b64 exec, exec, s[12:13]
.LBB200_287:                            ;   in Loop: Header=BB200_280 Depth=1
	s_or_b64 exec, exec, s[0:1]
	v_cmp_ne_u16_sdwa s[12:13], v15, v5 src0_sel:BYTE_1 src1_sel:DWORD
	s_and_saveexec_b64 s[0:1], s[12:13]
	s_cbranch_execz .LBB200_293
; %bb.288:                              ;   in Loop: Header=BB200_280 Depth=1
	v_mov_b32_e32 v19, v6
	v_cmp_ne_u16_sdwa s[16:17], v15, s28 src0_sel:BYTE_1 src1_sel:DWORD
	v_mov_b32_e32 v18, v5
	s_and_saveexec_b64 s[12:13], s[16:17]
	s_cbranch_execz .LBB200_292
; %bb.289:                              ;   in Loop: Header=BB200_280 Depth=1
	v_and_b32_sdwa v0, v15, s29 dst_sel:DWORD dst_unused:UNUSED_PAD src0_sel:BYTE_1 src1_sel:DWORD
	v_mov_b32_e32 v11, v5
	v_mov_b32_e32 v19, v12
	v_cmp_ne_u32_e32 vcc, s29, v0
	v_mov_b32_e32 v18, v11
	s_and_saveexec_b64 s[16:17], vcc
	s_cbranch_execz .LBB200_291
; %bb.290:                              ;   in Loop: Header=BB200_280 Depth=1
	v_mov_b32_e32 v8, 7
	v_and_b32_sdwa v18, v15, v8 dst_sel:DWORD dst_unused:UNUSED_PAD src0_sel:BYTE_1 src1_sel:DWORD
	v_ffbh_u32_e32 v11, v18
	v_min_u32_e32 v11, 32, v11
	v_mov_b32_e32 v19, v5
	v_subrev_u32_e32 v20, 28, v11
	v_lshlrev_b64 v[19:20], v20, v[18:19]
	v_lshrrev_b32_e32 v8, 3, v0
	v_sub_u32_e32 v11, 29, v11
	v_cmp_gt_u32_e32 vcc, 8, v0
	v_and_b32_e32 v19, 7, v19
	v_cndmask_b32_e32 v0, v8, v11, vcc
	v_cndmask_b32_e32 v8, v18, v19, vcc
	v_lshlrev_b32_e32 v11, 16, v15
	v_lshl_add_u32 v0, v0, 23, v37
	v_and_or_b32 v0, v11, s30, v0
	v_lshlrev_b32_e32 v8, 20, v8
	v_or_b32_e32 v19, v0, v8
	v_mov_b32_e32 v18, v5
.LBB200_291:                            ;   in Loop: Header=BB200_280 Depth=1
	s_or_b64 exec, exec, s[16:17]
.LBB200_292:                            ;   in Loop: Header=BB200_280 Depth=1
	s_or_b64 exec, exec, s[12:13]
.LBB200_293:                            ;   in Loop: Header=BB200_280 Depth=1
	s_or_b64 exec, exec, s[0:1]
	v_lshrrev_b32_e32 v11, 16, v15
	v_mov_b32_e32 v22, 0
	v_mov_b32_e32 v20, 0
	;; [unrolled: 1-line block ×4, first 2 shown]
	v_cmp_ne_u16_sdwa s[12:13], v11, v5 src0_sel:BYTE_0 src1_sel:DWORD
	s_and_saveexec_b64 s[0:1], s[12:13]
	s_cbranch_execz .LBB200_299
; %bb.294:                              ;   in Loop: Header=BB200_280 Depth=1
	v_bfrev_b32_e32 v20, 1
	v_mov_b32_e32 v21, 0
	v_cmp_ne_u16_sdwa s[16:17], v11, s28 src0_sel:BYTE_0 src1_sel:DWORD
	s_and_saveexec_b64 s[12:13], s[16:17]
	s_cbranch_execz .LBB200_298
; %bb.295:                              ;   in Loop: Header=BB200_280 Depth=1
	v_bfe_u32 v0, v15, 16, 7
	v_mov_b32_e32 v20, 0x7f800001
	v_mov_b32_e32 v21, 0
	v_cmp_ne_u32_e32 vcc, s29, v0
	s_and_saveexec_b64 s[16:17], vcc
	s_cbranch_execz .LBB200_297
; %bb.296:                              ;   in Loop: Header=BB200_280 Depth=1
	v_and_b32_e32 v8, 7, v11
	v_ffbh_u32_e32 v20, v8
	v_min_u32_e32 v25, 32, v20
	v_subrev_u32_e32 v20, 28, v25
	v_lshlrev_b64 v[20:21], v20, v[11:12]
	v_lshrrev_b32_e32 v24, 3, v0
	v_sub_u32_e32 v21, 29, v25
	v_and_b32_e32 v20, 7, v20
	v_cmp_gt_u32_e32 vcc, 8, v0
	v_cndmask_b32_e32 v0, v24, v21, vcc
	v_cndmask_b32_e32 v8, v8, v20, vcc
	v_lshlrev_b32_e32 v8, 20, v8
	v_and_b32_sdwa v11, sext(v11), s30 dst_sel:DWORD dst_unused:UNUSED_PAD src0_sel:BYTE_0 src1_sel:DWORD
	v_lshl_add_u32 v0, v0, 23, v37
	v_or3_b32 v20, v11, v0, v8
	v_mov_b32_e32 v21, v5
.LBB200_297:                            ;   in Loop: Header=BB200_280 Depth=1
	s_or_b64 exec, exec, s[16:17]
.LBB200_298:                            ;   in Loop: Header=BB200_280 Depth=1
	s_or_b64 exec, exec, s[12:13]
.LBB200_299:                            ;   in Loop: Header=BB200_280 Depth=1
	s_or_b64 exec, exec, s[0:1]
	v_cmp_lt_u32_e32 vcc, s31, v15
	s_and_saveexec_b64 s[0:1], vcc
	s_cbranch_execz .LBB200_305
; %bb.300:                              ;   in Loop: Header=BB200_280 Depth=1
	v_mov_b32_e32 v23, v6
	v_cmp_ne_u32_sdwa s[16:17], v15, s28 src0_sel:BYTE_3 src1_sel:DWORD
	v_mov_b32_e32 v22, v5
	s_and_saveexec_b64 s[12:13], s[16:17]
	s_cbranch_execz .LBB200_304
; %bb.301:                              ;   in Loop: Header=BB200_280 Depth=1
	v_bfe_u32 v0, v15, 24, 7
	v_mov_b32_e32 v11, v5
	v_mov_b32_e32 v23, v12
	v_cmp_ne_u32_e32 vcc, s29, v0
	v_mov_b32_e32 v22, v11
	s_and_saveexec_b64 s[16:17], vcc
	s_cbranch_execz .LBB200_303
; %bb.302:                              ;   in Loop: Header=BB200_280 Depth=1
	v_mov_b32_e32 v8, 7
	v_and_b32_sdwa v22, v15, v8 dst_sel:DWORD dst_unused:UNUSED_PAD src0_sel:BYTE_3 src1_sel:DWORD
	v_ffbh_u32_e32 v11, v22
	v_min_u32_e32 v11, 32, v11
	v_mov_b32_e32 v23, v5
	v_subrev_u32_e32 v24, 28, v11
	v_lshlrev_b64 v[23:24], v24, v[22:23]
	v_lshrrev_b32_e32 v8, 3, v0
	v_sub_u32_e32 v11, 29, v11
	v_cmp_gt_u32_e32 vcc, 8, v0
	v_and_b32_e32 v23, 7, v23
	v_cndmask_b32_e32 v0, v8, v11, vcc
	v_cndmask_b32_e32 v8, v22, v23, vcc
	v_lshlrev_b32_sdwa v11, v61, v15 dst_sel:DWORD dst_unused:UNUSED_PAD src0_sel:DWORD src1_sel:BYTE_3
	v_lshl_add_u32 v0, v0, 23, v37
	v_and_or_b32 v0, v11, s30, v0
	v_lshlrev_b32_e32 v8, 20, v8
	v_or_b32_e32 v23, v0, v8
	v_mov_b32_e32 v22, v5
.LBB200_303:                            ;   in Loop: Header=BB200_280 Depth=1
	s_or_b64 exec, exec, s[16:17]
.LBB200_304:                            ;   in Loop: Header=BB200_280 Depth=1
	s_or_b64 exec, exec, s[12:13]
.LBB200_305:                            ;   in Loop: Header=BB200_280 Depth=1
	s_or_b64 exec, exec, s[0:1]
	buffer_load_dword v0, off, s[56:59], 0 offset:120 ; 4-byte Folded Reload
	v_or_b32_e32 v8, v18, v16
	v_cmp_eq_u32_e32 vcc, s35, v42
	s_waitcnt vmcnt(0)
	v_add_u32_e32 v49, v0, v7
	v_or_b32_e32 v0, v19, v17
	s_waitcnt lgkmcnt(0)
	v_mul_f32_e32 v59, s37, v0
	v_mul_f32_e32 v0, s37, v8
	buffer_store_dword v0, off, s[56:59], 0 offset:16 ; 4-byte Folded Spill
	v_or_b32_e32 v0, v23, v21
	v_or_b32_e32 v8, v22, v20
	v_mul_f32_e32 v8, s37, v8
	v_mul_f32_e32 v0, s37, v0
	v_add_u32_e32 v52, 1, v49
	v_add_u32_e32 v51, 2, v49
	;; [unrolled: 1-line block ×3, first 2 shown]
	buffer_store_dword v8, off, s[56:59], 0 offset:8 ; 4-byte Folded Spill
	buffer_store_dword v0, off, s[56:59], 0 ; 4-byte Folded Spill
	s_and_saveexec_b64 s[12:13], vcc
	s_cbranch_execz .LBB200_307
; %bb.306:                              ;   in Loop: Header=BB200_280 Depth=1
	buffer_load_dword v0, off, s[56:59], 0 offset:16 ; 4-byte Folded Reload
	v_cmp_gt_i32_e64 s[0:1], s33, v49
	s_waitcnt vmcnt(0)
	v_cndmask_b32_e64 v0, 0, v0, s[0:1]
	buffer_store_dword v0, off, s[56:59], 0 offset:16 ; 4-byte Folded Spill
	buffer_load_dword v0, off, s[56:59], 0 offset:8 ; 4-byte Folded Reload
	v_cmp_gt_i32_e64 s[0:1], s33, v52
	v_cndmask_b32_e64 v59, 0, v59, s[0:1]
	v_cmp_gt_i32_e64 s[0:1], s33, v51
	s_waitcnt vmcnt(0)
	v_cndmask_b32_e64 v0, 0, v0, s[0:1]
	buffer_store_dword v0, off, s[56:59], 0 offset:8 ; 4-byte Folded Spill
	buffer_load_dword v0, off, s[56:59], 0  ; 4-byte Folded Reload
	v_cmp_gt_i32_e64 s[0:1], s33, v50
	s_waitcnt vmcnt(0)
	v_cndmask_b32_e64 v0, 0, v0, s[0:1]
	buffer_store_dword v0, off, s[56:59], 0 ; 4-byte Folded Spill
.LBB200_307:                            ;   in Loop: Header=BB200_280 Depth=1
	s_or_b64 exec, exec, s[12:13]
	global_load_dword v15, v[13:14], off offset:256
	v_mov_b32_e32 v18, 0
	v_mov_b32_e32 v16, 0
	;; [unrolled: 1-line block ×4, first 2 shown]
	s_waitcnt vmcnt(0)
	v_cmp_ne_u16_sdwa s[0:1], v15, v5 src0_sel:BYTE_0 src1_sel:DWORD
	s_and_saveexec_b64 s[12:13], s[0:1]
	s_cbranch_execz .LBB200_313
; %bb.308:                              ;   in Loop: Header=BB200_280 Depth=1
	v_bfrev_b32_e32 v16, 1
	v_mov_b32_e32 v17, 0
	v_cmp_ne_u16_sdwa s[0:1], v15, s28 src0_sel:BYTE_0 src1_sel:DWORD
	s_and_saveexec_b64 s[16:17], s[0:1]
	s_cbranch_execz .LBB200_312
; %bb.309:                              ;   in Loop: Header=BB200_280 Depth=1
	v_and_b32_e32 v0, 0x7f, v15
	v_mov_b32_e32 v16, 0x7f800001
	v_mov_b32_e32 v17, 0
	v_cmp_ne_u32_e64 s[0:1], s29, v0
	s_and_saveexec_b64 s[18:19], s[0:1]
	s_cbranch_execz .LBB200_311
; %bb.310:                              ;   in Loop: Header=BB200_280 Depth=1
	v_and_b32_e32 v8, 7, v15
	v_ffbh_u32_e32 v16, v8
	v_min_u32_e32 v20, 32, v16
	v_subrev_u32_e32 v16, 28, v20
	v_lshlrev_b64 v[16:17], v16, v[15:16]
	v_lshrrev_b32_e32 v11, 3, v0
	v_sub_u32_e32 v17, 29, v20
	v_and_b32_e32 v16, 7, v16
	v_cmp_gt_u32_e64 s[0:1], 8, v0
	v_cndmask_b32_e64 v0, v11, v17, s[0:1]
	v_cndmask_b32_e64 v8, v8, v16, s[0:1]
	v_lshlrev_b32_e32 v8, 20, v8
	v_and_b32_sdwa v11, sext(v15), s30 dst_sel:DWORD dst_unused:UNUSED_PAD src0_sel:BYTE_0 src1_sel:DWORD
	v_lshl_add_u32 v0, v0, 23, v37
	v_or3_b32 v16, v11, v0, v8
	v_mov_b32_e32 v17, v5
.LBB200_311:                            ;   in Loop: Header=BB200_280 Depth=1
	s_or_b64 exec, exec, s[18:19]
.LBB200_312:                            ;   in Loop: Header=BB200_280 Depth=1
	s_or_b64 exec, exec, s[16:17]
.LBB200_313:                            ;   in Loop: Header=BB200_280 Depth=1
	s_or_b64 exec, exec, s[12:13]
	v_cmp_ne_u16_sdwa s[0:1], v15, v5 src0_sel:BYTE_1 src1_sel:DWORD
	s_and_saveexec_b64 s[12:13], s[0:1]
	s_cbranch_execz .LBB200_319
; %bb.314:                              ;   in Loop: Header=BB200_280 Depth=1
	v_mov_b32_e32 v19, v6
	v_cmp_ne_u16_sdwa s[0:1], v15, s28 src0_sel:BYTE_1 src1_sel:DWORD
	v_mov_b32_e32 v18, v5
	s_and_saveexec_b64 s[16:17], s[0:1]
	s_cbranch_execz .LBB200_318
; %bb.315:                              ;   in Loop: Header=BB200_280 Depth=1
	v_and_b32_sdwa v0, v15, s29 dst_sel:DWORD dst_unused:UNUSED_PAD src0_sel:BYTE_1 src1_sel:DWORD
	v_mov_b32_e32 v11, v5
	v_mov_b32_e32 v19, v12
	v_cmp_ne_u32_e64 s[0:1], s29, v0
	v_mov_b32_e32 v18, v11
	s_and_saveexec_b64 s[18:19], s[0:1]
	s_cbranch_execz .LBB200_317
; %bb.316:                              ;   in Loop: Header=BB200_280 Depth=1
	v_mov_b32_e32 v8, 7
	v_and_b32_sdwa v18, v15, v8 dst_sel:DWORD dst_unused:UNUSED_PAD src0_sel:BYTE_1 src1_sel:DWORD
	v_ffbh_u32_e32 v11, v18
	v_min_u32_e32 v11, 32, v11
	v_mov_b32_e32 v19, v5
	v_subrev_u32_e32 v20, 28, v11
	v_lshlrev_b64 v[19:20], v20, v[18:19]
	v_lshrrev_b32_e32 v8, 3, v0
	v_sub_u32_e32 v11, 29, v11
	v_cmp_gt_u32_e64 s[0:1], 8, v0
	v_and_b32_e32 v19, 7, v19
	v_cndmask_b32_e64 v0, v8, v11, s[0:1]
	v_cndmask_b32_e64 v8, v18, v19, s[0:1]
	v_lshlrev_b32_e32 v11, 16, v15
	v_lshl_add_u32 v0, v0, 23, v37
	v_and_or_b32 v0, v11, s30, v0
	v_lshlrev_b32_e32 v8, 20, v8
	v_or_b32_e32 v19, v0, v8
	v_mov_b32_e32 v18, v5
.LBB200_317:                            ;   in Loop: Header=BB200_280 Depth=1
	s_or_b64 exec, exec, s[18:19]
.LBB200_318:                            ;   in Loop: Header=BB200_280 Depth=1
	s_or_b64 exec, exec, s[16:17]
.LBB200_319:                            ;   in Loop: Header=BB200_280 Depth=1
	s_or_b64 exec, exec, s[12:13]
	v_lshrrev_b32_e32 v11, 16, v15
	v_mov_b32_e32 v22, 0
	v_mov_b32_e32 v20, 0
	;; [unrolled: 1-line block ×4, first 2 shown]
	v_cmp_ne_u16_sdwa s[0:1], v11, v5 src0_sel:BYTE_0 src1_sel:DWORD
	s_and_saveexec_b64 s[12:13], s[0:1]
	s_cbranch_execz .LBB200_325
; %bb.320:                              ;   in Loop: Header=BB200_280 Depth=1
	v_bfrev_b32_e32 v20, 1
	v_mov_b32_e32 v21, 0
	v_cmp_ne_u16_sdwa s[0:1], v11, s28 src0_sel:BYTE_0 src1_sel:DWORD
	s_and_saveexec_b64 s[16:17], s[0:1]
	s_cbranch_execz .LBB200_324
; %bb.321:                              ;   in Loop: Header=BB200_280 Depth=1
	v_bfe_u32 v0, v15, 16, 7
	v_mov_b32_e32 v20, 0x7f800001
	v_mov_b32_e32 v21, 0
	v_cmp_ne_u32_e64 s[0:1], s29, v0
	s_and_saveexec_b64 s[18:19], s[0:1]
	s_cbranch_execz .LBB200_323
; %bb.322:                              ;   in Loop: Header=BB200_280 Depth=1
	v_and_b32_e32 v8, 7, v11
	v_ffbh_u32_e32 v20, v8
	v_min_u32_e32 v25, 32, v20
	v_subrev_u32_e32 v20, 28, v25
	v_lshlrev_b64 v[20:21], v20, v[11:12]
	v_lshrrev_b32_e32 v24, 3, v0
	v_sub_u32_e32 v21, 29, v25
	v_and_b32_e32 v20, 7, v20
	v_cmp_gt_u32_e64 s[0:1], 8, v0
	v_cndmask_b32_e64 v0, v24, v21, s[0:1]
	v_cndmask_b32_e64 v8, v8, v20, s[0:1]
	v_lshlrev_b32_e32 v8, 20, v8
	v_and_b32_sdwa v11, sext(v11), s30 dst_sel:DWORD dst_unused:UNUSED_PAD src0_sel:BYTE_0 src1_sel:DWORD
	v_lshl_add_u32 v0, v0, 23, v37
	v_or3_b32 v20, v11, v0, v8
	v_mov_b32_e32 v21, v5
.LBB200_323:                            ;   in Loop: Header=BB200_280 Depth=1
	s_or_b64 exec, exec, s[18:19]
.LBB200_324:                            ;   in Loop: Header=BB200_280 Depth=1
	s_or_b64 exec, exec, s[16:17]
.LBB200_325:                            ;   in Loop: Header=BB200_280 Depth=1
	s_or_b64 exec, exec, s[12:13]
	v_cmp_lt_u32_e64 s[0:1], s31, v15
	s_and_saveexec_b64 s[12:13], s[0:1]
	s_cbranch_execz .LBB200_331
; %bb.326:                              ;   in Loop: Header=BB200_280 Depth=1
	v_mov_b32_e32 v23, v6
	v_cmp_ne_u32_sdwa s[0:1], v15, s28 src0_sel:BYTE_3 src1_sel:DWORD
	v_mov_b32_e32 v22, v5
	s_and_saveexec_b64 s[16:17], s[0:1]
	s_cbranch_execz .LBB200_330
; %bb.327:                              ;   in Loop: Header=BB200_280 Depth=1
	v_bfe_u32 v0, v15, 24, 7
	v_mov_b32_e32 v11, v5
	v_mov_b32_e32 v23, v12
	v_cmp_ne_u32_e64 s[0:1], s29, v0
	v_mov_b32_e32 v22, v11
	s_and_saveexec_b64 s[18:19], s[0:1]
	s_cbranch_execz .LBB200_329
; %bb.328:                              ;   in Loop: Header=BB200_280 Depth=1
	v_mov_b32_e32 v8, 7
	v_and_b32_sdwa v22, v15, v8 dst_sel:DWORD dst_unused:UNUSED_PAD src0_sel:BYTE_3 src1_sel:DWORD
	v_ffbh_u32_e32 v11, v22
	v_min_u32_e32 v11, 32, v11
	v_mov_b32_e32 v23, v5
	v_subrev_u32_e32 v24, 28, v11
	v_lshlrev_b64 v[23:24], v24, v[22:23]
	v_lshrrev_b32_e32 v8, 3, v0
	v_sub_u32_e32 v11, 29, v11
	v_cmp_gt_u32_e64 s[0:1], 8, v0
	v_and_b32_e32 v23, 7, v23
	v_cndmask_b32_e64 v0, v8, v11, s[0:1]
	v_cndmask_b32_e64 v8, v22, v23, s[0:1]
	v_lshlrev_b32_sdwa v11, v61, v15 dst_sel:DWORD dst_unused:UNUSED_PAD src0_sel:DWORD src1_sel:BYTE_3
	v_lshl_add_u32 v0, v0, 23, v37
	v_and_or_b32 v0, v11, s30, v0
	v_lshlrev_b32_e32 v8, 20, v8
	v_or_b32_e32 v23, v0, v8
	v_mov_b32_e32 v22, v5
.LBB200_329:                            ;   in Loop: Header=BB200_280 Depth=1
	s_or_b64 exec, exec, s[18:19]
.LBB200_330:                            ;   in Loop: Header=BB200_280 Depth=1
	s_or_b64 exec, exec, s[16:17]
.LBB200_331:                            ;   in Loop: Header=BB200_280 Depth=1
	s_or_b64 exec, exec, s[12:13]
	s_mov_b32 s38, s37
	v_or_b32_e32 v0, v19, v17
	v_or_b32_e32 v8, v18, v16
	v_mul_f32_e32 v0, s38, v0
	buffer_store_dword v0, off, s[56:59], 0 offset:24 ; 4-byte Folded Spill
	v_mul_f32_e32 v0, s37, v8
	buffer_store_dword v0, off, s[56:59], 0 offset:48 ; 4-byte Folded Spill
	v_or_b32_e32 v0, v23, v21
	v_or_b32_e32 v8, v22, v20
	v_mul_f32_e32 v8, s37, v8
	v_mul_f32_e32 v0, s38, v0
	buffer_store_dword v8, off, s[56:59], 0 offset:40 ; 4-byte Folded Spill
	buffer_store_dword v0, off, s[56:59], 0 offset:32 ; 4-byte Folded Spill
	s_and_saveexec_b64 s[12:13], vcc
	s_cbranch_execz .LBB200_333
; %bb.332:                              ;   in Loop: Header=BB200_280 Depth=1
	buffer_load_dword v0, off, s[56:59], 0 offset:48 ; 4-byte Folded Reload
	v_cmp_gt_i32_e64 s[0:1], s33, v49
	s_waitcnt vmcnt(0)
	v_cndmask_b32_e64 v0, 0, v0, s[0:1]
	buffer_store_dword v0, off, s[56:59], 0 offset:48 ; 4-byte Folded Spill
	buffer_load_dword v0, off, s[56:59], 0 offset:24 ; 4-byte Folded Reload
	v_cmp_gt_i32_e64 s[0:1], s33, v52
	s_waitcnt vmcnt(0)
	v_cndmask_b32_e64 v0, 0, v0, s[0:1]
	buffer_store_dword v0, off, s[56:59], 0 offset:24 ; 4-byte Folded Spill
	;; [unrolled: 5-line block ×4, first 2 shown]
.LBB200_333:                            ;   in Loop: Header=BB200_280 Depth=1
	s_or_b64 exec, exec, s[12:13]
	global_load_dword v15, v[13:14], off offset:512
	v_mov_b32_e32 v18, 0
	v_mov_b32_e32 v16, 0
	;; [unrolled: 1-line block ×4, first 2 shown]
	s_waitcnt vmcnt(0)
	v_cmp_ne_u16_sdwa s[0:1], v15, v5 src0_sel:BYTE_0 src1_sel:DWORD
	s_and_saveexec_b64 s[12:13], s[0:1]
	s_cbranch_execz .LBB200_339
; %bb.334:                              ;   in Loop: Header=BB200_280 Depth=1
	v_bfrev_b32_e32 v16, 1
	v_mov_b32_e32 v17, 0
	v_cmp_ne_u16_sdwa s[0:1], v15, s28 src0_sel:BYTE_0 src1_sel:DWORD
	s_and_saveexec_b64 s[16:17], s[0:1]
	s_cbranch_execz .LBB200_338
; %bb.335:                              ;   in Loop: Header=BB200_280 Depth=1
	v_and_b32_e32 v0, 0x7f, v15
	v_mov_b32_e32 v16, 0x7f800001
	v_mov_b32_e32 v17, 0
	v_cmp_ne_u32_e64 s[0:1], s29, v0
	s_and_saveexec_b64 s[18:19], s[0:1]
	s_cbranch_execz .LBB200_337
; %bb.336:                              ;   in Loop: Header=BB200_280 Depth=1
	v_and_b32_e32 v8, 7, v15
	v_ffbh_u32_e32 v16, v8
	v_min_u32_e32 v20, 32, v16
	v_subrev_u32_e32 v16, 28, v20
	v_lshlrev_b64 v[16:17], v16, v[15:16]
	v_lshrrev_b32_e32 v11, 3, v0
	v_sub_u32_e32 v17, 29, v20
	v_and_b32_e32 v16, 7, v16
	v_cmp_gt_u32_e64 s[0:1], 8, v0
	v_cndmask_b32_e64 v0, v11, v17, s[0:1]
	v_cndmask_b32_e64 v8, v8, v16, s[0:1]
	v_lshlrev_b32_e32 v8, 20, v8
	v_and_b32_sdwa v11, sext(v15), s30 dst_sel:DWORD dst_unused:UNUSED_PAD src0_sel:BYTE_0 src1_sel:DWORD
	v_lshl_add_u32 v0, v0, 23, v37
	v_or3_b32 v16, v11, v0, v8
	v_mov_b32_e32 v17, v5
.LBB200_337:                            ;   in Loop: Header=BB200_280 Depth=1
	s_or_b64 exec, exec, s[18:19]
.LBB200_338:                            ;   in Loop: Header=BB200_280 Depth=1
	s_or_b64 exec, exec, s[16:17]
.LBB200_339:                            ;   in Loop: Header=BB200_280 Depth=1
	s_or_b64 exec, exec, s[12:13]
	v_cmp_ne_u16_sdwa s[0:1], v15, v5 src0_sel:BYTE_1 src1_sel:DWORD
	s_and_saveexec_b64 s[12:13], s[0:1]
	s_cbranch_execz .LBB200_345
; %bb.340:                              ;   in Loop: Header=BB200_280 Depth=1
	v_mov_b32_e32 v19, v6
	v_cmp_ne_u16_sdwa s[0:1], v15, s28 src0_sel:BYTE_1 src1_sel:DWORD
	v_mov_b32_e32 v18, v5
	s_and_saveexec_b64 s[16:17], s[0:1]
	s_cbranch_execz .LBB200_344
; %bb.341:                              ;   in Loop: Header=BB200_280 Depth=1
	v_and_b32_sdwa v0, v15, s29 dst_sel:DWORD dst_unused:UNUSED_PAD src0_sel:BYTE_1 src1_sel:DWORD
	v_mov_b32_e32 v11, v5
	v_mov_b32_e32 v19, v12
	v_cmp_ne_u32_e64 s[0:1], s29, v0
	v_mov_b32_e32 v18, v11
	s_and_saveexec_b64 s[18:19], s[0:1]
	s_cbranch_execz .LBB200_343
; %bb.342:                              ;   in Loop: Header=BB200_280 Depth=1
	v_mov_b32_e32 v8, 7
	v_and_b32_sdwa v18, v15, v8 dst_sel:DWORD dst_unused:UNUSED_PAD src0_sel:BYTE_1 src1_sel:DWORD
	v_ffbh_u32_e32 v11, v18
	v_min_u32_e32 v11, 32, v11
	v_mov_b32_e32 v19, v5
	v_subrev_u32_e32 v20, 28, v11
	v_lshlrev_b64 v[19:20], v20, v[18:19]
	v_lshrrev_b32_e32 v8, 3, v0
	v_sub_u32_e32 v11, 29, v11
	v_cmp_gt_u32_e64 s[0:1], 8, v0
	v_and_b32_e32 v19, 7, v19
	v_cndmask_b32_e64 v0, v8, v11, s[0:1]
	v_cndmask_b32_e64 v8, v18, v19, s[0:1]
	v_lshlrev_b32_e32 v11, 16, v15
	v_lshl_add_u32 v0, v0, 23, v37
	v_and_or_b32 v0, v11, s30, v0
	v_lshlrev_b32_e32 v8, 20, v8
	v_or_b32_e32 v19, v0, v8
	v_mov_b32_e32 v18, v5
.LBB200_343:                            ;   in Loop: Header=BB200_280 Depth=1
	s_or_b64 exec, exec, s[18:19]
.LBB200_344:                            ;   in Loop: Header=BB200_280 Depth=1
	s_or_b64 exec, exec, s[16:17]
.LBB200_345:                            ;   in Loop: Header=BB200_280 Depth=1
	s_or_b64 exec, exec, s[12:13]
	v_lshrrev_b32_e32 v11, 16, v15
	v_mov_b32_e32 v22, 0
	v_mov_b32_e32 v20, 0
	;; [unrolled: 1-line block ×4, first 2 shown]
	v_cmp_ne_u16_sdwa s[0:1], v11, v5 src0_sel:BYTE_0 src1_sel:DWORD
	s_and_saveexec_b64 s[12:13], s[0:1]
	s_cbranch_execz .LBB200_351
; %bb.346:                              ;   in Loop: Header=BB200_280 Depth=1
	v_bfrev_b32_e32 v20, 1
	v_mov_b32_e32 v21, 0
	v_cmp_ne_u16_sdwa s[0:1], v11, s28 src0_sel:BYTE_0 src1_sel:DWORD
	s_and_saveexec_b64 s[16:17], s[0:1]
	s_cbranch_execz .LBB200_350
; %bb.347:                              ;   in Loop: Header=BB200_280 Depth=1
	v_bfe_u32 v0, v15, 16, 7
	v_mov_b32_e32 v20, 0x7f800001
	v_mov_b32_e32 v21, 0
	v_cmp_ne_u32_e64 s[0:1], s29, v0
	s_and_saveexec_b64 s[18:19], s[0:1]
	s_cbranch_execz .LBB200_349
; %bb.348:                              ;   in Loop: Header=BB200_280 Depth=1
	v_and_b32_e32 v8, 7, v11
	v_ffbh_u32_e32 v20, v8
	v_min_u32_e32 v25, 32, v20
	v_subrev_u32_e32 v20, 28, v25
	v_lshlrev_b64 v[20:21], v20, v[11:12]
	v_lshrrev_b32_e32 v24, 3, v0
	v_sub_u32_e32 v21, 29, v25
	v_and_b32_e32 v20, 7, v20
	v_cmp_gt_u32_e64 s[0:1], 8, v0
	v_cndmask_b32_e64 v0, v24, v21, s[0:1]
	v_cndmask_b32_e64 v8, v8, v20, s[0:1]
	v_lshlrev_b32_e32 v8, 20, v8
	v_and_b32_sdwa v11, sext(v11), s30 dst_sel:DWORD dst_unused:UNUSED_PAD src0_sel:BYTE_0 src1_sel:DWORD
	v_lshl_add_u32 v0, v0, 23, v37
	v_or3_b32 v20, v11, v0, v8
	v_mov_b32_e32 v21, v5
.LBB200_349:                            ;   in Loop: Header=BB200_280 Depth=1
	s_or_b64 exec, exec, s[18:19]
.LBB200_350:                            ;   in Loop: Header=BB200_280 Depth=1
	s_or_b64 exec, exec, s[16:17]
.LBB200_351:                            ;   in Loop: Header=BB200_280 Depth=1
	s_or_b64 exec, exec, s[12:13]
	v_cmp_lt_u32_e64 s[0:1], s31, v15
	s_and_saveexec_b64 s[12:13], s[0:1]
	s_cbranch_execz .LBB200_357
; %bb.352:                              ;   in Loop: Header=BB200_280 Depth=1
	v_mov_b32_e32 v23, v6
	v_cmp_ne_u32_sdwa s[0:1], v15, s28 src0_sel:BYTE_3 src1_sel:DWORD
	v_mov_b32_e32 v22, v5
	s_and_saveexec_b64 s[16:17], s[0:1]
	s_cbranch_execz .LBB200_356
; %bb.353:                              ;   in Loop: Header=BB200_280 Depth=1
	v_bfe_u32 v0, v15, 24, 7
	v_mov_b32_e32 v11, v5
	v_mov_b32_e32 v23, v12
	v_cmp_ne_u32_e64 s[0:1], s29, v0
	v_mov_b32_e32 v22, v11
	s_and_saveexec_b64 s[18:19], s[0:1]
	s_cbranch_execz .LBB200_355
; %bb.354:                              ;   in Loop: Header=BB200_280 Depth=1
	v_mov_b32_e32 v8, 7
	v_and_b32_sdwa v22, v15, v8 dst_sel:DWORD dst_unused:UNUSED_PAD src0_sel:BYTE_3 src1_sel:DWORD
	v_ffbh_u32_e32 v11, v22
	v_min_u32_e32 v11, 32, v11
	v_mov_b32_e32 v23, v5
	v_subrev_u32_e32 v24, 28, v11
	v_lshlrev_b64 v[23:24], v24, v[22:23]
	v_lshrrev_b32_e32 v8, 3, v0
	v_sub_u32_e32 v11, 29, v11
	v_cmp_gt_u32_e64 s[0:1], 8, v0
	v_and_b32_e32 v23, 7, v23
	v_cndmask_b32_e64 v0, v8, v11, s[0:1]
	v_cndmask_b32_e64 v8, v22, v23, s[0:1]
	v_lshlrev_b32_sdwa v11, v61, v15 dst_sel:DWORD dst_unused:UNUSED_PAD src0_sel:DWORD src1_sel:BYTE_3
	v_lshl_add_u32 v0, v0, 23, v37
	v_and_or_b32 v0, v11, s30, v0
	v_lshlrev_b32_e32 v8, 20, v8
	v_or_b32_e32 v23, v0, v8
	v_mov_b32_e32 v22, v5
.LBB200_355:                            ;   in Loop: Header=BB200_280 Depth=1
	s_or_b64 exec, exec, s[18:19]
.LBB200_356:                            ;   in Loop: Header=BB200_280 Depth=1
	s_or_b64 exec, exec, s[16:17]
.LBB200_357:                            ;   in Loop: Header=BB200_280 Depth=1
	s_or_b64 exec, exec, s[12:13]
	v_or_b32_e32 v0, v19, v17
	v_or_b32_e32 v8, v18, v16
	v_mul_f32_e32 v46, s38, v0
	v_mul_f32_e32 v57, s37, v8
	v_or_b32_e32 v0, v23, v21
	v_or_b32_e32 v8, v22, v20
	v_mul_f32_e32 v55, s37, v8
	v_mul_f32_e32 v53, s38, v0
	s_and_saveexec_b64 s[12:13], vcc
; %bb.358:                              ;   in Loop: Header=BB200_280 Depth=1
	v_cmp_gt_i32_e64 s[0:1], s33, v49
	v_cndmask_b32_e64 v57, 0, v57, s[0:1]
	v_cmp_gt_i32_e64 s[0:1], s33, v52
	v_cndmask_b32_e64 v46, 0, v46, s[0:1]
	;; [unrolled: 2-line block ×4, first 2 shown]
; %bb.359:                              ;   in Loop: Header=BB200_280 Depth=1
	s_or_b64 exec, exec, s[12:13]
	global_load_dword v15, v[13:14], off offset:768
	v_mov_b32_e32 v18, 0
	v_mov_b32_e32 v16, 0
	;; [unrolled: 1-line block ×4, first 2 shown]
	s_waitcnt vmcnt(0)
	v_cmp_ne_u16_sdwa s[0:1], v15, v5 src0_sel:BYTE_0 src1_sel:DWORD
	s_and_saveexec_b64 s[12:13], s[0:1]
	s_cbranch_execz .LBB200_365
; %bb.360:                              ;   in Loop: Header=BB200_280 Depth=1
	v_bfrev_b32_e32 v16, 1
	v_mov_b32_e32 v17, 0
	v_cmp_ne_u16_sdwa s[0:1], v15, s28 src0_sel:BYTE_0 src1_sel:DWORD
	s_and_saveexec_b64 s[16:17], s[0:1]
	s_cbranch_execz .LBB200_364
; %bb.361:                              ;   in Loop: Header=BB200_280 Depth=1
	v_and_b32_e32 v0, 0x7f, v15
	v_mov_b32_e32 v16, 0x7f800001
	v_mov_b32_e32 v17, 0
	v_cmp_ne_u32_e64 s[0:1], s29, v0
	s_and_saveexec_b64 s[18:19], s[0:1]
	s_cbranch_execz .LBB200_363
; %bb.362:                              ;   in Loop: Header=BB200_280 Depth=1
	v_and_b32_e32 v8, 7, v15
	v_ffbh_u32_e32 v16, v8
	v_min_u32_e32 v20, 32, v16
	v_subrev_u32_e32 v16, 28, v20
	v_lshlrev_b64 v[16:17], v16, v[15:16]
	v_lshrrev_b32_e32 v11, 3, v0
	v_sub_u32_e32 v17, 29, v20
	v_and_b32_e32 v16, 7, v16
	v_cmp_gt_u32_e64 s[0:1], 8, v0
	v_cndmask_b32_e64 v0, v11, v17, s[0:1]
	v_cndmask_b32_e64 v8, v8, v16, s[0:1]
	v_lshlrev_b32_e32 v8, 20, v8
	v_and_b32_sdwa v11, sext(v15), s30 dst_sel:DWORD dst_unused:UNUSED_PAD src0_sel:BYTE_0 src1_sel:DWORD
	v_lshl_add_u32 v0, v0, 23, v37
	v_or3_b32 v16, v11, v0, v8
	v_mov_b32_e32 v17, v5
.LBB200_363:                            ;   in Loop: Header=BB200_280 Depth=1
	s_or_b64 exec, exec, s[18:19]
.LBB200_364:                            ;   in Loop: Header=BB200_280 Depth=1
	s_or_b64 exec, exec, s[16:17]
.LBB200_365:                            ;   in Loop: Header=BB200_280 Depth=1
	s_or_b64 exec, exec, s[12:13]
	v_cmp_ne_u16_sdwa s[0:1], v15, v5 src0_sel:BYTE_1 src1_sel:DWORD
	s_and_saveexec_b64 s[12:13], s[0:1]
	s_cbranch_execz .LBB200_371
; %bb.366:                              ;   in Loop: Header=BB200_280 Depth=1
	v_mov_b32_e32 v19, v6
	v_cmp_ne_u16_sdwa s[0:1], v15, s28 src0_sel:BYTE_1 src1_sel:DWORD
	v_mov_b32_e32 v18, v5
	s_and_saveexec_b64 s[16:17], s[0:1]
	s_cbranch_execz .LBB200_370
; %bb.367:                              ;   in Loop: Header=BB200_280 Depth=1
	v_and_b32_sdwa v0, v15, s29 dst_sel:DWORD dst_unused:UNUSED_PAD src0_sel:BYTE_1 src1_sel:DWORD
	v_mov_b32_e32 v11, v5
	v_mov_b32_e32 v19, v12
	v_cmp_ne_u32_e64 s[0:1], s29, v0
	v_mov_b32_e32 v18, v11
	s_and_saveexec_b64 s[18:19], s[0:1]
	s_cbranch_execz .LBB200_369
; %bb.368:                              ;   in Loop: Header=BB200_280 Depth=1
	v_mov_b32_e32 v8, 7
	v_and_b32_sdwa v18, v15, v8 dst_sel:DWORD dst_unused:UNUSED_PAD src0_sel:BYTE_1 src1_sel:DWORD
	v_ffbh_u32_e32 v11, v18
	v_min_u32_e32 v11, 32, v11
	v_mov_b32_e32 v19, v5
	v_subrev_u32_e32 v20, 28, v11
	v_lshlrev_b64 v[19:20], v20, v[18:19]
	v_lshrrev_b32_e32 v8, 3, v0
	v_sub_u32_e32 v11, 29, v11
	v_cmp_gt_u32_e64 s[0:1], 8, v0
	v_and_b32_e32 v19, 7, v19
	v_cndmask_b32_e64 v0, v8, v11, s[0:1]
	v_cndmask_b32_e64 v8, v18, v19, s[0:1]
	v_lshlrev_b32_e32 v11, 16, v15
	v_lshl_add_u32 v0, v0, 23, v37
	v_and_or_b32 v0, v11, s30, v0
	v_lshlrev_b32_e32 v8, 20, v8
	v_or_b32_e32 v19, v0, v8
	v_mov_b32_e32 v18, v5
.LBB200_369:                            ;   in Loop: Header=BB200_280 Depth=1
	s_or_b64 exec, exec, s[18:19]
.LBB200_370:                            ;   in Loop: Header=BB200_280 Depth=1
	s_or_b64 exec, exec, s[16:17]
.LBB200_371:                            ;   in Loop: Header=BB200_280 Depth=1
	s_or_b64 exec, exec, s[12:13]
	v_lshrrev_b32_e32 v11, 16, v15
	v_mov_b32_e32 v22, 0
	v_mov_b32_e32 v20, 0
	v_mov_b32_e32 v23, 0
	v_mov_b32_e32 v21, 0
	v_cmp_ne_u16_sdwa s[0:1], v11, v5 src0_sel:BYTE_0 src1_sel:DWORD
	s_and_saveexec_b64 s[12:13], s[0:1]
	s_cbranch_execz .LBB200_377
; %bb.372:                              ;   in Loop: Header=BB200_280 Depth=1
	v_bfrev_b32_e32 v20, 1
	v_mov_b32_e32 v21, 0
	v_cmp_ne_u16_sdwa s[0:1], v11, s28 src0_sel:BYTE_0 src1_sel:DWORD
	s_and_saveexec_b64 s[16:17], s[0:1]
	s_cbranch_execz .LBB200_376
; %bb.373:                              ;   in Loop: Header=BB200_280 Depth=1
	v_bfe_u32 v0, v15, 16, 7
	v_mov_b32_e32 v20, 0x7f800001
	v_mov_b32_e32 v21, 0
	v_cmp_ne_u32_e64 s[0:1], s29, v0
	s_and_saveexec_b64 s[18:19], s[0:1]
	s_cbranch_execz .LBB200_375
; %bb.374:                              ;   in Loop: Header=BB200_280 Depth=1
	v_and_b32_e32 v8, 7, v11
	v_lshrrev_b32_e32 v24, 3, v0
	v_cmp_gt_u32_e64 s[0:1], 8, v0
	v_ffbh_u32_e32 v0, v8
	v_min_u32_e32 v0, 32, v0
	v_subrev_u32_e32 v20, 28, v0
	v_lshlrev_b64 v[20:21], v20, v[11:12]
	v_sub_u32_e32 v0, 29, v0
	v_and_b32_e32 v20, 7, v20
	v_cndmask_b32_e64 v0, v24, v0, s[0:1]
	v_cndmask_b32_e64 v8, v8, v20, s[0:1]
	v_lshlrev_b32_e32 v8, 20, v8
	v_and_b32_sdwa v11, sext(v11), s30 dst_sel:DWORD dst_unused:UNUSED_PAD src0_sel:BYTE_0 src1_sel:DWORD
	v_lshl_add_u32 v0, v0, 23, v37
	v_or3_b32 v20, v11, v0, v8
	v_mov_b32_e32 v21, v5
.LBB200_375:                            ;   in Loop: Header=BB200_280 Depth=1
	s_or_b64 exec, exec, s[18:19]
.LBB200_376:                            ;   in Loop: Header=BB200_280 Depth=1
	s_or_b64 exec, exec, s[16:17]
.LBB200_377:                            ;   in Loop: Header=BB200_280 Depth=1
	s_or_b64 exec, exec, s[12:13]
	v_cmp_lt_u32_e64 s[0:1], s31, v15
	s_and_saveexec_b64 s[12:13], s[0:1]
	s_cbranch_execz .LBB200_383
; %bb.378:                              ;   in Loop: Header=BB200_280 Depth=1
	v_mov_b32_e32 v23, v6
	v_cmp_ne_u32_sdwa s[0:1], v15, s28 src0_sel:BYTE_3 src1_sel:DWORD
	v_mov_b32_e32 v22, v5
	s_and_saveexec_b64 s[16:17], s[0:1]
	s_cbranch_execz .LBB200_382
; %bb.379:                              ;   in Loop: Header=BB200_280 Depth=1
	v_bfe_u32 v0, v15, 24, 7
	v_mov_b32_e32 v11, v5
	v_mov_b32_e32 v23, v12
	v_cmp_ne_u32_e64 s[0:1], s29, v0
	v_mov_b32_e32 v22, v11
	s_and_saveexec_b64 s[18:19], s[0:1]
	s_cbranch_execz .LBB200_381
; %bb.380:                              ;   in Loop: Header=BB200_280 Depth=1
	v_mov_b32_e32 v8, 7
	v_and_b32_sdwa v22, v15, v8 dst_sel:DWORD dst_unused:UNUSED_PAD src0_sel:BYTE_3 src1_sel:DWORD
	v_lshrrev_b32_e32 v8, 3, v0
	v_cmp_gt_u32_e64 s[0:1], 8, v0
	v_ffbh_u32_e32 v0, v22
	v_min_u32_e32 v0, 32, v0
	v_mov_b32_e32 v23, v5
	v_subrev_u32_e32 v11, 28, v0
	v_lshlrev_b64 v[23:24], v11, v[22:23]
	v_sub_u32_e32 v0, 29, v0
	v_and_b32_e32 v11, 7, v23
	v_cndmask_b32_e64 v0, v8, v0, s[0:1]
	v_cndmask_b32_e64 v8, v22, v11, s[0:1]
	v_lshlrev_b32_sdwa v11, v61, v15 dst_sel:DWORD dst_unused:UNUSED_PAD src0_sel:DWORD src1_sel:BYTE_3
	v_lshl_add_u32 v0, v0, 23, v37
	v_and_or_b32 v0, v11, s30, v0
	v_lshlrev_b32_e32 v8, 20, v8
	v_or_b32_e32 v23, v0, v8
	v_mov_b32_e32 v22, v5
.LBB200_381:                            ;   in Loop: Header=BB200_280 Depth=1
	s_or_b64 exec, exec, s[18:19]
.LBB200_382:                            ;   in Loop: Header=BB200_280 Depth=1
	s_or_b64 exec, exec, s[16:17]
.LBB200_383:                            ;   in Loop: Header=BB200_280 Depth=1
	s_or_b64 exec, exec, s[12:13]
	v_or_b32_e32 v0, v19, v17
	v_or_b32_e32 v8, v18, v16
	v_mul_f32_e32 v44, s38, v0
	v_mul_f32_e32 v25, s37, v8
	v_or_b32_e32 v0, v23, v21
	v_or_b32_e32 v8, v22, v20
	v_mul_f32_e32 v24, s37, v8
	v_mul_f32_e32 v39, s38, v0
	s_and_saveexec_b64 s[12:13], vcc
; %bb.384:                              ;   in Loop: Header=BB200_280 Depth=1
	v_cmp_gt_i32_e64 s[0:1], s33, v49
	v_cndmask_b32_e64 v25, 0, v25, s[0:1]
	v_cmp_gt_i32_e64 s[0:1], s33, v52
	v_cndmask_b32_e64 v44, 0, v44, s[0:1]
	;; [unrolled: 2-line block ×4, first 2 shown]
; %bb.385:                              ;   in Loop: Header=BB200_280 Depth=1
	s_or_b64 exec, exec, s[12:13]
	global_load_dword v15, v[13:14], off offset:1024
	v_mov_b32_e32 v18, 0
	v_mov_b32_e32 v16, 0
	;; [unrolled: 1-line block ×4, first 2 shown]
	s_waitcnt vmcnt(0)
	v_cmp_ne_u16_sdwa s[0:1], v15, v5 src0_sel:BYTE_0 src1_sel:DWORD
	s_and_saveexec_b64 s[12:13], s[0:1]
	s_cbranch_execz .LBB200_391
; %bb.386:                              ;   in Loop: Header=BB200_280 Depth=1
	v_bfrev_b32_e32 v16, 1
	v_mov_b32_e32 v17, 0
	v_cmp_ne_u16_sdwa s[0:1], v15, s28 src0_sel:BYTE_0 src1_sel:DWORD
	s_and_saveexec_b64 s[16:17], s[0:1]
	s_cbranch_execz .LBB200_390
; %bb.387:                              ;   in Loop: Header=BB200_280 Depth=1
	v_and_b32_e32 v0, 0x7f, v15
	v_mov_b32_e32 v16, 0x7f800001
	v_mov_b32_e32 v17, 0
	v_cmp_ne_u32_e64 s[0:1], s29, v0
	s_and_saveexec_b64 s[18:19], s[0:1]
	s_cbranch_execz .LBB200_389
; %bb.388:                              ;   in Loop: Header=BB200_280 Depth=1
	v_and_b32_e32 v8, 7, v15
	v_lshrrev_b32_e32 v11, 3, v0
	v_cmp_gt_u32_e64 s[0:1], 8, v0
	v_ffbh_u32_e32 v0, v8
	v_min_u32_e32 v0, 32, v0
	v_subrev_u32_e32 v16, 28, v0
	v_lshlrev_b64 v[16:17], v16, v[15:16]
	v_sub_u32_e32 v0, 29, v0
	v_and_b32_e32 v16, 7, v16
	v_cndmask_b32_e64 v0, v11, v0, s[0:1]
	v_cndmask_b32_e64 v8, v8, v16, s[0:1]
	v_lshlrev_b32_e32 v8, 20, v8
	v_and_b32_sdwa v11, sext(v15), s30 dst_sel:DWORD dst_unused:UNUSED_PAD src0_sel:BYTE_0 src1_sel:DWORD
	v_lshl_add_u32 v0, v0, 23, v37
	v_or3_b32 v16, v11, v0, v8
	v_mov_b32_e32 v17, v5
.LBB200_389:                            ;   in Loop: Header=BB200_280 Depth=1
	s_or_b64 exec, exec, s[18:19]
.LBB200_390:                            ;   in Loop: Header=BB200_280 Depth=1
	s_or_b64 exec, exec, s[16:17]
.LBB200_391:                            ;   in Loop: Header=BB200_280 Depth=1
	s_or_b64 exec, exec, s[12:13]
	v_cmp_ne_u16_sdwa s[0:1], v15, v5 src0_sel:BYTE_1 src1_sel:DWORD
	s_and_saveexec_b64 s[12:13], s[0:1]
	s_cbranch_execz .LBB200_397
; %bb.392:                              ;   in Loop: Header=BB200_280 Depth=1
	v_mov_b32_e32 v19, v6
	v_cmp_ne_u16_sdwa s[0:1], v15, s28 src0_sel:BYTE_1 src1_sel:DWORD
	v_mov_b32_e32 v18, v5
	s_and_saveexec_b64 s[16:17], s[0:1]
	s_cbranch_execz .LBB200_396
; %bb.393:                              ;   in Loop: Header=BB200_280 Depth=1
	v_and_b32_sdwa v0, v15, s29 dst_sel:DWORD dst_unused:UNUSED_PAD src0_sel:BYTE_1 src1_sel:DWORD
	v_mov_b32_e32 v11, v5
	v_mov_b32_e32 v19, v12
	v_cmp_ne_u32_e64 s[0:1], s29, v0
	v_mov_b32_e32 v18, v11
	s_and_saveexec_b64 s[18:19], s[0:1]
	s_cbranch_execz .LBB200_395
; %bb.394:                              ;   in Loop: Header=BB200_280 Depth=1
	v_mov_b32_e32 v8, 7
	v_and_b32_sdwa v18, v15, v8 dst_sel:DWORD dst_unused:UNUSED_PAD src0_sel:BYTE_1 src1_sel:DWORD
	v_lshrrev_b32_e32 v8, 3, v0
	v_cmp_gt_u32_e64 s[0:1], 8, v0
	v_ffbh_u32_e32 v0, v18
	v_min_u32_e32 v0, 32, v0
	v_mov_b32_e32 v19, v5
	v_subrev_u32_e32 v11, 28, v0
	v_lshlrev_b64 v[19:20], v11, v[18:19]
	v_sub_u32_e32 v0, 29, v0
	v_and_b32_e32 v11, 7, v19
	v_cndmask_b32_e64 v0, v8, v0, s[0:1]
	v_cndmask_b32_e64 v8, v18, v11, s[0:1]
	v_lshlrev_b32_e32 v11, 16, v15
	v_lshl_add_u32 v0, v0, 23, v37
	v_and_or_b32 v0, v11, s30, v0
	v_lshlrev_b32_e32 v8, 20, v8
	v_or_b32_e32 v19, v0, v8
	v_mov_b32_e32 v18, v5
.LBB200_395:                            ;   in Loop: Header=BB200_280 Depth=1
	s_or_b64 exec, exec, s[18:19]
.LBB200_396:                            ;   in Loop: Header=BB200_280 Depth=1
	s_or_b64 exec, exec, s[16:17]
.LBB200_397:                            ;   in Loop: Header=BB200_280 Depth=1
	s_or_b64 exec, exec, s[12:13]
	v_lshrrev_b32_e32 v11, 16, v15
	v_mov_b32_e32 v22, 0
	v_mov_b32_e32 v20, 0
	v_mov_b32_e32 v23, 0
	v_mov_b32_e32 v21, 0
	v_cmp_ne_u16_sdwa s[0:1], v11, v5 src0_sel:BYTE_0 src1_sel:DWORD
	s_and_saveexec_b64 s[12:13], s[0:1]
	s_cbranch_execz .LBB200_403
; %bb.398:                              ;   in Loop: Header=BB200_280 Depth=1
	v_bfrev_b32_e32 v20, 1
	v_mov_b32_e32 v21, 0
	v_cmp_ne_u16_sdwa s[0:1], v11, s28 src0_sel:BYTE_0 src1_sel:DWORD
	s_and_saveexec_b64 s[16:17], s[0:1]
	s_cbranch_execz .LBB200_402
; %bb.399:                              ;   in Loop: Header=BB200_280 Depth=1
	v_bfe_u32 v0, v15, 16, 7
	v_mov_b32_e32 v20, 0x7f800001
	v_mov_b32_e32 v21, 0
	v_cmp_ne_u32_e64 s[0:1], s29, v0
	s_and_saveexec_b64 s[18:19], s[0:1]
	s_cbranch_execz .LBB200_401
; %bb.400:                              ;   in Loop: Header=BB200_280 Depth=1
	v_and_b32_e32 v8, 7, v11
	v_mov_b32_e32 v26, v25
	v_mov_b32_e32 v25, v24
	v_lshrrev_b32_e32 v24, 3, v0
	v_cmp_gt_u32_e64 s[0:1], 8, v0
	v_ffbh_u32_e32 v0, v8
	v_min_u32_e32 v0, 32, v0
	v_subrev_u32_e32 v20, 28, v0
	v_lshlrev_b64 v[20:21], v20, v[11:12]
	v_sub_u32_e32 v0, 29, v0
	v_and_b32_e32 v20, 7, v20
	v_cndmask_b32_e64 v0, v24, v0, s[0:1]
	v_cndmask_b32_e64 v8, v8, v20, s[0:1]
	v_lshlrev_b32_e32 v8, 20, v8
	v_and_b32_sdwa v11, sext(v11), s30 dst_sel:DWORD dst_unused:UNUSED_PAD src0_sel:BYTE_0 src1_sel:DWORD
	v_lshl_add_u32 v0, v0, 23, v37
	v_mov_b32_e32 v24, v25
	v_mov_b32_e32 v25, v26
	v_or3_b32 v20, v11, v0, v8
	v_mov_b32_e32 v21, v5
.LBB200_401:                            ;   in Loop: Header=BB200_280 Depth=1
	s_or_b64 exec, exec, s[18:19]
.LBB200_402:                            ;   in Loop: Header=BB200_280 Depth=1
	s_or_b64 exec, exec, s[16:17]
.LBB200_403:                            ;   in Loop: Header=BB200_280 Depth=1
	s_or_b64 exec, exec, s[12:13]
	v_cmp_lt_u32_e64 s[0:1], s31, v15
	s_and_saveexec_b64 s[12:13], s[0:1]
	s_cbranch_execz .LBB200_409
; %bb.404:                              ;   in Loop: Header=BB200_280 Depth=1
	v_mov_b32_e32 v23, v6
	v_cmp_ne_u32_sdwa s[0:1], v15, s28 src0_sel:BYTE_3 src1_sel:DWORD
	v_mov_b32_e32 v22, v5
	s_and_saveexec_b64 s[16:17], s[0:1]
	s_cbranch_execz .LBB200_408
; %bb.405:                              ;   in Loop: Header=BB200_280 Depth=1
	v_bfe_u32 v0, v15, 24, 7
	v_mov_b32_e32 v11, v5
	v_mov_b32_e32 v23, v12
	v_cmp_ne_u32_e64 s[0:1], s29, v0
	v_mov_b32_e32 v22, v11
	s_and_saveexec_b64 s[18:19], s[0:1]
	s_cbranch_execz .LBB200_407
; %bb.406:                              ;   in Loop: Header=BB200_280 Depth=1
	v_mov_b32_e32 v8, 7
	v_and_b32_sdwa v22, v15, v8 dst_sel:DWORD dst_unused:UNUSED_PAD src0_sel:BYTE_3 src1_sel:DWORD
	v_lshrrev_b32_e32 v8, 3, v0
	v_cmp_gt_u32_e64 s[0:1], 8, v0
	v_ffbh_u32_e32 v0, v22
	v_min_u32_e32 v0, 32, v0
	v_mov_b32_e32 v23, v5
	v_subrev_u32_e32 v11, 28, v0
	v_mov_b32_e32 v26, v25
	v_mov_b32_e32 v25, v24
	v_lshlrev_b64 v[23:24], v11, v[22:23]
	v_sub_u32_e32 v0, 29, v0
	v_and_b32_e32 v11, 7, v23
	v_cndmask_b32_e64 v0, v8, v0, s[0:1]
	v_cndmask_b32_e64 v8, v22, v11, s[0:1]
	v_lshlrev_b32_sdwa v11, v61, v15 dst_sel:DWORD dst_unused:UNUSED_PAD src0_sel:DWORD src1_sel:BYTE_3
	v_lshl_add_u32 v0, v0, 23, v37
	v_and_or_b32 v0, v11, s30, v0
	v_lshlrev_b32_e32 v8, 20, v8
	v_mov_b32_e32 v24, v25
	v_mov_b32_e32 v25, v26
	v_or_b32_e32 v23, v0, v8
	v_mov_b32_e32 v22, v5
.LBB200_407:                            ;   in Loop: Header=BB200_280 Depth=1
	s_or_b64 exec, exec, s[18:19]
.LBB200_408:                            ;   in Loop: Header=BB200_280 Depth=1
	s_or_b64 exec, exec, s[16:17]
.LBB200_409:                            ;   in Loop: Header=BB200_280 Depth=1
	s_or_b64 exec, exec, s[12:13]
	v_or_b32_e32 v0, v19, v17
	v_or_b32_e32 v11, v18, v16
	v_mul_f32_e32 v43, s38, v0
	v_mul_f32_e32 v0, s37, v11
	v_or_b32_e32 v11, v22, v20
	buffer_store_dword v0, off, s[56:59], 0 offset:64 ; 4-byte Folded Spill
	v_or_b32_e32 v0, v23, v21
	v_mul_f32_e32 v8, s37, v11
	buffer_store_dword v8, off, s[56:59], 0 offset:56 ; 4-byte Folded Spill
	v_mul_f32_e32 v8, s38, v0
	s_and_saveexec_b64 s[12:13], vcc
	s_cbranch_execz .LBB200_411
; %bb.410:                              ;   in Loop: Header=BB200_280 Depth=1
	buffer_load_dword v0, off, s[56:59], 0 offset:64 ; 4-byte Folded Reload
	v_cmp_gt_i32_e64 s[0:1], s33, v49
	s_waitcnt vmcnt(0)
	v_cndmask_b32_e64 v0, 0, v0, s[0:1]
	buffer_store_dword v0, off, s[56:59], 0 offset:64 ; 4-byte Folded Spill
	buffer_load_dword v0, off, s[56:59], 0 offset:56 ; 4-byte Folded Reload
	v_cmp_gt_i32_e64 s[0:1], s33, v52
	v_cndmask_b32_e64 v43, 0, v43, s[0:1]
	v_cmp_gt_i32_e64 s[0:1], s33, v51
	s_waitcnt vmcnt(0)
	v_cndmask_b32_e64 v0, 0, v0, s[0:1]
	v_cmp_gt_i32_e64 s[0:1], s33, v50
	v_cndmask_b32_e64 v8, 0, v8, s[0:1]
	buffer_store_dword v0, off, s[56:59], 0 offset:56 ; 4-byte Folded Spill
.LBB200_411:                            ;   in Loop: Header=BB200_280 Depth=1
	s_or_b64 exec, exec, s[12:13]
	global_load_dword v15, v[13:14], off offset:1280
	v_mov_b32_e32 v18, 0
	v_mov_b32_e32 v16, 0
	;; [unrolled: 1-line block ×4, first 2 shown]
	s_waitcnt vmcnt(0)
	v_cmp_ne_u16_sdwa s[0:1], v15, v5 src0_sel:BYTE_0 src1_sel:DWORD
	s_and_saveexec_b64 s[12:13], s[0:1]
	s_cbranch_execz .LBB200_417
; %bb.412:                              ;   in Loop: Header=BB200_280 Depth=1
	v_bfrev_b32_e32 v16, 1
	v_mov_b32_e32 v17, 0
	v_cmp_ne_u16_sdwa s[0:1], v15, s28 src0_sel:BYTE_0 src1_sel:DWORD
	s_and_saveexec_b64 s[16:17], s[0:1]
	s_cbranch_execz .LBB200_416
; %bb.413:                              ;   in Loop: Header=BB200_280 Depth=1
	v_and_b32_e32 v0, 0x7f, v15
	v_mov_b32_e32 v16, 0x7f800001
	v_mov_b32_e32 v17, 0
	v_cmp_ne_u32_e64 s[0:1], s29, v0
	s_and_saveexec_b64 s[18:19], s[0:1]
	s_cbranch_execz .LBB200_415
; %bb.414:                              ;   in Loop: Header=BB200_280 Depth=1
	v_and_b32_e32 v11, 7, v15
	v_lshrrev_b32_e32 v20, 3, v0
	v_cmp_gt_u32_e64 s[0:1], 8, v0
	v_ffbh_u32_e32 v0, v11
	v_min_u32_e32 v0, 32, v0
	v_subrev_u32_e32 v16, 28, v0
	v_lshlrev_b64 v[16:17], v16, v[15:16]
	v_sub_u32_e32 v0, 29, v0
	v_and_b32_e32 v16, 7, v16
	v_cndmask_b32_e64 v0, v20, v0, s[0:1]
	v_cndmask_b32_e64 v11, v11, v16, s[0:1]
	v_lshlrev_b32_e32 v11, 20, v11
	v_and_b32_sdwa v16, sext(v15), s30 dst_sel:DWORD dst_unused:UNUSED_PAD src0_sel:BYTE_0 src1_sel:DWORD
	v_lshl_add_u32 v0, v0, 23, v37
	v_or3_b32 v16, v16, v0, v11
	v_mov_b32_e32 v17, v5
.LBB200_415:                            ;   in Loop: Header=BB200_280 Depth=1
	s_or_b64 exec, exec, s[18:19]
.LBB200_416:                            ;   in Loop: Header=BB200_280 Depth=1
	s_or_b64 exec, exec, s[16:17]
.LBB200_417:                            ;   in Loop: Header=BB200_280 Depth=1
	s_or_b64 exec, exec, s[12:13]
	v_cmp_ne_u16_sdwa s[0:1], v15, v5 src0_sel:BYTE_1 src1_sel:DWORD
	s_and_saveexec_b64 s[12:13], s[0:1]
	s_cbranch_execz .LBB200_423
; %bb.418:                              ;   in Loop: Header=BB200_280 Depth=1
	v_mov_b32_e32 v19, v6
	v_cmp_ne_u16_sdwa s[0:1], v15, s28 src0_sel:BYTE_1 src1_sel:DWORD
	v_mov_b32_e32 v18, v5
	s_and_saveexec_b64 s[16:17], s[0:1]
	s_cbranch_execz .LBB200_422
; %bb.419:                              ;   in Loop: Header=BB200_280 Depth=1
	v_and_b32_sdwa v0, v15, s29 dst_sel:DWORD dst_unused:UNUSED_PAD src0_sel:BYTE_1 src1_sel:DWORD
	v_mov_b32_e32 v11, v5
	v_mov_b32_e32 v19, v12
	v_cmp_ne_u32_e64 s[0:1], s29, v0
	v_mov_b32_e32 v18, v11
	s_and_saveexec_b64 s[18:19], s[0:1]
	s_cbranch_execz .LBB200_421
; %bb.420:                              ;   in Loop: Header=BB200_280 Depth=1
	v_mov_b32_e32 v11, 7
	v_and_b32_sdwa v18, v15, v11 dst_sel:DWORD dst_unused:UNUSED_PAD src0_sel:BYTE_1 src1_sel:DWORD
	v_lshrrev_b32_e32 v11, 3, v0
	v_cmp_gt_u32_e64 s[0:1], 8, v0
	v_ffbh_u32_e32 v0, v18
	v_min_u32_e32 v0, 32, v0
	v_mov_b32_e32 v19, v5
	v_subrev_u32_e32 v20, 28, v0
	v_lshlrev_b64 v[19:20], v20, v[18:19]
	v_sub_u32_e32 v0, 29, v0
	v_and_b32_e32 v19, 7, v19
	v_cndmask_b32_e64 v0, v11, v0, s[0:1]
	v_cndmask_b32_e64 v11, v18, v19, s[0:1]
	v_lshlrev_b32_e32 v18, 16, v15
	v_lshl_add_u32 v0, v0, 23, v37
	v_and_or_b32 v0, v18, s30, v0
	v_lshlrev_b32_e32 v11, 20, v11
	v_or_b32_e32 v19, v0, v11
	v_mov_b32_e32 v18, v5
.LBB200_421:                            ;   in Loop: Header=BB200_280 Depth=1
	s_or_b64 exec, exec, s[18:19]
.LBB200_422:                            ;   in Loop: Header=BB200_280 Depth=1
	s_or_b64 exec, exec, s[16:17]
.LBB200_423:                            ;   in Loop: Header=BB200_280 Depth=1
	s_or_b64 exec, exec, s[12:13]
	v_lshrrev_b32_e32 v11, 16, v15
	v_mov_b32_e32 v22, 0
	v_mov_b32_e32 v20, 0
	;; [unrolled: 1-line block ×4, first 2 shown]
	v_cmp_ne_u16_sdwa s[0:1], v11, v5 src0_sel:BYTE_0 src1_sel:DWORD
	s_and_saveexec_b64 s[12:13], s[0:1]
	s_cbranch_execz .LBB200_429
; %bb.424:                              ;   in Loop: Header=BB200_280 Depth=1
	v_bfrev_b32_e32 v20, 1
	v_mov_b32_e32 v21, 0
	v_cmp_ne_u16_sdwa s[0:1], v11, s28 src0_sel:BYTE_0 src1_sel:DWORD
	s_and_saveexec_b64 s[16:17], s[0:1]
	s_cbranch_execz .LBB200_428
; %bb.425:                              ;   in Loop: Header=BB200_280 Depth=1
	v_bfe_u32 v0, v15, 16, 7
	v_mov_b32_e32 v20, 0x7f800001
	v_mov_b32_e32 v21, 0
	v_cmp_ne_u32_e64 s[0:1], s29, v0
	s_and_saveexec_b64 s[18:19], s[0:1]
	s_cbranch_execz .LBB200_427
; %bb.426:                              ;   in Loop: Header=BB200_280 Depth=1
	v_mov_b32_e32 v27, v8
	v_mov_b32_e32 v8, v25
	v_and_b32_e32 v25, 7, v11
	v_lshrrev_b32_e32 v26, 3, v0
	v_cmp_gt_u32_e64 s[0:1], 8, v0
	v_ffbh_u32_e32 v0, v25
	v_min_u32_e32 v0, 32, v0
	v_subrev_u32_e32 v20, 28, v0
	v_lshlrev_b64 v[20:21], v20, v[11:12]
	v_sub_u32_e32 v0, 29, v0
	v_and_b32_e32 v20, 7, v20
	v_cndmask_b32_e64 v0, v26, v0, s[0:1]
	v_cndmask_b32_e64 v20, v25, v20, s[0:1]
	v_lshlrev_b32_e32 v20, 20, v20
	v_and_b32_sdwa v11, sext(v11), s30 dst_sel:DWORD dst_unused:UNUSED_PAD src0_sel:BYTE_0 src1_sel:DWORD
	v_lshl_add_u32 v0, v0, 23, v37
	v_mov_b32_e32 v25, v8
	v_mov_b32_e32 v8, v27
	v_or3_b32 v20, v11, v0, v20
	v_mov_b32_e32 v21, v5
.LBB200_427:                            ;   in Loop: Header=BB200_280 Depth=1
	s_or_b64 exec, exec, s[18:19]
.LBB200_428:                            ;   in Loop: Header=BB200_280 Depth=1
	s_or_b64 exec, exec, s[16:17]
.LBB200_429:                            ;   in Loop: Header=BB200_280 Depth=1
	s_or_b64 exec, exec, s[12:13]
	v_cmp_lt_u32_e64 s[0:1], s31, v15
	s_and_saveexec_b64 s[12:13], s[0:1]
	s_cbranch_execz .LBB200_435
; %bb.430:                              ;   in Loop: Header=BB200_280 Depth=1
	v_mov_b32_e32 v23, v6
	v_cmp_ne_u32_sdwa s[0:1], v15, s28 src0_sel:BYTE_3 src1_sel:DWORD
	v_mov_b32_e32 v22, v5
	s_and_saveexec_b64 s[16:17], s[0:1]
	s_cbranch_execz .LBB200_434
; %bb.431:                              ;   in Loop: Header=BB200_280 Depth=1
	v_bfe_u32 v0, v15, 24, 7
	v_mov_b32_e32 v11, v5
	v_mov_b32_e32 v23, v12
	v_cmp_ne_u32_e64 s[0:1], s29, v0
	v_mov_b32_e32 v22, v11
	s_and_saveexec_b64 s[18:19], s[0:1]
	s_cbranch_execz .LBB200_433
; %bb.432:                              ;   in Loop: Header=BB200_280 Depth=1
	v_mov_b32_e32 v11, 7
	v_and_b32_sdwa v22, v15, v11 dst_sel:DWORD dst_unused:UNUSED_PAD src0_sel:BYTE_3 src1_sel:DWORD
	v_lshrrev_b32_e32 v11, 3, v0
	v_cmp_gt_u32_e64 s[0:1], 8, v0
	v_ffbh_u32_e32 v0, v22
	v_min_u32_e32 v0, 32, v0
	v_mov_b32_e32 v23, v5
	v_mov_b32_e32 v27, v8
	;; [unrolled: 1-line block ×3, first 2 shown]
	v_subrev_u32_e32 v25, 28, v0
	v_lshlrev_b64 v[25:26], v25, v[22:23]
	v_sub_u32_e32 v0, 29, v0
	v_and_b32_e32 v23, 7, v25
	v_cndmask_b32_e64 v0, v11, v0, s[0:1]
	v_cndmask_b32_e64 v11, v22, v23, s[0:1]
	v_lshlrev_b32_sdwa v15, v61, v15 dst_sel:DWORD dst_unused:UNUSED_PAD src0_sel:DWORD src1_sel:BYTE_3
	v_lshl_add_u32 v0, v0, 23, v37
	v_and_or_b32 v0, v15, s30, v0
	v_lshlrev_b32_e32 v11, 20, v11
	v_mov_b32_e32 v25, v8
	v_mov_b32_e32 v8, v27
	v_or_b32_e32 v23, v0, v11
	v_mov_b32_e32 v22, v5
.LBB200_433:                            ;   in Loop: Header=BB200_280 Depth=1
	s_or_b64 exec, exec, s[18:19]
.LBB200_434:                            ;   in Loop: Header=BB200_280 Depth=1
	s_or_b64 exec, exec, s[16:17]
.LBB200_435:                            ;   in Loop: Header=BB200_280 Depth=1
	s_or_b64 exec, exec, s[12:13]
	v_or_b32_e32 v0, v19, v17
	v_or_b32_e32 v11, v18, v16
	v_mul_f32_e32 v0, s38, v0
	buffer_store_dword v0, off, s[56:59], 0 offset:72 ; 4-byte Folded Spill
	v_mul_f32_e32 v26, s37, v11
	v_or_b32_e32 v0, v23, v21
	v_or_b32_e32 v11, v22, v20
	v_mul_f32_e32 v62, s37, v11
	v_mul_f32_e32 v27, s38, v0
	s_and_saveexec_b64 s[12:13], vcc
	s_cbranch_execz .LBB200_437
; %bb.436:                              ;   in Loop: Header=BB200_280 Depth=1
	buffer_load_dword v0, off, s[56:59], 0 offset:72 ; 4-byte Folded Reload
	v_cmp_gt_i32_e64 s[0:1], s33, v49
	v_cndmask_b32_e64 v26, 0, v26, s[0:1]
	v_cmp_gt_i32_e64 s[0:1], s33, v52
	s_waitcnt vmcnt(0)
	v_cndmask_b32_e64 v0, 0, v0, s[0:1]
	v_cmp_gt_i32_e64 s[0:1], s33, v51
	v_cndmask_b32_e64 v62, 0, v62, s[0:1]
	v_cmp_gt_i32_e64 s[0:1], s33, v50
	v_cndmask_b32_e64 v27, 0, v27, s[0:1]
	buffer_store_dword v0, off, s[56:59], 0 offset:72 ; 4-byte Folded Spill
.LBB200_437:                            ;   in Loop: Header=BB200_280 Depth=1
	s_or_b64 exec, exec, s[12:13]
	global_load_dword v15, v[13:14], off offset:1536
	v_mov_b32_e32 v18, 0
	v_mov_b32_e32 v16, 0
	;; [unrolled: 1-line block ×4, first 2 shown]
	s_waitcnt vmcnt(0)
	v_cmp_ne_u16_sdwa s[0:1], v15, v5 src0_sel:BYTE_0 src1_sel:DWORD
	s_and_saveexec_b64 s[12:13], s[0:1]
	s_cbranch_execz .LBB200_443
; %bb.438:                              ;   in Loop: Header=BB200_280 Depth=1
	v_bfrev_b32_e32 v16, 1
	v_mov_b32_e32 v17, 0
	v_cmp_ne_u16_sdwa s[0:1], v15, s28 src0_sel:BYTE_0 src1_sel:DWORD
	s_and_saveexec_b64 s[16:17], s[0:1]
	s_cbranch_execz .LBB200_442
; %bb.439:                              ;   in Loop: Header=BB200_280 Depth=1
	v_and_b32_e32 v0, 0x7f, v15
	v_mov_b32_e32 v16, 0x7f800001
	v_mov_b32_e32 v17, 0
	v_cmp_ne_u32_e64 s[0:1], s29, v0
	s_and_saveexec_b64 s[18:19], s[0:1]
	s_cbranch_execz .LBB200_441
; %bb.440:                              ;   in Loop: Header=BB200_280 Depth=1
	v_and_b32_e32 v11, 7, v15
	v_lshrrev_b32_e32 v20, 3, v0
	v_cmp_gt_u32_e64 s[0:1], 8, v0
	v_ffbh_u32_e32 v0, v11
	v_min_u32_e32 v0, 32, v0
	v_subrev_u32_e32 v16, 28, v0
	v_lshlrev_b64 v[16:17], v16, v[15:16]
	v_sub_u32_e32 v0, 29, v0
	v_and_b32_e32 v16, 7, v16
	v_cndmask_b32_e64 v0, v20, v0, s[0:1]
	v_cndmask_b32_e64 v11, v11, v16, s[0:1]
	v_lshlrev_b32_e32 v11, 20, v11
	v_and_b32_sdwa v16, sext(v15), s30 dst_sel:DWORD dst_unused:UNUSED_PAD src0_sel:BYTE_0 src1_sel:DWORD
	v_lshl_add_u32 v0, v0, 23, v37
	v_or3_b32 v16, v16, v0, v11
	v_mov_b32_e32 v17, v5
.LBB200_441:                            ;   in Loop: Header=BB200_280 Depth=1
	s_or_b64 exec, exec, s[18:19]
.LBB200_442:                            ;   in Loop: Header=BB200_280 Depth=1
	s_or_b64 exec, exec, s[16:17]
.LBB200_443:                            ;   in Loop: Header=BB200_280 Depth=1
	s_or_b64 exec, exec, s[12:13]
	v_cmp_ne_u16_sdwa s[0:1], v15, v5 src0_sel:BYTE_1 src1_sel:DWORD
	s_and_saveexec_b64 s[12:13], s[0:1]
	s_cbranch_execz .LBB200_449
; %bb.444:                              ;   in Loop: Header=BB200_280 Depth=1
	v_mov_b32_e32 v19, v6
	v_cmp_ne_u16_sdwa s[0:1], v15, s28 src0_sel:BYTE_1 src1_sel:DWORD
	v_mov_b32_e32 v18, v5
	s_and_saveexec_b64 s[16:17], s[0:1]
	s_cbranch_execz .LBB200_448
; %bb.445:                              ;   in Loop: Header=BB200_280 Depth=1
	v_and_b32_sdwa v0, v15, s29 dst_sel:DWORD dst_unused:UNUSED_PAD src0_sel:BYTE_1 src1_sel:DWORD
	v_mov_b32_e32 v11, v5
	v_mov_b32_e32 v19, v12
	v_cmp_ne_u32_e64 s[0:1], s29, v0
	v_mov_b32_e32 v18, v11
	s_and_saveexec_b64 s[18:19], s[0:1]
	s_cbranch_execz .LBB200_447
; %bb.446:                              ;   in Loop: Header=BB200_280 Depth=1
	v_mov_b32_e32 v11, 7
	v_and_b32_sdwa v18, v15, v11 dst_sel:DWORD dst_unused:UNUSED_PAD src0_sel:BYTE_1 src1_sel:DWORD
	v_lshrrev_b32_e32 v11, 3, v0
	v_cmp_gt_u32_e64 s[0:1], 8, v0
	v_ffbh_u32_e32 v0, v18
	v_min_u32_e32 v0, 32, v0
	v_mov_b32_e32 v19, v5
	v_subrev_u32_e32 v20, 28, v0
	v_lshlrev_b64 v[19:20], v20, v[18:19]
	v_sub_u32_e32 v0, 29, v0
	v_and_b32_e32 v19, 7, v19
	v_cndmask_b32_e64 v0, v11, v0, s[0:1]
	v_cndmask_b32_e64 v11, v18, v19, s[0:1]
	v_lshlrev_b32_e32 v18, 16, v15
	v_lshl_add_u32 v0, v0, 23, v37
	v_and_or_b32 v0, v18, s30, v0
	v_lshlrev_b32_e32 v11, 20, v11
	v_or_b32_e32 v19, v0, v11
	v_mov_b32_e32 v18, v5
.LBB200_447:                            ;   in Loop: Header=BB200_280 Depth=1
	s_or_b64 exec, exec, s[18:19]
.LBB200_448:                            ;   in Loop: Header=BB200_280 Depth=1
	s_or_b64 exec, exec, s[16:17]
.LBB200_449:                            ;   in Loop: Header=BB200_280 Depth=1
	s_or_b64 exec, exec, s[12:13]
	v_lshrrev_b32_e32 v11, 16, v15
	v_mov_b32_e32 v22, 0
	v_mov_b32_e32 v20, 0
	;; [unrolled: 1-line block ×4, first 2 shown]
	v_cmp_ne_u16_sdwa s[0:1], v11, v5 src0_sel:BYTE_0 src1_sel:DWORD
	s_and_saveexec_b64 s[12:13], s[0:1]
	s_cbranch_execz .LBB200_455
; %bb.450:                              ;   in Loop: Header=BB200_280 Depth=1
	v_bfrev_b32_e32 v20, 1
	v_mov_b32_e32 v21, 0
	v_cmp_ne_u16_sdwa s[0:1], v11, s28 src0_sel:BYTE_0 src1_sel:DWORD
	s_and_saveexec_b64 s[16:17], s[0:1]
	s_cbranch_execz .LBB200_454
; %bb.451:                              ;   in Loop: Header=BB200_280 Depth=1
	v_bfe_u32 v0, v15, 16, 7
	v_mov_b32_e32 v20, 0x7f800001
	v_mov_b32_e32 v21, 0
	v_cmp_ne_u32_e64 s[0:1], s29, v0
	s_and_saveexec_b64 s[18:19], s[0:1]
	s_cbranch_execz .LBB200_453
; %bb.452:                              ;   in Loop: Header=BB200_280 Depth=1
	v_and_b32_e32 v29, 7, v11
	v_lshrrev_b32_e32 v30, 3, v0
	v_cmp_gt_u32_e64 s[0:1], 8, v0
	v_ffbh_u32_e32 v0, v29
	v_min_u32_e32 v0, 32, v0
	v_subrev_u32_e32 v20, 28, v0
	v_lshlrev_b64 v[20:21], v20, v[11:12]
	v_sub_u32_e32 v0, 29, v0
	v_and_b32_e32 v20, 7, v20
	v_cndmask_b32_e64 v0, v30, v0, s[0:1]
	v_cndmask_b32_e64 v20, v29, v20, s[0:1]
	v_lshlrev_b32_e32 v20, 20, v20
	v_and_b32_sdwa v11, sext(v11), s30 dst_sel:DWORD dst_unused:UNUSED_PAD src0_sel:BYTE_0 src1_sel:DWORD
	v_lshl_add_u32 v0, v0, 23, v37
	v_or3_b32 v20, v11, v0, v20
	v_mov_b32_e32 v21, v5
.LBB200_453:                            ;   in Loop: Header=BB200_280 Depth=1
	s_or_b64 exec, exec, s[18:19]
.LBB200_454:                            ;   in Loop: Header=BB200_280 Depth=1
	s_or_b64 exec, exec, s[16:17]
.LBB200_455:                            ;   in Loop: Header=BB200_280 Depth=1
	s_or_b64 exec, exec, s[12:13]
	v_cmp_lt_u32_e64 s[0:1], s31, v15
	s_and_saveexec_b64 s[12:13], s[0:1]
	s_cbranch_execz .LBB200_461
; %bb.456:                              ;   in Loop: Header=BB200_280 Depth=1
	v_mov_b32_e32 v23, v6
	v_cmp_ne_u32_sdwa s[0:1], v15, s28 src0_sel:BYTE_3 src1_sel:DWORD
	v_mov_b32_e32 v22, v5
	s_and_saveexec_b64 s[16:17], s[0:1]
	s_cbranch_execz .LBB200_460
; %bb.457:                              ;   in Loop: Header=BB200_280 Depth=1
	v_bfe_u32 v0, v15, 24, 7
	v_mov_b32_e32 v11, v5
	v_mov_b32_e32 v23, v12
	v_cmp_ne_u32_e64 s[0:1], s29, v0
	v_mov_b32_e32 v22, v11
	s_and_saveexec_b64 s[18:19], s[0:1]
	s_cbranch_execz .LBB200_459
; %bb.458:                              ;   in Loop: Header=BB200_280 Depth=1
	v_mov_b32_e32 v11, 7
	v_and_b32_sdwa v22, v15, v11 dst_sel:DWORD dst_unused:UNUSED_PAD src0_sel:BYTE_3 src1_sel:DWORD
	v_lshrrev_b32_e32 v11, 3, v0
	v_cmp_gt_u32_e64 s[0:1], 8, v0
	v_ffbh_u32_e32 v0, v22
	v_min_u32_e32 v0, 32, v0
	v_mov_b32_e32 v23, v5
	v_subrev_u32_e32 v29, 28, v0
	v_lshlrev_b64 v[29:30], v29, v[22:23]
	v_sub_u32_e32 v0, 29, v0
	v_and_b32_e32 v23, 7, v29
	v_cndmask_b32_e64 v0, v11, v0, s[0:1]
	v_cndmask_b32_e64 v11, v22, v23, s[0:1]
	v_lshlrev_b32_sdwa v15, v61, v15 dst_sel:DWORD dst_unused:UNUSED_PAD src0_sel:DWORD src1_sel:BYTE_3
	v_lshl_add_u32 v0, v0, 23, v37
	v_and_or_b32 v0, v15, s30, v0
	v_lshlrev_b32_e32 v11, 20, v11
	v_or_b32_e32 v23, v0, v11
	v_mov_b32_e32 v22, v5
.LBB200_459:                            ;   in Loop: Header=BB200_280 Depth=1
	s_or_b64 exec, exec, s[18:19]
.LBB200_460:                            ;   in Loop: Header=BB200_280 Depth=1
	s_or_b64 exec, exec, s[16:17]
.LBB200_461:                            ;   in Loop: Header=BB200_280 Depth=1
	s_or_b64 exec, exec, s[12:13]
	v_or_b32_e32 v11, v18, v16
	v_or_b32_e32 v0, v19, v17
	v_mul_f32_e32 v30, s37, v11
	v_or_b32_e32 v11, v23, v21
	v_or_b32_e32 v15, v22, v20
	v_mul_f32_e32 v48, s38, v0
	v_mul_f32_e32 v29, s37, v15
	;; [unrolled: 1-line block ×3, first 2 shown]
	s_and_saveexec_b64 s[12:13], vcc
; %bb.462:                              ;   in Loop: Header=BB200_280 Depth=1
	v_cmp_gt_i32_e64 s[0:1], s33, v49
	v_cndmask_b32_e64 v30, 0, v30, s[0:1]
	v_cmp_gt_i32_e64 s[0:1], s33, v52
	v_cndmask_b32_e64 v48, 0, v48, s[0:1]
	;; [unrolled: 2-line block ×4, first 2 shown]
; %bb.463:                              ;   in Loop: Header=BB200_280 Depth=1
	s_or_b64 exec, exec, s[12:13]
	global_load_dword v15, v[13:14], off offset:1792
	v_mov_b32_e32 v18, 0
	v_mov_b32_e32 v16, 0
	;; [unrolled: 1-line block ×4, first 2 shown]
	s_waitcnt vmcnt(0)
	v_cmp_ne_u16_sdwa s[0:1], v15, v5 src0_sel:BYTE_0 src1_sel:DWORD
	s_and_saveexec_b64 s[12:13], s[0:1]
	s_cbranch_execz .LBB200_469
; %bb.464:                              ;   in Loop: Header=BB200_280 Depth=1
	v_bfrev_b32_e32 v16, 1
	v_mov_b32_e32 v17, 0
	v_cmp_ne_u16_sdwa s[0:1], v15, s28 src0_sel:BYTE_0 src1_sel:DWORD
	s_and_saveexec_b64 s[16:17], s[0:1]
	s_cbranch_execz .LBB200_468
; %bb.465:                              ;   in Loop: Header=BB200_280 Depth=1
	v_and_b32_e32 v11, 0x7f, v15
	v_mov_b32_e32 v16, 0x7f800001
	v_mov_b32_e32 v17, 0
	v_cmp_ne_u32_e64 s[0:1], s29, v11
	s_and_saveexec_b64 s[18:19], s[0:1]
	s_cbranch_execz .LBB200_467
; %bb.466:                              ;   in Loop: Header=BB200_280 Depth=1
	v_and_b32_e32 v20, 7, v15
	v_lshrrev_b32_e32 v21, 3, v11
	v_cmp_gt_u32_e64 s[0:1], 8, v11
	v_ffbh_u32_e32 v11, v20
	v_min_u32_e32 v11, 32, v11
	v_subrev_u32_e32 v16, 28, v11
	v_lshlrev_b64 v[16:17], v16, v[15:16]
	v_sub_u32_e32 v11, 29, v11
	v_and_b32_e32 v16, 7, v16
	v_cndmask_b32_e64 v11, v21, v11, s[0:1]
	v_cndmask_b32_e64 v16, v20, v16, s[0:1]
	v_lshlrev_b32_e32 v16, 20, v16
	v_and_b32_sdwa v17, sext(v15), s30 dst_sel:DWORD dst_unused:UNUSED_PAD src0_sel:BYTE_0 src1_sel:DWORD
	v_lshl_add_u32 v11, v11, 23, v37
	v_or3_b32 v16, v17, v11, v16
	v_mov_b32_e32 v17, v5
.LBB200_467:                            ;   in Loop: Header=BB200_280 Depth=1
	s_or_b64 exec, exec, s[18:19]
.LBB200_468:                            ;   in Loop: Header=BB200_280 Depth=1
	s_or_b64 exec, exec, s[16:17]
.LBB200_469:                            ;   in Loop: Header=BB200_280 Depth=1
	s_or_b64 exec, exec, s[12:13]
	v_cmp_ne_u16_sdwa s[0:1], v15, v5 src0_sel:BYTE_1 src1_sel:DWORD
	s_and_saveexec_b64 s[12:13], s[0:1]
	s_cbranch_execz .LBB200_475
; %bb.470:                              ;   in Loop: Header=BB200_280 Depth=1
	v_mov_b32_e32 v19, v6
	v_cmp_ne_u16_sdwa s[0:1], v15, s28 src0_sel:BYTE_1 src1_sel:DWORD
	v_mov_b32_e32 v18, v5
	s_and_saveexec_b64 s[16:17], s[0:1]
	s_cbranch_execz .LBB200_474
; %bb.471:                              ;   in Loop: Header=BB200_280 Depth=1
	v_and_b32_sdwa v20, v15, s29 dst_sel:DWORD dst_unused:UNUSED_PAD src0_sel:BYTE_1 src1_sel:DWORD
	v_mov_b32_e32 v11, v5
	v_mov_b32_e32 v19, v12
	v_cmp_ne_u32_e64 s[0:1], s29, v20
	v_mov_b32_e32 v18, v11
	s_and_saveexec_b64 s[18:19], s[0:1]
	s_cbranch_execz .LBB200_473
; %bb.472:                              ;   in Loop: Header=BB200_280 Depth=1
	v_mov_b32_e32 v11, 7
	v_and_b32_sdwa v18, v15, v11 dst_sel:DWORD dst_unused:UNUSED_PAD src0_sel:BYTE_1 src1_sel:DWORD
	v_lshrrev_b32_e32 v11, 3, v20
	v_cmp_gt_u32_e64 s[0:1], 8, v20
	v_ffbh_u32_e32 v20, v18
	v_min_u32_e32 v21, 32, v20
	v_mov_b32_e32 v19, v5
	v_subrev_u32_e32 v20, 28, v21
	v_lshlrev_b64 v[19:20], v20, v[18:19]
	v_sub_u32_e32 v20, 29, v21
	v_and_b32_e32 v19, 7, v19
	v_cndmask_b32_e64 v11, v11, v20, s[0:1]
	v_cndmask_b32_e64 v18, v18, v19, s[0:1]
	v_lshlrev_b32_e32 v19, 16, v15
	v_lshl_add_u32 v11, v11, 23, v37
	v_and_or_b32 v11, v19, s30, v11
	v_lshlrev_b32_e32 v18, 20, v18
	v_or_b32_e32 v19, v11, v18
	v_mov_b32_e32 v18, v5
.LBB200_473:                            ;   in Loop: Header=BB200_280 Depth=1
	s_or_b64 exec, exec, s[18:19]
.LBB200_474:                            ;   in Loop: Header=BB200_280 Depth=1
	s_or_b64 exec, exec, s[16:17]
.LBB200_475:                            ;   in Loop: Header=BB200_280 Depth=1
	s_or_b64 exec, exec, s[12:13]
	v_lshrrev_b32_e32 v11, 16, v15
	v_mov_b32_e32 v22, 0
	v_mov_b32_e32 v20, 0
	;; [unrolled: 1-line block ×4, first 2 shown]
	v_cmp_ne_u16_sdwa s[0:1], v11, v5 src0_sel:BYTE_0 src1_sel:DWORD
	s_and_saveexec_b64 s[12:13], s[0:1]
	s_cbranch_execz .LBB200_481
; %bb.476:                              ;   in Loop: Header=BB200_280 Depth=1
	v_bfrev_b32_e32 v20, 1
	v_mov_b32_e32 v21, 0
	v_cmp_ne_u16_sdwa s[0:1], v11, s28 src0_sel:BYTE_0 src1_sel:DWORD
	s_and_saveexec_b64 s[16:17], s[0:1]
	s_cbranch_execz .LBB200_480
; %bb.477:                              ;   in Loop: Header=BB200_280 Depth=1
	v_bfe_u32 v31, v15, 16, 7
	v_mov_b32_e32 v20, 0x7f800001
	v_mov_b32_e32 v21, 0
	v_cmp_ne_u32_e64 s[0:1], s29, v31
	s_and_saveexec_b64 s[18:19], s[0:1]
	s_cbranch_execz .LBB200_479
; %bb.478:                              ;   in Loop: Header=BB200_280 Depth=1
	v_and_b32_e32 v32, 7, v11
	v_ffbh_u32_e32 v20, v32
	v_lshrrev_b32_e32 v33, 3, v31
	v_cmp_gt_u32_e64 s[0:1], 8, v31
	v_min_u32_e32 v31, 32, v20
	v_subrev_u32_e32 v20, 28, v31
	v_lshlrev_b64 v[20:21], v20, v[11:12]
	v_sub_u32_e32 v21, 29, v31
	v_and_b32_e32 v20, 7, v20
	v_cndmask_b32_e64 v21, v33, v21, s[0:1]
	v_cndmask_b32_e64 v20, v32, v20, s[0:1]
	v_lshlrev_b32_e32 v20, 20, v20
	v_and_b32_sdwa v11, sext(v11), s30 dst_sel:DWORD dst_unused:UNUSED_PAD src0_sel:BYTE_0 src1_sel:DWORD
	v_lshl_add_u32 v21, v21, 23, v37
	v_or3_b32 v20, v11, v21, v20
	v_mov_b32_e32 v21, v5
.LBB200_479:                            ;   in Loop: Header=BB200_280 Depth=1
	s_or_b64 exec, exec, s[18:19]
.LBB200_480:                            ;   in Loop: Header=BB200_280 Depth=1
	s_or_b64 exec, exec, s[16:17]
.LBB200_481:                            ;   in Loop: Header=BB200_280 Depth=1
	s_or_b64 exec, exec, s[12:13]
	v_cmp_lt_u32_e64 s[0:1], s31, v15
	s_and_saveexec_b64 s[12:13], s[0:1]
	s_cbranch_execz .LBB200_487
; %bb.482:                              ;   in Loop: Header=BB200_280 Depth=1
	v_mov_b32_e32 v23, v6
	v_cmp_ne_u32_sdwa s[0:1], v15, s28 src0_sel:BYTE_3 src1_sel:DWORD
	v_mov_b32_e32 v22, v5
	s_and_saveexec_b64 s[16:17], s[0:1]
	s_cbranch_execz .LBB200_486
; %bb.483:                              ;   in Loop: Header=BB200_280 Depth=1
	v_bfe_u32 v31, v15, 24, 7
	v_mov_b32_e32 v11, v5
	v_mov_b32_e32 v23, v12
	v_cmp_ne_u32_e64 s[0:1], s29, v31
	v_mov_b32_e32 v22, v11
	s_and_saveexec_b64 s[18:19], s[0:1]
	s_cbranch_execz .LBB200_485
; %bb.484:                              ;   in Loop: Header=BB200_280 Depth=1
	v_mov_b32_e32 v11, 7
	v_and_b32_sdwa v22, v15, v11 dst_sel:DWORD dst_unused:UNUSED_PAD src0_sel:BYTE_3 src1_sel:DWORD
	v_lshrrev_b32_e32 v11, 3, v31
	v_cmp_gt_u32_e64 s[0:1], 8, v31
	v_ffbh_u32_e32 v31, v22
	v_min_u32_e32 v33, 32, v31
	v_mov_b32_e32 v23, v5
	v_subrev_u32_e32 v31, 28, v33
	v_lshlrev_b64 v[31:32], v31, v[22:23]
	v_sub_u32_e32 v23, 29, v33
	v_and_b32_e32 v31, 7, v31
	v_cndmask_b32_e64 v11, v11, v23, s[0:1]
	v_cndmask_b32_e64 v22, v22, v31, s[0:1]
	v_lshlrev_b32_sdwa v15, v61, v15 dst_sel:DWORD dst_unused:UNUSED_PAD src0_sel:DWORD src1_sel:BYTE_3
	v_lshl_add_u32 v11, v11, 23, v37
	v_and_or_b32 v11, v15, s30, v11
	v_lshlrev_b32_e32 v15, 20, v22
	v_or_b32_e32 v23, v11, v15
	v_mov_b32_e32 v22, v5
.LBB200_485:                            ;   in Loop: Header=BB200_280 Depth=1
	s_or_b64 exec, exec, s[18:19]
.LBB200_486:                            ;   in Loop: Header=BB200_280 Depth=1
	s_or_b64 exec, exec, s[16:17]
.LBB200_487:                            ;   in Loop: Header=BB200_280 Depth=1
	s_or_b64 exec, exec, s[12:13]
	v_or_b32_e32 v11, v19, v17
	v_or_b32_e32 v15, v18, v16
	v_mul_f32_e32 v31, s38, v11
	v_mul_f32_e32 v34, s37, v15
	v_or_b32_e32 v11, v23, v21
	v_or_b32_e32 v15, v22, v20
	v_mul_f32_e32 v33, s37, v15
	v_mul_f32_e32 v32, s38, v11
	s_and_saveexec_b64 s[12:13], vcc
; %bb.488:                              ;   in Loop: Header=BB200_280 Depth=1
	v_cmp_gt_i32_e64 s[0:1], s33, v49
	v_cndmask_b32_e64 v34, 0, v34, s[0:1]
	v_cmp_gt_i32_e64 s[0:1], s33, v52
	v_cndmask_b32_e64 v31, 0, v31, s[0:1]
	;; [unrolled: 2-line block ×4, first 2 shown]
; %bb.489:                              ;   in Loop: Header=BB200_280 Depth=1
	s_or_b64 exec, exec, s[12:13]
	global_load_dword v15, v[13:14], off offset:2048
	v_mov_b32_e32 v18, 0
	v_mov_b32_e32 v16, 0
	;; [unrolled: 1-line block ×4, first 2 shown]
	s_waitcnt vmcnt(0)
	v_cmp_ne_u16_sdwa s[0:1], v15, v5 src0_sel:BYTE_0 src1_sel:DWORD
	s_and_saveexec_b64 s[12:13], s[0:1]
	s_cbranch_execz .LBB200_495
; %bb.490:                              ;   in Loop: Header=BB200_280 Depth=1
	v_bfrev_b32_e32 v16, 1
	v_mov_b32_e32 v17, 0
	v_cmp_ne_u16_sdwa s[0:1], v15, s28 src0_sel:BYTE_0 src1_sel:DWORD
	s_and_saveexec_b64 s[16:17], s[0:1]
	s_cbranch_execz .LBB200_494
; %bb.491:                              ;   in Loop: Header=BB200_280 Depth=1
	v_and_b32_e32 v11, 0x7f, v15
	v_mov_b32_e32 v16, 0x7f800001
	v_mov_b32_e32 v17, 0
	v_cmp_ne_u32_e64 s[0:1], s29, v11
	s_and_saveexec_b64 s[18:19], s[0:1]
	s_cbranch_execz .LBB200_493
; %bb.492:                              ;   in Loop: Header=BB200_280 Depth=1
	v_and_b32_e32 v20, 7, v15
	v_lshrrev_b32_e32 v21, 3, v11
	v_cmp_gt_u32_e64 s[0:1], 8, v11
	v_ffbh_u32_e32 v11, v20
	v_min_u32_e32 v11, 32, v11
	v_subrev_u32_e32 v16, 28, v11
	v_lshlrev_b64 v[16:17], v16, v[15:16]
	v_sub_u32_e32 v11, 29, v11
	v_and_b32_e32 v16, 7, v16
	v_cndmask_b32_e64 v11, v21, v11, s[0:1]
	v_cndmask_b32_e64 v16, v20, v16, s[0:1]
	v_lshlrev_b32_e32 v16, 20, v16
	v_and_b32_sdwa v17, sext(v15), s30 dst_sel:DWORD dst_unused:UNUSED_PAD src0_sel:BYTE_0 src1_sel:DWORD
	v_lshl_add_u32 v11, v11, 23, v37
	v_or3_b32 v16, v17, v11, v16
	v_mov_b32_e32 v17, v5
.LBB200_493:                            ;   in Loop: Header=BB200_280 Depth=1
	s_or_b64 exec, exec, s[18:19]
.LBB200_494:                            ;   in Loop: Header=BB200_280 Depth=1
	s_or_b64 exec, exec, s[16:17]
.LBB200_495:                            ;   in Loop: Header=BB200_280 Depth=1
	s_or_b64 exec, exec, s[12:13]
	v_cmp_ne_u16_sdwa s[0:1], v15, v5 src0_sel:BYTE_1 src1_sel:DWORD
	s_and_saveexec_b64 s[12:13], s[0:1]
	s_cbranch_execz .LBB200_501
; %bb.496:                              ;   in Loop: Header=BB200_280 Depth=1
	v_mov_b32_e32 v19, v6
	v_cmp_ne_u16_sdwa s[0:1], v15, s28 src0_sel:BYTE_1 src1_sel:DWORD
	v_mov_b32_e32 v18, v5
	s_and_saveexec_b64 s[16:17], s[0:1]
	s_cbranch_execz .LBB200_500
; %bb.497:                              ;   in Loop: Header=BB200_280 Depth=1
	v_and_b32_sdwa v20, v15, s29 dst_sel:DWORD dst_unused:UNUSED_PAD src0_sel:BYTE_1 src1_sel:DWORD
	v_mov_b32_e32 v11, v5
	v_mov_b32_e32 v19, v12
	v_cmp_ne_u32_e64 s[0:1], s29, v20
	v_mov_b32_e32 v18, v11
	s_and_saveexec_b64 s[18:19], s[0:1]
	s_cbranch_execz .LBB200_499
; %bb.498:                              ;   in Loop: Header=BB200_280 Depth=1
	v_mov_b32_e32 v11, 7
	v_and_b32_sdwa v18, v15, v11 dst_sel:DWORD dst_unused:UNUSED_PAD src0_sel:BYTE_1 src1_sel:DWORD
	v_lshrrev_b32_e32 v11, 3, v20
	v_cmp_gt_u32_e64 s[0:1], 8, v20
	v_ffbh_u32_e32 v20, v18
	v_min_u32_e32 v21, 32, v20
	v_mov_b32_e32 v19, v5
	v_subrev_u32_e32 v20, 28, v21
	v_lshlrev_b64 v[19:20], v20, v[18:19]
	v_sub_u32_e32 v20, 29, v21
	v_and_b32_e32 v19, 7, v19
	v_cndmask_b32_e64 v11, v11, v20, s[0:1]
	v_cndmask_b32_e64 v18, v18, v19, s[0:1]
	v_lshlrev_b32_e32 v19, 16, v15
	v_lshl_add_u32 v11, v11, 23, v37
	v_and_or_b32 v11, v19, s30, v11
	v_lshlrev_b32_e32 v18, 20, v18
	v_or_b32_e32 v19, v11, v18
	v_mov_b32_e32 v18, v5
.LBB200_499:                            ;   in Loop: Header=BB200_280 Depth=1
	s_or_b64 exec, exec, s[18:19]
.LBB200_500:                            ;   in Loop: Header=BB200_280 Depth=1
	s_or_b64 exec, exec, s[16:17]
.LBB200_501:                            ;   in Loop: Header=BB200_280 Depth=1
	s_or_b64 exec, exec, s[12:13]
	v_lshrrev_b32_e32 v11, 16, v15
	v_mov_b32_e32 v22, 0
	v_mov_b32_e32 v20, 0
	;; [unrolled: 1-line block ×4, first 2 shown]
	v_cmp_ne_u16_sdwa s[0:1], v11, v5 src0_sel:BYTE_0 src1_sel:DWORD
	s_and_saveexec_b64 s[12:13], s[0:1]
	s_cbranch_execz .LBB200_507
; %bb.502:                              ;   in Loop: Header=BB200_280 Depth=1
	v_bfrev_b32_e32 v20, 1
	v_mov_b32_e32 v21, 0
	v_cmp_ne_u16_sdwa s[0:1], v11, s28 src0_sel:BYTE_0 src1_sel:DWORD
	s_and_saveexec_b64 s[16:17], s[0:1]
	s_cbranch_execz .LBB200_506
; %bb.503:                              ;   in Loop: Header=BB200_280 Depth=1
	v_bfe_u32 v35, v15, 16, 7
	v_mov_b32_e32 v20, 0x7f800001
	v_mov_b32_e32 v21, 0
	v_cmp_ne_u32_e64 s[0:1], s29, v35
	s_and_saveexec_b64 s[18:19], s[0:1]
	s_cbranch_execz .LBB200_505
; %bb.504:                              ;   in Loop: Header=BB200_280 Depth=1
	v_and_b32_e32 v36, 7, v11
	v_ffbh_u32_e32 v20, v36
	v_lshrrev_b32_e32 v37, 3, v35
	v_cmp_gt_u32_e64 s[0:1], 8, v35
	v_min_u32_e32 v35, 32, v20
	v_subrev_u32_e32 v20, 28, v35
	v_lshlrev_b64 v[20:21], v20, v[11:12]
	v_sub_u32_e32 v21, 29, v35
	v_and_b32_e32 v20, 7, v20
	v_cndmask_b32_e64 v21, v37, v21, s[0:1]
	v_bfrev_b32_e32 v37, 60
	v_cndmask_b32_e64 v20, v36, v20, s[0:1]
	v_lshlrev_b32_e32 v20, 20, v20
	v_and_b32_sdwa v11, sext(v11), s30 dst_sel:DWORD dst_unused:UNUSED_PAD src0_sel:BYTE_0 src1_sel:DWORD
	v_lshl_add_u32 v21, v21, 23, v37
	v_or3_b32 v20, v11, v21, v20
	v_mov_b32_e32 v21, v5
.LBB200_505:                            ;   in Loop: Header=BB200_280 Depth=1
	s_or_b64 exec, exec, s[18:19]
.LBB200_506:                            ;   in Loop: Header=BB200_280 Depth=1
	s_or_b64 exec, exec, s[16:17]
.LBB200_507:                            ;   in Loop: Header=BB200_280 Depth=1
	s_or_b64 exec, exec, s[12:13]
	v_cmp_lt_u32_e64 s[0:1], s31, v15
	s_and_saveexec_b64 s[12:13], s[0:1]
	s_cbranch_execz .LBB200_513
; %bb.508:                              ;   in Loop: Header=BB200_280 Depth=1
	v_mov_b32_e32 v23, v6
	v_cmp_ne_u32_sdwa s[0:1], v15, s28 src0_sel:BYTE_3 src1_sel:DWORD
	v_mov_b32_e32 v22, v5
	s_and_saveexec_b64 s[16:17], s[0:1]
	s_cbranch_execz .LBB200_512
; %bb.509:                              ;   in Loop: Header=BB200_280 Depth=1
	v_bfe_u32 v35, v15, 24, 7
	v_mov_b32_e32 v11, v5
	v_mov_b32_e32 v23, v12
	v_cmp_ne_u32_e64 s[0:1], s29, v35
	v_mov_b32_e32 v22, v11
	s_and_saveexec_b64 s[18:19], s[0:1]
	s_cbranch_execz .LBB200_511
; %bb.510:                              ;   in Loop: Header=BB200_280 Depth=1
	v_mov_b32_e32 v11, 7
	v_and_b32_sdwa v22, v15, v11 dst_sel:DWORD dst_unused:UNUSED_PAD src0_sel:BYTE_3 src1_sel:DWORD
	v_lshrrev_b32_e32 v11, 3, v35
	v_cmp_gt_u32_e64 s[0:1], 8, v35
	v_ffbh_u32_e32 v35, v22
	v_min_u32_e32 v37, 32, v35
	v_mov_b32_e32 v23, v5
	v_subrev_u32_e32 v35, 28, v37
	v_lshlrev_b64 v[35:36], v35, v[22:23]
	v_sub_u32_e32 v23, 29, v37
	v_bfrev_b32_e32 v37, 60
	v_and_b32_e32 v35, 7, v35
	v_cndmask_b32_e64 v11, v11, v23, s[0:1]
	v_cndmask_b32_e64 v22, v22, v35, s[0:1]
	v_lshlrev_b32_sdwa v15, v61, v15 dst_sel:DWORD dst_unused:UNUSED_PAD src0_sel:DWORD src1_sel:BYTE_3
	v_lshl_add_u32 v11, v11, 23, v37
	v_and_or_b32 v11, v15, s30, v11
	v_lshlrev_b32_e32 v15, 20, v22
	v_or_b32_e32 v23, v11, v15
	v_mov_b32_e32 v22, v5
.LBB200_511:                            ;   in Loop: Header=BB200_280 Depth=1
	s_or_b64 exec, exec, s[18:19]
.LBB200_512:                            ;   in Loop: Header=BB200_280 Depth=1
	s_or_b64 exec, exec, s[16:17]
.LBB200_513:                            ;   in Loop: Header=BB200_280 Depth=1
	s_or_b64 exec, exec, s[12:13]
	v_or_b32_e32 v11, v19, v17
	v_or_b32_e32 v15, v18, v16
	v_mul_f32_e32 v35, s38, v11
	v_mul_f32_e32 v36, s37, v15
	v_or_b32_e32 v11, v23, v21
	v_or_b32_e32 v15, v22, v20
	v_mul_f32_e32 v23, s37, v15
	v_mul_f32_e32 v22, s38, v11
	s_and_saveexec_b64 s[12:13], vcc
; %bb.514:                              ;   in Loop: Header=BB200_280 Depth=1
	v_cmp_gt_i32_e64 s[0:1], s33, v49
	v_cndmask_b32_e64 v36, 0, v36, s[0:1]
	v_cmp_gt_i32_e64 s[0:1], s33, v52
	v_cndmask_b32_e64 v35, 0, v35, s[0:1]
	;; [unrolled: 2-line block ×4, first 2 shown]
; %bb.515:                              ;   in Loop: Header=BB200_280 Depth=1
	s_or_b64 exec, exec, s[12:13]
	global_load_dword v13, v[13:14], off offset:2304
	v_mov_b32_e32 v16, 0
	v_mov_b32_e32 v14, 0
	;; [unrolled: 1-line block ×4, first 2 shown]
	s_waitcnt vmcnt(0)
	v_cmp_ne_u16_sdwa s[0:1], v13, v5 src0_sel:BYTE_0 src1_sel:DWORD
	s_and_saveexec_b64 s[12:13], s[0:1]
	s_cbranch_execz .LBB200_521
; %bb.516:                              ;   in Loop: Header=BB200_280 Depth=1
	v_bfrev_b32_e32 v14, 1
	v_mov_b32_e32 v15, 0
	v_cmp_ne_u16_sdwa s[0:1], v13, s28 src0_sel:BYTE_0 src1_sel:DWORD
	s_and_saveexec_b64 s[16:17], s[0:1]
	s_cbranch_execz .LBB200_520
; %bb.517:                              ;   in Loop: Header=BB200_280 Depth=1
	v_and_b32_e32 v11, 0x7f, v13
	v_mov_b32_e32 v14, 0x7f800001
	v_mov_b32_e32 v15, 0
	v_cmp_ne_u32_e64 s[0:1], s29, v11
	s_and_saveexec_b64 s[18:19], s[0:1]
	s_cbranch_execz .LBB200_519
; %bb.518:                              ;   in Loop: Header=BB200_280 Depth=1
	v_and_b32_e32 v18, 7, v13
	v_lshrrev_b32_e32 v19, 3, v11
	v_cmp_gt_u32_e64 s[0:1], 8, v11
	v_ffbh_u32_e32 v11, v18
	v_min_u32_e32 v11, 32, v11
	v_subrev_u32_e32 v14, 28, v11
	v_lshlrev_b64 v[14:15], v14, v[13:14]
	v_sub_u32_e32 v11, 29, v11
	v_and_b32_e32 v14, 7, v14
	v_cndmask_b32_e64 v11, v19, v11, s[0:1]
	v_cndmask_b32_e64 v14, v18, v14, s[0:1]
	v_lshlrev_b32_e32 v14, 20, v14
	v_and_b32_sdwa v15, sext(v13), s30 dst_sel:DWORD dst_unused:UNUSED_PAD src0_sel:BYTE_0 src1_sel:DWORD
	v_lshl_add_u32 v11, v11, 23, v37
	v_or3_b32 v14, v15, v11, v14
	v_mov_b32_e32 v15, v5
.LBB200_519:                            ;   in Loop: Header=BB200_280 Depth=1
	s_or_b64 exec, exec, s[18:19]
.LBB200_520:                            ;   in Loop: Header=BB200_280 Depth=1
	s_or_b64 exec, exec, s[16:17]
.LBB200_521:                            ;   in Loop: Header=BB200_280 Depth=1
	s_or_b64 exec, exec, s[12:13]
	v_cmp_ne_u16_sdwa s[0:1], v13, v5 src0_sel:BYTE_1 src1_sel:DWORD
	s_and_saveexec_b64 s[12:13], s[0:1]
	s_cbranch_execz .LBB200_527
; %bb.522:                              ;   in Loop: Header=BB200_280 Depth=1
	v_mov_b32_e32 v17, v6
	v_cmp_ne_u16_sdwa s[0:1], v13, s28 src0_sel:BYTE_1 src1_sel:DWORD
	v_mov_b32_e32 v16, v5
	s_and_saveexec_b64 s[16:17], s[0:1]
	s_cbranch_execz .LBB200_526
; %bb.523:                              ;   in Loop: Header=BB200_280 Depth=1
	v_and_b32_sdwa v18, v13, s29 dst_sel:DWORD dst_unused:UNUSED_PAD src0_sel:BYTE_1 src1_sel:DWORD
	v_mov_b32_e32 v11, v5
	v_mov_b32_e32 v17, v12
	v_cmp_ne_u32_e64 s[0:1], s29, v18
	v_mov_b32_e32 v16, v11
	s_and_saveexec_b64 s[18:19], s[0:1]
	s_cbranch_execz .LBB200_525
; %bb.524:                              ;   in Loop: Header=BB200_280 Depth=1
	v_mov_b32_e32 v11, 7
	v_and_b32_sdwa v16, v13, v11 dst_sel:DWORD dst_unused:UNUSED_PAD src0_sel:BYTE_1 src1_sel:DWORD
	v_lshrrev_b32_e32 v11, 3, v18
	v_cmp_gt_u32_e64 s[0:1], 8, v18
	v_ffbh_u32_e32 v18, v16
	v_min_u32_e32 v19, 32, v18
	v_mov_b32_e32 v17, v5
	v_subrev_u32_e32 v18, 28, v19
	v_lshlrev_b64 v[17:18], v18, v[16:17]
	v_sub_u32_e32 v18, 29, v19
	v_and_b32_e32 v17, 7, v17
	v_cndmask_b32_e64 v11, v11, v18, s[0:1]
	v_cndmask_b32_e64 v16, v16, v17, s[0:1]
	v_lshlrev_b32_e32 v17, 16, v13
	v_lshl_add_u32 v11, v11, 23, v37
	v_and_or_b32 v11, v17, s30, v11
	v_lshlrev_b32_e32 v16, 20, v16
	v_or_b32_e32 v17, v11, v16
	v_mov_b32_e32 v16, v5
.LBB200_525:                            ;   in Loop: Header=BB200_280 Depth=1
	s_or_b64 exec, exec, s[18:19]
.LBB200_526:                            ;   in Loop: Header=BB200_280 Depth=1
	s_or_b64 exec, exec, s[16:17]
.LBB200_527:                            ;   in Loop: Header=BB200_280 Depth=1
	s_or_b64 exec, exec, s[12:13]
	v_lshrrev_b32_e32 v11, 16, v13
	v_mov_b32_e32 v20, 0
	v_mov_b32_e32 v18, 0
	;; [unrolled: 1-line block ×4, first 2 shown]
	v_cmp_ne_u16_sdwa s[0:1], v11, v5 src0_sel:BYTE_0 src1_sel:DWORD
	s_and_saveexec_b64 s[12:13], s[0:1]
	s_cbranch_execz .LBB200_533
; %bb.528:                              ;   in Loop: Header=BB200_280 Depth=1
	v_bfrev_b32_e32 v18, 1
	v_mov_b32_e32 v19, 0
	v_cmp_ne_u16_sdwa s[0:1], v11, s28 src0_sel:BYTE_0 src1_sel:DWORD
	s_and_saveexec_b64 s[16:17], s[0:1]
	s_cbranch_execz .LBB200_532
; %bb.529:                              ;   in Loop: Header=BB200_280 Depth=1
	v_bfe_u32 v37, v13, 16, 7
	v_mov_b32_e32 v18, 0x7f800001
	v_bfrev_b32_e32 v61, 60
	v_mov_b32_e32 v19, 0
	v_cmp_ne_u32_e64 s[0:1], s29, v37
	s_and_saveexec_b64 s[18:19], s[0:1]
	s_cbranch_execz .LBB200_531
; %bb.530:                              ;   in Loop: Header=BB200_280 Depth=1
	v_mov_b32_e32 v40, v26
	v_mov_b32_e32 v26, v43
	;; [unrolled: 1-line block ×14, first 2 shown]
	v_and_b32_e32 v46, 7, v11
	v_ffbh_u32_e32 v18, v46
	v_mov_b32_e32 v45, v42
	v_lshrrev_b32_e32 v42, 3, v37
	v_cmp_gt_u32_e64 s[0:1], 8, v37
	v_min_u32_e32 v37, 32, v18
	v_subrev_u32_e32 v18, 28, v37
	v_lshlrev_b64 v[18:19], v18, v[11:12]
	v_sub_u32_e32 v19, 29, v37
	v_cndmask_b32_e64 v19, v42, v19, s[0:1]
	v_mov_b32_e32 v42, v45
	buffer_load_dword v45, off, s[56:59], 0 offset:128 ; 4-byte Folded Reload
	v_and_b32_e32 v18, 7, v18
	v_cndmask_b32_e64 v18, v46, v18, s[0:1]
	v_mov_b32_e32 v0, v62
	v_lshlrev_b32_e32 v18, 20, v18
	v_and_b32_sdwa v11, sext(v11), s30 dst_sel:DWORD dst_unused:UNUSED_PAD src0_sel:BYTE_0 src1_sel:DWORD
	v_lshl_add_u32 v19, v19, 23, v61
	v_mov_b32_e32 v46, v55
	v_mov_b32_e32 v55, v59
	;; [unrolled: 1-line block ×15, first 2 shown]
	v_or3_b32 v18, v11, v19, v18
	v_mov_b32_e32 v19, v5
.LBB200_531:                            ;   in Loop: Header=BB200_280 Depth=1
	s_or_b64 exec, exec, s[18:19]
	v_bfrev_b32_e32 v37, 60
	v_mov_b32_e32 v61, 24
.LBB200_532:                            ;   in Loop: Header=BB200_280 Depth=1
	s_or_b64 exec, exec, s[16:17]
.LBB200_533:                            ;   in Loop: Header=BB200_280 Depth=1
	s_or_b64 exec, exec, s[12:13]
	v_cmp_lt_u32_e64 s[0:1], s31, v13
	s_and_saveexec_b64 s[12:13], s[0:1]
	s_cbranch_execz .LBB200_539
; %bb.534:                              ;   in Loop: Header=BB200_280 Depth=1
	v_mov_b32_e32 v21, v6
	v_cmp_ne_u32_sdwa s[0:1], v13, s28 src0_sel:BYTE_3 src1_sel:DWORD
	v_mov_b32_e32 v20, v5
	s_and_saveexec_b64 s[16:17], s[0:1]
	s_cbranch_execz .LBB200_538
; %bb.535:                              ;   in Loop: Header=BB200_280 Depth=1
	v_bfe_u32 v37, v13, 24, 7
	v_mov_b32_e32 v11, v5
	v_mov_b32_e32 v21, v12
	v_bfrev_b32_e32 v40, 60
	v_cmp_ne_u32_e64 s[0:1], s29, v37
	v_mov_b32_e32 v20, v11
	s_and_saveexec_b64 s[18:19], s[0:1]
	s_cbranch_execz .LBB200_537
; %bb.536:                              ;   in Loop: Header=BB200_280 Depth=1
	v_mov_b32_e32 v11, 7
	v_and_b32_sdwa v20, v13, v11 dst_sel:DWORD dst_unused:UNUSED_PAD src0_sel:BYTE_3 src1_sel:DWORD
	v_lshrrev_b32_e32 v11, 3, v37
	v_cmp_gt_u32_e64 s[0:1], 8, v37
	v_ffbh_u32_e32 v37, v20
	s_waitcnt vmcnt(0)
	v_mov_b32_e32 v45, v42
	v_min_u32_e32 v42, 32, v37
	v_mov_b32_e32 v21, v5
	v_subrev_u32_e32 v37, 28, v42
	v_mov_b32_e32 v63, v48
	v_mov_b32_e32 v48, v8
	;; [unrolled: 1-line block ×4, first 2 shown]
	v_lshlrev_b64 v[61:62], v37, v[20:21]
	v_sub_u32_e32 v21, 29, v42
	v_mov_b32_e32 v42, v45
	buffer_load_dword v45, off, s[56:59], 0 offset:128 ; 4-byte Folded Reload
	v_and_b32_e32 v37, 7, v61
	v_mov_b32_e32 v61, 24
	v_cndmask_b32_e64 v11, v11, v21, s[0:1]
	v_cndmask_b32_e64 v20, v20, v37, s[0:1]
	v_lshlrev_b32_sdwa v13, v61, v13 dst_sel:DWORD dst_unused:UNUSED_PAD src0_sel:DWORD src1_sel:BYTE_3
	v_lshl_add_u32 v11, v11, 23, v40
	v_and_or_b32 v11, v13, s30, v11
	v_lshlrev_b32_e32 v13, 20, v20
	v_mov_b32_e32 v62, v49
	v_mov_b32_e32 v49, v8
	;; [unrolled: 1-line block ×4, first 2 shown]
	v_or_b32_e32 v21, v11, v13
	v_mov_b32_e32 v20, v5
.LBB200_537:                            ;   in Loop: Header=BB200_280 Depth=1
	s_or_b64 exec, exec, s[18:19]
	v_bfrev_b32_e32 v37, 60
.LBB200_538:                            ;   in Loop: Header=BB200_280 Depth=1
	s_or_b64 exec, exec, s[16:17]
.LBB200_539:                            ;   in Loop: Header=BB200_280 Depth=1
	s_or_b64 exec, exec, s[12:13]
	v_or_b32_e32 v13, v16, v14
	v_or_b32_e32 v11, v17, v15
	v_mul_f32_e32 v15, s37, v13
	v_or_b32_e32 v13, v21, v19
	v_or_b32_e32 v14, v20, v18
	v_mul_f32_e32 v11, s38, v11
	v_mul_f32_e32 v14, s37, v14
	;; [unrolled: 1-line block ×3, first 2 shown]
	s_and_saveexec_b64 s[0:1], vcc
	s_cbranch_execz .LBB200_278
; %bb.540:                              ;   in Loop: Header=BB200_280 Depth=1
	v_cmp_gt_i32_e32 vcc, s33, v49
	v_cndmask_b32_e32 v15, 0, v15, vcc
	v_cmp_gt_i32_e32 vcc, s33, v52
	v_cndmask_b32_e32 v11, 0, v11, vcc
	;; [unrolled: 2-line block ×4, first 2 shown]
	s_branch .LBB200_278
.LBB200_541:
	s_or_b64 exec, exec, s[4:5]
	buffer_load_dword v16, off, s[56:59], 0 offset:324 ; 4-byte Folded Reload
	buffer_load_dword v17, off, s[56:59], 0 offset:132 ; 4-byte Folded Reload
	;; [unrolled: 1-line block ×6, first 2 shown]
.LBB200_542:
	s_or_b64 exec, exec, s[2:3]
	buffer_load_dword v4, off, s[56:59], 0 offset:104 ; 4-byte Folded Reload
	buffer_load_dword v8, off, s[56:59], 0 offset:96 ; 4-byte Folded Reload
	;; [unrolled: 1-line block ×4, first 2 shown]
	s_waitcnt vmcnt(7)
	ds_bpermute_b32 v1, v14, v60
	ds_bpermute_b32 v2, v14, v58
	;; [unrolled: 1-line block ×4, first 2 shown]
	s_waitcnt lgkmcnt(0)
	v_add_f32_e32 v1, v60, v1
	s_waitcnt vmcnt(6)
	ds_bpermute_b32 v5, v15, v1
	v_add_f32_e32 v2, v58, v2
	ds_bpermute_b32 v6, v15, v2
	v_add_f32_e32 v11, v38, v11
	s_waitcnt vmcnt(0) lgkmcnt(0)
	s_barrier
	v_add_f32_e32 v1, v1, v5
	ds_bpermute_b32 v5, v18, v1
	v_add_f32_e32 v2, v2, v6
	ds_bpermute_b32 v6, v18, v2
	s_waitcnt lgkmcnt(0)
	v_add_f32_e32 v1, v1, v5
	v_add_f32_e32 v5, v56, v7
	ds_bpermute_b32 v7, v15, v5
	v_add_f32_e32 v2, v2, v6
	s_waitcnt lgkmcnt(0)
	v_add_f32_e32 v5, v5, v7
	ds_bpermute_b32 v7, v14, v54
	ds_bpermute_b32 v0, v14, v4
	;; [unrolled: 1-line block ×3, first 2 shown]
	s_waitcnt lgkmcnt(1)
	v_add_f32_e32 v0, v4, v0
	ds_bpermute_b32 v4, v15, v0
	s_waitcnt lgkmcnt(1)
	v_add_f32_e32 v3, v8, v3
	ds_bpermute_b32 v8, v18, v5
	;; [unrolled: 3-line block ×5, first 2 shown]
	ds_bpermute_b32 v6, v18, v3
	s_waitcnt lgkmcnt(1)
	v_add_f32_e32 v9, v9, v4
	ds_bpermute_b32 v10, v15, v9
	s_waitcnt lgkmcnt(1)
	v_add_f32_e32 v3, v3, v6
	v_add_f32_e32 v6, v54, v7
	ds_bpermute_b32 v7, v15, v6
	v_add_f32_e32 v4, v5, v8
	s_waitcnt lgkmcnt(1)
	v_add_f32_e32 v5, v9, v10
	ds_bpermute_b32 v9, v14, v12
	ds_bpermute_b32 v8, v18, v5
	s_waitcnt lgkmcnt(2)
	v_add_f32_e32 v6, v6, v7
	ds_bpermute_b32 v7, v14, v47
	ds_bpermute_b32 v14, v15, v11
	;; [unrolled: 4-line block ×3, first 2 shown]
	s_waitcnt lgkmcnt(3)
	v_add_f32_e32 v7, v47, v7
	ds_bpermute_b32 v13, v15, v7
	s_waitcnt lgkmcnt(3)
	v_add_f32_e32 v11, v11, v14
	s_waitcnt lgkmcnt(2)
	v_add_f32_e32 v9, v9, v12
	ds_bpermute_b32 v12, v18, v9
	ds_bpermute_b32 v14, v18, v11
	s_waitcnt lgkmcnt(2)
	v_add_f32_e32 v13, v7, v13
	ds_bpermute_b32 v15, v18, v13
	v_add_f32_e32 v5, v5, v8
	s_waitcnt lgkmcnt(2)
	v_add_f32_e32 v7, v9, v12
	s_waitcnt lgkmcnt(1)
	v_add_f32_e32 v9, v11, v14
	v_and_b32_e32 v11, 0x3c7, v16
	v_add_f32_e32 v6, v6, v10
	s_waitcnt lgkmcnt(0)
	v_add_f32_e32 v8, v13, v15
	v_cmp_eq_u32_e32 vcc, 64, v11
	s_and_saveexec_b64 s[0:1], vcc
	s_cbranch_execz .LBB200_544
; %bb.543:
	v_lshrrev_b32_e32 v10, 1, v17
	v_add_u32_e32 v10, 0x150, v10
	ds_write2_b32 v10, v0, v1 offset1:8
	ds_write2_b32 v10, v2, v3 offset0:16 offset1:24
	ds_write2_b32 v10, v4, v5 offset0:32 offset1:40
	;; [unrolled: 1-line block ×4, first 2 shown]
.LBB200_544:
	s_or_b64 exec, exec, s[0:1]
	v_cmp_gt_u32_e32 vcc, 64, v16
	v_lshrrev_b32_e32 v10, 3, v16
	s_waitcnt lgkmcnt(0)
	s_barrier
	s_and_saveexec_b64 s[0:1], vcc
	s_cbranch_execz .LBB200_557
; %bb.545:
	v_mov_b32_e32 v12, 0x150
	v_cmp_eq_u32_e32 vcc, 0, v19
	v_lshl_add_u32 v12, v10, 2, v12
	s_and_saveexec_b64 s[2:3], vcc
	s_cbranch_execnz .LBB200_560
; %bb.546:
	s_or_b64 exec, exec, s[2:3]
	s_and_saveexec_b64 s[2:3], vcc
	s_cbranch_execnz .LBB200_561
.LBB200_547:
	s_or_b64 exec, exec, s[2:3]
	s_and_saveexec_b64 s[2:3], vcc
	s_cbranch_execnz .LBB200_562
.LBB200_548:
	s_or_b64 exec, exec, s[2:3]
	s_and_saveexec_b64 s[2:3], vcc
	s_cbranch_execnz .LBB200_563
.LBB200_549:
	s_or_b64 exec, exec, s[2:3]
	s_and_saveexec_b64 s[2:3], vcc
	s_cbranch_execnz .LBB200_564
.LBB200_550:
	s_or_b64 exec, exec, s[2:3]
	s_and_saveexec_b64 s[2:3], vcc
	s_cbranch_execnz .LBB200_565
.LBB200_551:
	s_or_b64 exec, exec, s[2:3]
	s_and_saveexec_b64 s[2:3], vcc
	s_cbranch_execnz .LBB200_566
.LBB200_552:
	s_or_b64 exec, exec, s[2:3]
	s_and_saveexec_b64 s[2:3], vcc
	s_cbranch_execnz .LBB200_567
.LBB200_553:
	s_or_b64 exec, exec, s[2:3]
	s_and_saveexec_b64 s[2:3], vcc
	s_cbranch_execnz .LBB200_568
.LBB200_554:
	s_or_b64 exec, exec, s[2:3]
	s_and_saveexec_b64 s[2:3], vcc
	s_cbranch_execz .LBB200_556
.LBB200_555:
	ds_read_b32 v12, v12 offset:288
	s_waitcnt lgkmcnt(0)
	v_add_f32_e32 v9, v9, v12
.LBB200_556:
	s_or_b64 exec, exec, s[2:3]
.LBB200_557:
	s_or_b64 exec, exec, s[0:1]
	v_cmp_eq_u32_e32 vcc, 0, v11
	s_barrier
	s_and_saveexec_b64 s[0:1], vcc
	s_cbranch_execz .LBB200_559
; %bb.558:
	s_mul_i32 s0, s10, s11
	s_mul_i32 s0, s0, s9
	s_mulk_i32 s0, 0x50
	s_ashr_i32 s1, s0, 31
	s_lshl_b64 s[0:1], s[0:1], 2
	s_add_u32 s2, s26, s0
	s_mul_i32 s0, s11, s24
	s_addc_u32 s3, s27, s1
	s_ashr_i32 s1, s0, 31
	s_lshl_b64 s[0:1], s[0:1], 2
	s_add_u32 s2, s2, s0
	s_mul_i32 s0, s8, 0x50
	s_addc_u32 s3, s3, s1
	s_ashr_i32 s1, s0, 31
	s_lshl_b64 s[0:1], s[0:1], 2
	s_add_u32 s0, s2, s0
	s_addc_u32 s1, s3, s1
	v_lshlrev_b32_e32 v10, 2, v10
	global_store_dword v10, v0, s[0:1]
	global_store_dword v10, v1, s[0:1] offset:32
	global_store_dword v10, v2, s[0:1] offset:64
	;; [unrolled: 1-line block ×9, first 2 shown]
.LBB200_559:
	s_endpgm
.LBB200_560:
	ds_read_b32 v13, v12
	s_waitcnt lgkmcnt(0)
	v_add_f32_e32 v0, v0, v13
	s_or_b64 exec, exec, s[2:3]
	s_and_saveexec_b64 s[2:3], vcc
	s_cbranch_execz .LBB200_547
.LBB200_561:
	ds_read_b32 v13, v12 offset:32
	s_waitcnt lgkmcnt(0)
	v_add_f32_e32 v1, v1, v13
	s_or_b64 exec, exec, s[2:3]
	s_and_saveexec_b64 s[2:3], vcc
	s_cbranch_execz .LBB200_548
.LBB200_562:
	ds_read_b32 v13, v12 offset:64
	s_waitcnt lgkmcnt(0)
	v_add_f32_e32 v2, v2, v13
	s_or_b64 exec, exec, s[2:3]
	s_and_saveexec_b64 s[2:3], vcc
	s_cbranch_execz .LBB200_549
.LBB200_563:
	ds_read_b32 v13, v12 offset:96
	s_waitcnt lgkmcnt(0)
	v_add_f32_e32 v3, v3, v13
	s_or_b64 exec, exec, s[2:3]
	s_and_saveexec_b64 s[2:3], vcc
	s_cbranch_execz .LBB200_550
.LBB200_564:
	ds_read_b32 v13, v12 offset:128
	s_waitcnt lgkmcnt(0)
	v_add_f32_e32 v4, v4, v13
	s_or_b64 exec, exec, s[2:3]
	s_and_saveexec_b64 s[2:3], vcc
	s_cbranch_execz .LBB200_551
.LBB200_565:
	ds_read_b32 v13, v12 offset:160
	s_waitcnt lgkmcnt(0)
	v_add_f32_e32 v5, v5, v13
	s_or_b64 exec, exec, s[2:3]
	s_and_saveexec_b64 s[2:3], vcc
	s_cbranch_execz .LBB200_552
.LBB200_566:
	ds_read_b32 v13, v12 offset:192
	s_waitcnt lgkmcnt(0)
	v_add_f32_e32 v6, v6, v13
	s_or_b64 exec, exec, s[2:3]
	s_and_saveexec_b64 s[2:3], vcc
	s_cbranch_execz .LBB200_553
.LBB200_567:
	ds_read_b32 v13, v12 offset:224
	s_waitcnt lgkmcnt(0)
	v_add_f32_e32 v7, v7, v13
	s_or_b64 exec, exec, s[2:3]
	s_and_saveexec_b64 s[2:3], vcc
	s_cbranch_execz .LBB200_554
.LBB200_568:
	ds_read_b32 v13, v12 offset:256
	s_waitcnt lgkmcnt(0)
	v_add_f32_e32 v8, v8, v13
	s_or_b64 exec, exec, s[2:3]
	s_and_saveexec_b64 s[2:3], vcc
	s_cbranch_execnz .LBB200_555
	s_branch .LBB200_556
	.section	.rodata,"a",@progbits
	.p2align	6, 0x0
	.amdhsa_kernel _ZN4vllm25paged_attention_v1_kernelIfhLi80ELi32ELi128ELNS_18Fp8KVCacheDataTypeE1ELb1EEEvPT_PKS2_PKT0_S8_ifPKiSA_iPKfiiiSC_SC_iiiii
		.amdhsa_group_segment_fixed_size 336
		.amdhsa_private_segment_fixed_size 344
		.amdhsa_kernarg_size 384
		.amdhsa_user_sgpr_count 6
		.amdhsa_user_sgpr_private_segment_buffer 1
		.amdhsa_user_sgpr_dispatch_ptr 0
		.amdhsa_user_sgpr_queue_ptr 0
		.amdhsa_user_sgpr_kernarg_segment_ptr 1
		.amdhsa_user_sgpr_dispatch_id 0
		.amdhsa_user_sgpr_flat_scratch_init 0
		.amdhsa_user_sgpr_private_segment_size 0
		.amdhsa_uses_dynamic_stack 0
		.amdhsa_system_sgpr_private_segment_wavefront_offset 1
		.amdhsa_system_sgpr_workgroup_id_x 1
		.amdhsa_system_sgpr_workgroup_id_y 1
		.amdhsa_system_sgpr_workgroup_id_z 1
		.amdhsa_system_sgpr_workgroup_info 0
		.amdhsa_system_vgpr_workitem_id 0
		.amdhsa_next_free_vgpr 64
		.amdhsa_next_free_sgpr 60
		.amdhsa_reserve_vcc 1
		.amdhsa_reserve_flat_scratch 0
		.amdhsa_float_round_mode_32 0
		.amdhsa_float_round_mode_16_64 0
		.amdhsa_float_denorm_mode_32 3
		.amdhsa_float_denorm_mode_16_64 3
		.amdhsa_dx10_clamp 1
		.amdhsa_ieee_mode 1
		.amdhsa_fp16_overflow 0
		.amdhsa_exception_fp_ieee_invalid_op 0
		.amdhsa_exception_fp_denorm_src 0
		.amdhsa_exception_fp_ieee_div_zero 0
		.amdhsa_exception_fp_ieee_overflow 0
		.amdhsa_exception_fp_ieee_underflow 0
		.amdhsa_exception_fp_ieee_inexact 0
		.amdhsa_exception_int_div_zero 0
	.end_amdhsa_kernel
	.section	.text._ZN4vllm25paged_attention_v1_kernelIfhLi80ELi32ELi128ELNS_18Fp8KVCacheDataTypeE1ELb1EEEvPT_PKS2_PKT0_S8_ifPKiSA_iPKfiiiSC_SC_iiiii,"axG",@progbits,_ZN4vllm25paged_attention_v1_kernelIfhLi80ELi32ELi128ELNS_18Fp8KVCacheDataTypeE1ELb1EEEvPT_PKS2_PKT0_S8_ifPKiSA_iPKfiiiSC_SC_iiiii,comdat
.Lfunc_end200:
	.size	_ZN4vllm25paged_attention_v1_kernelIfhLi80ELi32ELi128ELNS_18Fp8KVCacheDataTypeE1ELb1EEEvPT_PKS2_PKT0_S8_ifPKiSA_iPKfiiiSC_SC_iiiii, .Lfunc_end200-_ZN4vllm25paged_attention_v1_kernelIfhLi80ELi32ELi128ELNS_18Fp8KVCacheDataTypeE1ELb1EEEvPT_PKS2_PKT0_S8_ifPKiSA_iPKfiiiSC_SC_iiiii
                                        ; -- End function
	.set _ZN4vllm25paged_attention_v1_kernelIfhLi80ELi32ELi128ELNS_18Fp8KVCacheDataTypeE1ELb1EEEvPT_PKS2_PKT0_S8_ifPKiSA_iPKfiiiSC_SC_iiiii.num_vgpr, 64
	.set _ZN4vllm25paged_attention_v1_kernelIfhLi80ELi32ELi128ELNS_18Fp8KVCacheDataTypeE1ELb1EEEvPT_PKS2_PKT0_S8_ifPKiSA_iPKfiiiSC_SC_iiiii.num_agpr, 0
	.set _ZN4vllm25paged_attention_v1_kernelIfhLi80ELi32ELi128ELNS_18Fp8KVCacheDataTypeE1ELb1EEEvPT_PKS2_PKT0_S8_ifPKiSA_iPKfiiiSC_SC_iiiii.numbered_sgpr, 60
	.set _ZN4vllm25paged_attention_v1_kernelIfhLi80ELi32ELi128ELNS_18Fp8KVCacheDataTypeE1ELb1EEEvPT_PKS2_PKT0_S8_ifPKiSA_iPKfiiiSC_SC_iiiii.num_named_barrier, 0
	.set _ZN4vllm25paged_attention_v1_kernelIfhLi80ELi32ELi128ELNS_18Fp8KVCacheDataTypeE1ELb1EEEvPT_PKS2_PKT0_S8_ifPKiSA_iPKfiiiSC_SC_iiiii.private_seg_size, 344
	.set _ZN4vllm25paged_attention_v1_kernelIfhLi80ELi32ELi128ELNS_18Fp8KVCacheDataTypeE1ELb1EEEvPT_PKS2_PKT0_S8_ifPKiSA_iPKfiiiSC_SC_iiiii.uses_vcc, 1
	.set _ZN4vllm25paged_attention_v1_kernelIfhLi80ELi32ELi128ELNS_18Fp8KVCacheDataTypeE1ELb1EEEvPT_PKS2_PKT0_S8_ifPKiSA_iPKfiiiSC_SC_iiiii.uses_flat_scratch, 0
	.set _ZN4vllm25paged_attention_v1_kernelIfhLi80ELi32ELi128ELNS_18Fp8KVCacheDataTypeE1ELb1EEEvPT_PKS2_PKT0_S8_ifPKiSA_iPKfiiiSC_SC_iiiii.has_dyn_sized_stack, 0
	.set _ZN4vllm25paged_attention_v1_kernelIfhLi80ELi32ELi128ELNS_18Fp8KVCacheDataTypeE1ELb1EEEvPT_PKS2_PKT0_S8_ifPKiSA_iPKfiiiSC_SC_iiiii.has_recursion, 0
	.set _ZN4vllm25paged_attention_v1_kernelIfhLi80ELi32ELi128ELNS_18Fp8KVCacheDataTypeE1ELb1EEEvPT_PKS2_PKT0_S8_ifPKiSA_iPKfiiiSC_SC_iiiii.has_indirect_call, 0
	.section	.AMDGPU.csdata,"",@progbits
; Kernel info:
; codeLenInByte = 25756
; TotalNumSgprs: 64
; NumVgprs: 64
; ScratchSize: 344
; MemoryBound: 0
; FloatMode: 240
; IeeeMode: 1
; LDSByteSize: 336 bytes/workgroup (compile time only)
; SGPRBlocks: 7
; VGPRBlocks: 15
; NumSGPRsForWavesPerEU: 64
; NumVGPRsForWavesPerEU: 64
; Occupancy: 4
; WaveLimiterHint : 1
; COMPUTE_PGM_RSRC2:SCRATCH_EN: 1
; COMPUTE_PGM_RSRC2:USER_SGPR: 6
; COMPUTE_PGM_RSRC2:TRAP_HANDLER: 0
; COMPUTE_PGM_RSRC2:TGID_X_EN: 1
; COMPUTE_PGM_RSRC2:TGID_Y_EN: 1
; COMPUTE_PGM_RSRC2:TGID_Z_EN: 1
; COMPUTE_PGM_RSRC2:TIDIG_COMP_CNT: 0
	.section	.text._ZN4vllm25paged_attention_v1_kernelIfhLi96ELi32ELi128ELNS_18Fp8KVCacheDataTypeE1ELb1EEEvPT_PKS2_PKT0_S8_ifPKiSA_iPKfiiiSC_SC_iiiii,"axG",@progbits,_ZN4vllm25paged_attention_v1_kernelIfhLi96ELi32ELi128ELNS_18Fp8KVCacheDataTypeE1ELb1EEEvPT_PKS2_PKT0_S8_ifPKiSA_iPKfiiiSC_SC_iiiii,comdat
	.protected	_ZN4vllm25paged_attention_v1_kernelIfhLi96ELi32ELi128ELNS_18Fp8KVCacheDataTypeE1ELb1EEEvPT_PKS2_PKT0_S8_ifPKiSA_iPKfiiiSC_SC_iiiii ; -- Begin function _ZN4vllm25paged_attention_v1_kernelIfhLi96ELi32ELi128ELNS_18Fp8KVCacheDataTypeE1ELb1EEEvPT_PKS2_PKT0_S8_ifPKiSA_iPKfiiiSC_SC_iiiii
	.globl	_ZN4vllm25paged_attention_v1_kernelIfhLi96ELi32ELi128ELNS_18Fp8KVCacheDataTypeE1ELb1EEEvPT_PKS2_PKT0_S8_ifPKiSA_iPKfiiiSC_SC_iiiii
	.p2align	8
	.type	_ZN4vllm25paged_attention_v1_kernelIfhLi96ELi32ELi128ELNS_18Fp8KVCacheDataTypeE1ELb1EEEvPT_PKS2_PKT0_S8_ifPKiSA_iPKfiiiSC_SC_iiiii,@function
_ZN4vllm25paged_attention_v1_kernelIfhLi96ELi32ELi128ELNS_18Fp8KVCacheDataTypeE1ELb1EEEvPT_PKS2_PKT0_S8_ifPKiSA_iPKfiiiSC_SC_iiiii: ; @_ZN4vllm25paged_attention_v1_kernelIfhLi96ELi32ELi128ELNS_18Fp8KVCacheDataTypeE1ELb1EEEvPT_PKS2_PKT0_S8_ifPKiSA_iPKfiiiSC_SC_iiiii
; %bb.0:
	s_mov_b64 s[58:59], s[2:3]
	s_mov_b64 s[56:57], s[0:1]
	s_add_u32 s56, s56, s9
	s_addc_u32 s57, s57, 0
	buffer_store_dword v0, off, s[56:59], 0 offset:388 ; 4-byte Folded Spill
	s_load_dword s9, s[4:5], 0x80
	s_load_dwordx2 s[0:1], s[4:5], 0x30
	s_load_dwordx2 s[36:37], s[4:5], 0x20
	s_mov_b32 s10, s7
	s_ashr_i32 s11, s7, 31
	s_lshl_b64 s[2:3], s[10:11], 2
	s_waitcnt lgkmcnt(0)
	s_add_u32 s0, s0, s2
	s_addc_u32 s1, s1, s3
	s_abs_i32 s2, s36
	v_cvt_f32_u32_e32 v0, s2
	s_sub_i32 s11, 0, s2
	s_abs_i32 s7, s9
	s_xor_b32 s3, s9, s36
	v_rcp_iflag_f32_e32 v0, v0
	s_ashr_i32 s3, s3, 31
	s_mov_b32 s48, 0
	v_mul_f32_e32 v0, 0x4f7ffffe, v0
	v_cvt_u32_f32_e32 v0, v0
	v_readfirstlane_b32 s12, v0
	s_mul_i32 s11, s11, s12
	s_mul_hi_u32 s11, s12, s11
	s_add_i32 s12, s12, s11
	s_mul_hi_u32 s11, s7, s12
	s_mul_i32 s12, s11, s2
	s_sub_i32 s7, s7, s12
	s_add_i32 s12, s11, 1
	s_sub_i32 s13, s7, s2
	s_cmp_ge_u32 s7, s2
	s_cselect_b32 s11, s12, s11
	s_cselect_b32 s7, s13, s7
	s_add_i32 s12, s11, 1
	s_cmp_ge_u32 s7, s2
	s_cselect_b32 s2, s12, s11
	s_xor_b32 s2, s2, s3
	s_sub_i32 s14, s2, s3
	s_abs_i32 s11, s14
	v_cvt_f32_u32_e32 v0, s11
	s_load_dwordx2 s[2:3], s[4:5], 0x40
	s_sub_i32 s7, 0, s11
	s_abs_i32 s12, s6
	v_rcp_iflag_f32_e32 v0, v0
	v_mul_f32_e32 v0, 0x4f7ffffe, v0
	v_cvt_u32_f32_e32 v0, v0
	v_readfirstlane_b32 s13, v0
	s_mul_i32 s7, s7, s13
	s_mul_hi_u32 s7, s13, s7
	s_add_i32 s13, s13, s7
	s_waitcnt lgkmcnt(0)
	s_cmp_eq_u64 s[2:3], 0
	s_mul_hi_u32 s13, s12, s13
	s_cbranch_scc1 .LBB201_2
; %bb.1:
	s_ashr_i32 s7, s6, 31
	s_lshl_b64 s[16:17], s[6:7], 2
	s_add_u32 s2, s2, s16
	s_addc_u32 s3, s3, s17
	s_load_dword s48, s[2:3], 0x0
.LBB201_2:
	buffer_load_dword v1, off, s[56:59], 0 offset:388 ; 4-byte Folded Reload
	s_load_dword s33, s[0:1], 0x0
	s_load_dwordx4 s[16:19], s[4:5], 0x48
	s_ashr_i32 s3, s6, 31
	s_ashr_i32 s7, s14, 31
	s_mul_i32 s24, s6, 0x60
	s_waitcnt vmcnt(0)
	v_and_b32_e32 v0, 1, v1
	v_cmp_gt_u32_e32 vcc, 48, v1
	v_lshlrev_b32_e32 v11, 2, v1
	s_and_saveexec_b64 s[0:1], vcc
	s_cbranch_execz .LBB201_4
; %bb.3:
	buffer_load_dword v1, off, s[56:59], 0 offset:388 ; 4-byte Folded Reload
	s_load_dwordx2 s[14:15], s[4:5], 0x8
	s_waitcnt lgkmcnt(0)
	s_mul_i32 s20, s16, s10
	s_ashr_i32 s21, s20, 31
	s_lshl_b64 s[20:21], s[20:21], 2
	v_and_b32_e32 v3, 0xff8, v11
	s_add_u32 s2, s14, s20
	s_addc_u32 s16, s15, s21
	s_ashr_i32 s25, s24, 31
	s_lshl_b64 s[14:15], s[24:25], 2
	s_add_u32 s14, s2, s14
	s_addc_u32 s15, s16, s15
	s_movk_i32 s2, 0xc0
	v_mad_u32_u24 v3, v0, s2, v3
	s_waitcnt vmcnt(0)
	v_lshlrev_b32_e32 v1, 3, v1
	global_load_dwordx2 v[1:2], v1, s[14:15]
	s_waitcnt vmcnt(0)
	ds_write_b64 v3, v[1:2]
.LBB201_4:
	s_or_b64 exec, exec, s[0:1]
	s_mul_i32 s1, s13, s11
	s_sub_i32 s1, s12, s1
	s_xor_b32 s0, s3, s7
	s_add_i32 s3, s13, 1
	s_sub_i32 s7, s1, s11
	s_load_dwordx4 s[20:23], s[4:5], 0x68
	s_load_dword s2, s[4:5], 0x78
	s_cmp_ge_u32 s1, s11
	s_cselect_b32 s3, s3, s13
	s_cselect_b32 s1, s7, s1
	s_add_i32 s7, s3, 1
	s_cmp_ge_u32 s1, s11
	s_cselect_b32 s1, s7, s3
	s_waitcnt lgkmcnt(0)
	s_abs_i32 s25, s23
	v_cvt_f32_u32_e32 v1, s25
	s_xor_b32 s1, s1, s0
	s_sub_i32 s47, s1, s0
	s_sub_i32 s0, 0, s25
	v_rcp_iflag_f32_e32 v1, v1
	s_add_i32 s11, s33, -1
	s_abs_i32 s3, s11
	v_mul_f32_e32 v1, 0x4f7ffffe, v1
	v_cvt_u32_f32_e32 v1, v1
	s_barrier
	v_readfirstlane_b32 s46, v1
	s_mul_i32 s0, s0, s46
	s_mul_hi_u32 s0, s46, s0
	s_add_i32 s46, s46, s0
	s_cmp_lt_i32 s2, 0
	s_mul_hi_u32 s7, s3, s46
	s_cbranch_scc0 .LBB201_6
; %bb.5:
	s_mul_i32 s0, s20, s36
	s_add_i32 s0, s47, s0
	s_mul_i32 s0, s0, s2
	s_sub_i32 s36, 1, s0
	s_mov_b64 s[0:1], 0
	s_branch .LBB201_7
.LBB201_6:
	s_mov_b64 s[0:1], -1
                                        ; implicit-def: $sgpr36
.LBB201_7:
	s_load_dwordx2 s[28:29], s[4:5], 0x28
	s_ashr_i32 s16, s11, 31
	s_andn2_b64 vcc, exec, s[0:1]
	s_ashr_i32 s23, s23, 31
	s_cbranch_vccnz .LBB201_9
; %bb.8:
	s_mul_i32 s0, s9, s20
	s_add_i32 s0, s0, s6
	s_mul_i32 s0, s0, s2
	s_add_i32 s36, s0, 1
.LBB201_9:
	s_load_dword s0, s[4:5], 0x38
	s_load_dwordx2 s[26:27], s[4:5], 0x0
	s_load_dwordx2 s[34:35], s[4:5], 0x18
	s_load_dword s11, s[4:5], 0x88
	s_load_dwordx4 s[12:15], s[4:5], 0x58
	buffer_load_dword v1, off, s[56:59], 0 offset:388 ; 4-byte Folded Reload
	s_mul_i32 s1, s7, s25
	s_waitcnt lgkmcnt(0)
	s_mul_i32 s30, s0, s10
	s_sub_i32 s1, s3, s1
	s_ashr_i32 s31, s30, 31
	s_xor_b32 s0, s16, s23
	s_add_i32 s2, s7, 1
	s_sub_i32 s3, s1, s25
	s_cmp_ge_u32 s1, s25
	s_cselect_b32 s2, s2, s7
	s_cselect_b32 s1, s3, s1
	s_add_i32 s3, s2, 1
	s_cmp_ge_u32 s1, s25
	s_cselect_b32 s1, s3, s2
	s_xor_b32 s1, s1, s0
	s_sub_i32 s16, s1, s0
	s_add_i32 s0, s33, 31
	s_ashr_i32 s1, s0, 31
	s_lshr_b32 s1, s1, 27
	s_add_i32 s0, s0, s1
	s_ashr_i32 s20, s0, 5
	v_mov_b32_e32 v3, 0xff7fffff
	s_mul_i32 s47, s47, s18
	v_mbcnt_lo_u32_b32 v5, -1, 0
	s_waitcnt vmcnt(0)
	v_lshrrev_b32_e32 v2, 6, v1
	v_cmp_gt_i32_e64 s[0:1], s20, v2
	v_lshrrev_b32_e32 v12, 4, v1
	v_lshlrev_b32_e32 v63, 5, v2
	buffer_store_dword v2, off, s[56:59], 0 ; 4-byte Folded Spill
	s_and_saveexec_b64 s[18:19], s[0:1]
	s_cbranch_execz .LBB201_309
; %bb.10:
	buffer_store_dword v63, off, s[56:59], 0 offset:424 ; 4-byte Folded Spill
	buffer_store_dword v11, off, s[56:59], 0 offset:416 ; 4-byte Folded Spill
	buffer_load_dword v2, off, s[56:59], 0 offset:388 ; 4-byte Folded Reload
	s_load_dwordx2 s[2:3], s[4:5], 0x10
	s_sub_i32 s49, s16, s21
	s_ashr_i32 s4, s47, 31
	v_cmp_eq_u32_e32 vcc, 0, v0
	v_mul_u32_u24_e32 v48, 0xc0, v0
	s_waitcnt lgkmcnt(0)
	s_add_u32 s5, s2, s47
	s_addc_u32 s4, s3, s4
	s_abs_i32 s50, s22
	v_cvt_f32_u32_e32 v1, s50
	s_sub_i32 s2, 0, s50
	v_mov_b32_e32 v4, s4
	s_mov_b32 s51, s17
	v_rcp_iflag_f32_e32 v1, v1
	v_mov_b32_e32 v49, 0
	s_mov_b64 s[38:39], 0
	s_movk_i32 s52, 0x80
	v_mul_f32_e32 v1, 0x4f7ffffe, v1
	v_cvt_u32_f32_e32 v1, v1
	s_movk_i32 s53, 0x7f
	s_brev_b32 s54, 1
	v_bfrev_b32_e32 v50, 1
	v_mov_b32_e32 v20, 0x7f800001
	s_waitcnt vmcnt(0)
	v_bfe_u32 v6, v2, 1, 5
	v_lshlrev_b32_e32 v2, 1, v0
	v_mul_lo_u32 v0, s2, v1
	v_lshlrev_b32_e32 v3, 4, v6
	v_add_co_u32_e64 v3, s[4:5], s5, v3
	v_mul_hi_u32 v0, v1, v0
	v_addc_co_u32_e64 v4, s[4:5], 0, v4, s[4:5]
	v_cmp_neq_f32_e64 s[2:3], s48, 0
	v_add_u32_e32 v0, v1, v0
	buffer_store_dword v0, off, s[56:59], 0 offset:188 ; 4-byte Folded Spill
	v_add_co_u32_e64 v0, s[4:5], v3, v2
	v_addc_co_u32_e64 v1, s[4:5], 0, v4, s[4:5]
	buffer_store_dword v0, off, s[56:59], 0 offset:396 ; 4-byte Folded Spill
	s_nop 0
	buffer_store_dword v1, off, s[56:59], 0 offset:400 ; 4-byte Folded Spill
	buffer_store_dword v12, off, s[56:59], 0 offset:420 ; 4-byte Folded Spill
	buffer_load_dword v24, off, s[56:59], 0 ; 4-byte Folded Reload
	s_lshl_b64 s[4:5], s[30:31], 2
	s_add_u32 s4, s28, s4
	v_and_b32_e32 v0, 60, v12
	s_addc_u32 s5, s29, s5
	v_mov_b32_e32 v1, s5
	v_add_co_u32_e64 v53, s[4:5], s4, v0
	v_addc_co_u32_e64 v54, s[4:5], 0, v1, s[4:5]
	v_subrev_u32_e32 v1, s33, v6
	v_add_u32_e32 v1, 1, v1
	buffer_store_dword v1, off, s[56:59], 0 offset:412 ; 4-byte Folded Spill
	buffer_store_dword v6, off, s[56:59], 0 offset:408 ; 4-byte Folded Spill
	v_lshlrev_b32_e32 v1, 2, v6
	s_waitcnt vmcnt(2)
	v_lshl_or_b32 v1, v24, 7, v1
	v_add_u32_e32 v63, 0x190, v1
	v_mbcnt_hi_u32_b32 v1, -1, v5
	v_lshlrev_b32_e32 v0, 5, v24
	buffer_store_dword v1, off, s[56:59], 0 offset:404 ; 4-byte Folded Spill
	v_mov_b32_e32 v1, 0xff7fffff
	buffer_store_dword v1, off, s[56:59], 0 offset:392 ; 4-byte Folded Spill
	s_branch .LBB201_13
.LBB201_11:                             ;   in Loop: Header=BB201_13 Depth=1
	s_or_b64 exec, exec, s[40:41]
.LBB201_12:                             ;   in Loop: Header=BB201_13 Depth=1
	s_or_b64 exec, exec, s[6:7]
	v_add_co_u32_e64 v53, s[4:5], 8, v53
	v_add_u32_e32 v24, 2, v24
	v_addc_co_u32_e64 v54, s[4:5], 0, v54, s[4:5]
	v_cmp_le_i32_e64 s[4:5], s20, v24
	v_add_u32_e32 v0, 64, v0
	s_or_b64 s[38:39], s[4:5], s[38:39]
	v_add_u32_e32 v63, 0x100, v63
	s_andn2_b64 exec, exec, s[38:39]
	s_cbranch_execz .LBB201_308
.LBB201_13:                             ; =>This Inner Loop Header: Depth=1
	buffer_load_dword v4, off, s[56:59], 0 offset:188 ; 4-byte Folded Reload
	v_mul_hi_u32 v1, v0, s46
	s_waitcnt lgkmcnt(0)
	v_mul_lo_u32 v2, v1, s25
	v_add_u32_e32 v3, 1, v1
	v_sub_u32_e32 v2, v0, v2
	v_cmp_le_u32_e64 s[4:5], s25, v2
	v_cndmask_b32_e64 v1, v1, v3, s[4:5]
	v_subrev_u32_e32 v3, s25, v2
	v_cndmask_b32_e64 v2, v2, v3, s[4:5]
	v_add_u32_e32 v3, 1, v1
	v_cmp_le_u32_e64 s[4:5], s25, v2
	v_cndmask_b32_e64 v1, v1, v3, s[4:5]
	v_xor_b32_e32 v1, s23, v1
	v_subrev_u32_e32 v1, s23, v1
	v_add_u32_e32 v2, s36, v1
	v_sub_u32_e32 v3, 0, v2
	v_max_i32_e32 v3, v2, v3
	v_ashrrev_i32_e32 v2, 31, v2
	v_cmp_ge_i32_e64 s[6:7], s49, v1
	s_waitcnt vmcnt(0)
	v_mul_hi_u32 v4, v3, v4
	v_mul_lo_u32 v4, v4, s50
	v_sub_u32_e32 v3, v3, v4
	v_subrev_u32_e32 v4, s50, v3
	v_cmp_le_u32_e64 s[4:5], s50, v3
	v_cndmask_b32_e64 v3, v3, v4, s[4:5]
	v_subrev_u32_e32 v4, s50, v3
	v_cmp_le_u32_e64 s[4:5], s50, v3
	v_cndmask_b32_e64 v3, v3, v4, s[4:5]
	v_xor_b32_e32 v3, v3, v2
	v_sub_u32_e32 v2, v3, v2
	v_cmp_ne_u32_e64 s[4:5], 0, v2
	s_and_b64 s[4:5], s[4:5], s[6:7]
	s_and_saveexec_b64 s[6:7], s[4:5]
	s_xor_b64 s[4:5], exec, s[6:7]
	s_cbranch_execz .LBB201_17
; %bb.14:                               ;   in Loop: Header=BB201_13 Depth=1
	s_and_saveexec_b64 s[6:7], vcc
; %bb.15:                               ;   in Loop: Header=BB201_13 Depth=1
	v_mov_b32_e32 v1, 0xff7fffff
	ds_write_b32 v63, v1
; %bb.16:                               ;   in Loop: Header=BB201_13 Depth=1
	s_or_b64 exec, exec, s[6:7]
.LBB201_17:                             ;   in Loop: Header=BB201_13 Depth=1
	s_andn2_saveexec_b64 s[6:7], s[4:5]
	s_cbranch_execz .LBB201_12
; %bb.18:                               ;   in Loop: Header=BB201_13 Depth=1
	global_load_dword v1, v[53:54], off
	buffer_load_dword v2, off, s[56:59], 0 offset:396 ; 4-byte Folded Reload
	buffer_load_dword v3, off, s[56:59], 0 offset:400 ; 4-byte Folded Reload
	v_mov_b32_e32 v30, 0
	v_mov_b32_e32 v28, 0
	;; [unrolled: 1-line block ×4, first 2 shown]
	s_waitcnt vmcnt(0)
	v_mad_i64_i32 v[57:58], s[4:5], v1, s51, v[2:3]
	ds_read_b128 v[3:6], v48
	global_load_ushort v2, v[57:58], off
	s_waitcnt lgkmcnt(0)
	buffer_store_dword v3, off, s[56:59], 0 offset:356 ; 4-byte Folded Spill
	s_nop 0
	buffer_store_dword v4, off, s[56:59], 0 offset:360 ; 4-byte Folded Spill
	buffer_store_dword v5, off, s[56:59], 0 offset:364 ; 4-byte Folded Spill
	;; [unrolled: 1-line block ×3, first 2 shown]
	ds_read_b128 v[3:6], v48 offset:16
	s_waitcnt lgkmcnt(0)
	buffer_store_dword v3, off, s[56:59], 0 offset:372 ; 4-byte Folded Spill
	s_nop 0
	buffer_store_dword v4, off, s[56:59], 0 offset:376 ; 4-byte Folded Spill
	buffer_store_dword v5, off, s[56:59], 0 offset:380 ; 4-byte Folded Spill
	;; [unrolled: 1-line block ×3, first 2 shown]
	ds_read_b128 v[3:6], v48 offset:32
	s_load_dword s55, s[12:13], 0x0
	s_waitcnt lgkmcnt(0)
	buffer_store_dword v3, off, s[56:59], 0 offset:324 ; 4-byte Folded Spill
	s_nop 0
	buffer_store_dword v4, off, s[56:59], 0 offset:328 ; 4-byte Folded Spill
	buffer_store_dword v5, off, s[56:59], 0 offset:332 ; 4-byte Folded Spill
	buffer_store_dword v6, off, s[56:59], 0 offset:336 ; 4-byte Folded Spill
	ds_read_b128 v[3:6], v48 offset:48
	s_waitcnt lgkmcnt(0)
	buffer_store_dword v3, off, s[56:59], 0 offset:340 ; 4-byte Folded Spill
	s_nop 0
	buffer_store_dword v4, off, s[56:59], 0 offset:344 ; 4-byte Folded Spill
	buffer_store_dword v5, off, s[56:59], 0 offset:348 ; 4-byte Folded Spill
	buffer_store_dword v6, off, s[56:59], 0 offset:352 ; 4-byte Folded Spill
	ds_read_b128 v[3:6], v48 offset:64
	;; [unrolled: 7-line block ×7, first 2 shown]
	s_waitcnt lgkmcnt(0)
	buffer_store_dword v3, off, s[56:59], 0 offset:196 ; 4-byte Folded Spill
	s_nop 0
	buffer_store_dword v4, off, s[56:59], 0 offset:200 ; 4-byte Folded Spill
	buffer_store_dword v5, off, s[56:59], 0 offset:204 ; 4-byte Folded Spill
	;; [unrolled: 1-line block ×3, first 2 shown]
	s_waitcnt vmcnt(40)
	v_and_b32_e32 v1, 0xffff, v2
	v_cmp_ne_u16_sdwa s[4:5], v2, v49 src0_sel:BYTE_0 src1_sel:DWORD
	ds_read_b128 v[2:5], v48 offset:160
	s_waitcnt lgkmcnt(0)
	buffer_store_dword v2, off, s[56:59], 0 offset:260 ; 4-byte Folded Spill
	s_nop 0
	buffer_store_dword v3, off, s[56:59], 0 offset:264 ; 4-byte Folded Spill
	buffer_store_dword v4, off, s[56:59], 0 offset:268 ; 4-byte Folded Spill
	;; [unrolled: 1-line block ×3, first 2 shown]
	ds_read_b128 v[2:5], v48 offset:176
	s_waitcnt lgkmcnt(0)
	buffer_store_dword v2, off, s[56:59], 0 offset:228 ; 4-byte Folded Spill
	s_nop 0
	buffer_store_dword v3, off, s[56:59], 0 offset:232 ; 4-byte Folded Spill
	buffer_store_dword v4, off, s[56:59], 0 offset:236 ; 4-byte Folded Spill
	;; [unrolled: 1-line block ×3, first 2 shown]
	s_and_saveexec_b64 s[40:41], s[4:5]
	s_cbranch_execz .LBB201_24
; %bb.19:                               ;   in Loop: Header=BB201_13 Depth=1
	v_bfrev_b32_e32 v28, 1
	v_mov_b32_e32 v29, 0
	v_cmp_ne_u16_sdwa s[4:5], v1, s52 src0_sel:BYTE_0 src1_sel:DWORD
	s_and_saveexec_b64 s[42:43], s[4:5]
	s_cbranch_execz .LBB201_23
; %bb.20:                               ;   in Loop: Header=BB201_13 Depth=1
	v_and_b32_e32 v2, 0x7f, v1
	v_mov_b32_e32 v28, 0x7f800001
	v_mov_b32_e32 v29, 0
	v_cmp_ne_u32_e64 s[4:5], s53, v2
	s_and_saveexec_b64 s[44:45], s[4:5]
	s_cbranch_execz .LBB201_22
; %bb.21:                               ;   in Loop: Header=BB201_13 Depth=1
	v_and_b32_e32 v4, 7, v1
	v_lshrrev_b32_e32 v5, 3, v2
	v_cmp_gt_u32_e64 s[4:5], 8, v2
	v_ffbh_u32_e32 v2, v4
	v_min_u32_e32 v6, 32, v2
	v_subrev_u32_e32 v2, 28, v6
	v_lshlrev_b64 v[2:3], v2, v[1:2]
	v_sub_u32_e32 v3, 29, v6
	v_and_b32_e32 v2, 7, v2
	v_cndmask_b32_e64 v3, v5, v3, s[4:5]
	v_cndmask_b32_e64 v2, v4, v2, s[4:5]
	v_bfrev_b32_e32 v5, 60
	v_lshlrev_b32_e32 v2, 20, v2
	v_and_b32_sdwa v4, sext(v1), s54 dst_sel:DWORD dst_unused:UNUSED_PAD src0_sel:BYTE_0 src1_sel:DWORD
	v_lshl_add_u32 v3, v3, 23, v5
	v_or3_b32 v28, v4, v3, v2
	v_mov_b32_e32 v29, v49
.LBB201_22:                             ;   in Loop: Header=BB201_13 Depth=1
	s_or_b64 exec, exec, s[44:45]
.LBB201_23:                             ;   in Loop: Header=BB201_13 Depth=1
	s_or_b64 exec, exec, s[42:43]
.LBB201_24:                             ;   in Loop: Header=BB201_13 Depth=1
	s_or_b64 exec, exec, s[40:41]
	v_cmp_ne_u16_sdwa s[4:5], v1, v49 src0_sel:BYTE_1 src1_sel:DWORD
	s_and_saveexec_b64 s[40:41], s[4:5]
	s_cbranch_execz .LBB201_30
; %bb.25:                               ;   in Loop: Header=BB201_13 Depth=1
	v_mov_b32_e32 v30, v49
	v_cmp_ne_u16_sdwa s[4:5], v1, s52 src0_sel:BYTE_1 src1_sel:DWORD
	v_mov_b32_e32 v31, v50
	s_and_saveexec_b64 s[42:43], s[4:5]
	s_cbranch_execz .LBB201_29
; %bb.26:                               ;   in Loop: Header=BB201_13 Depth=1
	v_and_b32_sdwa v2, v1, s53 dst_sel:DWORD dst_unused:UNUSED_PAD src0_sel:BYTE_1 src1_sel:DWORD
	v_mov_b32_e32 v19, v49
	v_mov_b32_e32 v31, v20
	v_cmp_ne_u32_e64 s[4:5], s53, v2
	v_mov_b32_e32 v30, v19
	s_and_saveexec_b64 s[44:45], s[4:5]
	s_cbranch_execz .LBB201_28
; %bb.27:                               ;   in Loop: Header=BB201_13 Depth=1
	v_mov_b32_e32 v3, 7
	v_and_b32_sdwa v3, v1, v3 dst_sel:DWORD dst_unused:UNUSED_PAD src0_sel:BYTE_1 src1_sel:DWORD
	v_lshrrev_b32_e32 v6, 3, v2
	v_cmp_gt_u32_e64 s[4:5], 8, v2
	v_ffbh_u32_e32 v2, v3
	v_min_u32_e32 v2, 32, v2
	v_mov_b32_e32 v4, v49
	v_subrev_u32_e32 v5, 28, v2
	v_lshlrev_b64 v[4:5], v5, v[3:4]
	v_sub_u32_e32 v2, 29, v2
	v_and_b32_e32 v4, 7, v4
	v_cndmask_b32_e64 v2, v6, v2, s[4:5]
	v_cndmask_b32_e64 v3, v3, v4, s[4:5]
	v_bfrev_b32_e32 v4, 60
	v_lshlrev_b32_e32 v1, 16, v1
	v_lshl_add_u32 v2, v2, 23, v4
	v_and_or_b32 v1, v1, s54, v2
	v_lshlrev_b32_e32 v2, 20, v3
	v_or_b32_e32 v31, v1, v2
	v_mov_b32_e32 v30, v49
.LBB201_28:                             ;   in Loop: Header=BB201_13 Depth=1
	s_or_b64 exec, exec, s[44:45]
.LBB201_29:                             ;   in Loop: Header=BB201_13 Depth=1
	s_or_b64 exec, exec, s[42:43]
.LBB201_30:                             ;   in Loop: Header=BB201_13 Depth=1
	s_or_b64 exec, exec, s[40:41]
	global_load_ushort v2, v[57:58], off offset:4
	v_mov_b32_e32 v59, 0
	v_mov_b32_e32 v26, 0
	;; [unrolled: 1-line block ×4, first 2 shown]
	s_waitcnt vmcnt(0)
	v_and_b32_e32 v1, 0xffff, v2
	v_cmp_ne_u16_sdwa s[4:5], v2, v49 src0_sel:BYTE_0 src1_sel:DWORD
	s_and_saveexec_b64 s[40:41], s[4:5]
	s_cbranch_execz .LBB201_36
; %bb.31:                               ;   in Loop: Header=BB201_13 Depth=1
	v_bfrev_b32_e32 v26, 1
	v_mov_b32_e32 v27, 0
	v_cmp_ne_u16_sdwa s[4:5], v1, s52 src0_sel:BYTE_0 src1_sel:DWORD
	s_and_saveexec_b64 s[42:43], s[4:5]
	s_cbranch_execz .LBB201_35
; %bb.32:                               ;   in Loop: Header=BB201_13 Depth=1
	v_and_b32_e32 v2, 0x7f, v1
	v_mov_b32_e32 v26, 0x7f800001
	v_mov_b32_e32 v27, 0
	v_cmp_ne_u32_e64 s[4:5], s53, v2
	s_and_saveexec_b64 s[44:45], s[4:5]
	s_cbranch_execz .LBB201_34
; %bb.33:                               ;   in Loop: Header=BB201_13 Depth=1
	v_and_b32_e32 v4, 7, v1
	v_lshrrev_b32_e32 v5, 3, v2
	v_cmp_gt_u32_e64 s[4:5], 8, v2
	v_ffbh_u32_e32 v2, v4
	v_min_u32_e32 v6, 32, v2
	v_subrev_u32_e32 v2, 28, v6
	v_lshlrev_b64 v[2:3], v2, v[1:2]
	v_sub_u32_e32 v3, 29, v6
	v_and_b32_e32 v2, 7, v2
	v_cndmask_b32_e64 v3, v5, v3, s[4:5]
	v_cndmask_b32_e64 v2, v4, v2, s[4:5]
	v_bfrev_b32_e32 v5, 60
	v_lshlrev_b32_e32 v2, 20, v2
	v_and_b32_sdwa v4, sext(v1), s54 dst_sel:DWORD dst_unused:UNUSED_PAD src0_sel:BYTE_0 src1_sel:DWORD
	v_lshl_add_u32 v3, v3, 23, v5
	v_or3_b32 v26, v4, v3, v2
	v_mov_b32_e32 v27, v49
.LBB201_34:                             ;   in Loop: Header=BB201_13 Depth=1
	s_or_b64 exec, exec, s[44:45]
.LBB201_35:                             ;   in Loop: Header=BB201_13 Depth=1
	s_or_b64 exec, exec, s[42:43]
.LBB201_36:                             ;   in Loop: Header=BB201_13 Depth=1
	s_or_b64 exec, exec, s[40:41]
	v_cmp_ne_u16_sdwa s[4:5], v1, v49 src0_sel:BYTE_1 src1_sel:DWORD
	s_and_saveexec_b64 s[40:41], s[4:5]
	s_cbranch_execz .LBB201_42
; %bb.37:                               ;   in Loop: Header=BB201_13 Depth=1
	v_mov_b32_e32 v60, v50
	v_cmp_ne_u16_sdwa s[4:5], v1, s52 src0_sel:BYTE_1 src1_sel:DWORD
	v_mov_b32_e32 v59, v49
	s_and_saveexec_b64 s[42:43], s[4:5]
	s_cbranch_execz .LBB201_41
; %bb.38:                               ;   in Loop: Header=BB201_13 Depth=1
	v_and_b32_sdwa v2, v1, s53 dst_sel:DWORD dst_unused:UNUSED_PAD src0_sel:BYTE_1 src1_sel:DWORD
	v_mov_b32_e32 v19, v49
	v_mov_b32_e32 v60, v20
	v_cmp_ne_u32_e64 s[4:5], s53, v2
	v_mov_b32_e32 v59, v19
	s_and_saveexec_b64 s[44:45], s[4:5]
	s_cbranch_execz .LBB201_40
; %bb.39:                               ;   in Loop: Header=BB201_13 Depth=1
	v_mov_b32_e32 v3, 7
	v_and_b32_sdwa v3, v1, v3 dst_sel:DWORD dst_unused:UNUSED_PAD src0_sel:BYTE_1 src1_sel:DWORD
	v_lshrrev_b32_e32 v6, 3, v2
	v_cmp_gt_u32_e64 s[4:5], 8, v2
	v_ffbh_u32_e32 v2, v3
	v_min_u32_e32 v2, 32, v2
	v_mov_b32_e32 v4, v49
	v_subrev_u32_e32 v5, 28, v2
	v_lshlrev_b64 v[4:5], v5, v[3:4]
	v_sub_u32_e32 v2, 29, v2
	v_and_b32_e32 v4, 7, v4
	v_cndmask_b32_e64 v2, v6, v2, s[4:5]
	v_cndmask_b32_e64 v3, v3, v4, s[4:5]
	v_bfrev_b32_e32 v4, 60
	v_lshlrev_b32_e32 v1, 16, v1
	v_lshl_add_u32 v2, v2, 23, v4
	v_and_or_b32 v1, v1, s54, v2
	v_lshlrev_b32_e32 v2, 20, v3
	v_or_b32_e32 v60, v1, v2
	v_mov_b32_e32 v59, v49
.LBB201_40:                             ;   in Loop: Header=BB201_13 Depth=1
	s_or_b64 exec, exec, s[44:45]
.LBB201_41:                             ;   in Loop: Header=BB201_13 Depth=1
	s_or_b64 exec, exec, s[42:43]
.LBB201_42:                             ;   in Loop: Header=BB201_13 Depth=1
	s_or_b64 exec, exec, s[40:41]
	global_load_ushort v2, v[57:58], off offset:8
	v_mov_b32_e32 v34, 0
	v_mov_b32_e32 v32, 0
	;; [unrolled: 1-line block ×4, first 2 shown]
	s_waitcnt vmcnt(0)
	v_and_b32_e32 v1, 0xffff, v2
	v_cmp_ne_u16_sdwa s[4:5], v2, v49 src0_sel:BYTE_0 src1_sel:DWORD
	s_and_saveexec_b64 s[40:41], s[4:5]
	s_cbranch_execz .LBB201_48
; %bb.43:                               ;   in Loop: Header=BB201_13 Depth=1
	v_bfrev_b32_e32 v32, 1
	v_mov_b32_e32 v33, 0
	v_cmp_ne_u16_sdwa s[4:5], v1, s52 src0_sel:BYTE_0 src1_sel:DWORD
	s_and_saveexec_b64 s[42:43], s[4:5]
	s_cbranch_execz .LBB201_47
; %bb.44:                               ;   in Loop: Header=BB201_13 Depth=1
	v_and_b32_e32 v2, 0x7f, v1
	v_mov_b32_e32 v32, 0x7f800001
	v_mov_b32_e32 v33, 0
	v_cmp_ne_u32_e64 s[4:5], s53, v2
	s_and_saveexec_b64 s[44:45], s[4:5]
	s_cbranch_execz .LBB201_46
; %bb.45:                               ;   in Loop: Header=BB201_13 Depth=1
	v_and_b32_e32 v4, 7, v1
	v_lshrrev_b32_e32 v5, 3, v2
	v_cmp_gt_u32_e64 s[4:5], 8, v2
	v_ffbh_u32_e32 v2, v4
	v_min_u32_e32 v6, 32, v2
	v_subrev_u32_e32 v2, 28, v6
	v_lshlrev_b64 v[2:3], v2, v[1:2]
	v_sub_u32_e32 v3, 29, v6
	v_and_b32_e32 v2, 7, v2
	v_cndmask_b32_e64 v3, v5, v3, s[4:5]
	v_cndmask_b32_e64 v2, v4, v2, s[4:5]
	v_bfrev_b32_e32 v5, 60
	v_lshlrev_b32_e32 v2, 20, v2
	v_and_b32_sdwa v4, sext(v1), s54 dst_sel:DWORD dst_unused:UNUSED_PAD src0_sel:BYTE_0 src1_sel:DWORD
	v_lshl_add_u32 v3, v3, 23, v5
	v_or3_b32 v32, v4, v3, v2
	v_mov_b32_e32 v33, v49
.LBB201_46:                             ;   in Loop: Header=BB201_13 Depth=1
	s_or_b64 exec, exec, s[44:45]
.LBB201_47:                             ;   in Loop: Header=BB201_13 Depth=1
	s_or_b64 exec, exec, s[42:43]
.LBB201_48:                             ;   in Loop: Header=BB201_13 Depth=1
	s_or_b64 exec, exec, s[40:41]
	v_cmp_ne_u16_sdwa s[4:5], v1, v49 src0_sel:BYTE_1 src1_sel:DWORD
	s_and_saveexec_b64 s[40:41], s[4:5]
	s_cbranch_execz .LBB201_54
; %bb.49:                               ;   in Loop: Header=BB201_13 Depth=1
	v_mov_b32_e32 v34, v49
	v_cmp_ne_u16_sdwa s[4:5], v1, s52 src0_sel:BYTE_1 src1_sel:DWORD
	v_mov_b32_e32 v35, v50
	s_and_saveexec_b64 s[42:43], s[4:5]
	s_cbranch_execz .LBB201_53
; %bb.50:                               ;   in Loop: Header=BB201_13 Depth=1
	v_and_b32_sdwa v2, v1, s53 dst_sel:DWORD dst_unused:UNUSED_PAD src0_sel:BYTE_1 src1_sel:DWORD
	v_mov_b32_e32 v19, v49
	v_mov_b32_e32 v35, v20
	v_cmp_ne_u32_e64 s[4:5], s53, v2
	v_mov_b32_e32 v34, v19
	s_and_saveexec_b64 s[44:45], s[4:5]
	s_cbranch_execz .LBB201_52
; %bb.51:                               ;   in Loop: Header=BB201_13 Depth=1
	v_mov_b32_e32 v3, 7
	v_and_b32_sdwa v3, v1, v3 dst_sel:DWORD dst_unused:UNUSED_PAD src0_sel:BYTE_1 src1_sel:DWORD
	v_lshrrev_b32_e32 v6, 3, v2
	v_cmp_gt_u32_e64 s[4:5], 8, v2
	v_ffbh_u32_e32 v2, v3
	v_min_u32_e32 v2, 32, v2
	v_mov_b32_e32 v4, v49
	v_subrev_u32_e32 v5, 28, v2
	v_lshlrev_b64 v[4:5], v5, v[3:4]
	v_sub_u32_e32 v2, 29, v2
	v_and_b32_e32 v4, 7, v4
	v_cndmask_b32_e64 v2, v6, v2, s[4:5]
	v_cndmask_b32_e64 v3, v3, v4, s[4:5]
	v_bfrev_b32_e32 v4, 60
	v_lshlrev_b32_e32 v1, 16, v1
	v_lshl_add_u32 v2, v2, 23, v4
	v_and_or_b32 v1, v1, s54, v2
	v_lshlrev_b32_e32 v2, 20, v3
	v_or_b32_e32 v35, v1, v2
	v_mov_b32_e32 v34, v49
.LBB201_52:                             ;   in Loop: Header=BB201_13 Depth=1
	s_or_b64 exec, exec, s[44:45]
.LBB201_53:                             ;   in Loop: Header=BB201_13 Depth=1
	s_or_b64 exec, exec, s[42:43]
.LBB201_54:                             ;   in Loop: Header=BB201_13 Depth=1
	s_or_b64 exec, exec, s[40:41]
	global_load_ushort v2, v[57:58], off offset:12
	v_mov_b32_e32 v38, 0
	v_mov_b32_e32 v36, 0
	;; [unrolled: 1-line block ×4, first 2 shown]
	s_waitcnt vmcnt(0)
	v_and_b32_e32 v1, 0xffff, v2
	v_cmp_ne_u16_sdwa s[4:5], v2, v49 src0_sel:BYTE_0 src1_sel:DWORD
	s_and_saveexec_b64 s[40:41], s[4:5]
	s_cbranch_execz .LBB201_60
; %bb.55:                               ;   in Loop: Header=BB201_13 Depth=1
	v_bfrev_b32_e32 v36, 1
	v_mov_b32_e32 v37, 0
	v_cmp_ne_u16_sdwa s[4:5], v1, s52 src0_sel:BYTE_0 src1_sel:DWORD
	s_and_saveexec_b64 s[42:43], s[4:5]
	s_cbranch_execz .LBB201_59
; %bb.56:                               ;   in Loop: Header=BB201_13 Depth=1
	v_and_b32_e32 v2, 0x7f, v1
	v_mov_b32_e32 v36, 0x7f800001
	v_mov_b32_e32 v37, 0
	v_cmp_ne_u32_e64 s[4:5], s53, v2
	s_and_saveexec_b64 s[44:45], s[4:5]
	s_cbranch_execz .LBB201_58
; %bb.57:                               ;   in Loop: Header=BB201_13 Depth=1
	v_and_b32_e32 v4, 7, v1
	v_lshrrev_b32_e32 v5, 3, v2
	v_cmp_gt_u32_e64 s[4:5], 8, v2
	v_ffbh_u32_e32 v2, v4
	v_min_u32_e32 v6, 32, v2
	v_subrev_u32_e32 v2, 28, v6
	v_lshlrev_b64 v[2:3], v2, v[1:2]
	v_sub_u32_e32 v3, 29, v6
	v_and_b32_e32 v2, 7, v2
	v_cndmask_b32_e64 v3, v5, v3, s[4:5]
	v_cndmask_b32_e64 v2, v4, v2, s[4:5]
	v_bfrev_b32_e32 v5, 60
	v_lshlrev_b32_e32 v2, 20, v2
	v_and_b32_sdwa v4, sext(v1), s54 dst_sel:DWORD dst_unused:UNUSED_PAD src0_sel:BYTE_0 src1_sel:DWORD
	v_lshl_add_u32 v3, v3, 23, v5
	v_or3_b32 v36, v4, v3, v2
	v_mov_b32_e32 v37, v49
.LBB201_58:                             ;   in Loop: Header=BB201_13 Depth=1
	s_or_b64 exec, exec, s[44:45]
.LBB201_59:                             ;   in Loop: Header=BB201_13 Depth=1
	s_or_b64 exec, exec, s[42:43]
.LBB201_60:                             ;   in Loop: Header=BB201_13 Depth=1
	s_or_b64 exec, exec, s[40:41]
	v_cmp_ne_u16_sdwa s[4:5], v1, v49 src0_sel:BYTE_1 src1_sel:DWORD
	s_and_saveexec_b64 s[40:41], s[4:5]
	s_cbranch_execz .LBB201_66
; %bb.61:                               ;   in Loop: Header=BB201_13 Depth=1
	v_mov_b32_e32 v38, v49
	v_cmp_ne_u16_sdwa s[4:5], v1, s52 src0_sel:BYTE_1 src1_sel:DWORD
	v_mov_b32_e32 v39, v50
	s_and_saveexec_b64 s[42:43], s[4:5]
	s_cbranch_execz .LBB201_65
; %bb.62:                               ;   in Loop: Header=BB201_13 Depth=1
	v_and_b32_sdwa v2, v1, s53 dst_sel:DWORD dst_unused:UNUSED_PAD src0_sel:BYTE_1 src1_sel:DWORD
	v_mov_b32_e32 v19, v49
	v_mov_b32_e32 v39, v20
	v_cmp_ne_u32_e64 s[4:5], s53, v2
	v_mov_b32_e32 v38, v19
	s_and_saveexec_b64 s[44:45], s[4:5]
	s_cbranch_execz .LBB201_64
; %bb.63:                               ;   in Loop: Header=BB201_13 Depth=1
	v_mov_b32_e32 v3, 7
	v_and_b32_sdwa v3, v1, v3 dst_sel:DWORD dst_unused:UNUSED_PAD src0_sel:BYTE_1 src1_sel:DWORD
	v_lshrrev_b32_e32 v6, 3, v2
	v_cmp_gt_u32_e64 s[4:5], 8, v2
	v_ffbh_u32_e32 v2, v3
	v_min_u32_e32 v2, 32, v2
	v_mov_b32_e32 v4, v49
	v_subrev_u32_e32 v5, 28, v2
	v_lshlrev_b64 v[4:5], v5, v[3:4]
	v_sub_u32_e32 v2, 29, v2
	v_and_b32_e32 v4, 7, v4
	v_cndmask_b32_e64 v2, v6, v2, s[4:5]
	v_cndmask_b32_e64 v3, v3, v4, s[4:5]
	v_bfrev_b32_e32 v4, 60
	v_lshlrev_b32_e32 v1, 16, v1
	v_lshl_add_u32 v2, v2, 23, v4
	v_and_or_b32 v1, v1, s54, v2
	v_lshlrev_b32_e32 v2, 20, v3
	v_or_b32_e32 v39, v1, v2
	v_mov_b32_e32 v38, v49
.LBB201_64:                             ;   in Loop: Header=BB201_13 Depth=1
	s_or_b64 exec, exec, s[44:45]
.LBB201_65:                             ;   in Loop: Header=BB201_13 Depth=1
	s_or_b64 exec, exec, s[42:43]
.LBB201_66:                             ;   in Loop: Header=BB201_13 Depth=1
	s_or_b64 exec, exec, s[40:41]
	global_load_ushort v2, v[57:58], off offset:512
	v_mov_b32_e32 v40, 0
	v_mov_b32_e32 v61, 0
	;; [unrolled: 1-line block ×4, first 2 shown]
	s_waitcnt vmcnt(0)
	v_and_b32_e32 v1, 0xffff, v2
	v_cmp_ne_u16_sdwa s[4:5], v2, v49 src0_sel:BYTE_0 src1_sel:DWORD
	s_and_saveexec_b64 s[40:41], s[4:5]
	s_cbranch_execz .LBB201_72
; %bb.67:                               ;   in Loop: Header=BB201_13 Depth=1
	v_bfrev_b32_e32 v61, 1
	v_mov_b32_e32 v62, 0
	v_cmp_ne_u16_sdwa s[4:5], v1, s52 src0_sel:BYTE_0 src1_sel:DWORD
	s_and_saveexec_b64 s[42:43], s[4:5]
	s_cbranch_execz .LBB201_71
; %bb.68:                               ;   in Loop: Header=BB201_13 Depth=1
	v_and_b32_e32 v2, 0x7f, v1
	v_mov_b32_e32 v61, 0x7f800001
	v_mov_b32_e32 v62, 0
	v_cmp_ne_u32_e64 s[4:5], s53, v2
	s_and_saveexec_b64 s[44:45], s[4:5]
	s_cbranch_execz .LBB201_70
; %bb.69:                               ;   in Loop: Header=BB201_13 Depth=1
	v_and_b32_e32 v4, 7, v1
	v_lshrrev_b32_e32 v5, 3, v2
	v_cmp_gt_u32_e64 s[4:5], 8, v2
	v_ffbh_u32_e32 v2, v4
	v_min_u32_e32 v6, 32, v2
	v_subrev_u32_e32 v2, 28, v6
	v_lshlrev_b64 v[2:3], v2, v[1:2]
	v_sub_u32_e32 v3, 29, v6
	v_and_b32_e32 v2, 7, v2
	v_cndmask_b32_e64 v3, v5, v3, s[4:5]
	v_cndmask_b32_e64 v2, v4, v2, s[4:5]
	v_bfrev_b32_e32 v5, 60
	v_lshlrev_b32_e32 v2, 20, v2
	v_and_b32_sdwa v4, sext(v1), s54 dst_sel:DWORD dst_unused:UNUSED_PAD src0_sel:BYTE_0 src1_sel:DWORD
	v_lshl_add_u32 v3, v3, 23, v5
	v_or3_b32 v61, v4, v3, v2
	v_mov_b32_e32 v62, v49
.LBB201_70:                             ;   in Loop: Header=BB201_13 Depth=1
	s_or_b64 exec, exec, s[44:45]
.LBB201_71:                             ;   in Loop: Header=BB201_13 Depth=1
	s_or_b64 exec, exec, s[42:43]
.LBB201_72:                             ;   in Loop: Header=BB201_13 Depth=1
	s_or_b64 exec, exec, s[40:41]
	v_cmp_ne_u16_sdwa s[4:5], v1, v49 src0_sel:BYTE_1 src1_sel:DWORD
	s_and_saveexec_b64 s[40:41], s[4:5]
	s_cbranch_execz .LBB201_78
; %bb.73:                               ;   in Loop: Header=BB201_13 Depth=1
	v_mov_b32_e32 v40, v49
	v_cmp_ne_u16_sdwa s[4:5], v1, s52 src0_sel:BYTE_1 src1_sel:DWORD
	v_mov_b32_e32 v41, v50
	s_and_saveexec_b64 s[42:43], s[4:5]
	s_cbranch_execz .LBB201_77
; %bb.74:                               ;   in Loop: Header=BB201_13 Depth=1
	v_and_b32_sdwa v2, v1, s53 dst_sel:DWORD dst_unused:UNUSED_PAD src0_sel:BYTE_1 src1_sel:DWORD
	v_mov_b32_e32 v19, v49
	v_mov_b32_e32 v41, v20
	v_cmp_ne_u32_e64 s[4:5], s53, v2
	v_mov_b32_e32 v40, v19
	s_and_saveexec_b64 s[44:45], s[4:5]
	s_cbranch_execz .LBB201_76
; %bb.75:                               ;   in Loop: Header=BB201_13 Depth=1
	v_mov_b32_e32 v3, 7
	v_and_b32_sdwa v3, v1, v3 dst_sel:DWORD dst_unused:UNUSED_PAD src0_sel:BYTE_1 src1_sel:DWORD
	v_lshrrev_b32_e32 v6, 3, v2
	v_cmp_gt_u32_e64 s[4:5], 8, v2
	v_ffbh_u32_e32 v2, v3
	v_min_u32_e32 v2, 32, v2
	v_mov_b32_e32 v4, v49
	v_subrev_u32_e32 v5, 28, v2
	v_lshlrev_b64 v[4:5], v5, v[3:4]
	v_sub_u32_e32 v2, 29, v2
	v_and_b32_e32 v4, 7, v4
	v_cndmask_b32_e64 v2, v6, v2, s[4:5]
	v_cndmask_b32_e64 v3, v3, v4, s[4:5]
	v_bfrev_b32_e32 v4, 60
	v_lshlrev_b32_e32 v1, 16, v1
	v_lshl_add_u32 v2, v2, 23, v4
	v_and_or_b32 v1, v1, s54, v2
	v_lshlrev_b32_e32 v2, 20, v3
	v_or_b32_e32 v41, v1, v2
	v_mov_b32_e32 v40, v49
.LBB201_76:                             ;   in Loop: Header=BB201_13 Depth=1
	s_or_b64 exec, exec, s[44:45]
.LBB201_77:                             ;   in Loop: Header=BB201_13 Depth=1
	s_or_b64 exec, exec, s[42:43]
.LBB201_78:                             ;   in Loop: Header=BB201_13 Depth=1
	s_or_b64 exec, exec, s[40:41]
	global_load_ushort v2, v[57:58], off offset:516
	v_mov_b32_e32 v51, 0
	v_mov_b32_e32 v42, 0
	;; [unrolled: 1-line block ×4, first 2 shown]
	s_waitcnt vmcnt(0)
	v_and_b32_e32 v1, 0xffff, v2
	v_cmp_ne_u16_sdwa s[4:5], v2, v49 src0_sel:BYTE_0 src1_sel:DWORD
	s_and_saveexec_b64 s[40:41], s[4:5]
	s_cbranch_execz .LBB201_84
; %bb.79:                               ;   in Loop: Header=BB201_13 Depth=1
	v_bfrev_b32_e32 v42, 1
	v_mov_b32_e32 v43, 0
	v_cmp_ne_u16_sdwa s[4:5], v1, s52 src0_sel:BYTE_0 src1_sel:DWORD
	s_and_saveexec_b64 s[42:43], s[4:5]
	s_cbranch_execz .LBB201_83
; %bb.80:                               ;   in Loop: Header=BB201_13 Depth=1
	v_and_b32_e32 v2, 0x7f, v1
	v_mov_b32_e32 v42, 0x7f800001
	v_mov_b32_e32 v43, 0
	v_cmp_ne_u32_e64 s[4:5], s53, v2
	s_and_saveexec_b64 s[44:45], s[4:5]
	s_cbranch_execz .LBB201_82
; %bb.81:                               ;   in Loop: Header=BB201_13 Depth=1
	v_and_b32_e32 v4, 7, v1
	v_lshrrev_b32_e32 v5, 3, v2
	v_cmp_gt_u32_e64 s[4:5], 8, v2
	v_ffbh_u32_e32 v2, v4
	v_min_u32_e32 v6, 32, v2
	v_subrev_u32_e32 v2, 28, v6
	v_lshlrev_b64 v[2:3], v2, v[1:2]
	v_sub_u32_e32 v3, 29, v6
	v_and_b32_e32 v2, 7, v2
	v_cndmask_b32_e64 v3, v5, v3, s[4:5]
	v_cndmask_b32_e64 v2, v4, v2, s[4:5]
	v_bfrev_b32_e32 v5, 60
	v_lshlrev_b32_e32 v2, 20, v2
	v_and_b32_sdwa v4, sext(v1), s54 dst_sel:DWORD dst_unused:UNUSED_PAD src0_sel:BYTE_0 src1_sel:DWORD
	v_lshl_add_u32 v3, v3, 23, v5
	v_or3_b32 v42, v4, v3, v2
	v_mov_b32_e32 v43, v49
.LBB201_82:                             ;   in Loop: Header=BB201_13 Depth=1
	s_or_b64 exec, exec, s[44:45]
.LBB201_83:                             ;   in Loop: Header=BB201_13 Depth=1
	s_or_b64 exec, exec, s[42:43]
.LBB201_84:                             ;   in Loop: Header=BB201_13 Depth=1
	s_or_b64 exec, exec, s[40:41]
	v_cmp_ne_u16_sdwa s[4:5], v1, v49 src0_sel:BYTE_1 src1_sel:DWORD
	s_and_saveexec_b64 s[40:41], s[4:5]
	s_cbranch_execz .LBB201_90
; %bb.85:                               ;   in Loop: Header=BB201_13 Depth=1
	v_mov_b32_e32 v52, v50
	v_cmp_ne_u16_sdwa s[4:5], v1, s52 src0_sel:BYTE_1 src1_sel:DWORD
	v_mov_b32_e32 v51, v49
	s_and_saveexec_b64 s[42:43], s[4:5]
	s_cbranch_execz .LBB201_89
; %bb.86:                               ;   in Loop: Header=BB201_13 Depth=1
	v_and_b32_sdwa v2, v1, s53 dst_sel:DWORD dst_unused:UNUSED_PAD src0_sel:BYTE_1 src1_sel:DWORD
	v_mov_b32_e32 v19, v49
	v_mov_b32_e32 v52, v20
	v_cmp_ne_u32_e64 s[4:5], s53, v2
	v_mov_b32_e32 v51, v19
	s_and_saveexec_b64 s[44:45], s[4:5]
	s_cbranch_execz .LBB201_88
; %bb.87:                               ;   in Loop: Header=BB201_13 Depth=1
	v_mov_b32_e32 v3, 7
	v_and_b32_sdwa v3, v1, v3 dst_sel:DWORD dst_unused:UNUSED_PAD src0_sel:BYTE_1 src1_sel:DWORD
	v_lshrrev_b32_e32 v6, 3, v2
	v_cmp_gt_u32_e64 s[4:5], 8, v2
	v_ffbh_u32_e32 v2, v3
	v_min_u32_e32 v2, 32, v2
	v_mov_b32_e32 v4, v49
	v_subrev_u32_e32 v5, 28, v2
	v_lshlrev_b64 v[4:5], v5, v[3:4]
	v_sub_u32_e32 v2, 29, v2
	v_and_b32_e32 v4, 7, v4
	v_cndmask_b32_e64 v2, v6, v2, s[4:5]
	v_cndmask_b32_e64 v3, v3, v4, s[4:5]
	v_bfrev_b32_e32 v4, 60
	v_lshlrev_b32_e32 v1, 16, v1
	v_lshl_add_u32 v2, v2, 23, v4
	v_and_or_b32 v1, v1, s54, v2
	v_lshlrev_b32_e32 v2, 20, v3
	v_or_b32_e32 v52, v1, v2
	v_mov_b32_e32 v51, v49
.LBB201_88:                             ;   in Loop: Header=BB201_13 Depth=1
	s_or_b64 exec, exec, s[44:45]
.LBB201_89:                             ;   in Loop: Header=BB201_13 Depth=1
	s_or_b64 exec, exec, s[42:43]
.LBB201_90:                             ;   in Loop: Header=BB201_13 Depth=1
	s_or_b64 exec, exec, s[40:41]
	global_load_ushort v2, v[57:58], off offset:520
	v_mov_b32_e32 v46, 0
	v_mov_b32_e32 v44, 0
	v_mov_b32_e32 v47, 0
	v_mov_b32_e32 v45, 0
	s_waitcnt vmcnt(0)
	v_and_b32_e32 v1, 0xffff, v2
	v_cmp_ne_u16_sdwa s[4:5], v2, v49 src0_sel:BYTE_0 src1_sel:DWORD
	s_and_saveexec_b64 s[40:41], s[4:5]
	s_cbranch_execz .LBB201_96
; %bb.91:                               ;   in Loop: Header=BB201_13 Depth=1
	v_bfrev_b32_e32 v44, 1
	v_mov_b32_e32 v45, 0
	v_cmp_ne_u16_sdwa s[4:5], v1, s52 src0_sel:BYTE_0 src1_sel:DWORD
	s_and_saveexec_b64 s[42:43], s[4:5]
	s_cbranch_execz .LBB201_95
; %bb.92:                               ;   in Loop: Header=BB201_13 Depth=1
	v_and_b32_e32 v2, 0x7f, v1
	v_mov_b32_e32 v44, 0x7f800001
	v_mov_b32_e32 v45, 0
	v_cmp_ne_u32_e64 s[4:5], s53, v2
	s_and_saveexec_b64 s[44:45], s[4:5]
	s_cbranch_execz .LBB201_94
; %bb.93:                               ;   in Loop: Header=BB201_13 Depth=1
	v_and_b32_e32 v4, 7, v1
	v_lshrrev_b32_e32 v5, 3, v2
	v_cmp_gt_u32_e64 s[4:5], 8, v2
	v_ffbh_u32_e32 v2, v4
	v_min_u32_e32 v6, 32, v2
	v_subrev_u32_e32 v2, 28, v6
	v_lshlrev_b64 v[2:3], v2, v[1:2]
	v_sub_u32_e32 v3, 29, v6
	v_and_b32_e32 v2, 7, v2
	v_cndmask_b32_e64 v3, v5, v3, s[4:5]
	v_cndmask_b32_e64 v2, v4, v2, s[4:5]
	v_bfrev_b32_e32 v5, 60
	v_lshlrev_b32_e32 v2, 20, v2
	v_and_b32_sdwa v4, sext(v1), s54 dst_sel:DWORD dst_unused:UNUSED_PAD src0_sel:BYTE_0 src1_sel:DWORD
	v_lshl_add_u32 v3, v3, 23, v5
	v_or3_b32 v44, v4, v3, v2
	v_mov_b32_e32 v45, v49
.LBB201_94:                             ;   in Loop: Header=BB201_13 Depth=1
	s_or_b64 exec, exec, s[44:45]
.LBB201_95:                             ;   in Loop: Header=BB201_13 Depth=1
	s_or_b64 exec, exec, s[42:43]
.LBB201_96:                             ;   in Loop: Header=BB201_13 Depth=1
	s_or_b64 exec, exec, s[40:41]
	v_cmp_ne_u16_sdwa s[4:5], v1, v49 src0_sel:BYTE_1 src1_sel:DWORD
	s_and_saveexec_b64 s[40:41], s[4:5]
	s_cbranch_execz .LBB201_102
; %bb.97:                               ;   in Loop: Header=BB201_13 Depth=1
	v_mov_b32_e32 v46, v49
	v_cmp_ne_u16_sdwa s[4:5], v1, s52 src0_sel:BYTE_1 src1_sel:DWORD
	v_mov_b32_e32 v47, v50
	s_and_saveexec_b64 s[42:43], s[4:5]
	s_cbranch_execz .LBB201_101
; %bb.98:                               ;   in Loop: Header=BB201_13 Depth=1
	v_and_b32_sdwa v2, v1, s53 dst_sel:DWORD dst_unused:UNUSED_PAD src0_sel:BYTE_1 src1_sel:DWORD
	v_mov_b32_e32 v19, v49
	v_mov_b32_e32 v47, v20
	v_cmp_ne_u32_e64 s[4:5], s53, v2
	v_mov_b32_e32 v46, v19
	s_and_saveexec_b64 s[44:45], s[4:5]
	s_cbranch_execz .LBB201_100
; %bb.99:                               ;   in Loop: Header=BB201_13 Depth=1
	v_mov_b32_e32 v3, 7
	v_and_b32_sdwa v3, v1, v3 dst_sel:DWORD dst_unused:UNUSED_PAD src0_sel:BYTE_1 src1_sel:DWORD
	v_lshrrev_b32_e32 v6, 3, v2
	v_cmp_gt_u32_e64 s[4:5], 8, v2
	v_ffbh_u32_e32 v2, v3
	v_min_u32_e32 v2, 32, v2
	v_mov_b32_e32 v4, v49
	v_subrev_u32_e32 v5, 28, v2
	v_lshlrev_b64 v[4:5], v5, v[3:4]
	v_sub_u32_e32 v2, 29, v2
	v_and_b32_e32 v4, 7, v4
	v_cndmask_b32_e64 v2, v6, v2, s[4:5]
	v_cndmask_b32_e64 v3, v3, v4, s[4:5]
	v_bfrev_b32_e32 v4, 60
	v_lshlrev_b32_e32 v1, 16, v1
	v_lshl_add_u32 v2, v2, 23, v4
	v_and_or_b32 v1, v1, s54, v2
	v_lshlrev_b32_e32 v2, 20, v3
	v_or_b32_e32 v47, v1, v2
	v_mov_b32_e32 v46, v49
.LBB201_100:                            ;   in Loop: Header=BB201_13 Depth=1
	s_or_b64 exec, exec, s[44:45]
.LBB201_101:                            ;   in Loop: Header=BB201_13 Depth=1
	s_or_b64 exec, exec, s[42:43]
.LBB201_102:                            ;   in Loop: Header=BB201_13 Depth=1
	s_or_b64 exec, exec, s[40:41]
	global_load_ushort v2, v[57:58], off offset:524
	s_waitcnt vmcnt(0)
	v_and_b32_e32 v1, 0xffff, v2
	v_cmp_ne_u16_sdwa s[4:5], v2, v49 src0_sel:BYTE_0 src1_sel:DWORD
	v_mov_b32_e32 v2, 0
	v_mov_b32_e32 v3, 0
	buffer_store_dword v2, off, s[56:59], 0 offset:12 ; 4-byte Folded Spill
	s_nop 0
	buffer_store_dword v3, off, s[56:59], 0 offset:16 ; 4-byte Folded Spill
	v_mov_b32_e32 v2, 0
	v_mov_b32_e32 v3, 0
	buffer_store_dword v2, off, s[56:59], 0 offset:4 ; 4-byte Folded Spill
	s_nop 0
	buffer_store_dword v3, off, s[56:59], 0 offset:8 ; 4-byte Folded Spill
	s_and_saveexec_b64 s[40:41], s[4:5]
	s_cbranch_execz .LBB201_108
; %bb.103:                              ;   in Loop: Header=BB201_13 Depth=1
	v_bfrev_b32_e32 v2, 1
	v_mov_b32_e32 v3, 0
	v_cmp_ne_u16_sdwa s[4:5], v1, s52 src0_sel:BYTE_0 src1_sel:DWORD
	buffer_store_dword v2, off, s[56:59], 0 offset:4 ; 4-byte Folded Spill
	s_nop 0
	buffer_store_dword v3, off, s[56:59], 0 offset:8 ; 4-byte Folded Spill
	s_and_saveexec_b64 s[42:43], s[4:5]
	s_cbranch_execz .LBB201_107
; %bb.104:                              ;   in Loop: Header=BB201_13 Depth=1
	v_and_b32_e32 v2, 0x7f, v1
	v_mov_b32_e32 v3, 0x7f800001
	v_mov_b32_e32 v4, 0
	v_cmp_ne_u32_e64 s[4:5], s53, v2
	buffer_store_dword v3, off, s[56:59], 0 offset:4 ; 4-byte Folded Spill
	s_nop 0
	buffer_store_dword v4, off, s[56:59], 0 offset:8 ; 4-byte Folded Spill
	s_and_saveexec_b64 s[44:45], s[4:5]
	s_cbranch_execz .LBB201_106
; %bb.105:                              ;   in Loop: Header=BB201_13 Depth=1
	v_and_b32_e32 v4, 7, v1
	v_lshrrev_b32_e32 v5, 3, v2
	v_cmp_gt_u32_e64 s[4:5], 8, v2
	v_ffbh_u32_e32 v2, v4
	v_min_u32_e32 v6, 32, v2
	v_subrev_u32_e32 v2, 28, v6
	v_lshlrev_b64 v[2:3], v2, v[1:2]
	v_sub_u32_e32 v3, 29, v6
	v_and_b32_e32 v2, 7, v2
	v_cndmask_b32_e64 v3, v5, v3, s[4:5]
	v_cndmask_b32_e64 v2, v4, v2, s[4:5]
	v_bfrev_b32_e32 v5, 60
	v_lshlrev_b32_e32 v2, 20, v2
	v_and_b32_sdwa v4, sext(v1), s54 dst_sel:DWORD dst_unused:UNUSED_PAD src0_sel:BYTE_0 src1_sel:DWORD
	v_lshl_add_u32 v3, v3, 23, v5
	v_or3_b32 v2, v4, v3, v2
	v_mov_b32_e32 v3, v49
	buffer_store_dword v2, off, s[56:59], 0 offset:4 ; 4-byte Folded Spill
	s_nop 0
	buffer_store_dword v3, off, s[56:59], 0 offset:8 ; 4-byte Folded Spill
.LBB201_106:                            ;   in Loop: Header=BB201_13 Depth=1
	s_or_b64 exec, exec, s[44:45]
.LBB201_107:                            ;   in Loop: Header=BB201_13 Depth=1
	s_or_b64 exec, exec, s[42:43]
.LBB201_108:                            ;   in Loop: Header=BB201_13 Depth=1
	s_or_b64 exec, exec, s[40:41]
	v_cmp_ne_u16_sdwa s[4:5], v1, v49 src0_sel:BYTE_1 src1_sel:DWORD
	s_and_saveexec_b64 s[40:41], s[4:5]
	s_cbranch_execz .LBB201_114
; %bb.109:                              ;   in Loop: Header=BB201_13 Depth=1
	v_cmp_ne_u16_sdwa s[4:5], v1, s52 src0_sel:BYTE_1 src1_sel:DWORD
	buffer_store_dword v49, off, s[56:59], 0 offset:12 ; 4-byte Folded Spill
	s_nop 0
	buffer_store_dword v50, off, s[56:59], 0 offset:16 ; 4-byte Folded Spill
	s_and_saveexec_b64 s[42:43], s[4:5]
	s_cbranch_execz .LBB201_113
; %bb.110:                              ;   in Loop: Header=BB201_13 Depth=1
	v_and_b32_sdwa v2, v1, s53 dst_sel:DWORD dst_unused:UNUSED_PAD src0_sel:BYTE_1 src1_sel:DWORD
	v_cmp_ne_u32_e64 s[4:5], s53, v2
	v_mov_b32_e32 v19, v49
	buffer_store_dword v19, off, s[56:59], 0 offset:12 ; 4-byte Folded Spill
	s_nop 0
	buffer_store_dword v20, off, s[56:59], 0 offset:16 ; 4-byte Folded Spill
	s_and_saveexec_b64 s[44:45], s[4:5]
	s_cbranch_execz .LBB201_112
; %bb.111:                              ;   in Loop: Header=BB201_13 Depth=1
	v_mov_b32_e32 v3, 7
	v_and_b32_sdwa v3, v1, v3 dst_sel:DWORD dst_unused:UNUSED_PAD src0_sel:BYTE_1 src1_sel:DWORD
	v_lshrrev_b32_e32 v6, 3, v2
	v_cmp_gt_u32_e64 s[4:5], 8, v2
	v_ffbh_u32_e32 v2, v3
	v_min_u32_e32 v2, 32, v2
	v_mov_b32_e32 v4, v49
	v_subrev_u32_e32 v5, 28, v2
	v_lshlrev_b64 v[4:5], v5, v[3:4]
	v_sub_u32_e32 v2, 29, v2
	v_and_b32_e32 v4, 7, v4
	v_cndmask_b32_e64 v2, v6, v2, s[4:5]
	v_cndmask_b32_e64 v3, v3, v4, s[4:5]
	v_bfrev_b32_e32 v4, 60
	v_lshlrev_b32_e32 v1, 16, v1
	v_lshl_add_u32 v2, v2, 23, v4
	v_and_or_b32 v1, v1, s54, v2
	v_lshlrev_b32_e32 v2, 20, v3
	v_or_b32_e32 v2, v1, v2
	v_mov_b32_e32 v1, v49
	buffer_store_dword v1, off, s[56:59], 0 offset:12 ; 4-byte Folded Spill
	s_nop 0
	buffer_store_dword v2, off, s[56:59], 0 offset:16 ; 4-byte Folded Spill
.LBB201_112:                            ;   in Loop: Header=BB201_13 Depth=1
	s_or_b64 exec, exec, s[44:45]
.LBB201_113:                            ;   in Loop: Header=BB201_13 Depth=1
	s_or_b64 exec, exec, s[42:43]
.LBB201_114:                            ;   in Loop: Header=BB201_13 Depth=1
	s_or_b64 exec, exec, s[40:41]
	global_load_ushort v2, v[57:58], off offset:1024
	s_waitcnt vmcnt(0)
	v_and_b32_e32 v1, 0xffff, v2
	v_cmp_ne_u16_sdwa s[4:5], v2, v49 src0_sel:BYTE_0 src1_sel:DWORD
	v_mov_b32_e32 v2, 0
	v_mov_b32_e32 v3, 0
	buffer_store_dword v2, off, s[56:59], 0 offset:28 ; 4-byte Folded Spill
	s_nop 0
	buffer_store_dword v3, off, s[56:59], 0 offset:32 ; 4-byte Folded Spill
	v_mov_b32_e32 v2, 0
	v_mov_b32_e32 v3, 0
	buffer_store_dword v2, off, s[56:59], 0 offset:20 ; 4-byte Folded Spill
	s_nop 0
	buffer_store_dword v3, off, s[56:59], 0 offset:24 ; 4-byte Folded Spill
	s_and_saveexec_b64 s[40:41], s[4:5]
	s_cbranch_execz .LBB201_120
; %bb.115:                              ;   in Loop: Header=BB201_13 Depth=1
	v_bfrev_b32_e32 v2, 1
	v_mov_b32_e32 v3, 0
	v_cmp_ne_u16_sdwa s[4:5], v1, s52 src0_sel:BYTE_0 src1_sel:DWORD
	buffer_store_dword v2, off, s[56:59], 0 offset:20 ; 4-byte Folded Spill
	s_nop 0
	buffer_store_dword v3, off, s[56:59], 0 offset:24 ; 4-byte Folded Spill
	s_and_saveexec_b64 s[42:43], s[4:5]
	s_cbranch_execz .LBB201_119
; %bb.116:                              ;   in Loop: Header=BB201_13 Depth=1
	v_and_b32_e32 v2, 0x7f, v1
	v_mov_b32_e32 v3, 0x7f800001
	v_mov_b32_e32 v4, 0
	v_cmp_ne_u32_e64 s[4:5], s53, v2
	buffer_store_dword v3, off, s[56:59], 0 offset:20 ; 4-byte Folded Spill
	s_nop 0
	buffer_store_dword v4, off, s[56:59], 0 offset:24 ; 4-byte Folded Spill
	s_and_saveexec_b64 s[44:45], s[4:5]
	s_cbranch_execz .LBB201_118
; %bb.117:                              ;   in Loop: Header=BB201_13 Depth=1
	v_and_b32_e32 v4, 7, v1
	v_lshrrev_b32_e32 v5, 3, v2
	v_cmp_gt_u32_e64 s[4:5], 8, v2
	v_ffbh_u32_e32 v2, v4
	v_min_u32_e32 v6, 32, v2
	v_subrev_u32_e32 v2, 28, v6
	v_lshlrev_b64 v[2:3], v2, v[1:2]
	v_sub_u32_e32 v3, 29, v6
	v_and_b32_e32 v2, 7, v2
	v_cndmask_b32_e64 v3, v5, v3, s[4:5]
	v_cndmask_b32_e64 v2, v4, v2, s[4:5]
	v_bfrev_b32_e32 v5, 60
	v_lshlrev_b32_e32 v2, 20, v2
	v_and_b32_sdwa v4, sext(v1), s54 dst_sel:DWORD dst_unused:UNUSED_PAD src0_sel:BYTE_0 src1_sel:DWORD
	v_lshl_add_u32 v3, v3, 23, v5
	v_or3_b32 v2, v4, v3, v2
	v_mov_b32_e32 v3, v49
	buffer_store_dword v2, off, s[56:59], 0 offset:20 ; 4-byte Folded Spill
	s_nop 0
	buffer_store_dword v3, off, s[56:59], 0 offset:24 ; 4-byte Folded Spill
.LBB201_118:                            ;   in Loop: Header=BB201_13 Depth=1
	s_or_b64 exec, exec, s[44:45]
.LBB201_119:                            ;   in Loop: Header=BB201_13 Depth=1
	s_or_b64 exec, exec, s[42:43]
.LBB201_120:                            ;   in Loop: Header=BB201_13 Depth=1
	s_or_b64 exec, exec, s[40:41]
	v_cmp_ne_u16_sdwa s[4:5], v1, v49 src0_sel:BYTE_1 src1_sel:DWORD
	s_and_saveexec_b64 s[40:41], s[4:5]
	s_cbranch_execz .LBB201_126
; %bb.121:                              ;   in Loop: Header=BB201_13 Depth=1
	v_cmp_ne_u16_sdwa s[4:5], v1, s52 src0_sel:BYTE_1 src1_sel:DWORD
	buffer_store_dword v49, off, s[56:59], 0 offset:28 ; 4-byte Folded Spill
	s_nop 0
	buffer_store_dword v50, off, s[56:59], 0 offset:32 ; 4-byte Folded Spill
	s_and_saveexec_b64 s[42:43], s[4:5]
	s_cbranch_execz .LBB201_125
; %bb.122:                              ;   in Loop: Header=BB201_13 Depth=1
	v_and_b32_sdwa v2, v1, s53 dst_sel:DWORD dst_unused:UNUSED_PAD src0_sel:BYTE_1 src1_sel:DWORD
	v_cmp_ne_u32_e64 s[4:5], s53, v2
	v_mov_b32_e32 v19, v49
	buffer_store_dword v19, off, s[56:59], 0 offset:28 ; 4-byte Folded Spill
	s_nop 0
	buffer_store_dword v20, off, s[56:59], 0 offset:32 ; 4-byte Folded Spill
	s_and_saveexec_b64 s[44:45], s[4:5]
	s_cbranch_execz .LBB201_124
; %bb.123:                              ;   in Loop: Header=BB201_13 Depth=1
	v_mov_b32_e32 v3, 7
	v_and_b32_sdwa v3, v1, v3 dst_sel:DWORD dst_unused:UNUSED_PAD src0_sel:BYTE_1 src1_sel:DWORD
	v_lshrrev_b32_e32 v6, 3, v2
	v_cmp_gt_u32_e64 s[4:5], 8, v2
	v_ffbh_u32_e32 v2, v3
	v_min_u32_e32 v2, 32, v2
	v_mov_b32_e32 v4, v49
	v_subrev_u32_e32 v5, 28, v2
	v_lshlrev_b64 v[4:5], v5, v[3:4]
	v_sub_u32_e32 v2, 29, v2
	v_and_b32_e32 v4, 7, v4
	v_cndmask_b32_e64 v2, v6, v2, s[4:5]
	v_cndmask_b32_e64 v3, v3, v4, s[4:5]
	v_bfrev_b32_e32 v4, 60
	v_lshlrev_b32_e32 v1, 16, v1
	v_lshl_add_u32 v2, v2, 23, v4
	v_and_or_b32 v1, v1, s54, v2
	v_lshlrev_b32_e32 v2, 20, v3
	v_or_b32_e32 v2, v1, v2
	v_mov_b32_e32 v1, v49
	buffer_store_dword v1, off, s[56:59], 0 offset:28 ; 4-byte Folded Spill
	s_nop 0
	buffer_store_dword v2, off, s[56:59], 0 offset:32 ; 4-byte Folded Spill
.LBB201_124:                            ;   in Loop: Header=BB201_13 Depth=1
	s_or_b64 exec, exec, s[44:45]
.LBB201_125:                            ;   in Loop: Header=BB201_13 Depth=1
	s_or_b64 exec, exec, s[42:43]
.LBB201_126:                            ;   in Loop: Header=BB201_13 Depth=1
	s_or_b64 exec, exec, s[40:41]
	global_load_ushort v2, v[57:58], off offset:1028
	s_waitcnt vmcnt(0)
	v_and_b32_e32 v1, 0xffff, v2
	v_cmp_ne_u16_sdwa s[4:5], v2, v49 src0_sel:BYTE_0 src1_sel:DWORD
	v_mov_b32_e32 v2, 0
	v_mov_b32_e32 v3, 0
	buffer_store_dword v2, off, s[56:59], 0 offset:44 ; 4-byte Folded Spill
	s_nop 0
	buffer_store_dword v3, off, s[56:59], 0 offset:48 ; 4-byte Folded Spill
	v_mov_b32_e32 v2, 0
	v_mov_b32_e32 v3, 0
	buffer_store_dword v2, off, s[56:59], 0 offset:36 ; 4-byte Folded Spill
	s_nop 0
	buffer_store_dword v3, off, s[56:59], 0 offset:40 ; 4-byte Folded Spill
	s_and_saveexec_b64 s[40:41], s[4:5]
	s_cbranch_execz .LBB201_132
; %bb.127:                              ;   in Loop: Header=BB201_13 Depth=1
	v_bfrev_b32_e32 v2, 1
	v_mov_b32_e32 v3, 0
	v_cmp_ne_u16_sdwa s[4:5], v1, s52 src0_sel:BYTE_0 src1_sel:DWORD
	buffer_store_dword v2, off, s[56:59], 0 offset:36 ; 4-byte Folded Spill
	s_nop 0
	buffer_store_dword v3, off, s[56:59], 0 offset:40 ; 4-byte Folded Spill
	s_and_saveexec_b64 s[42:43], s[4:5]
	s_cbranch_execz .LBB201_131
; %bb.128:                              ;   in Loop: Header=BB201_13 Depth=1
	v_and_b32_e32 v2, 0x7f, v1
	v_mov_b32_e32 v3, 0x7f800001
	v_mov_b32_e32 v4, 0
	v_cmp_ne_u32_e64 s[4:5], s53, v2
	buffer_store_dword v3, off, s[56:59], 0 offset:36 ; 4-byte Folded Spill
	s_nop 0
	buffer_store_dword v4, off, s[56:59], 0 offset:40 ; 4-byte Folded Spill
	s_and_saveexec_b64 s[44:45], s[4:5]
	s_cbranch_execz .LBB201_130
; %bb.129:                              ;   in Loop: Header=BB201_13 Depth=1
	v_and_b32_e32 v4, 7, v1
	v_lshrrev_b32_e32 v5, 3, v2
	v_cmp_gt_u32_e64 s[4:5], 8, v2
	v_ffbh_u32_e32 v2, v4
	v_min_u32_e32 v6, 32, v2
	v_subrev_u32_e32 v2, 28, v6
	v_lshlrev_b64 v[2:3], v2, v[1:2]
	v_sub_u32_e32 v3, 29, v6
	v_and_b32_e32 v2, 7, v2
	v_cndmask_b32_e64 v3, v5, v3, s[4:5]
	v_cndmask_b32_e64 v2, v4, v2, s[4:5]
	v_bfrev_b32_e32 v5, 60
	v_lshlrev_b32_e32 v2, 20, v2
	v_and_b32_sdwa v4, sext(v1), s54 dst_sel:DWORD dst_unused:UNUSED_PAD src0_sel:BYTE_0 src1_sel:DWORD
	v_lshl_add_u32 v3, v3, 23, v5
	v_or3_b32 v2, v4, v3, v2
	v_mov_b32_e32 v3, v49
	buffer_store_dword v2, off, s[56:59], 0 offset:36 ; 4-byte Folded Spill
	s_nop 0
	buffer_store_dword v3, off, s[56:59], 0 offset:40 ; 4-byte Folded Spill
.LBB201_130:                            ;   in Loop: Header=BB201_13 Depth=1
	s_or_b64 exec, exec, s[44:45]
.LBB201_131:                            ;   in Loop: Header=BB201_13 Depth=1
	s_or_b64 exec, exec, s[42:43]
.LBB201_132:                            ;   in Loop: Header=BB201_13 Depth=1
	s_or_b64 exec, exec, s[40:41]
	v_cmp_ne_u16_sdwa s[4:5], v1, v49 src0_sel:BYTE_1 src1_sel:DWORD
	s_and_saveexec_b64 s[40:41], s[4:5]
	s_cbranch_execz .LBB201_138
; %bb.133:                              ;   in Loop: Header=BB201_13 Depth=1
	v_cmp_ne_u16_sdwa s[4:5], v1, s52 src0_sel:BYTE_1 src1_sel:DWORD
	buffer_store_dword v49, off, s[56:59], 0 offset:44 ; 4-byte Folded Spill
	s_nop 0
	buffer_store_dword v50, off, s[56:59], 0 offset:48 ; 4-byte Folded Spill
	s_and_saveexec_b64 s[42:43], s[4:5]
	s_cbranch_execz .LBB201_137
; %bb.134:                              ;   in Loop: Header=BB201_13 Depth=1
	v_and_b32_sdwa v2, v1, s53 dst_sel:DWORD dst_unused:UNUSED_PAD src0_sel:BYTE_1 src1_sel:DWORD
	v_cmp_ne_u32_e64 s[4:5], s53, v2
	v_mov_b32_e32 v19, v49
	buffer_store_dword v19, off, s[56:59], 0 offset:44 ; 4-byte Folded Spill
	s_nop 0
	buffer_store_dword v20, off, s[56:59], 0 offset:48 ; 4-byte Folded Spill
	s_and_saveexec_b64 s[44:45], s[4:5]
	s_cbranch_execz .LBB201_136
; %bb.135:                              ;   in Loop: Header=BB201_13 Depth=1
	v_mov_b32_e32 v3, 7
	v_and_b32_sdwa v3, v1, v3 dst_sel:DWORD dst_unused:UNUSED_PAD src0_sel:BYTE_1 src1_sel:DWORD
	v_lshrrev_b32_e32 v6, 3, v2
	v_cmp_gt_u32_e64 s[4:5], 8, v2
	v_ffbh_u32_e32 v2, v3
	v_min_u32_e32 v2, 32, v2
	v_mov_b32_e32 v4, v49
	v_subrev_u32_e32 v5, 28, v2
	v_lshlrev_b64 v[4:5], v5, v[3:4]
	v_sub_u32_e32 v2, 29, v2
	v_and_b32_e32 v4, 7, v4
	v_cndmask_b32_e64 v2, v6, v2, s[4:5]
	v_cndmask_b32_e64 v3, v3, v4, s[4:5]
	v_bfrev_b32_e32 v4, 60
	v_lshlrev_b32_e32 v1, 16, v1
	v_lshl_add_u32 v2, v2, 23, v4
	v_and_or_b32 v1, v1, s54, v2
	v_lshlrev_b32_e32 v2, 20, v3
	v_or_b32_e32 v2, v1, v2
	v_mov_b32_e32 v1, v49
	buffer_store_dword v1, off, s[56:59], 0 offset:44 ; 4-byte Folded Spill
	s_nop 0
	buffer_store_dword v2, off, s[56:59], 0 offset:48 ; 4-byte Folded Spill
.LBB201_136:                            ;   in Loop: Header=BB201_13 Depth=1
	s_or_b64 exec, exec, s[44:45]
.LBB201_137:                            ;   in Loop: Header=BB201_13 Depth=1
	s_or_b64 exec, exec, s[42:43]
.LBB201_138:                            ;   in Loop: Header=BB201_13 Depth=1
	s_or_b64 exec, exec, s[40:41]
	global_load_ushort v2, v[57:58], off offset:1032
	s_waitcnt vmcnt(0)
	v_and_b32_e32 v1, 0xffff, v2
	v_cmp_ne_u16_sdwa s[4:5], v2, v49 src0_sel:BYTE_0 src1_sel:DWORD
	v_mov_b32_e32 v2, 0
	v_mov_b32_e32 v3, 0
	buffer_store_dword v2, off, s[56:59], 0 offset:60 ; 4-byte Folded Spill
	s_nop 0
	buffer_store_dword v3, off, s[56:59], 0 offset:64 ; 4-byte Folded Spill
	v_mov_b32_e32 v2, 0
	v_mov_b32_e32 v3, 0
	buffer_store_dword v2, off, s[56:59], 0 offset:52 ; 4-byte Folded Spill
	s_nop 0
	buffer_store_dword v3, off, s[56:59], 0 offset:56 ; 4-byte Folded Spill
	s_and_saveexec_b64 s[40:41], s[4:5]
	s_cbranch_execz .LBB201_144
; %bb.139:                              ;   in Loop: Header=BB201_13 Depth=1
	v_bfrev_b32_e32 v2, 1
	v_mov_b32_e32 v3, 0
	v_cmp_ne_u16_sdwa s[4:5], v1, s52 src0_sel:BYTE_0 src1_sel:DWORD
	buffer_store_dword v2, off, s[56:59], 0 offset:52 ; 4-byte Folded Spill
	s_nop 0
	buffer_store_dword v3, off, s[56:59], 0 offset:56 ; 4-byte Folded Spill
	s_and_saveexec_b64 s[42:43], s[4:5]
	s_cbranch_execz .LBB201_143
; %bb.140:                              ;   in Loop: Header=BB201_13 Depth=1
	v_and_b32_e32 v2, 0x7f, v1
	v_mov_b32_e32 v3, 0x7f800001
	v_mov_b32_e32 v4, 0
	v_cmp_ne_u32_e64 s[4:5], s53, v2
	buffer_store_dword v3, off, s[56:59], 0 offset:52 ; 4-byte Folded Spill
	s_nop 0
	buffer_store_dword v4, off, s[56:59], 0 offset:56 ; 4-byte Folded Spill
	s_and_saveexec_b64 s[44:45], s[4:5]
	s_cbranch_execz .LBB201_142
; %bb.141:                              ;   in Loop: Header=BB201_13 Depth=1
	v_and_b32_e32 v4, 7, v1
	v_lshrrev_b32_e32 v5, 3, v2
	v_cmp_gt_u32_e64 s[4:5], 8, v2
	v_ffbh_u32_e32 v2, v4
	v_min_u32_e32 v6, 32, v2
	v_subrev_u32_e32 v2, 28, v6
	v_lshlrev_b64 v[2:3], v2, v[1:2]
	v_sub_u32_e32 v3, 29, v6
	v_and_b32_e32 v2, 7, v2
	v_cndmask_b32_e64 v3, v5, v3, s[4:5]
	v_cndmask_b32_e64 v2, v4, v2, s[4:5]
	v_bfrev_b32_e32 v5, 60
	v_lshlrev_b32_e32 v2, 20, v2
	v_and_b32_sdwa v4, sext(v1), s54 dst_sel:DWORD dst_unused:UNUSED_PAD src0_sel:BYTE_0 src1_sel:DWORD
	v_lshl_add_u32 v3, v3, 23, v5
	v_or3_b32 v2, v4, v3, v2
	v_mov_b32_e32 v3, v49
	buffer_store_dword v2, off, s[56:59], 0 offset:52 ; 4-byte Folded Spill
	s_nop 0
	buffer_store_dword v3, off, s[56:59], 0 offset:56 ; 4-byte Folded Spill
.LBB201_142:                            ;   in Loop: Header=BB201_13 Depth=1
	s_or_b64 exec, exec, s[44:45]
.LBB201_143:                            ;   in Loop: Header=BB201_13 Depth=1
	s_or_b64 exec, exec, s[42:43]
.LBB201_144:                            ;   in Loop: Header=BB201_13 Depth=1
	s_or_b64 exec, exec, s[40:41]
	v_cmp_ne_u16_sdwa s[4:5], v1, v49 src0_sel:BYTE_1 src1_sel:DWORD
	s_and_saveexec_b64 s[40:41], s[4:5]
	s_cbranch_execz .LBB201_150
; %bb.145:                              ;   in Loop: Header=BB201_13 Depth=1
	v_cmp_ne_u16_sdwa s[4:5], v1, s52 src0_sel:BYTE_1 src1_sel:DWORD
	buffer_store_dword v49, off, s[56:59], 0 offset:60 ; 4-byte Folded Spill
	s_nop 0
	buffer_store_dword v50, off, s[56:59], 0 offset:64 ; 4-byte Folded Spill
	s_and_saveexec_b64 s[42:43], s[4:5]
	s_cbranch_execz .LBB201_149
; %bb.146:                              ;   in Loop: Header=BB201_13 Depth=1
	v_and_b32_sdwa v2, v1, s53 dst_sel:DWORD dst_unused:UNUSED_PAD src0_sel:BYTE_1 src1_sel:DWORD
	v_cmp_ne_u32_e64 s[4:5], s53, v2
	v_mov_b32_e32 v19, v49
	buffer_store_dword v19, off, s[56:59], 0 offset:60 ; 4-byte Folded Spill
	s_nop 0
	buffer_store_dword v20, off, s[56:59], 0 offset:64 ; 4-byte Folded Spill
	s_and_saveexec_b64 s[44:45], s[4:5]
	s_cbranch_execz .LBB201_148
; %bb.147:                              ;   in Loop: Header=BB201_13 Depth=1
	v_mov_b32_e32 v3, 7
	v_and_b32_sdwa v3, v1, v3 dst_sel:DWORD dst_unused:UNUSED_PAD src0_sel:BYTE_1 src1_sel:DWORD
	v_lshrrev_b32_e32 v6, 3, v2
	v_cmp_gt_u32_e64 s[4:5], 8, v2
	v_ffbh_u32_e32 v2, v3
	v_min_u32_e32 v2, 32, v2
	v_mov_b32_e32 v4, v49
	v_subrev_u32_e32 v5, 28, v2
	v_lshlrev_b64 v[4:5], v5, v[3:4]
	v_sub_u32_e32 v2, 29, v2
	v_and_b32_e32 v4, 7, v4
	v_cndmask_b32_e64 v2, v6, v2, s[4:5]
	v_cndmask_b32_e64 v3, v3, v4, s[4:5]
	v_bfrev_b32_e32 v4, 60
	v_lshlrev_b32_e32 v1, 16, v1
	v_lshl_add_u32 v2, v2, 23, v4
	v_and_or_b32 v1, v1, s54, v2
	v_lshlrev_b32_e32 v2, 20, v3
	v_or_b32_e32 v2, v1, v2
	v_mov_b32_e32 v1, v49
	buffer_store_dword v1, off, s[56:59], 0 offset:60 ; 4-byte Folded Spill
	s_nop 0
	buffer_store_dword v2, off, s[56:59], 0 offset:64 ; 4-byte Folded Spill
.LBB201_148:                            ;   in Loop: Header=BB201_13 Depth=1
	s_or_b64 exec, exec, s[44:45]
.LBB201_149:                            ;   in Loop: Header=BB201_13 Depth=1
	s_or_b64 exec, exec, s[42:43]
.LBB201_150:                            ;   in Loop: Header=BB201_13 Depth=1
	s_or_b64 exec, exec, s[40:41]
	global_load_ushort v2, v[57:58], off offset:1036
	s_waitcnt vmcnt(0)
	v_and_b32_e32 v1, 0xffff, v2
	v_cmp_ne_u16_sdwa s[4:5], v2, v49 src0_sel:BYTE_0 src1_sel:DWORD
	v_mov_b32_e32 v2, 0
	v_mov_b32_e32 v3, 0
	buffer_store_dword v2, off, s[56:59], 0 offset:76 ; 4-byte Folded Spill
	s_nop 0
	buffer_store_dword v3, off, s[56:59], 0 offset:80 ; 4-byte Folded Spill
	v_mov_b32_e32 v2, 0
	v_mov_b32_e32 v3, 0
	buffer_store_dword v2, off, s[56:59], 0 offset:68 ; 4-byte Folded Spill
	s_nop 0
	buffer_store_dword v3, off, s[56:59], 0 offset:72 ; 4-byte Folded Spill
	s_and_saveexec_b64 s[40:41], s[4:5]
	s_cbranch_execz .LBB201_156
; %bb.151:                              ;   in Loop: Header=BB201_13 Depth=1
	v_bfrev_b32_e32 v2, 1
	v_mov_b32_e32 v3, 0
	v_cmp_ne_u16_sdwa s[4:5], v1, s52 src0_sel:BYTE_0 src1_sel:DWORD
	buffer_store_dword v2, off, s[56:59], 0 offset:68 ; 4-byte Folded Spill
	s_nop 0
	buffer_store_dword v3, off, s[56:59], 0 offset:72 ; 4-byte Folded Spill
	s_and_saveexec_b64 s[42:43], s[4:5]
	s_cbranch_execz .LBB201_155
; %bb.152:                              ;   in Loop: Header=BB201_13 Depth=1
	v_and_b32_e32 v2, 0x7f, v1
	v_mov_b32_e32 v3, 0x7f800001
	v_mov_b32_e32 v4, 0
	v_cmp_ne_u32_e64 s[4:5], s53, v2
	buffer_store_dword v3, off, s[56:59], 0 offset:68 ; 4-byte Folded Spill
	s_nop 0
	buffer_store_dword v4, off, s[56:59], 0 offset:72 ; 4-byte Folded Spill
	s_and_saveexec_b64 s[44:45], s[4:5]
	s_cbranch_execz .LBB201_154
; %bb.153:                              ;   in Loop: Header=BB201_13 Depth=1
	v_and_b32_e32 v4, 7, v1
	v_lshrrev_b32_e32 v5, 3, v2
	v_cmp_gt_u32_e64 s[4:5], 8, v2
	v_ffbh_u32_e32 v2, v4
	v_min_u32_e32 v6, 32, v2
	v_subrev_u32_e32 v2, 28, v6
	v_lshlrev_b64 v[2:3], v2, v[1:2]
	v_sub_u32_e32 v3, 29, v6
	v_and_b32_e32 v2, 7, v2
	v_cndmask_b32_e64 v3, v5, v3, s[4:5]
	v_cndmask_b32_e64 v2, v4, v2, s[4:5]
	v_bfrev_b32_e32 v5, 60
	v_lshlrev_b32_e32 v2, 20, v2
	v_and_b32_sdwa v4, sext(v1), s54 dst_sel:DWORD dst_unused:UNUSED_PAD src0_sel:BYTE_0 src1_sel:DWORD
	v_lshl_add_u32 v3, v3, 23, v5
	v_or3_b32 v2, v4, v3, v2
	v_mov_b32_e32 v3, v49
	buffer_store_dword v2, off, s[56:59], 0 offset:68 ; 4-byte Folded Spill
	s_nop 0
	buffer_store_dword v3, off, s[56:59], 0 offset:72 ; 4-byte Folded Spill
.LBB201_154:                            ;   in Loop: Header=BB201_13 Depth=1
	s_or_b64 exec, exec, s[44:45]
.LBB201_155:                            ;   in Loop: Header=BB201_13 Depth=1
	s_or_b64 exec, exec, s[42:43]
.LBB201_156:                            ;   in Loop: Header=BB201_13 Depth=1
	s_or_b64 exec, exec, s[40:41]
	v_cmp_ne_u16_sdwa s[4:5], v1, v49 src0_sel:BYTE_1 src1_sel:DWORD
	s_and_saveexec_b64 s[40:41], s[4:5]
	s_cbranch_execz .LBB201_162
; %bb.157:                              ;   in Loop: Header=BB201_13 Depth=1
	v_cmp_ne_u16_sdwa s[4:5], v1, s52 src0_sel:BYTE_1 src1_sel:DWORD
	buffer_store_dword v49, off, s[56:59], 0 offset:76 ; 4-byte Folded Spill
	s_nop 0
	buffer_store_dword v50, off, s[56:59], 0 offset:80 ; 4-byte Folded Spill
	s_and_saveexec_b64 s[42:43], s[4:5]
	s_cbranch_execz .LBB201_161
; %bb.158:                              ;   in Loop: Header=BB201_13 Depth=1
	v_and_b32_sdwa v2, v1, s53 dst_sel:DWORD dst_unused:UNUSED_PAD src0_sel:BYTE_1 src1_sel:DWORD
	v_cmp_ne_u32_e64 s[4:5], s53, v2
	v_mov_b32_e32 v19, v49
	buffer_store_dword v19, off, s[56:59], 0 offset:76 ; 4-byte Folded Spill
	s_nop 0
	buffer_store_dword v20, off, s[56:59], 0 offset:80 ; 4-byte Folded Spill
	s_and_saveexec_b64 s[44:45], s[4:5]
	s_cbranch_execz .LBB201_160
; %bb.159:                              ;   in Loop: Header=BB201_13 Depth=1
	v_mov_b32_e32 v3, 7
	v_and_b32_sdwa v3, v1, v3 dst_sel:DWORD dst_unused:UNUSED_PAD src0_sel:BYTE_1 src1_sel:DWORD
	v_lshrrev_b32_e32 v6, 3, v2
	v_cmp_gt_u32_e64 s[4:5], 8, v2
	v_ffbh_u32_e32 v2, v3
	v_min_u32_e32 v2, 32, v2
	v_mov_b32_e32 v4, v49
	v_subrev_u32_e32 v5, 28, v2
	v_lshlrev_b64 v[4:5], v5, v[3:4]
	v_sub_u32_e32 v2, 29, v2
	v_and_b32_e32 v4, 7, v4
	v_cndmask_b32_e64 v2, v6, v2, s[4:5]
	v_cndmask_b32_e64 v3, v3, v4, s[4:5]
	v_bfrev_b32_e32 v4, 60
	v_lshlrev_b32_e32 v1, 16, v1
	v_lshl_add_u32 v2, v2, 23, v4
	v_and_or_b32 v1, v1, s54, v2
	v_lshlrev_b32_e32 v2, 20, v3
	v_or_b32_e32 v2, v1, v2
	v_mov_b32_e32 v1, v49
	buffer_store_dword v1, off, s[56:59], 0 offset:76 ; 4-byte Folded Spill
	s_nop 0
	buffer_store_dword v2, off, s[56:59], 0 offset:80 ; 4-byte Folded Spill
.LBB201_160:                            ;   in Loop: Header=BB201_13 Depth=1
	s_or_b64 exec, exec, s[44:45]
.LBB201_161:                            ;   in Loop: Header=BB201_13 Depth=1
	s_or_b64 exec, exec, s[42:43]
.LBB201_162:                            ;   in Loop: Header=BB201_13 Depth=1
	s_or_b64 exec, exec, s[40:41]
	global_load_ushort v2, v[57:58], off offset:1536
	s_waitcnt vmcnt(0)
	v_and_b32_e32 v1, 0xffff, v2
	v_cmp_ne_u16_sdwa s[4:5], v2, v49 src0_sel:BYTE_0 src1_sel:DWORD
	v_mov_b32_e32 v2, 0
	v_mov_b32_e32 v3, 0
	buffer_store_dword v2, off, s[56:59], 0 offset:92 ; 4-byte Folded Spill
	s_nop 0
	buffer_store_dword v3, off, s[56:59], 0 offset:96 ; 4-byte Folded Spill
	v_mov_b32_e32 v2, 0
	v_mov_b32_e32 v3, 0
	buffer_store_dword v2, off, s[56:59], 0 offset:84 ; 4-byte Folded Spill
	s_nop 0
	buffer_store_dword v3, off, s[56:59], 0 offset:88 ; 4-byte Folded Spill
	s_and_saveexec_b64 s[40:41], s[4:5]
	s_cbranch_execz .LBB201_168
; %bb.163:                              ;   in Loop: Header=BB201_13 Depth=1
	v_bfrev_b32_e32 v2, 1
	v_mov_b32_e32 v3, 0
	v_cmp_ne_u16_sdwa s[4:5], v1, s52 src0_sel:BYTE_0 src1_sel:DWORD
	buffer_store_dword v2, off, s[56:59], 0 offset:84 ; 4-byte Folded Spill
	s_nop 0
	buffer_store_dword v3, off, s[56:59], 0 offset:88 ; 4-byte Folded Spill
	s_and_saveexec_b64 s[42:43], s[4:5]
	s_cbranch_execz .LBB201_167
; %bb.164:                              ;   in Loop: Header=BB201_13 Depth=1
	v_and_b32_e32 v2, 0x7f, v1
	v_mov_b32_e32 v3, 0x7f800001
	v_mov_b32_e32 v4, 0
	v_cmp_ne_u32_e64 s[4:5], s53, v2
	buffer_store_dword v3, off, s[56:59], 0 offset:84 ; 4-byte Folded Spill
	s_nop 0
	buffer_store_dword v4, off, s[56:59], 0 offset:88 ; 4-byte Folded Spill
	s_and_saveexec_b64 s[44:45], s[4:5]
	s_cbranch_execz .LBB201_166
; %bb.165:                              ;   in Loop: Header=BB201_13 Depth=1
	v_and_b32_e32 v4, 7, v1
	v_lshrrev_b32_e32 v5, 3, v2
	v_cmp_gt_u32_e64 s[4:5], 8, v2
	v_ffbh_u32_e32 v2, v4
	v_min_u32_e32 v6, 32, v2
	v_subrev_u32_e32 v2, 28, v6
	v_lshlrev_b64 v[2:3], v2, v[1:2]
	v_sub_u32_e32 v3, 29, v6
	v_and_b32_e32 v2, 7, v2
	v_cndmask_b32_e64 v3, v5, v3, s[4:5]
	v_cndmask_b32_e64 v2, v4, v2, s[4:5]
	v_bfrev_b32_e32 v5, 60
	v_lshlrev_b32_e32 v2, 20, v2
	v_and_b32_sdwa v4, sext(v1), s54 dst_sel:DWORD dst_unused:UNUSED_PAD src0_sel:BYTE_0 src1_sel:DWORD
	v_lshl_add_u32 v3, v3, 23, v5
	v_or3_b32 v2, v4, v3, v2
	v_mov_b32_e32 v3, v49
	buffer_store_dword v2, off, s[56:59], 0 offset:84 ; 4-byte Folded Spill
	s_nop 0
	buffer_store_dword v3, off, s[56:59], 0 offset:88 ; 4-byte Folded Spill
.LBB201_166:                            ;   in Loop: Header=BB201_13 Depth=1
	s_or_b64 exec, exec, s[44:45]
.LBB201_167:                            ;   in Loop: Header=BB201_13 Depth=1
	s_or_b64 exec, exec, s[42:43]
.LBB201_168:                            ;   in Loop: Header=BB201_13 Depth=1
	s_or_b64 exec, exec, s[40:41]
	v_cmp_ne_u16_sdwa s[4:5], v1, v49 src0_sel:BYTE_1 src1_sel:DWORD
	s_and_saveexec_b64 s[40:41], s[4:5]
	s_cbranch_execz .LBB201_174
; %bb.169:                              ;   in Loop: Header=BB201_13 Depth=1
	v_cmp_ne_u16_sdwa s[4:5], v1, s52 src0_sel:BYTE_1 src1_sel:DWORD
	buffer_store_dword v49, off, s[56:59], 0 offset:92 ; 4-byte Folded Spill
	s_nop 0
	buffer_store_dword v50, off, s[56:59], 0 offset:96 ; 4-byte Folded Spill
	s_and_saveexec_b64 s[42:43], s[4:5]
	s_cbranch_execz .LBB201_173
; %bb.170:                              ;   in Loop: Header=BB201_13 Depth=1
	v_and_b32_sdwa v2, v1, s53 dst_sel:DWORD dst_unused:UNUSED_PAD src0_sel:BYTE_1 src1_sel:DWORD
	v_cmp_ne_u32_e64 s[4:5], s53, v2
	v_mov_b32_e32 v19, v49
	buffer_store_dword v19, off, s[56:59], 0 offset:92 ; 4-byte Folded Spill
	s_nop 0
	buffer_store_dword v20, off, s[56:59], 0 offset:96 ; 4-byte Folded Spill
	s_and_saveexec_b64 s[44:45], s[4:5]
	s_cbranch_execz .LBB201_172
; %bb.171:                              ;   in Loop: Header=BB201_13 Depth=1
	v_mov_b32_e32 v3, 7
	v_and_b32_sdwa v3, v1, v3 dst_sel:DWORD dst_unused:UNUSED_PAD src0_sel:BYTE_1 src1_sel:DWORD
	v_lshrrev_b32_e32 v6, 3, v2
	v_cmp_gt_u32_e64 s[4:5], 8, v2
	v_ffbh_u32_e32 v2, v3
	v_min_u32_e32 v2, 32, v2
	v_mov_b32_e32 v4, v49
	v_subrev_u32_e32 v5, 28, v2
	v_lshlrev_b64 v[4:5], v5, v[3:4]
	v_sub_u32_e32 v2, 29, v2
	v_and_b32_e32 v4, 7, v4
	v_cndmask_b32_e64 v2, v6, v2, s[4:5]
	v_cndmask_b32_e64 v3, v3, v4, s[4:5]
	v_bfrev_b32_e32 v4, 60
	v_lshlrev_b32_e32 v1, 16, v1
	v_lshl_add_u32 v2, v2, 23, v4
	v_and_or_b32 v1, v1, s54, v2
	v_lshlrev_b32_e32 v2, 20, v3
	v_or_b32_e32 v2, v1, v2
	v_mov_b32_e32 v1, v49
	buffer_store_dword v1, off, s[56:59], 0 offset:92 ; 4-byte Folded Spill
	s_nop 0
	buffer_store_dword v2, off, s[56:59], 0 offset:96 ; 4-byte Folded Spill
.LBB201_172:                            ;   in Loop: Header=BB201_13 Depth=1
	s_or_b64 exec, exec, s[44:45]
.LBB201_173:                            ;   in Loop: Header=BB201_13 Depth=1
	s_or_b64 exec, exec, s[42:43]
.LBB201_174:                            ;   in Loop: Header=BB201_13 Depth=1
	s_or_b64 exec, exec, s[40:41]
	global_load_ushort v2, v[57:58], off offset:1540
	s_waitcnt vmcnt(0)
	v_and_b32_e32 v1, 0xffff, v2
	v_cmp_ne_u16_sdwa s[4:5], v2, v49 src0_sel:BYTE_0 src1_sel:DWORD
	v_mov_b32_e32 v2, 0
	v_mov_b32_e32 v3, 0
	buffer_store_dword v2, off, s[56:59], 0 offset:108 ; 4-byte Folded Spill
	s_nop 0
	buffer_store_dword v3, off, s[56:59], 0 offset:112 ; 4-byte Folded Spill
	v_mov_b32_e32 v2, 0
	v_mov_b32_e32 v3, 0
	buffer_store_dword v2, off, s[56:59], 0 offset:100 ; 4-byte Folded Spill
	s_nop 0
	buffer_store_dword v3, off, s[56:59], 0 offset:104 ; 4-byte Folded Spill
	s_and_saveexec_b64 s[40:41], s[4:5]
	s_cbranch_execz .LBB201_180
; %bb.175:                              ;   in Loop: Header=BB201_13 Depth=1
	v_bfrev_b32_e32 v2, 1
	v_mov_b32_e32 v3, 0
	v_cmp_ne_u16_sdwa s[4:5], v1, s52 src0_sel:BYTE_0 src1_sel:DWORD
	buffer_store_dword v2, off, s[56:59], 0 offset:100 ; 4-byte Folded Spill
	s_nop 0
	buffer_store_dword v3, off, s[56:59], 0 offset:104 ; 4-byte Folded Spill
	s_and_saveexec_b64 s[42:43], s[4:5]
	s_cbranch_execz .LBB201_179
; %bb.176:                              ;   in Loop: Header=BB201_13 Depth=1
	v_and_b32_e32 v2, 0x7f, v1
	v_mov_b32_e32 v3, 0x7f800001
	v_mov_b32_e32 v4, 0
	v_cmp_ne_u32_e64 s[4:5], s53, v2
	buffer_store_dword v3, off, s[56:59], 0 offset:100 ; 4-byte Folded Spill
	s_nop 0
	buffer_store_dword v4, off, s[56:59], 0 offset:104 ; 4-byte Folded Spill
	s_and_saveexec_b64 s[44:45], s[4:5]
	s_cbranch_execz .LBB201_178
; %bb.177:                              ;   in Loop: Header=BB201_13 Depth=1
	v_and_b32_e32 v4, 7, v1
	v_lshrrev_b32_e32 v5, 3, v2
	v_cmp_gt_u32_e64 s[4:5], 8, v2
	v_ffbh_u32_e32 v2, v4
	v_min_u32_e32 v6, 32, v2
	v_subrev_u32_e32 v2, 28, v6
	v_lshlrev_b64 v[2:3], v2, v[1:2]
	v_sub_u32_e32 v3, 29, v6
	v_and_b32_e32 v2, 7, v2
	v_cndmask_b32_e64 v3, v5, v3, s[4:5]
	v_cndmask_b32_e64 v2, v4, v2, s[4:5]
	v_bfrev_b32_e32 v5, 60
	v_lshlrev_b32_e32 v2, 20, v2
	v_and_b32_sdwa v4, sext(v1), s54 dst_sel:DWORD dst_unused:UNUSED_PAD src0_sel:BYTE_0 src1_sel:DWORD
	v_lshl_add_u32 v3, v3, 23, v5
	v_or3_b32 v2, v4, v3, v2
	v_mov_b32_e32 v3, v49
	buffer_store_dword v2, off, s[56:59], 0 offset:100 ; 4-byte Folded Spill
	s_nop 0
	buffer_store_dword v3, off, s[56:59], 0 offset:104 ; 4-byte Folded Spill
.LBB201_178:                            ;   in Loop: Header=BB201_13 Depth=1
	s_or_b64 exec, exec, s[44:45]
.LBB201_179:                            ;   in Loop: Header=BB201_13 Depth=1
	s_or_b64 exec, exec, s[42:43]
.LBB201_180:                            ;   in Loop: Header=BB201_13 Depth=1
	s_or_b64 exec, exec, s[40:41]
	v_cmp_ne_u16_sdwa s[4:5], v1, v49 src0_sel:BYTE_1 src1_sel:DWORD
	s_and_saveexec_b64 s[40:41], s[4:5]
	s_cbranch_execz .LBB201_186
; %bb.181:                              ;   in Loop: Header=BB201_13 Depth=1
	v_cmp_ne_u16_sdwa s[4:5], v1, s52 src0_sel:BYTE_1 src1_sel:DWORD
	buffer_store_dword v49, off, s[56:59], 0 offset:108 ; 4-byte Folded Spill
	s_nop 0
	buffer_store_dword v50, off, s[56:59], 0 offset:112 ; 4-byte Folded Spill
	s_and_saveexec_b64 s[42:43], s[4:5]
	s_cbranch_execz .LBB201_185
; %bb.182:                              ;   in Loop: Header=BB201_13 Depth=1
	v_and_b32_sdwa v2, v1, s53 dst_sel:DWORD dst_unused:UNUSED_PAD src0_sel:BYTE_1 src1_sel:DWORD
	v_cmp_ne_u32_e64 s[4:5], s53, v2
	v_mov_b32_e32 v19, v49
	buffer_store_dword v19, off, s[56:59], 0 offset:108 ; 4-byte Folded Spill
	s_nop 0
	buffer_store_dword v20, off, s[56:59], 0 offset:112 ; 4-byte Folded Spill
	s_and_saveexec_b64 s[44:45], s[4:5]
	s_cbranch_execz .LBB201_184
; %bb.183:                              ;   in Loop: Header=BB201_13 Depth=1
	v_mov_b32_e32 v3, 7
	v_and_b32_sdwa v3, v1, v3 dst_sel:DWORD dst_unused:UNUSED_PAD src0_sel:BYTE_1 src1_sel:DWORD
	v_lshrrev_b32_e32 v6, 3, v2
	v_cmp_gt_u32_e64 s[4:5], 8, v2
	v_ffbh_u32_e32 v2, v3
	v_min_u32_e32 v2, 32, v2
	v_mov_b32_e32 v4, v49
	v_subrev_u32_e32 v5, 28, v2
	v_lshlrev_b64 v[4:5], v5, v[3:4]
	v_sub_u32_e32 v2, 29, v2
	v_and_b32_e32 v4, 7, v4
	v_cndmask_b32_e64 v2, v6, v2, s[4:5]
	v_cndmask_b32_e64 v3, v3, v4, s[4:5]
	v_bfrev_b32_e32 v4, 60
	v_lshlrev_b32_e32 v1, 16, v1
	v_lshl_add_u32 v2, v2, 23, v4
	v_and_or_b32 v1, v1, s54, v2
	v_lshlrev_b32_e32 v2, 20, v3
	v_or_b32_e32 v2, v1, v2
	v_mov_b32_e32 v1, v49
	buffer_store_dword v1, off, s[56:59], 0 offset:108 ; 4-byte Folded Spill
	s_nop 0
	buffer_store_dword v2, off, s[56:59], 0 offset:112 ; 4-byte Folded Spill
.LBB201_184:                            ;   in Loop: Header=BB201_13 Depth=1
	s_or_b64 exec, exec, s[44:45]
.LBB201_185:                            ;   in Loop: Header=BB201_13 Depth=1
	s_or_b64 exec, exec, s[42:43]
.LBB201_186:                            ;   in Loop: Header=BB201_13 Depth=1
	s_or_b64 exec, exec, s[40:41]
	global_load_ushort v2, v[57:58], off offset:1544
	s_waitcnt vmcnt(0)
	v_and_b32_e32 v1, 0xffff, v2
	v_cmp_ne_u16_sdwa s[4:5], v2, v49 src0_sel:BYTE_0 src1_sel:DWORD
	v_mov_b32_e32 v2, 0
	v_mov_b32_e32 v3, 0
	buffer_store_dword v2, off, s[56:59], 0 offset:124 ; 4-byte Folded Spill
	s_nop 0
	buffer_store_dword v3, off, s[56:59], 0 offset:128 ; 4-byte Folded Spill
	v_mov_b32_e32 v2, 0
	v_mov_b32_e32 v3, 0
	buffer_store_dword v2, off, s[56:59], 0 offset:116 ; 4-byte Folded Spill
	s_nop 0
	buffer_store_dword v3, off, s[56:59], 0 offset:120 ; 4-byte Folded Spill
	s_and_saveexec_b64 s[40:41], s[4:5]
	s_cbranch_execz .LBB201_192
; %bb.187:                              ;   in Loop: Header=BB201_13 Depth=1
	v_bfrev_b32_e32 v2, 1
	v_mov_b32_e32 v3, 0
	v_cmp_ne_u16_sdwa s[4:5], v1, s52 src0_sel:BYTE_0 src1_sel:DWORD
	buffer_store_dword v2, off, s[56:59], 0 offset:116 ; 4-byte Folded Spill
	s_nop 0
	buffer_store_dword v3, off, s[56:59], 0 offset:120 ; 4-byte Folded Spill
	s_and_saveexec_b64 s[42:43], s[4:5]
	s_cbranch_execz .LBB201_191
; %bb.188:                              ;   in Loop: Header=BB201_13 Depth=1
	v_and_b32_e32 v2, 0x7f, v1
	v_mov_b32_e32 v3, 0x7f800001
	v_mov_b32_e32 v4, 0
	v_cmp_ne_u32_e64 s[4:5], s53, v2
	buffer_store_dword v3, off, s[56:59], 0 offset:116 ; 4-byte Folded Spill
	s_nop 0
	buffer_store_dword v4, off, s[56:59], 0 offset:120 ; 4-byte Folded Spill
	s_and_saveexec_b64 s[44:45], s[4:5]
	s_cbranch_execz .LBB201_190
; %bb.189:                              ;   in Loop: Header=BB201_13 Depth=1
	v_and_b32_e32 v4, 7, v1
	v_lshrrev_b32_e32 v5, 3, v2
	v_cmp_gt_u32_e64 s[4:5], 8, v2
	v_ffbh_u32_e32 v2, v4
	v_min_u32_e32 v6, 32, v2
	v_subrev_u32_e32 v2, 28, v6
	v_lshlrev_b64 v[2:3], v2, v[1:2]
	v_sub_u32_e32 v3, 29, v6
	v_and_b32_e32 v2, 7, v2
	v_cndmask_b32_e64 v3, v5, v3, s[4:5]
	v_cndmask_b32_e64 v2, v4, v2, s[4:5]
	v_bfrev_b32_e32 v5, 60
	v_lshlrev_b32_e32 v2, 20, v2
	v_and_b32_sdwa v4, sext(v1), s54 dst_sel:DWORD dst_unused:UNUSED_PAD src0_sel:BYTE_0 src1_sel:DWORD
	v_lshl_add_u32 v3, v3, 23, v5
	v_or3_b32 v2, v4, v3, v2
	v_mov_b32_e32 v3, v49
	buffer_store_dword v2, off, s[56:59], 0 offset:116 ; 4-byte Folded Spill
	s_nop 0
	buffer_store_dword v3, off, s[56:59], 0 offset:120 ; 4-byte Folded Spill
.LBB201_190:                            ;   in Loop: Header=BB201_13 Depth=1
	s_or_b64 exec, exec, s[44:45]
.LBB201_191:                            ;   in Loop: Header=BB201_13 Depth=1
	s_or_b64 exec, exec, s[42:43]
.LBB201_192:                            ;   in Loop: Header=BB201_13 Depth=1
	s_or_b64 exec, exec, s[40:41]
	v_cmp_ne_u16_sdwa s[4:5], v1, v49 src0_sel:BYTE_1 src1_sel:DWORD
	s_and_saveexec_b64 s[40:41], s[4:5]
	s_cbranch_execz .LBB201_198
; %bb.193:                              ;   in Loop: Header=BB201_13 Depth=1
	v_cmp_ne_u16_sdwa s[4:5], v1, s52 src0_sel:BYTE_1 src1_sel:DWORD
	buffer_store_dword v49, off, s[56:59], 0 offset:124 ; 4-byte Folded Spill
	s_nop 0
	buffer_store_dword v50, off, s[56:59], 0 offset:128 ; 4-byte Folded Spill
	s_and_saveexec_b64 s[42:43], s[4:5]
	s_cbranch_execz .LBB201_197
; %bb.194:                              ;   in Loop: Header=BB201_13 Depth=1
	v_and_b32_sdwa v2, v1, s53 dst_sel:DWORD dst_unused:UNUSED_PAD src0_sel:BYTE_1 src1_sel:DWORD
	v_cmp_ne_u32_e64 s[4:5], s53, v2
	v_mov_b32_e32 v19, v49
	buffer_store_dword v19, off, s[56:59], 0 offset:124 ; 4-byte Folded Spill
	s_nop 0
	buffer_store_dword v20, off, s[56:59], 0 offset:128 ; 4-byte Folded Spill
	s_and_saveexec_b64 s[44:45], s[4:5]
	s_cbranch_execz .LBB201_196
; %bb.195:                              ;   in Loop: Header=BB201_13 Depth=1
	v_mov_b32_e32 v3, 7
	v_and_b32_sdwa v3, v1, v3 dst_sel:DWORD dst_unused:UNUSED_PAD src0_sel:BYTE_1 src1_sel:DWORD
	v_lshrrev_b32_e32 v6, 3, v2
	v_cmp_gt_u32_e64 s[4:5], 8, v2
	v_ffbh_u32_e32 v2, v3
	v_min_u32_e32 v2, 32, v2
	v_mov_b32_e32 v4, v49
	v_subrev_u32_e32 v5, 28, v2
	v_lshlrev_b64 v[4:5], v5, v[3:4]
	v_sub_u32_e32 v2, 29, v2
	v_and_b32_e32 v4, 7, v4
	v_cndmask_b32_e64 v2, v6, v2, s[4:5]
	v_cndmask_b32_e64 v3, v3, v4, s[4:5]
	v_bfrev_b32_e32 v4, 60
	v_lshlrev_b32_e32 v1, 16, v1
	v_lshl_add_u32 v2, v2, 23, v4
	v_and_or_b32 v1, v1, s54, v2
	v_lshlrev_b32_e32 v2, 20, v3
	v_or_b32_e32 v2, v1, v2
	v_mov_b32_e32 v1, v49
	buffer_store_dword v1, off, s[56:59], 0 offset:124 ; 4-byte Folded Spill
	s_nop 0
	buffer_store_dword v2, off, s[56:59], 0 offset:128 ; 4-byte Folded Spill
.LBB201_196:                            ;   in Loop: Header=BB201_13 Depth=1
	s_or_b64 exec, exec, s[44:45]
.LBB201_197:                            ;   in Loop: Header=BB201_13 Depth=1
	s_or_b64 exec, exec, s[42:43]
.LBB201_198:                            ;   in Loop: Header=BB201_13 Depth=1
	s_or_b64 exec, exec, s[40:41]
	global_load_ushort v2, v[57:58], off offset:1548
	s_waitcnt vmcnt(0)
	v_and_b32_e32 v1, 0xffff, v2
	v_cmp_ne_u16_sdwa s[4:5], v2, v49 src0_sel:BYTE_0 src1_sel:DWORD
	v_mov_b32_e32 v2, 0
	v_mov_b32_e32 v3, 0
	buffer_store_dword v2, off, s[56:59], 0 offset:140 ; 4-byte Folded Spill
	s_nop 0
	buffer_store_dword v3, off, s[56:59], 0 offset:144 ; 4-byte Folded Spill
	v_mov_b32_e32 v2, 0
	v_mov_b32_e32 v3, 0
	buffer_store_dword v2, off, s[56:59], 0 offset:132 ; 4-byte Folded Spill
	s_nop 0
	buffer_store_dword v3, off, s[56:59], 0 offset:136 ; 4-byte Folded Spill
	s_and_saveexec_b64 s[40:41], s[4:5]
	s_cbranch_execz .LBB201_204
; %bb.199:                              ;   in Loop: Header=BB201_13 Depth=1
	v_bfrev_b32_e32 v2, 1
	v_mov_b32_e32 v3, 0
	v_cmp_ne_u16_sdwa s[4:5], v1, s52 src0_sel:BYTE_0 src1_sel:DWORD
	buffer_store_dword v2, off, s[56:59], 0 offset:132 ; 4-byte Folded Spill
	s_nop 0
	buffer_store_dword v3, off, s[56:59], 0 offset:136 ; 4-byte Folded Spill
	s_and_saveexec_b64 s[42:43], s[4:5]
	s_cbranch_execz .LBB201_203
; %bb.200:                              ;   in Loop: Header=BB201_13 Depth=1
	v_and_b32_e32 v2, 0x7f, v1
	v_mov_b32_e32 v3, 0x7f800001
	v_mov_b32_e32 v4, 0
	v_cmp_ne_u32_e64 s[4:5], s53, v2
	buffer_store_dword v3, off, s[56:59], 0 offset:132 ; 4-byte Folded Spill
	s_nop 0
	buffer_store_dword v4, off, s[56:59], 0 offset:136 ; 4-byte Folded Spill
	s_and_saveexec_b64 s[44:45], s[4:5]
	s_cbranch_execz .LBB201_202
; %bb.201:                              ;   in Loop: Header=BB201_13 Depth=1
	v_and_b32_e32 v4, 7, v1
	v_lshrrev_b32_e32 v5, 3, v2
	v_cmp_gt_u32_e64 s[4:5], 8, v2
	v_ffbh_u32_e32 v2, v4
	v_min_u32_e32 v6, 32, v2
	v_subrev_u32_e32 v2, 28, v6
	v_lshlrev_b64 v[2:3], v2, v[1:2]
	v_sub_u32_e32 v3, 29, v6
	v_and_b32_e32 v2, 7, v2
	v_cndmask_b32_e64 v3, v5, v3, s[4:5]
	v_cndmask_b32_e64 v2, v4, v2, s[4:5]
	v_bfrev_b32_e32 v5, 60
	v_lshlrev_b32_e32 v2, 20, v2
	v_and_b32_sdwa v4, sext(v1), s54 dst_sel:DWORD dst_unused:UNUSED_PAD src0_sel:BYTE_0 src1_sel:DWORD
	v_lshl_add_u32 v3, v3, 23, v5
	v_or3_b32 v2, v4, v3, v2
	v_mov_b32_e32 v3, v49
	buffer_store_dword v2, off, s[56:59], 0 offset:132 ; 4-byte Folded Spill
	s_nop 0
	buffer_store_dword v3, off, s[56:59], 0 offset:136 ; 4-byte Folded Spill
.LBB201_202:                            ;   in Loop: Header=BB201_13 Depth=1
	s_or_b64 exec, exec, s[44:45]
.LBB201_203:                            ;   in Loop: Header=BB201_13 Depth=1
	s_or_b64 exec, exec, s[42:43]
.LBB201_204:                            ;   in Loop: Header=BB201_13 Depth=1
	s_or_b64 exec, exec, s[40:41]
	v_cmp_ne_u16_sdwa s[4:5], v1, v49 src0_sel:BYTE_1 src1_sel:DWORD
	s_and_saveexec_b64 s[40:41], s[4:5]
	s_cbranch_execz .LBB201_210
; %bb.205:                              ;   in Loop: Header=BB201_13 Depth=1
	v_cmp_ne_u16_sdwa s[4:5], v1, s52 src0_sel:BYTE_1 src1_sel:DWORD
	buffer_store_dword v49, off, s[56:59], 0 offset:140 ; 4-byte Folded Spill
	s_nop 0
	buffer_store_dword v50, off, s[56:59], 0 offset:144 ; 4-byte Folded Spill
	s_and_saveexec_b64 s[42:43], s[4:5]
	s_cbranch_execz .LBB201_209
; %bb.206:                              ;   in Loop: Header=BB201_13 Depth=1
	v_and_b32_sdwa v2, v1, s53 dst_sel:DWORD dst_unused:UNUSED_PAD src0_sel:BYTE_1 src1_sel:DWORD
	v_cmp_ne_u32_e64 s[4:5], s53, v2
	v_mov_b32_e32 v19, v49
	buffer_store_dword v19, off, s[56:59], 0 offset:140 ; 4-byte Folded Spill
	s_nop 0
	buffer_store_dword v20, off, s[56:59], 0 offset:144 ; 4-byte Folded Spill
	s_and_saveexec_b64 s[44:45], s[4:5]
	s_cbranch_execz .LBB201_208
; %bb.207:                              ;   in Loop: Header=BB201_13 Depth=1
	v_mov_b32_e32 v3, 7
	v_and_b32_sdwa v3, v1, v3 dst_sel:DWORD dst_unused:UNUSED_PAD src0_sel:BYTE_1 src1_sel:DWORD
	v_lshrrev_b32_e32 v6, 3, v2
	v_cmp_gt_u32_e64 s[4:5], 8, v2
	v_ffbh_u32_e32 v2, v3
	v_min_u32_e32 v2, 32, v2
	v_mov_b32_e32 v4, v49
	v_subrev_u32_e32 v5, 28, v2
	v_lshlrev_b64 v[4:5], v5, v[3:4]
	v_sub_u32_e32 v2, 29, v2
	v_and_b32_e32 v4, 7, v4
	v_cndmask_b32_e64 v2, v6, v2, s[4:5]
	v_cndmask_b32_e64 v3, v3, v4, s[4:5]
	v_bfrev_b32_e32 v4, 60
	v_lshlrev_b32_e32 v1, 16, v1
	v_lshl_add_u32 v2, v2, 23, v4
	v_and_or_b32 v1, v1, s54, v2
	v_lshlrev_b32_e32 v2, 20, v3
	v_or_b32_e32 v2, v1, v2
	v_mov_b32_e32 v1, v49
	buffer_store_dword v1, off, s[56:59], 0 offset:140 ; 4-byte Folded Spill
	s_nop 0
	buffer_store_dword v2, off, s[56:59], 0 offset:144 ; 4-byte Folded Spill
.LBB201_208:                            ;   in Loop: Header=BB201_13 Depth=1
	s_or_b64 exec, exec, s[44:45]
.LBB201_209:                            ;   in Loop: Header=BB201_13 Depth=1
	s_or_b64 exec, exec, s[42:43]
.LBB201_210:                            ;   in Loop: Header=BB201_13 Depth=1
	s_or_b64 exec, exec, s[40:41]
	global_load_ushort v2, v[57:58], off offset:2048
	s_waitcnt vmcnt(0)
	v_and_b32_e32 v1, 0xffff, v2
	v_cmp_ne_u16_sdwa s[4:5], v2, v49 src0_sel:BYTE_0 src1_sel:DWORD
	v_mov_b32_e32 v2, 0
	v_mov_b32_e32 v3, 0
	buffer_store_dword v2, off, s[56:59], 0 offset:156 ; 4-byte Folded Spill
	s_nop 0
	buffer_store_dword v3, off, s[56:59], 0 offset:160 ; 4-byte Folded Spill
	v_mov_b32_e32 v2, 0
	v_mov_b32_e32 v3, 0
	buffer_store_dword v2, off, s[56:59], 0 offset:148 ; 4-byte Folded Spill
	s_nop 0
	buffer_store_dword v3, off, s[56:59], 0 offset:152 ; 4-byte Folded Spill
	s_and_saveexec_b64 s[40:41], s[4:5]
	s_cbranch_execz .LBB201_216
; %bb.211:                              ;   in Loop: Header=BB201_13 Depth=1
	v_bfrev_b32_e32 v2, 1
	v_mov_b32_e32 v3, 0
	v_cmp_ne_u16_sdwa s[4:5], v1, s52 src0_sel:BYTE_0 src1_sel:DWORD
	buffer_store_dword v2, off, s[56:59], 0 offset:148 ; 4-byte Folded Spill
	s_nop 0
	buffer_store_dword v3, off, s[56:59], 0 offset:152 ; 4-byte Folded Spill
	s_and_saveexec_b64 s[42:43], s[4:5]
	s_cbranch_execz .LBB201_215
; %bb.212:                              ;   in Loop: Header=BB201_13 Depth=1
	v_and_b32_e32 v2, 0x7f, v1
	v_mov_b32_e32 v3, 0x7f800001
	v_mov_b32_e32 v4, 0
	v_cmp_ne_u32_e64 s[4:5], s53, v2
	buffer_store_dword v3, off, s[56:59], 0 offset:148 ; 4-byte Folded Spill
	s_nop 0
	buffer_store_dword v4, off, s[56:59], 0 offset:152 ; 4-byte Folded Spill
	s_and_saveexec_b64 s[44:45], s[4:5]
	s_cbranch_execz .LBB201_214
; %bb.213:                              ;   in Loop: Header=BB201_13 Depth=1
	v_and_b32_e32 v4, 7, v1
	v_lshrrev_b32_e32 v5, 3, v2
	v_cmp_gt_u32_e64 s[4:5], 8, v2
	v_ffbh_u32_e32 v2, v4
	v_min_u32_e32 v6, 32, v2
	v_subrev_u32_e32 v2, 28, v6
	v_lshlrev_b64 v[2:3], v2, v[1:2]
	v_sub_u32_e32 v3, 29, v6
	v_and_b32_e32 v2, 7, v2
	v_cndmask_b32_e64 v3, v5, v3, s[4:5]
	v_cndmask_b32_e64 v2, v4, v2, s[4:5]
	v_bfrev_b32_e32 v5, 60
	v_lshlrev_b32_e32 v2, 20, v2
	v_and_b32_sdwa v4, sext(v1), s54 dst_sel:DWORD dst_unused:UNUSED_PAD src0_sel:BYTE_0 src1_sel:DWORD
	v_lshl_add_u32 v3, v3, 23, v5
	v_or3_b32 v2, v4, v3, v2
	v_mov_b32_e32 v3, v49
	buffer_store_dword v2, off, s[56:59], 0 offset:148 ; 4-byte Folded Spill
	s_nop 0
	buffer_store_dword v3, off, s[56:59], 0 offset:152 ; 4-byte Folded Spill
.LBB201_214:                            ;   in Loop: Header=BB201_13 Depth=1
	s_or_b64 exec, exec, s[44:45]
.LBB201_215:                            ;   in Loop: Header=BB201_13 Depth=1
	s_or_b64 exec, exec, s[42:43]
.LBB201_216:                            ;   in Loop: Header=BB201_13 Depth=1
	s_or_b64 exec, exec, s[40:41]
	v_cmp_ne_u16_sdwa s[4:5], v1, v49 src0_sel:BYTE_1 src1_sel:DWORD
	s_and_saveexec_b64 s[40:41], s[4:5]
	s_cbranch_execz .LBB201_222
; %bb.217:                              ;   in Loop: Header=BB201_13 Depth=1
	v_cmp_ne_u16_sdwa s[4:5], v1, s52 src0_sel:BYTE_1 src1_sel:DWORD
	buffer_store_dword v49, off, s[56:59], 0 offset:156 ; 4-byte Folded Spill
	s_nop 0
	buffer_store_dword v50, off, s[56:59], 0 offset:160 ; 4-byte Folded Spill
	s_and_saveexec_b64 s[42:43], s[4:5]
	s_cbranch_execz .LBB201_221
; %bb.218:                              ;   in Loop: Header=BB201_13 Depth=1
	v_and_b32_sdwa v2, v1, s53 dst_sel:DWORD dst_unused:UNUSED_PAD src0_sel:BYTE_1 src1_sel:DWORD
	v_cmp_ne_u32_e64 s[4:5], s53, v2
	v_mov_b32_e32 v19, v49
	buffer_store_dword v19, off, s[56:59], 0 offset:156 ; 4-byte Folded Spill
	s_nop 0
	buffer_store_dword v20, off, s[56:59], 0 offset:160 ; 4-byte Folded Spill
	s_and_saveexec_b64 s[44:45], s[4:5]
	s_cbranch_execz .LBB201_220
; %bb.219:                              ;   in Loop: Header=BB201_13 Depth=1
	v_mov_b32_e32 v3, 7
	v_and_b32_sdwa v3, v1, v3 dst_sel:DWORD dst_unused:UNUSED_PAD src0_sel:BYTE_1 src1_sel:DWORD
	v_lshrrev_b32_e32 v6, 3, v2
	v_cmp_gt_u32_e64 s[4:5], 8, v2
	v_ffbh_u32_e32 v2, v3
	v_min_u32_e32 v2, 32, v2
	v_mov_b32_e32 v4, v49
	v_subrev_u32_e32 v5, 28, v2
	v_lshlrev_b64 v[4:5], v5, v[3:4]
	v_sub_u32_e32 v2, 29, v2
	v_and_b32_e32 v4, 7, v4
	v_cndmask_b32_e64 v2, v6, v2, s[4:5]
	v_cndmask_b32_e64 v3, v3, v4, s[4:5]
	v_bfrev_b32_e32 v4, 60
	v_lshlrev_b32_e32 v1, 16, v1
	v_lshl_add_u32 v2, v2, 23, v4
	v_and_or_b32 v1, v1, s54, v2
	v_lshlrev_b32_e32 v2, 20, v3
	v_or_b32_e32 v2, v1, v2
	v_mov_b32_e32 v1, v49
	buffer_store_dword v1, off, s[56:59], 0 offset:156 ; 4-byte Folded Spill
	s_nop 0
	buffer_store_dword v2, off, s[56:59], 0 offset:160 ; 4-byte Folded Spill
.LBB201_220:                            ;   in Loop: Header=BB201_13 Depth=1
	s_or_b64 exec, exec, s[44:45]
.LBB201_221:                            ;   in Loop: Header=BB201_13 Depth=1
	s_or_b64 exec, exec, s[42:43]
.LBB201_222:                            ;   in Loop: Header=BB201_13 Depth=1
	s_or_b64 exec, exec, s[40:41]
	global_load_ushort v2, v[57:58], off offset:2052
	s_waitcnt vmcnt(0)
	v_and_b32_e32 v1, 0xffff, v2
	v_cmp_ne_u16_sdwa s[4:5], v2, v49 src0_sel:BYTE_0 src1_sel:DWORD
	v_mov_b32_e32 v2, 0
	v_mov_b32_e32 v3, 0
	buffer_store_dword v2, off, s[56:59], 0 offset:172 ; 4-byte Folded Spill
	s_nop 0
	buffer_store_dword v3, off, s[56:59], 0 offset:176 ; 4-byte Folded Spill
	v_mov_b32_e32 v2, 0
	v_mov_b32_e32 v3, 0
	buffer_store_dword v2, off, s[56:59], 0 offset:164 ; 4-byte Folded Spill
	s_nop 0
	buffer_store_dword v3, off, s[56:59], 0 offset:168 ; 4-byte Folded Spill
	s_and_saveexec_b64 s[40:41], s[4:5]
	s_cbranch_execz .LBB201_228
; %bb.223:                              ;   in Loop: Header=BB201_13 Depth=1
	v_bfrev_b32_e32 v2, 1
	v_mov_b32_e32 v3, 0
	v_cmp_ne_u16_sdwa s[4:5], v1, s52 src0_sel:BYTE_0 src1_sel:DWORD
	buffer_store_dword v2, off, s[56:59], 0 offset:164 ; 4-byte Folded Spill
	s_nop 0
	buffer_store_dword v3, off, s[56:59], 0 offset:168 ; 4-byte Folded Spill
	s_and_saveexec_b64 s[42:43], s[4:5]
	s_cbranch_execz .LBB201_227
; %bb.224:                              ;   in Loop: Header=BB201_13 Depth=1
	v_and_b32_e32 v2, 0x7f, v1
	v_mov_b32_e32 v3, 0x7f800001
	v_mov_b32_e32 v4, 0
	v_cmp_ne_u32_e64 s[4:5], s53, v2
	buffer_store_dword v3, off, s[56:59], 0 offset:164 ; 4-byte Folded Spill
	s_nop 0
	buffer_store_dword v4, off, s[56:59], 0 offset:168 ; 4-byte Folded Spill
	s_and_saveexec_b64 s[44:45], s[4:5]
	s_cbranch_execz .LBB201_226
; %bb.225:                              ;   in Loop: Header=BB201_13 Depth=1
	v_and_b32_e32 v4, 7, v1
	v_lshrrev_b32_e32 v5, 3, v2
	v_cmp_gt_u32_e64 s[4:5], 8, v2
	v_ffbh_u32_e32 v2, v4
	v_min_u32_e32 v6, 32, v2
	v_subrev_u32_e32 v2, 28, v6
	v_lshlrev_b64 v[2:3], v2, v[1:2]
	v_sub_u32_e32 v3, 29, v6
	v_and_b32_e32 v2, 7, v2
	v_cndmask_b32_e64 v3, v5, v3, s[4:5]
	v_cndmask_b32_e64 v2, v4, v2, s[4:5]
	v_bfrev_b32_e32 v5, 60
	v_lshlrev_b32_e32 v2, 20, v2
	v_and_b32_sdwa v4, sext(v1), s54 dst_sel:DWORD dst_unused:UNUSED_PAD src0_sel:BYTE_0 src1_sel:DWORD
	v_lshl_add_u32 v3, v3, 23, v5
	v_or3_b32 v2, v4, v3, v2
	v_mov_b32_e32 v3, v49
	buffer_store_dword v2, off, s[56:59], 0 offset:164 ; 4-byte Folded Spill
	s_nop 0
	buffer_store_dword v3, off, s[56:59], 0 offset:168 ; 4-byte Folded Spill
.LBB201_226:                            ;   in Loop: Header=BB201_13 Depth=1
	s_or_b64 exec, exec, s[44:45]
.LBB201_227:                            ;   in Loop: Header=BB201_13 Depth=1
	s_or_b64 exec, exec, s[42:43]
.LBB201_228:                            ;   in Loop: Header=BB201_13 Depth=1
	s_or_b64 exec, exec, s[40:41]
	v_cmp_ne_u16_sdwa s[4:5], v1, v49 src0_sel:BYTE_1 src1_sel:DWORD
	s_and_saveexec_b64 s[40:41], s[4:5]
	s_cbranch_execz .LBB201_234
; %bb.229:                              ;   in Loop: Header=BB201_13 Depth=1
	v_cmp_ne_u16_sdwa s[4:5], v1, s52 src0_sel:BYTE_1 src1_sel:DWORD
	buffer_store_dword v49, off, s[56:59], 0 offset:172 ; 4-byte Folded Spill
	s_nop 0
	buffer_store_dword v50, off, s[56:59], 0 offset:176 ; 4-byte Folded Spill
	s_and_saveexec_b64 s[42:43], s[4:5]
	s_cbranch_execz .LBB201_233
; %bb.230:                              ;   in Loop: Header=BB201_13 Depth=1
	v_and_b32_sdwa v2, v1, s53 dst_sel:DWORD dst_unused:UNUSED_PAD src0_sel:BYTE_1 src1_sel:DWORD
	v_cmp_ne_u32_e64 s[4:5], s53, v2
	v_mov_b32_e32 v19, v49
	buffer_store_dword v19, off, s[56:59], 0 offset:172 ; 4-byte Folded Spill
	s_nop 0
	buffer_store_dword v20, off, s[56:59], 0 offset:176 ; 4-byte Folded Spill
	s_and_saveexec_b64 s[44:45], s[4:5]
	s_cbranch_execz .LBB201_232
; %bb.231:                              ;   in Loop: Header=BB201_13 Depth=1
	v_mov_b32_e32 v3, 7
	v_and_b32_sdwa v3, v1, v3 dst_sel:DWORD dst_unused:UNUSED_PAD src0_sel:BYTE_1 src1_sel:DWORD
	v_lshrrev_b32_e32 v6, 3, v2
	v_cmp_gt_u32_e64 s[4:5], 8, v2
	v_ffbh_u32_e32 v2, v3
	v_min_u32_e32 v2, 32, v2
	v_mov_b32_e32 v4, v49
	v_subrev_u32_e32 v5, 28, v2
	v_lshlrev_b64 v[4:5], v5, v[3:4]
	v_sub_u32_e32 v2, 29, v2
	v_and_b32_e32 v4, 7, v4
	v_cndmask_b32_e64 v2, v6, v2, s[4:5]
	v_cndmask_b32_e64 v3, v3, v4, s[4:5]
	v_bfrev_b32_e32 v4, 60
	v_lshlrev_b32_e32 v1, 16, v1
	v_lshl_add_u32 v2, v2, 23, v4
	v_and_or_b32 v1, v1, s54, v2
	v_lshlrev_b32_e32 v2, 20, v3
	v_or_b32_e32 v2, v1, v2
	v_mov_b32_e32 v1, v49
	buffer_store_dword v1, off, s[56:59], 0 offset:172 ; 4-byte Folded Spill
	s_nop 0
	buffer_store_dword v2, off, s[56:59], 0 offset:176 ; 4-byte Folded Spill
.LBB201_232:                            ;   in Loop: Header=BB201_13 Depth=1
	s_or_b64 exec, exec, s[44:45]
.LBB201_233:                            ;   in Loop: Header=BB201_13 Depth=1
	s_or_b64 exec, exec, s[42:43]
.LBB201_234:                            ;   in Loop: Header=BB201_13 Depth=1
	s_or_b64 exec, exec, s[40:41]
	global_load_ushort v1, v[57:58], off offset:2056
	s_waitcnt vmcnt(0)
	v_and_b32_e32 v5, 0xffff, v1
	v_cmp_ne_u16_sdwa s[4:5], v1, v49 src0_sel:BYTE_0 src1_sel:DWORD
	v_mov_b32_e32 v1, 0
	v_mov_b32_e32 v2, 0
	buffer_store_dword v1, off, s[56:59], 0 offset:180 ; 4-byte Folded Spill
	s_nop 0
	buffer_store_dword v2, off, s[56:59], 0 offset:184 ; 4-byte Folded Spill
	v_mov_b32_e32 v1, 0
	v_mov_b32_e32 v2, 0
	s_and_saveexec_b64 s[40:41], s[4:5]
	s_cbranch_execz .LBB201_240
; %bb.235:                              ;   in Loop: Header=BB201_13 Depth=1
	v_bfrev_b32_e32 v1, 1
	v_mov_b32_e32 v2, 0
	v_cmp_ne_u16_sdwa s[4:5], v5, s52 src0_sel:BYTE_0 src1_sel:DWORD
	s_and_saveexec_b64 s[42:43], s[4:5]
	s_cbranch_execz .LBB201_239
; %bb.236:                              ;   in Loop: Header=BB201_13 Depth=1
	v_and_b32_e32 v6, 0x7f, v5
	v_mov_b32_e32 v1, 0x7f800001
	v_mov_b32_e32 v2, 0
	v_cmp_ne_u32_e64 s[4:5], s53, v6
	s_and_saveexec_b64 s[44:45], s[4:5]
	s_cbranch_execz .LBB201_238
; %bb.237:                              ;   in Loop: Header=BB201_13 Depth=1
	v_and_b32_e32 v7, 7, v5
	v_ffbh_u32_e32 v1, v7
	v_lshrrev_b32_e32 v8, 3, v6
	v_cmp_gt_u32_e64 s[4:5], 8, v6
	v_min_u32_e32 v6, 32, v1
	v_subrev_u32_e32 v1, 28, v6
	v_lshlrev_b64 v[1:2], v1, v[5:6]
	v_sub_u32_e32 v2, 29, v6
	v_and_b32_e32 v1, 7, v1
	v_cndmask_b32_e64 v2, v8, v2, s[4:5]
	v_cndmask_b32_e64 v1, v7, v1, s[4:5]
	v_bfrev_b32_e32 v7, 60
	v_lshlrev_b32_e32 v1, 20, v1
	v_and_b32_sdwa v6, sext(v5), s54 dst_sel:DWORD dst_unused:UNUSED_PAD src0_sel:BYTE_0 src1_sel:DWORD
	v_lshl_add_u32 v2, v2, 23, v7
	v_or3_b32 v1, v6, v2, v1
	v_mov_b32_e32 v2, v49
.LBB201_238:                            ;   in Loop: Header=BB201_13 Depth=1
	s_or_b64 exec, exec, s[44:45]
.LBB201_239:                            ;   in Loop: Header=BB201_13 Depth=1
	s_or_b64 exec, exec, s[42:43]
.LBB201_240:                            ;   in Loop: Header=BB201_13 Depth=1
	s_or_b64 exec, exec, s[40:41]
	v_cmp_ne_u16_sdwa s[4:5], v5, v49 src0_sel:BYTE_1 src1_sel:DWORD
	s_and_saveexec_b64 s[40:41], s[4:5]
	s_cbranch_execz .LBB201_246
; %bb.241:                              ;   in Loop: Header=BB201_13 Depth=1
	v_cmp_ne_u16_sdwa s[4:5], v5, s52 src0_sel:BYTE_1 src1_sel:DWORD
	buffer_store_dword v49, off, s[56:59], 0 offset:180 ; 4-byte Folded Spill
	s_nop 0
	buffer_store_dword v50, off, s[56:59], 0 offset:184 ; 4-byte Folded Spill
	s_and_saveexec_b64 s[42:43], s[4:5]
	s_cbranch_execz .LBB201_245
; %bb.242:                              ;   in Loop: Header=BB201_13 Depth=1
	v_and_b32_sdwa v6, v5, s53 dst_sel:DWORD dst_unused:UNUSED_PAD src0_sel:BYTE_1 src1_sel:DWORD
	v_cmp_ne_u32_e64 s[4:5], s53, v6
	v_mov_b32_e32 v19, v49
	buffer_store_dword v19, off, s[56:59], 0 offset:180 ; 4-byte Folded Spill
	s_nop 0
	buffer_store_dword v20, off, s[56:59], 0 offset:184 ; 4-byte Folded Spill
	s_and_saveexec_b64 s[44:45], s[4:5]
	s_cbranch_execz .LBB201_244
; %bb.243:                              ;   in Loop: Header=BB201_13 Depth=1
	v_mov_b32_e32 v3, 7
	v_and_b32_sdwa v3, v5, v3 dst_sel:DWORD dst_unused:UNUSED_PAD src0_sel:BYTE_1 src1_sel:DWORD
	v_lshrrev_b32_e32 v8, 3, v6
	v_cmp_gt_u32_e64 s[4:5], 8, v6
	v_ffbh_u32_e32 v6, v3
	v_min_u32_e32 v9, 32, v6
	v_mov_b32_e32 v4, v49
	v_subrev_u32_e32 v6, 28, v9
	v_lshlrev_b64 v[6:7], v6, v[3:4]
	v_sub_u32_e32 v4, 29, v9
	v_and_b32_e32 v6, 7, v6
	v_cndmask_b32_e64 v4, v8, v4, s[4:5]
	v_cndmask_b32_e64 v3, v3, v6, s[4:5]
	v_bfrev_b32_e32 v6, 60
	v_lshlrev_b32_e32 v5, 16, v5
	v_lshl_add_u32 v4, v4, 23, v6
	v_and_or_b32 v4, v5, s54, v4
	v_lshlrev_b32_e32 v3, 20, v3
	v_or_b32_e32 v4, v4, v3
	v_mov_b32_e32 v3, v49
	buffer_store_dword v3, off, s[56:59], 0 offset:180 ; 4-byte Folded Spill
	s_nop 0
	buffer_store_dword v4, off, s[56:59], 0 offset:184 ; 4-byte Folded Spill
.LBB201_244:                            ;   in Loop: Header=BB201_13 Depth=1
	s_or_b64 exec, exec, s[44:45]
.LBB201_245:                            ;   in Loop: Header=BB201_13 Depth=1
	s_or_b64 exec, exec, s[42:43]
.LBB201_246:                            ;   in Loop: Header=BB201_13 Depth=1
	s_or_b64 exec, exec, s[40:41]
	global_load_ushort v5, v[57:58], off offset:2060
	v_mov_b32_e32 v55, 0
	v_mov_b32_e32 v56, 0
	s_waitcnt vmcnt(0)
	v_and_b32_e32 v7, 0xffff, v5
	v_cmp_ne_u16_sdwa s[4:5], v5, v49 src0_sel:BYTE_0 src1_sel:DWORD
	v_mov_b32_e32 v5, 0
	v_mov_b32_e32 v6, 0
	s_and_saveexec_b64 s[40:41], s[4:5]
	s_cbranch_execz .LBB201_252
; %bb.247:                              ;   in Loop: Header=BB201_13 Depth=1
	v_bfrev_b32_e32 v5, 1
	v_mov_b32_e32 v6, 0
	v_cmp_ne_u16_sdwa s[4:5], v7, s52 src0_sel:BYTE_0 src1_sel:DWORD
	s_and_saveexec_b64 s[42:43], s[4:5]
	s_cbranch_execz .LBB201_251
; %bb.248:                              ;   in Loop: Header=BB201_13 Depth=1
	v_and_b32_e32 v8, 0x7f, v7
	v_mov_b32_e32 v5, 0x7f800001
	v_mov_b32_e32 v6, 0
	v_cmp_ne_u32_e64 s[4:5], s53, v8
	s_and_saveexec_b64 s[44:45], s[4:5]
	s_cbranch_execz .LBB201_250
; %bb.249:                              ;   in Loop: Header=BB201_13 Depth=1
	v_and_b32_e32 v9, 7, v7
	v_ffbh_u32_e32 v5, v9
	v_lshrrev_b32_e32 v10, 3, v8
	v_cmp_gt_u32_e64 s[4:5], 8, v8
	v_min_u32_e32 v8, 32, v5
	v_subrev_u32_e32 v5, 28, v8
	v_lshlrev_b64 v[5:6], v5, v[7:8]
	v_sub_u32_e32 v6, 29, v8
	v_and_b32_e32 v5, 7, v5
	v_cndmask_b32_e64 v6, v10, v6, s[4:5]
	v_cndmask_b32_e64 v5, v9, v5, s[4:5]
	v_bfrev_b32_e32 v9, 60
	v_lshlrev_b32_e32 v5, 20, v5
	v_and_b32_sdwa v8, sext(v7), s54 dst_sel:DWORD dst_unused:UNUSED_PAD src0_sel:BYTE_0 src1_sel:DWORD
	v_lshl_add_u32 v6, v6, 23, v9
	v_or3_b32 v5, v8, v6, v5
	v_mov_b32_e32 v6, v49
.LBB201_250:                            ;   in Loop: Header=BB201_13 Depth=1
	s_or_b64 exec, exec, s[44:45]
.LBB201_251:                            ;   in Loop: Header=BB201_13 Depth=1
	s_or_b64 exec, exec, s[42:43]
.LBB201_252:                            ;   in Loop: Header=BB201_13 Depth=1
	s_or_b64 exec, exec, s[40:41]
	v_cmp_ne_u16_sdwa s[4:5], v7, v49 src0_sel:BYTE_1 src1_sel:DWORD
	s_and_saveexec_b64 s[40:41], s[4:5]
	s_cbranch_execz .LBB201_258
; %bb.253:                              ;   in Loop: Header=BB201_13 Depth=1
	v_mov_b32_e32 v56, v50
	v_cmp_ne_u16_sdwa s[4:5], v7, s52 src0_sel:BYTE_1 src1_sel:DWORD
	v_mov_b32_e32 v55, v49
	s_and_saveexec_b64 s[42:43], s[4:5]
	s_cbranch_execz .LBB201_257
; %bb.254:                              ;   in Loop: Header=BB201_13 Depth=1
	v_and_b32_sdwa v8, v7, s53 dst_sel:DWORD dst_unused:UNUSED_PAD src0_sel:BYTE_1 src1_sel:DWORD
	v_mov_b32_e32 v19, v49
	v_mov_b32_e32 v56, v20
	v_cmp_ne_u32_e64 s[4:5], s53, v8
	v_mov_b32_e32 v55, v19
	s_and_saveexec_b64 s[44:45], s[4:5]
	s_cbranch_execz .LBB201_256
; %bb.255:                              ;   in Loop: Header=BB201_13 Depth=1
	v_mov_b32_e32 v9, 7
	v_and_b32_sdwa v9, v7, v9 dst_sel:DWORD dst_unused:UNUSED_PAD src0_sel:BYTE_1 src1_sel:DWORD
	v_lshrrev_b32_e32 v12, 3, v8
	v_cmp_gt_u32_e64 s[4:5], 8, v8
	v_ffbh_u32_e32 v8, v9
	v_min_u32_e32 v8, 32, v8
	v_mov_b32_e32 v10, v49
	v_subrev_u32_e32 v11, 28, v8
	v_lshlrev_b64 v[10:11], v11, v[9:10]
	v_sub_u32_e32 v8, 29, v8
	v_and_b32_e32 v10, 7, v10
	v_cndmask_b32_e64 v8, v12, v8, s[4:5]
	v_cndmask_b32_e64 v9, v9, v10, s[4:5]
	v_bfrev_b32_e32 v10, 60
	v_lshlrev_b32_e32 v7, 16, v7
	v_lshl_add_u32 v8, v8, 23, v10
	v_and_or_b32 v7, v7, s54, v8
	v_lshlrev_b32_e32 v8, 20, v9
	v_or_b32_e32 v56, v7, v8
	v_mov_b32_e32 v55, v49
.LBB201_256:                            ;   in Loop: Header=BB201_13 Depth=1
	s_or_b64 exec, exec, s[44:45]
.LBB201_257:                            ;   in Loop: Header=BB201_13 Depth=1
	s_or_b64 exec, exec, s[42:43]
.LBB201_258:                            ;   in Loop: Header=BB201_13 Depth=1
	s_or_b64 exec, exec, s[40:41]
	global_load_ushort v7, v[57:58], off offset:2560
	v_mov_b32_e32 v9, 0
	v_mov_b32_e32 v10, 0
	s_waitcnt vmcnt(0)
	v_and_b32_e32 v11, 0xffff, v7
	v_cmp_ne_u16_sdwa s[4:5], v7, v49 src0_sel:BYTE_0 src1_sel:DWORD
	v_mov_b32_e32 v7, 0
	v_mov_b32_e32 v8, 0
	s_and_saveexec_b64 s[40:41], s[4:5]
	s_cbranch_execz .LBB201_264
; %bb.259:                              ;   in Loop: Header=BB201_13 Depth=1
	v_bfrev_b32_e32 v7, 1
	v_mov_b32_e32 v8, 0
	v_cmp_ne_u16_sdwa s[4:5], v11, s52 src0_sel:BYTE_0 src1_sel:DWORD
	s_and_saveexec_b64 s[42:43], s[4:5]
	s_cbranch_execz .LBB201_263
; %bb.260:                              ;   in Loop: Header=BB201_13 Depth=1
	v_and_b32_e32 v12, 0x7f, v11
	v_mov_b32_e32 v7, 0x7f800001
	v_mov_b32_e32 v8, 0
	v_cmp_ne_u32_e64 s[4:5], s53, v12
	s_and_saveexec_b64 s[44:45], s[4:5]
	s_cbranch_execz .LBB201_262
; %bb.261:                              ;   in Loop: Header=BB201_13 Depth=1
	v_and_b32_e32 v13, 7, v11
	v_ffbh_u32_e32 v7, v13
	v_lshrrev_b32_e32 v14, 3, v12
	v_cmp_gt_u32_e64 s[4:5], 8, v12
	v_min_u32_e32 v12, 32, v7
	v_subrev_u32_e32 v7, 28, v12
	v_lshlrev_b64 v[7:8], v7, v[11:12]
	v_sub_u32_e32 v8, 29, v12
	v_and_b32_e32 v7, 7, v7
	v_cndmask_b32_e64 v8, v14, v8, s[4:5]
	v_cndmask_b32_e64 v7, v13, v7, s[4:5]
	v_bfrev_b32_e32 v13, 60
	v_lshlrev_b32_e32 v7, 20, v7
	v_and_b32_sdwa v12, sext(v11), s54 dst_sel:DWORD dst_unused:UNUSED_PAD src0_sel:BYTE_0 src1_sel:DWORD
	v_lshl_add_u32 v8, v8, 23, v13
	v_or3_b32 v7, v12, v8, v7
	v_mov_b32_e32 v8, v49
.LBB201_262:                            ;   in Loop: Header=BB201_13 Depth=1
	s_or_b64 exec, exec, s[44:45]
.LBB201_263:                            ;   in Loop: Header=BB201_13 Depth=1
	s_or_b64 exec, exec, s[42:43]
.LBB201_264:                            ;   in Loop: Header=BB201_13 Depth=1
	s_or_b64 exec, exec, s[40:41]
	v_cmp_ne_u16_sdwa s[4:5], v11, v49 src0_sel:BYTE_1 src1_sel:DWORD
	s_and_saveexec_b64 s[40:41], s[4:5]
	s_cbranch_execz .LBB201_270
; %bb.265:                              ;   in Loop: Header=BB201_13 Depth=1
	v_mov_b32_e32 v9, v49
	v_cmp_ne_u16_sdwa s[4:5], v11, s52 src0_sel:BYTE_1 src1_sel:DWORD
	v_mov_b32_e32 v10, v50
	s_and_saveexec_b64 s[42:43], s[4:5]
	s_cbranch_execz .LBB201_269
; %bb.266:                              ;   in Loop: Header=BB201_13 Depth=1
	v_mov_b32_e32 v19, v49
	v_and_b32_sdwa v12, v11, s53 dst_sel:DWORD dst_unused:UNUSED_PAD src0_sel:BYTE_1 src1_sel:DWORD
	v_mov_b32_e32 v9, v19
	v_cmp_ne_u32_e64 s[4:5], s53, v12
	v_mov_b32_e32 v10, v20
	s_and_saveexec_b64 s[44:45], s[4:5]
	s_cbranch_execz .LBB201_268
; %bb.267:                              ;   in Loop: Header=BB201_13 Depth=1
	v_mov_b32_e32 v9, 7
	v_and_b32_sdwa v9, v11, v9 dst_sel:DWORD dst_unused:UNUSED_PAD src0_sel:BYTE_1 src1_sel:DWORD
	v_lshrrev_b32_e32 v14, 3, v12
	v_cmp_gt_u32_e64 s[4:5], 8, v12
	v_ffbh_u32_e32 v12, v9
	v_min_u32_e32 v15, 32, v12
	v_mov_b32_e32 v10, v49
	v_subrev_u32_e32 v12, 28, v15
	v_lshlrev_b64 v[12:13], v12, v[9:10]
	v_sub_u32_e32 v10, 29, v15
	v_and_b32_e32 v12, 7, v12
	v_cndmask_b32_e64 v10, v14, v10, s[4:5]
	v_cndmask_b32_e64 v9, v9, v12, s[4:5]
	v_bfrev_b32_e32 v12, 60
	v_lshlrev_b32_e32 v11, 16, v11
	v_lshl_add_u32 v10, v10, 23, v12
	v_and_or_b32 v10, v11, s54, v10
	v_lshlrev_b32_e32 v9, 20, v9
	v_or_b32_e32 v10, v10, v9
	v_mov_b32_e32 v9, v49
.LBB201_268:                            ;   in Loop: Header=BB201_13 Depth=1
	s_or_b64 exec, exec, s[44:45]
.LBB201_269:                            ;   in Loop: Header=BB201_13 Depth=1
	s_or_b64 exec, exec, s[42:43]
.LBB201_270:                            ;   in Loop: Header=BB201_13 Depth=1
	s_or_b64 exec, exec, s[40:41]
	global_load_ushort v11, v[57:58], off offset:2564
	v_mov_b32_e32 v13, 0
	v_mov_b32_e32 v14, 0
	s_waitcnt vmcnt(0)
	v_and_b32_e32 v15, 0xffff, v11
	v_cmp_ne_u16_sdwa s[4:5], v11, v49 src0_sel:BYTE_0 src1_sel:DWORD
	v_mov_b32_e32 v11, 0
	v_mov_b32_e32 v12, 0
	s_and_saveexec_b64 s[40:41], s[4:5]
	s_cbranch_execz .LBB201_276
; %bb.271:                              ;   in Loop: Header=BB201_13 Depth=1
	v_bfrev_b32_e32 v11, 1
	v_mov_b32_e32 v12, 0
	v_cmp_ne_u16_sdwa s[4:5], v15, s52 src0_sel:BYTE_0 src1_sel:DWORD
	s_and_saveexec_b64 s[42:43], s[4:5]
	s_cbranch_execz .LBB201_275
; %bb.272:                              ;   in Loop: Header=BB201_13 Depth=1
	v_and_b32_e32 v16, 0x7f, v15
	v_mov_b32_e32 v11, 0x7f800001
	v_mov_b32_e32 v12, 0
	v_cmp_ne_u32_e64 s[4:5], s53, v16
	s_and_saveexec_b64 s[44:45], s[4:5]
	s_cbranch_execz .LBB201_274
; %bb.273:                              ;   in Loop: Header=BB201_13 Depth=1
	v_and_b32_e32 v17, 7, v15
	v_ffbh_u32_e32 v11, v17
	v_lshrrev_b32_e32 v18, 3, v16
	v_cmp_gt_u32_e64 s[4:5], 8, v16
	v_min_u32_e32 v16, 32, v11
	v_subrev_u32_e32 v11, 28, v16
	v_lshlrev_b64 v[11:12], v11, v[15:16]
	v_sub_u32_e32 v12, 29, v16
	v_and_b32_e32 v11, 7, v11
	v_cndmask_b32_e64 v12, v18, v12, s[4:5]
	v_cndmask_b32_e64 v11, v17, v11, s[4:5]
	v_bfrev_b32_e32 v17, 60
	v_lshlrev_b32_e32 v11, 20, v11
	v_and_b32_sdwa v16, sext(v15), s54 dst_sel:DWORD dst_unused:UNUSED_PAD src0_sel:BYTE_0 src1_sel:DWORD
	v_lshl_add_u32 v12, v12, 23, v17
	v_or3_b32 v11, v16, v12, v11
	v_mov_b32_e32 v12, v49
.LBB201_274:                            ;   in Loop: Header=BB201_13 Depth=1
	s_or_b64 exec, exec, s[44:45]
.LBB201_275:                            ;   in Loop: Header=BB201_13 Depth=1
	s_or_b64 exec, exec, s[42:43]
.LBB201_276:                            ;   in Loop: Header=BB201_13 Depth=1
	s_or_b64 exec, exec, s[40:41]
	v_cmp_ne_u16_sdwa s[4:5], v15, v49 src0_sel:BYTE_1 src1_sel:DWORD
	s_and_saveexec_b64 s[40:41], s[4:5]
	s_cbranch_execz .LBB201_282
; %bb.277:                              ;   in Loop: Header=BB201_13 Depth=1
	v_mov_b32_e32 v13, v49
	v_cmp_ne_u16_sdwa s[4:5], v15, s52 src0_sel:BYTE_1 src1_sel:DWORD
	v_mov_b32_e32 v14, v50
	s_and_saveexec_b64 s[42:43], s[4:5]
	s_cbranch_execz .LBB201_281
; %bb.278:                              ;   in Loop: Header=BB201_13 Depth=1
	v_mov_b32_e32 v19, v49
	v_and_b32_sdwa v16, v15, s53 dst_sel:DWORD dst_unused:UNUSED_PAD src0_sel:BYTE_1 src1_sel:DWORD
	v_mov_b32_e32 v13, v19
	v_cmp_ne_u32_e64 s[4:5], s53, v16
	v_mov_b32_e32 v14, v20
	s_and_saveexec_b64 s[44:45], s[4:5]
	s_cbranch_execz .LBB201_280
; %bb.279:                              ;   in Loop: Header=BB201_13 Depth=1
	v_mov_b32_e32 v13, 7
	v_and_b32_sdwa v13, v15, v13 dst_sel:DWORD dst_unused:UNUSED_PAD src0_sel:BYTE_1 src1_sel:DWORD
	v_lshrrev_b32_e32 v18, 3, v16
	v_cmp_gt_u32_e64 s[4:5], 8, v16
	v_ffbh_u32_e32 v16, v13
	v_min_u32_e32 v19, 32, v16
	v_mov_b32_e32 v14, v49
	v_subrev_u32_e32 v16, 28, v19
	v_lshlrev_b64 v[16:17], v16, v[13:14]
	v_sub_u32_e32 v14, 29, v19
	v_and_b32_e32 v16, 7, v16
	v_cndmask_b32_e64 v14, v18, v14, s[4:5]
	v_cndmask_b32_e64 v13, v13, v16, s[4:5]
	v_bfrev_b32_e32 v16, 60
	v_lshlrev_b32_e32 v15, 16, v15
	v_lshl_add_u32 v14, v14, 23, v16
	v_and_or_b32 v14, v15, s54, v14
	v_lshlrev_b32_e32 v13, 20, v13
	v_or_b32_e32 v14, v14, v13
	v_mov_b32_e32 v13, v49
.LBB201_280:                            ;   in Loop: Header=BB201_13 Depth=1
	s_or_b64 exec, exec, s[44:45]
.LBB201_281:                            ;   in Loop: Header=BB201_13 Depth=1
	s_or_b64 exec, exec, s[42:43]
.LBB201_282:                            ;   in Loop: Header=BB201_13 Depth=1
	s_or_b64 exec, exec, s[40:41]
	global_load_ushort v15, v[57:58], off offset:2568
	v_mov_b32_e32 v17, 0
	v_mov_b32_e32 v18, 0
	s_waitcnt vmcnt(0)
	v_and_b32_e32 v21, 0xffff, v15
	v_cmp_ne_u16_sdwa s[4:5], v15, v49 src0_sel:BYTE_0 src1_sel:DWORD
	v_mov_b32_e32 v15, 0
	v_mov_b32_e32 v16, 0
	s_and_saveexec_b64 s[40:41], s[4:5]
	s_cbranch_execz .LBB201_288
; %bb.283:                              ;   in Loop: Header=BB201_13 Depth=1
	v_bfrev_b32_e32 v15, 1
	v_mov_b32_e32 v16, 0
	v_cmp_ne_u16_sdwa s[4:5], v21, s52 src0_sel:BYTE_0 src1_sel:DWORD
	s_and_saveexec_b64 s[42:43], s[4:5]
	s_cbranch_execz .LBB201_287
; %bb.284:                              ;   in Loop: Header=BB201_13 Depth=1
	v_and_b32_e32 v19, 0x7f, v21
	v_mov_b32_e32 v15, 0x7f800001
	v_mov_b32_e32 v16, 0
	v_cmp_ne_u32_e64 s[4:5], s53, v19
	s_and_saveexec_b64 s[44:45], s[4:5]
	s_cbranch_execz .LBB201_286
; %bb.285:                              ;   in Loop: Header=BB201_13 Depth=1
	v_and_b32_e32 v22, 7, v21
	v_ffbh_u32_e32 v15, v22
	v_lshrrev_b32_e32 v23, 3, v19
	v_cmp_gt_u32_e64 s[4:5], 8, v19
	v_min_u32_e32 v19, 32, v15
	v_subrev_u32_e32 v15, 28, v19
	v_lshlrev_b64 v[15:16], v15, v[21:22]
	v_sub_u32_e32 v16, 29, v19
	v_and_b32_e32 v15, 7, v15
	v_cndmask_b32_e64 v16, v23, v16, s[4:5]
	v_cndmask_b32_e64 v15, v22, v15, s[4:5]
	v_bfrev_b32_e32 v22, 60
	v_lshlrev_b32_e32 v15, 20, v15
	v_and_b32_sdwa v19, sext(v21), s54 dst_sel:DWORD dst_unused:UNUSED_PAD src0_sel:BYTE_0 src1_sel:DWORD
	v_lshl_add_u32 v16, v16, 23, v22
	v_or3_b32 v15, v19, v16, v15
	v_mov_b32_e32 v16, v49
.LBB201_286:                            ;   in Loop: Header=BB201_13 Depth=1
	s_or_b64 exec, exec, s[44:45]
.LBB201_287:                            ;   in Loop: Header=BB201_13 Depth=1
	s_or_b64 exec, exec, s[42:43]
.LBB201_288:                            ;   in Loop: Header=BB201_13 Depth=1
	s_or_b64 exec, exec, s[40:41]
	v_cmp_ne_u16_sdwa s[4:5], v21, v49 src0_sel:BYTE_1 src1_sel:DWORD
	s_and_saveexec_b64 s[40:41], s[4:5]
	s_cbranch_execz .LBB201_294
; %bb.289:                              ;   in Loop: Header=BB201_13 Depth=1
	v_mov_b32_e32 v17, v49
	v_cmp_ne_u16_sdwa s[4:5], v21, s52 src0_sel:BYTE_1 src1_sel:DWORD
	v_mov_b32_e32 v18, v50
	s_and_saveexec_b64 s[42:43], s[4:5]
	s_cbranch_execz .LBB201_293
; %bb.290:                              ;   in Loop: Header=BB201_13 Depth=1
	v_mov_b32_e32 v19, v49
	v_and_b32_sdwa v22, v21, s53 dst_sel:DWORD dst_unused:UNUSED_PAD src0_sel:BYTE_1 src1_sel:DWORD
	v_mov_b32_e32 v17, v19
	v_cmp_ne_u32_e64 s[4:5], s53, v22
	v_mov_b32_e32 v18, v20
	s_and_saveexec_b64 s[44:45], s[4:5]
	s_cbranch_execz .LBB201_292
; %bb.291:                              ;   in Loop: Header=BB201_13 Depth=1
	v_mov_b32_e32 v17, 7
	v_and_b32_sdwa v17, v21, v17 dst_sel:DWORD dst_unused:UNUSED_PAD src0_sel:BYTE_1 src1_sel:DWORD
	v_ffbh_u32_e32 v19, v17
	v_lshrrev_b32_e32 v23, 3, v22
	v_cmp_gt_u32_e64 s[4:5], 8, v22
	v_min_u32_e32 v22, 32, v19
	v_mov_b32_e32 v18, v49
	v_subrev_u32_e32 v19, 28, v22
	v_lshlrev_b64 v[18:19], v19, v[17:18]
	v_sub_u32_e32 v19, 29, v22
	v_and_b32_e32 v18, 7, v18
	v_cndmask_b32_e64 v19, v23, v19, s[4:5]
	v_cndmask_b32_e64 v17, v17, v18, s[4:5]
	v_lshlrev_b32_e32 v18, 16, v21
	v_bfrev_b32_e32 v21, 60
	v_lshl_add_u32 v19, v19, 23, v21
	v_and_or_b32 v18, v18, s54, v19
	v_lshlrev_b32_e32 v17, 20, v17
	v_or_b32_e32 v18, v18, v17
	v_mov_b32_e32 v17, v49
.LBB201_292:                            ;   in Loop: Header=BB201_13 Depth=1
	s_or_b64 exec, exec, s[44:45]
.LBB201_293:                            ;   in Loop: Header=BB201_13 Depth=1
	s_or_b64 exec, exec, s[42:43]
.LBB201_294:                            ;   in Loop: Header=BB201_13 Depth=1
	s_or_b64 exec, exec, s[40:41]
	global_load_ushort v19, v[57:58], off offset:2572
	v_mov_b32_e32 v21, 0
	v_mov_b32_e32 v57, 0
	;; [unrolled: 1-line block ×4, first 2 shown]
	s_waitcnt vmcnt(0)
	v_and_b32_e32 v23, 0xffff, v19
	v_cmp_ne_u16_sdwa s[4:5], v19, v49 src0_sel:BYTE_0 src1_sel:DWORD
	s_and_saveexec_b64 s[40:41], s[4:5]
	s_cbranch_execz .LBB201_300
; %bb.295:                              ;   in Loop: Header=BB201_13 Depth=1
	v_bfrev_b32_e32 v57, 1
	v_mov_b32_e32 v58, 0
	v_cmp_ne_u16_sdwa s[4:5], v23, s52 src0_sel:BYTE_0 src1_sel:DWORD
	s_and_saveexec_b64 s[42:43], s[4:5]
	s_cbranch_execz .LBB201_299
; %bb.296:                              ;   in Loop: Header=BB201_13 Depth=1
	v_and_b32_e32 v19, 0x7f, v23
	v_mov_b32_e32 v57, 0x7f800001
	v_mov_b32_e32 v58, 0
	v_cmp_ne_u32_e64 s[4:5], s53, v19
	s_and_saveexec_b64 s[44:45], s[4:5]
	s_cbranch_execz .LBB201_298
; %bb.297:                              ;   in Loop: Header=BB201_13 Depth=1
	v_mov_b32_e32 v4, v2
	v_mov_b32_e32 v3, v1
	;; [unrolled: 1-line block ×21, first 2 shown]
	v_and_b32_e32 v57, 7, v23
	v_mov_b32_e32 v34, v32
	v_mov_b32_e32 v32, v59
	v_lshrrev_b32_e32 v58, 3, v19
	v_cmp_gt_u32_e64 s[4:5], 8, v19
	v_ffbh_u32_e32 v19, v57
	v_mov_b32_e32 v33, v60
	v_mov_b32_e32 v60, v31
	v_min_u32_e32 v19, 32, v19
	v_mov_b32_e32 v59, v30
	v_mov_b32_e32 v31, v29
	v_subrev_u32_e32 v25, 28, v19
	v_mov_b32_e32 v30, v28
	v_mov_b32_e32 v29, v27
	;; [unrolled: 1-line block ×3, first 2 shown]
	v_lshlrev_b64 v[25:26], v25, v[23:24]
	v_sub_u32_e32 v19, 29, v19
	v_and_b32_e32 v25, 7, v25
	v_cndmask_b32_e64 v19, v58, v19, s[4:5]
	v_cndmask_b32_e64 v25, v57, v25, s[4:5]
	v_bfrev_b32_e32 v27, 60
	v_lshlrev_b32_e32 v25, 20, v25
	v_and_b32_sdwa v26, sext(v23), s54 dst_sel:DWORD dst_unused:UNUSED_PAD src0_sel:BYTE_0 src1_sel:DWORD
	v_lshl_add_u32 v19, v19, 23, v27
	v_or3_b32 v57, v26, v19, v25
	v_mov_b32_e32 v26, v28
	v_mov_b32_e32 v27, v29
	;; [unrolled: 1-line block ×31, first 2 shown]
.LBB201_298:                            ;   in Loop: Header=BB201_13 Depth=1
	s_or_b64 exec, exec, s[44:45]
.LBB201_299:                            ;   in Loop: Header=BB201_13 Depth=1
	s_or_b64 exec, exec, s[42:43]
.LBB201_300:                            ;   in Loop: Header=BB201_13 Depth=1
	s_or_b64 exec, exec, s[40:41]
	v_mov_b32_e32 v4, v2
	v_mov_b32_e32 v3, v1
	v_cmp_ne_u16_sdwa s[4:5], v23, v49 src0_sel:BYTE_1 src1_sel:DWORD
	s_and_saveexec_b64 s[40:41], s[4:5]
	s_cbranch_execz .LBB201_306
; %bb.301:                              ;   in Loop: Header=BB201_13 Depth=1
	v_mov_b32_e32 v21, v49
	v_cmp_ne_u16_sdwa s[4:5], v23, s52 src0_sel:BYTE_1 src1_sel:DWORD
	v_mov_b32_e32 v22, v50
	s_and_saveexec_b64 s[42:43], s[4:5]
	s_cbranch_execz .LBB201_305
; %bb.302:                              ;   in Loop: Header=BB201_13 Depth=1
	v_and_b32_sdwa v25, v23, s53 dst_sel:DWORD dst_unused:UNUSED_PAD src0_sel:BYTE_1 src1_sel:DWORD
	v_mov_b32_e32 v19, v49
	v_mov_b32_e32 v22, v20
	v_cmp_ne_u32_e64 s[4:5], s53, v25
	v_mov_b32_e32 v21, v19
	s_and_saveexec_b64 s[44:45], s[4:5]
	s_cbranch_execz .LBB201_304
; %bb.303:                              ;   in Loop: Header=BB201_13 Depth=1
	v_mov_b32_e32 v1, v46
	v_mov_b32_e32 v2, v47
	v_mov_b32_e32 v47, v45
	v_mov_b32_e32 v46, v44
	v_mov_b32_e32 v44, v51
	v_mov_b32_e32 v45, v52
	v_mov_b32_e32 v52, v43
	v_mov_b32_e32 v51, v42
	v_mov_b32_e32 v43, v41
	v_mov_b32_e32 v42, v40
	v_mov_b32_e32 v40, v61
	v_mov_b32_e32 v41, v62
	v_mov_b32_e32 v62, v39
	v_mov_b32_e32 v61, v38
	v_mov_b32_e32 v39, v37
	v_mov_b32_e32 v38, v36
	v_mov_b32_e32 v37, v35
	v_mov_b32_e32 v36, v34
	v_mov_b32_e32 v35, v33
	v_mov_b32_e32 v34, v32
	v_mov_b32_e32 v32, v59
	v_mov_b32_e32 v19, 7
	v_mov_b32_e32 v33, v60
	v_mov_b32_e32 v60, v31
	v_and_b32_sdwa v21, v23, v19 dst_sel:DWORD dst_unused:UNUSED_PAD src0_sel:BYTE_1 src1_sel:DWORD
	v_mov_b32_e32 v59, v30
	v_mov_b32_e32 v31, v29
	v_lshrrev_b32_e32 v19, 3, v25
	v_cmp_gt_u32_e64 s[4:5], 8, v25
	v_ffbh_u32_e32 v25, v21
	v_mov_b32_e32 v30, v28
	v_mov_b32_e32 v29, v27
	;; [unrolled: 1-line block ×3, first 2 shown]
	v_min_u32_e32 v27, 32, v25
	v_mov_b32_e32 v22, v49
	v_subrev_u32_e32 v25, 28, v27
	v_lshlrev_b64 v[25:26], v25, v[21:22]
	v_sub_u32_e32 v22, 29, v27
	v_mov_b32_e32 v26, v28
	v_mov_b32_e32 v27, v29
	;; [unrolled: 1-line block ×23, first 2 shown]
	v_and_b32_e32 v25, 7, v25
	v_cndmask_b32_e64 v19, v19, v22, s[4:5]
	v_lshlrev_b32_e32 v22, 16, v23
	v_bfrev_b32_e32 v23, 60
	v_mov_b32_e32 v51, v44
	v_mov_b32_e32 v44, v46
	v_cndmask_b32_e64 v21, v21, v25, s[4:5]
	v_lshl_add_u32 v19, v19, 23, v23
	v_mov_b32_e32 v45, v47
	v_mov_b32_e32 v47, v2
	v_and_or_b32 v19, v22, s54, v19
	v_lshlrev_b32_e32 v21, 20, v21
	v_mov_b32_e32 v46, v1
	v_or_b32_e32 v22, v19, v21
	v_mov_b32_e32 v21, v49
.LBB201_304:                            ;   in Loop: Header=BB201_13 Depth=1
	s_or_b64 exec, exec, s[44:45]
.LBB201_305:                            ;   in Loop: Header=BB201_13 Depth=1
	s_or_b64 exec, exec, s[42:43]
.LBB201_306:                            ;   in Loop: Header=BB201_13 Depth=1
	s_or_b64 exec, exec, s[40:41]
	v_or_b32_e32 v23, v60, v27
	v_or_b32_e32 v19, v59, v26
	;; [unrolled: 1-line block ×4, first 2 shown]
	buffer_load_dword v27, off, s[56:59], 0 offset:356 ; 4-byte Folded Reload
	buffer_load_dword v28, off, s[56:59], 0 offset:360 ; 4-byte Folded Reload
	;; [unrolled: 1-line block ×4, first 2 shown]
	v_mul_f32_e32 v23, s55, v23
	v_mul_f32_e32 v19, s55, v19
	;; [unrolled: 1-line block ×4, first 2 shown]
	v_or_b32_e32 v12, v14, v12
	v_or_b32_e32 v11, v13, v11
	;; [unrolled: 1-line block ×6, first 2 shown]
	v_mul_f32_e32 v5, s55, v8
	v_mul_f32_e32 v8, s55, v10
	v_or_b32_e32 v7, v9, v7
	v_or_b32_e32 v9, v56, v6
	v_mul_f32_e32 v6, s55, v7
	v_mul_f32_e32 v7, s55, v9
	v_or_b32_e32 v22, v22, v58
	v_or_b32_e32 v21, v21, v57
	v_mul_f32_e32 v22, s55, v22
	v_mul_f32_e32 v21, s55, v21
	s_waitcnt vmcnt(1)
	v_mul_f32_e32 v19, v29, v19
	s_waitcnt vmcnt(0)
	v_mul_f32_e32 v23, v30, v23
	v_fmac_f32_e32 v23, v28, v25
	v_or_b32_e32 v28, v34, v32
	buffer_load_dword v29, off, s[56:59], 0 offset:372 ; 4-byte Folded Reload
	buffer_load_dword v30, off, s[56:59], 0 offset:376 ; 4-byte Folded Reload
	buffer_load_dword v31, off, s[56:59], 0 offset:380 ; 4-byte Folded Reload
	buffer_load_dword v32, off, s[56:59], 0 offset:384 ; 4-byte Folded Reload
	v_fmac_f32_e32 v19, v27, v26
	v_or_b32_e32 v27, v35, v33
	v_or_b32_e32 v25, v39, v37
	;; [unrolled: 1-line block ×3, first 2 shown]
	v_mul_f32_e32 v28, s55, v28
	v_mul_f32_e32 v27, s55, v27
	;; [unrolled: 1-line block ×4, first 2 shown]
	s_waitcnt vmcnt(3)
	v_fmac_f32_e32 v19, v29, v28
	s_waitcnt vmcnt(2)
	v_fmac_f32_e32 v23, v30, v27
	;; [unrolled: 2-line block ×4, first 2 shown]
	buffer_load_dword v29, off, s[56:59], 0 offset:324 ; 4-byte Folded Reload
	buffer_load_dword v30, off, s[56:59], 0 offset:328 ; 4-byte Folded Reload
	;; [unrolled: 1-line block ×4, first 2 shown]
	v_or_b32_e32 v28, v40, v61
	v_or_b32_e32 v26, v51, v42
	;; [unrolled: 1-line block ×3, first 2 shown]
	v_mul_f32_e32 v28, s55, v28
	v_mul_f32_e32 v27, s55, v27
	;; [unrolled: 1-line block ×3, first 2 shown]
	v_or_b32_e32 v25, v52, v43
	v_mul_f32_e32 v25, s55, v25
	s_waitcnt vmcnt(3)
	v_fmac_f32_e32 v19, v29, v28
	s_waitcnt vmcnt(2)
	v_fmac_f32_e32 v23, v30, v27
	;; [unrolled: 2-line block ×3, first 2 shown]
	buffer_load_dword v1, off, s[56:59], 0 offset:4 ; 4-byte Folded Reload
	buffer_load_dword v2, off, s[56:59], 0 offset:8 ; 4-byte Folded Reload
	;; [unrolled: 1-line block ×4, first 2 shown]
	s_waitcnt vmcnt(4)
	v_fmac_f32_e32 v23, v32, v25
	buffer_load_dword v29, off, s[56:59], 0 offset:340 ; 4-byte Folded Reload
	buffer_load_dword v30, off, s[56:59], 0 offset:344 ; 4-byte Folded Reload
	;; [unrolled: 1-line block ×4, first 2 shown]
	v_or_b32_e32 v28, v46, v44
	v_mul_f32_e32 v28, s55, v28
	s_waitcnt vmcnt(3)
	v_fmac_f32_e32 v19, v29, v28
	v_or_b32_e32 v25, v27, v2
	v_or_b32_e32 v26, v26, v1
	;; [unrolled: 1-line block ×3, first 2 shown]
	v_mul_f32_e32 v27, s55, v27
	v_mul_f32_e32 v26, s55, v26
	s_waitcnt vmcnt(2)
	v_fmac_f32_e32 v23, v30, v27
	s_waitcnt vmcnt(1)
	v_fmac_f32_e32 v19, v31, v26
	buffer_load_dword v1, off, s[56:59], 0 offset:36 ; 4-byte Folded Reload
	buffer_load_dword v2, off, s[56:59], 0 offset:40 ; 4-byte Folded Reload
	buffer_load_dword v26, off, s[56:59], 0 offset:44 ; 4-byte Folded Reload
	buffer_load_dword v27, off, s[56:59], 0 offset:48 ; 4-byte Folded Reload
	v_mul_f32_e32 v25, s55, v25
	s_waitcnt vmcnt(4)
	v_fmac_f32_e32 v23, v32, v25
	s_waitcnt vmcnt(1)
	v_or_b32_e32 v26, v26, v1
	s_waitcnt vmcnt(0)
	v_or_b32_e32 v25, v27, v2
	buffer_load_dword v1, off, s[56:59], 0 offset:20 ; 4-byte Folded Reload
	buffer_load_dword v2, off, s[56:59], 0 offset:24 ; 4-byte Folded Reload
	;; [unrolled: 1-line block ×4, first 2 shown]
	v_mul_f32_e32 v26, s55, v26
	v_mul_f32_e32 v25, s55, v25
	s_waitcnt vmcnt(1)
	v_or_b32_e32 v28, v28, v1
	s_waitcnt vmcnt(0)
	v_or_b32_e32 v27, v29, v2
	buffer_load_dword v29, off, s[56:59], 0 offset:308 ; 4-byte Folded Reload
	buffer_load_dword v30, off, s[56:59], 0 offset:312 ; 4-byte Folded Reload
	;; [unrolled: 1-line block ×6, first 2 shown]
	v_mul_f32_e32 v28, s55, v28
	v_mul_f32_e32 v27, s55, v27
	s_waitcnt vmcnt(5)
	v_fmac_f32_e32 v19, v29, v28
	s_waitcnt vmcnt(4)
	v_fmac_f32_e32 v23, v30, v27
	;; [unrolled: 2-line block ×3, first 2 shown]
	s_waitcnt vmcnt(1)
	v_or_b32_e32 v14, v1, v3
	s_waitcnt vmcnt(0)
	v_or_b32_e32 v13, v2, v4
	buffer_load_dword v1, off, s[56:59], 0 offset:164 ; 4-byte Folded Reload
	buffer_load_dword v2, off, s[56:59], 0 offset:168 ; 4-byte Folded Reload
	;; [unrolled: 1-line block ×4, first 2 shown]
	v_fmac_f32_e32 v23, v32, v25
	v_mul_f32_e32 v10, s55, v14
	v_mul_f32_e32 v9, s55, v13
	s_waitcnt vmcnt(1)
	v_or_b32_e32 v18, v3, v1
	s_waitcnt vmcnt(0)
	v_or_b32_e32 v17, v4, v2
	buffer_load_dword v1, off, s[56:59], 0 offset:148 ; 4-byte Folded Reload
	buffer_load_dword v2, off, s[56:59], 0 offset:152 ; 4-byte Folded Reload
	;; [unrolled: 1-line block ×4, first 2 shown]
	s_waitcnt vmcnt(1)
	v_or_b32_e32 v26, v3, v1
	s_waitcnt vmcnt(0)
	v_or_b32_e32 v25, v4, v2
	buffer_load_dword v1, off, s[56:59], 0 offset:132 ; 4-byte Folded Reload
	buffer_load_dword v2, off, s[56:59], 0 offset:136 ; 4-byte Folded Reload
	;; [unrolled: 1-line block ×4, first 2 shown]
	v_mul_f32_e32 v14, s55, v26
	v_mul_f32_e32 v13, s55, v25
	s_waitcnt vmcnt(1)
	v_or_b32_e32 v28, v3, v1
	s_waitcnt vmcnt(0)
	v_or_b32_e32 v27, v4, v2
	buffer_load_dword v1, off, s[56:59], 0 offset:116 ; 4-byte Folded Reload
	buffer_load_dword v2, off, s[56:59], 0 offset:120 ; 4-byte Folded Reload
	buffer_load_dword v3, off, s[56:59], 0 offset:124 ; 4-byte Folded Reload
	buffer_load_dword v4, off, s[56:59], 0 offset:128 ; 4-byte Folded Reload
	s_waitcnt vmcnt(1)
	v_or_b32_e32 v35, v3, v1
	s_waitcnt vmcnt(0)
	v_or_b32_e32 v36, v4, v2
	buffer_load_dword v1, off, s[56:59], 0 offset:100 ; 4-byte Folded Reload
	buffer_load_dword v2, off, s[56:59], 0 offset:104 ; 4-byte Folded Reload
	buffer_load_dword v3, off, s[56:59], 0 offset:108 ; 4-byte Folded Reload
	buffer_load_dword v4, off, s[56:59], 0 offset:112 ; 4-byte Folded Reload
	;; [unrolled: 8-line block ×3, first 2 shown]
	v_mul_f32_e32 v26, s55, v31
	v_mul_f32_e32 v25, s55, v32
	s_waitcnt vmcnt(1)
	v_or_b32_e32 v29, v3, v1
	s_waitcnt vmcnt(0)
	v_or_b32_e32 v30, v4, v2
	buffer_load_dword v1, off, s[56:59], 0 offset:68 ; 4-byte Folded Reload
	buffer_load_dword v2, off, s[56:59], 0 offset:72 ; 4-byte Folded Reload
	;; [unrolled: 1-line block ×4, first 2 shown]
	s_waitcnt vmcnt(1)
	v_or_b32_e32 v34, v3, v1
	s_waitcnt vmcnt(0)
	v_or_b32_e32 v33, v4, v2
	buffer_load_dword v1, off, s[56:59], 0 offset:52 ; 4-byte Folded Reload
	buffer_load_dword v2, off, s[56:59], 0 offset:56 ; 4-byte Folded Reload
	;; [unrolled: 1-line block ×5, first 2 shown]
	s_waitcnt vmcnt(2)
	v_or_b32_e32 v38, v3, v1
	s_waitcnt vmcnt(1)
	v_or_b32_e32 v37, v4, v2
	v_mul_f32_e32 v2, s55, v15
	v_mul_f32_e32 v3, s55, v12
	;; [unrolled: 1-line block ×11, first 2 shown]
	buffer_load_dword v34, off, s[56:59], 0 offset:292 ; 4-byte Folded Reload
	buffer_load_dword v35, off, s[56:59], 0 offset:296 ; 4-byte Folded Reload
	;; [unrolled: 1-line block ×4, first 2 shown]
	s_waitcnt vmcnt(4)
	v_and_b32_e32 v1, 64, v40
	v_add_u32_e32 v1, 64, v1
	v_xor_b32_e32 v39, 1, v40
	v_mul_f32_e32 v32, s55, v38
	v_cmp_lt_i32_e64 s[4:5], v39, v1
	v_mul_f32_e32 v1, s55, v16
	v_mul_f32_e32 v16, s55, v28
	;; [unrolled: 1-line block ×4, first 2 shown]
	v_cndmask_b32_e64 v33, v40, v39, s[4:5]
	v_lshlrev_b32_e32 v33, 2, v33
	s_waitcnt vmcnt(3)
	v_fmac_f32_e32 v19, v34, v32
	s_waitcnt vmcnt(2)
	v_fmac_f32_e32 v23, v35, v31
	s_waitcnt vmcnt(1)
	v_fmac_f32_e32 v19, v36, v30
	s_waitcnt vmcnt(0)
	v_fmac_f32_e32 v23, v37, v29
	buffer_load_dword v29, off, s[56:59], 0 offset:276 ; 4-byte Folded Reload
	buffer_load_dword v30, off, s[56:59], 0 offset:280 ; 4-byte Folded Reload
	buffer_load_dword v31, off, s[56:59], 0 offset:284 ; 4-byte Folded Reload
	buffer_load_dword v32, off, s[56:59], 0 offset:288 ; 4-byte Folded Reload
	s_waitcnt vmcnt(3)
	v_fmac_f32_e32 v19, v29, v28
	s_waitcnt vmcnt(2)
	v_fmac_f32_e32 v23, v30, v27
	s_waitcnt vmcnt(1)
	v_fmac_f32_e32 v19, v31, v26
	s_waitcnt vmcnt(0)
	v_fmac_f32_e32 v23, v32, v25
	buffer_load_dword v25, off, s[56:59], 0 offset:244 ; 4-byte Folded Reload
	buffer_load_dword v26, off, s[56:59], 0 offset:248 ; 4-byte Folded Reload
	buffer_load_dword v27, off, s[56:59], 0 offset:252 ; 4-byte Folded Reload
	buffer_load_dword v28, off, s[56:59], 0 offset:256 ; 4-byte Folded Reload
	;; [unrolled: 12-line block ×6, first 2 shown]
	s_waitcnt vmcnt(3)
	v_fmac_f32_e32 v19, v3, v2
	s_waitcnt vmcnt(2)
	v_fmac_f32_e32 v23, v4, v1
	s_waitcnt vmcnt(1)
	v_fmac_f32_e32 v19, v5, v21
	s_waitcnt vmcnt(0)
	v_fmac_f32_e32 v23, v6, v22
	v_add_f32_e32 v1, v19, v23
	ds_bpermute_b32 v2, v33, v1
	s_and_saveexec_b64 s[40:41], vcc
	s_cbranch_execz .LBB201_11
; %bb.307:                              ;   in Loop: Header=BB201_13 Depth=1
	buffer_load_dword v3, off, s[56:59], 0 offset:412 ; 4-byte Folded Reload
	buffer_load_dword v4, off, s[56:59], 0 offset:408 ; 4-byte Folded Reload
	s_waitcnt lgkmcnt(0)
	v_add_f32_e32 v1, v1, v2
	s_waitcnt vmcnt(1)
	v_add_u32_e32 v3, v3, v0
	v_cvt_f32_i32_e32 v3, v3
	v_mul_f32_e32 v2, s48, v3
	buffer_load_dword v3, off, s[56:59], 0 offset:392 ; 4-byte Folded Reload
	s_waitcnt vmcnt(1)
	v_add_u32_e32 v4, v4, v0
	v_cndmask_b32_e64 v2, 0, v2, s[2:3]
	v_fmac_f32_e32 v2, s37, v1
	v_cmp_gt_i32_e64 s[4:5], s33, v4
	v_cndmask_b32_e64 v1, 0, v2, s[4:5]
	ds_write_b32 v63, v1
	s_waitcnt vmcnt(0)
	v_max_f32_e32 v1, v3, v3
	v_max_f32_e32 v1, v1, v2
	v_cndmask_b32_e64 v3, v3, v1, s[4:5]
	buffer_store_dword v3, off, s[56:59], 0 offset:392 ; 4-byte Folded Spill
	s_branch .LBB201_11
.LBB201_308:
	s_or_b64 exec, exec, s[38:39]
	buffer_load_dword v11, off, s[56:59], 0 offset:416 ; 4-byte Folded Reload
	buffer_load_dword v12, off, s[56:59], 0 offset:420 ; 4-byte Folded Reload
	;; [unrolled: 1-line block ×4, first 2 shown]
	v_mbcnt_lo_u32_b32 v5, -1, 0
.LBB201_309:
	s_or_b64 exec, exec, s[18:19]
	v_mbcnt_hi_u32_b32 v0, -1, v5
	v_and_b32_e32 v6, 64, v0
	v_add_u32_e32 v7, 64, v6
	v_xor_b32_e32 v1, 32, v0
	v_cmp_lt_i32_e32 vcc, v1, v7
	v_cndmask_b32_e32 v1, v0, v1, vcc
	v_lshlrev_b32_e32 v1, 2, v1
	s_waitcnt vmcnt(1) lgkmcnt(0)
	ds_bpermute_b32 v2, v1, v3
	v_xor_b32_e32 v4, 16, v0
	v_max_f32_e32 v3, v3, v3
	v_cmp_lt_i32_e32 vcc, v4, v7
	v_xor_b32_e32 v5, 8, v0
	s_waitcnt lgkmcnt(0)
	v_max_f32_e32 v2, v2, v2
	v_max_f32_e32 v3, v3, v2
	v_cndmask_b32_e32 v2, v0, v4, vcc
	v_lshlrev_b32_e32 v2, 2, v2
	ds_bpermute_b32 v4, v2, v3
	v_cmp_lt_i32_e32 vcc, v5, v7
	v_xor_b32_e32 v8, 4, v0
	s_waitcnt lgkmcnt(0)
	v_max_f32_e32 v4, v4, v4
	v_max_f32_e32 v4, v3, v4
	v_cndmask_b32_e32 v3, v0, v5, vcc
	v_lshlrev_b32_e32 v3, 2, v3
	ds_bpermute_b32 v5, v3, v4
	v_cmp_lt_i32_e32 vcc, v8, v7
	s_waitcnt lgkmcnt(0)
	v_max_f32_e32 v5, v5, v5
	v_max_f32_e32 v4, v4, v5
	v_cndmask_b32_e32 v5, v0, v8, vcc
	v_lshlrev_b32_e32 v13, 2, v5
	ds_bpermute_b32 v5, v13, v4
	v_xor_b32_e32 v8, 2, v0
	v_cmp_lt_i32_e32 vcc, v8, v7
	s_waitcnt lgkmcnt(0)
	v_max_f32_e32 v5, v5, v5
	v_max_f32_e32 v5, v4, v5
	v_cndmask_b32_e32 v4, v0, v8, vcc
	v_lshlrev_b32_e32 v16, 2, v4
	buffer_load_dword v4, off, s[56:59], 0 offset:388 ; 4-byte Folded Reload
	ds_bpermute_b32 v8, v16, v5
	s_waitcnt vmcnt(0)
	v_and_b32_e32 v18, 63, v4
	buffer_load_dword v4, off, s[56:59], 0  ; 4-byte Folded Reload
	v_cmp_eq_u32_e32 vcc, 0, v18
	s_waitcnt vmcnt(0)
	v_lshlrev_b32_e32 v4, 2, v4
	s_and_saveexec_b64 s[2:3], vcc
	s_cbranch_execz .LBB201_311
; %bb.310:
	s_waitcnt lgkmcnt(0)
	v_max_f32_e32 v8, v8, v8
	v_max_f32_e32 v5, v5, v5
	;; [unrolled: 1-line block ×3, first 2 shown]
	ds_write_b32 v4, v5 offset:384
.LBB201_311:
	s_or_b64 exec, exec, s[2:3]
	v_cmp_gt_u32_e64 s[2:3], 2, v18
	s_waitcnt lgkmcnt(0)
	v_mov_b32_e32 v8, 0xff7fffff
	v_lshlrev_b32_e32 v5, 2, v18
	s_barrier
	s_and_saveexec_b64 s[4:5], s[2:3]
; %bb.312:
	ds_read_b32 v8, v5 offset:384
; %bb.313:
	s_or_b64 exec, exec, s[4:5]
	v_xor_b32_e32 v9, 1, v0
	v_cmp_lt_i32_e64 s[4:5], v9, v7
	v_cndmask_b32_e64 v7, v0, v9, s[4:5]
	v_lshlrev_b32_e32 v19, 2, v7
	s_waitcnt lgkmcnt(0)
	ds_bpermute_b32 v7, v19, v8
	v_max_f32_e32 v8, v8, v8
	v_lshlrev_b32_e32 v6, 2, v6
	s_lshl_b32 s4, s20, 5
	s_min_i32 s37, s4, s33
	s_waitcnt lgkmcnt(0)
	v_max_f32_e32 v7, v7, v7
	v_max_f32_e32 v7, v8, v7
	ds_bpermute_b32 v7, v6, v7
	buffer_load_dword v6, off, s[56:59], 0 offset:388 ; 4-byte Folded Reload
	s_waitcnt vmcnt(0)
	v_cmp_gt_i32_e64 s[4:5], s37, v6
	v_mov_b32_e32 v6, 0
	s_and_saveexec_b64 s[12:13], s[4:5]
	s_cbranch_execz .LBB201_317
; %bb.314:
	buffer_load_dword v9, off, s[56:59], 0 offset:388 ; 4-byte Folded Reload
	v_mov_b32_e32 v6, 0x190
	s_mov_b64 s[18:19], 0
	s_waitcnt vmcnt(0)
	v_lshl_add_u32 v8, v9, 2, v6
	v_mov_b32_e32 v6, 0
.LBB201_315:                            ; =>This Inner Loop Header: Depth=1
	ds_read_b32 v10, v8
	v_add_u32_e32 v9, 0x80, v9
	v_cmp_le_i32_e64 s[6:7], s37, v9
	s_or_b64 s[18:19], s[6:7], s[18:19]
	s_waitcnt lgkmcnt(0)
	v_sub_f32_e32 v10, v10, v7
	v_mul_f32_e32 v10, 0x3fb8aa3b, v10
	v_exp_f32_e32 v10, v10
	ds_write_b32 v8, v10
	v_add_f32_e32 v6, v6, v10
	v_add_u32_e32 v8, 0x200, v8
	s_andn2_b64 exec, exec, s[18:19]
	s_cbranch_execnz .LBB201_315
; %bb.316:
	s_or_b64 exec, exec, s[18:19]
.LBB201_317:
	s_or_b64 exec, exec, s[12:13]
	ds_bpermute_b32 v1, v1, v6
	s_waitcnt lgkmcnt(0)
	v_add_f32_e32 v1, v6, v1
	ds_bpermute_b32 v2, v2, v1
	s_waitcnt lgkmcnt(0)
	v_add_f32_e32 v1, v1, v2
	;; [unrolled: 3-line block ×6, first 2 shown]
	s_and_saveexec_b64 s[6:7], vcc
; %bb.318:
	ds_write_b32 v4, v1 offset:392
; %bb.319:
	s_or_b64 exec, exec, s[6:7]
	s_waitcnt lgkmcnt(0)
	s_barrier
	s_and_saveexec_b64 s[6:7], s[2:3]
; %bb.320:
	ds_read_b32 v1, v5 offset:392
; %bb.321:
	s_or_b64 exec, exec, s[6:7]
	s_waitcnt lgkmcnt(0)
	ds_bpermute_b32 v2, v19, v1
	v_lshlrev_b32_e32 v0, 2, v0
	v_and_b32_e32 v0, 0x100, v0
	s_waitcnt lgkmcnt(0)
	v_add_f32_e32 v1, v1, v2
	ds_bpermute_b32 v0, v0, v1
	s_and_saveexec_b64 s[2:3], s[4:5]
	s_cbranch_execz .LBB201_324
; %bb.322:
	s_waitcnt lgkmcnt(0)
	v_add_f32_e32 v1, 0x358637bd, v0
	v_div_scale_f32 v0, s[4:5], v1, v1, 1.0
	v_div_scale_f32 v2, vcc, 1.0, v1, 1.0
	s_mov_b64 s[4:5], 0
	v_rcp_f32_e32 v3, v0
	v_fma_f32 v4, -v0, v3, 1.0
	v_fmac_f32_e32 v3, v4, v3
	v_mul_f32_e32 v4, v2, v3
	v_fma_f32 v5, -v0, v4, v2
	v_fmac_f32_e32 v4, v5, v3
	v_fma_f32 v0, -v0, v4, v2
	v_div_fmas_f32 v2, v0, v3, v4
	buffer_load_dword v3, off, s[56:59], 0 offset:388 ; 4-byte Folded Reload
	v_mov_b32_e32 v0, 0x190
	v_div_fixup_f32 v1, v2, v1, 1.0
	s_waitcnt vmcnt(0)
	v_lshl_add_u32 v0, v3, 2, v0
	v_mov_b32_e32 v2, v3
.LBB201_323:                            ; =>This Inner Loop Header: Depth=1
	ds_read_b32 v3, v0
	v_add_u32_e32 v2, 0x80, v2
	v_cmp_le_i32_e32 vcc, s37, v2
	s_or_b64 s[4:5], vcc, s[4:5]
	s_waitcnt lgkmcnt(0)
	v_mul_f32_e32 v3, v1, v3
	ds_write_b32 v0, v3
	v_add_u32_e32 v0, 0x200, v0
	s_andn2_b64 exec, exec, s[4:5]
	s_cbranch_execnz .LBB201_323
.LBB201_324:
	s_or_b64 exec, exec, s[2:3]
	s_waitcnt lgkmcnt(0)
	s_barrier
	buffer_load_dword v0, off, s[56:59], 0 offset:388 ; 4-byte Folded Reload
	v_mov_b32_e32 v40, 0
	v_mov_b32_e32 v62, 0
	;; [unrolled: 1-line block ×10, first 2 shown]
	s_waitcnt vmcnt(0)
	v_and_b32_e32 v20, 7, v0
	v_mov_b32_e32 v0, 0
	buffer_store_dword v0, off, s[56:59], 0 offset:172 ; 4-byte Folded Spill
	v_mov_b32_e32 v0, 0
	buffer_store_dword v0, off, s[56:59], 0 offset:164 ; 4-byte Folded Spill
	s_and_saveexec_b64 s[2:3], s[0:1]
	s_cbranch_execz .LBB201_642
; %bb.325:
	s_sub_i32 s21, s16, s21
	s_ashr_i32 s0, s47, 31
	s_add_u32 s4, s34, s47
	s_addc_u32 s5, s35, s0
	v_and_b32_e32 v1, 0xfc, v11
	v_mov_b32_e32 v4, s5
	v_add_co_u32_e32 v6, vcc, s4, v1
	v_addc_co_u32_e32 v7, vcc, 0, v4, vcc
	buffer_store_dword v19, off, s[56:59], 0 offset:244 ; 4-byte Folded Spill
	buffer_store_dword v16, off, s[56:59], 0 offset:228 ; 4-byte Folded Spill
	;; [unrolled: 1-line block ×5, first 2 shown]
	s_nop 0
	buffer_store_dword v7, off, s[56:59], 0 offset:192 ; 4-byte Folded Spill
	buffer_load_dword v1, off, s[56:59], 0  ; 4-byte Folded Reload
	s_abs_i32 s22, s22
	v_cvt_f32_u32_e32 v0, s22
	s_sub_i32 s0, 0, s22
	s_add_i32 s35, s20, -1
	v_and_b32_e32 v2, 60, v12
	v_rcp_iflag_f32_e32 v0, v0
	v_mov_b32_e32 v5, 0
	v_and_b32_e32 v27, 28, v11
	s_mov_b32 s34, s17
	v_mul_f32_e32 v0, 0x4f7ffffe, v0
	v_cvt_u32_f32_e32 v0, v0
	s_mov_b64 s[4:5], 0
	v_bfrev_b32_e32 v50, 60
	v_bfrev_b32_e32 v6, 1
	v_mul_lo_u32 v3, s0, v0
	s_lshl_b64 s[0:1], s[30:31], 2
	s_add_u32 s0, s28, s0
	s_addc_u32 s1, s29, s1
	v_mul_hi_u32 v3, v0, v3
	v_add_co_u32_e32 v9, vcc, s0, v2
	s_movk_i32 s28, 0x80
	v_add_u32_e32 v44, v0, v3
	v_mov_b32_e32 v0, s1
	v_addc_co_u32_e32 v10, vcc, 0, v0, vcc
	v_lshlrev_b32_e32 v0, 4, v20
	s_movk_i32 s29, 0x7f
	s_brev_b32 s30, 1
	s_mov_b32 s31, 0xffffff
	v_mov_b32_e32 v12, 0x7f800001
	v_mov_b32_e32 v55, 7
	;; [unrolled: 1-line block ×12, first 2 shown]
	buffer_store_dword v20, off, s[56:59], 0 offset:260 ; 4-byte Folded Spill
	s_waitcnt vmcnt(1)
	v_lshl_or_b32 v0, v1, 7, v0
	v_add_u32_e32 v42, 0x190, v0
	v_mov_b32_e32 v0, v5
	buffer_store_dword v0, off, s[56:59], 0 offset:164 ; 4-byte Folded Spill
	buffer_store_dword v0, off, s[56:59], 0 offset:172 ; 4-byte Folded Spill
	s_branch .LBB201_328
.LBB201_326:                            ;   in Loop: Header=BB201_328 Depth=1
	s_or_b64 exec, exec, s[0:1]
	buffer_load_dword v7, off, s[56:59], 0 offset:164 ; 4-byte Folded Reload
	v_mul_f32_e32 v16, v1, v54
	v_fmac_f32_e32 v16, v2, v49
	v_fmac_f32_e32 v16, v3, v23
	;; [unrolled: 1-line block ×3, first 2 shown]
	v_add_f32_e32 v59, v59, v16
	v_mul_f32_e32 v16, v1, v48
	v_fmac_f32_e32 v16, v2, v43
	v_fmac_f32_e32 v16, v3, v47
	;; [unrolled: 1-line block ×3, first 2 shown]
	s_waitcnt vmcnt(0)
	v_add_f32_e32 v7, v7, v16
	buffer_store_dword v7, off, s[56:59], 0 offset:164 ; 4-byte Folded Spill
	buffer_load_dword v7, off, s[56:59], 0 offset:172 ; 4-byte Folded Reload
	v_mul_f32_e32 v16, v1, v39
	v_fmac_f32_e32 v16, v2, v36
	v_fmac_f32_e32 v16, v3, v38
	;; [unrolled: 1-line block ×3, first 2 shown]
	v_add_f32_e32 v61, v61, v16
	v_mul_f32_e32 v16, v1, v35
	v_fmac_f32_e32 v16, v2, v32
	v_fmac_f32_e32 v16, v3, v34
	;; [unrolled: 1-line block ×3, first 2 shown]
	s_waitcnt vmcnt(0)
	v_add_f32_e32 v7, v7, v16
	v_mul_f32_e32 v16, v1, v31
	v_fmac_f32_e32 v16, v2, v28
	v_fmac_f32_e32 v16, v3, v30
	;; [unrolled: 1-line block ×3, first 2 shown]
	v_add_f32_e32 v57, v57, v16
	v_mul_f32_e32 v16, v1, v41
	v_fmac_f32_e32 v16, v2, v26
	v_fmac_f32_e32 v16, v3, v24
	;; [unrolled: 1-line block ×3, first 2 shown]
	buffer_load_dword v0, off, s[56:59], 0 offset:156 ; 4-byte Folded Reload
	v_add_f32_e32 v58, v58, v16
	buffer_store_dword v7, off, s[56:59], 0 offset:172 ; 4-byte Folded Spill
	buffer_load_dword v7, off, s[56:59], 0 offset:132 ; 4-byte Folded Reload
	s_waitcnt vmcnt(2)
	v_mul_f32_e32 v0, v1, v0
	s_waitcnt vmcnt(0)
	v_fmac_f32_e32 v0, v2, v7
	buffer_load_dword v7, off, s[56:59], 0 offset:148 ; 4-byte Folded Reload
	s_waitcnt vmcnt(0)
	v_fmac_f32_e32 v0, v3, v7
	buffer_load_dword v7, off, s[56:59], 0 offset:140 ; 4-byte Folded Reload
	s_waitcnt vmcnt(0)
	v_fmac_f32_e32 v0, v4, v7
	v_add_f32_e32 v60, v60, v0
	buffer_load_dword v0, off, s[56:59], 0 offset:124 ; 4-byte Folded Reload
	buffer_load_dword v7, off, s[56:59], 0 offset:100 ; 4-byte Folded Reload
	s_waitcnt vmcnt(1)
	v_mul_f32_e32 v0, v1, v0
	s_waitcnt vmcnt(0)
	v_fmac_f32_e32 v0, v2, v7
	buffer_load_dword v7, off, s[56:59], 0 offset:116 ; 4-byte Folded Reload
	s_waitcnt vmcnt(0)
	v_fmac_f32_e32 v0, v3, v7
	buffer_load_dword v7, off, s[56:59], 0 offset:108 ; 4-byte Folded Reload
	s_waitcnt vmcnt(0)
	v_fmac_f32_e32 v0, v4, v7
	v_add_f32_e32 v25, v25, v0
	buffer_load_dword v0, off, s[56:59], 0 offset:92 ; 4-byte Folded Reload
	buffer_load_dword v7, off, s[56:59], 0 offset:68 ; 4-byte Folded Reload
	s_waitcnt vmcnt(1)
	v_mul_f32_e32 v0, v1, v0
	s_waitcnt vmcnt(0)
	v_fmac_f32_e32 v0, v2, v7
	buffer_load_dword v7, off, s[56:59], 0 offset:84 ; 4-byte Folded Reload
	s_waitcnt vmcnt(0)
	v_fmac_f32_e32 v0, v3, v7
	buffer_load_dword v7, off, s[56:59], 0 offset:76 ; 4-byte Folded Reload
	s_waitcnt vmcnt(0)
	v_fmac_f32_e32 v0, v4, v7
	v_add_f32_e32 v45, v45, v0
	buffer_load_dword v0, off, s[56:59], 0 offset:60 ; 4-byte Folded Reload
	buffer_load_dword v7, off, s[56:59], 0 offset:36 ; 4-byte Folded Reload
	s_waitcnt vmcnt(1)
	v_mul_f32_e32 v0, v1, v0
	s_waitcnt vmcnt(0)
	v_fmac_f32_e32 v0, v2, v7
	buffer_load_dword v7, off, s[56:59], 0 offset:52 ; 4-byte Folded Reload
	s_waitcnt vmcnt(0)
	v_fmac_f32_e32 v0, v3, v7
	buffer_load_dword v7, off, s[56:59], 0 offset:44 ; 4-byte Folded Reload
	s_waitcnt vmcnt(0)
	v_fmac_f32_e32 v0, v4, v7
	v_add_f32_e32 v62, v62, v0
	buffer_load_dword v0, off, s[56:59], 0 offset:28 ; 4-byte Folded Reload
	buffer_load_dword v7, off, s[56:59], 0 offset:4 ; 4-byte Folded Reload
	s_waitcnt vmcnt(1)
	v_mul_f32_e32 v0, v1, v0
	s_waitcnt vmcnt(0)
	v_fmac_f32_e32 v0, v2, v7
	buffer_load_dword v7, off, s[56:59], 0 offset:20 ; 4-byte Folded Reload
	s_waitcnt vmcnt(0)
	v_fmac_f32_e32 v0, v3, v7
	buffer_load_dword v7, off, s[56:59], 0 offset:12 ; 4-byte Folded Reload
	s_waitcnt vmcnt(0)
	v_fmac_f32_e32 v0, v4, v7
	v_add_f32_e32 v40, v40, v0
	v_mul_f32_e32 v0, v1, v15
	v_fmac_f32_e32 v0, v2, v11
	v_fmac_f32_e32 v0, v3, v14
	;; [unrolled: 1-line block ×3, first 2 shown]
	v_add_f32_e32 v56, v56, v0
.LBB201_327:                            ;   in Loop: Header=BB201_328 Depth=1
	s_or_b64 exec, exec, s[6:7]
	buffer_load_dword v0, off, s[56:59], 0  ; 4-byte Folded Reload
	v_add_co_u32_e32 v9, vcc, 8, v9
	v_addc_co_u32_e32 v10, vcc, 0, v10, vcc
	v_add_u32_e32 v63, 64, v63
	v_add_u32_e32 v42, 0x100, v42
	s_waitcnt vmcnt(0)
	v_add_u32_e32 v0, 2, v0
	v_cmp_le_i32_e32 vcc, s20, v0
	s_or_b64 s[4:5], vcc, s[4:5]
	buffer_store_dword v0, off, s[56:59], 0 ; 4-byte Folded Spill
	s_andn2_b64 exec, exec, s[4:5]
	s_cbranch_execz .LBB201_641
.LBB201_328:                            ; =>This Inner Loop Header: Depth=1
	v_mul_hi_u32 v0, v63, s46
	v_mul_lo_u32 v1, v0, s25
	v_add_u32_e32 v2, 1, v0
	v_sub_u32_e32 v1, v63, v1
	v_cmp_le_u32_e32 vcc, s25, v1
	v_cndmask_b32_e32 v0, v0, v2, vcc
	v_subrev_u32_e32 v2, s25, v1
	v_cndmask_b32_e32 v1, v1, v2, vcc
	v_add_u32_e32 v2, 1, v0
	v_cmp_le_u32_e32 vcc, s25, v1
	v_cndmask_b32_e32 v0, v0, v2, vcc
	v_xor_b32_e32 v0, s23, v0
	v_subrev_u32_e32 v0, s23, v0
	v_add_u32_e32 v1, s36, v0
	v_sub_u32_e32 v2, 0, v1
	v_max_i32_e32 v2, v1, v2
	v_mul_hi_u32 v3, v2, v44
	v_ashrrev_i32_e32 v1, 31, v1
	v_cmp_lt_i32_e64 s[0:1], s21, v0
	v_mul_lo_u32 v3, v3, s22
	v_sub_u32_e32 v2, v2, v3
	v_subrev_u32_e32 v3, s22, v2
	v_cmp_le_u32_e32 vcc, s22, v2
	v_cndmask_b32_e32 v2, v2, v3, vcc
	v_subrev_u32_e32 v3, s22, v2
	v_cmp_le_u32_e32 vcc, s22, v2
	v_cndmask_b32_e32 v2, v2, v3, vcc
	v_xor_b32_e32 v2, v2, v1
	v_sub_u32_e32 v1, v2, v1
	v_cmp_eq_u32_e32 vcc, 0, v1
	s_or_b64 s[0:1], vcc, s[0:1]
	s_and_saveexec_b64 s[6:7], s[0:1]
	s_cbranch_execz .LBB201_327
; %bb.329:                              ;   in Loop: Header=BB201_328 Depth=1
	global_load_dword v0, v[9:10], off
	buffer_load_dword v1, off, s[56:59], 0 offset:188 ; 4-byte Folded Reload
	buffer_load_dword v2, off, s[56:59], 0 offset:192 ; 4-byte Folded Reload
	s_load_dword s37, s[14:15], 0x0
	v_mov_b32_e32 v18, 0
	v_mov_b32_e32 v16, 0
	;; [unrolled: 1-line block ×4, first 2 shown]
	s_waitcnt vmcnt(0)
	v_mad_i64_i32 v[13:14], s[0:1], v0, s34, v[1:2]
	ds_read_b128 v[1:4], v42
	global_load_dword v15, v[13:14], off
	s_waitcnt vmcnt(0)
	v_cmp_ne_u16_sdwa s[12:13], v15, v5 src0_sel:BYTE_0 src1_sel:DWORD
	s_and_saveexec_b64 s[0:1], s[12:13]
	s_cbranch_execz .LBB201_335
; %bb.330:                              ;   in Loop: Header=BB201_328 Depth=1
	v_bfrev_b32_e32 v16, 1
	v_mov_b32_e32 v17, 0
	v_cmp_ne_u16_sdwa s[16:17], v15, s28 src0_sel:BYTE_0 src1_sel:DWORD
	s_and_saveexec_b64 s[12:13], s[16:17]
	s_cbranch_execz .LBB201_334
; %bb.331:                              ;   in Loop: Header=BB201_328 Depth=1
	v_and_b32_e32 v0, 0x7f, v15
	v_mov_b32_e32 v16, 0x7f800001
	v_mov_b32_e32 v17, 0
	v_cmp_ne_u32_e32 vcc, s29, v0
	s_and_saveexec_b64 s[16:17], vcc
	s_cbranch_execz .LBB201_333
; %bb.332:                              ;   in Loop: Header=BB201_328 Depth=1
	v_and_b32_e32 v11, 7, v15
	v_ffbh_u32_e32 v7, v11
	v_min_u32_e32 v17, 32, v7
	v_lshrrev_b32_e32 v16, 3, v0
	v_subrev_u32_e32 v7, 28, v17
	v_lshlrev_b64 v[7:8], v7, v[15:16]
	v_sub_u32_e32 v8, 29, v17
	v_and_b32_e32 v7, 7, v7
	v_cmp_gt_u32_e32 vcc, 8, v0
	v_cndmask_b32_e32 v0, v16, v8, vcc
	v_cndmask_b32_e32 v7, v11, v7, vcc
	v_lshlrev_b32_e32 v7, 20, v7
	v_and_b32_sdwa v8, sext(v15), s30 dst_sel:DWORD dst_unused:UNUSED_PAD src0_sel:BYTE_0 src1_sel:DWORD
	v_lshl_add_u32 v0, v0, 23, v50
	v_or3_b32 v16, v8, v0, v7
	v_mov_b32_e32 v17, v5
.LBB201_333:                            ;   in Loop: Header=BB201_328 Depth=1
	s_or_b64 exec, exec, s[16:17]
.LBB201_334:                            ;   in Loop: Header=BB201_328 Depth=1
	s_or_b64 exec, exec, s[12:13]
.LBB201_335:                            ;   in Loop: Header=BB201_328 Depth=1
	s_or_b64 exec, exec, s[0:1]
	v_cmp_ne_u16_sdwa s[12:13], v15, v5 src0_sel:BYTE_1 src1_sel:DWORD
	s_and_saveexec_b64 s[0:1], s[12:13]
	s_cbranch_execz .LBB201_341
; %bb.336:                              ;   in Loop: Header=BB201_328 Depth=1
	v_mov_b32_e32 v19, v6
	v_cmp_ne_u16_sdwa s[16:17], v15, s28 src0_sel:BYTE_1 src1_sel:DWORD
	v_mov_b32_e32 v18, v5
	s_and_saveexec_b64 s[12:13], s[16:17]
	s_cbranch_execz .LBB201_340
; %bb.337:                              ;   in Loop: Header=BB201_328 Depth=1
	v_and_b32_sdwa v0, v15, s29 dst_sel:DWORD dst_unused:UNUSED_PAD src0_sel:BYTE_1 src1_sel:DWORD
	v_mov_b32_e32 v11, v5
	v_mov_b32_e32 v19, v12
	v_cmp_ne_u32_e32 vcc, s29, v0
	v_mov_b32_e32 v18, v11
	s_and_saveexec_b64 s[16:17], vcc
	s_cbranch_execz .LBB201_339
; %bb.338:                              ;   in Loop: Header=BB201_328 Depth=1
	v_and_b32_sdwa v7, v15, v55 dst_sel:DWORD dst_unused:UNUSED_PAD src0_sel:BYTE_1 src1_sel:DWORD
	v_ffbh_u32_e32 v18, v7
	v_min_u32_e32 v20, 32, v18
	v_mov_b32_e32 v8, v5
	v_subrev_u32_e32 v18, 28, v20
	v_lshlrev_b64 v[18:19], v18, v[7:8]
	v_lshrrev_b32_e32 v11, 3, v0
	v_sub_u32_e32 v8, 29, v20
	v_cmp_gt_u32_e32 vcc, 8, v0
	v_and_b32_e32 v18, 7, v18
	v_cndmask_b32_e32 v0, v11, v8, vcc
	v_cndmask_b32_e32 v7, v7, v18, vcc
	v_lshlrev_b32_e32 v8, 16, v15
	v_lshl_add_u32 v0, v0, 23, v50
	v_and_or_b32 v0, v8, s30, v0
	v_lshlrev_b32_e32 v7, 20, v7
	v_or_b32_e32 v19, v0, v7
	v_mov_b32_e32 v18, v5
.LBB201_339:                            ;   in Loop: Header=BB201_328 Depth=1
	s_or_b64 exec, exec, s[16:17]
.LBB201_340:                            ;   in Loop: Header=BB201_328 Depth=1
	s_or_b64 exec, exec, s[12:13]
.LBB201_341:                            ;   in Loop: Header=BB201_328 Depth=1
	s_or_b64 exec, exec, s[0:1]
	v_lshrrev_b32_e32 v11, 16, v15
	v_mov_b32_e32 v22, 0
	v_mov_b32_e32 v20, 0
	;; [unrolled: 1-line block ×4, first 2 shown]
	v_cmp_ne_u16_sdwa s[12:13], v11, v5 src0_sel:BYTE_0 src1_sel:DWORD
	s_and_saveexec_b64 s[0:1], s[12:13]
	s_cbranch_execz .LBB201_347
; %bb.342:                              ;   in Loop: Header=BB201_328 Depth=1
	v_bfrev_b32_e32 v20, 1
	v_mov_b32_e32 v21, 0
	v_cmp_ne_u16_sdwa s[16:17], v11, s28 src0_sel:BYTE_0 src1_sel:DWORD
	s_and_saveexec_b64 s[12:13], s[16:17]
	s_cbranch_execz .LBB201_346
; %bb.343:                              ;   in Loop: Header=BB201_328 Depth=1
	v_bfe_u32 v0, v15, 16, 7
	v_mov_b32_e32 v20, 0x7f800001
	v_mov_b32_e32 v21, 0
	v_cmp_ne_u32_e32 vcc, s29, v0
	s_and_saveexec_b64 s[16:17], vcc
	s_cbranch_execz .LBB201_345
; %bb.344:                              ;   in Loop: Header=BB201_328 Depth=1
	v_and_b32_e32 v20, 7, v11
	v_ffbh_u32_e32 v7, v20
	v_min_u32_e32 v24, 32, v7
	v_subrev_u32_e32 v7, 28, v24
	v_lshlrev_b64 v[7:8], v7, v[11:12]
	v_lshrrev_b32_e32 v21, 3, v0
	v_sub_u32_e32 v8, 29, v24
	v_and_b32_e32 v7, 7, v7
	v_cmp_gt_u32_e32 vcc, 8, v0
	v_cndmask_b32_e32 v0, v21, v8, vcc
	v_cndmask_b32_e32 v7, v20, v7, vcc
	v_lshlrev_b32_e32 v7, 20, v7
	v_and_b32_sdwa v8, sext(v11), s30 dst_sel:DWORD dst_unused:UNUSED_PAD src0_sel:BYTE_0 src1_sel:DWORD
	v_lshl_add_u32 v0, v0, 23, v50
	v_or3_b32 v20, v8, v0, v7
	v_mov_b32_e32 v21, v5
.LBB201_345:                            ;   in Loop: Header=BB201_328 Depth=1
	s_or_b64 exec, exec, s[16:17]
.LBB201_346:                            ;   in Loop: Header=BB201_328 Depth=1
	s_or_b64 exec, exec, s[12:13]
.LBB201_347:                            ;   in Loop: Header=BB201_328 Depth=1
	s_or_b64 exec, exec, s[0:1]
	v_cmp_lt_u32_e32 vcc, s31, v15
	s_and_saveexec_b64 s[0:1], vcc
	s_cbranch_execz .LBB201_353
; %bb.348:                              ;   in Loop: Header=BB201_328 Depth=1
	v_mov_b32_e32 v23, v6
	v_cmp_ne_u32_sdwa s[16:17], v15, s28 src0_sel:BYTE_3 src1_sel:DWORD
	v_mov_b32_e32 v22, v5
	s_and_saveexec_b64 s[12:13], s[16:17]
	s_cbranch_execz .LBB201_352
; %bb.349:                              ;   in Loop: Header=BB201_328 Depth=1
	v_bfe_u32 v0, v15, 24, 7
	v_mov_b32_e32 v11, v5
	v_mov_b32_e32 v23, v12
	v_cmp_ne_u32_e32 vcc, s29, v0
	v_mov_b32_e32 v22, v11
	s_and_saveexec_b64 s[16:17], vcc
	s_cbranch_execz .LBB201_351
; %bb.350:                              ;   in Loop: Header=BB201_328 Depth=1
	v_and_b32_sdwa v7, v15, v55 dst_sel:DWORD dst_unused:UNUSED_PAD src0_sel:BYTE_3 src1_sel:DWORD
	v_ffbh_u32_e32 v22, v7
	v_min_u32_e32 v24, 32, v22
	v_mov_b32_e32 v8, v5
	v_subrev_u32_e32 v22, 28, v24
	v_lshlrev_b64 v[22:23], v22, v[7:8]
	v_lshrrev_b32_e32 v11, 3, v0
	v_sub_u32_e32 v8, 29, v24
	v_cmp_gt_u32_e32 vcc, 8, v0
	v_and_b32_e32 v22, 7, v22
	v_cndmask_b32_e32 v0, v11, v8, vcc
	v_mov_b32_e32 v8, 24
	v_cndmask_b32_e32 v7, v7, v22, vcc
	v_lshlrev_b32_sdwa v8, v8, v15 dst_sel:DWORD dst_unused:UNUSED_PAD src0_sel:DWORD src1_sel:BYTE_3
	v_lshl_add_u32 v0, v0, 23, v50
	v_and_or_b32 v0, v8, s30, v0
	v_lshlrev_b32_e32 v7, 20, v7
	v_or_b32_e32 v23, v0, v7
	v_mov_b32_e32 v22, v5
.LBB201_351:                            ;   in Loop: Header=BB201_328 Depth=1
	s_or_b64 exec, exec, s[16:17]
.LBB201_352:                            ;   in Loop: Header=BB201_328 Depth=1
	s_or_b64 exec, exec, s[12:13]
.LBB201_353:                            ;   in Loop: Header=BB201_328 Depth=1
	s_or_b64 exec, exec, s[0:1]
	buffer_load_dword v0, off, s[56:59], 0  ; 4-byte Folded Reload
	v_or_b32_e32 v7, v18, v16
	v_add_u32_e32 v8, v27, v63
	v_add_u32_e32 v53, 1, v8
	;; [unrolled: 1-line block ×4, first 2 shown]
	s_waitcnt vmcnt(0)
	v_cmp_eq_u32_e32 vcc, s35, v0
	v_or_b32_e32 v0, v19, v17
	s_waitcnt lgkmcnt(0)
	v_mul_f32_e32 v0, s37, v0
	buffer_store_dword v0, off, s[56:59], 0 offset:4 ; 4-byte Folded Spill
	v_mul_f32_e32 v0, s37, v7
	buffer_store_dword v0, off, s[56:59], 0 offset:28 ; 4-byte Folded Spill
	v_or_b32_e32 v0, v23, v21
	v_or_b32_e32 v7, v22, v20
	v_mul_f32_e32 v7, s37, v7
	v_mul_f32_e32 v0, s37, v0
	buffer_store_dword v7, off, s[56:59], 0 offset:20 ; 4-byte Folded Spill
	buffer_store_dword v0, off, s[56:59], 0 offset:12 ; 4-byte Folded Spill
	s_and_saveexec_b64 s[12:13], vcc
	s_cbranch_execz .LBB201_355
; %bb.354:                              ;   in Loop: Header=BB201_328 Depth=1
	buffer_load_dword v0, off, s[56:59], 0 offset:28 ; 4-byte Folded Reload
	v_cmp_gt_i32_e64 s[0:1], s33, v8
	s_waitcnt vmcnt(0)
	v_cndmask_b32_e64 v0, 0, v0, s[0:1]
	buffer_store_dword v0, off, s[56:59], 0 offset:28 ; 4-byte Folded Spill
	buffer_load_dword v0, off, s[56:59], 0 offset:4 ; 4-byte Folded Reload
	v_cmp_gt_i32_e64 s[0:1], s33, v53
	s_waitcnt vmcnt(0)
	v_cndmask_b32_e64 v0, 0, v0, s[0:1]
	buffer_store_dword v0, off, s[56:59], 0 offset:4 ; 4-byte Folded Spill
	;; [unrolled: 5-line block ×4, first 2 shown]
.LBB201_355:                            ;   in Loop: Header=BB201_328 Depth=1
	s_or_b64 exec, exec, s[12:13]
	global_load_dword v15, v[13:14], off offset:256
	v_mov_b32_e32 v18, 0
	v_mov_b32_e32 v16, 0
	;; [unrolled: 1-line block ×4, first 2 shown]
	s_waitcnt vmcnt(0)
	v_cmp_ne_u16_sdwa s[0:1], v15, v5 src0_sel:BYTE_0 src1_sel:DWORD
	s_mov_b64 s[12:13], exec
	s_and_b64 s[0:1], s[12:13], s[0:1]
	buffer_store_dword v8, off, s[56:59], 0 offset:180 ; 4-byte Folded Spill
	s_mov_b64 exec, s[0:1]
	s_cbranch_execz .LBB201_361
; %bb.356:                              ;   in Loop: Header=BB201_328 Depth=1
	v_bfrev_b32_e32 v16, 1
	v_mov_b32_e32 v17, 0
	v_cmp_ne_u16_sdwa s[0:1], v15, s28 src0_sel:BYTE_0 src1_sel:DWORD
	s_and_saveexec_b64 s[16:17], s[0:1]
	s_cbranch_execz .LBB201_360
; %bb.357:                              ;   in Loop: Header=BB201_328 Depth=1
	v_and_b32_e32 v0, 0x7f, v15
	v_mov_b32_e32 v16, 0x7f800001
	v_mov_b32_e32 v17, 0
	v_cmp_ne_u32_e64 s[0:1], s29, v0
	s_and_saveexec_b64 s[18:19], s[0:1]
	s_cbranch_execz .LBB201_359
; %bb.358:                              ;   in Loop: Header=BB201_328 Depth=1
	v_and_b32_e32 v11, 7, v15
	v_ffbh_u32_e32 v7, v11
	v_min_u32_e32 v17, 32, v7
	v_lshrrev_b32_e32 v16, 3, v0
	v_subrev_u32_e32 v7, 28, v17
	v_lshlrev_b64 v[7:8], v7, v[15:16]
	v_sub_u32_e32 v8, 29, v17
	v_and_b32_e32 v7, 7, v7
	v_cmp_gt_u32_e64 s[0:1], 8, v0
	v_cndmask_b32_e64 v0, v16, v8, s[0:1]
	v_cndmask_b32_e64 v7, v11, v7, s[0:1]
	v_lshlrev_b32_e32 v7, 20, v7
	v_and_b32_sdwa v8, sext(v15), s30 dst_sel:DWORD dst_unused:UNUSED_PAD src0_sel:BYTE_0 src1_sel:DWORD
	v_lshl_add_u32 v0, v0, 23, v50
	v_or3_b32 v16, v8, v0, v7
	v_add_u32_e32 v8, v27, v63
	v_mov_b32_e32 v17, v5
.LBB201_359:                            ;   in Loop: Header=BB201_328 Depth=1
	s_or_b64 exec, exec, s[18:19]
.LBB201_360:                            ;   in Loop: Header=BB201_328 Depth=1
	s_or_b64 exec, exec, s[16:17]
.LBB201_361:                            ;   in Loop: Header=BB201_328 Depth=1
	s_or_b64 exec, exec, s[12:13]
	v_cmp_ne_u16_sdwa s[0:1], v15, v5 src0_sel:BYTE_1 src1_sel:DWORD
	s_and_saveexec_b64 s[12:13], s[0:1]
	s_cbranch_execz .LBB201_367
; %bb.362:                              ;   in Loop: Header=BB201_328 Depth=1
	v_mov_b32_e32 v19, v6
	v_cmp_ne_u16_sdwa s[0:1], v15, s28 src0_sel:BYTE_1 src1_sel:DWORD
	v_mov_b32_e32 v18, v5
	s_and_saveexec_b64 s[16:17], s[0:1]
	s_cbranch_execz .LBB201_366
; %bb.363:                              ;   in Loop: Header=BB201_328 Depth=1
	v_and_b32_sdwa v0, v15, s29 dst_sel:DWORD dst_unused:UNUSED_PAD src0_sel:BYTE_1 src1_sel:DWORD
	v_mov_b32_e32 v11, v5
	v_mov_b32_e32 v19, v12
	v_cmp_ne_u32_e64 s[0:1], s29, v0
	v_mov_b32_e32 v18, v11
	s_and_saveexec_b64 s[18:19], s[0:1]
	s_cbranch_execz .LBB201_365
; %bb.364:                              ;   in Loop: Header=BB201_328 Depth=1
	v_and_b32_sdwa v7, v15, v55 dst_sel:DWORD dst_unused:UNUSED_PAD src0_sel:BYTE_1 src1_sel:DWORD
	v_ffbh_u32_e32 v18, v7
	v_min_u32_e32 v20, 32, v18
	v_mov_b32_e32 v8, v5
	v_subrev_u32_e32 v18, 28, v20
	v_lshlrev_b64 v[18:19], v18, v[7:8]
	v_lshrrev_b32_e32 v11, 3, v0
	v_sub_u32_e32 v8, 29, v20
	v_cmp_gt_u32_e64 s[0:1], 8, v0
	v_and_b32_e32 v18, 7, v18
	v_cndmask_b32_e64 v0, v11, v8, s[0:1]
	v_cndmask_b32_e64 v7, v7, v18, s[0:1]
	v_lshlrev_b32_e32 v8, 16, v15
	v_lshl_add_u32 v0, v0, 23, v50
	v_and_or_b32 v0, v8, s30, v0
	v_lshlrev_b32_e32 v7, 20, v7
	v_add_u32_e32 v8, v27, v63
	v_or_b32_e32 v19, v0, v7
	v_mov_b32_e32 v18, v5
.LBB201_365:                            ;   in Loop: Header=BB201_328 Depth=1
	s_or_b64 exec, exec, s[18:19]
.LBB201_366:                            ;   in Loop: Header=BB201_328 Depth=1
	s_or_b64 exec, exec, s[16:17]
.LBB201_367:                            ;   in Loop: Header=BB201_328 Depth=1
	s_or_b64 exec, exec, s[12:13]
	v_lshrrev_b32_e32 v11, 16, v15
	v_mov_b32_e32 v22, 0
	v_mov_b32_e32 v20, 0
	;; [unrolled: 1-line block ×4, first 2 shown]
	v_cmp_ne_u16_sdwa s[0:1], v11, v5 src0_sel:BYTE_0 src1_sel:DWORD
	s_and_saveexec_b64 s[12:13], s[0:1]
	s_cbranch_execz .LBB201_373
; %bb.368:                              ;   in Loop: Header=BB201_328 Depth=1
	v_bfrev_b32_e32 v20, 1
	v_mov_b32_e32 v21, 0
	v_cmp_ne_u16_sdwa s[0:1], v11, s28 src0_sel:BYTE_0 src1_sel:DWORD
	s_and_saveexec_b64 s[16:17], s[0:1]
	s_cbranch_execz .LBB201_372
; %bb.369:                              ;   in Loop: Header=BB201_328 Depth=1
	v_bfe_u32 v0, v15, 16, 7
	v_mov_b32_e32 v20, 0x7f800001
	v_mov_b32_e32 v21, 0
	v_cmp_ne_u32_e64 s[0:1], s29, v0
	s_and_saveexec_b64 s[18:19], s[0:1]
	s_cbranch_execz .LBB201_371
; %bb.370:                              ;   in Loop: Header=BB201_328 Depth=1
	v_and_b32_e32 v20, 7, v11
	v_ffbh_u32_e32 v7, v20
	v_min_u32_e32 v24, 32, v7
	v_subrev_u32_e32 v7, 28, v24
	v_lshlrev_b64 v[7:8], v7, v[11:12]
	v_lshrrev_b32_e32 v21, 3, v0
	v_sub_u32_e32 v8, 29, v24
	v_and_b32_e32 v7, 7, v7
	v_cmp_gt_u32_e64 s[0:1], 8, v0
	v_cndmask_b32_e64 v0, v21, v8, s[0:1]
	v_cndmask_b32_e64 v7, v20, v7, s[0:1]
	v_lshlrev_b32_e32 v7, 20, v7
	v_and_b32_sdwa v8, sext(v11), s30 dst_sel:DWORD dst_unused:UNUSED_PAD src0_sel:BYTE_0 src1_sel:DWORD
	v_lshl_add_u32 v0, v0, 23, v50
	v_or3_b32 v20, v8, v0, v7
	v_add_u32_e32 v8, v27, v63
	v_mov_b32_e32 v21, v5
.LBB201_371:                            ;   in Loop: Header=BB201_328 Depth=1
	s_or_b64 exec, exec, s[18:19]
.LBB201_372:                            ;   in Loop: Header=BB201_328 Depth=1
	s_or_b64 exec, exec, s[16:17]
.LBB201_373:                            ;   in Loop: Header=BB201_328 Depth=1
	s_or_b64 exec, exec, s[12:13]
	v_cmp_lt_u32_e64 s[0:1], s31, v15
	s_and_saveexec_b64 s[12:13], s[0:1]
	s_cbranch_execz .LBB201_379
; %bb.374:                              ;   in Loop: Header=BB201_328 Depth=1
	v_mov_b32_e32 v23, v6
	v_cmp_ne_u32_sdwa s[0:1], v15, s28 src0_sel:BYTE_3 src1_sel:DWORD
	v_mov_b32_e32 v22, v5
	s_and_saveexec_b64 s[16:17], s[0:1]
	s_cbranch_execz .LBB201_378
; %bb.375:                              ;   in Loop: Header=BB201_328 Depth=1
	v_bfe_u32 v0, v15, 24, 7
	v_mov_b32_e32 v11, v5
	v_mov_b32_e32 v23, v12
	v_cmp_ne_u32_e64 s[0:1], s29, v0
	v_mov_b32_e32 v22, v11
	s_and_saveexec_b64 s[18:19], s[0:1]
	s_cbranch_execz .LBB201_377
; %bb.376:                              ;   in Loop: Header=BB201_328 Depth=1
	v_and_b32_sdwa v7, v15, v55 dst_sel:DWORD dst_unused:UNUSED_PAD src0_sel:BYTE_3 src1_sel:DWORD
	v_ffbh_u32_e32 v22, v7
	v_min_u32_e32 v24, 32, v22
	v_mov_b32_e32 v8, v5
	v_subrev_u32_e32 v22, 28, v24
	v_lshlrev_b64 v[22:23], v22, v[7:8]
	v_lshrrev_b32_e32 v11, 3, v0
	v_sub_u32_e32 v8, 29, v24
	v_cmp_gt_u32_e64 s[0:1], 8, v0
	v_and_b32_e32 v22, 7, v22
	v_cndmask_b32_e64 v0, v11, v8, s[0:1]
	v_mov_b32_e32 v8, 24
	v_cndmask_b32_e64 v7, v7, v22, s[0:1]
	v_lshlrev_b32_sdwa v8, v8, v15 dst_sel:DWORD dst_unused:UNUSED_PAD src0_sel:DWORD src1_sel:BYTE_3
	v_lshl_add_u32 v0, v0, 23, v50
	v_and_or_b32 v0, v8, s30, v0
	v_lshlrev_b32_e32 v7, 20, v7
	v_add_u32_e32 v8, v27, v63
	v_or_b32_e32 v23, v0, v7
	v_mov_b32_e32 v22, v5
.LBB201_377:                            ;   in Loop: Header=BB201_328 Depth=1
	s_or_b64 exec, exec, s[18:19]
.LBB201_378:                            ;   in Loop: Header=BB201_328 Depth=1
	s_or_b64 exec, exec, s[16:17]
.LBB201_379:                            ;   in Loop: Header=BB201_328 Depth=1
	s_or_b64 exec, exec, s[12:13]
	s_mov_b32 s38, s37
	v_or_b32_e32 v0, v19, v17
	v_or_b32_e32 v7, v18, v16
	v_mul_f32_e32 v0, s38, v0
	buffer_store_dword v0, off, s[56:59], 0 offset:36 ; 4-byte Folded Spill
	v_mul_f32_e32 v0, s37, v7
	buffer_store_dword v0, off, s[56:59], 0 offset:60 ; 4-byte Folded Spill
	v_or_b32_e32 v0, v23, v21
	v_or_b32_e32 v7, v22, v20
	v_mul_f32_e32 v7, s37, v7
	v_mul_f32_e32 v0, s38, v0
	buffer_store_dword v7, off, s[56:59], 0 offset:52 ; 4-byte Folded Spill
	buffer_store_dword v0, off, s[56:59], 0 offset:44 ; 4-byte Folded Spill
	s_and_saveexec_b64 s[12:13], vcc
	s_cbranch_execz .LBB201_381
; %bb.380:                              ;   in Loop: Header=BB201_328 Depth=1
	buffer_load_dword v0, off, s[56:59], 0 offset:60 ; 4-byte Folded Reload
	v_cmp_gt_i32_e64 s[0:1], s33, v8
	s_waitcnt vmcnt(0)
	v_cndmask_b32_e64 v0, 0, v0, s[0:1]
	buffer_store_dword v0, off, s[56:59], 0 offset:60 ; 4-byte Folded Spill
	buffer_load_dword v0, off, s[56:59], 0 offset:36 ; 4-byte Folded Reload
	v_cmp_gt_i32_e64 s[0:1], s33, v53
	s_waitcnt vmcnt(0)
	v_cndmask_b32_e64 v0, 0, v0, s[0:1]
	buffer_store_dword v0, off, s[56:59], 0 offset:36 ; 4-byte Folded Spill
	;; [unrolled: 5-line block ×4, first 2 shown]
.LBB201_381:                            ;   in Loop: Header=BB201_328 Depth=1
	s_or_b64 exec, exec, s[12:13]
	global_load_dword v15, v[13:14], off offset:512
	v_mov_b32_e32 v18, 0
	v_mov_b32_e32 v16, 0
	;; [unrolled: 1-line block ×4, first 2 shown]
	s_waitcnt vmcnt(0)
	v_cmp_ne_u16_sdwa s[0:1], v15, v5 src0_sel:BYTE_0 src1_sel:DWORD
	s_and_saveexec_b64 s[12:13], s[0:1]
	s_cbranch_execz .LBB201_387
; %bb.382:                              ;   in Loop: Header=BB201_328 Depth=1
	v_bfrev_b32_e32 v16, 1
	v_mov_b32_e32 v17, 0
	v_cmp_ne_u16_sdwa s[0:1], v15, s28 src0_sel:BYTE_0 src1_sel:DWORD
	s_and_saveexec_b64 s[16:17], s[0:1]
	s_cbranch_execz .LBB201_386
; %bb.383:                              ;   in Loop: Header=BB201_328 Depth=1
	v_and_b32_e32 v0, 0x7f, v15
	v_mov_b32_e32 v16, 0x7f800001
	v_mov_b32_e32 v17, 0
	v_cmp_ne_u32_e64 s[0:1], s29, v0
	s_and_saveexec_b64 s[18:19], s[0:1]
	s_cbranch_execz .LBB201_385
; %bb.384:                              ;   in Loop: Header=BB201_328 Depth=1
	v_and_b32_e32 v11, 7, v15
	v_ffbh_u32_e32 v7, v11
	v_min_u32_e32 v17, 32, v7
	v_lshrrev_b32_e32 v16, 3, v0
	v_subrev_u32_e32 v7, 28, v17
	v_lshlrev_b64 v[7:8], v7, v[15:16]
	v_sub_u32_e32 v8, 29, v17
	v_and_b32_e32 v7, 7, v7
	v_cmp_gt_u32_e64 s[0:1], 8, v0
	v_cndmask_b32_e64 v0, v16, v8, s[0:1]
	v_cndmask_b32_e64 v7, v11, v7, s[0:1]
	v_lshlrev_b32_e32 v7, 20, v7
	v_and_b32_sdwa v8, sext(v15), s30 dst_sel:DWORD dst_unused:UNUSED_PAD src0_sel:BYTE_0 src1_sel:DWORD
	v_lshl_add_u32 v0, v0, 23, v50
	v_or3_b32 v16, v8, v0, v7
	v_add_u32_e32 v8, v27, v63
	v_mov_b32_e32 v17, v5
.LBB201_385:                            ;   in Loop: Header=BB201_328 Depth=1
	s_or_b64 exec, exec, s[18:19]
.LBB201_386:                            ;   in Loop: Header=BB201_328 Depth=1
	s_or_b64 exec, exec, s[16:17]
.LBB201_387:                            ;   in Loop: Header=BB201_328 Depth=1
	s_or_b64 exec, exec, s[12:13]
	v_cmp_ne_u16_sdwa s[0:1], v15, v5 src0_sel:BYTE_1 src1_sel:DWORD
	s_and_saveexec_b64 s[12:13], s[0:1]
	s_cbranch_execz .LBB201_393
; %bb.388:                              ;   in Loop: Header=BB201_328 Depth=1
	v_mov_b32_e32 v19, v6
	v_cmp_ne_u16_sdwa s[0:1], v15, s28 src0_sel:BYTE_1 src1_sel:DWORD
	v_mov_b32_e32 v18, v5
	s_and_saveexec_b64 s[16:17], s[0:1]
	s_cbranch_execz .LBB201_392
; %bb.389:                              ;   in Loop: Header=BB201_328 Depth=1
	v_and_b32_sdwa v0, v15, s29 dst_sel:DWORD dst_unused:UNUSED_PAD src0_sel:BYTE_1 src1_sel:DWORD
	v_mov_b32_e32 v11, v5
	v_mov_b32_e32 v19, v12
	v_cmp_ne_u32_e64 s[0:1], s29, v0
	v_mov_b32_e32 v18, v11
	s_and_saveexec_b64 s[18:19], s[0:1]
	s_cbranch_execz .LBB201_391
; %bb.390:                              ;   in Loop: Header=BB201_328 Depth=1
	v_and_b32_sdwa v7, v15, v55 dst_sel:DWORD dst_unused:UNUSED_PAD src0_sel:BYTE_1 src1_sel:DWORD
	v_ffbh_u32_e32 v18, v7
	v_min_u32_e32 v20, 32, v18
	v_mov_b32_e32 v8, v5
	v_subrev_u32_e32 v18, 28, v20
	v_lshlrev_b64 v[18:19], v18, v[7:8]
	v_lshrrev_b32_e32 v11, 3, v0
	v_sub_u32_e32 v8, 29, v20
	v_cmp_gt_u32_e64 s[0:1], 8, v0
	v_and_b32_e32 v18, 7, v18
	v_cndmask_b32_e64 v0, v11, v8, s[0:1]
	v_cndmask_b32_e64 v7, v7, v18, s[0:1]
	v_lshlrev_b32_e32 v8, 16, v15
	v_lshl_add_u32 v0, v0, 23, v50
	v_and_or_b32 v0, v8, s30, v0
	v_lshlrev_b32_e32 v7, 20, v7
	v_add_u32_e32 v8, v27, v63
	v_or_b32_e32 v19, v0, v7
	v_mov_b32_e32 v18, v5
.LBB201_391:                            ;   in Loop: Header=BB201_328 Depth=1
	s_or_b64 exec, exec, s[18:19]
.LBB201_392:                            ;   in Loop: Header=BB201_328 Depth=1
	s_or_b64 exec, exec, s[16:17]
.LBB201_393:                            ;   in Loop: Header=BB201_328 Depth=1
	s_or_b64 exec, exec, s[12:13]
	v_lshrrev_b32_e32 v11, 16, v15
	v_mov_b32_e32 v22, 0
	v_mov_b32_e32 v20, 0
	v_mov_b32_e32 v23, 0
	v_mov_b32_e32 v21, 0
	v_cmp_ne_u16_sdwa s[0:1], v11, v5 src0_sel:BYTE_0 src1_sel:DWORD
	s_and_saveexec_b64 s[12:13], s[0:1]
	s_cbranch_execz .LBB201_399
; %bb.394:                              ;   in Loop: Header=BB201_328 Depth=1
	v_bfrev_b32_e32 v20, 1
	v_mov_b32_e32 v21, 0
	v_cmp_ne_u16_sdwa s[0:1], v11, s28 src0_sel:BYTE_0 src1_sel:DWORD
	s_and_saveexec_b64 s[16:17], s[0:1]
	s_cbranch_execz .LBB201_398
; %bb.395:                              ;   in Loop: Header=BB201_328 Depth=1
	v_bfe_u32 v0, v15, 16, 7
	v_mov_b32_e32 v20, 0x7f800001
	v_mov_b32_e32 v21, 0
	v_cmp_ne_u32_e64 s[0:1], s29, v0
	s_and_saveexec_b64 s[18:19], s[0:1]
	s_cbranch_execz .LBB201_397
; %bb.396:                              ;   in Loop: Header=BB201_328 Depth=1
	v_and_b32_e32 v20, 7, v11
	v_lshrrev_b32_e32 v21, 3, v0
	v_cmp_gt_u32_e64 s[0:1], 8, v0
	v_ffbh_u32_e32 v0, v20
	v_min_u32_e32 v0, 32, v0
	v_subrev_u32_e32 v7, 28, v0
	v_lshlrev_b64 v[7:8], v7, v[11:12]
	v_sub_u32_e32 v0, 29, v0
	v_and_b32_e32 v7, 7, v7
	v_cndmask_b32_e64 v0, v21, v0, s[0:1]
	v_cndmask_b32_e64 v7, v20, v7, s[0:1]
	v_lshlrev_b32_e32 v7, 20, v7
	v_and_b32_sdwa v8, sext(v11), s30 dst_sel:DWORD dst_unused:UNUSED_PAD src0_sel:BYTE_0 src1_sel:DWORD
	v_lshl_add_u32 v0, v0, 23, v50
	v_or3_b32 v20, v8, v0, v7
	v_add_u32_e32 v8, v27, v63
	v_mov_b32_e32 v21, v5
.LBB201_397:                            ;   in Loop: Header=BB201_328 Depth=1
	s_or_b64 exec, exec, s[18:19]
.LBB201_398:                            ;   in Loop: Header=BB201_328 Depth=1
	s_or_b64 exec, exec, s[16:17]
.LBB201_399:                            ;   in Loop: Header=BB201_328 Depth=1
	s_or_b64 exec, exec, s[12:13]
	v_cmp_lt_u32_e64 s[0:1], s31, v15
	s_and_saveexec_b64 s[12:13], s[0:1]
	s_cbranch_execz .LBB201_405
; %bb.400:                              ;   in Loop: Header=BB201_328 Depth=1
	v_mov_b32_e32 v23, v6
	v_cmp_ne_u32_sdwa s[0:1], v15, s28 src0_sel:BYTE_3 src1_sel:DWORD
	v_mov_b32_e32 v22, v5
	s_and_saveexec_b64 s[16:17], s[0:1]
	s_cbranch_execz .LBB201_404
; %bb.401:                              ;   in Loop: Header=BB201_328 Depth=1
	v_bfe_u32 v0, v15, 24, 7
	v_mov_b32_e32 v11, v5
	v_mov_b32_e32 v23, v12
	v_cmp_ne_u32_e64 s[0:1], s29, v0
	v_mov_b32_e32 v22, v11
	s_and_saveexec_b64 s[18:19], s[0:1]
	s_cbranch_execz .LBB201_403
; %bb.402:                              ;   in Loop: Header=BB201_328 Depth=1
	v_and_b32_sdwa v7, v15, v55 dst_sel:DWORD dst_unused:UNUSED_PAD src0_sel:BYTE_3 src1_sel:DWORD
	v_lshrrev_b32_e32 v11, 3, v0
	v_cmp_gt_u32_e64 s[0:1], 8, v0
	v_ffbh_u32_e32 v0, v7
	v_min_u32_e32 v0, 32, v0
	v_mov_b32_e32 v8, v5
	v_subrev_u32_e32 v22, 28, v0
	v_lshlrev_b64 v[22:23], v22, v[7:8]
	v_sub_u32_e32 v0, 29, v0
	v_and_b32_e32 v8, 7, v22
	v_cndmask_b32_e64 v0, v11, v0, s[0:1]
	v_cndmask_b32_e64 v7, v7, v8, s[0:1]
	v_mov_b32_e32 v8, 24
	v_lshlrev_b32_sdwa v8, v8, v15 dst_sel:DWORD dst_unused:UNUSED_PAD src0_sel:DWORD src1_sel:BYTE_3
	v_lshl_add_u32 v0, v0, 23, v50
	v_and_or_b32 v0, v8, s30, v0
	v_lshlrev_b32_e32 v7, 20, v7
	v_add_u32_e32 v8, v27, v63
	v_or_b32_e32 v23, v0, v7
	v_mov_b32_e32 v22, v5
.LBB201_403:                            ;   in Loop: Header=BB201_328 Depth=1
	s_or_b64 exec, exec, s[18:19]
.LBB201_404:                            ;   in Loop: Header=BB201_328 Depth=1
	s_or_b64 exec, exec, s[16:17]
.LBB201_405:                            ;   in Loop: Header=BB201_328 Depth=1
	s_or_b64 exec, exec, s[12:13]
	v_or_b32_e32 v0, v19, v17
	v_or_b32_e32 v7, v18, v16
	v_mul_f32_e32 v0, s38, v0
	buffer_store_dword v0, off, s[56:59], 0 offset:68 ; 4-byte Folded Spill
	v_mul_f32_e32 v0, s37, v7
	buffer_store_dword v0, off, s[56:59], 0 offset:92 ; 4-byte Folded Spill
	v_or_b32_e32 v0, v23, v21
	v_or_b32_e32 v7, v22, v20
	v_mul_f32_e32 v7, s37, v7
	v_mul_f32_e32 v0, s38, v0
	buffer_store_dword v7, off, s[56:59], 0 offset:84 ; 4-byte Folded Spill
	buffer_store_dword v0, off, s[56:59], 0 offset:76 ; 4-byte Folded Spill
	s_and_saveexec_b64 s[12:13], vcc
	s_cbranch_execz .LBB201_407
; %bb.406:                              ;   in Loop: Header=BB201_328 Depth=1
	buffer_load_dword v0, off, s[56:59], 0 offset:92 ; 4-byte Folded Reload
	v_cmp_gt_i32_e64 s[0:1], s33, v8
	s_waitcnt vmcnt(0)
	v_cndmask_b32_e64 v0, 0, v0, s[0:1]
	buffer_store_dword v0, off, s[56:59], 0 offset:92 ; 4-byte Folded Spill
	buffer_load_dword v0, off, s[56:59], 0 offset:68 ; 4-byte Folded Reload
	v_cmp_gt_i32_e64 s[0:1], s33, v53
	s_waitcnt vmcnt(0)
	v_cndmask_b32_e64 v0, 0, v0, s[0:1]
	buffer_store_dword v0, off, s[56:59], 0 offset:68 ; 4-byte Folded Spill
	;; [unrolled: 5-line block ×4, first 2 shown]
.LBB201_407:                            ;   in Loop: Header=BB201_328 Depth=1
	s_or_b64 exec, exec, s[12:13]
	global_load_dword v15, v[13:14], off offset:768
	v_mov_b32_e32 v18, 0
	v_mov_b32_e32 v16, 0
	;; [unrolled: 1-line block ×4, first 2 shown]
	s_waitcnt vmcnt(0)
	v_cmp_ne_u16_sdwa s[0:1], v15, v5 src0_sel:BYTE_0 src1_sel:DWORD
	s_and_saveexec_b64 s[12:13], s[0:1]
	s_cbranch_execz .LBB201_413
; %bb.408:                              ;   in Loop: Header=BB201_328 Depth=1
	v_bfrev_b32_e32 v16, 1
	v_mov_b32_e32 v17, 0
	v_cmp_ne_u16_sdwa s[0:1], v15, s28 src0_sel:BYTE_0 src1_sel:DWORD
	s_and_saveexec_b64 s[16:17], s[0:1]
	s_cbranch_execz .LBB201_412
; %bb.409:                              ;   in Loop: Header=BB201_328 Depth=1
	v_and_b32_e32 v0, 0x7f, v15
	v_mov_b32_e32 v16, 0x7f800001
	v_mov_b32_e32 v17, 0
	v_cmp_ne_u32_e64 s[0:1], s29, v0
	s_and_saveexec_b64 s[18:19], s[0:1]
	s_cbranch_execz .LBB201_411
; %bb.410:                              ;   in Loop: Header=BB201_328 Depth=1
	v_and_b32_e32 v11, 7, v15
	v_lshrrev_b32_e32 v16, 3, v0
	v_cmp_gt_u32_e64 s[0:1], 8, v0
	v_ffbh_u32_e32 v0, v11
	v_min_u32_e32 v0, 32, v0
	v_subrev_u32_e32 v7, 28, v0
	v_lshlrev_b64 v[7:8], v7, v[15:16]
	v_sub_u32_e32 v0, 29, v0
	v_and_b32_e32 v7, 7, v7
	v_cndmask_b32_e64 v0, v16, v0, s[0:1]
	v_cndmask_b32_e64 v7, v11, v7, s[0:1]
	v_lshlrev_b32_e32 v7, 20, v7
	v_and_b32_sdwa v8, sext(v15), s30 dst_sel:DWORD dst_unused:UNUSED_PAD src0_sel:BYTE_0 src1_sel:DWORD
	v_lshl_add_u32 v0, v0, 23, v50
	v_or3_b32 v16, v8, v0, v7
	v_add_u32_e32 v8, v27, v63
	v_mov_b32_e32 v17, v5
.LBB201_411:                            ;   in Loop: Header=BB201_328 Depth=1
	s_or_b64 exec, exec, s[18:19]
.LBB201_412:                            ;   in Loop: Header=BB201_328 Depth=1
	s_or_b64 exec, exec, s[16:17]
.LBB201_413:                            ;   in Loop: Header=BB201_328 Depth=1
	s_or_b64 exec, exec, s[12:13]
	v_cmp_ne_u16_sdwa s[0:1], v15, v5 src0_sel:BYTE_1 src1_sel:DWORD
	s_and_saveexec_b64 s[12:13], s[0:1]
	s_cbranch_execz .LBB201_419
; %bb.414:                              ;   in Loop: Header=BB201_328 Depth=1
	v_mov_b32_e32 v19, v6
	v_cmp_ne_u16_sdwa s[0:1], v15, s28 src0_sel:BYTE_1 src1_sel:DWORD
	v_mov_b32_e32 v18, v5
	s_and_saveexec_b64 s[16:17], s[0:1]
	s_cbranch_execz .LBB201_418
; %bb.415:                              ;   in Loop: Header=BB201_328 Depth=1
	v_and_b32_sdwa v0, v15, s29 dst_sel:DWORD dst_unused:UNUSED_PAD src0_sel:BYTE_1 src1_sel:DWORD
	v_mov_b32_e32 v11, v5
	v_mov_b32_e32 v19, v12
	v_cmp_ne_u32_e64 s[0:1], s29, v0
	v_mov_b32_e32 v18, v11
	s_and_saveexec_b64 s[18:19], s[0:1]
	s_cbranch_execz .LBB201_417
; %bb.416:                              ;   in Loop: Header=BB201_328 Depth=1
	v_and_b32_sdwa v7, v15, v55 dst_sel:DWORD dst_unused:UNUSED_PAD src0_sel:BYTE_1 src1_sel:DWORD
	v_lshrrev_b32_e32 v11, 3, v0
	v_cmp_gt_u32_e64 s[0:1], 8, v0
	v_ffbh_u32_e32 v0, v7
	v_min_u32_e32 v0, 32, v0
	v_mov_b32_e32 v8, v5
	v_subrev_u32_e32 v18, 28, v0
	v_lshlrev_b64 v[18:19], v18, v[7:8]
	v_sub_u32_e32 v0, 29, v0
	v_and_b32_e32 v8, 7, v18
	v_cndmask_b32_e64 v0, v11, v0, s[0:1]
	v_cndmask_b32_e64 v7, v7, v8, s[0:1]
	v_lshlrev_b32_e32 v8, 16, v15
	v_lshl_add_u32 v0, v0, 23, v50
	v_and_or_b32 v0, v8, s30, v0
	v_lshlrev_b32_e32 v7, 20, v7
	v_add_u32_e32 v8, v27, v63
	v_or_b32_e32 v19, v0, v7
	v_mov_b32_e32 v18, v5
.LBB201_417:                            ;   in Loop: Header=BB201_328 Depth=1
	s_or_b64 exec, exec, s[18:19]
.LBB201_418:                            ;   in Loop: Header=BB201_328 Depth=1
	s_or_b64 exec, exec, s[16:17]
.LBB201_419:                            ;   in Loop: Header=BB201_328 Depth=1
	s_or_b64 exec, exec, s[12:13]
	v_lshrrev_b32_e32 v11, 16, v15
	v_mov_b32_e32 v22, 0
	v_mov_b32_e32 v20, 0
	;; [unrolled: 1-line block ×4, first 2 shown]
	v_cmp_ne_u16_sdwa s[0:1], v11, v5 src0_sel:BYTE_0 src1_sel:DWORD
	s_and_saveexec_b64 s[12:13], s[0:1]
	s_cbranch_execz .LBB201_425
; %bb.420:                              ;   in Loop: Header=BB201_328 Depth=1
	v_bfrev_b32_e32 v20, 1
	v_mov_b32_e32 v21, 0
	v_cmp_ne_u16_sdwa s[0:1], v11, s28 src0_sel:BYTE_0 src1_sel:DWORD
	s_and_saveexec_b64 s[16:17], s[0:1]
	s_cbranch_execz .LBB201_424
; %bb.421:                              ;   in Loop: Header=BB201_328 Depth=1
	v_bfe_u32 v0, v15, 16, 7
	v_mov_b32_e32 v20, 0x7f800001
	v_mov_b32_e32 v21, 0
	v_cmp_ne_u32_e64 s[0:1], s29, v0
	s_and_saveexec_b64 s[18:19], s[0:1]
	s_cbranch_execz .LBB201_423
; %bb.422:                              ;   in Loop: Header=BB201_328 Depth=1
	v_and_b32_e32 v20, 7, v11
	v_lshrrev_b32_e32 v21, 3, v0
	v_cmp_gt_u32_e64 s[0:1], 8, v0
	v_ffbh_u32_e32 v0, v20
	v_min_u32_e32 v0, 32, v0
	v_subrev_u32_e32 v7, 28, v0
	v_lshlrev_b64 v[7:8], v7, v[11:12]
	v_sub_u32_e32 v0, 29, v0
	v_and_b32_e32 v7, 7, v7
	v_cndmask_b32_e64 v0, v21, v0, s[0:1]
	v_cndmask_b32_e64 v7, v20, v7, s[0:1]
	v_lshlrev_b32_e32 v7, 20, v7
	v_and_b32_sdwa v8, sext(v11), s30 dst_sel:DWORD dst_unused:UNUSED_PAD src0_sel:BYTE_0 src1_sel:DWORD
	v_lshl_add_u32 v0, v0, 23, v50
	v_or3_b32 v20, v8, v0, v7
	v_add_u32_e32 v8, v27, v63
	v_mov_b32_e32 v21, v5
.LBB201_423:                            ;   in Loop: Header=BB201_328 Depth=1
	s_or_b64 exec, exec, s[18:19]
.LBB201_424:                            ;   in Loop: Header=BB201_328 Depth=1
	s_or_b64 exec, exec, s[16:17]
.LBB201_425:                            ;   in Loop: Header=BB201_328 Depth=1
	s_or_b64 exec, exec, s[12:13]
	v_cmp_lt_u32_e64 s[0:1], s31, v15
	s_and_saveexec_b64 s[12:13], s[0:1]
	s_cbranch_execz .LBB201_431
; %bb.426:                              ;   in Loop: Header=BB201_328 Depth=1
	v_mov_b32_e32 v23, v6
	v_cmp_ne_u32_sdwa s[0:1], v15, s28 src0_sel:BYTE_3 src1_sel:DWORD
	v_mov_b32_e32 v22, v5
	s_and_saveexec_b64 s[16:17], s[0:1]
	s_cbranch_execz .LBB201_430
; %bb.427:                              ;   in Loop: Header=BB201_328 Depth=1
	v_bfe_u32 v0, v15, 24, 7
	v_mov_b32_e32 v11, v5
	v_mov_b32_e32 v23, v12
	v_cmp_ne_u32_e64 s[0:1], s29, v0
	v_mov_b32_e32 v22, v11
	s_and_saveexec_b64 s[18:19], s[0:1]
	s_cbranch_execz .LBB201_429
; %bb.428:                              ;   in Loop: Header=BB201_328 Depth=1
	v_and_b32_sdwa v7, v15, v55 dst_sel:DWORD dst_unused:UNUSED_PAD src0_sel:BYTE_3 src1_sel:DWORD
	v_lshrrev_b32_e32 v11, 3, v0
	v_cmp_gt_u32_e64 s[0:1], 8, v0
	v_ffbh_u32_e32 v0, v7
	v_min_u32_e32 v0, 32, v0
	v_mov_b32_e32 v8, v5
	v_subrev_u32_e32 v22, 28, v0
	v_lshlrev_b64 v[22:23], v22, v[7:8]
	v_sub_u32_e32 v0, 29, v0
	v_and_b32_e32 v8, 7, v22
	v_cndmask_b32_e64 v0, v11, v0, s[0:1]
	v_cndmask_b32_e64 v7, v7, v8, s[0:1]
	v_mov_b32_e32 v8, 24
	v_lshlrev_b32_sdwa v8, v8, v15 dst_sel:DWORD dst_unused:UNUSED_PAD src0_sel:DWORD src1_sel:BYTE_3
	v_lshl_add_u32 v0, v0, 23, v50
	v_and_or_b32 v0, v8, s30, v0
	v_lshlrev_b32_e32 v7, 20, v7
	v_add_u32_e32 v8, v27, v63
	v_or_b32_e32 v23, v0, v7
	v_mov_b32_e32 v22, v5
.LBB201_429:                            ;   in Loop: Header=BB201_328 Depth=1
	s_or_b64 exec, exec, s[18:19]
.LBB201_430:                            ;   in Loop: Header=BB201_328 Depth=1
	s_or_b64 exec, exec, s[16:17]
.LBB201_431:                            ;   in Loop: Header=BB201_328 Depth=1
	s_or_b64 exec, exec, s[12:13]
	v_or_b32_e32 v0, v19, v17
	v_or_b32_e32 v7, v18, v16
	v_mul_f32_e32 v0, s38, v0
	buffer_store_dword v0, off, s[56:59], 0 offset:100 ; 4-byte Folded Spill
	v_mul_f32_e32 v0, s37, v7
	buffer_store_dword v0, off, s[56:59], 0 offset:124 ; 4-byte Folded Spill
	v_or_b32_e32 v0, v23, v21
	v_or_b32_e32 v7, v22, v20
	v_mul_f32_e32 v7, s37, v7
	v_mul_f32_e32 v0, s38, v0
	buffer_store_dword v7, off, s[56:59], 0 offset:116 ; 4-byte Folded Spill
	buffer_store_dword v0, off, s[56:59], 0 offset:108 ; 4-byte Folded Spill
	s_and_saveexec_b64 s[12:13], vcc
	s_cbranch_execz .LBB201_433
; %bb.432:                              ;   in Loop: Header=BB201_328 Depth=1
	buffer_load_dword v0, off, s[56:59], 0 offset:124 ; 4-byte Folded Reload
	v_cmp_gt_i32_e64 s[0:1], s33, v8
	s_waitcnt vmcnt(0)
	v_cndmask_b32_e64 v0, 0, v0, s[0:1]
	buffer_store_dword v0, off, s[56:59], 0 offset:124 ; 4-byte Folded Spill
	buffer_load_dword v0, off, s[56:59], 0 offset:100 ; 4-byte Folded Reload
	v_cmp_gt_i32_e64 s[0:1], s33, v53
	s_waitcnt vmcnt(0)
	v_cndmask_b32_e64 v0, 0, v0, s[0:1]
	buffer_store_dword v0, off, s[56:59], 0 offset:100 ; 4-byte Folded Spill
	;; [unrolled: 5-line block ×4, first 2 shown]
.LBB201_433:                            ;   in Loop: Header=BB201_328 Depth=1
	s_or_b64 exec, exec, s[12:13]
	global_load_dword v15, v[13:14], off offset:1024
	v_mov_b32_e32 v18, 0
	v_mov_b32_e32 v16, 0
	v_mov_b32_e32 v19, 0
	v_mov_b32_e32 v17, 0
	s_waitcnt vmcnt(0)
	v_cmp_ne_u16_sdwa s[0:1], v15, v5 src0_sel:BYTE_0 src1_sel:DWORD
	s_and_saveexec_b64 s[12:13], s[0:1]
	s_cbranch_execz .LBB201_439
; %bb.434:                              ;   in Loop: Header=BB201_328 Depth=1
	v_bfrev_b32_e32 v16, 1
	v_mov_b32_e32 v17, 0
	v_cmp_ne_u16_sdwa s[0:1], v15, s28 src0_sel:BYTE_0 src1_sel:DWORD
	s_and_saveexec_b64 s[16:17], s[0:1]
	s_cbranch_execz .LBB201_438
; %bb.435:                              ;   in Loop: Header=BB201_328 Depth=1
	v_and_b32_e32 v0, 0x7f, v15
	v_mov_b32_e32 v16, 0x7f800001
	v_mov_b32_e32 v17, 0
	v_cmp_ne_u32_e64 s[0:1], s29, v0
	s_and_saveexec_b64 s[18:19], s[0:1]
	s_cbranch_execz .LBB201_437
; %bb.436:                              ;   in Loop: Header=BB201_328 Depth=1
	v_and_b32_e32 v11, 7, v15
	v_lshrrev_b32_e32 v16, 3, v0
	v_cmp_gt_u32_e64 s[0:1], 8, v0
	v_ffbh_u32_e32 v0, v11
	v_min_u32_e32 v0, 32, v0
	v_subrev_u32_e32 v7, 28, v0
	v_lshlrev_b64 v[7:8], v7, v[15:16]
	v_sub_u32_e32 v0, 29, v0
	v_and_b32_e32 v7, 7, v7
	v_cndmask_b32_e64 v0, v16, v0, s[0:1]
	v_cndmask_b32_e64 v7, v11, v7, s[0:1]
	v_lshlrev_b32_e32 v7, 20, v7
	v_and_b32_sdwa v8, sext(v15), s30 dst_sel:DWORD dst_unused:UNUSED_PAD src0_sel:BYTE_0 src1_sel:DWORD
	v_lshl_add_u32 v0, v0, 23, v50
	v_or3_b32 v16, v8, v0, v7
	v_add_u32_e32 v8, v27, v63
	v_mov_b32_e32 v17, v5
.LBB201_437:                            ;   in Loop: Header=BB201_328 Depth=1
	s_or_b64 exec, exec, s[18:19]
.LBB201_438:                            ;   in Loop: Header=BB201_328 Depth=1
	s_or_b64 exec, exec, s[16:17]
.LBB201_439:                            ;   in Loop: Header=BB201_328 Depth=1
	s_or_b64 exec, exec, s[12:13]
	v_cmp_ne_u16_sdwa s[0:1], v15, v5 src0_sel:BYTE_1 src1_sel:DWORD
	s_and_saveexec_b64 s[12:13], s[0:1]
	s_cbranch_execz .LBB201_445
; %bb.440:                              ;   in Loop: Header=BB201_328 Depth=1
	v_mov_b32_e32 v19, v6
	v_cmp_ne_u16_sdwa s[0:1], v15, s28 src0_sel:BYTE_1 src1_sel:DWORD
	v_mov_b32_e32 v18, v5
	s_and_saveexec_b64 s[16:17], s[0:1]
	s_cbranch_execz .LBB201_444
; %bb.441:                              ;   in Loop: Header=BB201_328 Depth=1
	v_and_b32_sdwa v0, v15, s29 dst_sel:DWORD dst_unused:UNUSED_PAD src0_sel:BYTE_1 src1_sel:DWORD
	v_mov_b32_e32 v11, v5
	v_mov_b32_e32 v19, v12
	v_cmp_ne_u32_e64 s[0:1], s29, v0
	v_mov_b32_e32 v18, v11
	s_and_saveexec_b64 s[18:19], s[0:1]
	s_cbranch_execz .LBB201_443
; %bb.442:                              ;   in Loop: Header=BB201_328 Depth=1
	v_and_b32_sdwa v7, v15, v55 dst_sel:DWORD dst_unused:UNUSED_PAD src0_sel:BYTE_1 src1_sel:DWORD
	v_lshrrev_b32_e32 v11, 3, v0
	v_cmp_gt_u32_e64 s[0:1], 8, v0
	v_ffbh_u32_e32 v0, v7
	v_min_u32_e32 v0, 32, v0
	v_mov_b32_e32 v8, v5
	v_subrev_u32_e32 v18, 28, v0
	v_lshlrev_b64 v[18:19], v18, v[7:8]
	v_sub_u32_e32 v0, 29, v0
	v_and_b32_e32 v8, 7, v18
	v_cndmask_b32_e64 v0, v11, v0, s[0:1]
	v_cndmask_b32_e64 v7, v7, v8, s[0:1]
	v_lshlrev_b32_e32 v8, 16, v15
	v_lshl_add_u32 v0, v0, 23, v50
	v_and_or_b32 v0, v8, s30, v0
	v_lshlrev_b32_e32 v7, 20, v7
	v_add_u32_e32 v8, v27, v63
	v_or_b32_e32 v19, v0, v7
	v_mov_b32_e32 v18, v5
.LBB201_443:                            ;   in Loop: Header=BB201_328 Depth=1
	s_or_b64 exec, exec, s[18:19]
.LBB201_444:                            ;   in Loop: Header=BB201_328 Depth=1
	s_or_b64 exec, exec, s[16:17]
.LBB201_445:                            ;   in Loop: Header=BB201_328 Depth=1
	s_or_b64 exec, exec, s[12:13]
	v_lshrrev_b32_e32 v11, 16, v15
	v_mov_b32_e32 v22, 0
	v_mov_b32_e32 v20, 0
	;; [unrolled: 1-line block ×4, first 2 shown]
	v_cmp_ne_u16_sdwa s[0:1], v11, v5 src0_sel:BYTE_0 src1_sel:DWORD
	s_and_saveexec_b64 s[12:13], s[0:1]
	s_cbranch_execz .LBB201_451
; %bb.446:                              ;   in Loop: Header=BB201_328 Depth=1
	v_bfrev_b32_e32 v20, 1
	v_mov_b32_e32 v21, 0
	v_cmp_ne_u16_sdwa s[0:1], v11, s28 src0_sel:BYTE_0 src1_sel:DWORD
	s_and_saveexec_b64 s[16:17], s[0:1]
	s_cbranch_execz .LBB201_450
; %bb.447:                              ;   in Loop: Header=BB201_328 Depth=1
	v_bfe_u32 v0, v15, 16, 7
	v_mov_b32_e32 v20, 0x7f800001
	v_mov_b32_e32 v21, 0
	v_cmp_ne_u32_e64 s[0:1], s29, v0
	s_and_saveexec_b64 s[18:19], s[0:1]
	s_cbranch_execz .LBB201_449
; %bb.448:                              ;   in Loop: Header=BB201_328 Depth=1
	v_and_b32_e32 v20, 7, v11
	v_lshrrev_b32_e32 v21, 3, v0
	v_cmp_gt_u32_e64 s[0:1], 8, v0
	v_ffbh_u32_e32 v0, v20
	v_min_u32_e32 v0, 32, v0
	v_subrev_u32_e32 v7, 28, v0
	v_lshlrev_b64 v[7:8], v7, v[11:12]
	v_sub_u32_e32 v0, 29, v0
	v_and_b32_e32 v7, 7, v7
	v_cndmask_b32_e64 v0, v21, v0, s[0:1]
	v_cndmask_b32_e64 v7, v20, v7, s[0:1]
	v_lshlrev_b32_e32 v7, 20, v7
	v_and_b32_sdwa v8, sext(v11), s30 dst_sel:DWORD dst_unused:UNUSED_PAD src0_sel:BYTE_0 src1_sel:DWORD
	v_lshl_add_u32 v0, v0, 23, v50
	v_or3_b32 v20, v8, v0, v7
	v_add_u32_e32 v8, v27, v63
	v_mov_b32_e32 v21, v5
.LBB201_449:                            ;   in Loop: Header=BB201_328 Depth=1
	s_or_b64 exec, exec, s[18:19]
.LBB201_450:                            ;   in Loop: Header=BB201_328 Depth=1
	s_or_b64 exec, exec, s[16:17]
.LBB201_451:                            ;   in Loop: Header=BB201_328 Depth=1
	s_or_b64 exec, exec, s[12:13]
	v_cmp_lt_u32_e64 s[0:1], s31, v15
	s_and_saveexec_b64 s[12:13], s[0:1]
	s_cbranch_execz .LBB201_457
; %bb.452:                              ;   in Loop: Header=BB201_328 Depth=1
	v_mov_b32_e32 v23, v6
	v_cmp_ne_u32_sdwa s[0:1], v15, s28 src0_sel:BYTE_3 src1_sel:DWORD
	v_mov_b32_e32 v22, v5
	s_and_saveexec_b64 s[16:17], s[0:1]
	s_cbranch_execz .LBB201_456
; %bb.453:                              ;   in Loop: Header=BB201_328 Depth=1
	v_bfe_u32 v0, v15, 24, 7
	v_mov_b32_e32 v11, v5
	v_mov_b32_e32 v23, v12
	v_cmp_ne_u32_e64 s[0:1], s29, v0
	v_mov_b32_e32 v22, v11
	s_and_saveexec_b64 s[18:19], s[0:1]
	s_cbranch_execz .LBB201_455
; %bb.454:                              ;   in Loop: Header=BB201_328 Depth=1
	v_and_b32_sdwa v7, v15, v55 dst_sel:DWORD dst_unused:UNUSED_PAD src0_sel:BYTE_3 src1_sel:DWORD
	v_lshrrev_b32_e32 v11, 3, v0
	v_cmp_gt_u32_e64 s[0:1], 8, v0
	v_ffbh_u32_e32 v0, v7
	v_min_u32_e32 v0, 32, v0
	v_mov_b32_e32 v8, v5
	v_subrev_u32_e32 v22, 28, v0
	v_lshlrev_b64 v[22:23], v22, v[7:8]
	v_sub_u32_e32 v0, 29, v0
	v_and_b32_e32 v8, 7, v22
	v_cndmask_b32_e64 v0, v11, v0, s[0:1]
	v_cndmask_b32_e64 v7, v7, v8, s[0:1]
	v_mov_b32_e32 v8, 24
	v_lshlrev_b32_sdwa v8, v8, v15 dst_sel:DWORD dst_unused:UNUSED_PAD src0_sel:DWORD src1_sel:BYTE_3
	v_lshl_add_u32 v0, v0, 23, v50
	v_and_or_b32 v0, v8, s30, v0
	v_lshlrev_b32_e32 v7, 20, v7
	v_add_u32_e32 v8, v27, v63
	v_or_b32_e32 v23, v0, v7
	v_mov_b32_e32 v22, v5
.LBB201_455:                            ;   in Loop: Header=BB201_328 Depth=1
	s_or_b64 exec, exec, s[18:19]
.LBB201_456:                            ;   in Loop: Header=BB201_328 Depth=1
	s_or_b64 exec, exec, s[16:17]
.LBB201_457:                            ;   in Loop: Header=BB201_328 Depth=1
	s_or_b64 exec, exec, s[12:13]
	v_or_b32_e32 v0, v19, v17
	v_or_b32_e32 v7, v18, v16
	v_mul_f32_e32 v0, s38, v0
	buffer_store_dword v0, off, s[56:59], 0 offset:132 ; 4-byte Folded Spill
	v_mul_f32_e32 v0, s37, v7
	buffer_store_dword v0, off, s[56:59], 0 offset:156 ; 4-byte Folded Spill
	v_or_b32_e32 v0, v23, v21
	v_or_b32_e32 v7, v22, v20
	v_mul_f32_e32 v7, s37, v7
	v_mul_f32_e32 v0, s38, v0
	buffer_store_dword v7, off, s[56:59], 0 offset:148 ; 4-byte Folded Spill
	buffer_store_dword v0, off, s[56:59], 0 offset:140 ; 4-byte Folded Spill
	s_and_saveexec_b64 s[12:13], vcc
	s_cbranch_execz .LBB201_459
; %bb.458:                              ;   in Loop: Header=BB201_328 Depth=1
	buffer_load_dword v0, off, s[56:59], 0 offset:156 ; 4-byte Folded Reload
	v_cmp_gt_i32_e64 s[0:1], s33, v8
	s_waitcnt vmcnt(0)
	v_cndmask_b32_e64 v0, 0, v0, s[0:1]
	buffer_store_dword v0, off, s[56:59], 0 offset:156 ; 4-byte Folded Spill
	buffer_load_dword v0, off, s[56:59], 0 offset:132 ; 4-byte Folded Reload
	v_cmp_gt_i32_e64 s[0:1], s33, v53
	s_waitcnt vmcnt(0)
	v_cndmask_b32_e64 v0, 0, v0, s[0:1]
	buffer_store_dword v0, off, s[56:59], 0 offset:132 ; 4-byte Folded Spill
	;; [unrolled: 5-line block ×4, first 2 shown]
.LBB201_459:                            ;   in Loop: Header=BB201_328 Depth=1
	s_or_b64 exec, exec, s[12:13]
	global_load_dword v15, v[13:14], off offset:1280
	v_mov_b32_e32 v18, 0
	v_mov_b32_e32 v16, 0
	;; [unrolled: 1-line block ×4, first 2 shown]
	s_waitcnt vmcnt(0)
	v_cmp_ne_u16_sdwa s[0:1], v15, v5 src0_sel:BYTE_0 src1_sel:DWORD
	s_and_saveexec_b64 s[12:13], s[0:1]
	s_cbranch_execz .LBB201_465
; %bb.460:                              ;   in Loop: Header=BB201_328 Depth=1
	v_bfrev_b32_e32 v16, 1
	v_mov_b32_e32 v17, 0
	v_cmp_ne_u16_sdwa s[0:1], v15, s28 src0_sel:BYTE_0 src1_sel:DWORD
	s_and_saveexec_b64 s[16:17], s[0:1]
	s_cbranch_execz .LBB201_464
; %bb.461:                              ;   in Loop: Header=BB201_328 Depth=1
	v_and_b32_e32 v0, 0x7f, v15
	v_mov_b32_e32 v16, 0x7f800001
	v_mov_b32_e32 v17, 0
	v_cmp_ne_u32_e64 s[0:1], s29, v0
	s_and_saveexec_b64 s[18:19], s[0:1]
	s_cbranch_execz .LBB201_463
; %bb.462:                              ;   in Loop: Header=BB201_328 Depth=1
	v_and_b32_e32 v11, 7, v15
	v_lshrrev_b32_e32 v20, 3, v0
	v_cmp_gt_u32_e64 s[0:1], 8, v0
	v_ffbh_u32_e32 v0, v11
	v_min_u32_e32 v0, 32, v0
	v_subrev_u32_e32 v16, 28, v0
	v_lshlrev_b64 v[16:17], v16, v[15:16]
	v_sub_u32_e32 v0, 29, v0
	v_and_b32_e32 v16, 7, v16
	v_cndmask_b32_e64 v0, v20, v0, s[0:1]
	v_cndmask_b32_e64 v11, v11, v16, s[0:1]
	v_lshlrev_b32_e32 v11, 20, v11
	v_and_b32_sdwa v16, sext(v15), s30 dst_sel:DWORD dst_unused:UNUSED_PAD src0_sel:BYTE_0 src1_sel:DWORD
	v_lshl_add_u32 v0, v0, 23, v50
	v_or3_b32 v16, v16, v0, v11
	v_mov_b32_e32 v17, v5
.LBB201_463:                            ;   in Loop: Header=BB201_328 Depth=1
	s_or_b64 exec, exec, s[18:19]
.LBB201_464:                            ;   in Loop: Header=BB201_328 Depth=1
	s_or_b64 exec, exec, s[16:17]
.LBB201_465:                            ;   in Loop: Header=BB201_328 Depth=1
	s_or_b64 exec, exec, s[12:13]
	v_cmp_ne_u16_sdwa s[0:1], v15, v5 src0_sel:BYTE_1 src1_sel:DWORD
	s_and_saveexec_b64 s[12:13], s[0:1]
	s_cbranch_execz .LBB201_471
; %bb.466:                              ;   in Loop: Header=BB201_328 Depth=1
	v_mov_b32_e32 v19, v6
	v_cmp_ne_u16_sdwa s[0:1], v15, s28 src0_sel:BYTE_1 src1_sel:DWORD
	v_mov_b32_e32 v18, v5
	s_and_saveexec_b64 s[16:17], s[0:1]
	s_cbranch_execz .LBB201_470
; %bb.467:                              ;   in Loop: Header=BB201_328 Depth=1
	v_and_b32_sdwa v0, v15, s29 dst_sel:DWORD dst_unused:UNUSED_PAD src0_sel:BYTE_1 src1_sel:DWORD
	v_mov_b32_e32 v11, v5
	v_mov_b32_e32 v19, v12
	v_cmp_ne_u32_e64 s[0:1], s29, v0
	v_mov_b32_e32 v18, v11
	s_and_saveexec_b64 s[18:19], s[0:1]
	s_cbranch_execz .LBB201_469
; %bb.468:                              ;   in Loop: Header=BB201_328 Depth=1
	v_and_b32_sdwa v18, v15, v55 dst_sel:DWORD dst_unused:UNUSED_PAD src0_sel:BYTE_1 src1_sel:DWORD
	v_lshrrev_b32_e32 v11, 3, v0
	v_cmp_gt_u32_e64 s[0:1], 8, v0
	v_ffbh_u32_e32 v0, v18
	v_min_u32_e32 v0, 32, v0
	v_mov_b32_e32 v19, v5
	v_subrev_u32_e32 v20, 28, v0
	v_lshlrev_b64 v[19:20], v20, v[18:19]
	v_sub_u32_e32 v0, 29, v0
	v_and_b32_e32 v19, 7, v19
	v_cndmask_b32_e64 v0, v11, v0, s[0:1]
	v_cndmask_b32_e64 v11, v18, v19, s[0:1]
	v_lshlrev_b32_e32 v18, 16, v15
	v_lshl_add_u32 v0, v0, 23, v50
	v_and_or_b32 v0, v18, s30, v0
	v_lshlrev_b32_e32 v11, 20, v11
	v_or_b32_e32 v19, v0, v11
	v_mov_b32_e32 v18, v5
.LBB201_469:                            ;   in Loop: Header=BB201_328 Depth=1
	s_or_b64 exec, exec, s[18:19]
.LBB201_470:                            ;   in Loop: Header=BB201_328 Depth=1
	s_or_b64 exec, exec, s[16:17]
.LBB201_471:                            ;   in Loop: Header=BB201_328 Depth=1
	s_or_b64 exec, exec, s[12:13]
	v_lshrrev_b32_e32 v11, 16, v15
	v_mov_b32_e32 v22, 0
	v_mov_b32_e32 v20, 0
	;; [unrolled: 1-line block ×4, first 2 shown]
	v_cmp_ne_u16_sdwa s[0:1], v11, v5 src0_sel:BYTE_0 src1_sel:DWORD
	s_and_saveexec_b64 s[12:13], s[0:1]
	s_cbranch_execz .LBB201_477
; %bb.472:                              ;   in Loop: Header=BB201_328 Depth=1
	v_bfrev_b32_e32 v20, 1
	v_mov_b32_e32 v21, 0
	v_cmp_ne_u16_sdwa s[0:1], v11, s28 src0_sel:BYTE_0 src1_sel:DWORD
	s_and_saveexec_b64 s[16:17], s[0:1]
	s_cbranch_execz .LBB201_476
; %bb.473:                              ;   in Loop: Header=BB201_328 Depth=1
	v_bfe_u32 v0, v15, 16, 7
	v_mov_b32_e32 v20, 0x7f800001
	v_mov_b32_e32 v21, 0
	v_cmp_ne_u32_e64 s[0:1], s29, v0
	s_and_saveexec_b64 s[18:19], s[0:1]
	s_cbranch_execz .LBB201_475
; %bb.474:                              ;   in Loop: Header=BB201_328 Depth=1
	v_and_b32_e32 v24, 7, v11
	v_lshrrev_b32_e32 v26, 3, v0
	v_cmp_gt_u32_e64 s[0:1], 8, v0
	v_ffbh_u32_e32 v0, v24
	v_min_u32_e32 v0, 32, v0
	v_subrev_u32_e32 v20, 28, v0
	v_lshlrev_b64 v[20:21], v20, v[11:12]
	v_sub_u32_e32 v0, 29, v0
	v_and_b32_e32 v20, 7, v20
	v_cndmask_b32_e64 v0, v26, v0, s[0:1]
	v_cndmask_b32_e64 v20, v24, v20, s[0:1]
	v_lshlrev_b32_e32 v20, 20, v20
	v_and_b32_sdwa v11, sext(v11), s30 dst_sel:DWORD dst_unused:UNUSED_PAD src0_sel:BYTE_0 src1_sel:DWORD
	v_lshl_add_u32 v0, v0, 23, v50
	v_or3_b32 v20, v11, v0, v20
	v_mov_b32_e32 v21, v5
.LBB201_475:                            ;   in Loop: Header=BB201_328 Depth=1
	s_or_b64 exec, exec, s[18:19]
.LBB201_476:                            ;   in Loop: Header=BB201_328 Depth=1
	s_or_b64 exec, exec, s[16:17]
.LBB201_477:                            ;   in Loop: Header=BB201_328 Depth=1
	s_or_b64 exec, exec, s[12:13]
	v_cmp_lt_u32_e64 s[0:1], s31, v15
	s_and_saveexec_b64 s[12:13], s[0:1]
	s_cbranch_execz .LBB201_483
; %bb.478:                              ;   in Loop: Header=BB201_328 Depth=1
	v_mov_b32_e32 v23, v6
	v_cmp_ne_u32_sdwa s[0:1], v15, s28 src0_sel:BYTE_3 src1_sel:DWORD
	v_mov_b32_e32 v22, v5
	s_and_saveexec_b64 s[16:17], s[0:1]
	s_cbranch_execz .LBB201_482
; %bb.479:                              ;   in Loop: Header=BB201_328 Depth=1
	v_bfe_u32 v0, v15, 24, 7
	v_mov_b32_e32 v11, v5
	v_mov_b32_e32 v23, v12
	v_cmp_ne_u32_e64 s[0:1], s29, v0
	v_mov_b32_e32 v22, v11
	s_and_saveexec_b64 s[18:19], s[0:1]
	s_cbranch_execz .LBB201_481
; %bb.480:                              ;   in Loop: Header=BB201_328 Depth=1
	v_and_b32_sdwa v22, v15, v55 dst_sel:DWORD dst_unused:UNUSED_PAD src0_sel:BYTE_3 src1_sel:DWORD
	v_lshrrev_b32_e32 v11, 3, v0
	v_cmp_gt_u32_e64 s[0:1], 8, v0
	v_ffbh_u32_e32 v0, v22
	v_min_u32_e32 v0, 32, v0
	v_mov_b32_e32 v23, v5
	v_subrev_u32_e32 v24, 28, v0
	v_lshlrev_b64 v[23:24], v24, v[22:23]
	v_sub_u32_e32 v0, 29, v0
	v_and_b32_e32 v23, 7, v23
	v_cndmask_b32_e64 v0, v11, v0, s[0:1]
	v_mov_b32_e32 v7, 24
	v_cndmask_b32_e64 v11, v22, v23, s[0:1]
	v_lshlrev_b32_sdwa v15, v7, v15 dst_sel:DWORD dst_unused:UNUSED_PAD src0_sel:DWORD src1_sel:BYTE_3
	v_lshl_add_u32 v0, v0, 23, v50
	v_and_or_b32 v0, v15, s30, v0
	v_lshlrev_b32_e32 v11, 20, v11
	v_or_b32_e32 v23, v0, v11
	v_mov_b32_e32 v22, v5
.LBB201_481:                            ;   in Loop: Header=BB201_328 Depth=1
	s_or_b64 exec, exec, s[18:19]
.LBB201_482:                            ;   in Loop: Header=BB201_328 Depth=1
	s_or_b64 exec, exec, s[16:17]
.LBB201_483:                            ;   in Loop: Header=BB201_328 Depth=1
	s_or_b64 exec, exec, s[12:13]
	v_or_b32_e32 v0, v19, v17
	v_or_b32_e32 v11, v18, v16
	v_mul_f32_e32 v26, s38, v0
	v_mul_f32_e32 v41, s37, v11
	v_or_b32_e32 v0, v23, v21
	v_or_b32_e32 v11, v22, v20
	v_mul_f32_e32 v24, s37, v11
	v_mul_f32_e32 v0, s38, v0
	s_and_saveexec_b64 s[12:13], vcc
; %bb.484:                              ;   in Loop: Header=BB201_328 Depth=1
	v_cmp_gt_i32_e64 s[0:1], s33, v8
	v_cndmask_b32_e64 v41, 0, v41, s[0:1]
	v_cmp_gt_i32_e64 s[0:1], s33, v53
	v_cndmask_b32_e64 v26, 0, v26, s[0:1]
	;; [unrolled: 2-line block ×4, first 2 shown]
; %bb.485:                              ;   in Loop: Header=BB201_328 Depth=1
	s_or_b64 exec, exec, s[12:13]
	global_load_dword v15, v[13:14], off offset:1536
	v_mov_b32_e32 v18, 0
	v_mov_b32_e32 v16, 0
	;; [unrolled: 1-line block ×4, first 2 shown]
	s_waitcnt vmcnt(0)
	v_cmp_ne_u16_sdwa s[0:1], v15, v5 src0_sel:BYTE_0 src1_sel:DWORD
	s_and_saveexec_b64 s[12:13], s[0:1]
	s_cbranch_execz .LBB201_491
; %bb.486:                              ;   in Loop: Header=BB201_328 Depth=1
	v_bfrev_b32_e32 v16, 1
	v_mov_b32_e32 v17, 0
	v_cmp_ne_u16_sdwa s[0:1], v15, s28 src0_sel:BYTE_0 src1_sel:DWORD
	s_and_saveexec_b64 s[16:17], s[0:1]
	s_cbranch_execz .LBB201_490
; %bb.487:                              ;   in Loop: Header=BB201_328 Depth=1
	v_and_b32_e32 v11, 0x7f, v15
	v_mov_b32_e32 v16, 0x7f800001
	v_mov_b32_e32 v17, 0
	v_cmp_ne_u32_e64 s[0:1], s29, v11
	s_and_saveexec_b64 s[18:19], s[0:1]
	s_cbranch_execz .LBB201_489
; %bb.488:                              ;   in Loop: Header=BB201_328 Depth=1
	v_and_b32_e32 v20, 7, v15
	v_lshrrev_b32_e32 v21, 3, v11
	v_cmp_gt_u32_e64 s[0:1], 8, v11
	v_ffbh_u32_e32 v11, v20
	v_min_u32_e32 v11, 32, v11
	v_subrev_u32_e32 v16, 28, v11
	v_lshlrev_b64 v[16:17], v16, v[15:16]
	v_sub_u32_e32 v11, 29, v11
	v_and_b32_e32 v16, 7, v16
	v_cndmask_b32_e64 v11, v21, v11, s[0:1]
	v_cndmask_b32_e64 v16, v20, v16, s[0:1]
	v_lshlrev_b32_e32 v16, 20, v16
	v_and_b32_sdwa v17, sext(v15), s30 dst_sel:DWORD dst_unused:UNUSED_PAD src0_sel:BYTE_0 src1_sel:DWORD
	v_lshl_add_u32 v11, v11, 23, v50
	v_or3_b32 v16, v17, v11, v16
	v_mov_b32_e32 v17, v5
.LBB201_489:                            ;   in Loop: Header=BB201_328 Depth=1
	s_or_b64 exec, exec, s[18:19]
.LBB201_490:                            ;   in Loop: Header=BB201_328 Depth=1
	s_or_b64 exec, exec, s[16:17]
.LBB201_491:                            ;   in Loop: Header=BB201_328 Depth=1
	s_or_b64 exec, exec, s[12:13]
	v_cmp_ne_u16_sdwa s[0:1], v15, v5 src0_sel:BYTE_1 src1_sel:DWORD
	s_and_saveexec_b64 s[12:13], s[0:1]
	s_cbranch_execz .LBB201_497
; %bb.492:                              ;   in Loop: Header=BB201_328 Depth=1
	v_mov_b32_e32 v19, v6
	v_cmp_ne_u16_sdwa s[0:1], v15, s28 src0_sel:BYTE_1 src1_sel:DWORD
	v_mov_b32_e32 v18, v5
	s_and_saveexec_b64 s[16:17], s[0:1]
	s_cbranch_execz .LBB201_496
; %bb.493:                              ;   in Loop: Header=BB201_328 Depth=1
	v_and_b32_sdwa v20, v15, s29 dst_sel:DWORD dst_unused:UNUSED_PAD src0_sel:BYTE_1 src1_sel:DWORD
	v_mov_b32_e32 v11, v5
	v_mov_b32_e32 v19, v12
	v_cmp_ne_u32_e64 s[0:1], s29, v20
	v_mov_b32_e32 v18, v11
	s_and_saveexec_b64 s[18:19], s[0:1]
	s_cbranch_execz .LBB201_495
; %bb.494:                              ;   in Loop: Header=BB201_328 Depth=1
	v_and_b32_sdwa v18, v15, v55 dst_sel:DWORD dst_unused:UNUSED_PAD src0_sel:BYTE_1 src1_sel:DWORD
	v_lshrrev_b32_e32 v11, 3, v20
	v_cmp_gt_u32_e64 s[0:1], 8, v20
	v_ffbh_u32_e32 v20, v18
	v_min_u32_e32 v21, 32, v20
	v_mov_b32_e32 v19, v5
	v_subrev_u32_e32 v20, 28, v21
	v_lshlrev_b64 v[19:20], v20, v[18:19]
	v_sub_u32_e32 v20, 29, v21
	v_and_b32_e32 v19, 7, v19
	v_cndmask_b32_e64 v11, v11, v20, s[0:1]
	v_cndmask_b32_e64 v18, v18, v19, s[0:1]
	v_lshlrev_b32_e32 v19, 16, v15
	v_lshl_add_u32 v11, v11, 23, v50
	v_and_or_b32 v11, v19, s30, v11
	v_lshlrev_b32_e32 v18, 20, v18
	v_or_b32_e32 v19, v11, v18
	v_mov_b32_e32 v18, v5
.LBB201_495:                            ;   in Loop: Header=BB201_328 Depth=1
	s_or_b64 exec, exec, s[18:19]
.LBB201_496:                            ;   in Loop: Header=BB201_328 Depth=1
	s_or_b64 exec, exec, s[16:17]
.LBB201_497:                            ;   in Loop: Header=BB201_328 Depth=1
	s_or_b64 exec, exec, s[12:13]
	v_lshrrev_b32_e32 v11, 16, v15
	v_mov_b32_e32 v22, 0
	v_mov_b32_e32 v20, 0
	;; [unrolled: 1-line block ×4, first 2 shown]
	v_cmp_ne_u16_sdwa s[0:1], v11, v5 src0_sel:BYTE_0 src1_sel:DWORD
	s_and_saveexec_b64 s[12:13], s[0:1]
	s_cbranch_execz .LBB201_503
; %bb.498:                              ;   in Loop: Header=BB201_328 Depth=1
	v_bfrev_b32_e32 v20, 1
	v_mov_b32_e32 v21, 0
	v_cmp_ne_u16_sdwa s[0:1], v11, s28 src0_sel:BYTE_0 src1_sel:DWORD
	s_and_saveexec_b64 s[16:17], s[0:1]
	s_cbranch_execz .LBB201_502
; %bb.499:                              ;   in Loop: Header=BB201_328 Depth=1
	v_bfe_u32 v28, v15, 16, 7
	v_mov_b32_e32 v20, 0x7f800001
	v_mov_b32_e32 v21, 0
	v_cmp_ne_u32_e64 s[0:1], s29, v28
	s_and_saveexec_b64 s[18:19], s[0:1]
	s_cbranch_execz .LBB201_501
; %bb.500:                              ;   in Loop: Header=BB201_328 Depth=1
	v_and_b32_e32 v29, 7, v11
	v_ffbh_u32_e32 v20, v29
	v_lshrrev_b32_e32 v30, 3, v28
	v_cmp_gt_u32_e64 s[0:1], 8, v28
	v_min_u32_e32 v28, 32, v20
	v_subrev_u32_e32 v20, 28, v28
	v_lshlrev_b64 v[20:21], v20, v[11:12]
	v_sub_u32_e32 v21, 29, v28
	v_and_b32_e32 v20, 7, v20
	v_cndmask_b32_e64 v21, v30, v21, s[0:1]
	v_cndmask_b32_e64 v20, v29, v20, s[0:1]
	v_lshlrev_b32_e32 v20, 20, v20
	v_and_b32_sdwa v11, sext(v11), s30 dst_sel:DWORD dst_unused:UNUSED_PAD src0_sel:BYTE_0 src1_sel:DWORD
	v_lshl_add_u32 v21, v21, 23, v50
	v_or3_b32 v20, v11, v21, v20
	v_mov_b32_e32 v21, v5
.LBB201_501:                            ;   in Loop: Header=BB201_328 Depth=1
	s_or_b64 exec, exec, s[18:19]
.LBB201_502:                            ;   in Loop: Header=BB201_328 Depth=1
	s_or_b64 exec, exec, s[16:17]
.LBB201_503:                            ;   in Loop: Header=BB201_328 Depth=1
	s_or_b64 exec, exec, s[12:13]
	v_cmp_lt_u32_e64 s[0:1], s31, v15
	s_and_saveexec_b64 s[12:13], s[0:1]
	s_cbranch_execz .LBB201_509
; %bb.504:                              ;   in Loop: Header=BB201_328 Depth=1
	v_mov_b32_e32 v23, v6
	v_cmp_ne_u32_sdwa s[0:1], v15, s28 src0_sel:BYTE_3 src1_sel:DWORD
	v_mov_b32_e32 v22, v5
	s_and_saveexec_b64 s[16:17], s[0:1]
	s_cbranch_execz .LBB201_508
; %bb.505:                              ;   in Loop: Header=BB201_328 Depth=1
	v_bfe_u32 v28, v15, 24, 7
	v_mov_b32_e32 v11, v5
	v_mov_b32_e32 v23, v12
	v_cmp_ne_u32_e64 s[0:1], s29, v28
	v_mov_b32_e32 v22, v11
	s_and_saveexec_b64 s[18:19], s[0:1]
	s_cbranch_execz .LBB201_507
; %bb.506:                              ;   in Loop: Header=BB201_328 Depth=1
	v_and_b32_sdwa v22, v15, v55 dst_sel:DWORD dst_unused:UNUSED_PAD src0_sel:BYTE_3 src1_sel:DWORD
	v_lshrrev_b32_e32 v11, 3, v28
	v_cmp_gt_u32_e64 s[0:1], 8, v28
	v_ffbh_u32_e32 v28, v22
	v_min_u32_e32 v30, 32, v28
	v_mov_b32_e32 v23, v5
	v_subrev_u32_e32 v28, 28, v30
	v_lshlrev_b64 v[28:29], v28, v[22:23]
	v_sub_u32_e32 v23, 29, v30
	v_and_b32_e32 v28, 7, v28
	v_cndmask_b32_e64 v11, v11, v23, s[0:1]
	v_mov_b32_e32 v7, 24
	v_cndmask_b32_e64 v22, v22, v28, s[0:1]
	v_lshlrev_b32_sdwa v15, v7, v15 dst_sel:DWORD dst_unused:UNUSED_PAD src0_sel:DWORD src1_sel:BYTE_3
	v_lshl_add_u32 v11, v11, 23, v50
	v_and_or_b32 v11, v15, s30, v11
	v_lshlrev_b32_e32 v15, 20, v22
	v_or_b32_e32 v23, v11, v15
	v_mov_b32_e32 v22, v5
.LBB201_507:                            ;   in Loop: Header=BB201_328 Depth=1
	s_or_b64 exec, exec, s[18:19]
.LBB201_508:                            ;   in Loop: Header=BB201_328 Depth=1
	s_or_b64 exec, exec, s[16:17]
.LBB201_509:                            ;   in Loop: Header=BB201_328 Depth=1
	s_or_b64 exec, exec, s[12:13]
	v_or_b32_e32 v11, v19, v17
	v_or_b32_e32 v15, v18, v16
	v_mul_f32_e32 v28, s38, v11
	v_mul_f32_e32 v31, s37, v15
	v_or_b32_e32 v11, v23, v21
	v_or_b32_e32 v15, v22, v20
	v_mul_f32_e32 v30, s37, v15
	v_mul_f32_e32 v29, s38, v11
	s_and_saveexec_b64 s[12:13], vcc
; %bb.510:                              ;   in Loop: Header=BB201_328 Depth=1
	v_cmp_gt_i32_e64 s[0:1], s33, v8
	v_cndmask_b32_e64 v31, 0, v31, s[0:1]
	v_cmp_gt_i32_e64 s[0:1], s33, v53
	v_cndmask_b32_e64 v28, 0, v28, s[0:1]
	v_cmp_gt_i32_e64 s[0:1], s33, v52
	v_cndmask_b32_e64 v30, 0, v30, s[0:1]
	v_cmp_gt_i32_e64 s[0:1], s33, v51
	v_cndmask_b32_e64 v29, 0, v29, s[0:1]
; %bb.511:                              ;   in Loop: Header=BB201_328 Depth=1
	s_or_b64 exec, exec, s[12:13]
	global_load_dword v15, v[13:14], off offset:1792
	v_mov_b32_e32 v18, 0
	v_mov_b32_e32 v16, 0
	;; [unrolled: 1-line block ×4, first 2 shown]
	s_waitcnt vmcnt(0)
	v_cmp_ne_u16_sdwa s[0:1], v15, v5 src0_sel:BYTE_0 src1_sel:DWORD
	s_and_saveexec_b64 s[12:13], s[0:1]
	s_cbranch_execz .LBB201_517
; %bb.512:                              ;   in Loop: Header=BB201_328 Depth=1
	v_bfrev_b32_e32 v16, 1
	v_mov_b32_e32 v17, 0
	v_cmp_ne_u16_sdwa s[0:1], v15, s28 src0_sel:BYTE_0 src1_sel:DWORD
	s_and_saveexec_b64 s[16:17], s[0:1]
	s_cbranch_execz .LBB201_516
; %bb.513:                              ;   in Loop: Header=BB201_328 Depth=1
	v_and_b32_e32 v11, 0x7f, v15
	v_mov_b32_e32 v16, 0x7f800001
	v_mov_b32_e32 v17, 0
	v_cmp_ne_u32_e64 s[0:1], s29, v11
	s_and_saveexec_b64 s[18:19], s[0:1]
	s_cbranch_execz .LBB201_515
; %bb.514:                              ;   in Loop: Header=BB201_328 Depth=1
	v_and_b32_e32 v20, 7, v15
	v_lshrrev_b32_e32 v21, 3, v11
	v_cmp_gt_u32_e64 s[0:1], 8, v11
	v_ffbh_u32_e32 v11, v20
	v_min_u32_e32 v11, 32, v11
	v_subrev_u32_e32 v16, 28, v11
	v_lshlrev_b64 v[16:17], v16, v[15:16]
	v_sub_u32_e32 v11, 29, v11
	v_and_b32_e32 v16, 7, v16
	v_cndmask_b32_e64 v11, v21, v11, s[0:1]
	v_cndmask_b32_e64 v16, v20, v16, s[0:1]
	v_lshlrev_b32_e32 v16, 20, v16
	v_and_b32_sdwa v17, sext(v15), s30 dst_sel:DWORD dst_unused:UNUSED_PAD src0_sel:BYTE_0 src1_sel:DWORD
	v_lshl_add_u32 v11, v11, 23, v50
	v_or3_b32 v16, v17, v11, v16
	v_mov_b32_e32 v17, v5
.LBB201_515:                            ;   in Loop: Header=BB201_328 Depth=1
	s_or_b64 exec, exec, s[18:19]
.LBB201_516:                            ;   in Loop: Header=BB201_328 Depth=1
	s_or_b64 exec, exec, s[16:17]
.LBB201_517:                            ;   in Loop: Header=BB201_328 Depth=1
	s_or_b64 exec, exec, s[12:13]
	v_cmp_ne_u16_sdwa s[0:1], v15, v5 src0_sel:BYTE_1 src1_sel:DWORD
	s_and_saveexec_b64 s[12:13], s[0:1]
	s_cbranch_execz .LBB201_523
; %bb.518:                              ;   in Loop: Header=BB201_328 Depth=1
	v_mov_b32_e32 v19, v6
	v_cmp_ne_u16_sdwa s[0:1], v15, s28 src0_sel:BYTE_1 src1_sel:DWORD
	v_mov_b32_e32 v18, v5
	s_and_saveexec_b64 s[16:17], s[0:1]
	s_cbranch_execz .LBB201_522
; %bb.519:                              ;   in Loop: Header=BB201_328 Depth=1
	v_and_b32_sdwa v20, v15, s29 dst_sel:DWORD dst_unused:UNUSED_PAD src0_sel:BYTE_1 src1_sel:DWORD
	v_mov_b32_e32 v11, v5
	v_mov_b32_e32 v19, v12
	v_cmp_ne_u32_e64 s[0:1], s29, v20
	v_mov_b32_e32 v18, v11
	s_and_saveexec_b64 s[18:19], s[0:1]
	s_cbranch_execz .LBB201_521
; %bb.520:                              ;   in Loop: Header=BB201_328 Depth=1
	v_and_b32_sdwa v18, v15, v55 dst_sel:DWORD dst_unused:UNUSED_PAD src0_sel:BYTE_1 src1_sel:DWORD
	v_lshrrev_b32_e32 v11, 3, v20
	v_cmp_gt_u32_e64 s[0:1], 8, v20
	v_ffbh_u32_e32 v20, v18
	v_min_u32_e32 v21, 32, v20
	v_mov_b32_e32 v19, v5
	v_subrev_u32_e32 v20, 28, v21
	v_lshlrev_b64 v[19:20], v20, v[18:19]
	v_sub_u32_e32 v20, 29, v21
	v_and_b32_e32 v19, 7, v19
	v_cndmask_b32_e64 v11, v11, v20, s[0:1]
	v_cndmask_b32_e64 v18, v18, v19, s[0:1]
	v_lshlrev_b32_e32 v19, 16, v15
	v_lshl_add_u32 v11, v11, 23, v50
	v_and_or_b32 v11, v19, s30, v11
	v_lshlrev_b32_e32 v18, 20, v18
	v_or_b32_e32 v19, v11, v18
	v_mov_b32_e32 v18, v5
.LBB201_521:                            ;   in Loop: Header=BB201_328 Depth=1
	s_or_b64 exec, exec, s[18:19]
.LBB201_522:                            ;   in Loop: Header=BB201_328 Depth=1
	s_or_b64 exec, exec, s[16:17]
.LBB201_523:                            ;   in Loop: Header=BB201_328 Depth=1
	s_or_b64 exec, exec, s[12:13]
	v_lshrrev_b32_e32 v11, 16, v15
	v_mov_b32_e32 v22, 0
	v_mov_b32_e32 v20, 0
	;; [unrolled: 1-line block ×4, first 2 shown]
	v_cmp_ne_u16_sdwa s[0:1], v11, v5 src0_sel:BYTE_0 src1_sel:DWORD
	s_and_saveexec_b64 s[12:13], s[0:1]
	s_cbranch_execz .LBB201_529
; %bb.524:                              ;   in Loop: Header=BB201_328 Depth=1
	v_bfrev_b32_e32 v20, 1
	v_mov_b32_e32 v21, 0
	v_cmp_ne_u16_sdwa s[0:1], v11, s28 src0_sel:BYTE_0 src1_sel:DWORD
	s_and_saveexec_b64 s[16:17], s[0:1]
	s_cbranch_execz .LBB201_528
; %bb.525:                              ;   in Loop: Header=BB201_328 Depth=1
	v_bfe_u32 v32, v15, 16, 7
	v_mov_b32_e32 v20, 0x7f800001
	v_mov_b32_e32 v21, 0
	v_cmp_ne_u32_e64 s[0:1], s29, v32
	s_and_saveexec_b64 s[18:19], s[0:1]
	s_cbranch_execz .LBB201_527
; %bb.526:                              ;   in Loop: Header=BB201_328 Depth=1
	v_and_b32_e32 v33, 7, v11
	v_ffbh_u32_e32 v20, v33
	v_lshrrev_b32_e32 v34, 3, v32
	v_cmp_gt_u32_e64 s[0:1], 8, v32
	v_min_u32_e32 v32, 32, v20
	v_subrev_u32_e32 v20, 28, v32
	v_lshlrev_b64 v[20:21], v20, v[11:12]
	v_sub_u32_e32 v21, 29, v32
	v_and_b32_e32 v20, 7, v20
	v_cndmask_b32_e64 v21, v34, v21, s[0:1]
	v_cndmask_b32_e64 v20, v33, v20, s[0:1]
	v_lshlrev_b32_e32 v20, 20, v20
	v_and_b32_sdwa v11, sext(v11), s30 dst_sel:DWORD dst_unused:UNUSED_PAD src0_sel:BYTE_0 src1_sel:DWORD
	v_lshl_add_u32 v21, v21, 23, v50
	v_or3_b32 v20, v11, v21, v20
	v_mov_b32_e32 v21, v5
.LBB201_527:                            ;   in Loop: Header=BB201_328 Depth=1
	s_or_b64 exec, exec, s[18:19]
.LBB201_528:                            ;   in Loop: Header=BB201_328 Depth=1
	s_or_b64 exec, exec, s[16:17]
.LBB201_529:                            ;   in Loop: Header=BB201_328 Depth=1
	s_or_b64 exec, exec, s[12:13]
	v_cmp_lt_u32_e64 s[0:1], s31, v15
	s_and_saveexec_b64 s[12:13], s[0:1]
	s_cbranch_execz .LBB201_535
; %bb.530:                              ;   in Loop: Header=BB201_328 Depth=1
	v_mov_b32_e32 v23, v6
	v_cmp_ne_u32_sdwa s[0:1], v15, s28 src0_sel:BYTE_3 src1_sel:DWORD
	v_mov_b32_e32 v22, v5
	s_and_saveexec_b64 s[16:17], s[0:1]
	s_cbranch_execz .LBB201_534
; %bb.531:                              ;   in Loop: Header=BB201_328 Depth=1
	v_bfe_u32 v32, v15, 24, 7
	v_mov_b32_e32 v11, v5
	v_mov_b32_e32 v23, v12
	v_cmp_ne_u32_e64 s[0:1], s29, v32
	v_mov_b32_e32 v22, v11
	s_and_saveexec_b64 s[18:19], s[0:1]
	s_cbranch_execz .LBB201_533
; %bb.532:                              ;   in Loop: Header=BB201_328 Depth=1
	v_and_b32_sdwa v22, v15, v55 dst_sel:DWORD dst_unused:UNUSED_PAD src0_sel:BYTE_3 src1_sel:DWORD
	v_lshrrev_b32_e32 v11, 3, v32
	v_cmp_gt_u32_e64 s[0:1], 8, v32
	v_ffbh_u32_e32 v32, v22
	v_min_u32_e32 v34, 32, v32
	v_mov_b32_e32 v23, v5
	v_subrev_u32_e32 v32, 28, v34
	v_lshlrev_b64 v[32:33], v32, v[22:23]
	v_sub_u32_e32 v23, 29, v34
	v_and_b32_e32 v32, 7, v32
	v_cndmask_b32_e64 v11, v11, v23, s[0:1]
	v_mov_b32_e32 v7, 24
	v_cndmask_b32_e64 v22, v22, v32, s[0:1]
	v_lshlrev_b32_sdwa v15, v7, v15 dst_sel:DWORD dst_unused:UNUSED_PAD src0_sel:DWORD src1_sel:BYTE_3
	v_lshl_add_u32 v11, v11, 23, v50
	v_and_or_b32 v11, v15, s30, v11
	v_lshlrev_b32_e32 v15, 20, v22
	v_or_b32_e32 v23, v11, v15
	v_mov_b32_e32 v22, v5
.LBB201_533:                            ;   in Loop: Header=BB201_328 Depth=1
	s_or_b64 exec, exec, s[18:19]
.LBB201_534:                            ;   in Loop: Header=BB201_328 Depth=1
	s_or_b64 exec, exec, s[16:17]
.LBB201_535:                            ;   in Loop: Header=BB201_328 Depth=1
	s_or_b64 exec, exec, s[12:13]
	v_or_b32_e32 v11, v19, v17
	v_or_b32_e32 v15, v18, v16
	v_mul_f32_e32 v32, s38, v11
	v_mul_f32_e32 v35, s37, v15
	v_or_b32_e32 v11, v23, v21
	v_or_b32_e32 v15, v22, v20
	v_mul_f32_e32 v34, s37, v15
	v_mul_f32_e32 v33, s38, v11
	s_and_saveexec_b64 s[12:13], vcc
; %bb.536:                              ;   in Loop: Header=BB201_328 Depth=1
	v_cmp_gt_i32_e64 s[0:1], s33, v8
	v_cndmask_b32_e64 v35, 0, v35, s[0:1]
	v_cmp_gt_i32_e64 s[0:1], s33, v53
	v_cndmask_b32_e64 v32, 0, v32, s[0:1]
	;; [unrolled: 2-line block ×4, first 2 shown]
; %bb.537:                              ;   in Loop: Header=BB201_328 Depth=1
	s_or_b64 exec, exec, s[12:13]
	global_load_dword v15, v[13:14], off offset:2048
	v_mov_b32_e32 v18, 0
	v_mov_b32_e32 v16, 0
	;; [unrolled: 1-line block ×4, first 2 shown]
	s_waitcnt vmcnt(0)
	v_cmp_ne_u16_sdwa s[0:1], v15, v5 src0_sel:BYTE_0 src1_sel:DWORD
	s_and_saveexec_b64 s[12:13], s[0:1]
	s_cbranch_execz .LBB201_543
; %bb.538:                              ;   in Loop: Header=BB201_328 Depth=1
	v_bfrev_b32_e32 v16, 1
	v_mov_b32_e32 v17, 0
	v_cmp_ne_u16_sdwa s[0:1], v15, s28 src0_sel:BYTE_0 src1_sel:DWORD
	s_and_saveexec_b64 s[16:17], s[0:1]
	s_cbranch_execz .LBB201_542
; %bb.539:                              ;   in Loop: Header=BB201_328 Depth=1
	v_and_b32_e32 v11, 0x7f, v15
	v_mov_b32_e32 v16, 0x7f800001
	v_mov_b32_e32 v17, 0
	v_cmp_ne_u32_e64 s[0:1], s29, v11
	s_and_saveexec_b64 s[18:19], s[0:1]
	s_cbranch_execz .LBB201_541
; %bb.540:                              ;   in Loop: Header=BB201_328 Depth=1
	v_and_b32_e32 v20, 7, v15
	v_lshrrev_b32_e32 v21, 3, v11
	v_cmp_gt_u32_e64 s[0:1], 8, v11
	v_ffbh_u32_e32 v11, v20
	v_min_u32_e32 v11, 32, v11
	v_subrev_u32_e32 v16, 28, v11
	v_lshlrev_b64 v[16:17], v16, v[15:16]
	v_sub_u32_e32 v11, 29, v11
	v_and_b32_e32 v16, 7, v16
	v_cndmask_b32_e64 v11, v21, v11, s[0:1]
	v_cndmask_b32_e64 v16, v20, v16, s[0:1]
	v_lshlrev_b32_e32 v16, 20, v16
	v_and_b32_sdwa v17, sext(v15), s30 dst_sel:DWORD dst_unused:UNUSED_PAD src0_sel:BYTE_0 src1_sel:DWORD
	v_lshl_add_u32 v11, v11, 23, v50
	v_or3_b32 v16, v17, v11, v16
	v_mov_b32_e32 v17, v5
.LBB201_541:                            ;   in Loop: Header=BB201_328 Depth=1
	s_or_b64 exec, exec, s[18:19]
.LBB201_542:                            ;   in Loop: Header=BB201_328 Depth=1
	s_or_b64 exec, exec, s[16:17]
.LBB201_543:                            ;   in Loop: Header=BB201_328 Depth=1
	s_or_b64 exec, exec, s[12:13]
	v_cmp_ne_u16_sdwa s[0:1], v15, v5 src0_sel:BYTE_1 src1_sel:DWORD
	s_and_saveexec_b64 s[12:13], s[0:1]
	s_cbranch_execz .LBB201_549
; %bb.544:                              ;   in Loop: Header=BB201_328 Depth=1
	v_mov_b32_e32 v19, v6
	v_cmp_ne_u16_sdwa s[0:1], v15, s28 src0_sel:BYTE_1 src1_sel:DWORD
	v_mov_b32_e32 v18, v5
	s_and_saveexec_b64 s[16:17], s[0:1]
	s_cbranch_execz .LBB201_548
; %bb.545:                              ;   in Loop: Header=BB201_328 Depth=1
	v_and_b32_sdwa v20, v15, s29 dst_sel:DWORD dst_unused:UNUSED_PAD src0_sel:BYTE_1 src1_sel:DWORD
	v_mov_b32_e32 v11, v5
	v_mov_b32_e32 v19, v12
	v_cmp_ne_u32_e64 s[0:1], s29, v20
	v_mov_b32_e32 v18, v11
	s_and_saveexec_b64 s[18:19], s[0:1]
	s_cbranch_execz .LBB201_547
; %bb.546:                              ;   in Loop: Header=BB201_328 Depth=1
	v_and_b32_sdwa v18, v15, v55 dst_sel:DWORD dst_unused:UNUSED_PAD src0_sel:BYTE_1 src1_sel:DWORD
	v_lshrrev_b32_e32 v11, 3, v20
	v_cmp_gt_u32_e64 s[0:1], 8, v20
	v_ffbh_u32_e32 v20, v18
	v_min_u32_e32 v21, 32, v20
	v_mov_b32_e32 v19, v5
	v_subrev_u32_e32 v20, 28, v21
	v_lshlrev_b64 v[19:20], v20, v[18:19]
	v_sub_u32_e32 v20, 29, v21
	v_and_b32_e32 v19, 7, v19
	v_cndmask_b32_e64 v11, v11, v20, s[0:1]
	v_cndmask_b32_e64 v18, v18, v19, s[0:1]
	v_lshlrev_b32_e32 v19, 16, v15
	v_lshl_add_u32 v11, v11, 23, v50
	v_and_or_b32 v11, v19, s30, v11
	v_lshlrev_b32_e32 v18, 20, v18
	v_or_b32_e32 v19, v11, v18
	v_mov_b32_e32 v18, v5
.LBB201_547:                            ;   in Loop: Header=BB201_328 Depth=1
	s_or_b64 exec, exec, s[18:19]
.LBB201_548:                            ;   in Loop: Header=BB201_328 Depth=1
	s_or_b64 exec, exec, s[16:17]
.LBB201_549:                            ;   in Loop: Header=BB201_328 Depth=1
	s_or_b64 exec, exec, s[12:13]
	v_lshrrev_b32_e32 v11, 16, v15
	v_mov_b32_e32 v22, 0
	v_mov_b32_e32 v20, 0
	;; [unrolled: 1-line block ×4, first 2 shown]
	v_cmp_ne_u16_sdwa s[0:1], v11, v5 src0_sel:BYTE_0 src1_sel:DWORD
	s_and_saveexec_b64 s[12:13], s[0:1]
	s_cbranch_execz .LBB201_555
; %bb.550:                              ;   in Loop: Header=BB201_328 Depth=1
	v_bfrev_b32_e32 v20, 1
	v_mov_b32_e32 v21, 0
	v_cmp_ne_u16_sdwa s[0:1], v11, s28 src0_sel:BYTE_0 src1_sel:DWORD
	s_and_saveexec_b64 s[16:17], s[0:1]
	s_cbranch_execz .LBB201_554
; %bb.551:                              ;   in Loop: Header=BB201_328 Depth=1
	v_bfe_u32 v36, v15, 16, 7
	v_mov_b32_e32 v20, 0x7f800001
	v_mov_b32_e32 v21, 0
	v_cmp_ne_u32_e64 s[0:1], s29, v36
	s_and_saveexec_b64 s[18:19], s[0:1]
	s_cbranch_execz .LBB201_553
; %bb.552:                              ;   in Loop: Header=BB201_328 Depth=1
	v_and_b32_e32 v37, 7, v11
	v_ffbh_u32_e32 v20, v37
	v_lshrrev_b32_e32 v38, 3, v36
	v_cmp_gt_u32_e64 s[0:1], 8, v36
	v_min_u32_e32 v36, 32, v20
	v_subrev_u32_e32 v20, 28, v36
	v_lshlrev_b64 v[20:21], v20, v[11:12]
	v_sub_u32_e32 v21, 29, v36
	v_and_b32_e32 v20, 7, v20
	v_cndmask_b32_e64 v21, v38, v21, s[0:1]
	v_cndmask_b32_e64 v20, v37, v20, s[0:1]
	v_lshlrev_b32_e32 v20, 20, v20
	v_and_b32_sdwa v11, sext(v11), s30 dst_sel:DWORD dst_unused:UNUSED_PAD src0_sel:BYTE_0 src1_sel:DWORD
	v_lshl_add_u32 v21, v21, 23, v50
	v_or3_b32 v20, v11, v21, v20
	v_mov_b32_e32 v21, v5
.LBB201_553:                            ;   in Loop: Header=BB201_328 Depth=1
	s_or_b64 exec, exec, s[18:19]
.LBB201_554:                            ;   in Loop: Header=BB201_328 Depth=1
	s_or_b64 exec, exec, s[16:17]
.LBB201_555:                            ;   in Loop: Header=BB201_328 Depth=1
	s_or_b64 exec, exec, s[12:13]
	v_cmp_lt_u32_e64 s[0:1], s31, v15
	s_and_saveexec_b64 s[12:13], s[0:1]
	s_cbranch_execz .LBB201_561
; %bb.556:                              ;   in Loop: Header=BB201_328 Depth=1
	v_mov_b32_e32 v23, v6
	v_cmp_ne_u32_sdwa s[0:1], v15, s28 src0_sel:BYTE_3 src1_sel:DWORD
	v_mov_b32_e32 v22, v5
	s_and_saveexec_b64 s[16:17], s[0:1]
	s_cbranch_execz .LBB201_560
; %bb.557:                              ;   in Loop: Header=BB201_328 Depth=1
	v_bfe_u32 v36, v15, 24, 7
	v_mov_b32_e32 v11, v5
	v_mov_b32_e32 v23, v12
	v_cmp_ne_u32_e64 s[0:1], s29, v36
	v_mov_b32_e32 v22, v11
	s_and_saveexec_b64 s[18:19], s[0:1]
	s_cbranch_execz .LBB201_559
; %bb.558:                              ;   in Loop: Header=BB201_328 Depth=1
	v_and_b32_sdwa v22, v15, v55 dst_sel:DWORD dst_unused:UNUSED_PAD src0_sel:BYTE_3 src1_sel:DWORD
	v_lshrrev_b32_e32 v11, 3, v36
	v_cmp_gt_u32_e64 s[0:1], 8, v36
	v_ffbh_u32_e32 v36, v22
	v_min_u32_e32 v38, 32, v36
	v_mov_b32_e32 v23, v5
	v_subrev_u32_e32 v36, 28, v38
	v_lshlrev_b64 v[36:37], v36, v[22:23]
	v_sub_u32_e32 v23, 29, v38
	v_and_b32_e32 v36, 7, v36
	v_cndmask_b32_e64 v11, v11, v23, s[0:1]
	v_mov_b32_e32 v7, 24
	v_cndmask_b32_e64 v22, v22, v36, s[0:1]
	v_lshlrev_b32_sdwa v15, v7, v15 dst_sel:DWORD dst_unused:UNUSED_PAD src0_sel:DWORD src1_sel:BYTE_3
	v_lshl_add_u32 v11, v11, 23, v50
	v_and_or_b32 v11, v15, s30, v11
	v_lshlrev_b32_e32 v15, 20, v22
	v_or_b32_e32 v23, v11, v15
	v_mov_b32_e32 v22, v5
.LBB201_559:                            ;   in Loop: Header=BB201_328 Depth=1
	s_or_b64 exec, exec, s[18:19]
.LBB201_560:                            ;   in Loop: Header=BB201_328 Depth=1
	s_or_b64 exec, exec, s[16:17]
.LBB201_561:                            ;   in Loop: Header=BB201_328 Depth=1
	s_or_b64 exec, exec, s[12:13]
	v_or_b32_e32 v11, v19, v17
	v_or_b32_e32 v15, v18, v16
	v_mul_f32_e32 v36, s38, v11
	v_mul_f32_e32 v39, s37, v15
	v_or_b32_e32 v11, v23, v21
	v_or_b32_e32 v15, v22, v20
	v_mul_f32_e32 v38, s37, v15
	v_mul_f32_e32 v37, s38, v11
	s_and_saveexec_b64 s[12:13], vcc
; %bb.562:                              ;   in Loop: Header=BB201_328 Depth=1
	v_cmp_gt_i32_e64 s[0:1], s33, v8
	v_cndmask_b32_e64 v39, 0, v39, s[0:1]
	v_cmp_gt_i32_e64 s[0:1], s33, v53
	v_cndmask_b32_e64 v36, 0, v36, s[0:1]
	;; [unrolled: 2-line block ×4, first 2 shown]
; %bb.563:                              ;   in Loop: Header=BB201_328 Depth=1
	s_or_b64 exec, exec, s[12:13]
	global_load_dword v15, v[13:14], off offset:2304
	v_mov_b32_e32 v18, 0
	v_mov_b32_e32 v16, 0
	;; [unrolled: 1-line block ×4, first 2 shown]
	s_waitcnt vmcnt(0)
	v_cmp_ne_u16_sdwa s[0:1], v15, v5 src0_sel:BYTE_0 src1_sel:DWORD
	s_and_saveexec_b64 s[12:13], s[0:1]
	s_cbranch_execz .LBB201_569
; %bb.564:                              ;   in Loop: Header=BB201_328 Depth=1
	v_bfrev_b32_e32 v16, 1
	v_mov_b32_e32 v17, 0
	v_cmp_ne_u16_sdwa s[0:1], v15, s28 src0_sel:BYTE_0 src1_sel:DWORD
	s_and_saveexec_b64 s[16:17], s[0:1]
	s_cbranch_execz .LBB201_568
; %bb.565:                              ;   in Loop: Header=BB201_328 Depth=1
	v_and_b32_e32 v11, 0x7f, v15
	v_mov_b32_e32 v16, 0x7f800001
	v_mov_b32_e32 v17, 0
	v_cmp_ne_u32_e64 s[0:1], s29, v11
	s_and_saveexec_b64 s[18:19], s[0:1]
	s_cbranch_execz .LBB201_567
; %bb.566:                              ;   in Loop: Header=BB201_328 Depth=1
	v_and_b32_e32 v20, 7, v15
	v_lshrrev_b32_e32 v21, 3, v11
	v_cmp_gt_u32_e64 s[0:1], 8, v11
	v_ffbh_u32_e32 v11, v20
	v_min_u32_e32 v11, 32, v11
	v_subrev_u32_e32 v16, 28, v11
	v_lshlrev_b64 v[16:17], v16, v[15:16]
	v_sub_u32_e32 v11, 29, v11
	v_and_b32_e32 v16, 7, v16
	v_cndmask_b32_e64 v11, v21, v11, s[0:1]
	v_cndmask_b32_e64 v16, v20, v16, s[0:1]
	v_lshlrev_b32_e32 v16, 20, v16
	v_and_b32_sdwa v17, sext(v15), s30 dst_sel:DWORD dst_unused:UNUSED_PAD src0_sel:BYTE_0 src1_sel:DWORD
	v_lshl_add_u32 v11, v11, 23, v50
	v_or3_b32 v16, v17, v11, v16
	v_mov_b32_e32 v17, v5
.LBB201_567:                            ;   in Loop: Header=BB201_328 Depth=1
	s_or_b64 exec, exec, s[18:19]
.LBB201_568:                            ;   in Loop: Header=BB201_328 Depth=1
	s_or_b64 exec, exec, s[16:17]
.LBB201_569:                            ;   in Loop: Header=BB201_328 Depth=1
	s_or_b64 exec, exec, s[12:13]
	v_cmp_ne_u16_sdwa s[0:1], v15, v5 src0_sel:BYTE_1 src1_sel:DWORD
	s_and_saveexec_b64 s[12:13], s[0:1]
	s_cbranch_execz .LBB201_575
; %bb.570:                              ;   in Loop: Header=BB201_328 Depth=1
	v_mov_b32_e32 v19, v6
	v_cmp_ne_u16_sdwa s[0:1], v15, s28 src0_sel:BYTE_1 src1_sel:DWORD
	v_mov_b32_e32 v18, v5
	s_and_saveexec_b64 s[16:17], s[0:1]
	s_cbranch_execz .LBB201_574
; %bb.571:                              ;   in Loop: Header=BB201_328 Depth=1
	v_and_b32_sdwa v20, v15, s29 dst_sel:DWORD dst_unused:UNUSED_PAD src0_sel:BYTE_1 src1_sel:DWORD
	v_mov_b32_e32 v11, v5
	v_mov_b32_e32 v19, v12
	v_cmp_ne_u32_e64 s[0:1], s29, v20
	v_mov_b32_e32 v18, v11
	s_and_saveexec_b64 s[18:19], s[0:1]
	s_cbranch_execz .LBB201_573
; %bb.572:                              ;   in Loop: Header=BB201_328 Depth=1
	v_and_b32_sdwa v18, v15, v55 dst_sel:DWORD dst_unused:UNUSED_PAD src0_sel:BYTE_1 src1_sel:DWORD
	v_lshrrev_b32_e32 v11, 3, v20
	v_cmp_gt_u32_e64 s[0:1], 8, v20
	v_ffbh_u32_e32 v20, v18
	v_min_u32_e32 v21, 32, v20
	v_mov_b32_e32 v19, v5
	v_subrev_u32_e32 v20, 28, v21
	v_lshlrev_b64 v[19:20], v20, v[18:19]
	v_sub_u32_e32 v20, 29, v21
	v_and_b32_e32 v19, 7, v19
	v_cndmask_b32_e64 v11, v11, v20, s[0:1]
	v_cndmask_b32_e64 v18, v18, v19, s[0:1]
	v_lshlrev_b32_e32 v19, 16, v15
	v_lshl_add_u32 v11, v11, 23, v50
	v_and_or_b32 v11, v19, s30, v11
	v_lshlrev_b32_e32 v18, 20, v18
	v_or_b32_e32 v19, v11, v18
	v_mov_b32_e32 v18, v5
.LBB201_573:                            ;   in Loop: Header=BB201_328 Depth=1
	s_or_b64 exec, exec, s[18:19]
.LBB201_574:                            ;   in Loop: Header=BB201_328 Depth=1
	s_or_b64 exec, exec, s[16:17]
.LBB201_575:                            ;   in Loop: Header=BB201_328 Depth=1
	s_or_b64 exec, exec, s[12:13]
	v_lshrrev_b32_e32 v11, 16, v15
	v_mov_b32_e32 v22, 0
	v_mov_b32_e32 v20, 0
	;; [unrolled: 1-line block ×4, first 2 shown]
	v_cmp_ne_u16_sdwa s[0:1], v11, v5 src0_sel:BYTE_0 src1_sel:DWORD
	s_and_saveexec_b64 s[12:13], s[0:1]
	s_cbranch_execz .LBB201_581
; %bb.576:                              ;   in Loop: Header=BB201_328 Depth=1
	v_bfrev_b32_e32 v20, 1
	v_mov_b32_e32 v21, 0
	v_cmp_ne_u16_sdwa s[0:1], v11, s28 src0_sel:BYTE_0 src1_sel:DWORD
	s_and_saveexec_b64 s[16:17], s[0:1]
	s_cbranch_execz .LBB201_580
; %bb.577:                              ;   in Loop: Header=BB201_328 Depth=1
	v_bfe_u32 v43, v15, 16, 7
	v_mov_b32_e32 v20, 0x7f800001
	v_mov_b32_e32 v21, 0
	v_cmp_ne_u32_e64 s[0:1], s29, v43
	s_and_saveexec_b64 s[18:19], s[0:1]
	s_cbranch_execz .LBB201_579
; %bb.578:                              ;   in Loop: Header=BB201_328 Depth=1
	v_and_b32_e32 v46, 7, v11
	v_ffbh_u32_e32 v20, v46
	v_lshrrev_b32_e32 v47, 3, v43
	v_cmp_gt_u32_e64 s[0:1], 8, v43
	v_min_u32_e32 v43, 32, v20
	v_subrev_u32_e32 v20, 28, v43
	v_lshlrev_b64 v[20:21], v20, v[11:12]
	v_sub_u32_e32 v21, 29, v43
	v_and_b32_e32 v20, 7, v20
	v_cndmask_b32_e64 v21, v47, v21, s[0:1]
	v_cndmask_b32_e64 v20, v46, v20, s[0:1]
	v_lshlrev_b32_e32 v20, 20, v20
	v_and_b32_sdwa v11, sext(v11), s30 dst_sel:DWORD dst_unused:UNUSED_PAD src0_sel:BYTE_0 src1_sel:DWORD
	v_lshl_add_u32 v21, v21, 23, v50
	v_or3_b32 v20, v11, v21, v20
	v_mov_b32_e32 v21, v5
.LBB201_579:                            ;   in Loop: Header=BB201_328 Depth=1
	s_or_b64 exec, exec, s[18:19]
.LBB201_580:                            ;   in Loop: Header=BB201_328 Depth=1
	s_or_b64 exec, exec, s[16:17]
.LBB201_581:                            ;   in Loop: Header=BB201_328 Depth=1
	s_or_b64 exec, exec, s[12:13]
	v_cmp_lt_u32_e64 s[0:1], s31, v15
	s_and_saveexec_b64 s[12:13], s[0:1]
	s_cbranch_execz .LBB201_587
; %bb.582:                              ;   in Loop: Header=BB201_328 Depth=1
	v_mov_b32_e32 v23, v6
	v_cmp_ne_u32_sdwa s[0:1], v15, s28 src0_sel:BYTE_3 src1_sel:DWORD
	v_mov_b32_e32 v22, v5
	s_and_saveexec_b64 s[16:17], s[0:1]
	s_cbranch_execz .LBB201_586
; %bb.583:                              ;   in Loop: Header=BB201_328 Depth=1
	v_bfe_u32 v43, v15, 24, 7
	v_mov_b32_e32 v11, v5
	v_mov_b32_e32 v23, v12
	v_cmp_ne_u32_e64 s[0:1], s29, v43
	v_mov_b32_e32 v22, v11
	s_and_saveexec_b64 s[18:19], s[0:1]
	s_cbranch_execz .LBB201_585
; %bb.584:                              ;   in Loop: Header=BB201_328 Depth=1
	v_and_b32_sdwa v22, v15, v55 dst_sel:DWORD dst_unused:UNUSED_PAD src0_sel:BYTE_3 src1_sel:DWORD
	v_lshrrev_b32_e32 v11, 3, v43
	v_cmp_gt_u32_e64 s[0:1], 8, v43
	v_ffbh_u32_e32 v43, v22
	v_min_u32_e32 v43, 32, v43
	v_mov_b32_e32 v23, v5
	v_subrev_u32_e32 v46, 28, v43
	v_lshlrev_b64 v[46:47], v46, v[22:23]
	v_sub_u32_e32 v23, 29, v43
	v_and_b32_e32 v43, 7, v46
	v_cndmask_b32_e64 v11, v11, v23, s[0:1]
	v_mov_b32_e32 v7, 24
	v_cndmask_b32_e64 v22, v22, v43, s[0:1]
	v_lshlrev_b32_sdwa v15, v7, v15 dst_sel:DWORD dst_unused:UNUSED_PAD src0_sel:DWORD src1_sel:BYTE_3
	v_lshl_add_u32 v11, v11, 23, v50
	v_and_or_b32 v11, v15, s30, v11
	v_lshlrev_b32_e32 v15, 20, v22
	v_or_b32_e32 v23, v11, v15
	v_mov_b32_e32 v22, v5
.LBB201_585:                            ;   in Loop: Header=BB201_328 Depth=1
	s_or_b64 exec, exec, s[18:19]
.LBB201_586:                            ;   in Loop: Header=BB201_328 Depth=1
	s_or_b64 exec, exec, s[16:17]
.LBB201_587:                            ;   in Loop: Header=BB201_328 Depth=1
	s_or_b64 exec, exec, s[12:13]
	v_or_b32_e32 v11, v19, v17
	v_or_b32_e32 v15, v18, v16
	v_mul_f32_e32 v43, s38, v11
	v_mul_f32_e32 v48, s37, v15
	v_or_b32_e32 v11, v23, v21
	v_or_b32_e32 v15, v22, v20
	v_mul_f32_e32 v47, s37, v15
	v_mul_f32_e32 v46, s38, v11
	s_and_saveexec_b64 s[12:13], vcc
; %bb.588:                              ;   in Loop: Header=BB201_328 Depth=1
	v_cmp_gt_i32_e64 s[0:1], s33, v8
	v_cndmask_b32_e64 v48, 0, v48, s[0:1]
	v_cmp_gt_i32_e64 s[0:1], s33, v53
	v_cndmask_b32_e64 v43, 0, v43, s[0:1]
	v_cmp_gt_i32_e64 s[0:1], s33, v52
	v_cndmask_b32_e64 v47, 0, v47, s[0:1]
	v_cmp_gt_i32_e64 s[0:1], s33, v51
	v_cndmask_b32_e64 v46, 0, v46, s[0:1]
; %bb.589:                              ;   in Loop: Header=BB201_328 Depth=1
	s_or_b64 exec, exec, s[12:13]
	global_load_dword v15, v[13:14], off offset:2560
	v_mov_b32_e32 v18, 0
	v_mov_b32_e32 v16, 0
	;; [unrolled: 1-line block ×4, first 2 shown]
	s_waitcnt vmcnt(0)
	v_cmp_ne_u16_sdwa s[0:1], v15, v5 src0_sel:BYTE_0 src1_sel:DWORD
	s_and_saveexec_b64 s[12:13], s[0:1]
	s_cbranch_execz .LBB201_595
; %bb.590:                              ;   in Loop: Header=BB201_328 Depth=1
	v_bfrev_b32_e32 v16, 1
	v_mov_b32_e32 v17, 0
	v_cmp_ne_u16_sdwa s[0:1], v15, s28 src0_sel:BYTE_0 src1_sel:DWORD
	s_and_saveexec_b64 s[16:17], s[0:1]
	s_cbranch_execz .LBB201_594
; %bb.591:                              ;   in Loop: Header=BB201_328 Depth=1
	v_and_b32_e32 v11, 0x7f, v15
	v_mov_b32_e32 v16, 0x7f800001
	v_mov_b32_e32 v17, 0
	v_cmp_ne_u32_e64 s[0:1], s29, v11
	s_and_saveexec_b64 s[18:19], s[0:1]
	s_cbranch_execz .LBB201_593
; %bb.592:                              ;   in Loop: Header=BB201_328 Depth=1
	v_and_b32_e32 v20, 7, v15
	v_lshrrev_b32_e32 v21, 3, v11
	v_cmp_gt_u32_e64 s[0:1], 8, v11
	v_ffbh_u32_e32 v11, v20
	v_min_u32_e32 v11, 32, v11
	v_subrev_u32_e32 v16, 28, v11
	v_lshlrev_b64 v[16:17], v16, v[15:16]
	v_sub_u32_e32 v11, 29, v11
	v_and_b32_e32 v16, 7, v16
	v_cndmask_b32_e64 v11, v21, v11, s[0:1]
	v_cndmask_b32_e64 v16, v20, v16, s[0:1]
	v_lshlrev_b32_e32 v16, 20, v16
	v_and_b32_sdwa v17, sext(v15), s30 dst_sel:DWORD dst_unused:UNUSED_PAD src0_sel:BYTE_0 src1_sel:DWORD
	v_lshl_add_u32 v11, v11, 23, v50
	v_or3_b32 v16, v17, v11, v16
	v_mov_b32_e32 v17, v5
.LBB201_593:                            ;   in Loop: Header=BB201_328 Depth=1
	s_or_b64 exec, exec, s[18:19]
.LBB201_594:                            ;   in Loop: Header=BB201_328 Depth=1
	s_or_b64 exec, exec, s[16:17]
.LBB201_595:                            ;   in Loop: Header=BB201_328 Depth=1
	s_or_b64 exec, exec, s[12:13]
	v_cmp_ne_u16_sdwa s[0:1], v15, v5 src0_sel:BYTE_1 src1_sel:DWORD
	s_and_saveexec_b64 s[12:13], s[0:1]
	s_cbranch_execz .LBB201_601
; %bb.596:                              ;   in Loop: Header=BB201_328 Depth=1
	v_mov_b32_e32 v19, v6
	v_cmp_ne_u16_sdwa s[0:1], v15, s28 src0_sel:BYTE_1 src1_sel:DWORD
	v_mov_b32_e32 v18, v5
	s_and_saveexec_b64 s[16:17], s[0:1]
	s_cbranch_execz .LBB201_600
; %bb.597:                              ;   in Loop: Header=BB201_328 Depth=1
	v_and_b32_sdwa v20, v15, s29 dst_sel:DWORD dst_unused:UNUSED_PAD src0_sel:BYTE_1 src1_sel:DWORD
	v_mov_b32_e32 v11, v5
	v_mov_b32_e32 v19, v12
	v_cmp_ne_u32_e64 s[0:1], s29, v20
	v_mov_b32_e32 v18, v11
	s_and_saveexec_b64 s[18:19], s[0:1]
	s_cbranch_execz .LBB201_599
; %bb.598:                              ;   in Loop: Header=BB201_328 Depth=1
	v_and_b32_sdwa v18, v15, v55 dst_sel:DWORD dst_unused:UNUSED_PAD src0_sel:BYTE_1 src1_sel:DWORD
	v_lshrrev_b32_e32 v11, 3, v20
	v_cmp_gt_u32_e64 s[0:1], 8, v20
	v_ffbh_u32_e32 v20, v18
	v_min_u32_e32 v21, 32, v20
	v_mov_b32_e32 v19, v5
	v_subrev_u32_e32 v20, 28, v21
	v_lshlrev_b64 v[19:20], v20, v[18:19]
	v_sub_u32_e32 v20, 29, v21
	v_and_b32_e32 v19, 7, v19
	v_cndmask_b32_e64 v11, v11, v20, s[0:1]
	v_cndmask_b32_e64 v18, v18, v19, s[0:1]
	v_lshlrev_b32_e32 v19, 16, v15
	v_lshl_add_u32 v11, v11, 23, v50
	v_and_or_b32 v11, v19, s30, v11
	v_lshlrev_b32_e32 v18, 20, v18
	v_or_b32_e32 v19, v11, v18
	v_mov_b32_e32 v18, v5
.LBB201_599:                            ;   in Loop: Header=BB201_328 Depth=1
	s_or_b64 exec, exec, s[18:19]
.LBB201_600:                            ;   in Loop: Header=BB201_328 Depth=1
	s_or_b64 exec, exec, s[16:17]
.LBB201_601:                            ;   in Loop: Header=BB201_328 Depth=1
	s_or_b64 exec, exec, s[12:13]
	v_lshrrev_b32_e32 v11, 16, v15
	v_mov_b32_e32 v22, 0
	v_mov_b32_e32 v20, 0
	;; [unrolled: 1-line block ×4, first 2 shown]
	v_cmp_ne_u16_sdwa s[0:1], v11, v5 src0_sel:BYTE_0 src1_sel:DWORD
	s_and_saveexec_b64 s[12:13], s[0:1]
	s_cbranch_execz .LBB201_607
; %bb.602:                              ;   in Loop: Header=BB201_328 Depth=1
	v_bfrev_b32_e32 v20, 1
	v_mov_b32_e32 v21, 0
	v_cmp_ne_u16_sdwa s[0:1], v11, s28 src0_sel:BYTE_0 src1_sel:DWORD
	s_and_saveexec_b64 s[16:17], s[0:1]
	s_cbranch_execz .LBB201_606
; %bb.603:                              ;   in Loop: Header=BB201_328 Depth=1
	v_bfe_u32 v49, v15, 16, 7
	v_mov_b32_e32 v20, 0x7f800001
	v_mov_b32_e32 v21, 0
	v_cmp_ne_u32_e64 s[0:1], s29, v49
	s_and_saveexec_b64 s[18:19], s[0:1]
	s_cbranch_execz .LBB201_605
; %bb.604:                              ;   in Loop: Header=BB201_328 Depth=1
	v_and_b32_e32 v54, 7, v11
	v_ffbh_u32_e32 v20, v54
	v_lshrrev_b32_e32 v55, 3, v49
	v_cmp_gt_u32_e64 s[0:1], 8, v49
	v_min_u32_e32 v49, 32, v20
	v_subrev_u32_e32 v20, 28, v49
	v_lshlrev_b64 v[20:21], v20, v[11:12]
	v_sub_u32_e32 v21, 29, v49
	v_and_b32_e32 v20, 7, v20
	v_cndmask_b32_e64 v21, v55, v21, s[0:1]
	v_cndmask_b32_e64 v20, v54, v20, s[0:1]
	v_lshlrev_b32_e32 v20, 20, v20
	v_and_b32_sdwa v11, sext(v11), s30 dst_sel:DWORD dst_unused:UNUSED_PAD src0_sel:BYTE_0 src1_sel:DWORD
	v_lshl_add_u32 v21, v21, 23, v50
	v_mov_b32_e32 v55, 7
	v_or3_b32 v20, v11, v21, v20
	v_mov_b32_e32 v21, v5
.LBB201_605:                            ;   in Loop: Header=BB201_328 Depth=1
	s_or_b64 exec, exec, s[18:19]
.LBB201_606:                            ;   in Loop: Header=BB201_328 Depth=1
	s_or_b64 exec, exec, s[16:17]
.LBB201_607:                            ;   in Loop: Header=BB201_328 Depth=1
	s_or_b64 exec, exec, s[12:13]
	v_cmp_lt_u32_e64 s[0:1], s31, v15
	s_and_saveexec_b64 s[12:13], s[0:1]
	s_cbranch_execz .LBB201_613
; %bb.608:                              ;   in Loop: Header=BB201_328 Depth=1
	v_mov_b32_e32 v23, v6
	v_cmp_ne_u32_sdwa s[0:1], v15, s28 src0_sel:BYTE_3 src1_sel:DWORD
	v_mov_b32_e32 v22, v5
	s_and_saveexec_b64 s[16:17], s[0:1]
	s_cbranch_execz .LBB201_612
; %bb.609:                              ;   in Loop: Header=BB201_328 Depth=1
	v_bfe_u32 v49, v15, 24, 7
	v_mov_b32_e32 v11, v5
	v_mov_b32_e32 v23, v12
	v_cmp_ne_u32_e64 s[0:1], s29, v49
	v_mov_b32_e32 v22, v11
	s_and_saveexec_b64 s[18:19], s[0:1]
	s_cbranch_execz .LBB201_611
; %bb.610:                              ;   in Loop: Header=BB201_328 Depth=1
	v_and_b32_sdwa v22, v15, v55 dst_sel:DWORD dst_unused:UNUSED_PAD src0_sel:BYTE_3 src1_sel:DWORD
	v_lshrrev_b32_e32 v11, 3, v49
	v_cmp_gt_u32_e64 s[0:1], 8, v49
	v_ffbh_u32_e32 v49, v22
	v_min_u32_e32 v49, 32, v49
	v_mov_b32_e32 v23, v5
	v_subrev_u32_e32 v54, 28, v49
	v_lshlrev_b64 v[54:55], v54, v[22:23]
	v_sub_u32_e32 v23, 29, v49
	v_and_b32_e32 v49, 7, v54
	v_cndmask_b32_e64 v11, v11, v23, s[0:1]
	v_mov_b32_e32 v7, 24
	v_cndmask_b32_e64 v22, v22, v49, s[0:1]
	v_lshlrev_b32_sdwa v15, v7, v15 dst_sel:DWORD dst_unused:UNUSED_PAD src0_sel:DWORD src1_sel:BYTE_3
	v_lshl_add_u32 v11, v11, 23, v50
	v_and_or_b32 v11, v15, s30, v11
	v_lshlrev_b32_e32 v15, 20, v22
	v_mov_b32_e32 v55, 7
	v_or_b32_e32 v23, v11, v15
	v_mov_b32_e32 v22, v5
.LBB201_611:                            ;   in Loop: Header=BB201_328 Depth=1
	s_or_b64 exec, exec, s[18:19]
.LBB201_612:                            ;   in Loop: Header=BB201_328 Depth=1
	s_or_b64 exec, exec, s[16:17]
.LBB201_613:                            ;   in Loop: Header=BB201_328 Depth=1
	s_or_b64 exec, exec, s[12:13]
	v_or_b32_e32 v11, v19, v17
	v_or_b32_e32 v15, v18, v16
	v_mul_f32_e32 v49, s38, v11
	v_mul_f32_e32 v54, s37, v15
	v_or_b32_e32 v11, v23, v21
	v_or_b32_e32 v15, v22, v20
	v_mul_f32_e32 v23, s37, v15
	v_mul_f32_e32 v22, s38, v11
	s_and_saveexec_b64 s[12:13], vcc
; %bb.614:                              ;   in Loop: Header=BB201_328 Depth=1
	v_cmp_gt_i32_e64 s[0:1], s33, v8
	v_cndmask_b32_e64 v54, 0, v54, s[0:1]
	v_cmp_gt_i32_e64 s[0:1], s33, v53
	v_cndmask_b32_e64 v49, 0, v49, s[0:1]
	;; [unrolled: 2-line block ×4, first 2 shown]
; %bb.615:                              ;   in Loop: Header=BB201_328 Depth=1
	s_or_b64 exec, exec, s[12:13]
	global_load_dword v13, v[13:14], off offset:2816
	v_mov_b32_e32 v16, 0
	v_mov_b32_e32 v14, 0
	;; [unrolled: 1-line block ×4, first 2 shown]
	s_waitcnt vmcnt(0)
	v_cmp_ne_u16_sdwa s[0:1], v13, v5 src0_sel:BYTE_0 src1_sel:DWORD
	s_and_saveexec_b64 s[12:13], s[0:1]
	s_cbranch_execz .LBB201_621
; %bb.616:                              ;   in Loop: Header=BB201_328 Depth=1
	v_bfrev_b32_e32 v14, 1
	v_mov_b32_e32 v15, 0
	v_cmp_ne_u16_sdwa s[0:1], v13, s28 src0_sel:BYTE_0 src1_sel:DWORD
	s_and_saveexec_b64 s[16:17], s[0:1]
	s_cbranch_execz .LBB201_620
; %bb.617:                              ;   in Loop: Header=BB201_328 Depth=1
	v_and_b32_e32 v11, 0x7f, v13
	v_mov_b32_e32 v14, 0x7f800001
	v_mov_b32_e32 v15, 0
	v_cmp_ne_u32_e64 s[0:1], s29, v11
	s_and_saveexec_b64 s[18:19], s[0:1]
	s_cbranch_execz .LBB201_619
; %bb.618:                              ;   in Loop: Header=BB201_328 Depth=1
	v_and_b32_e32 v18, 7, v13
	v_lshrrev_b32_e32 v19, 3, v11
	v_cmp_gt_u32_e64 s[0:1], 8, v11
	v_ffbh_u32_e32 v11, v18
	v_min_u32_e32 v11, 32, v11
	v_subrev_u32_e32 v14, 28, v11
	v_lshlrev_b64 v[14:15], v14, v[13:14]
	v_sub_u32_e32 v11, 29, v11
	v_and_b32_e32 v14, 7, v14
	v_cndmask_b32_e64 v11, v19, v11, s[0:1]
	v_cndmask_b32_e64 v14, v18, v14, s[0:1]
	v_lshlrev_b32_e32 v14, 20, v14
	v_and_b32_sdwa v15, sext(v13), s30 dst_sel:DWORD dst_unused:UNUSED_PAD src0_sel:BYTE_0 src1_sel:DWORD
	v_lshl_add_u32 v11, v11, 23, v50
	v_or3_b32 v14, v15, v11, v14
	v_mov_b32_e32 v15, v5
.LBB201_619:                            ;   in Loop: Header=BB201_328 Depth=1
	s_or_b64 exec, exec, s[18:19]
.LBB201_620:                            ;   in Loop: Header=BB201_328 Depth=1
	s_or_b64 exec, exec, s[16:17]
.LBB201_621:                            ;   in Loop: Header=BB201_328 Depth=1
	s_or_b64 exec, exec, s[12:13]
	v_cmp_ne_u16_sdwa s[0:1], v13, v5 src0_sel:BYTE_1 src1_sel:DWORD
	s_and_saveexec_b64 s[12:13], s[0:1]
	s_cbranch_execz .LBB201_627
; %bb.622:                              ;   in Loop: Header=BB201_328 Depth=1
	v_mov_b32_e32 v17, v6
	v_cmp_ne_u16_sdwa s[0:1], v13, s28 src0_sel:BYTE_1 src1_sel:DWORD
	v_mov_b32_e32 v16, v5
	s_and_saveexec_b64 s[16:17], s[0:1]
	s_cbranch_execz .LBB201_626
; %bb.623:                              ;   in Loop: Header=BB201_328 Depth=1
	v_and_b32_sdwa v18, v13, s29 dst_sel:DWORD dst_unused:UNUSED_PAD src0_sel:BYTE_1 src1_sel:DWORD
	v_mov_b32_e32 v11, v5
	v_mov_b32_e32 v17, v12
	v_cmp_ne_u32_e64 s[0:1], s29, v18
	v_mov_b32_e32 v16, v11
	s_and_saveexec_b64 s[18:19], s[0:1]
	s_cbranch_execz .LBB201_625
; %bb.624:                              ;   in Loop: Header=BB201_328 Depth=1
	v_and_b32_sdwa v16, v13, v55 dst_sel:DWORD dst_unused:UNUSED_PAD src0_sel:BYTE_1 src1_sel:DWORD
	v_lshrrev_b32_e32 v11, 3, v18
	v_cmp_gt_u32_e64 s[0:1], 8, v18
	v_ffbh_u32_e32 v18, v16
	v_min_u32_e32 v19, 32, v18
	v_mov_b32_e32 v17, v5
	v_subrev_u32_e32 v18, 28, v19
	v_lshlrev_b64 v[17:18], v18, v[16:17]
	v_sub_u32_e32 v18, 29, v19
	v_and_b32_e32 v17, 7, v17
	v_cndmask_b32_e64 v11, v11, v18, s[0:1]
	v_cndmask_b32_e64 v16, v16, v17, s[0:1]
	v_lshlrev_b32_e32 v17, 16, v13
	v_lshl_add_u32 v11, v11, 23, v50
	v_and_or_b32 v11, v17, s30, v11
	v_lshlrev_b32_e32 v16, 20, v16
	v_or_b32_e32 v17, v11, v16
	v_mov_b32_e32 v16, v5
.LBB201_625:                            ;   in Loop: Header=BB201_328 Depth=1
	s_or_b64 exec, exec, s[18:19]
.LBB201_626:                            ;   in Loop: Header=BB201_328 Depth=1
	s_or_b64 exec, exec, s[16:17]
.LBB201_627:                            ;   in Loop: Header=BB201_328 Depth=1
	s_or_b64 exec, exec, s[12:13]
	v_lshrrev_b32_e32 v11, 16, v13
	v_mov_b32_e32 v20, 0
	v_mov_b32_e32 v18, 0
	v_mov_b32_e32 v21, 0
	v_mov_b32_e32 v19, 0
	v_cmp_ne_u16_sdwa s[0:1], v11, v5 src0_sel:BYTE_0 src1_sel:DWORD
	s_and_saveexec_b64 s[12:13], s[0:1]
	s_cbranch_execz .LBB201_633
; %bb.628:                              ;   in Loop: Header=BB201_328 Depth=1
	v_bfrev_b32_e32 v18, 1
	v_mov_b32_e32 v19, 0
	v_cmp_ne_u16_sdwa s[0:1], v11, s28 src0_sel:BYTE_0 src1_sel:DWORD
	s_and_saveexec_b64 s[16:17], s[0:1]
	s_cbranch_execz .LBB201_632
; %bb.629:                              ;   in Loop: Header=BB201_328 Depth=1
	v_bfe_u32 v55, v13, 16, 7
	v_mov_b32_e32 v18, 0x7f800001
	v_mov_b32_e32 v19, 0
	v_cmp_ne_u32_e64 s[0:1], s29, v55
	s_and_saveexec_b64 s[18:19], s[0:1]
	s_cbranch_execz .LBB201_631
; %bb.630:                              ;   in Loop: Header=BB201_328 Depth=1
	v_mov_b32_e32 v7, v60
	v_mov_b32_e32 v60, v58
	v_and_b32_e32 v58, 7, v11
	v_ffbh_u32_e32 v18, v58
	v_mov_b32_e32 v8, v57
	v_lshrrev_b32_e32 v57, 3, v55
	v_cmp_gt_u32_e64 s[0:1], 8, v55
	v_min_u32_e32 v55, 32, v18
	v_subrev_u32_e32 v18, 28, v55
	v_lshlrev_b64 v[18:19], v18, v[11:12]
	v_sub_u32_e32 v19, 29, v55
	v_and_b32_e32 v18, 7, v18
	v_cndmask_b32_e64 v19, v57, v19, s[0:1]
	v_cndmask_b32_e64 v18, v58, v18, s[0:1]
	v_lshlrev_b32_e32 v18, 20, v18
	v_and_b32_sdwa v11, sext(v11), s30 dst_sel:DWORD dst_unused:UNUSED_PAD src0_sel:BYTE_0 src1_sel:DWORD
	v_lshl_add_u32 v19, v19, 23, v50
	v_mov_b32_e32 v57, v8
	v_add_u32_e32 v8, v27, v63
	v_mov_b32_e32 v58, v60
	v_mov_b32_e32 v60, v7
	v_or3_b32 v18, v11, v19, v18
	v_mov_b32_e32 v19, v5
.LBB201_631:                            ;   in Loop: Header=BB201_328 Depth=1
	s_or_b64 exec, exec, s[18:19]
	v_mov_b32_e32 v55, 7
.LBB201_632:                            ;   in Loop: Header=BB201_328 Depth=1
	s_or_b64 exec, exec, s[16:17]
.LBB201_633:                            ;   in Loop: Header=BB201_328 Depth=1
	s_or_b64 exec, exec, s[12:13]
	v_cmp_lt_u32_e64 s[0:1], s31, v13
	s_and_saveexec_b64 s[12:13], s[0:1]
	s_cbranch_execz .LBB201_639
; %bb.634:                              ;   in Loop: Header=BB201_328 Depth=1
	v_mov_b32_e32 v21, v6
	v_cmp_ne_u32_sdwa s[0:1], v13, s28 src0_sel:BYTE_3 src1_sel:DWORD
	v_mov_b32_e32 v20, v5
	s_and_saveexec_b64 s[16:17], s[0:1]
	s_cbranch_execz .LBB201_638
; %bb.635:                              ;   in Loop: Header=BB201_328 Depth=1
	v_bfe_u32 v55, v13, 24, 7
	v_mov_b32_e32 v11, v5
	v_mov_b32_e32 v21, v12
	;; [unrolled: 1-line block ×3, first 2 shown]
	v_cmp_ne_u32_e64 s[0:1], s29, v55
	v_mov_b32_e32 v20, v11
	s_and_saveexec_b64 s[18:19], s[0:1]
	s_cbranch_execz .LBB201_637
; %bb.636:                              ;   in Loop: Header=BB201_328 Depth=1
	v_and_b32_sdwa v20, v13, v7 dst_sel:DWORD dst_unused:UNUSED_PAD src0_sel:BYTE_3 src1_sel:DWORD
	v_lshrrev_b32_e32 v11, 3, v55
	v_cmp_gt_u32_e64 s[0:1], 8, v55
	v_ffbh_u32_e32 v55, v20
	v_mov_b32_e32 v50, v44
	v_mov_b32_e32 v44, v27
	;; [unrolled: 1-line block ×9, first 2 shown]
	v_min_u32_e32 v57, 32, v55
	v_mov_b32_e32 v21, v5
	v_subrev_u32_e32 v55, 28, v57
	v_lshlrev_b64 v[7:8], v55, v[20:21]
	buffer_load_dword v8, off, s[56:59], 0 offset:180 ; 4-byte Folded Reload
	v_sub_u32_e32 v21, 29, v57
	v_mov_b32_e32 v57, v58
	v_mov_b32_e32 v58, v60
	;; [unrolled: 1-line block ×9, first 2 shown]
	v_bfrev_b32_e32 v50, 60
	v_and_b32_e32 v55, 7, v7
	v_cndmask_b32_e64 v11, v11, v21, s[0:1]
	v_mov_b32_e32 v7, 24
	v_cndmask_b32_e64 v20, v20, v55, s[0:1]
	v_lshlrev_b32_sdwa v13, v7, v13 dst_sel:DWORD dst_unused:UNUSED_PAD src0_sel:DWORD src1_sel:BYTE_3
	v_lshl_add_u32 v11, v11, 23, v50
	v_and_or_b32 v11, v13, s30, v11
	v_lshlrev_b32_e32 v13, 20, v20
	v_or_b32_e32 v21, v11, v13
	v_mov_b32_e32 v20, v5
.LBB201_637:                            ;   in Loop: Header=BB201_328 Depth=1
	s_or_b64 exec, exec, s[18:19]
	v_mov_b32_e32 v55, 7
.LBB201_638:                            ;   in Loop: Header=BB201_328 Depth=1
	s_or_b64 exec, exec, s[16:17]
.LBB201_639:                            ;   in Loop: Header=BB201_328 Depth=1
	s_or_b64 exec, exec, s[12:13]
	v_or_b32_e32 v13, v16, v14
	v_or_b32_e32 v11, v17, v15
	v_mul_f32_e32 v15, s37, v13
	v_or_b32_e32 v13, v21, v19
	v_or_b32_e32 v14, v20, v18
	v_mul_f32_e32 v11, s38, v11
	v_mul_f32_e32 v14, s37, v14
	;; [unrolled: 1-line block ×3, first 2 shown]
	s_and_saveexec_b64 s[0:1], vcc
	s_cbranch_execz .LBB201_326
; %bb.640:                              ;   in Loop: Header=BB201_328 Depth=1
	s_waitcnt vmcnt(0)
	v_cmp_gt_i32_e32 vcc, s33, v8
	v_cndmask_b32_e32 v15, 0, v15, vcc
	v_cmp_gt_i32_e32 vcc, s33, v53
	v_cndmask_b32_e32 v11, 0, v11, vcc
	v_cmp_gt_i32_e32 vcc, s33, v52
	v_cndmask_b32_e32 v14, 0, v14, vcc
	v_cmp_gt_i32_e32 vcc, s33, v51
	v_cndmask_b32_e32 v13, 0, v13, vcc
	s_branch .LBB201_326
.LBB201_641:
	s_or_b64 exec, exec, s[4:5]
	buffer_load_dword v18, off, s[56:59], 0 offset:196 ; 4-byte Folded Reload
	buffer_load_dword v13, off, s[56:59], 0 offset:212 ; 4-byte Folded Reload
	buffer_load_dword v16, off, s[56:59], 0 offset:228 ; 4-byte Folded Reload
	buffer_load_dword v19, off, s[56:59], 0 offset:244 ; 4-byte Folded Reload
	buffer_load_dword v20, off, s[56:59], 0 offset:260 ; 4-byte Folded Reload
.LBB201_642:
	s_or_b64 exec, exec, s[2:3]
	buffer_load_dword v11, off, s[56:59], 0 offset:172 ; 4-byte Folded Reload
	buffer_load_dword v14, off, s[56:59], 0 offset:164 ; 4-byte Folded Reload
	s_waitcnt vmcnt(5)
	ds_bpermute_b32 v0, v13, v40
	ds_bpermute_b32 v1, v13, v62
	;; [unrolled: 1-line block ×5, first 2 shown]
	s_waitcnt lgkmcnt(4)
	v_add_f32_e32 v0, v40, v0
	s_waitcnt lgkmcnt(3)
	v_add_f32_e32 v1, v62, v1
	s_waitcnt vmcnt(4)
	ds_bpermute_b32 v4, v16, v0
	ds_bpermute_b32 v5, v16, v1
	s_waitcnt lgkmcnt(4)
	v_add_f32_e32 v2, v45, v2
	ds_bpermute_b32 v6, v16, v2
	s_waitcnt lgkmcnt(4)
	v_add_f32_e32 v3, v25, v3
	s_waitcnt lgkmcnt(2)
	v_add_f32_e32 v0, v0, v4
	;; [unrolled: 2-line block ×3, first 2 shown]
	s_waitcnt vmcnt(3)
	ds_bpermute_b32 v4, v19, v0
	ds_bpermute_b32 v5, v19, v1
	s_waitcnt lgkmcnt(2)
	v_add_f32_e32 v2, v2, v6
	ds_bpermute_b32 v6, v19, v2
	s_waitcnt lgkmcnt(0)
	v_add_f32_e32 v0, v0, v4
	ds_bpermute_b32 v4, v16, v3
	v_add_f32_e32 v1, v1, v5
	v_add_f32_e32 v5, v60, v7
	ds_bpermute_b32 v7, v16, v5
	v_add_f32_e32 v2, v2, v6
	s_waitcnt lgkmcnt(1)
	v_add_f32_e32 v3, v3, v4
	ds_bpermute_b32 v4, v13, v58
	ds_bpermute_b32 v6, v19, v3
	s_waitcnt lgkmcnt(2)
	v_add_f32_e32 v5, v5, v7
	ds_bpermute_b32 v7, v13, v57
	ds_bpermute_b32 v8, v19, v5
	s_waitcnt lgkmcnt(3)
	v_add_f32_e32 v9, v58, v4
	s_waitcnt lgkmcnt(2)
	v_add_f32_e32 v3, v3, v6
	ds_bpermute_b32 v10, v16, v9
	s_waitcnt lgkmcnt(2)
	v_add_f32_e32 v6, v57, v7
	ds_bpermute_b32 v7, v16, v6
	s_waitcnt lgkmcnt(2)
	v_add_f32_e32 v4, v5, v8
	s_waitcnt vmcnt(0) lgkmcnt(0)
	s_barrier
	v_add_f32_e32 v5, v9, v10
	ds_bpermute_b32 v9, v19, v5
	v_add_f32_e32 v6, v6, v7
	ds_bpermute_b32 v7, v13, v61
	ds_bpermute_b32 v10, v19, v6
	s_waitcnt lgkmcnt(0)
	v_add_f32_e32 v5, v5, v9
	v_add_f32_e32 v7, v61, v7
	ds_bpermute_b32 v9, v16, v7
	v_add_f32_e32 v6, v6, v10
	s_waitcnt lgkmcnt(0)
	v_add_f32_e32 v9, v7, v9
	ds_bpermute_b32 v7, v13, v59
	ds_bpermute_b32 v12, v19, v9
	s_waitcnt lgkmcnt(1)
	v_add_f32_e32 v7, v59, v7
	ds_bpermute_b32 v15, v16, v7
	s_waitcnt lgkmcnt(0)
	v_add_f32_e32 v15, v7, v15
	ds_bpermute_b32 v17, v19, v15
	ds_bpermute_b32 v8, v13, v11
	s_waitcnt lgkmcnt(0)
	v_add_f32_e32 v8, v11, v8
	ds_bpermute_b32 v11, v16, v8
	s_waitcnt lgkmcnt(0)
	v_add_f32_e32 v8, v8, v11
	ds_bpermute_b32 v10, v19, v8
	ds_bpermute_b32 v11, v13, v14
	;; [unrolled: 1-line block ×3, first 2 shown]
	s_waitcnt lgkmcnt(2)
	v_add_f32_e32 v7, v8, v10
	v_add_f32_e32 v8, v9, v12
	buffer_load_dword v12, off, s[56:59], 0 offset:388 ; 4-byte Folded Reload
	s_waitcnt lgkmcnt(1)
	v_add_f32_e32 v11, v14, v11
	s_waitcnt lgkmcnt(0)
	v_add_f32_e32 v13, v56, v13
	ds_bpermute_b32 v14, v16, v11
	ds_bpermute_b32 v16, v16, v13
	v_add_f32_e32 v10, v15, v17
	s_waitcnt lgkmcnt(1)
	v_add_f32_e32 v11, v11, v14
	s_waitcnt lgkmcnt(0)
	v_add_f32_e32 v13, v13, v16
	ds_bpermute_b32 v14, v19, v11
	ds_bpermute_b32 v16, v19, v13
	s_waitcnt lgkmcnt(1)
	v_add_f32_e32 v9, v11, v14
	s_waitcnt lgkmcnt(0)
	v_add_f32_e32 v11, v13, v16
	s_waitcnt vmcnt(0)
	v_and_b32_e32 v13, 0x3c7, v12
	v_cmp_eq_u32_e32 vcc, 64, v13
	s_and_saveexec_b64 s[0:1], vcc
	s_cbranch_execz .LBB201_644
; %bb.643:
	v_lshrrev_b32_e32 v12, 1, v18
	v_add_u32_e32 v12, 0x190, v12
	ds_write2_b32 v12, v0, v1 offset1:8
	ds_write2_b32 v12, v2, v3 offset0:16 offset1:24
	ds_write2_b32 v12, v4, v5 offset0:32 offset1:40
	;; [unrolled: 1-line block ×5, first 2 shown]
.LBB201_644:
	s_or_b64 exec, exec, s[0:1]
	buffer_load_dword v12, off, s[56:59], 0 offset:388 ; 4-byte Folded Reload
	s_waitcnt vmcnt(0) lgkmcnt(0)
	s_barrier
	v_cmp_gt_u32_e32 vcc, 64, v12
	v_lshrrev_b32_e32 v12, 3, v12
	s_and_saveexec_b64 s[0:1], vcc
	s_cbranch_execz .LBB201_659
; %bb.645:
	v_mov_b32_e32 v14, 0x190
	v_cmp_eq_u32_e32 vcc, 0, v20
	v_lshl_add_u32 v14, v12, 2, v14
	s_and_saveexec_b64 s[2:3], vcc
	s_cbranch_execnz .LBB201_662
; %bb.646:
	s_or_b64 exec, exec, s[2:3]
	s_and_saveexec_b64 s[2:3], vcc
	s_cbranch_execnz .LBB201_663
.LBB201_647:
	s_or_b64 exec, exec, s[2:3]
	s_and_saveexec_b64 s[2:3], vcc
	s_cbranch_execnz .LBB201_664
.LBB201_648:
	s_or_b64 exec, exec, s[2:3]
	s_and_saveexec_b64 s[2:3], vcc
	s_cbranch_execnz .LBB201_665
.LBB201_649:
	s_or_b64 exec, exec, s[2:3]
	s_and_saveexec_b64 s[2:3], vcc
	s_cbranch_execnz .LBB201_666
.LBB201_650:
	s_or_b64 exec, exec, s[2:3]
	s_and_saveexec_b64 s[2:3], vcc
	s_cbranch_execnz .LBB201_667
.LBB201_651:
	s_or_b64 exec, exec, s[2:3]
	s_and_saveexec_b64 s[2:3], vcc
	s_cbranch_execnz .LBB201_668
.LBB201_652:
	s_or_b64 exec, exec, s[2:3]
	s_and_saveexec_b64 s[2:3], vcc
	s_cbranch_execnz .LBB201_669
.LBB201_653:
	s_or_b64 exec, exec, s[2:3]
	s_and_saveexec_b64 s[2:3], vcc
	s_cbranch_execnz .LBB201_670
.LBB201_654:
	s_or_b64 exec, exec, s[2:3]
	s_and_saveexec_b64 s[2:3], vcc
	s_cbranch_execnz .LBB201_671
.LBB201_655:
	s_or_b64 exec, exec, s[2:3]
	s_and_saveexec_b64 s[2:3], vcc
	s_cbranch_execnz .LBB201_672
.LBB201_656:
	s_or_b64 exec, exec, s[2:3]
	s_and_saveexec_b64 s[2:3], vcc
	s_cbranch_execz .LBB201_658
.LBB201_657:
	ds_read_b32 v14, v14 offset:352
	s_waitcnt lgkmcnt(0)
	v_add_f32_e32 v11, v11, v14
.LBB201_658:
	s_or_b64 exec, exec, s[2:3]
.LBB201_659:
	s_or_b64 exec, exec, s[0:1]
	v_cmp_eq_u32_e32 vcc, 0, v13
	s_barrier
	s_and_saveexec_b64 s[0:1], vcc
	s_cbranch_execz .LBB201_661
; %bb.660:
	s_mul_i32 s0, s10, s11
	s_mul_i32 s0, s0, s9
	s_mulk_i32 s0, 0x60
	s_ashr_i32 s1, s0, 31
	s_lshl_b64 s[0:1], s[0:1], 2
	s_add_u32 s2, s26, s0
	s_mul_i32 s0, s11, s24
	s_addc_u32 s3, s27, s1
	s_ashr_i32 s1, s0, 31
	s_lshl_b64 s[0:1], s[0:1], 2
	s_add_u32 s2, s2, s0
	s_mul_i32 s0, s8, 0x60
	s_addc_u32 s3, s3, s1
	s_ashr_i32 s1, s0, 31
	s_lshl_b64 s[0:1], s[0:1], 2
	s_add_u32 s0, s2, s0
	s_addc_u32 s1, s3, s1
	v_lshlrev_b32_e32 v12, 2, v12
	global_store_dword v12, v0, s[0:1]
	global_store_dword v12, v1, s[0:1] offset:32
	global_store_dword v12, v2, s[0:1] offset:64
	;; [unrolled: 1-line block ×11, first 2 shown]
.LBB201_661:
	s_endpgm
.LBB201_662:
	ds_read_b32 v15, v14
	s_waitcnt lgkmcnt(0)
	v_add_f32_e32 v0, v0, v15
	s_or_b64 exec, exec, s[2:3]
	s_and_saveexec_b64 s[2:3], vcc
	s_cbranch_execz .LBB201_647
.LBB201_663:
	ds_read_b32 v15, v14 offset:32
	s_waitcnt lgkmcnt(0)
	v_add_f32_e32 v1, v1, v15
	s_or_b64 exec, exec, s[2:3]
	s_and_saveexec_b64 s[2:3], vcc
	s_cbranch_execz .LBB201_648
.LBB201_664:
	ds_read_b32 v15, v14 offset:64
	s_waitcnt lgkmcnt(0)
	v_add_f32_e32 v2, v2, v15
	s_or_b64 exec, exec, s[2:3]
	s_and_saveexec_b64 s[2:3], vcc
	s_cbranch_execz .LBB201_649
.LBB201_665:
	ds_read_b32 v15, v14 offset:96
	s_waitcnt lgkmcnt(0)
	v_add_f32_e32 v3, v3, v15
	s_or_b64 exec, exec, s[2:3]
	s_and_saveexec_b64 s[2:3], vcc
	s_cbranch_execz .LBB201_650
.LBB201_666:
	ds_read_b32 v15, v14 offset:128
	s_waitcnt lgkmcnt(0)
	v_add_f32_e32 v4, v4, v15
	s_or_b64 exec, exec, s[2:3]
	s_and_saveexec_b64 s[2:3], vcc
	s_cbranch_execz .LBB201_651
.LBB201_667:
	ds_read_b32 v15, v14 offset:160
	s_waitcnt lgkmcnt(0)
	v_add_f32_e32 v5, v5, v15
	s_or_b64 exec, exec, s[2:3]
	s_and_saveexec_b64 s[2:3], vcc
	s_cbranch_execz .LBB201_652
.LBB201_668:
	ds_read_b32 v15, v14 offset:192
	s_waitcnt lgkmcnt(0)
	v_add_f32_e32 v6, v6, v15
	s_or_b64 exec, exec, s[2:3]
	s_and_saveexec_b64 s[2:3], vcc
	s_cbranch_execz .LBB201_653
.LBB201_669:
	ds_read_b32 v15, v14 offset:224
	s_waitcnt lgkmcnt(0)
	v_add_f32_e32 v7, v7, v15
	s_or_b64 exec, exec, s[2:3]
	s_and_saveexec_b64 s[2:3], vcc
	s_cbranch_execz .LBB201_654
.LBB201_670:
	ds_read_b32 v15, v14 offset:256
	s_waitcnt lgkmcnt(0)
	v_add_f32_e32 v8, v8, v15
	s_or_b64 exec, exec, s[2:3]
	s_and_saveexec_b64 s[2:3], vcc
	s_cbranch_execz .LBB201_655
.LBB201_671:
	ds_read_b32 v15, v14 offset:288
	s_waitcnt lgkmcnt(0)
	v_add_f32_e32 v9, v9, v15
	s_or_b64 exec, exec, s[2:3]
	s_and_saveexec_b64 s[2:3], vcc
	s_cbranch_execz .LBB201_656
.LBB201_672:
	ds_read_b32 v15, v14 offset:320
	s_waitcnt lgkmcnt(0)
	v_add_f32_e32 v10, v10, v15
	s_or_b64 exec, exec, s[2:3]
	s_and_saveexec_b64 s[2:3], vcc
	s_cbranch_execnz .LBB201_657
	s_branch .LBB201_658
	.section	.rodata,"a",@progbits
	.p2align	6, 0x0
	.amdhsa_kernel _ZN4vllm25paged_attention_v1_kernelIfhLi96ELi32ELi128ELNS_18Fp8KVCacheDataTypeE1ELb1EEEvPT_PKS2_PKT0_S8_ifPKiSA_iPKfiiiSC_SC_iiiii
		.amdhsa_group_segment_fixed_size 400
		.amdhsa_private_segment_fixed_size 432
		.amdhsa_kernarg_size 384
		.amdhsa_user_sgpr_count 6
		.amdhsa_user_sgpr_private_segment_buffer 1
		.amdhsa_user_sgpr_dispatch_ptr 0
		.amdhsa_user_sgpr_queue_ptr 0
		.amdhsa_user_sgpr_kernarg_segment_ptr 1
		.amdhsa_user_sgpr_dispatch_id 0
		.amdhsa_user_sgpr_flat_scratch_init 0
		.amdhsa_user_sgpr_private_segment_size 0
		.amdhsa_uses_dynamic_stack 0
		.amdhsa_system_sgpr_private_segment_wavefront_offset 1
		.amdhsa_system_sgpr_workgroup_id_x 1
		.amdhsa_system_sgpr_workgroup_id_y 1
		.amdhsa_system_sgpr_workgroup_id_z 1
		.amdhsa_system_sgpr_workgroup_info 0
		.amdhsa_system_vgpr_workitem_id 0
		.amdhsa_next_free_vgpr 64
		.amdhsa_next_free_sgpr 60
		.amdhsa_reserve_vcc 1
		.amdhsa_reserve_flat_scratch 0
		.amdhsa_float_round_mode_32 0
		.amdhsa_float_round_mode_16_64 0
		.amdhsa_float_denorm_mode_32 3
		.amdhsa_float_denorm_mode_16_64 3
		.amdhsa_dx10_clamp 1
		.amdhsa_ieee_mode 1
		.amdhsa_fp16_overflow 0
		.amdhsa_exception_fp_ieee_invalid_op 0
		.amdhsa_exception_fp_denorm_src 0
		.amdhsa_exception_fp_ieee_div_zero 0
		.amdhsa_exception_fp_ieee_overflow 0
		.amdhsa_exception_fp_ieee_underflow 0
		.amdhsa_exception_fp_ieee_inexact 0
		.amdhsa_exception_int_div_zero 0
	.end_amdhsa_kernel
	.section	.text._ZN4vllm25paged_attention_v1_kernelIfhLi96ELi32ELi128ELNS_18Fp8KVCacheDataTypeE1ELb1EEEvPT_PKS2_PKT0_S8_ifPKiSA_iPKfiiiSC_SC_iiiii,"axG",@progbits,_ZN4vllm25paged_attention_v1_kernelIfhLi96ELi32ELi128ELNS_18Fp8KVCacheDataTypeE1ELb1EEEvPT_PKS2_PKT0_S8_ifPKiSA_iPKfiiiSC_SC_iiiii,comdat
.Lfunc_end201:
	.size	_ZN4vllm25paged_attention_v1_kernelIfhLi96ELi32ELi128ELNS_18Fp8KVCacheDataTypeE1ELb1EEEvPT_PKS2_PKT0_S8_ifPKiSA_iPKfiiiSC_SC_iiiii, .Lfunc_end201-_ZN4vllm25paged_attention_v1_kernelIfhLi96ELi32ELi128ELNS_18Fp8KVCacheDataTypeE1ELb1EEEvPT_PKS2_PKT0_S8_ifPKiSA_iPKfiiiSC_SC_iiiii
                                        ; -- End function
	.set _ZN4vllm25paged_attention_v1_kernelIfhLi96ELi32ELi128ELNS_18Fp8KVCacheDataTypeE1ELb1EEEvPT_PKS2_PKT0_S8_ifPKiSA_iPKfiiiSC_SC_iiiii.num_vgpr, 64
	.set _ZN4vllm25paged_attention_v1_kernelIfhLi96ELi32ELi128ELNS_18Fp8KVCacheDataTypeE1ELb1EEEvPT_PKS2_PKT0_S8_ifPKiSA_iPKfiiiSC_SC_iiiii.num_agpr, 0
	.set _ZN4vllm25paged_attention_v1_kernelIfhLi96ELi32ELi128ELNS_18Fp8KVCacheDataTypeE1ELb1EEEvPT_PKS2_PKT0_S8_ifPKiSA_iPKfiiiSC_SC_iiiii.numbered_sgpr, 60
	.set _ZN4vllm25paged_attention_v1_kernelIfhLi96ELi32ELi128ELNS_18Fp8KVCacheDataTypeE1ELb1EEEvPT_PKS2_PKT0_S8_ifPKiSA_iPKfiiiSC_SC_iiiii.num_named_barrier, 0
	.set _ZN4vllm25paged_attention_v1_kernelIfhLi96ELi32ELi128ELNS_18Fp8KVCacheDataTypeE1ELb1EEEvPT_PKS2_PKT0_S8_ifPKiSA_iPKfiiiSC_SC_iiiii.private_seg_size, 432
	.set _ZN4vllm25paged_attention_v1_kernelIfhLi96ELi32ELi128ELNS_18Fp8KVCacheDataTypeE1ELb1EEEvPT_PKS2_PKT0_S8_ifPKiSA_iPKfiiiSC_SC_iiiii.uses_vcc, 1
	.set _ZN4vllm25paged_attention_v1_kernelIfhLi96ELi32ELi128ELNS_18Fp8KVCacheDataTypeE1ELb1EEEvPT_PKS2_PKT0_S8_ifPKiSA_iPKfiiiSC_SC_iiiii.uses_flat_scratch, 0
	.set _ZN4vllm25paged_attention_v1_kernelIfhLi96ELi32ELi128ELNS_18Fp8KVCacheDataTypeE1ELb1EEEvPT_PKS2_PKT0_S8_ifPKiSA_iPKfiiiSC_SC_iiiii.has_dyn_sized_stack, 0
	.set _ZN4vllm25paged_attention_v1_kernelIfhLi96ELi32ELi128ELNS_18Fp8KVCacheDataTypeE1ELb1EEEvPT_PKS2_PKT0_S8_ifPKiSA_iPKfiiiSC_SC_iiiii.has_recursion, 0
	.set _ZN4vllm25paged_attention_v1_kernelIfhLi96ELi32ELi128ELNS_18Fp8KVCacheDataTypeE1ELb1EEEvPT_PKS2_PKT0_S8_ifPKiSA_iPKfiiiSC_SC_iiiii.has_indirect_call, 0
	.section	.AMDGPU.csdata,"",@progbits
; Kernel info:
; codeLenInByte = 31136
; TotalNumSgprs: 64
; NumVgprs: 64
; ScratchSize: 432
; MemoryBound: 0
; FloatMode: 240
; IeeeMode: 1
; LDSByteSize: 400 bytes/workgroup (compile time only)
; SGPRBlocks: 7
; VGPRBlocks: 15
; NumSGPRsForWavesPerEU: 64
; NumVGPRsForWavesPerEU: 64
; Occupancy: 4
; WaveLimiterHint : 1
; COMPUTE_PGM_RSRC2:SCRATCH_EN: 1
; COMPUTE_PGM_RSRC2:USER_SGPR: 6
; COMPUTE_PGM_RSRC2:TRAP_HANDLER: 0
; COMPUTE_PGM_RSRC2:TGID_X_EN: 1
; COMPUTE_PGM_RSRC2:TGID_Y_EN: 1
; COMPUTE_PGM_RSRC2:TGID_Z_EN: 1
; COMPUTE_PGM_RSRC2:TIDIG_COMP_CNT: 0
	.section	.text._ZN4vllm25paged_attention_v1_kernelIfhLi112ELi32ELi128ELNS_18Fp8KVCacheDataTypeE1ELb1EEEvPT_PKS2_PKT0_S8_ifPKiSA_iPKfiiiSC_SC_iiiii,"axG",@progbits,_ZN4vllm25paged_attention_v1_kernelIfhLi112ELi32ELi128ELNS_18Fp8KVCacheDataTypeE1ELb1EEEvPT_PKS2_PKT0_S8_ifPKiSA_iPKfiiiSC_SC_iiiii,comdat
	.protected	_ZN4vllm25paged_attention_v1_kernelIfhLi112ELi32ELi128ELNS_18Fp8KVCacheDataTypeE1ELb1EEEvPT_PKS2_PKT0_S8_ifPKiSA_iPKfiiiSC_SC_iiiii ; -- Begin function _ZN4vllm25paged_attention_v1_kernelIfhLi112ELi32ELi128ELNS_18Fp8KVCacheDataTypeE1ELb1EEEvPT_PKS2_PKT0_S8_ifPKiSA_iPKfiiiSC_SC_iiiii
	.globl	_ZN4vllm25paged_attention_v1_kernelIfhLi112ELi32ELi128ELNS_18Fp8KVCacheDataTypeE1ELb1EEEvPT_PKS2_PKT0_S8_ifPKiSA_iPKfiiiSC_SC_iiiii
	.p2align	8
	.type	_ZN4vllm25paged_attention_v1_kernelIfhLi112ELi32ELi128ELNS_18Fp8KVCacheDataTypeE1ELb1EEEvPT_PKS2_PKT0_S8_ifPKiSA_iPKfiiiSC_SC_iiiii,@function
_ZN4vllm25paged_attention_v1_kernelIfhLi112ELi32ELi128ELNS_18Fp8KVCacheDataTypeE1ELb1EEEvPT_PKS2_PKT0_S8_ifPKiSA_iPKfiiiSC_SC_iiiii: ; @_ZN4vllm25paged_attention_v1_kernelIfhLi112ELi32ELi128ELNS_18Fp8KVCacheDataTypeE1ELb1EEEvPT_PKS2_PKT0_S8_ifPKiSA_iPKfiiiSC_SC_iiiii
; %bb.0:
	s_mov_b64 s[58:59], s[2:3]
	s_mov_b64 s[56:57], s[0:1]
	s_add_u32 s56, s56, s9
	s_addc_u32 s57, s57, 0
	buffer_store_dword v0, off, s[56:59], 0 offset:456 ; 4-byte Folded Spill
	s_load_dword s9, s[4:5], 0x80
	s_load_dwordx2 s[0:1], s[4:5], 0x30
	s_load_dwordx2 s[36:37], s[4:5], 0x20
	s_mov_b32 s10, s7
	s_ashr_i32 s11, s7, 31
	s_lshl_b64 s[2:3], s[10:11], 2
	s_waitcnt lgkmcnt(0)
	s_add_u32 s0, s0, s2
	s_addc_u32 s1, s1, s3
	s_abs_i32 s2, s36
	v_cvt_f32_u32_e32 v0, s2
	s_sub_i32 s11, 0, s2
	s_abs_i32 s7, s9
	s_xor_b32 s3, s9, s36
	v_rcp_iflag_f32_e32 v0, v0
	s_ashr_i32 s3, s3, 31
	s_mov_b32 s48, 0
	v_mul_f32_e32 v0, 0x4f7ffffe, v0
	v_cvt_u32_f32_e32 v0, v0
	v_readfirstlane_b32 s12, v0
	s_mul_i32 s11, s11, s12
	s_mul_hi_u32 s11, s12, s11
	s_add_i32 s12, s12, s11
	s_mul_hi_u32 s11, s7, s12
	s_mul_i32 s12, s11, s2
	s_sub_i32 s7, s7, s12
	s_add_i32 s12, s11, 1
	s_sub_i32 s13, s7, s2
	s_cmp_ge_u32 s7, s2
	s_cselect_b32 s11, s12, s11
	s_cselect_b32 s7, s13, s7
	s_add_i32 s12, s11, 1
	s_cmp_ge_u32 s7, s2
	s_cselect_b32 s2, s12, s11
	s_xor_b32 s2, s2, s3
	s_sub_i32 s14, s2, s3
	s_abs_i32 s11, s14
	v_cvt_f32_u32_e32 v0, s11
	s_load_dwordx2 s[2:3], s[4:5], 0x40
	s_sub_i32 s7, 0, s11
	s_abs_i32 s12, s6
	v_rcp_iflag_f32_e32 v0, v0
	v_mul_f32_e32 v0, 0x4f7ffffe, v0
	v_cvt_u32_f32_e32 v0, v0
	v_readfirstlane_b32 s13, v0
	s_mul_i32 s7, s7, s13
	s_mul_hi_u32 s7, s13, s7
	s_add_i32 s13, s13, s7
	s_waitcnt lgkmcnt(0)
	s_cmp_eq_u64 s[2:3], 0
	s_mul_hi_u32 s13, s12, s13
	s_cbranch_scc1 .LBB202_2
; %bb.1:
	s_ashr_i32 s7, s6, 31
	s_lshl_b64 s[16:17], s[6:7], 2
	s_add_u32 s2, s2, s16
	s_addc_u32 s3, s3, s17
	s_load_dword s48, s[2:3], 0x0
.LBB202_2:
	buffer_load_dword v1, off, s[56:59], 0 offset:456 ; 4-byte Folded Reload
	s_load_dword s33, s[0:1], 0x0
	s_load_dwordx4 s[16:19], s[4:5], 0x48
	s_ashr_i32 s3, s6, 31
	s_ashr_i32 s7, s14, 31
	s_mul_i32 s24, s6, 0x70
	s_waitcnt vmcnt(0)
	v_and_b32_e32 v0, 1, v1
	v_cmp_gt_u32_e32 vcc, 56, v1
	v_lshlrev_b32_e32 v11, 2, v1
	s_and_saveexec_b64 s[0:1], vcc
	s_cbranch_execz .LBB202_4
; %bb.3:
	buffer_load_dword v1, off, s[56:59], 0 offset:456 ; 4-byte Folded Reload
	s_load_dwordx2 s[14:15], s[4:5], 0x8
	s_waitcnt lgkmcnt(0)
	s_mul_i32 s20, s16, s10
	s_ashr_i32 s21, s20, 31
	s_lshl_b64 s[20:21], s[20:21], 2
	v_and_b32_e32 v3, 0xff8, v11
	s_add_u32 s2, s14, s20
	s_addc_u32 s16, s15, s21
	s_ashr_i32 s25, s24, 31
	s_lshl_b64 s[14:15], s[24:25], 2
	s_add_u32 s14, s2, s14
	s_addc_u32 s15, s16, s15
	s_movk_i32 s2, 0xe0
	v_mad_u32_u24 v3, v0, s2, v3
	s_waitcnt vmcnt(0)
	v_lshlrev_b32_e32 v1, 3, v1
	global_load_dwordx2 v[1:2], v1, s[14:15]
	s_waitcnt vmcnt(0)
	ds_write_b64 v3, v[1:2]
.LBB202_4:
	s_or_b64 exec, exec, s[0:1]
	s_mul_i32 s1, s13, s11
	s_sub_i32 s1, s12, s1
	s_xor_b32 s0, s3, s7
	s_add_i32 s3, s13, 1
	s_sub_i32 s7, s1, s11
	s_load_dwordx4 s[20:23], s[4:5], 0x68
	s_load_dword s2, s[4:5], 0x78
	s_cmp_ge_u32 s1, s11
	s_cselect_b32 s3, s3, s13
	s_cselect_b32 s1, s7, s1
	s_add_i32 s7, s3, 1
	s_cmp_ge_u32 s1, s11
	s_cselect_b32 s1, s7, s3
	s_waitcnt lgkmcnt(0)
	s_abs_i32 s25, s23
	v_cvt_f32_u32_e32 v1, s25
	s_xor_b32 s1, s1, s0
	s_sub_i32 s47, s1, s0
	s_sub_i32 s0, 0, s25
	v_rcp_iflag_f32_e32 v1, v1
	s_add_i32 s11, s33, -1
	s_abs_i32 s3, s11
	v_mul_f32_e32 v1, 0x4f7ffffe, v1
	v_cvt_u32_f32_e32 v1, v1
	s_barrier
	v_readfirstlane_b32 s46, v1
	s_mul_i32 s0, s0, s46
	s_mul_hi_u32 s0, s46, s0
	s_add_i32 s46, s46, s0
	s_cmp_lt_i32 s2, 0
	s_mul_hi_u32 s7, s3, s46
	s_cbranch_scc0 .LBB202_6
; %bb.5:
	s_mul_i32 s0, s20, s36
	s_add_i32 s0, s47, s0
	s_mul_i32 s0, s0, s2
	s_sub_i32 s36, 1, s0
	s_mov_b64 s[0:1], 0
	s_branch .LBB202_7
.LBB202_6:
	s_mov_b64 s[0:1], -1
                                        ; implicit-def: $sgpr36
.LBB202_7:
	s_load_dwordx2 s[28:29], s[4:5], 0x28
	s_ashr_i32 s16, s11, 31
	s_andn2_b64 vcc, exec, s[0:1]
	s_ashr_i32 s23, s23, 31
	s_cbranch_vccnz .LBB202_9
; %bb.8:
	s_mul_i32 s0, s9, s20
	s_add_i32 s0, s0, s6
	s_mul_i32 s0, s0, s2
	s_add_i32 s36, s0, 1
.LBB202_9:
	s_load_dword s0, s[4:5], 0x38
	s_load_dwordx2 s[26:27], s[4:5], 0x0
	s_load_dwordx2 s[34:35], s[4:5], 0x18
	s_load_dword s11, s[4:5], 0x88
	s_load_dwordx4 s[12:15], s[4:5], 0x58
	buffer_load_dword v1, off, s[56:59], 0 offset:456 ; 4-byte Folded Reload
	s_mul_i32 s1, s7, s25
	s_waitcnt lgkmcnt(0)
	s_mul_i32 s30, s0, s10
	s_sub_i32 s1, s3, s1
	s_ashr_i32 s31, s30, 31
	s_xor_b32 s0, s16, s23
	s_add_i32 s2, s7, 1
	s_sub_i32 s3, s1, s25
	s_cmp_ge_u32 s1, s25
	s_cselect_b32 s2, s2, s7
	s_cselect_b32 s1, s3, s1
	s_add_i32 s3, s2, 1
	s_cmp_ge_u32 s1, s25
	s_cselect_b32 s1, s3, s2
	s_xor_b32 s1, s1, s0
	s_sub_i32 s16, s1, s0
	s_add_i32 s0, s33, 31
	s_ashr_i32 s1, s0, 31
	s_lshr_b32 s1, s1, 27
	s_add_i32 s0, s0, s1
	s_ashr_i32 s20, s0, 5
	v_mov_b32_e32 v3, 0xff7fffff
	s_mul_i32 s47, s47, s18
	v_mbcnt_lo_u32_b32 v5, -1, 0
	s_waitcnt vmcnt(0)
	v_lshrrev_b32_e32 v2, 6, v1
	v_cmp_gt_i32_e64 s[0:1], s20, v2
	v_lshrrev_b32_e32 v12, 4, v1
	v_lshlrev_b32_e32 v1, 5, v2
	buffer_store_dword v2, off, s[56:59], 0 ; 4-byte Folded Spill
	buffer_store_dword v1, off, s[56:59], 0 offset:484 ; 4-byte Folded Spill
	s_and_saveexec_b64 s[18:19], s[0:1]
	s_cbranch_execz .LBB202_357
; %bb.10:
	buffer_load_dword v2, off, s[56:59], 0 offset:456 ; 4-byte Folded Reload
	s_load_dwordx2 s[2:3], s[4:5], 0x10
	s_sub_i32 s49, s16, s21
	s_ashr_i32 s4, s47, 31
	v_cmp_eq_u32_e32 vcc, 0, v0
	v_mul_u32_u24_e32 v32, 0xe0, v0
	s_waitcnt lgkmcnt(0)
	s_add_u32 s5, s2, s47
	s_addc_u32 s4, s3, s4
	s_abs_i32 s50, s22
	v_cvt_f32_u32_e32 v1, s50
	s_sub_i32 s2, 0, s50
	v_mov_b32_e32 v4, s4
	buffer_store_dword v11, off, s[56:59], 0 offset:488 ; 4-byte Folded Spill
	v_rcp_iflag_f32_e32 v1, v1
	s_mov_b32 s51, s17
	v_mov_b32_e32 v49, 0
	s_mov_b64 s[38:39], 0
	v_mul_f32_e32 v1, 0x4f7ffffe, v1
	v_cvt_u32_f32_e32 v1, v1
	s_movk_i32 s52, 0x80
	s_movk_i32 s53, 0x7f
	s_brev_b32 s54, 1
	v_bfrev_b32_e32 v50, 1
	v_mov_b32_e32 v28, 0x7f800001
	s_waitcnt vmcnt(1)
	v_bfe_u32 v6, v2, 1, 5
	v_lshlrev_b32_e32 v2, 1, v0
	v_mul_lo_u32 v0, s2, v1
	v_lshlrev_b32_e32 v3, 4, v6
	v_add_co_u32_e64 v3, s[4:5], s5, v3
	v_mul_hi_u32 v0, v1, v0
	v_addc_co_u32_e64 v4, s[4:5], 0, v4, s[4:5]
	v_cmp_neq_f32_e64 s[2:3], s48, 0
	v_add_u32_e32 v0, v1, v0
	buffer_store_dword v0, off, s[56:59], 0 offset:260 ; 4-byte Folded Spill
	v_add_co_u32_e64 v0, s[4:5], v3, v2
	v_addc_co_u32_e64 v1, s[4:5], 0, v4, s[4:5]
	buffer_store_dword v0, off, s[56:59], 0 offset:464 ; 4-byte Folded Spill
	s_nop 0
	buffer_store_dword v1, off, s[56:59], 0 offset:468 ; 4-byte Folded Spill
	buffer_store_dword v12, off, s[56:59], 0 offset:492 ; 4-byte Folded Spill
	buffer_load_dword v33, off, s[56:59], 0 ; 4-byte Folded Reload
	s_lshl_b64 s[4:5], s[30:31], 2
	s_add_u32 s4, s28, s4
	v_and_b32_e32 v0, 60, v12
	s_addc_u32 s5, s29, s5
	v_mov_b32_e32 v1, s5
	v_add_co_u32_e64 v53, s[4:5], s4, v0
	v_addc_co_u32_e64 v54, s[4:5], 0, v1, s[4:5]
	v_subrev_u32_e32 v1, s33, v6
	v_add_u32_e32 v1, 1, v1
	buffer_store_dword v1, off, s[56:59], 0 offset:480 ; 4-byte Folded Spill
	buffer_store_dword v6, off, s[56:59], 0 offset:476 ; 4-byte Folded Spill
	v_lshlrev_b32_e32 v1, 2, v6
	s_waitcnt vmcnt(2)
	v_lshl_or_b32 v1, v33, 7, v1
	v_add_u32_e32 v63, 0x1d0, v1
	v_mbcnt_hi_u32_b32 v1, -1, v5
	v_lshlrev_b32_e32 v0, 5, v33
	buffer_store_dword v1, off, s[56:59], 0 offset:472 ; 4-byte Folded Spill
	v_mov_b32_e32 v1, 0xff7fffff
	buffer_store_dword v1, off, s[56:59], 0 offset:460 ; 4-byte Folded Spill
	s_branch .LBB202_13
.LBB202_11:                             ;   in Loop: Header=BB202_13 Depth=1
	s_or_b64 exec, exec, s[40:41]
.LBB202_12:                             ;   in Loop: Header=BB202_13 Depth=1
	s_or_b64 exec, exec, s[6:7]
	v_add_co_u32_e64 v53, s[4:5], 8, v53
	v_add_u32_e32 v33, 2, v33
	v_addc_co_u32_e64 v54, s[4:5], 0, v54, s[4:5]
	v_cmp_le_i32_e64 s[4:5], s20, v33
	v_add_u32_e32 v0, 64, v0
	s_or_b64 s[38:39], s[4:5], s[38:39]
	v_add_u32_e32 v63, 0x100, v63
	s_andn2_b64 exec, exec, s[38:39]
	s_cbranch_execz .LBB202_356
.LBB202_13:                             ; =>This Inner Loop Header: Depth=1
	buffer_load_dword v4, off, s[56:59], 0 offset:260 ; 4-byte Folded Reload
	v_mul_hi_u32 v1, v0, s46
	s_waitcnt lgkmcnt(0)
	v_mul_lo_u32 v2, v1, s25
	v_add_u32_e32 v3, 1, v1
	v_sub_u32_e32 v2, v0, v2
	v_cmp_le_u32_e64 s[4:5], s25, v2
	v_cndmask_b32_e64 v1, v1, v3, s[4:5]
	v_subrev_u32_e32 v3, s25, v2
	v_cndmask_b32_e64 v2, v2, v3, s[4:5]
	v_add_u32_e32 v3, 1, v1
	v_cmp_le_u32_e64 s[4:5], s25, v2
	v_cndmask_b32_e64 v1, v1, v3, s[4:5]
	v_xor_b32_e32 v1, s23, v1
	v_subrev_u32_e32 v1, s23, v1
	v_add_u32_e32 v2, s36, v1
	v_sub_u32_e32 v3, 0, v2
	v_max_i32_e32 v3, v2, v3
	v_ashrrev_i32_e32 v2, 31, v2
	v_cmp_ge_i32_e64 s[6:7], s49, v1
	s_waitcnt vmcnt(0)
	v_mul_hi_u32 v4, v3, v4
	v_mul_lo_u32 v4, v4, s50
	v_sub_u32_e32 v3, v3, v4
	v_subrev_u32_e32 v4, s50, v3
	v_cmp_le_u32_e64 s[4:5], s50, v3
	v_cndmask_b32_e64 v3, v3, v4, s[4:5]
	v_subrev_u32_e32 v4, s50, v3
	v_cmp_le_u32_e64 s[4:5], s50, v3
	v_cndmask_b32_e64 v3, v3, v4, s[4:5]
	v_xor_b32_e32 v3, v3, v2
	v_sub_u32_e32 v2, v3, v2
	v_cmp_ne_u32_e64 s[4:5], 0, v2
	s_and_b64 s[4:5], s[4:5], s[6:7]
	s_and_saveexec_b64 s[6:7], s[4:5]
	s_xor_b64 s[4:5], exec, s[6:7]
	s_cbranch_execz .LBB202_17
; %bb.14:                               ;   in Loop: Header=BB202_13 Depth=1
	s_and_saveexec_b64 s[6:7], vcc
; %bb.15:                               ;   in Loop: Header=BB202_13 Depth=1
	v_mov_b32_e32 v1, 0xff7fffff
	ds_write_b32 v63, v1
; %bb.16:                               ;   in Loop: Header=BB202_13 Depth=1
	s_or_b64 exec, exec, s[6:7]
.LBB202_17:                             ;   in Loop: Header=BB202_13 Depth=1
	s_andn2_saveexec_b64 s[6:7], s[4:5]
	s_cbranch_execz .LBB202_12
; %bb.18:                               ;   in Loop: Header=BB202_13 Depth=1
	global_load_dword v1, v[53:54], off
	buffer_load_dword v2, off, s[56:59], 0 offset:464 ; 4-byte Folded Reload
	buffer_load_dword v3, off, s[56:59], 0 offset:468 ; 4-byte Folded Reload
	v_mov_b32_e32 v35, 0
	v_mov_b32_e32 v41, 0
	;; [unrolled: 1-line block ×4, first 2 shown]
	s_waitcnt vmcnt(0)
	v_mad_i64_i32 v[59:60], s[4:5], v1, s51, v[2:3]
	global_load_ushort v2, v[59:60], off
	ds_read_b128 v[43:46], v32
	ds_read_b128 v[3:6], v32 offset:16
	s_waitcnt lgkmcnt(0)
	buffer_store_dword v3, off, s[56:59], 0 offset:416 ; 4-byte Folded Spill
	s_nop 0
	buffer_store_dword v4, off, s[56:59], 0 offset:420 ; 4-byte Folded Spill
	buffer_store_dword v5, off, s[56:59], 0 offset:424 ; 4-byte Folded Spill
	;; [unrolled: 1-line block ×3, first 2 shown]
	ds_read_b64 v[3:4], v32 offset:192
	s_waitcnt lgkmcnt(0)
	buffer_store_dword v3, off, s[56:59], 0 offset:264 ; 4-byte Folded Spill
	s_nop 0
	buffer_store_dword v4, off, s[56:59], 0 offset:268 ; 4-byte Folded Spill
	ds_read_b128 v[3:6], v32 offset:32
	s_load_dword s55, s[12:13], 0x0
	s_waitcnt lgkmcnt(0)
	buffer_store_dword v3, off, s[56:59], 0 offset:432 ; 4-byte Folded Spill
	s_nop 0
	buffer_store_dword v4, off, s[56:59], 0 offset:436 ; 4-byte Folded Spill
	buffer_store_dword v5, off, s[56:59], 0 offset:440 ; 4-byte Folded Spill
	buffer_store_dword v6, off, s[56:59], 0 offset:444 ; 4-byte Folded Spill
	ds_read_b128 v[3:6], v32 offset:48
	s_waitcnt lgkmcnt(0)
	buffer_store_dword v3, off, s[56:59], 0 offset:384 ; 4-byte Folded Spill
	s_nop 0
	buffer_store_dword v4, off, s[56:59], 0 offset:388 ; 4-byte Folded Spill
	buffer_store_dword v5, off, s[56:59], 0 offset:392 ; 4-byte Folded Spill
	buffer_store_dword v6, off, s[56:59], 0 offset:396 ; 4-byte Folded Spill
	ds_read_b128 v[3:6], v32 offset:64
	;; [unrolled: 7-line block ×7, first 2 shown]
	s_waitcnt lgkmcnt(0)
	buffer_store_dword v3, off, s[56:59], 0 offset:272 ; 4-byte Folded Spill
	s_nop 0
	buffer_store_dword v4, off, s[56:59], 0 offset:276 ; 4-byte Folded Spill
	buffer_store_dword v5, off, s[56:59], 0 offset:280 ; 4-byte Folded Spill
	;; [unrolled: 1-line block ×3, first 2 shown]
	s_waitcnt vmcnt(38)
	v_and_b32_e32 v1, 0xffff, v2
	v_cmp_ne_u16_sdwa s[4:5], v2, v49 src0_sel:BYTE_0 src1_sel:DWORD
	ds_read_b128 v[2:5], v32 offset:160
	s_waitcnt lgkmcnt(0)
	buffer_store_dword v2, off, s[56:59], 0 offset:336 ; 4-byte Folded Spill
	s_nop 0
	buffer_store_dword v3, off, s[56:59], 0 offset:340 ; 4-byte Folded Spill
	buffer_store_dword v4, off, s[56:59], 0 offset:344 ; 4-byte Folded Spill
	;; [unrolled: 1-line block ×3, first 2 shown]
	ds_read_b128 v[2:5], v32 offset:176
	s_waitcnt lgkmcnt(0)
	buffer_store_dword v2, off, s[56:59], 0 offset:288 ; 4-byte Folded Spill
	s_nop 0
	buffer_store_dword v3, off, s[56:59], 0 offset:292 ; 4-byte Folded Spill
	buffer_store_dword v4, off, s[56:59], 0 offset:296 ; 4-byte Folded Spill
	;; [unrolled: 1-line block ×3, first 2 shown]
	s_and_saveexec_b64 s[40:41], s[4:5]
	s_cbranch_execz .LBB202_24
; %bb.19:                               ;   in Loop: Header=BB202_13 Depth=1
	v_bfrev_b32_e32 v41, 1
	v_mov_b32_e32 v42, 0
	v_cmp_ne_u16_sdwa s[4:5], v1, s52 src0_sel:BYTE_0 src1_sel:DWORD
	s_and_saveexec_b64 s[42:43], s[4:5]
	s_cbranch_execz .LBB202_23
; %bb.20:                               ;   in Loop: Header=BB202_13 Depth=1
	v_and_b32_e32 v2, 0x7f, v1
	v_mov_b32_e32 v41, 0x7f800001
	v_mov_b32_e32 v42, 0
	v_cmp_ne_u32_e64 s[4:5], s53, v2
	s_and_saveexec_b64 s[44:45], s[4:5]
	s_cbranch_execz .LBB202_22
; %bb.21:                               ;   in Loop: Header=BB202_13 Depth=1
	v_and_b32_e32 v4, 7, v1
	v_lshrrev_b32_e32 v5, 3, v2
	v_cmp_gt_u32_e64 s[4:5], 8, v2
	v_ffbh_u32_e32 v2, v4
	v_min_u32_e32 v6, 32, v2
	v_subrev_u32_e32 v2, 28, v6
	v_lshlrev_b64 v[2:3], v2, v[1:2]
	v_sub_u32_e32 v3, 29, v6
	v_and_b32_e32 v2, 7, v2
	v_cndmask_b32_e64 v3, v5, v3, s[4:5]
	v_cndmask_b32_e64 v2, v4, v2, s[4:5]
	v_bfrev_b32_e32 v5, 60
	v_lshlrev_b32_e32 v2, 20, v2
	v_and_b32_sdwa v4, sext(v1), s54 dst_sel:DWORD dst_unused:UNUSED_PAD src0_sel:BYTE_0 src1_sel:DWORD
	v_lshl_add_u32 v3, v3, 23, v5
	v_or3_b32 v41, v4, v3, v2
	v_mov_b32_e32 v42, v49
.LBB202_22:                             ;   in Loop: Header=BB202_13 Depth=1
	s_or_b64 exec, exec, s[44:45]
.LBB202_23:                             ;   in Loop: Header=BB202_13 Depth=1
	s_or_b64 exec, exec, s[42:43]
.LBB202_24:                             ;   in Loop: Header=BB202_13 Depth=1
	s_or_b64 exec, exec, s[40:41]
	v_cmp_ne_u16_sdwa s[4:5], v1, v49 src0_sel:BYTE_1 src1_sel:DWORD
	s_and_saveexec_b64 s[40:41], s[4:5]
	s_cbranch_execz .LBB202_30
; %bb.25:                               ;   in Loop: Header=BB202_13 Depth=1
	v_mov_b32_e32 v35, v49
	v_cmp_ne_u16_sdwa s[4:5], v1, s52 src0_sel:BYTE_1 src1_sel:DWORD
	v_mov_b32_e32 v36, v50
	s_and_saveexec_b64 s[42:43], s[4:5]
	s_cbranch_execz .LBB202_29
; %bb.26:                               ;   in Loop: Header=BB202_13 Depth=1
	v_and_b32_sdwa v2, v1, s53 dst_sel:DWORD dst_unused:UNUSED_PAD src0_sel:BYTE_1 src1_sel:DWORD
	v_mov_b32_e32 v27, v49
	v_mov_b32_e32 v36, v28
	v_cmp_ne_u32_e64 s[4:5], s53, v2
	v_mov_b32_e32 v35, v27
	s_and_saveexec_b64 s[44:45], s[4:5]
	s_cbranch_execz .LBB202_28
; %bb.27:                               ;   in Loop: Header=BB202_13 Depth=1
	v_mov_b32_e32 v3, 7
	v_and_b32_sdwa v3, v1, v3 dst_sel:DWORD dst_unused:UNUSED_PAD src0_sel:BYTE_1 src1_sel:DWORD
	v_lshrrev_b32_e32 v6, 3, v2
	v_cmp_gt_u32_e64 s[4:5], 8, v2
	v_ffbh_u32_e32 v2, v3
	v_min_u32_e32 v2, 32, v2
	v_mov_b32_e32 v4, v49
	v_subrev_u32_e32 v5, 28, v2
	v_lshlrev_b64 v[4:5], v5, v[3:4]
	v_sub_u32_e32 v2, 29, v2
	v_and_b32_e32 v4, 7, v4
	v_cndmask_b32_e64 v2, v6, v2, s[4:5]
	v_cndmask_b32_e64 v3, v3, v4, s[4:5]
	v_bfrev_b32_e32 v4, 60
	v_lshlrev_b32_e32 v1, 16, v1
	v_lshl_add_u32 v2, v2, 23, v4
	v_and_or_b32 v1, v1, s54, v2
	v_lshlrev_b32_e32 v2, 20, v3
	v_or_b32_e32 v36, v1, v2
	v_mov_b32_e32 v35, v49
.LBB202_28:                             ;   in Loop: Header=BB202_13 Depth=1
	s_or_b64 exec, exec, s[44:45]
.LBB202_29:                             ;   in Loop: Header=BB202_13 Depth=1
	s_or_b64 exec, exec, s[42:43]
.LBB202_30:                             ;   in Loop: Header=BB202_13 Depth=1
	s_or_b64 exec, exec, s[40:41]
	global_load_ushort v2, v[59:60], off offset:4
	v_mov_b32_e32 v37, 0
	v_mov_b32_e32 v39, 0
	;; [unrolled: 1-line block ×4, first 2 shown]
	s_waitcnt vmcnt(0)
	v_and_b32_e32 v1, 0xffff, v2
	v_cmp_ne_u16_sdwa s[4:5], v2, v49 src0_sel:BYTE_0 src1_sel:DWORD
	s_and_saveexec_b64 s[40:41], s[4:5]
	s_cbranch_execz .LBB202_36
; %bb.31:                               ;   in Loop: Header=BB202_13 Depth=1
	v_bfrev_b32_e32 v39, 1
	v_mov_b32_e32 v40, 0
	v_cmp_ne_u16_sdwa s[4:5], v1, s52 src0_sel:BYTE_0 src1_sel:DWORD
	s_and_saveexec_b64 s[42:43], s[4:5]
	s_cbranch_execz .LBB202_35
; %bb.32:                               ;   in Loop: Header=BB202_13 Depth=1
	v_and_b32_e32 v2, 0x7f, v1
	v_mov_b32_e32 v39, 0x7f800001
	v_mov_b32_e32 v40, 0
	v_cmp_ne_u32_e64 s[4:5], s53, v2
	s_and_saveexec_b64 s[44:45], s[4:5]
	s_cbranch_execz .LBB202_34
; %bb.33:                               ;   in Loop: Header=BB202_13 Depth=1
	v_and_b32_e32 v4, 7, v1
	v_lshrrev_b32_e32 v5, 3, v2
	v_cmp_gt_u32_e64 s[4:5], 8, v2
	v_ffbh_u32_e32 v2, v4
	v_min_u32_e32 v6, 32, v2
	v_subrev_u32_e32 v2, 28, v6
	v_lshlrev_b64 v[2:3], v2, v[1:2]
	v_sub_u32_e32 v3, 29, v6
	v_and_b32_e32 v2, 7, v2
	v_cndmask_b32_e64 v3, v5, v3, s[4:5]
	v_cndmask_b32_e64 v2, v4, v2, s[4:5]
	v_bfrev_b32_e32 v5, 60
	v_lshlrev_b32_e32 v2, 20, v2
	v_and_b32_sdwa v4, sext(v1), s54 dst_sel:DWORD dst_unused:UNUSED_PAD src0_sel:BYTE_0 src1_sel:DWORD
	v_lshl_add_u32 v3, v3, 23, v5
	v_or3_b32 v39, v4, v3, v2
	v_mov_b32_e32 v40, v49
.LBB202_34:                             ;   in Loop: Header=BB202_13 Depth=1
	s_or_b64 exec, exec, s[44:45]
.LBB202_35:                             ;   in Loop: Header=BB202_13 Depth=1
	s_or_b64 exec, exec, s[42:43]
.LBB202_36:                             ;   in Loop: Header=BB202_13 Depth=1
	s_or_b64 exec, exec, s[40:41]
	v_cmp_ne_u16_sdwa s[4:5], v1, v49 src0_sel:BYTE_1 src1_sel:DWORD
	s_and_saveexec_b64 s[40:41], s[4:5]
	s_cbranch_execz .LBB202_42
; %bb.37:                               ;   in Loop: Header=BB202_13 Depth=1
	v_mov_b32_e32 v37, v49
	v_cmp_ne_u16_sdwa s[4:5], v1, s52 src0_sel:BYTE_1 src1_sel:DWORD
	v_mov_b32_e32 v38, v50
	s_and_saveexec_b64 s[42:43], s[4:5]
	s_cbranch_execz .LBB202_41
; %bb.38:                               ;   in Loop: Header=BB202_13 Depth=1
	v_and_b32_sdwa v2, v1, s53 dst_sel:DWORD dst_unused:UNUSED_PAD src0_sel:BYTE_1 src1_sel:DWORD
	v_mov_b32_e32 v27, v49
	v_mov_b32_e32 v38, v28
	v_cmp_ne_u32_e64 s[4:5], s53, v2
	v_mov_b32_e32 v37, v27
	s_and_saveexec_b64 s[44:45], s[4:5]
	s_cbranch_execz .LBB202_40
; %bb.39:                               ;   in Loop: Header=BB202_13 Depth=1
	v_mov_b32_e32 v3, 7
	v_and_b32_sdwa v3, v1, v3 dst_sel:DWORD dst_unused:UNUSED_PAD src0_sel:BYTE_1 src1_sel:DWORD
	v_lshrrev_b32_e32 v6, 3, v2
	v_cmp_gt_u32_e64 s[4:5], 8, v2
	v_ffbh_u32_e32 v2, v3
	v_min_u32_e32 v2, 32, v2
	v_mov_b32_e32 v4, v49
	v_subrev_u32_e32 v5, 28, v2
	v_lshlrev_b64 v[4:5], v5, v[3:4]
	v_sub_u32_e32 v2, 29, v2
	v_and_b32_e32 v4, 7, v4
	v_cndmask_b32_e64 v2, v6, v2, s[4:5]
	v_cndmask_b32_e64 v3, v3, v4, s[4:5]
	v_bfrev_b32_e32 v4, 60
	v_lshlrev_b32_e32 v1, 16, v1
	v_lshl_add_u32 v2, v2, 23, v4
	v_and_or_b32 v1, v1, s54, v2
	v_lshlrev_b32_e32 v2, 20, v3
	v_or_b32_e32 v38, v1, v2
	v_mov_b32_e32 v37, v49
.LBB202_40:                             ;   in Loop: Header=BB202_13 Depth=1
	s_or_b64 exec, exec, s[44:45]
.LBB202_41:                             ;   in Loop: Header=BB202_13 Depth=1
	s_or_b64 exec, exec, s[42:43]
.LBB202_42:                             ;   in Loop: Header=BB202_13 Depth=1
	s_or_b64 exec, exec, s[40:41]
	global_load_ushort v2, v[59:60], off offset:8
	v_mov_b32_e32 v47, 0
	v_mov_b32_e32 v48, 0
	s_waitcnt vmcnt(0)
	v_and_b32_e32 v1, 0xffff, v2
	v_cmp_ne_u16_sdwa s[4:5], v2, v49 src0_sel:BYTE_0 src1_sel:DWORD
	v_mov_b32_e32 v2, 0
	v_mov_b32_e32 v3, 0
	buffer_store_dword v2, off, s[56:59], 0 offset:4 ; 4-byte Folded Spill
	s_nop 0
	buffer_store_dword v3, off, s[56:59], 0 offset:8 ; 4-byte Folded Spill
	s_and_saveexec_b64 s[40:41], s[4:5]
	s_cbranch_execz .LBB202_48
; %bb.43:                               ;   in Loop: Header=BB202_13 Depth=1
	v_bfrev_b32_e32 v47, 1
	v_mov_b32_e32 v48, 0
	v_cmp_ne_u16_sdwa s[4:5], v1, s52 src0_sel:BYTE_0 src1_sel:DWORD
	s_and_saveexec_b64 s[42:43], s[4:5]
	s_cbranch_execz .LBB202_47
; %bb.44:                               ;   in Loop: Header=BB202_13 Depth=1
	v_and_b32_e32 v2, 0x7f, v1
	v_mov_b32_e32 v47, 0x7f800001
	v_mov_b32_e32 v48, 0
	v_cmp_ne_u32_e64 s[4:5], s53, v2
	s_and_saveexec_b64 s[44:45], s[4:5]
	s_cbranch_execz .LBB202_46
; %bb.45:                               ;   in Loop: Header=BB202_13 Depth=1
	v_and_b32_e32 v4, 7, v1
	v_lshrrev_b32_e32 v5, 3, v2
	v_cmp_gt_u32_e64 s[4:5], 8, v2
	v_ffbh_u32_e32 v2, v4
	v_min_u32_e32 v6, 32, v2
	v_subrev_u32_e32 v2, 28, v6
	v_lshlrev_b64 v[2:3], v2, v[1:2]
	v_sub_u32_e32 v3, 29, v6
	v_and_b32_e32 v2, 7, v2
	v_cndmask_b32_e64 v3, v5, v3, s[4:5]
	v_cndmask_b32_e64 v2, v4, v2, s[4:5]
	v_bfrev_b32_e32 v5, 60
	v_lshlrev_b32_e32 v2, 20, v2
	v_and_b32_sdwa v4, sext(v1), s54 dst_sel:DWORD dst_unused:UNUSED_PAD src0_sel:BYTE_0 src1_sel:DWORD
	v_lshl_add_u32 v3, v3, 23, v5
	v_or3_b32 v47, v4, v3, v2
	v_mov_b32_e32 v48, v49
.LBB202_46:                             ;   in Loop: Header=BB202_13 Depth=1
	s_or_b64 exec, exec, s[44:45]
.LBB202_47:                             ;   in Loop: Header=BB202_13 Depth=1
	s_or_b64 exec, exec, s[42:43]
.LBB202_48:                             ;   in Loop: Header=BB202_13 Depth=1
	s_or_b64 exec, exec, s[40:41]
	v_cmp_ne_u16_sdwa s[4:5], v1, v49 src0_sel:BYTE_1 src1_sel:DWORD
	s_and_saveexec_b64 s[40:41], s[4:5]
	s_cbranch_execz .LBB202_54
; %bb.49:                               ;   in Loop: Header=BB202_13 Depth=1
	v_cmp_ne_u16_sdwa s[4:5], v1, s52 src0_sel:BYTE_1 src1_sel:DWORD
	buffer_store_dword v49, off, s[56:59], 0 offset:4 ; 4-byte Folded Spill
	s_nop 0
	buffer_store_dword v50, off, s[56:59], 0 offset:8 ; 4-byte Folded Spill
	s_and_saveexec_b64 s[42:43], s[4:5]
	s_cbranch_execz .LBB202_53
; %bb.50:                               ;   in Loop: Header=BB202_13 Depth=1
	v_and_b32_sdwa v2, v1, s53 dst_sel:DWORD dst_unused:UNUSED_PAD src0_sel:BYTE_1 src1_sel:DWORD
	v_cmp_ne_u32_e64 s[4:5], s53, v2
	v_mov_b32_e32 v27, v49
	buffer_store_dword v27, off, s[56:59], 0 offset:4 ; 4-byte Folded Spill
	s_nop 0
	buffer_store_dword v28, off, s[56:59], 0 offset:8 ; 4-byte Folded Spill
	s_and_saveexec_b64 s[44:45], s[4:5]
	s_cbranch_execz .LBB202_52
; %bb.51:                               ;   in Loop: Header=BB202_13 Depth=1
	v_mov_b32_e32 v3, 7
	v_and_b32_sdwa v3, v1, v3 dst_sel:DWORD dst_unused:UNUSED_PAD src0_sel:BYTE_1 src1_sel:DWORD
	v_lshrrev_b32_e32 v6, 3, v2
	v_cmp_gt_u32_e64 s[4:5], 8, v2
	v_ffbh_u32_e32 v2, v3
	v_min_u32_e32 v2, 32, v2
	v_mov_b32_e32 v4, v49
	v_subrev_u32_e32 v5, 28, v2
	v_lshlrev_b64 v[4:5], v5, v[3:4]
	v_sub_u32_e32 v2, 29, v2
	v_and_b32_e32 v4, 7, v4
	v_cndmask_b32_e64 v2, v6, v2, s[4:5]
	v_cndmask_b32_e64 v3, v3, v4, s[4:5]
	v_bfrev_b32_e32 v4, 60
	v_lshlrev_b32_e32 v1, 16, v1
	v_lshl_add_u32 v2, v2, 23, v4
	v_and_or_b32 v1, v1, s54, v2
	v_lshlrev_b32_e32 v2, 20, v3
	v_or_b32_e32 v2, v1, v2
	v_mov_b32_e32 v1, v49
	buffer_store_dword v1, off, s[56:59], 0 offset:4 ; 4-byte Folded Spill
	s_nop 0
	buffer_store_dword v2, off, s[56:59], 0 offset:8 ; 4-byte Folded Spill
.LBB202_52:                             ;   in Loop: Header=BB202_13 Depth=1
	s_or_b64 exec, exec, s[44:45]
.LBB202_53:                             ;   in Loop: Header=BB202_13 Depth=1
	s_or_b64 exec, exec, s[42:43]
.LBB202_54:                             ;   in Loop: Header=BB202_13 Depth=1
	s_or_b64 exec, exec, s[40:41]
	global_load_ushort v2, v[59:60], off offset:12
	s_waitcnt vmcnt(0)
	v_and_b32_e32 v1, 0xffff, v2
	v_cmp_ne_u16_sdwa s[4:5], v2, v49 src0_sel:BYTE_0 src1_sel:DWORD
	v_mov_b32_e32 v2, 0
	v_mov_b32_e32 v3, 0
	buffer_store_dword v2, off, s[56:59], 0 offset:20 ; 4-byte Folded Spill
	s_nop 0
	buffer_store_dword v3, off, s[56:59], 0 offset:24 ; 4-byte Folded Spill
	v_mov_b32_e32 v2, 0
	v_mov_b32_e32 v3, 0
	buffer_store_dword v2, off, s[56:59], 0 offset:12 ; 4-byte Folded Spill
	s_nop 0
	buffer_store_dword v3, off, s[56:59], 0 offset:16 ; 4-byte Folded Spill
	s_and_saveexec_b64 s[40:41], s[4:5]
	s_cbranch_execz .LBB202_60
; %bb.55:                               ;   in Loop: Header=BB202_13 Depth=1
	v_bfrev_b32_e32 v2, 1
	v_mov_b32_e32 v3, 0
	v_cmp_ne_u16_sdwa s[4:5], v1, s52 src0_sel:BYTE_0 src1_sel:DWORD
	buffer_store_dword v2, off, s[56:59], 0 offset:12 ; 4-byte Folded Spill
	s_nop 0
	buffer_store_dword v3, off, s[56:59], 0 offset:16 ; 4-byte Folded Spill
	s_and_saveexec_b64 s[42:43], s[4:5]
	s_cbranch_execz .LBB202_59
; %bb.56:                               ;   in Loop: Header=BB202_13 Depth=1
	v_and_b32_e32 v2, 0x7f, v1
	v_mov_b32_e32 v3, 0x7f800001
	v_mov_b32_e32 v4, 0
	v_cmp_ne_u32_e64 s[4:5], s53, v2
	buffer_store_dword v3, off, s[56:59], 0 offset:12 ; 4-byte Folded Spill
	s_nop 0
	buffer_store_dword v4, off, s[56:59], 0 offset:16 ; 4-byte Folded Spill
	s_and_saveexec_b64 s[44:45], s[4:5]
	s_cbranch_execz .LBB202_58
; %bb.57:                               ;   in Loop: Header=BB202_13 Depth=1
	v_and_b32_e32 v4, 7, v1
	v_lshrrev_b32_e32 v5, 3, v2
	v_cmp_gt_u32_e64 s[4:5], 8, v2
	v_ffbh_u32_e32 v2, v4
	v_min_u32_e32 v6, 32, v2
	v_subrev_u32_e32 v2, 28, v6
	v_lshlrev_b64 v[2:3], v2, v[1:2]
	v_sub_u32_e32 v3, 29, v6
	v_and_b32_e32 v2, 7, v2
	v_cndmask_b32_e64 v3, v5, v3, s[4:5]
	v_cndmask_b32_e64 v2, v4, v2, s[4:5]
	v_bfrev_b32_e32 v5, 60
	v_lshlrev_b32_e32 v2, 20, v2
	v_and_b32_sdwa v4, sext(v1), s54 dst_sel:DWORD dst_unused:UNUSED_PAD src0_sel:BYTE_0 src1_sel:DWORD
	v_lshl_add_u32 v3, v3, 23, v5
	v_or3_b32 v2, v4, v3, v2
	v_mov_b32_e32 v3, v49
	buffer_store_dword v2, off, s[56:59], 0 offset:12 ; 4-byte Folded Spill
	s_nop 0
	buffer_store_dword v3, off, s[56:59], 0 offset:16 ; 4-byte Folded Spill
.LBB202_58:                             ;   in Loop: Header=BB202_13 Depth=1
	s_or_b64 exec, exec, s[44:45]
.LBB202_59:                             ;   in Loop: Header=BB202_13 Depth=1
	s_or_b64 exec, exec, s[42:43]
.LBB202_60:                             ;   in Loop: Header=BB202_13 Depth=1
	s_or_b64 exec, exec, s[40:41]
	v_cmp_ne_u16_sdwa s[4:5], v1, v49 src0_sel:BYTE_1 src1_sel:DWORD
	s_and_saveexec_b64 s[40:41], s[4:5]
	s_cbranch_execz .LBB202_66
; %bb.61:                               ;   in Loop: Header=BB202_13 Depth=1
	v_cmp_ne_u16_sdwa s[4:5], v1, s52 src0_sel:BYTE_1 src1_sel:DWORD
	buffer_store_dword v49, off, s[56:59], 0 offset:20 ; 4-byte Folded Spill
	s_nop 0
	buffer_store_dword v50, off, s[56:59], 0 offset:24 ; 4-byte Folded Spill
	s_and_saveexec_b64 s[42:43], s[4:5]
	s_cbranch_execz .LBB202_65
; %bb.62:                               ;   in Loop: Header=BB202_13 Depth=1
	v_and_b32_sdwa v2, v1, s53 dst_sel:DWORD dst_unused:UNUSED_PAD src0_sel:BYTE_1 src1_sel:DWORD
	v_cmp_ne_u32_e64 s[4:5], s53, v2
	v_mov_b32_e32 v27, v49
	buffer_store_dword v27, off, s[56:59], 0 offset:20 ; 4-byte Folded Spill
	s_nop 0
	buffer_store_dword v28, off, s[56:59], 0 offset:24 ; 4-byte Folded Spill
	s_and_saveexec_b64 s[44:45], s[4:5]
	s_cbranch_execz .LBB202_64
; %bb.63:                               ;   in Loop: Header=BB202_13 Depth=1
	v_mov_b32_e32 v3, 7
	v_and_b32_sdwa v3, v1, v3 dst_sel:DWORD dst_unused:UNUSED_PAD src0_sel:BYTE_1 src1_sel:DWORD
	v_lshrrev_b32_e32 v6, 3, v2
	v_cmp_gt_u32_e64 s[4:5], 8, v2
	v_ffbh_u32_e32 v2, v3
	v_min_u32_e32 v2, 32, v2
	v_mov_b32_e32 v4, v49
	v_subrev_u32_e32 v5, 28, v2
	v_lshlrev_b64 v[4:5], v5, v[3:4]
	v_sub_u32_e32 v2, 29, v2
	v_and_b32_e32 v4, 7, v4
	v_cndmask_b32_e64 v2, v6, v2, s[4:5]
	v_cndmask_b32_e64 v3, v3, v4, s[4:5]
	v_bfrev_b32_e32 v4, 60
	v_lshlrev_b32_e32 v1, 16, v1
	v_lshl_add_u32 v2, v2, 23, v4
	v_and_or_b32 v1, v1, s54, v2
	v_lshlrev_b32_e32 v2, 20, v3
	v_or_b32_e32 v2, v1, v2
	v_mov_b32_e32 v1, v49
	buffer_store_dword v1, off, s[56:59], 0 offset:20 ; 4-byte Folded Spill
	s_nop 0
	buffer_store_dword v2, off, s[56:59], 0 offset:24 ; 4-byte Folded Spill
.LBB202_64:                             ;   in Loop: Header=BB202_13 Depth=1
	s_or_b64 exec, exec, s[44:45]
.LBB202_65:                             ;   in Loop: Header=BB202_13 Depth=1
	s_or_b64 exec, exec, s[42:43]
.LBB202_66:                             ;   in Loop: Header=BB202_13 Depth=1
	s_or_b64 exec, exec, s[40:41]
	global_load_ushort v2, v[59:60], off offset:512
	s_waitcnt vmcnt(0)
	v_and_b32_e32 v1, 0xffff, v2
	v_cmp_ne_u16_sdwa s[4:5], v2, v49 src0_sel:BYTE_0 src1_sel:DWORD
	v_mov_b32_e32 v2, 0
	v_mov_b32_e32 v3, 0
	buffer_store_dword v2, off, s[56:59], 0 offset:36 ; 4-byte Folded Spill
	s_nop 0
	buffer_store_dword v3, off, s[56:59], 0 offset:40 ; 4-byte Folded Spill
	v_mov_b32_e32 v2, 0
	v_mov_b32_e32 v3, 0
	buffer_store_dword v2, off, s[56:59], 0 offset:28 ; 4-byte Folded Spill
	s_nop 0
	buffer_store_dword v3, off, s[56:59], 0 offset:32 ; 4-byte Folded Spill
	s_and_saveexec_b64 s[40:41], s[4:5]
	s_cbranch_execz .LBB202_72
; %bb.67:                               ;   in Loop: Header=BB202_13 Depth=1
	v_bfrev_b32_e32 v2, 1
	v_mov_b32_e32 v3, 0
	v_cmp_ne_u16_sdwa s[4:5], v1, s52 src0_sel:BYTE_0 src1_sel:DWORD
	buffer_store_dword v2, off, s[56:59], 0 offset:28 ; 4-byte Folded Spill
	s_nop 0
	buffer_store_dword v3, off, s[56:59], 0 offset:32 ; 4-byte Folded Spill
	s_and_saveexec_b64 s[42:43], s[4:5]
	s_cbranch_execz .LBB202_71
; %bb.68:                               ;   in Loop: Header=BB202_13 Depth=1
	v_and_b32_e32 v2, 0x7f, v1
	v_mov_b32_e32 v3, 0x7f800001
	v_mov_b32_e32 v4, 0
	v_cmp_ne_u32_e64 s[4:5], s53, v2
	buffer_store_dword v3, off, s[56:59], 0 offset:28 ; 4-byte Folded Spill
	s_nop 0
	buffer_store_dword v4, off, s[56:59], 0 offset:32 ; 4-byte Folded Spill
	s_and_saveexec_b64 s[44:45], s[4:5]
	s_cbranch_execz .LBB202_70
; %bb.69:                               ;   in Loop: Header=BB202_13 Depth=1
	v_and_b32_e32 v4, 7, v1
	v_lshrrev_b32_e32 v5, 3, v2
	v_cmp_gt_u32_e64 s[4:5], 8, v2
	v_ffbh_u32_e32 v2, v4
	v_min_u32_e32 v6, 32, v2
	v_subrev_u32_e32 v2, 28, v6
	v_lshlrev_b64 v[2:3], v2, v[1:2]
	v_sub_u32_e32 v3, 29, v6
	v_and_b32_e32 v2, 7, v2
	v_cndmask_b32_e64 v3, v5, v3, s[4:5]
	v_cndmask_b32_e64 v2, v4, v2, s[4:5]
	v_bfrev_b32_e32 v5, 60
	v_lshlrev_b32_e32 v2, 20, v2
	v_and_b32_sdwa v4, sext(v1), s54 dst_sel:DWORD dst_unused:UNUSED_PAD src0_sel:BYTE_0 src1_sel:DWORD
	v_lshl_add_u32 v3, v3, 23, v5
	v_or3_b32 v2, v4, v3, v2
	v_mov_b32_e32 v3, v49
	buffer_store_dword v2, off, s[56:59], 0 offset:28 ; 4-byte Folded Spill
	s_nop 0
	buffer_store_dword v3, off, s[56:59], 0 offset:32 ; 4-byte Folded Spill
.LBB202_70:                             ;   in Loop: Header=BB202_13 Depth=1
	s_or_b64 exec, exec, s[44:45]
.LBB202_71:                             ;   in Loop: Header=BB202_13 Depth=1
	s_or_b64 exec, exec, s[42:43]
.LBB202_72:                             ;   in Loop: Header=BB202_13 Depth=1
	s_or_b64 exec, exec, s[40:41]
	v_cmp_ne_u16_sdwa s[4:5], v1, v49 src0_sel:BYTE_1 src1_sel:DWORD
	s_and_saveexec_b64 s[40:41], s[4:5]
	s_cbranch_execz .LBB202_78
; %bb.73:                               ;   in Loop: Header=BB202_13 Depth=1
	v_cmp_ne_u16_sdwa s[4:5], v1, s52 src0_sel:BYTE_1 src1_sel:DWORD
	buffer_store_dword v49, off, s[56:59], 0 offset:36 ; 4-byte Folded Spill
	s_nop 0
	buffer_store_dword v50, off, s[56:59], 0 offset:40 ; 4-byte Folded Spill
	s_and_saveexec_b64 s[42:43], s[4:5]
	s_cbranch_execz .LBB202_77
; %bb.74:                               ;   in Loop: Header=BB202_13 Depth=1
	v_and_b32_sdwa v2, v1, s53 dst_sel:DWORD dst_unused:UNUSED_PAD src0_sel:BYTE_1 src1_sel:DWORD
	v_cmp_ne_u32_e64 s[4:5], s53, v2
	v_mov_b32_e32 v27, v49
	buffer_store_dword v27, off, s[56:59], 0 offset:36 ; 4-byte Folded Spill
	s_nop 0
	buffer_store_dword v28, off, s[56:59], 0 offset:40 ; 4-byte Folded Spill
	s_and_saveexec_b64 s[44:45], s[4:5]
	s_cbranch_execz .LBB202_76
; %bb.75:                               ;   in Loop: Header=BB202_13 Depth=1
	v_mov_b32_e32 v3, 7
	v_and_b32_sdwa v3, v1, v3 dst_sel:DWORD dst_unused:UNUSED_PAD src0_sel:BYTE_1 src1_sel:DWORD
	v_lshrrev_b32_e32 v6, 3, v2
	v_cmp_gt_u32_e64 s[4:5], 8, v2
	v_ffbh_u32_e32 v2, v3
	v_min_u32_e32 v2, 32, v2
	v_mov_b32_e32 v4, v49
	v_subrev_u32_e32 v5, 28, v2
	v_lshlrev_b64 v[4:5], v5, v[3:4]
	v_sub_u32_e32 v2, 29, v2
	v_and_b32_e32 v4, 7, v4
	v_cndmask_b32_e64 v2, v6, v2, s[4:5]
	v_cndmask_b32_e64 v3, v3, v4, s[4:5]
	v_bfrev_b32_e32 v4, 60
	v_lshlrev_b32_e32 v1, 16, v1
	v_lshl_add_u32 v2, v2, 23, v4
	v_and_or_b32 v1, v1, s54, v2
	v_lshlrev_b32_e32 v2, 20, v3
	v_or_b32_e32 v2, v1, v2
	v_mov_b32_e32 v1, v49
	buffer_store_dword v1, off, s[56:59], 0 offset:36 ; 4-byte Folded Spill
	s_nop 0
	buffer_store_dword v2, off, s[56:59], 0 offset:40 ; 4-byte Folded Spill
.LBB202_76:                             ;   in Loop: Header=BB202_13 Depth=1
	s_or_b64 exec, exec, s[44:45]
.LBB202_77:                             ;   in Loop: Header=BB202_13 Depth=1
	s_or_b64 exec, exec, s[42:43]
.LBB202_78:                             ;   in Loop: Header=BB202_13 Depth=1
	s_or_b64 exec, exec, s[40:41]
	global_load_ushort v2, v[59:60], off offset:516
	s_waitcnt vmcnt(0)
	v_and_b32_e32 v1, 0xffff, v2
	v_cmp_ne_u16_sdwa s[4:5], v2, v49 src0_sel:BYTE_0 src1_sel:DWORD
	v_mov_b32_e32 v2, 0
	v_mov_b32_e32 v3, 0
	buffer_store_dword v2, off, s[56:59], 0 offset:52 ; 4-byte Folded Spill
	s_nop 0
	buffer_store_dword v3, off, s[56:59], 0 offset:56 ; 4-byte Folded Spill
	v_mov_b32_e32 v2, 0
	v_mov_b32_e32 v3, 0
	buffer_store_dword v2, off, s[56:59], 0 offset:44 ; 4-byte Folded Spill
	s_nop 0
	buffer_store_dword v3, off, s[56:59], 0 offset:48 ; 4-byte Folded Spill
	s_and_saveexec_b64 s[40:41], s[4:5]
	s_cbranch_execz .LBB202_84
; %bb.79:                               ;   in Loop: Header=BB202_13 Depth=1
	v_bfrev_b32_e32 v2, 1
	v_mov_b32_e32 v3, 0
	v_cmp_ne_u16_sdwa s[4:5], v1, s52 src0_sel:BYTE_0 src1_sel:DWORD
	buffer_store_dword v2, off, s[56:59], 0 offset:44 ; 4-byte Folded Spill
	s_nop 0
	buffer_store_dword v3, off, s[56:59], 0 offset:48 ; 4-byte Folded Spill
	s_and_saveexec_b64 s[42:43], s[4:5]
	s_cbranch_execz .LBB202_83
; %bb.80:                               ;   in Loop: Header=BB202_13 Depth=1
	v_and_b32_e32 v2, 0x7f, v1
	v_mov_b32_e32 v3, 0x7f800001
	v_mov_b32_e32 v4, 0
	v_cmp_ne_u32_e64 s[4:5], s53, v2
	buffer_store_dword v3, off, s[56:59], 0 offset:44 ; 4-byte Folded Spill
	s_nop 0
	buffer_store_dword v4, off, s[56:59], 0 offset:48 ; 4-byte Folded Spill
	s_and_saveexec_b64 s[44:45], s[4:5]
	s_cbranch_execz .LBB202_82
; %bb.81:                               ;   in Loop: Header=BB202_13 Depth=1
	v_and_b32_e32 v4, 7, v1
	v_lshrrev_b32_e32 v5, 3, v2
	v_cmp_gt_u32_e64 s[4:5], 8, v2
	v_ffbh_u32_e32 v2, v4
	v_min_u32_e32 v6, 32, v2
	v_subrev_u32_e32 v2, 28, v6
	v_lshlrev_b64 v[2:3], v2, v[1:2]
	v_sub_u32_e32 v3, 29, v6
	v_and_b32_e32 v2, 7, v2
	v_cndmask_b32_e64 v3, v5, v3, s[4:5]
	v_cndmask_b32_e64 v2, v4, v2, s[4:5]
	v_bfrev_b32_e32 v5, 60
	v_lshlrev_b32_e32 v2, 20, v2
	v_and_b32_sdwa v4, sext(v1), s54 dst_sel:DWORD dst_unused:UNUSED_PAD src0_sel:BYTE_0 src1_sel:DWORD
	v_lshl_add_u32 v3, v3, 23, v5
	v_or3_b32 v2, v4, v3, v2
	v_mov_b32_e32 v3, v49
	buffer_store_dword v2, off, s[56:59], 0 offset:44 ; 4-byte Folded Spill
	s_nop 0
	buffer_store_dword v3, off, s[56:59], 0 offset:48 ; 4-byte Folded Spill
.LBB202_82:                             ;   in Loop: Header=BB202_13 Depth=1
	s_or_b64 exec, exec, s[44:45]
.LBB202_83:                             ;   in Loop: Header=BB202_13 Depth=1
	s_or_b64 exec, exec, s[42:43]
.LBB202_84:                             ;   in Loop: Header=BB202_13 Depth=1
	s_or_b64 exec, exec, s[40:41]
	v_cmp_ne_u16_sdwa s[4:5], v1, v49 src0_sel:BYTE_1 src1_sel:DWORD
	s_and_saveexec_b64 s[40:41], s[4:5]
	s_cbranch_execz .LBB202_90
; %bb.85:                               ;   in Loop: Header=BB202_13 Depth=1
	v_cmp_ne_u16_sdwa s[4:5], v1, s52 src0_sel:BYTE_1 src1_sel:DWORD
	buffer_store_dword v49, off, s[56:59], 0 offset:52 ; 4-byte Folded Spill
	s_nop 0
	buffer_store_dword v50, off, s[56:59], 0 offset:56 ; 4-byte Folded Spill
	s_and_saveexec_b64 s[42:43], s[4:5]
	s_cbranch_execz .LBB202_89
; %bb.86:                               ;   in Loop: Header=BB202_13 Depth=1
	v_and_b32_sdwa v2, v1, s53 dst_sel:DWORD dst_unused:UNUSED_PAD src0_sel:BYTE_1 src1_sel:DWORD
	v_cmp_ne_u32_e64 s[4:5], s53, v2
	v_mov_b32_e32 v27, v49
	buffer_store_dword v27, off, s[56:59], 0 offset:52 ; 4-byte Folded Spill
	s_nop 0
	buffer_store_dword v28, off, s[56:59], 0 offset:56 ; 4-byte Folded Spill
	s_and_saveexec_b64 s[44:45], s[4:5]
	s_cbranch_execz .LBB202_88
; %bb.87:                               ;   in Loop: Header=BB202_13 Depth=1
	v_mov_b32_e32 v3, 7
	v_and_b32_sdwa v3, v1, v3 dst_sel:DWORD dst_unused:UNUSED_PAD src0_sel:BYTE_1 src1_sel:DWORD
	v_lshrrev_b32_e32 v6, 3, v2
	v_cmp_gt_u32_e64 s[4:5], 8, v2
	v_ffbh_u32_e32 v2, v3
	v_min_u32_e32 v2, 32, v2
	v_mov_b32_e32 v4, v49
	v_subrev_u32_e32 v5, 28, v2
	v_lshlrev_b64 v[4:5], v5, v[3:4]
	v_sub_u32_e32 v2, 29, v2
	v_and_b32_e32 v4, 7, v4
	v_cndmask_b32_e64 v2, v6, v2, s[4:5]
	v_cndmask_b32_e64 v3, v3, v4, s[4:5]
	v_bfrev_b32_e32 v4, 60
	v_lshlrev_b32_e32 v1, 16, v1
	v_lshl_add_u32 v2, v2, 23, v4
	v_and_or_b32 v1, v1, s54, v2
	v_lshlrev_b32_e32 v2, 20, v3
	v_or_b32_e32 v2, v1, v2
	v_mov_b32_e32 v1, v49
	buffer_store_dword v1, off, s[56:59], 0 offset:52 ; 4-byte Folded Spill
	s_nop 0
	buffer_store_dword v2, off, s[56:59], 0 offset:56 ; 4-byte Folded Spill
.LBB202_88:                             ;   in Loop: Header=BB202_13 Depth=1
	s_or_b64 exec, exec, s[44:45]
.LBB202_89:                             ;   in Loop: Header=BB202_13 Depth=1
	s_or_b64 exec, exec, s[42:43]
.LBB202_90:                             ;   in Loop: Header=BB202_13 Depth=1
	s_or_b64 exec, exec, s[40:41]
	global_load_ushort v2, v[59:60], off offset:520
	s_waitcnt vmcnt(0)
	v_and_b32_e32 v1, 0xffff, v2
	v_cmp_ne_u16_sdwa s[4:5], v2, v49 src0_sel:BYTE_0 src1_sel:DWORD
	v_mov_b32_e32 v2, 0
	v_mov_b32_e32 v3, 0
	buffer_store_dword v2, off, s[56:59], 0 offset:68 ; 4-byte Folded Spill
	s_nop 0
	buffer_store_dword v3, off, s[56:59], 0 offset:72 ; 4-byte Folded Spill
	v_mov_b32_e32 v2, 0
	v_mov_b32_e32 v3, 0
	buffer_store_dword v2, off, s[56:59], 0 offset:60 ; 4-byte Folded Spill
	s_nop 0
	buffer_store_dword v3, off, s[56:59], 0 offset:64 ; 4-byte Folded Spill
	s_and_saveexec_b64 s[40:41], s[4:5]
	s_cbranch_execz .LBB202_96
; %bb.91:                               ;   in Loop: Header=BB202_13 Depth=1
	v_bfrev_b32_e32 v2, 1
	v_mov_b32_e32 v3, 0
	v_cmp_ne_u16_sdwa s[4:5], v1, s52 src0_sel:BYTE_0 src1_sel:DWORD
	buffer_store_dword v2, off, s[56:59], 0 offset:60 ; 4-byte Folded Spill
	s_nop 0
	buffer_store_dword v3, off, s[56:59], 0 offset:64 ; 4-byte Folded Spill
	s_and_saveexec_b64 s[42:43], s[4:5]
	s_cbranch_execz .LBB202_95
; %bb.92:                               ;   in Loop: Header=BB202_13 Depth=1
	v_and_b32_e32 v2, 0x7f, v1
	v_mov_b32_e32 v3, 0x7f800001
	v_mov_b32_e32 v4, 0
	v_cmp_ne_u32_e64 s[4:5], s53, v2
	buffer_store_dword v3, off, s[56:59], 0 offset:60 ; 4-byte Folded Spill
	s_nop 0
	buffer_store_dword v4, off, s[56:59], 0 offset:64 ; 4-byte Folded Spill
	s_and_saveexec_b64 s[44:45], s[4:5]
	s_cbranch_execz .LBB202_94
; %bb.93:                               ;   in Loop: Header=BB202_13 Depth=1
	v_and_b32_e32 v4, 7, v1
	v_lshrrev_b32_e32 v5, 3, v2
	v_cmp_gt_u32_e64 s[4:5], 8, v2
	v_ffbh_u32_e32 v2, v4
	v_min_u32_e32 v6, 32, v2
	v_subrev_u32_e32 v2, 28, v6
	v_lshlrev_b64 v[2:3], v2, v[1:2]
	v_sub_u32_e32 v3, 29, v6
	v_and_b32_e32 v2, 7, v2
	v_cndmask_b32_e64 v3, v5, v3, s[4:5]
	v_cndmask_b32_e64 v2, v4, v2, s[4:5]
	v_bfrev_b32_e32 v5, 60
	v_lshlrev_b32_e32 v2, 20, v2
	v_and_b32_sdwa v4, sext(v1), s54 dst_sel:DWORD dst_unused:UNUSED_PAD src0_sel:BYTE_0 src1_sel:DWORD
	v_lshl_add_u32 v3, v3, 23, v5
	v_or3_b32 v2, v4, v3, v2
	v_mov_b32_e32 v3, v49
	buffer_store_dword v2, off, s[56:59], 0 offset:60 ; 4-byte Folded Spill
	s_nop 0
	buffer_store_dword v3, off, s[56:59], 0 offset:64 ; 4-byte Folded Spill
.LBB202_94:                             ;   in Loop: Header=BB202_13 Depth=1
	s_or_b64 exec, exec, s[44:45]
.LBB202_95:                             ;   in Loop: Header=BB202_13 Depth=1
	s_or_b64 exec, exec, s[42:43]
.LBB202_96:                             ;   in Loop: Header=BB202_13 Depth=1
	s_or_b64 exec, exec, s[40:41]
	v_cmp_ne_u16_sdwa s[4:5], v1, v49 src0_sel:BYTE_1 src1_sel:DWORD
	s_and_saveexec_b64 s[40:41], s[4:5]
	s_cbranch_execz .LBB202_102
; %bb.97:                               ;   in Loop: Header=BB202_13 Depth=1
	v_cmp_ne_u16_sdwa s[4:5], v1, s52 src0_sel:BYTE_1 src1_sel:DWORD
	buffer_store_dword v49, off, s[56:59], 0 offset:68 ; 4-byte Folded Spill
	s_nop 0
	buffer_store_dword v50, off, s[56:59], 0 offset:72 ; 4-byte Folded Spill
	s_and_saveexec_b64 s[42:43], s[4:5]
	s_cbranch_execz .LBB202_101
; %bb.98:                               ;   in Loop: Header=BB202_13 Depth=1
	v_and_b32_sdwa v2, v1, s53 dst_sel:DWORD dst_unused:UNUSED_PAD src0_sel:BYTE_1 src1_sel:DWORD
	v_cmp_ne_u32_e64 s[4:5], s53, v2
	v_mov_b32_e32 v27, v49
	buffer_store_dword v27, off, s[56:59], 0 offset:68 ; 4-byte Folded Spill
	s_nop 0
	buffer_store_dword v28, off, s[56:59], 0 offset:72 ; 4-byte Folded Spill
	s_and_saveexec_b64 s[44:45], s[4:5]
	s_cbranch_execz .LBB202_100
; %bb.99:                               ;   in Loop: Header=BB202_13 Depth=1
	v_mov_b32_e32 v3, 7
	v_and_b32_sdwa v3, v1, v3 dst_sel:DWORD dst_unused:UNUSED_PAD src0_sel:BYTE_1 src1_sel:DWORD
	v_lshrrev_b32_e32 v6, 3, v2
	v_cmp_gt_u32_e64 s[4:5], 8, v2
	v_ffbh_u32_e32 v2, v3
	v_min_u32_e32 v2, 32, v2
	v_mov_b32_e32 v4, v49
	v_subrev_u32_e32 v5, 28, v2
	v_lshlrev_b64 v[4:5], v5, v[3:4]
	v_sub_u32_e32 v2, 29, v2
	v_and_b32_e32 v4, 7, v4
	v_cndmask_b32_e64 v2, v6, v2, s[4:5]
	v_cndmask_b32_e64 v3, v3, v4, s[4:5]
	v_bfrev_b32_e32 v4, 60
	v_lshlrev_b32_e32 v1, 16, v1
	v_lshl_add_u32 v2, v2, 23, v4
	v_and_or_b32 v1, v1, s54, v2
	v_lshlrev_b32_e32 v2, 20, v3
	v_or_b32_e32 v2, v1, v2
	v_mov_b32_e32 v1, v49
	buffer_store_dword v1, off, s[56:59], 0 offset:68 ; 4-byte Folded Spill
	s_nop 0
	buffer_store_dword v2, off, s[56:59], 0 offset:72 ; 4-byte Folded Spill
.LBB202_100:                            ;   in Loop: Header=BB202_13 Depth=1
	s_or_b64 exec, exec, s[44:45]
.LBB202_101:                            ;   in Loop: Header=BB202_13 Depth=1
	s_or_b64 exec, exec, s[42:43]
.LBB202_102:                            ;   in Loop: Header=BB202_13 Depth=1
	s_or_b64 exec, exec, s[40:41]
	global_load_ushort v2, v[59:60], off offset:524
	s_waitcnt vmcnt(0)
	v_and_b32_e32 v1, 0xffff, v2
	v_cmp_ne_u16_sdwa s[4:5], v2, v49 src0_sel:BYTE_0 src1_sel:DWORD
	v_mov_b32_e32 v2, 0
	v_mov_b32_e32 v3, 0
	buffer_store_dword v2, off, s[56:59], 0 offset:84 ; 4-byte Folded Spill
	s_nop 0
	buffer_store_dword v3, off, s[56:59], 0 offset:88 ; 4-byte Folded Spill
	v_mov_b32_e32 v2, 0
	v_mov_b32_e32 v3, 0
	buffer_store_dword v2, off, s[56:59], 0 offset:76 ; 4-byte Folded Spill
	s_nop 0
	buffer_store_dword v3, off, s[56:59], 0 offset:80 ; 4-byte Folded Spill
	s_and_saveexec_b64 s[40:41], s[4:5]
	s_cbranch_execz .LBB202_108
; %bb.103:                              ;   in Loop: Header=BB202_13 Depth=1
	v_bfrev_b32_e32 v2, 1
	v_mov_b32_e32 v3, 0
	v_cmp_ne_u16_sdwa s[4:5], v1, s52 src0_sel:BYTE_0 src1_sel:DWORD
	buffer_store_dword v2, off, s[56:59], 0 offset:76 ; 4-byte Folded Spill
	s_nop 0
	buffer_store_dword v3, off, s[56:59], 0 offset:80 ; 4-byte Folded Spill
	s_and_saveexec_b64 s[42:43], s[4:5]
	s_cbranch_execz .LBB202_107
; %bb.104:                              ;   in Loop: Header=BB202_13 Depth=1
	v_and_b32_e32 v2, 0x7f, v1
	v_mov_b32_e32 v3, 0x7f800001
	v_mov_b32_e32 v4, 0
	v_cmp_ne_u32_e64 s[4:5], s53, v2
	buffer_store_dword v3, off, s[56:59], 0 offset:76 ; 4-byte Folded Spill
	s_nop 0
	buffer_store_dword v4, off, s[56:59], 0 offset:80 ; 4-byte Folded Spill
	s_and_saveexec_b64 s[44:45], s[4:5]
	s_cbranch_execz .LBB202_106
; %bb.105:                              ;   in Loop: Header=BB202_13 Depth=1
	v_and_b32_e32 v4, 7, v1
	v_lshrrev_b32_e32 v5, 3, v2
	v_cmp_gt_u32_e64 s[4:5], 8, v2
	v_ffbh_u32_e32 v2, v4
	v_min_u32_e32 v6, 32, v2
	v_subrev_u32_e32 v2, 28, v6
	v_lshlrev_b64 v[2:3], v2, v[1:2]
	v_sub_u32_e32 v3, 29, v6
	v_and_b32_e32 v2, 7, v2
	v_cndmask_b32_e64 v3, v5, v3, s[4:5]
	v_cndmask_b32_e64 v2, v4, v2, s[4:5]
	v_bfrev_b32_e32 v5, 60
	v_lshlrev_b32_e32 v2, 20, v2
	v_and_b32_sdwa v4, sext(v1), s54 dst_sel:DWORD dst_unused:UNUSED_PAD src0_sel:BYTE_0 src1_sel:DWORD
	v_lshl_add_u32 v3, v3, 23, v5
	v_or3_b32 v2, v4, v3, v2
	v_mov_b32_e32 v3, v49
	buffer_store_dword v2, off, s[56:59], 0 offset:76 ; 4-byte Folded Spill
	s_nop 0
	buffer_store_dword v3, off, s[56:59], 0 offset:80 ; 4-byte Folded Spill
.LBB202_106:                            ;   in Loop: Header=BB202_13 Depth=1
	s_or_b64 exec, exec, s[44:45]
.LBB202_107:                            ;   in Loop: Header=BB202_13 Depth=1
	s_or_b64 exec, exec, s[42:43]
.LBB202_108:                            ;   in Loop: Header=BB202_13 Depth=1
	s_or_b64 exec, exec, s[40:41]
	v_cmp_ne_u16_sdwa s[4:5], v1, v49 src0_sel:BYTE_1 src1_sel:DWORD
	s_and_saveexec_b64 s[40:41], s[4:5]
	s_cbranch_execz .LBB202_114
; %bb.109:                              ;   in Loop: Header=BB202_13 Depth=1
	v_cmp_ne_u16_sdwa s[4:5], v1, s52 src0_sel:BYTE_1 src1_sel:DWORD
	buffer_store_dword v49, off, s[56:59], 0 offset:84 ; 4-byte Folded Spill
	s_nop 0
	buffer_store_dword v50, off, s[56:59], 0 offset:88 ; 4-byte Folded Spill
	s_and_saveexec_b64 s[42:43], s[4:5]
	s_cbranch_execz .LBB202_113
; %bb.110:                              ;   in Loop: Header=BB202_13 Depth=1
	v_and_b32_sdwa v2, v1, s53 dst_sel:DWORD dst_unused:UNUSED_PAD src0_sel:BYTE_1 src1_sel:DWORD
	v_cmp_ne_u32_e64 s[4:5], s53, v2
	v_mov_b32_e32 v27, v49
	buffer_store_dword v27, off, s[56:59], 0 offset:84 ; 4-byte Folded Spill
	s_nop 0
	buffer_store_dword v28, off, s[56:59], 0 offset:88 ; 4-byte Folded Spill
	s_and_saveexec_b64 s[44:45], s[4:5]
	s_cbranch_execz .LBB202_112
; %bb.111:                              ;   in Loop: Header=BB202_13 Depth=1
	v_mov_b32_e32 v3, 7
	v_and_b32_sdwa v3, v1, v3 dst_sel:DWORD dst_unused:UNUSED_PAD src0_sel:BYTE_1 src1_sel:DWORD
	v_lshrrev_b32_e32 v6, 3, v2
	v_cmp_gt_u32_e64 s[4:5], 8, v2
	v_ffbh_u32_e32 v2, v3
	v_min_u32_e32 v2, 32, v2
	v_mov_b32_e32 v4, v49
	v_subrev_u32_e32 v5, 28, v2
	v_lshlrev_b64 v[4:5], v5, v[3:4]
	v_sub_u32_e32 v2, 29, v2
	v_and_b32_e32 v4, 7, v4
	v_cndmask_b32_e64 v2, v6, v2, s[4:5]
	v_cndmask_b32_e64 v3, v3, v4, s[4:5]
	v_bfrev_b32_e32 v4, 60
	v_lshlrev_b32_e32 v1, 16, v1
	v_lshl_add_u32 v2, v2, 23, v4
	v_and_or_b32 v1, v1, s54, v2
	v_lshlrev_b32_e32 v2, 20, v3
	v_or_b32_e32 v2, v1, v2
	v_mov_b32_e32 v1, v49
	buffer_store_dword v1, off, s[56:59], 0 offset:84 ; 4-byte Folded Spill
	s_nop 0
	buffer_store_dword v2, off, s[56:59], 0 offset:88 ; 4-byte Folded Spill
.LBB202_112:                            ;   in Loop: Header=BB202_13 Depth=1
	s_or_b64 exec, exec, s[44:45]
.LBB202_113:                            ;   in Loop: Header=BB202_13 Depth=1
	s_or_b64 exec, exec, s[42:43]
.LBB202_114:                            ;   in Loop: Header=BB202_13 Depth=1
	s_or_b64 exec, exec, s[40:41]
	global_load_ushort v2, v[59:60], off offset:1024
	s_waitcnt vmcnt(0)
	v_and_b32_e32 v1, 0xffff, v2
	v_cmp_ne_u16_sdwa s[4:5], v2, v49 src0_sel:BYTE_0 src1_sel:DWORD
	v_mov_b32_e32 v2, 0
	v_mov_b32_e32 v3, 0
	buffer_store_dword v2, off, s[56:59], 0 offset:100 ; 4-byte Folded Spill
	s_nop 0
	buffer_store_dword v3, off, s[56:59], 0 offset:104 ; 4-byte Folded Spill
	v_mov_b32_e32 v2, 0
	v_mov_b32_e32 v3, 0
	buffer_store_dword v2, off, s[56:59], 0 offset:92 ; 4-byte Folded Spill
	s_nop 0
	buffer_store_dword v3, off, s[56:59], 0 offset:96 ; 4-byte Folded Spill
	s_and_saveexec_b64 s[40:41], s[4:5]
	s_cbranch_execz .LBB202_120
; %bb.115:                              ;   in Loop: Header=BB202_13 Depth=1
	v_bfrev_b32_e32 v2, 1
	v_mov_b32_e32 v3, 0
	v_cmp_ne_u16_sdwa s[4:5], v1, s52 src0_sel:BYTE_0 src1_sel:DWORD
	buffer_store_dword v2, off, s[56:59], 0 offset:92 ; 4-byte Folded Spill
	s_nop 0
	buffer_store_dword v3, off, s[56:59], 0 offset:96 ; 4-byte Folded Spill
	s_and_saveexec_b64 s[42:43], s[4:5]
	s_cbranch_execz .LBB202_119
; %bb.116:                              ;   in Loop: Header=BB202_13 Depth=1
	v_and_b32_e32 v2, 0x7f, v1
	v_mov_b32_e32 v3, 0x7f800001
	v_mov_b32_e32 v4, 0
	v_cmp_ne_u32_e64 s[4:5], s53, v2
	buffer_store_dword v3, off, s[56:59], 0 offset:92 ; 4-byte Folded Spill
	s_nop 0
	buffer_store_dword v4, off, s[56:59], 0 offset:96 ; 4-byte Folded Spill
	s_and_saveexec_b64 s[44:45], s[4:5]
	s_cbranch_execz .LBB202_118
; %bb.117:                              ;   in Loop: Header=BB202_13 Depth=1
	v_and_b32_e32 v4, 7, v1
	v_lshrrev_b32_e32 v5, 3, v2
	v_cmp_gt_u32_e64 s[4:5], 8, v2
	v_ffbh_u32_e32 v2, v4
	v_min_u32_e32 v6, 32, v2
	v_subrev_u32_e32 v2, 28, v6
	v_lshlrev_b64 v[2:3], v2, v[1:2]
	v_sub_u32_e32 v3, 29, v6
	v_and_b32_e32 v2, 7, v2
	v_cndmask_b32_e64 v3, v5, v3, s[4:5]
	v_cndmask_b32_e64 v2, v4, v2, s[4:5]
	v_bfrev_b32_e32 v5, 60
	v_lshlrev_b32_e32 v2, 20, v2
	v_and_b32_sdwa v4, sext(v1), s54 dst_sel:DWORD dst_unused:UNUSED_PAD src0_sel:BYTE_0 src1_sel:DWORD
	v_lshl_add_u32 v3, v3, 23, v5
	v_or3_b32 v2, v4, v3, v2
	v_mov_b32_e32 v3, v49
	buffer_store_dword v2, off, s[56:59], 0 offset:92 ; 4-byte Folded Spill
	s_nop 0
	buffer_store_dword v3, off, s[56:59], 0 offset:96 ; 4-byte Folded Spill
.LBB202_118:                            ;   in Loop: Header=BB202_13 Depth=1
	s_or_b64 exec, exec, s[44:45]
.LBB202_119:                            ;   in Loop: Header=BB202_13 Depth=1
	s_or_b64 exec, exec, s[42:43]
.LBB202_120:                            ;   in Loop: Header=BB202_13 Depth=1
	s_or_b64 exec, exec, s[40:41]
	v_cmp_ne_u16_sdwa s[4:5], v1, v49 src0_sel:BYTE_1 src1_sel:DWORD
	s_and_saveexec_b64 s[40:41], s[4:5]
	s_cbranch_execz .LBB202_126
; %bb.121:                              ;   in Loop: Header=BB202_13 Depth=1
	v_cmp_ne_u16_sdwa s[4:5], v1, s52 src0_sel:BYTE_1 src1_sel:DWORD
	buffer_store_dword v49, off, s[56:59], 0 offset:100 ; 4-byte Folded Spill
	s_nop 0
	buffer_store_dword v50, off, s[56:59], 0 offset:104 ; 4-byte Folded Spill
	s_and_saveexec_b64 s[42:43], s[4:5]
	s_cbranch_execz .LBB202_125
; %bb.122:                              ;   in Loop: Header=BB202_13 Depth=1
	v_and_b32_sdwa v2, v1, s53 dst_sel:DWORD dst_unused:UNUSED_PAD src0_sel:BYTE_1 src1_sel:DWORD
	v_cmp_ne_u32_e64 s[4:5], s53, v2
	v_mov_b32_e32 v27, v49
	buffer_store_dword v27, off, s[56:59], 0 offset:100 ; 4-byte Folded Spill
	s_nop 0
	buffer_store_dword v28, off, s[56:59], 0 offset:104 ; 4-byte Folded Spill
	s_and_saveexec_b64 s[44:45], s[4:5]
	s_cbranch_execz .LBB202_124
; %bb.123:                              ;   in Loop: Header=BB202_13 Depth=1
	v_mov_b32_e32 v3, 7
	v_and_b32_sdwa v3, v1, v3 dst_sel:DWORD dst_unused:UNUSED_PAD src0_sel:BYTE_1 src1_sel:DWORD
	v_lshrrev_b32_e32 v6, 3, v2
	v_cmp_gt_u32_e64 s[4:5], 8, v2
	v_ffbh_u32_e32 v2, v3
	v_min_u32_e32 v2, 32, v2
	v_mov_b32_e32 v4, v49
	v_subrev_u32_e32 v5, 28, v2
	v_lshlrev_b64 v[4:5], v5, v[3:4]
	v_sub_u32_e32 v2, 29, v2
	v_and_b32_e32 v4, 7, v4
	v_cndmask_b32_e64 v2, v6, v2, s[4:5]
	v_cndmask_b32_e64 v3, v3, v4, s[4:5]
	v_bfrev_b32_e32 v4, 60
	v_lshlrev_b32_e32 v1, 16, v1
	v_lshl_add_u32 v2, v2, 23, v4
	v_and_or_b32 v1, v1, s54, v2
	v_lshlrev_b32_e32 v2, 20, v3
	v_or_b32_e32 v2, v1, v2
	v_mov_b32_e32 v1, v49
	buffer_store_dword v1, off, s[56:59], 0 offset:100 ; 4-byte Folded Spill
	s_nop 0
	buffer_store_dword v2, off, s[56:59], 0 offset:104 ; 4-byte Folded Spill
.LBB202_124:                            ;   in Loop: Header=BB202_13 Depth=1
	s_or_b64 exec, exec, s[44:45]
.LBB202_125:                            ;   in Loop: Header=BB202_13 Depth=1
	s_or_b64 exec, exec, s[42:43]
.LBB202_126:                            ;   in Loop: Header=BB202_13 Depth=1
	s_or_b64 exec, exec, s[40:41]
	global_load_ushort v2, v[59:60], off offset:1028
	s_waitcnt vmcnt(0)
	v_and_b32_e32 v1, 0xffff, v2
	v_cmp_ne_u16_sdwa s[4:5], v2, v49 src0_sel:BYTE_0 src1_sel:DWORD
	v_mov_b32_e32 v2, 0
	v_mov_b32_e32 v3, 0
	buffer_store_dword v2, off, s[56:59], 0 offset:116 ; 4-byte Folded Spill
	s_nop 0
	buffer_store_dword v3, off, s[56:59], 0 offset:120 ; 4-byte Folded Spill
	v_mov_b32_e32 v2, 0
	v_mov_b32_e32 v3, 0
	buffer_store_dword v2, off, s[56:59], 0 offset:108 ; 4-byte Folded Spill
	s_nop 0
	buffer_store_dword v3, off, s[56:59], 0 offset:112 ; 4-byte Folded Spill
	s_and_saveexec_b64 s[40:41], s[4:5]
	s_cbranch_execz .LBB202_132
; %bb.127:                              ;   in Loop: Header=BB202_13 Depth=1
	v_bfrev_b32_e32 v2, 1
	v_mov_b32_e32 v3, 0
	v_cmp_ne_u16_sdwa s[4:5], v1, s52 src0_sel:BYTE_0 src1_sel:DWORD
	buffer_store_dword v2, off, s[56:59], 0 offset:108 ; 4-byte Folded Spill
	s_nop 0
	buffer_store_dword v3, off, s[56:59], 0 offset:112 ; 4-byte Folded Spill
	s_and_saveexec_b64 s[42:43], s[4:5]
	s_cbranch_execz .LBB202_131
; %bb.128:                              ;   in Loop: Header=BB202_13 Depth=1
	v_and_b32_e32 v2, 0x7f, v1
	v_mov_b32_e32 v3, 0x7f800001
	v_mov_b32_e32 v4, 0
	v_cmp_ne_u32_e64 s[4:5], s53, v2
	buffer_store_dword v3, off, s[56:59], 0 offset:108 ; 4-byte Folded Spill
	s_nop 0
	buffer_store_dword v4, off, s[56:59], 0 offset:112 ; 4-byte Folded Spill
	s_and_saveexec_b64 s[44:45], s[4:5]
	s_cbranch_execz .LBB202_130
; %bb.129:                              ;   in Loop: Header=BB202_13 Depth=1
	v_and_b32_e32 v4, 7, v1
	v_lshrrev_b32_e32 v5, 3, v2
	v_cmp_gt_u32_e64 s[4:5], 8, v2
	v_ffbh_u32_e32 v2, v4
	v_min_u32_e32 v6, 32, v2
	v_subrev_u32_e32 v2, 28, v6
	v_lshlrev_b64 v[2:3], v2, v[1:2]
	v_sub_u32_e32 v3, 29, v6
	v_and_b32_e32 v2, 7, v2
	v_cndmask_b32_e64 v3, v5, v3, s[4:5]
	v_cndmask_b32_e64 v2, v4, v2, s[4:5]
	v_bfrev_b32_e32 v5, 60
	v_lshlrev_b32_e32 v2, 20, v2
	v_and_b32_sdwa v4, sext(v1), s54 dst_sel:DWORD dst_unused:UNUSED_PAD src0_sel:BYTE_0 src1_sel:DWORD
	v_lshl_add_u32 v3, v3, 23, v5
	v_or3_b32 v2, v4, v3, v2
	v_mov_b32_e32 v3, v49
	buffer_store_dword v2, off, s[56:59], 0 offset:108 ; 4-byte Folded Spill
	s_nop 0
	buffer_store_dword v3, off, s[56:59], 0 offset:112 ; 4-byte Folded Spill
.LBB202_130:                            ;   in Loop: Header=BB202_13 Depth=1
	s_or_b64 exec, exec, s[44:45]
.LBB202_131:                            ;   in Loop: Header=BB202_13 Depth=1
	s_or_b64 exec, exec, s[42:43]
.LBB202_132:                            ;   in Loop: Header=BB202_13 Depth=1
	s_or_b64 exec, exec, s[40:41]
	v_cmp_ne_u16_sdwa s[4:5], v1, v49 src0_sel:BYTE_1 src1_sel:DWORD
	s_and_saveexec_b64 s[40:41], s[4:5]
	s_cbranch_execz .LBB202_138
; %bb.133:                              ;   in Loop: Header=BB202_13 Depth=1
	v_cmp_ne_u16_sdwa s[4:5], v1, s52 src0_sel:BYTE_1 src1_sel:DWORD
	buffer_store_dword v49, off, s[56:59], 0 offset:116 ; 4-byte Folded Spill
	s_nop 0
	buffer_store_dword v50, off, s[56:59], 0 offset:120 ; 4-byte Folded Spill
	s_and_saveexec_b64 s[42:43], s[4:5]
	s_cbranch_execz .LBB202_137
; %bb.134:                              ;   in Loop: Header=BB202_13 Depth=1
	v_and_b32_sdwa v2, v1, s53 dst_sel:DWORD dst_unused:UNUSED_PAD src0_sel:BYTE_1 src1_sel:DWORD
	v_cmp_ne_u32_e64 s[4:5], s53, v2
	v_mov_b32_e32 v27, v49
	buffer_store_dword v27, off, s[56:59], 0 offset:116 ; 4-byte Folded Spill
	s_nop 0
	buffer_store_dword v28, off, s[56:59], 0 offset:120 ; 4-byte Folded Spill
	s_and_saveexec_b64 s[44:45], s[4:5]
	s_cbranch_execz .LBB202_136
; %bb.135:                              ;   in Loop: Header=BB202_13 Depth=1
	v_mov_b32_e32 v3, 7
	v_and_b32_sdwa v3, v1, v3 dst_sel:DWORD dst_unused:UNUSED_PAD src0_sel:BYTE_1 src1_sel:DWORD
	v_lshrrev_b32_e32 v6, 3, v2
	v_cmp_gt_u32_e64 s[4:5], 8, v2
	v_ffbh_u32_e32 v2, v3
	v_min_u32_e32 v2, 32, v2
	v_mov_b32_e32 v4, v49
	v_subrev_u32_e32 v5, 28, v2
	v_lshlrev_b64 v[4:5], v5, v[3:4]
	v_sub_u32_e32 v2, 29, v2
	v_and_b32_e32 v4, 7, v4
	v_cndmask_b32_e64 v2, v6, v2, s[4:5]
	v_cndmask_b32_e64 v3, v3, v4, s[4:5]
	v_bfrev_b32_e32 v4, 60
	v_lshlrev_b32_e32 v1, 16, v1
	v_lshl_add_u32 v2, v2, 23, v4
	v_and_or_b32 v1, v1, s54, v2
	v_lshlrev_b32_e32 v2, 20, v3
	v_or_b32_e32 v2, v1, v2
	v_mov_b32_e32 v1, v49
	buffer_store_dword v1, off, s[56:59], 0 offset:116 ; 4-byte Folded Spill
	s_nop 0
	buffer_store_dword v2, off, s[56:59], 0 offset:120 ; 4-byte Folded Spill
.LBB202_136:                            ;   in Loop: Header=BB202_13 Depth=1
	s_or_b64 exec, exec, s[44:45]
.LBB202_137:                            ;   in Loop: Header=BB202_13 Depth=1
	s_or_b64 exec, exec, s[42:43]
.LBB202_138:                            ;   in Loop: Header=BB202_13 Depth=1
	s_or_b64 exec, exec, s[40:41]
	global_load_ushort v2, v[59:60], off offset:1032
	s_waitcnt vmcnt(0)
	v_and_b32_e32 v1, 0xffff, v2
	v_cmp_ne_u16_sdwa s[4:5], v2, v49 src0_sel:BYTE_0 src1_sel:DWORD
	v_mov_b32_e32 v2, 0
	v_mov_b32_e32 v3, 0
	buffer_store_dword v2, off, s[56:59], 0 offset:132 ; 4-byte Folded Spill
	s_nop 0
	buffer_store_dword v3, off, s[56:59], 0 offset:136 ; 4-byte Folded Spill
	v_mov_b32_e32 v2, 0
	v_mov_b32_e32 v3, 0
	buffer_store_dword v2, off, s[56:59], 0 offset:124 ; 4-byte Folded Spill
	s_nop 0
	buffer_store_dword v3, off, s[56:59], 0 offset:128 ; 4-byte Folded Spill
	s_and_saveexec_b64 s[40:41], s[4:5]
	s_cbranch_execz .LBB202_144
; %bb.139:                              ;   in Loop: Header=BB202_13 Depth=1
	v_bfrev_b32_e32 v2, 1
	v_mov_b32_e32 v3, 0
	v_cmp_ne_u16_sdwa s[4:5], v1, s52 src0_sel:BYTE_0 src1_sel:DWORD
	buffer_store_dword v2, off, s[56:59], 0 offset:124 ; 4-byte Folded Spill
	s_nop 0
	buffer_store_dword v3, off, s[56:59], 0 offset:128 ; 4-byte Folded Spill
	s_and_saveexec_b64 s[42:43], s[4:5]
	s_cbranch_execz .LBB202_143
; %bb.140:                              ;   in Loop: Header=BB202_13 Depth=1
	v_and_b32_e32 v2, 0x7f, v1
	v_mov_b32_e32 v3, 0x7f800001
	v_mov_b32_e32 v4, 0
	v_cmp_ne_u32_e64 s[4:5], s53, v2
	buffer_store_dword v3, off, s[56:59], 0 offset:124 ; 4-byte Folded Spill
	s_nop 0
	buffer_store_dword v4, off, s[56:59], 0 offset:128 ; 4-byte Folded Spill
	s_and_saveexec_b64 s[44:45], s[4:5]
	s_cbranch_execz .LBB202_142
; %bb.141:                              ;   in Loop: Header=BB202_13 Depth=1
	v_and_b32_e32 v4, 7, v1
	v_lshrrev_b32_e32 v5, 3, v2
	v_cmp_gt_u32_e64 s[4:5], 8, v2
	v_ffbh_u32_e32 v2, v4
	v_min_u32_e32 v6, 32, v2
	v_subrev_u32_e32 v2, 28, v6
	v_lshlrev_b64 v[2:3], v2, v[1:2]
	v_sub_u32_e32 v3, 29, v6
	v_and_b32_e32 v2, 7, v2
	v_cndmask_b32_e64 v3, v5, v3, s[4:5]
	v_cndmask_b32_e64 v2, v4, v2, s[4:5]
	v_bfrev_b32_e32 v5, 60
	v_lshlrev_b32_e32 v2, 20, v2
	v_and_b32_sdwa v4, sext(v1), s54 dst_sel:DWORD dst_unused:UNUSED_PAD src0_sel:BYTE_0 src1_sel:DWORD
	v_lshl_add_u32 v3, v3, 23, v5
	v_or3_b32 v2, v4, v3, v2
	v_mov_b32_e32 v3, v49
	buffer_store_dword v2, off, s[56:59], 0 offset:124 ; 4-byte Folded Spill
	s_nop 0
	buffer_store_dword v3, off, s[56:59], 0 offset:128 ; 4-byte Folded Spill
.LBB202_142:                            ;   in Loop: Header=BB202_13 Depth=1
	s_or_b64 exec, exec, s[44:45]
.LBB202_143:                            ;   in Loop: Header=BB202_13 Depth=1
	s_or_b64 exec, exec, s[42:43]
.LBB202_144:                            ;   in Loop: Header=BB202_13 Depth=1
	s_or_b64 exec, exec, s[40:41]
	v_cmp_ne_u16_sdwa s[4:5], v1, v49 src0_sel:BYTE_1 src1_sel:DWORD
	s_and_saveexec_b64 s[40:41], s[4:5]
	s_cbranch_execz .LBB202_150
; %bb.145:                              ;   in Loop: Header=BB202_13 Depth=1
	v_cmp_ne_u16_sdwa s[4:5], v1, s52 src0_sel:BYTE_1 src1_sel:DWORD
	buffer_store_dword v49, off, s[56:59], 0 offset:132 ; 4-byte Folded Spill
	s_nop 0
	buffer_store_dword v50, off, s[56:59], 0 offset:136 ; 4-byte Folded Spill
	s_and_saveexec_b64 s[42:43], s[4:5]
	s_cbranch_execz .LBB202_149
; %bb.146:                              ;   in Loop: Header=BB202_13 Depth=1
	v_and_b32_sdwa v2, v1, s53 dst_sel:DWORD dst_unused:UNUSED_PAD src0_sel:BYTE_1 src1_sel:DWORD
	v_cmp_ne_u32_e64 s[4:5], s53, v2
	v_mov_b32_e32 v27, v49
	buffer_store_dword v27, off, s[56:59], 0 offset:132 ; 4-byte Folded Spill
	s_nop 0
	buffer_store_dword v28, off, s[56:59], 0 offset:136 ; 4-byte Folded Spill
	s_and_saveexec_b64 s[44:45], s[4:5]
	s_cbranch_execz .LBB202_148
; %bb.147:                              ;   in Loop: Header=BB202_13 Depth=1
	v_mov_b32_e32 v3, 7
	v_and_b32_sdwa v3, v1, v3 dst_sel:DWORD dst_unused:UNUSED_PAD src0_sel:BYTE_1 src1_sel:DWORD
	v_lshrrev_b32_e32 v6, 3, v2
	v_cmp_gt_u32_e64 s[4:5], 8, v2
	v_ffbh_u32_e32 v2, v3
	v_min_u32_e32 v2, 32, v2
	v_mov_b32_e32 v4, v49
	v_subrev_u32_e32 v5, 28, v2
	v_lshlrev_b64 v[4:5], v5, v[3:4]
	v_sub_u32_e32 v2, 29, v2
	v_and_b32_e32 v4, 7, v4
	v_cndmask_b32_e64 v2, v6, v2, s[4:5]
	v_cndmask_b32_e64 v3, v3, v4, s[4:5]
	v_bfrev_b32_e32 v4, 60
	v_lshlrev_b32_e32 v1, 16, v1
	v_lshl_add_u32 v2, v2, 23, v4
	v_and_or_b32 v1, v1, s54, v2
	v_lshlrev_b32_e32 v2, 20, v3
	v_or_b32_e32 v2, v1, v2
	v_mov_b32_e32 v1, v49
	buffer_store_dword v1, off, s[56:59], 0 offset:132 ; 4-byte Folded Spill
	s_nop 0
	buffer_store_dword v2, off, s[56:59], 0 offset:136 ; 4-byte Folded Spill
.LBB202_148:                            ;   in Loop: Header=BB202_13 Depth=1
	s_or_b64 exec, exec, s[44:45]
.LBB202_149:                            ;   in Loop: Header=BB202_13 Depth=1
	s_or_b64 exec, exec, s[42:43]
.LBB202_150:                            ;   in Loop: Header=BB202_13 Depth=1
	s_or_b64 exec, exec, s[40:41]
	global_load_ushort v2, v[59:60], off offset:1036
	s_waitcnt vmcnt(0)
	v_and_b32_e32 v1, 0xffff, v2
	v_cmp_ne_u16_sdwa s[4:5], v2, v49 src0_sel:BYTE_0 src1_sel:DWORD
	v_mov_b32_e32 v2, 0
	v_mov_b32_e32 v3, 0
	buffer_store_dword v2, off, s[56:59], 0 offset:148 ; 4-byte Folded Spill
	s_nop 0
	buffer_store_dword v3, off, s[56:59], 0 offset:152 ; 4-byte Folded Spill
	v_mov_b32_e32 v2, 0
	v_mov_b32_e32 v3, 0
	buffer_store_dword v2, off, s[56:59], 0 offset:140 ; 4-byte Folded Spill
	s_nop 0
	buffer_store_dword v3, off, s[56:59], 0 offset:144 ; 4-byte Folded Spill
	s_and_saveexec_b64 s[40:41], s[4:5]
	s_cbranch_execz .LBB202_156
; %bb.151:                              ;   in Loop: Header=BB202_13 Depth=1
	v_bfrev_b32_e32 v2, 1
	v_mov_b32_e32 v3, 0
	v_cmp_ne_u16_sdwa s[4:5], v1, s52 src0_sel:BYTE_0 src1_sel:DWORD
	buffer_store_dword v2, off, s[56:59], 0 offset:140 ; 4-byte Folded Spill
	s_nop 0
	buffer_store_dword v3, off, s[56:59], 0 offset:144 ; 4-byte Folded Spill
	s_and_saveexec_b64 s[42:43], s[4:5]
	s_cbranch_execz .LBB202_155
; %bb.152:                              ;   in Loop: Header=BB202_13 Depth=1
	v_and_b32_e32 v2, 0x7f, v1
	v_mov_b32_e32 v3, 0x7f800001
	v_mov_b32_e32 v4, 0
	v_cmp_ne_u32_e64 s[4:5], s53, v2
	buffer_store_dword v3, off, s[56:59], 0 offset:140 ; 4-byte Folded Spill
	s_nop 0
	buffer_store_dword v4, off, s[56:59], 0 offset:144 ; 4-byte Folded Spill
	s_and_saveexec_b64 s[44:45], s[4:5]
	s_cbranch_execz .LBB202_154
; %bb.153:                              ;   in Loop: Header=BB202_13 Depth=1
	v_and_b32_e32 v4, 7, v1
	v_lshrrev_b32_e32 v5, 3, v2
	v_cmp_gt_u32_e64 s[4:5], 8, v2
	v_ffbh_u32_e32 v2, v4
	v_min_u32_e32 v6, 32, v2
	v_subrev_u32_e32 v2, 28, v6
	v_lshlrev_b64 v[2:3], v2, v[1:2]
	v_sub_u32_e32 v3, 29, v6
	v_and_b32_e32 v2, 7, v2
	v_cndmask_b32_e64 v3, v5, v3, s[4:5]
	v_cndmask_b32_e64 v2, v4, v2, s[4:5]
	v_bfrev_b32_e32 v5, 60
	v_lshlrev_b32_e32 v2, 20, v2
	v_and_b32_sdwa v4, sext(v1), s54 dst_sel:DWORD dst_unused:UNUSED_PAD src0_sel:BYTE_0 src1_sel:DWORD
	v_lshl_add_u32 v3, v3, 23, v5
	v_or3_b32 v2, v4, v3, v2
	v_mov_b32_e32 v3, v49
	buffer_store_dword v2, off, s[56:59], 0 offset:140 ; 4-byte Folded Spill
	s_nop 0
	buffer_store_dword v3, off, s[56:59], 0 offset:144 ; 4-byte Folded Spill
.LBB202_154:                            ;   in Loop: Header=BB202_13 Depth=1
	s_or_b64 exec, exec, s[44:45]
.LBB202_155:                            ;   in Loop: Header=BB202_13 Depth=1
	s_or_b64 exec, exec, s[42:43]
.LBB202_156:                            ;   in Loop: Header=BB202_13 Depth=1
	s_or_b64 exec, exec, s[40:41]
	v_cmp_ne_u16_sdwa s[4:5], v1, v49 src0_sel:BYTE_1 src1_sel:DWORD
	s_and_saveexec_b64 s[40:41], s[4:5]
	s_cbranch_execz .LBB202_162
; %bb.157:                              ;   in Loop: Header=BB202_13 Depth=1
	v_cmp_ne_u16_sdwa s[4:5], v1, s52 src0_sel:BYTE_1 src1_sel:DWORD
	buffer_store_dword v49, off, s[56:59], 0 offset:148 ; 4-byte Folded Spill
	s_nop 0
	buffer_store_dword v50, off, s[56:59], 0 offset:152 ; 4-byte Folded Spill
	s_and_saveexec_b64 s[42:43], s[4:5]
	s_cbranch_execz .LBB202_161
; %bb.158:                              ;   in Loop: Header=BB202_13 Depth=1
	v_and_b32_sdwa v2, v1, s53 dst_sel:DWORD dst_unused:UNUSED_PAD src0_sel:BYTE_1 src1_sel:DWORD
	v_cmp_ne_u32_e64 s[4:5], s53, v2
	v_mov_b32_e32 v27, v49
	buffer_store_dword v27, off, s[56:59], 0 offset:148 ; 4-byte Folded Spill
	s_nop 0
	buffer_store_dword v28, off, s[56:59], 0 offset:152 ; 4-byte Folded Spill
	s_and_saveexec_b64 s[44:45], s[4:5]
	s_cbranch_execz .LBB202_160
; %bb.159:                              ;   in Loop: Header=BB202_13 Depth=1
	v_mov_b32_e32 v3, 7
	v_and_b32_sdwa v3, v1, v3 dst_sel:DWORD dst_unused:UNUSED_PAD src0_sel:BYTE_1 src1_sel:DWORD
	v_lshrrev_b32_e32 v6, 3, v2
	v_cmp_gt_u32_e64 s[4:5], 8, v2
	v_ffbh_u32_e32 v2, v3
	v_min_u32_e32 v2, 32, v2
	v_mov_b32_e32 v4, v49
	v_subrev_u32_e32 v5, 28, v2
	v_lshlrev_b64 v[4:5], v5, v[3:4]
	v_sub_u32_e32 v2, 29, v2
	v_and_b32_e32 v4, 7, v4
	v_cndmask_b32_e64 v2, v6, v2, s[4:5]
	v_cndmask_b32_e64 v3, v3, v4, s[4:5]
	v_bfrev_b32_e32 v4, 60
	v_lshlrev_b32_e32 v1, 16, v1
	v_lshl_add_u32 v2, v2, 23, v4
	v_and_or_b32 v1, v1, s54, v2
	v_lshlrev_b32_e32 v2, 20, v3
	v_or_b32_e32 v2, v1, v2
	v_mov_b32_e32 v1, v49
	buffer_store_dword v1, off, s[56:59], 0 offset:148 ; 4-byte Folded Spill
	s_nop 0
	buffer_store_dword v2, off, s[56:59], 0 offset:152 ; 4-byte Folded Spill
.LBB202_160:                            ;   in Loop: Header=BB202_13 Depth=1
	s_or_b64 exec, exec, s[44:45]
.LBB202_161:                            ;   in Loop: Header=BB202_13 Depth=1
	s_or_b64 exec, exec, s[42:43]
.LBB202_162:                            ;   in Loop: Header=BB202_13 Depth=1
	s_or_b64 exec, exec, s[40:41]
	global_load_ushort v2, v[59:60], off offset:1536
	s_waitcnt vmcnt(0)
	v_and_b32_e32 v1, 0xffff, v2
	v_cmp_ne_u16_sdwa s[4:5], v2, v49 src0_sel:BYTE_0 src1_sel:DWORD
	v_mov_b32_e32 v2, 0
	v_mov_b32_e32 v3, 0
	buffer_store_dword v2, off, s[56:59], 0 offset:164 ; 4-byte Folded Spill
	s_nop 0
	buffer_store_dword v3, off, s[56:59], 0 offset:168 ; 4-byte Folded Spill
	v_mov_b32_e32 v2, 0
	v_mov_b32_e32 v3, 0
	buffer_store_dword v2, off, s[56:59], 0 offset:156 ; 4-byte Folded Spill
	s_nop 0
	buffer_store_dword v3, off, s[56:59], 0 offset:160 ; 4-byte Folded Spill
	s_and_saveexec_b64 s[40:41], s[4:5]
	s_cbranch_execz .LBB202_168
; %bb.163:                              ;   in Loop: Header=BB202_13 Depth=1
	v_bfrev_b32_e32 v2, 1
	v_mov_b32_e32 v3, 0
	v_cmp_ne_u16_sdwa s[4:5], v1, s52 src0_sel:BYTE_0 src1_sel:DWORD
	buffer_store_dword v2, off, s[56:59], 0 offset:156 ; 4-byte Folded Spill
	s_nop 0
	buffer_store_dword v3, off, s[56:59], 0 offset:160 ; 4-byte Folded Spill
	s_and_saveexec_b64 s[42:43], s[4:5]
	s_cbranch_execz .LBB202_167
; %bb.164:                              ;   in Loop: Header=BB202_13 Depth=1
	v_and_b32_e32 v2, 0x7f, v1
	v_mov_b32_e32 v3, 0x7f800001
	v_mov_b32_e32 v4, 0
	v_cmp_ne_u32_e64 s[4:5], s53, v2
	buffer_store_dword v3, off, s[56:59], 0 offset:156 ; 4-byte Folded Spill
	s_nop 0
	buffer_store_dword v4, off, s[56:59], 0 offset:160 ; 4-byte Folded Spill
	s_and_saveexec_b64 s[44:45], s[4:5]
	s_cbranch_execz .LBB202_166
; %bb.165:                              ;   in Loop: Header=BB202_13 Depth=1
	v_and_b32_e32 v4, 7, v1
	v_lshrrev_b32_e32 v5, 3, v2
	v_cmp_gt_u32_e64 s[4:5], 8, v2
	v_ffbh_u32_e32 v2, v4
	v_min_u32_e32 v6, 32, v2
	v_subrev_u32_e32 v2, 28, v6
	v_lshlrev_b64 v[2:3], v2, v[1:2]
	v_sub_u32_e32 v3, 29, v6
	v_and_b32_e32 v2, 7, v2
	v_cndmask_b32_e64 v3, v5, v3, s[4:5]
	v_cndmask_b32_e64 v2, v4, v2, s[4:5]
	v_bfrev_b32_e32 v5, 60
	v_lshlrev_b32_e32 v2, 20, v2
	v_and_b32_sdwa v4, sext(v1), s54 dst_sel:DWORD dst_unused:UNUSED_PAD src0_sel:BYTE_0 src1_sel:DWORD
	v_lshl_add_u32 v3, v3, 23, v5
	v_or3_b32 v2, v4, v3, v2
	v_mov_b32_e32 v3, v49
	buffer_store_dword v2, off, s[56:59], 0 offset:156 ; 4-byte Folded Spill
	s_nop 0
	buffer_store_dword v3, off, s[56:59], 0 offset:160 ; 4-byte Folded Spill
.LBB202_166:                            ;   in Loop: Header=BB202_13 Depth=1
	s_or_b64 exec, exec, s[44:45]
.LBB202_167:                            ;   in Loop: Header=BB202_13 Depth=1
	s_or_b64 exec, exec, s[42:43]
.LBB202_168:                            ;   in Loop: Header=BB202_13 Depth=1
	s_or_b64 exec, exec, s[40:41]
	v_cmp_ne_u16_sdwa s[4:5], v1, v49 src0_sel:BYTE_1 src1_sel:DWORD
	s_and_saveexec_b64 s[40:41], s[4:5]
	s_cbranch_execz .LBB202_174
; %bb.169:                              ;   in Loop: Header=BB202_13 Depth=1
	v_cmp_ne_u16_sdwa s[4:5], v1, s52 src0_sel:BYTE_1 src1_sel:DWORD
	buffer_store_dword v49, off, s[56:59], 0 offset:164 ; 4-byte Folded Spill
	s_nop 0
	buffer_store_dword v50, off, s[56:59], 0 offset:168 ; 4-byte Folded Spill
	s_and_saveexec_b64 s[42:43], s[4:5]
	s_cbranch_execz .LBB202_173
; %bb.170:                              ;   in Loop: Header=BB202_13 Depth=1
	v_and_b32_sdwa v2, v1, s53 dst_sel:DWORD dst_unused:UNUSED_PAD src0_sel:BYTE_1 src1_sel:DWORD
	v_cmp_ne_u32_e64 s[4:5], s53, v2
	v_mov_b32_e32 v27, v49
	buffer_store_dword v27, off, s[56:59], 0 offset:164 ; 4-byte Folded Spill
	s_nop 0
	buffer_store_dword v28, off, s[56:59], 0 offset:168 ; 4-byte Folded Spill
	s_and_saveexec_b64 s[44:45], s[4:5]
	s_cbranch_execz .LBB202_172
; %bb.171:                              ;   in Loop: Header=BB202_13 Depth=1
	v_mov_b32_e32 v3, 7
	v_and_b32_sdwa v3, v1, v3 dst_sel:DWORD dst_unused:UNUSED_PAD src0_sel:BYTE_1 src1_sel:DWORD
	v_lshrrev_b32_e32 v6, 3, v2
	v_cmp_gt_u32_e64 s[4:5], 8, v2
	v_ffbh_u32_e32 v2, v3
	v_min_u32_e32 v2, 32, v2
	v_mov_b32_e32 v4, v49
	v_subrev_u32_e32 v5, 28, v2
	v_lshlrev_b64 v[4:5], v5, v[3:4]
	v_sub_u32_e32 v2, 29, v2
	v_and_b32_e32 v4, 7, v4
	v_cndmask_b32_e64 v2, v6, v2, s[4:5]
	v_cndmask_b32_e64 v3, v3, v4, s[4:5]
	v_bfrev_b32_e32 v4, 60
	v_lshlrev_b32_e32 v1, 16, v1
	v_lshl_add_u32 v2, v2, 23, v4
	v_and_or_b32 v1, v1, s54, v2
	v_lshlrev_b32_e32 v2, 20, v3
	v_or_b32_e32 v2, v1, v2
	v_mov_b32_e32 v1, v49
	buffer_store_dword v1, off, s[56:59], 0 offset:164 ; 4-byte Folded Spill
	s_nop 0
	buffer_store_dword v2, off, s[56:59], 0 offset:168 ; 4-byte Folded Spill
.LBB202_172:                            ;   in Loop: Header=BB202_13 Depth=1
	s_or_b64 exec, exec, s[44:45]
.LBB202_173:                            ;   in Loop: Header=BB202_13 Depth=1
	s_or_b64 exec, exec, s[42:43]
.LBB202_174:                            ;   in Loop: Header=BB202_13 Depth=1
	s_or_b64 exec, exec, s[40:41]
	global_load_ushort v2, v[59:60], off offset:1540
	s_waitcnt vmcnt(0)
	v_and_b32_e32 v1, 0xffff, v2
	v_cmp_ne_u16_sdwa s[4:5], v2, v49 src0_sel:BYTE_0 src1_sel:DWORD
	v_mov_b32_e32 v2, 0
	v_mov_b32_e32 v3, 0
	buffer_store_dword v2, off, s[56:59], 0 offset:180 ; 4-byte Folded Spill
	s_nop 0
	buffer_store_dword v3, off, s[56:59], 0 offset:184 ; 4-byte Folded Spill
	v_mov_b32_e32 v2, 0
	v_mov_b32_e32 v3, 0
	buffer_store_dword v2, off, s[56:59], 0 offset:172 ; 4-byte Folded Spill
	s_nop 0
	buffer_store_dword v3, off, s[56:59], 0 offset:176 ; 4-byte Folded Spill
	s_and_saveexec_b64 s[40:41], s[4:5]
	s_cbranch_execz .LBB202_180
; %bb.175:                              ;   in Loop: Header=BB202_13 Depth=1
	v_bfrev_b32_e32 v2, 1
	v_mov_b32_e32 v3, 0
	v_cmp_ne_u16_sdwa s[4:5], v1, s52 src0_sel:BYTE_0 src1_sel:DWORD
	buffer_store_dword v2, off, s[56:59], 0 offset:172 ; 4-byte Folded Spill
	s_nop 0
	buffer_store_dword v3, off, s[56:59], 0 offset:176 ; 4-byte Folded Spill
	s_and_saveexec_b64 s[42:43], s[4:5]
	s_cbranch_execz .LBB202_179
; %bb.176:                              ;   in Loop: Header=BB202_13 Depth=1
	v_and_b32_e32 v2, 0x7f, v1
	v_mov_b32_e32 v3, 0x7f800001
	v_mov_b32_e32 v4, 0
	v_cmp_ne_u32_e64 s[4:5], s53, v2
	buffer_store_dword v3, off, s[56:59], 0 offset:172 ; 4-byte Folded Spill
	s_nop 0
	buffer_store_dword v4, off, s[56:59], 0 offset:176 ; 4-byte Folded Spill
	s_and_saveexec_b64 s[44:45], s[4:5]
	s_cbranch_execz .LBB202_178
; %bb.177:                              ;   in Loop: Header=BB202_13 Depth=1
	v_and_b32_e32 v4, 7, v1
	v_lshrrev_b32_e32 v5, 3, v2
	v_cmp_gt_u32_e64 s[4:5], 8, v2
	v_ffbh_u32_e32 v2, v4
	v_min_u32_e32 v6, 32, v2
	v_subrev_u32_e32 v2, 28, v6
	v_lshlrev_b64 v[2:3], v2, v[1:2]
	v_sub_u32_e32 v3, 29, v6
	v_and_b32_e32 v2, 7, v2
	v_cndmask_b32_e64 v3, v5, v3, s[4:5]
	v_cndmask_b32_e64 v2, v4, v2, s[4:5]
	v_bfrev_b32_e32 v5, 60
	v_lshlrev_b32_e32 v2, 20, v2
	v_and_b32_sdwa v4, sext(v1), s54 dst_sel:DWORD dst_unused:UNUSED_PAD src0_sel:BYTE_0 src1_sel:DWORD
	v_lshl_add_u32 v3, v3, 23, v5
	v_or3_b32 v2, v4, v3, v2
	v_mov_b32_e32 v3, v49
	buffer_store_dword v2, off, s[56:59], 0 offset:172 ; 4-byte Folded Spill
	s_nop 0
	buffer_store_dword v3, off, s[56:59], 0 offset:176 ; 4-byte Folded Spill
.LBB202_178:                            ;   in Loop: Header=BB202_13 Depth=1
	s_or_b64 exec, exec, s[44:45]
.LBB202_179:                            ;   in Loop: Header=BB202_13 Depth=1
	s_or_b64 exec, exec, s[42:43]
.LBB202_180:                            ;   in Loop: Header=BB202_13 Depth=1
	s_or_b64 exec, exec, s[40:41]
	v_cmp_ne_u16_sdwa s[4:5], v1, v49 src0_sel:BYTE_1 src1_sel:DWORD
	s_and_saveexec_b64 s[40:41], s[4:5]
	s_cbranch_execz .LBB202_186
; %bb.181:                              ;   in Loop: Header=BB202_13 Depth=1
	v_cmp_ne_u16_sdwa s[4:5], v1, s52 src0_sel:BYTE_1 src1_sel:DWORD
	buffer_store_dword v49, off, s[56:59], 0 offset:180 ; 4-byte Folded Spill
	s_nop 0
	buffer_store_dword v50, off, s[56:59], 0 offset:184 ; 4-byte Folded Spill
	s_and_saveexec_b64 s[42:43], s[4:5]
	s_cbranch_execz .LBB202_185
; %bb.182:                              ;   in Loop: Header=BB202_13 Depth=1
	v_and_b32_sdwa v2, v1, s53 dst_sel:DWORD dst_unused:UNUSED_PAD src0_sel:BYTE_1 src1_sel:DWORD
	v_cmp_ne_u32_e64 s[4:5], s53, v2
	v_mov_b32_e32 v27, v49
	buffer_store_dword v27, off, s[56:59], 0 offset:180 ; 4-byte Folded Spill
	s_nop 0
	buffer_store_dword v28, off, s[56:59], 0 offset:184 ; 4-byte Folded Spill
	s_and_saveexec_b64 s[44:45], s[4:5]
	s_cbranch_execz .LBB202_184
; %bb.183:                              ;   in Loop: Header=BB202_13 Depth=1
	v_mov_b32_e32 v3, 7
	v_and_b32_sdwa v3, v1, v3 dst_sel:DWORD dst_unused:UNUSED_PAD src0_sel:BYTE_1 src1_sel:DWORD
	v_lshrrev_b32_e32 v6, 3, v2
	v_cmp_gt_u32_e64 s[4:5], 8, v2
	v_ffbh_u32_e32 v2, v3
	v_min_u32_e32 v2, 32, v2
	v_mov_b32_e32 v4, v49
	v_subrev_u32_e32 v5, 28, v2
	v_lshlrev_b64 v[4:5], v5, v[3:4]
	v_sub_u32_e32 v2, 29, v2
	v_and_b32_e32 v4, 7, v4
	v_cndmask_b32_e64 v2, v6, v2, s[4:5]
	v_cndmask_b32_e64 v3, v3, v4, s[4:5]
	v_bfrev_b32_e32 v4, 60
	v_lshlrev_b32_e32 v1, 16, v1
	v_lshl_add_u32 v2, v2, 23, v4
	v_and_or_b32 v1, v1, s54, v2
	v_lshlrev_b32_e32 v2, 20, v3
	v_or_b32_e32 v2, v1, v2
	v_mov_b32_e32 v1, v49
	buffer_store_dword v1, off, s[56:59], 0 offset:180 ; 4-byte Folded Spill
	s_nop 0
	buffer_store_dword v2, off, s[56:59], 0 offset:184 ; 4-byte Folded Spill
.LBB202_184:                            ;   in Loop: Header=BB202_13 Depth=1
	s_or_b64 exec, exec, s[44:45]
.LBB202_185:                            ;   in Loop: Header=BB202_13 Depth=1
	s_or_b64 exec, exec, s[42:43]
.LBB202_186:                            ;   in Loop: Header=BB202_13 Depth=1
	s_or_b64 exec, exec, s[40:41]
	global_load_ushort v2, v[59:60], off offset:1544
	s_waitcnt vmcnt(0)
	v_and_b32_e32 v1, 0xffff, v2
	v_cmp_ne_u16_sdwa s[4:5], v2, v49 src0_sel:BYTE_0 src1_sel:DWORD
	v_mov_b32_e32 v2, 0
	v_mov_b32_e32 v3, 0
	buffer_store_dword v2, off, s[56:59], 0 offset:196 ; 4-byte Folded Spill
	s_nop 0
	buffer_store_dword v3, off, s[56:59], 0 offset:200 ; 4-byte Folded Spill
	v_mov_b32_e32 v2, 0
	v_mov_b32_e32 v3, 0
	buffer_store_dword v2, off, s[56:59], 0 offset:188 ; 4-byte Folded Spill
	s_nop 0
	buffer_store_dword v3, off, s[56:59], 0 offset:192 ; 4-byte Folded Spill
	s_and_saveexec_b64 s[40:41], s[4:5]
	s_cbranch_execz .LBB202_192
; %bb.187:                              ;   in Loop: Header=BB202_13 Depth=1
	v_bfrev_b32_e32 v2, 1
	v_mov_b32_e32 v3, 0
	v_cmp_ne_u16_sdwa s[4:5], v1, s52 src0_sel:BYTE_0 src1_sel:DWORD
	buffer_store_dword v2, off, s[56:59], 0 offset:188 ; 4-byte Folded Spill
	s_nop 0
	buffer_store_dword v3, off, s[56:59], 0 offset:192 ; 4-byte Folded Spill
	s_and_saveexec_b64 s[42:43], s[4:5]
	s_cbranch_execz .LBB202_191
; %bb.188:                              ;   in Loop: Header=BB202_13 Depth=1
	v_and_b32_e32 v2, 0x7f, v1
	v_mov_b32_e32 v3, 0x7f800001
	v_mov_b32_e32 v4, 0
	v_cmp_ne_u32_e64 s[4:5], s53, v2
	buffer_store_dword v3, off, s[56:59], 0 offset:188 ; 4-byte Folded Spill
	s_nop 0
	buffer_store_dword v4, off, s[56:59], 0 offset:192 ; 4-byte Folded Spill
	s_and_saveexec_b64 s[44:45], s[4:5]
	s_cbranch_execz .LBB202_190
; %bb.189:                              ;   in Loop: Header=BB202_13 Depth=1
	v_and_b32_e32 v4, 7, v1
	v_lshrrev_b32_e32 v5, 3, v2
	v_cmp_gt_u32_e64 s[4:5], 8, v2
	v_ffbh_u32_e32 v2, v4
	v_min_u32_e32 v6, 32, v2
	v_subrev_u32_e32 v2, 28, v6
	v_lshlrev_b64 v[2:3], v2, v[1:2]
	v_sub_u32_e32 v3, 29, v6
	v_and_b32_e32 v2, 7, v2
	v_cndmask_b32_e64 v3, v5, v3, s[4:5]
	v_cndmask_b32_e64 v2, v4, v2, s[4:5]
	v_bfrev_b32_e32 v5, 60
	v_lshlrev_b32_e32 v2, 20, v2
	v_and_b32_sdwa v4, sext(v1), s54 dst_sel:DWORD dst_unused:UNUSED_PAD src0_sel:BYTE_0 src1_sel:DWORD
	v_lshl_add_u32 v3, v3, 23, v5
	v_or3_b32 v2, v4, v3, v2
	v_mov_b32_e32 v3, v49
	buffer_store_dword v2, off, s[56:59], 0 offset:188 ; 4-byte Folded Spill
	s_nop 0
	buffer_store_dword v3, off, s[56:59], 0 offset:192 ; 4-byte Folded Spill
.LBB202_190:                            ;   in Loop: Header=BB202_13 Depth=1
	s_or_b64 exec, exec, s[44:45]
.LBB202_191:                            ;   in Loop: Header=BB202_13 Depth=1
	s_or_b64 exec, exec, s[42:43]
.LBB202_192:                            ;   in Loop: Header=BB202_13 Depth=1
	s_or_b64 exec, exec, s[40:41]
	v_cmp_ne_u16_sdwa s[4:5], v1, v49 src0_sel:BYTE_1 src1_sel:DWORD
	s_and_saveexec_b64 s[40:41], s[4:5]
	s_cbranch_execz .LBB202_198
; %bb.193:                              ;   in Loop: Header=BB202_13 Depth=1
	v_cmp_ne_u16_sdwa s[4:5], v1, s52 src0_sel:BYTE_1 src1_sel:DWORD
	buffer_store_dword v49, off, s[56:59], 0 offset:196 ; 4-byte Folded Spill
	s_nop 0
	buffer_store_dword v50, off, s[56:59], 0 offset:200 ; 4-byte Folded Spill
	s_and_saveexec_b64 s[42:43], s[4:5]
	s_cbranch_execz .LBB202_197
; %bb.194:                              ;   in Loop: Header=BB202_13 Depth=1
	v_and_b32_sdwa v2, v1, s53 dst_sel:DWORD dst_unused:UNUSED_PAD src0_sel:BYTE_1 src1_sel:DWORD
	v_cmp_ne_u32_e64 s[4:5], s53, v2
	v_mov_b32_e32 v27, v49
	buffer_store_dword v27, off, s[56:59], 0 offset:196 ; 4-byte Folded Spill
	s_nop 0
	buffer_store_dword v28, off, s[56:59], 0 offset:200 ; 4-byte Folded Spill
	s_and_saveexec_b64 s[44:45], s[4:5]
	s_cbranch_execz .LBB202_196
; %bb.195:                              ;   in Loop: Header=BB202_13 Depth=1
	v_mov_b32_e32 v3, 7
	v_and_b32_sdwa v3, v1, v3 dst_sel:DWORD dst_unused:UNUSED_PAD src0_sel:BYTE_1 src1_sel:DWORD
	v_lshrrev_b32_e32 v6, 3, v2
	v_cmp_gt_u32_e64 s[4:5], 8, v2
	v_ffbh_u32_e32 v2, v3
	v_min_u32_e32 v2, 32, v2
	v_mov_b32_e32 v4, v49
	v_subrev_u32_e32 v5, 28, v2
	v_lshlrev_b64 v[4:5], v5, v[3:4]
	v_sub_u32_e32 v2, 29, v2
	v_and_b32_e32 v4, 7, v4
	v_cndmask_b32_e64 v2, v6, v2, s[4:5]
	v_cndmask_b32_e64 v3, v3, v4, s[4:5]
	v_bfrev_b32_e32 v4, 60
	v_lshlrev_b32_e32 v1, 16, v1
	v_lshl_add_u32 v2, v2, 23, v4
	v_and_or_b32 v1, v1, s54, v2
	v_lshlrev_b32_e32 v2, 20, v3
	v_or_b32_e32 v2, v1, v2
	v_mov_b32_e32 v1, v49
	buffer_store_dword v1, off, s[56:59], 0 offset:196 ; 4-byte Folded Spill
	s_nop 0
	buffer_store_dword v2, off, s[56:59], 0 offset:200 ; 4-byte Folded Spill
.LBB202_196:                            ;   in Loop: Header=BB202_13 Depth=1
	s_or_b64 exec, exec, s[44:45]
.LBB202_197:                            ;   in Loop: Header=BB202_13 Depth=1
	s_or_b64 exec, exec, s[42:43]
.LBB202_198:                            ;   in Loop: Header=BB202_13 Depth=1
	s_or_b64 exec, exec, s[40:41]
	global_load_ushort v2, v[59:60], off offset:1548
	s_waitcnt vmcnt(0)
	v_and_b32_e32 v1, 0xffff, v2
	v_cmp_ne_u16_sdwa s[4:5], v2, v49 src0_sel:BYTE_0 src1_sel:DWORD
	v_mov_b32_e32 v2, 0
	v_mov_b32_e32 v3, 0
	buffer_store_dword v2, off, s[56:59], 0 offset:212 ; 4-byte Folded Spill
	s_nop 0
	buffer_store_dword v3, off, s[56:59], 0 offset:216 ; 4-byte Folded Spill
	v_mov_b32_e32 v2, 0
	v_mov_b32_e32 v3, 0
	buffer_store_dword v2, off, s[56:59], 0 offset:204 ; 4-byte Folded Spill
	s_nop 0
	buffer_store_dword v3, off, s[56:59], 0 offset:208 ; 4-byte Folded Spill
	s_and_saveexec_b64 s[40:41], s[4:5]
	s_cbranch_execz .LBB202_204
; %bb.199:                              ;   in Loop: Header=BB202_13 Depth=1
	v_bfrev_b32_e32 v2, 1
	v_mov_b32_e32 v3, 0
	v_cmp_ne_u16_sdwa s[4:5], v1, s52 src0_sel:BYTE_0 src1_sel:DWORD
	buffer_store_dword v2, off, s[56:59], 0 offset:204 ; 4-byte Folded Spill
	s_nop 0
	buffer_store_dword v3, off, s[56:59], 0 offset:208 ; 4-byte Folded Spill
	s_and_saveexec_b64 s[42:43], s[4:5]
	s_cbranch_execz .LBB202_203
; %bb.200:                              ;   in Loop: Header=BB202_13 Depth=1
	v_and_b32_e32 v2, 0x7f, v1
	v_mov_b32_e32 v3, 0x7f800001
	v_mov_b32_e32 v4, 0
	v_cmp_ne_u32_e64 s[4:5], s53, v2
	buffer_store_dword v3, off, s[56:59], 0 offset:204 ; 4-byte Folded Spill
	s_nop 0
	buffer_store_dword v4, off, s[56:59], 0 offset:208 ; 4-byte Folded Spill
	s_and_saveexec_b64 s[44:45], s[4:5]
	s_cbranch_execz .LBB202_202
; %bb.201:                              ;   in Loop: Header=BB202_13 Depth=1
	v_and_b32_e32 v4, 7, v1
	v_lshrrev_b32_e32 v5, 3, v2
	v_cmp_gt_u32_e64 s[4:5], 8, v2
	v_ffbh_u32_e32 v2, v4
	v_min_u32_e32 v6, 32, v2
	v_subrev_u32_e32 v2, 28, v6
	v_lshlrev_b64 v[2:3], v2, v[1:2]
	v_sub_u32_e32 v3, 29, v6
	v_and_b32_e32 v2, 7, v2
	v_cndmask_b32_e64 v3, v5, v3, s[4:5]
	v_cndmask_b32_e64 v2, v4, v2, s[4:5]
	v_bfrev_b32_e32 v5, 60
	v_lshlrev_b32_e32 v2, 20, v2
	v_and_b32_sdwa v4, sext(v1), s54 dst_sel:DWORD dst_unused:UNUSED_PAD src0_sel:BYTE_0 src1_sel:DWORD
	v_lshl_add_u32 v3, v3, 23, v5
	v_or3_b32 v2, v4, v3, v2
	v_mov_b32_e32 v3, v49
	buffer_store_dword v2, off, s[56:59], 0 offset:204 ; 4-byte Folded Spill
	s_nop 0
	buffer_store_dword v3, off, s[56:59], 0 offset:208 ; 4-byte Folded Spill
.LBB202_202:                            ;   in Loop: Header=BB202_13 Depth=1
	s_or_b64 exec, exec, s[44:45]
.LBB202_203:                            ;   in Loop: Header=BB202_13 Depth=1
	s_or_b64 exec, exec, s[42:43]
.LBB202_204:                            ;   in Loop: Header=BB202_13 Depth=1
	s_or_b64 exec, exec, s[40:41]
	v_cmp_ne_u16_sdwa s[4:5], v1, v49 src0_sel:BYTE_1 src1_sel:DWORD
	s_and_saveexec_b64 s[40:41], s[4:5]
	s_cbranch_execz .LBB202_210
; %bb.205:                              ;   in Loop: Header=BB202_13 Depth=1
	v_cmp_ne_u16_sdwa s[4:5], v1, s52 src0_sel:BYTE_1 src1_sel:DWORD
	buffer_store_dword v49, off, s[56:59], 0 offset:212 ; 4-byte Folded Spill
	s_nop 0
	buffer_store_dword v50, off, s[56:59], 0 offset:216 ; 4-byte Folded Spill
	s_and_saveexec_b64 s[42:43], s[4:5]
	s_cbranch_execz .LBB202_209
; %bb.206:                              ;   in Loop: Header=BB202_13 Depth=1
	v_and_b32_sdwa v2, v1, s53 dst_sel:DWORD dst_unused:UNUSED_PAD src0_sel:BYTE_1 src1_sel:DWORD
	v_cmp_ne_u32_e64 s[4:5], s53, v2
	v_mov_b32_e32 v27, v49
	buffer_store_dword v27, off, s[56:59], 0 offset:212 ; 4-byte Folded Spill
	s_nop 0
	buffer_store_dword v28, off, s[56:59], 0 offset:216 ; 4-byte Folded Spill
	s_and_saveexec_b64 s[44:45], s[4:5]
	s_cbranch_execz .LBB202_208
; %bb.207:                              ;   in Loop: Header=BB202_13 Depth=1
	v_mov_b32_e32 v3, 7
	v_and_b32_sdwa v3, v1, v3 dst_sel:DWORD dst_unused:UNUSED_PAD src0_sel:BYTE_1 src1_sel:DWORD
	v_lshrrev_b32_e32 v6, 3, v2
	v_cmp_gt_u32_e64 s[4:5], 8, v2
	v_ffbh_u32_e32 v2, v3
	v_min_u32_e32 v2, 32, v2
	v_mov_b32_e32 v4, v49
	v_subrev_u32_e32 v5, 28, v2
	v_lshlrev_b64 v[4:5], v5, v[3:4]
	v_sub_u32_e32 v2, 29, v2
	v_and_b32_e32 v4, 7, v4
	v_cndmask_b32_e64 v2, v6, v2, s[4:5]
	v_cndmask_b32_e64 v3, v3, v4, s[4:5]
	v_bfrev_b32_e32 v4, 60
	v_lshlrev_b32_e32 v1, 16, v1
	v_lshl_add_u32 v2, v2, 23, v4
	v_and_or_b32 v1, v1, s54, v2
	v_lshlrev_b32_e32 v2, 20, v3
	v_or_b32_e32 v2, v1, v2
	v_mov_b32_e32 v1, v49
	buffer_store_dword v1, off, s[56:59], 0 offset:212 ; 4-byte Folded Spill
	s_nop 0
	buffer_store_dword v2, off, s[56:59], 0 offset:216 ; 4-byte Folded Spill
.LBB202_208:                            ;   in Loop: Header=BB202_13 Depth=1
	s_or_b64 exec, exec, s[44:45]
.LBB202_209:                            ;   in Loop: Header=BB202_13 Depth=1
	s_or_b64 exec, exec, s[42:43]
.LBB202_210:                            ;   in Loop: Header=BB202_13 Depth=1
	s_or_b64 exec, exec, s[40:41]
	global_load_ushort v2, v[59:60], off offset:2048
	s_waitcnt vmcnt(0)
	v_and_b32_e32 v1, 0xffff, v2
	v_cmp_ne_u16_sdwa s[4:5], v2, v49 src0_sel:BYTE_0 src1_sel:DWORD
	v_mov_b32_e32 v2, 0
	v_mov_b32_e32 v3, 0
	buffer_store_dword v2, off, s[56:59], 0 offset:228 ; 4-byte Folded Spill
	s_nop 0
	buffer_store_dword v3, off, s[56:59], 0 offset:232 ; 4-byte Folded Spill
	v_mov_b32_e32 v2, 0
	v_mov_b32_e32 v3, 0
	buffer_store_dword v2, off, s[56:59], 0 offset:220 ; 4-byte Folded Spill
	s_nop 0
	buffer_store_dword v3, off, s[56:59], 0 offset:224 ; 4-byte Folded Spill
	s_and_saveexec_b64 s[40:41], s[4:5]
	s_cbranch_execz .LBB202_216
; %bb.211:                              ;   in Loop: Header=BB202_13 Depth=1
	v_bfrev_b32_e32 v2, 1
	v_mov_b32_e32 v3, 0
	v_cmp_ne_u16_sdwa s[4:5], v1, s52 src0_sel:BYTE_0 src1_sel:DWORD
	buffer_store_dword v2, off, s[56:59], 0 offset:220 ; 4-byte Folded Spill
	s_nop 0
	buffer_store_dword v3, off, s[56:59], 0 offset:224 ; 4-byte Folded Spill
	s_and_saveexec_b64 s[42:43], s[4:5]
	s_cbranch_execz .LBB202_215
; %bb.212:                              ;   in Loop: Header=BB202_13 Depth=1
	v_and_b32_e32 v2, 0x7f, v1
	v_mov_b32_e32 v3, 0x7f800001
	v_mov_b32_e32 v4, 0
	v_cmp_ne_u32_e64 s[4:5], s53, v2
	buffer_store_dword v3, off, s[56:59], 0 offset:220 ; 4-byte Folded Spill
	s_nop 0
	buffer_store_dword v4, off, s[56:59], 0 offset:224 ; 4-byte Folded Spill
	s_and_saveexec_b64 s[44:45], s[4:5]
	s_cbranch_execz .LBB202_214
; %bb.213:                              ;   in Loop: Header=BB202_13 Depth=1
	v_and_b32_e32 v4, 7, v1
	v_lshrrev_b32_e32 v5, 3, v2
	v_cmp_gt_u32_e64 s[4:5], 8, v2
	v_ffbh_u32_e32 v2, v4
	v_min_u32_e32 v6, 32, v2
	v_subrev_u32_e32 v2, 28, v6
	v_lshlrev_b64 v[2:3], v2, v[1:2]
	v_sub_u32_e32 v3, 29, v6
	v_and_b32_e32 v2, 7, v2
	v_cndmask_b32_e64 v3, v5, v3, s[4:5]
	v_cndmask_b32_e64 v2, v4, v2, s[4:5]
	v_bfrev_b32_e32 v5, 60
	v_lshlrev_b32_e32 v2, 20, v2
	v_and_b32_sdwa v4, sext(v1), s54 dst_sel:DWORD dst_unused:UNUSED_PAD src0_sel:BYTE_0 src1_sel:DWORD
	v_lshl_add_u32 v3, v3, 23, v5
	v_or3_b32 v2, v4, v3, v2
	v_mov_b32_e32 v3, v49
	buffer_store_dword v2, off, s[56:59], 0 offset:220 ; 4-byte Folded Spill
	s_nop 0
	buffer_store_dword v3, off, s[56:59], 0 offset:224 ; 4-byte Folded Spill
.LBB202_214:                            ;   in Loop: Header=BB202_13 Depth=1
	s_or_b64 exec, exec, s[44:45]
.LBB202_215:                            ;   in Loop: Header=BB202_13 Depth=1
	s_or_b64 exec, exec, s[42:43]
.LBB202_216:                            ;   in Loop: Header=BB202_13 Depth=1
	s_or_b64 exec, exec, s[40:41]
	v_cmp_ne_u16_sdwa s[4:5], v1, v49 src0_sel:BYTE_1 src1_sel:DWORD
	s_and_saveexec_b64 s[40:41], s[4:5]
	s_cbranch_execz .LBB202_222
; %bb.217:                              ;   in Loop: Header=BB202_13 Depth=1
	v_cmp_ne_u16_sdwa s[4:5], v1, s52 src0_sel:BYTE_1 src1_sel:DWORD
	buffer_store_dword v49, off, s[56:59], 0 offset:228 ; 4-byte Folded Spill
	s_nop 0
	buffer_store_dword v50, off, s[56:59], 0 offset:232 ; 4-byte Folded Spill
	s_and_saveexec_b64 s[42:43], s[4:5]
	s_cbranch_execz .LBB202_221
; %bb.218:                              ;   in Loop: Header=BB202_13 Depth=1
	v_and_b32_sdwa v2, v1, s53 dst_sel:DWORD dst_unused:UNUSED_PAD src0_sel:BYTE_1 src1_sel:DWORD
	v_cmp_ne_u32_e64 s[4:5], s53, v2
	v_mov_b32_e32 v27, v49
	buffer_store_dword v27, off, s[56:59], 0 offset:228 ; 4-byte Folded Spill
	s_nop 0
	buffer_store_dword v28, off, s[56:59], 0 offset:232 ; 4-byte Folded Spill
	s_and_saveexec_b64 s[44:45], s[4:5]
	s_cbranch_execz .LBB202_220
; %bb.219:                              ;   in Loop: Header=BB202_13 Depth=1
	v_mov_b32_e32 v3, 7
	v_and_b32_sdwa v3, v1, v3 dst_sel:DWORD dst_unused:UNUSED_PAD src0_sel:BYTE_1 src1_sel:DWORD
	v_lshrrev_b32_e32 v6, 3, v2
	v_cmp_gt_u32_e64 s[4:5], 8, v2
	v_ffbh_u32_e32 v2, v3
	v_min_u32_e32 v2, 32, v2
	v_mov_b32_e32 v4, v49
	v_subrev_u32_e32 v5, 28, v2
	v_lshlrev_b64 v[4:5], v5, v[3:4]
	v_sub_u32_e32 v2, 29, v2
	v_and_b32_e32 v4, 7, v4
	v_cndmask_b32_e64 v2, v6, v2, s[4:5]
	v_cndmask_b32_e64 v3, v3, v4, s[4:5]
	v_bfrev_b32_e32 v4, 60
	v_lshlrev_b32_e32 v1, 16, v1
	v_lshl_add_u32 v2, v2, 23, v4
	v_and_or_b32 v1, v1, s54, v2
	v_lshlrev_b32_e32 v2, 20, v3
	v_or_b32_e32 v2, v1, v2
	v_mov_b32_e32 v1, v49
	buffer_store_dword v1, off, s[56:59], 0 offset:228 ; 4-byte Folded Spill
	s_nop 0
	buffer_store_dword v2, off, s[56:59], 0 offset:232 ; 4-byte Folded Spill
.LBB202_220:                            ;   in Loop: Header=BB202_13 Depth=1
	s_or_b64 exec, exec, s[44:45]
.LBB202_221:                            ;   in Loop: Header=BB202_13 Depth=1
	s_or_b64 exec, exec, s[42:43]
.LBB202_222:                            ;   in Loop: Header=BB202_13 Depth=1
	s_or_b64 exec, exec, s[40:41]
	global_load_ushort v2, v[59:60], off offset:2052
	s_waitcnt vmcnt(0)
	v_and_b32_e32 v1, 0xffff, v2
	v_cmp_ne_u16_sdwa s[4:5], v2, v49 src0_sel:BYTE_0 src1_sel:DWORD
	v_mov_b32_e32 v2, 0
	v_mov_b32_e32 v3, 0
	buffer_store_dword v2, off, s[56:59], 0 offset:244 ; 4-byte Folded Spill
	s_nop 0
	buffer_store_dword v3, off, s[56:59], 0 offset:248 ; 4-byte Folded Spill
	v_mov_b32_e32 v2, 0
	v_mov_b32_e32 v3, 0
	buffer_store_dword v2, off, s[56:59], 0 offset:236 ; 4-byte Folded Spill
	s_nop 0
	buffer_store_dword v3, off, s[56:59], 0 offset:240 ; 4-byte Folded Spill
	s_and_saveexec_b64 s[40:41], s[4:5]
	s_cbranch_execz .LBB202_228
; %bb.223:                              ;   in Loop: Header=BB202_13 Depth=1
	v_bfrev_b32_e32 v2, 1
	v_mov_b32_e32 v3, 0
	v_cmp_ne_u16_sdwa s[4:5], v1, s52 src0_sel:BYTE_0 src1_sel:DWORD
	buffer_store_dword v2, off, s[56:59], 0 offset:236 ; 4-byte Folded Spill
	s_nop 0
	buffer_store_dword v3, off, s[56:59], 0 offset:240 ; 4-byte Folded Spill
	s_and_saveexec_b64 s[42:43], s[4:5]
	s_cbranch_execz .LBB202_227
; %bb.224:                              ;   in Loop: Header=BB202_13 Depth=1
	v_and_b32_e32 v2, 0x7f, v1
	v_mov_b32_e32 v3, 0x7f800001
	v_mov_b32_e32 v4, 0
	v_cmp_ne_u32_e64 s[4:5], s53, v2
	buffer_store_dword v3, off, s[56:59], 0 offset:236 ; 4-byte Folded Spill
	s_nop 0
	buffer_store_dword v4, off, s[56:59], 0 offset:240 ; 4-byte Folded Spill
	s_and_saveexec_b64 s[44:45], s[4:5]
	s_cbranch_execz .LBB202_226
; %bb.225:                              ;   in Loop: Header=BB202_13 Depth=1
	v_and_b32_e32 v4, 7, v1
	v_lshrrev_b32_e32 v5, 3, v2
	v_cmp_gt_u32_e64 s[4:5], 8, v2
	v_ffbh_u32_e32 v2, v4
	v_min_u32_e32 v6, 32, v2
	v_subrev_u32_e32 v2, 28, v6
	v_lshlrev_b64 v[2:3], v2, v[1:2]
	v_sub_u32_e32 v3, 29, v6
	v_and_b32_e32 v2, 7, v2
	v_cndmask_b32_e64 v3, v5, v3, s[4:5]
	v_cndmask_b32_e64 v2, v4, v2, s[4:5]
	v_bfrev_b32_e32 v5, 60
	v_lshlrev_b32_e32 v2, 20, v2
	v_and_b32_sdwa v4, sext(v1), s54 dst_sel:DWORD dst_unused:UNUSED_PAD src0_sel:BYTE_0 src1_sel:DWORD
	v_lshl_add_u32 v3, v3, 23, v5
	v_or3_b32 v2, v4, v3, v2
	v_mov_b32_e32 v3, v49
	buffer_store_dword v2, off, s[56:59], 0 offset:236 ; 4-byte Folded Spill
	s_nop 0
	buffer_store_dword v3, off, s[56:59], 0 offset:240 ; 4-byte Folded Spill
.LBB202_226:                            ;   in Loop: Header=BB202_13 Depth=1
	s_or_b64 exec, exec, s[44:45]
.LBB202_227:                            ;   in Loop: Header=BB202_13 Depth=1
	s_or_b64 exec, exec, s[42:43]
.LBB202_228:                            ;   in Loop: Header=BB202_13 Depth=1
	s_or_b64 exec, exec, s[40:41]
	v_cmp_ne_u16_sdwa s[4:5], v1, v49 src0_sel:BYTE_1 src1_sel:DWORD
	s_and_saveexec_b64 s[40:41], s[4:5]
	s_cbranch_execz .LBB202_234
; %bb.229:                              ;   in Loop: Header=BB202_13 Depth=1
	v_cmp_ne_u16_sdwa s[4:5], v1, s52 src0_sel:BYTE_1 src1_sel:DWORD
	buffer_store_dword v49, off, s[56:59], 0 offset:244 ; 4-byte Folded Spill
	s_nop 0
	buffer_store_dword v50, off, s[56:59], 0 offset:248 ; 4-byte Folded Spill
	s_and_saveexec_b64 s[42:43], s[4:5]
	s_cbranch_execz .LBB202_233
; %bb.230:                              ;   in Loop: Header=BB202_13 Depth=1
	v_and_b32_sdwa v2, v1, s53 dst_sel:DWORD dst_unused:UNUSED_PAD src0_sel:BYTE_1 src1_sel:DWORD
	v_cmp_ne_u32_e64 s[4:5], s53, v2
	v_mov_b32_e32 v27, v49
	buffer_store_dword v27, off, s[56:59], 0 offset:244 ; 4-byte Folded Spill
	s_nop 0
	buffer_store_dword v28, off, s[56:59], 0 offset:248 ; 4-byte Folded Spill
	s_and_saveexec_b64 s[44:45], s[4:5]
	s_cbranch_execz .LBB202_232
; %bb.231:                              ;   in Loop: Header=BB202_13 Depth=1
	v_mov_b32_e32 v3, 7
	v_and_b32_sdwa v3, v1, v3 dst_sel:DWORD dst_unused:UNUSED_PAD src0_sel:BYTE_1 src1_sel:DWORD
	v_lshrrev_b32_e32 v6, 3, v2
	v_cmp_gt_u32_e64 s[4:5], 8, v2
	v_ffbh_u32_e32 v2, v3
	v_min_u32_e32 v2, 32, v2
	v_mov_b32_e32 v4, v49
	v_subrev_u32_e32 v5, 28, v2
	v_lshlrev_b64 v[4:5], v5, v[3:4]
	v_sub_u32_e32 v2, 29, v2
	v_and_b32_e32 v4, 7, v4
	v_cndmask_b32_e64 v2, v6, v2, s[4:5]
	v_cndmask_b32_e64 v3, v3, v4, s[4:5]
	v_bfrev_b32_e32 v4, 60
	v_lshlrev_b32_e32 v1, 16, v1
	v_lshl_add_u32 v2, v2, 23, v4
	v_and_or_b32 v1, v1, s54, v2
	v_lshlrev_b32_e32 v2, 20, v3
	v_or_b32_e32 v2, v1, v2
	v_mov_b32_e32 v1, v49
	buffer_store_dword v1, off, s[56:59], 0 offset:244 ; 4-byte Folded Spill
	s_nop 0
	buffer_store_dword v2, off, s[56:59], 0 offset:248 ; 4-byte Folded Spill
.LBB202_232:                            ;   in Loop: Header=BB202_13 Depth=1
	s_or_b64 exec, exec, s[44:45]
.LBB202_233:                            ;   in Loop: Header=BB202_13 Depth=1
	s_or_b64 exec, exec, s[42:43]
.LBB202_234:                            ;   in Loop: Header=BB202_13 Depth=1
	s_or_b64 exec, exec, s[40:41]
	global_load_ushort v1, v[59:60], off offset:2056
	s_waitcnt vmcnt(0)
	v_and_b32_e32 v3, 0xffff, v1
	v_cmp_ne_u16_sdwa s[4:5], v1, v49 src0_sel:BYTE_0 src1_sel:DWORD
	v_mov_b32_e32 v1, 0
	v_mov_b32_e32 v2, 0
	buffer_store_dword v1, off, s[56:59], 0 offset:252 ; 4-byte Folded Spill
	s_nop 0
	buffer_store_dword v2, off, s[56:59], 0 offset:256 ; 4-byte Folded Spill
	v_mov_b32_e32 v1, 0
	v_mov_b32_e32 v2, 0
	s_and_saveexec_b64 s[40:41], s[4:5]
	s_cbranch_execz .LBB202_240
; %bb.235:                              ;   in Loop: Header=BB202_13 Depth=1
	v_bfrev_b32_e32 v1, 1
	v_mov_b32_e32 v2, 0
	v_cmp_ne_u16_sdwa s[4:5], v3, s52 src0_sel:BYTE_0 src1_sel:DWORD
	s_and_saveexec_b64 s[42:43], s[4:5]
	s_cbranch_execz .LBB202_239
; %bb.236:                              ;   in Loop: Header=BB202_13 Depth=1
	v_and_b32_e32 v4, 0x7f, v3
	v_mov_b32_e32 v1, 0x7f800001
	v_mov_b32_e32 v2, 0
	v_cmp_ne_u32_e64 s[4:5], s53, v4
	s_and_saveexec_b64 s[44:45], s[4:5]
	s_cbranch_execz .LBB202_238
; %bb.237:                              ;   in Loop: Header=BB202_13 Depth=1
	v_and_b32_e32 v6, 7, v3
	v_lshrrev_b32_e32 v7, 3, v4
	v_cmp_gt_u32_e64 s[4:5], 8, v4
	v_ffbh_u32_e32 v4, v6
	v_min_u32_e32 v8, 32, v4
	v_subrev_u32_e32 v4, 28, v8
	v_lshlrev_b64 v[4:5], v4, v[3:4]
	v_sub_u32_e32 v5, 29, v8
	v_and_b32_e32 v4, 7, v4
	v_cndmask_b32_e64 v5, v7, v5, s[4:5]
	v_cndmask_b32_e64 v4, v6, v4, s[4:5]
	v_bfrev_b32_e32 v7, 60
	v_lshlrev_b32_e32 v4, 20, v4
	v_and_b32_sdwa v6, sext(v3), s54 dst_sel:DWORD dst_unused:UNUSED_PAD src0_sel:BYTE_0 src1_sel:DWORD
	v_lshl_add_u32 v5, v5, 23, v7
	v_or3_b32 v1, v6, v5, v4
	v_mov_b32_e32 v2, v49
.LBB202_238:                            ;   in Loop: Header=BB202_13 Depth=1
	s_or_b64 exec, exec, s[44:45]
.LBB202_239:                            ;   in Loop: Header=BB202_13 Depth=1
	s_or_b64 exec, exec, s[42:43]
.LBB202_240:                            ;   in Loop: Header=BB202_13 Depth=1
	s_or_b64 exec, exec, s[40:41]
	v_cmp_ne_u16_sdwa s[4:5], v3, v49 src0_sel:BYTE_1 src1_sel:DWORD
	buffer_store_dword v1, off, s[56:59], 0 offset:448 ; 4-byte Folded Spill
	s_nop 0
	buffer_store_dword v2, off, s[56:59], 0 offset:452 ; 4-byte Folded Spill
	s_and_saveexec_b64 s[40:41], s[4:5]
	s_cbranch_execz .LBB202_246
; %bb.241:                              ;   in Loop: Header=BB202_13 Depth=1
	v_cmp_ne_u16_sdwa s[4:5], v3, s52 src0_sel:BYTE_1 src1_sel:DWORD
	buffer_store_dword v49, off, s[56:59], 0 offset:252 ; 4-byte Folded Spill
	s_nop 0
	buffer_store_dword v50, off, s[56:59], 0 offset:256 ; 4-byte Folded Spill
	s_and_saveexec_b64 s[42:43], s[4:5]
	s_cbranch_execz .LBB202_245
; %bb.242:                              ;   in Loop: Header=BB202_13 Depth=1
	v_and_b32_sdwa v4, v3, s53 dst_sel:DWORD dst_unused:UNUSED_PAD src0_sel:BYTE_1 src1_sel:DWORD
	v_cmp_ne_u32_e64 s[4:5], s53, v4
	v_mov_b32_e32 v27, v49
	buffer_store_dword v27, off, s[56:59], 0 offset:252 ; 4-byte Folded Spill
	s_nop 0
	buffer_store_dword v28, off, s[56:59], 0 offset:256 ; 4-byte Folded Spill
	s_and_saveexec_b64 s[44:45], s[4:5]
	s_cbranch_execz .LBB202_244
; %bb.243:                              ;   in Loop: Header=BB202_13 Depth=1
	v_mov_b32_e32 v1, 7
	v_and_b32_sdwa v1, v3, v1 dst_sel:DWORD dst_unused:UNUSED_PAD src0_sel:BYTE_1 src1_sel:DWORD
	v_lshrrev_b32_e32 v6, 3, v4
	v_cmp_gt_u32_e64 s[4:5], 8, v4
	v_ffbh_u32_e32 v4, v1
	v_min_u32_e32 v7, 32, v4
	v_mov_b32_e32 v2, v49
	v_subrev_u32_e32 v4, 28, v7
	v_lshlrev_b64 v[4:5], v4, v[1:2]
	v_sub_u32_e32 v2, 29, v7
	v_and_b32_e32 v4, 7, v4
	v_cndmask_b32_e64 v2, v6, v2, s[4:5]
	v_cndmask_b32_e64 v1, v1, v4, s[4:5]
	v_bfrev_b32_e32 v4, 60
	v_lshlrev_b32_e32 v3, 16, v3
	v_lshl_add_u32 v2, v2, 23, v4
	v_and_or_b32 v2, v3, s54, v2
	v_lshlrev_b32_e32 v1, 20, v1
	v_or_b32_e32 v2, v2, v1
	v_mov_b32_e32 v1, v49
	buffer_store_dword v1, off, s[56:59], 0 offset:252 ; 4-byte Folded Spill
	s_nop 0
	buffer_store_dword v2, off, s[56:59], 0 offset:256 ; 4-byte Folded Spill
.LBB202_244:                            ;   in Loop: Header=BB202_13 Depth=1
	s_or_b64 exec, exec, s[44:45]
.LBB202_245:                            ;   in Loop: Header=BB202_13 Depth=1
	s_or_b64 exec, exec, s[42:43]
.LBB202_246:                            ;   in Loop: Header=BB202_13 Depth=1
	s_or_b64 exec, exec, s[40:41]
	global_load_ushort v3, v[59:60], off offset:2060
	v_mov_b32_e32 v5, 0
	v_mov_b32_e32 v6, 0
	s_waitcnt vmcnt(0)
	v_and_b32_e32 v7, 0xffff, v3
	v_cmp_ne_u16_sdwa s[4:5], v3, v49 src0_sel:BYTE_0 src1_sel:DWORD
	v_mov_b32_e32 v3, 0
	v_mov_b32_e32 v4, 0
	s_and_saveexec_b64 s[40:41], s[4:5]
	s_cbranch_execz .LBB202_252
; %bb.247:                              ;   in Loop: Header=BB202_13 Depth=1
	v_bfrev_b32_e32 v3, 1
	v_mov_b32_e32 v4, 0
	v_cmp_ne_u16_sdwa s[4:5], v7, s52 src0_sel:BYTE_0 src1_sel:DWORD
	s_and_saveexec_b64 s[42:43], s[4:5]
	s_cbranch_execz .LBB202_251
; %bb.248:                              ;   in Loop: Header=BB202_13 Depth=1
	v_and_b32_e32 v8, 0x7f, v7
	v_mov_b32_e32 v3, 0x7f800001
	v_mov_b32_e32 v4, 0
	v_cmp_ne_u32_e64 s[4:5], s53, v8
	s_and_saveexec_b64 s[44:45], s[4:5]
	s_cbranch_execz .LBB202_250
; %bb.249:                              ;   in Loop: Header=BB202_13 Depth=1
	v_and_b32_e32 v9, 7, v7
	v_ffbh_u32_e32 v3, v9
	v_lshrrev_b32_e32 v10, 3, v8
	v_cmp_gt_u32_e64 s[4:5], 8, v8
	v_min_u32_e32 v8, 32, v3
	v_subrev_u32_e32 v3, 28, v8
	v_lshlrev_b64 v[3:4], v3, v[7:8]
	v_sub_u32_e32 v4, 29, v8
	v_and_b32_e32 v3, 7, v3
	v_cndmask_b32_e64 v4, v10, v4, s[4:5]
	v_cndmask_b32_e64 v3, v9, v3, s[4:5]
	v_bfrev_b32_e32 v9, 60
	v_lshlrev_b32_e32 v3, 20, v3
	v_and_b32_sdwa v8, sext(v7), s54 dst_sel:DWORD dst_unused:UNUSED_PAD src0_sel:BYTE_0 src1_sel:DWORD
	v_lshl_add_u32 v4, v4, 23, v9
	v_or3_b32 v3, v8, v4, v3
	v_mov_b32_e32 v4, v49
.LBB202_250:                            ;   in Loop: Header=BB202_13 Depth=1
	s_or_b64 exec, exec, s[44:45]
.LBB202_251:                            ;   in Loop: Header=BB202_13 Depth=1
	s_or_b64 exec, exec, s[42:43]
.LBB202_252:                            ;   in Loop: Header=BB202_13 Depth=1
	s_or_b64 exec, exec, s[40:41]
	v_cmp_ne_u16_sdwa s[4:5], v7, v49 src0_sel:BYTE_1 src1_sel:DWORD
	s_and_saveexec_b64 s[40:41], s[4:5]
	s_cbranch_execz .LBB202_258
; %bb.253:                              ;   in Loop: Header=BB202_13 Depth=1
	v_mov_b32_e32 v5, v49
	v_cmp_ne_u16_sdwa s[4:5], v7, s52 src0_sel:BYTE_1 src1_sel:DWORD
	v_mov_b32_e32 v6, v50
	s_and_saveexec_b64 s[42:43], s[4:5]
	s_cbranch_execz .LBB202_257
; %bb.254:                              ;   in Loop: Header=BB202_13 Depth=1
	v_mov_b32_e32 v27, v49
	v_and_b32_sdwa v8, v7, s53 dst_sel:DWORD dst_unused:UNUSED_PAD src0_sel:BYTE_1 src1_sel:DWORD
	v_mov_b32_e32 v5, v27
	v_cmp_ne_u32_e64 s[4:5], s53, v8
	v_mov_b32_e32 v6, v28
	s_and_saveexec_b64 s[44:45], s[4:5]
	s_cbranch_execz .LBB202_256
; %bb.255:                              ;   in Loop: Header=BB202_13 Depth=1
	v_mov_b32_e32 v5, 7
	v_and_b32_sdwa v5, v7, v5 dst_sel:DWORD dst_unused:UNUSED_PAD src0_sel:BYTE_1 src1_sel:DWORD
	v_lshrrev_b32_e32 v10, 3, v8
	v_cmp_gt_u32_e64 s[4:5], 8, v8
	v_ffbh_u32_e32 v8, v5
	v_min_u32_e32 v11, 32, v8
	v_mov_b32_e32 v6, v49
	v_subrev_u32_e32 v8, 28, v11
	v_lshlrev_b64 v[8:9], v8, v[5:6]
	v_sub_u32_e32 v6, 29, v11
	v_and_b32_e32 v8, 7, v8
	v_cndmask_b32_e64 v6, v10, v6, s[4:5]
	v_cndmask_b32_e64 v5, v5, v8, s[4:5]
	v_bfrev_b32_e32 v8, 60
	v_lshlrev_b32_e32 v7, 16, v7
	v_lshl_add_u32 v6, v6, 23, v8
	v_and_or_b32 v6, v7, s54, v6
	v_lshlrev_b32_e32 v5, 20, v5
	v_or_b32_e32 v6, v6, v5
	v_mov_b32_e32 v5, v49
.LBB202_256:                            ;   in Loop: Header=BB202_13 Depth=1
	s_or_b64 exec, exec, s[44:45]
.LBB202_257:                            ;   in Loop: Header=BB202_13 Depth=1
	s_or_b64 exec, exec, s[42:43]
.LBB202_258:                            ;   in Loop: Header=BB202_13 Depth=1
	s_or_b64 exec, exec, s[40:41]
	global_load_ushort v7, v[59:60], off offset:2560
	v_mov_b32_e32 v9, 0
	v_mov_b32_e32 v10, 0
	s_waitcnt vmcnt(0)
	v_and_b32_e32 v11, 0xffff, v7
	v_cmp_ne_u16_sdwa s[4:5], v7, v49 src0_sel:BYTE_0 src1_sel:DWORD
	v_mov_b32_e32 v7, 0
	v_mov_b32_e32 v8, 0
	s_and_saveexec_b64 s[40:41], s[4:5]
	s_cbranch_execz .LBB202_264
; %bb.259:                              ;   in Loop: Header=BB202_13 Depth=1
	v_bfrev_b32_e32 v7, 1
	v_mov_b32_e32 v8, 0
	v_cmp_ne_u16_sdwa s[4:5], v11, s52 src0_sel:BYTE_0 src1_sel:DWORD
	s_and_saveexec_b64 s[42:43], s[4:5]
	s_cbranch_execz .LBB202_263
; %bb.260:                              ;   in Loop: Header=BB202_13 Depth=1
	v_and_b32_e32 v12, 0x7f, v11
	v_mov_b32_e32 v7, 0x7f800001
	v_mov_b32_e32 v8, 0
	v_cmp_ne_u32_e64 s[4:5], s53, v12
	s_and_saveexec_b64 s[44:45], s[4:5]
	s_cbranch_execz .LBB202_262
; %bb.261:                              ;   in Loop: Header=BB202_13 Depth=1
	v_and_b32_e32 v13, 7, v11
	v_ffbh_u32_e32 v7, v13
	v_lshrrev_b32_e32 v14, 3, v12
	v_cmp_gt_u32_e64 s[4:5], 8, v12
	v_min_u32_e32 v12, 32, v7
	v_subrev_u32_e32 v7, 28, v12
	v_lshlrev_b64 v[7:8], v7, v[11:12]
	v_sub_u32_e32 v8, 29, v12
	v_and_b32_e32 v7, 7, v7
	v_cndmask_b32_e64 v8, v14, v8, s[4:5]
	v_cndmask_b32_e64 v7, v13, v7, s[4:5]
	v_bfrev_b32_e32 v13, 60
	v_lshlrev_b32_e32 v7, 20, v7
	v_and_b32_sdwa v12, sext(v11), s54 dst_sel:DWORD dst_unused:UNUSED_PAD src0_sel:BYTE_0 src1_sel:DWORD
	v_lshl_add_u32 v8, v8, 23, v13
	v_or3_b32 v7, v12, v8, v7
	v_mov_b32_e32 v8, v49
.LBB202_262:                            ;   in Loop: Header=BB202_13 Depth=1
	s_or_b64 exec, exec, s[44:45]
.LBB202_263:                            ;   in Loop: Header=BB202_13 Depth=1
	s_or_b64 exec, exec, s[42:43]
.LBB202_264:                            ;   in Loop: Header=BB202_13 Depth=1
	s_or_b64 exec, exec, s[40:41]
	v_cmp_ne_u16_sdwa s[4:5], v11, v49 src0_sel:BYTE_1 src1_sel:DWORD
	s_and_saveexec_b64 s[40:41], s[4:5]
	s_cbranch_execz .LBB202_270
; %bb.265:                              ;   in Loop: Header=BB202_13 Depth=1
	v_mov_b32_e32 v9, v49
	v_cmp_ne_u16_sdwa s[4:5], v11, s52 src0_sel:BYTE_1 src1_sel:DWORD
	v_mov_b32_e32 v10, v50
	s_and_saveexec_b64 s[42:43], s[4:5]
	s_cbranch_execz .LBB202_269
; %bb.266:                              ;   in Loop: Header=BB202_13 Depth=1
	v_mov_b32_e32 v27, v49
	v_and_b32_sdwa v12, v11, s53 dst_sel:DWORD dst_unused:UNUSED_PAD src0_sel:BYTE_1 src1_sel:DWORD
	v_mov_b32_e32 v9, v27
	v_cmp_ne_u32_e64 s[4:5], s53, v12
	v_mov_b32_e32 v10, v28
	s_and_saveexec_b64 s[44:45], s[4:5]
	s_cbranch_execz .LBB202_268
; %bb.267:                              ;   in Loop: Header=BB202_13 Depth=1
	v_mov_b32_e32 v9, 7
	v_and_b32_sdwa v9, v11, v9 dst_sel:DWORD dst_unused:UNUSED_PAD src0_sel:BYTE_1 src1_sel:DWORD
	v_lshrrev_b32_e32 v14, 3, v12
	v_cmp_gt_u32_e64 s[4:5], 8, v12
	v_ffbh_u32_e32 v12, v9
	v_min_u32_e32 v15, 32, v12
	v_mov_b32_e32 v10, v49
	v_subrev_u32_e32 v12, 28, v15
	v_lshlrev_b64 v[12:13], v12, v[9:10]
	v_sub_u32_e32 v10, 29, v15
	v_and_b32_e32 v12, 7, v12
	v_cndmask_b32_e64 v10, v14, v10, s[4:5]
	v_cndmask_b32_e64 v9, v9, v12, s[4:5]
	v_bfrev_b32_e32 v12, 60
	v_lshlrev_b32_e32 v11, 16, v11
	v_lshl_add_u32 v10, v10, 23, v12
	v_and_or_b32 v10, v11, s54, v10
	v_lshlrev_b32_e32 v9, 20, v9
	v_or_b32_e32 v10, v10, v9
	v_mov_b32_e32 v9, v49
.LBB202_268:                            ;   in Loop: Header=BB202_13 Depth=1
	s_or_b64 exec, exec, s[44:45]
.LBB202_269:                            ;   in Loop: Header=BB202_13 Depth=1
	s_or_b64 exec, exec, s[42:43]
.LBB202_270:                            ;   in Loop: Header=BB202_13 Depth=1
	s_or_b64 exec, exec, s[40:41]
	global_load_ushort v11, v[59:60], off offset:2564
	v_mov_b32_e32 v13, 0
	v_mov_b32_e32 v14, 0
	s_waitcnt vmcnt(0)
	v_and_b32_e32 v15, 0xffff, v11
	v_cmp_ne_u16_sdwa s[4:5], v11, v49 src0_sel:BYTE_0 src1_sel:DWORD
	v_mov_b32_e32 v11, 0
	v_mov_b32_e32 v12, 0
	s_and_saveexec_b64 s[40:41], s[4:5]
	s_cbranch_execz .LBB202_276
; %bb.271:                              ;   in Loop: Header=BB202_13 Depth=1
	v_bfrev_b32_e32 v11, 1
	v_mov_b32_e32 v12, 0
	v_cmp_ne_u16_sdwa s[4:5], v15, s52 src0_sel:BYTE_0 src1_sel:DWORD
	s_and_saveexec_b64 s[42:43], s[4:5]
	s_cbranch_execz .LBB202_275
; %bb.272:                              ;   in Loop: Header=BB202_13 Depth=1
	v_and_b32_e32 v16, 0x7f, v15
	v_mov_b32_e32 v11, 0x7f800001
	v_mov_b32_e32 v12, 0
	v_cmp_ne_u32_e64 s[4:5], s53, v16
	s_and_saveexec_b64 s[44:45], s[4:5]
	s_cbranch_execz .LBB202_274
; %bb.273:                              ;   in Loop: Header=BB202_13 Depth=1
	v_and_b32_e32 v17, 7, v15
	v_ffbh_u32_e32 v11, v17
	v_lshrrev_b32_e32 v18, 3, v16
	v_cmp_gt_u32_e64 s[4:5], 8, v16
	v_min_u32_e32 v16, 32, v11
	v_subrev_u32_e32 v11, 28, v16
	v_lshlrev_b64 v[11:12], v11, v[15:16]
	v_sub_u32_e32 v12, 29, v16
	v_and_b32_e32 v11, 7, v11
	v_cndmask_b32_e64 v12, v18, v12, s[4:5]
	v_cndmask_b32_e64 v11, v17, v11, s[4:5]
	v_bfrev_b32_e32 v17, 60
	v_lshlrev_b32_e32 v11, 20, v11
	v_and_b32_sdwa v16, sext(v15), s54 dst_sel:DWORD dst_unused:UNUSED_PAD src0_sel:BYTE_0 src1_sel:DWORD
	v_lshl_add_u32 v12, v12, 23, v17
	v_or3_b32 v11, v16, v12, v11
	v_mov_b32_e32 v12, v49
.LBB202_274:                            ;   in Loop: Header=BB202_13 Depth=1
	s_or_b64 exec, exec, s[44:45]
.LBB202_275:                            ;   in Loop: Header=BB202_13 Depth=1
	s_or_b64 exec, exec, s[42:43]
.LBB202_276:                            ;   in Loop: Header=BB202_13 Depth=1
	s_or_b64 exec, exec, s[40:41]
	v_cmp_ne_u16_sdwa s[4:5], v15, v49 src0_sel:BYTE_1 src1_sel:DWORD
	s_and_saveexec_b64 s[40:41], s[4:5]
	s_cbranch_execz .LBB202_282
; %bb.277:                              ;   in Loop: Header=BB202_13 Depth=1
	v_mov_b32_e32 v13, v49
	v_cmp_ne_u16_sdwa s[4:5], v15, s52 src0_sel:BYTE_1 src1_sel:DWORD
	v_mov_b32_e32 v14, v50
	s_and_saveexec_b64 s[42:43], s[4:5]
	s_cbranch_execz .LBB202_281
; %bb.278:                              ;   in Loop: Header=BB202_13 Depth=1
	v_mov_b32_e32 v27, v49
	v_and_b32_sdwa v16, v15, s53 dst_sel:DWORD dst_unused:UNUSED_PAD src0_sel:BYTE_1 src1_sel:DWORD
	v_mov_b32_e32 v13, v27
	v_cmp_ne_u32_e64 s[4:5], s53, v16
	v_mov_b32_e32 v14, v28
	s_and_saveexec_b64 s[44:45], s[4:5]
	s_cbranch_execz .LBB202_280
; %bb.279:                              ;   in Loop: Header=BB202_13 Depth=1
	v_mov_b32_e32 v13, 7
	v_and_b32_sdwa v13, v15, v13 dst_sel:DWORD dst_unused:UNUSED_PAD src0_sel:BYTE_1 src1_sel:DWORD
	v_lshrrev_b32_e32 v18, 3, v16
	v_cmp_gt_u32_e64 s[4:5], 8, v16
	v_ffbh_u32_e32 v16, v13
	v_min_u32_e32 v19, 32, v16
	v_mov_b32_e32 v14, v49
	v_subrev_u32_e32 v16, 28, v19
	v_lshlrev_b64 v[16:17], v16, v[13:14]
	v_sub_u32_e32 v14, 29, v19
	v_and_b32_e32 v16, 7, v16
	v_cndmask_b32_e64 v14, v18, v14, s[4:5]
	v_cndmask_b32_e64 v13, v13, v16, s[4:5]
	v_bfrev_b32_e32 v16, 60
	v_lshlrev_b32_e32 v15, 16, v15
	v_lshl_add_u32 v14, v14, 23, v16
	v_and_or_b32 v14, v15, s54, v14
	v_lshlrev_b32_e32 v13, 20, v13
	v_or_b32_e32 v14, v14, v13
	v_mov_b32_e32 v13, v49
.LBB202_280:                            ;   in Loop: Header=BB202_13 Depth=1
	s_or_b64 exec, exec, s[44:45]
.LBB202_281:                            ;   in Loop: Header=BB202_13 Depth=1
	s_or_b64 exec, exec, s[42:43]
.LBB202_282:                            ;   in Loop: Header=BB202_13 Depth=1
	s_or_b64 exec, exec, s[40:41]
	global_load_ushort v15, v[59:60], off offset:2568
	v_mov_b32_e32 v17, 0
	v_mov_b32_e32 v18, 0
	s_waitcnt vmcnt(0)
	v_and_b32_e32 v19, 0xffff, v15
	v_cmp_ne_u16_sdwa s[4:5], v15, v49 src0_sel:BYTE_0 src1_sel:DWORD
	v_mov_b32_e32 v15, 0
	v_mov_b32_e32 v16, 0
	s_and_saveexec_b64 s[40:41], s[4:5]
	s_cbranch_execz .LBB202_288
; %bb.283:                              ;   in Loop: Header=BB202_13 Depth=1
	v_bfrev_b32_e32 v15, 1
	v_mov_b32_e32 v16, 0
	v_cmp_ne_u16_sdwa s[4:5], v19, s52 src0_sel:BYTE_0 src1_sel:DWORD
	s_and_saveexec_b64 s[42:43], s[4:5]
	s_cbranch_execz .LBB202_287
; %bb.284:                              ;   in Loop: Header=BB202_13 Depth=1
	v_and_b32_e32 v20, 0x7f, v19
	v_mov_b32_e32 v15, 0x7f800001
	v_mov_b32_e32 v16, 0
	v_cmp_ne_u32_e64 s[4:5], s53, v20
	s_and_saveexec_b64 s[44:45], s[4:5]
	s_cbranch_execz .LBB202_286
; %bb.285:                              ;   in Loop: Header=BB202_13 Depth=1
	v_and_b32_e32 v21, 7, v19
	v_ffbh_u32_e32 v15, v21
	v_lshrrev_b32_e32 v22, 3, v20
	v_cmp_gt_u32_e64 s[4:5], 8, v20
	v_min_u32_e32 v20, 32, v15
	v_subrev_u32_e32 v15, 28, v20
	v_lshlrev_b64 v[15:16], v15, v[19:20]
	v_sub_u32_e32 v16, 29, v20
	v_and_b32_e32 v15, 7, v15
	v_cndmask_b32_e64 v16, v22, v16, s[4:5]
	v_cndmask_b32_e64 v15, v21, v15, s[4:5]
	v_bfrev_b32_e32 v21, 60
	v_lshlrev_b32_e32 v15, 20, v15
	v_and_b32_sdwa v20, sext(v19), s54 dst_sel:DWORD dst_unused:UNUSED_PAD src0_sel:BYTE_0 src1_sel:DWORD
	v_lshl_add_u32 v16, v16, 23, v21
	v_or3_b32 v15, v20, v16, v15
	v_mov_b32_e32 v16, v49
.LBB202_286:                            ;   in Loop: Header=BB202_13 Depth=1
	s_or_b64 exec, exec, s[44:45]
.LBB202_287:                            ;   in Loop: Header=BB202_13 Depth=1
	s_or_b64 exec, exec, s[42:43]
.LBB202_288:                            ;   in Loop: Header=BB202_13 Depth=1
	s_or_b64 exec, exec, s[40:41]
	v_cmp_ne_u16_sdwa s[4:5], v19, v49 src0_sel:BYTE_1 src1_sel:DWORD
	s_and_saveexec_b64 s[40:41], s[4:5]
	s_cbranch_execz .LBB202_294
; %bb.289:                              ;   in Loop: Header=BB202_13 Depth=1
	v_mov_b32_e32 v17, v49
	v_cmp_ne_u16_sdwa s[4:5], v19, s52 src0_sel:BYTE_1 src1_sel:DWORD
	v_mov_b32_e32 v18, v50
	s_and_saveexec_b64 s[42:43], s[4:5]
	s_cbranch_execz .LBB202_293
; %bb.290:                              ;   in Loop: Header=BB202_13 Depth=1
	v_mov_b32_e32 v27, v49
	v_and_b32_sdwa v20, v19, s53 dst_sel:DWORD dst_unused:UNUSED_PAD src0_sel:BYTE_1 src1_sel:DWORD
	v_mov_b32_e32 v17, v27
	v_cmp_ne_u32_e64 s[4:5], s53, v20
	v_mov_b32_e32 v18, v28
	s_and_saveexec_b64 s[44:45], s[4:5]
	s_cbranch_execz .LBB202_292
; %bb.291:                              ;   in Loop: Header=BB202_13 Depth=1
	v_mov_b32_e32 v17, 7
	v_and_b32_sdwa v17, v19, v17 dst_sel:DWORD dst_unused:UNUSED_PAD src0_sel:BYTE_1 src1_sel:DWORD
	v_lshrrev_b32_e32 v22, 3, v20
	v_cmp_gt_u32_e64 s[4:5], 8, v20
	v_ffbh_u32_e32 v20, v17
	v_min_u32_e32 v23, 32, v20
	v_mov_b32_e32 v18, v49
	v_subrev_u32_e32 v20, 28, v23
	v_lshlrev_b64 v[20:21], v20, v[17:18]
	v_sub_u32_e32 v18, 29, v23
	v_and_b32_e32 v20, 7, v20
	v_cndmask_b32_e64 v18, v22, v18, s[4:5]
	v_cndmask_b32_e64 v17, v17, v20, s[4:5]
	v_bfrev_b32_e32 v20, 60
	v_lshlrev_b32_e32 v19, 16, v19
	v_lshl_add_u32 v18, v18, 23, v20
	v_and_or_b32 v18, v19, s54, v18
	v_lshlrev_b32_e32 v17, 20, v17
	v_or_b32_e32 v18, v18, v17
	v_mov_b32_e32 v17, v49
.LBB202_292:                            ;   in Loop: Header=BB202_13 Depth=1
	s_or_b64 exec, exec, s[44:45]
.LBB202_293:                            ;   in Loop: Header=BB202_13 Depth=1
	s_or_b64 exec, exec, s[42:43]
.LBB202_294:                            ;   in Loop: Header=BB202_13 Depth=1
	s_or_b64 exec, exec, s[40:41]
	global_load_ushort v19, v[59:60], off offset:2572
	v_mov_b32_e32 v55, 0
	v_mov_b32_e32 v56, 0
	s_waitcnt vmcnt(0)
	v_and_b32_e32 v21, 0xffff, v19
	v_cmp_ne_u16_sdwa s[4:5], v19, v49 src0_sel:BYTE_0 src1_sel:DWORD
	v_mov_b32_e32 v19, 0
	v_mov_b32_e32 v20, 0
	s_and_saveexec_b64 s[40:41], s[4:5]
	s_cbranch_execz .LBB202_300
; %bb.295:                              ;   in Loop: Header=BB202_13 Depth=1
	v_bfrev_b32_e32 v19, 1
	v_mov_b32_e32 v20, 0
	v_cmp_ne_u16_sdwa s[4:5], v21, s52 src0_sel:BYTE_0 src1_sel:DWORD
	s_and_saveexec_b64 s[42:43], s[4:5]
	s_cbranch_execz .LBB202_299
; %bb.296:                              ;   in Loop: Header=BB202_13 Depth=1
	v_and_b32_e32 v22, 0x7f, v21
	v_mov_b32_e32 v19, 0x7f800001
	v_mov_b32_e32 v20, 0
	v_cmp_ne_u32_e64 s[4:5], s53, v22
	s_and_saveexec_b64 s[44:45], s[4:5]
	s_cbranch_execz .LBB202_298
; %bb.297:                              ;   in Loop: Header=BB202_13 Depth=1
	v_and_b32_e32 v23, 7, v21
	v_ffbh_u32_e32 v19, v23
	v_lshrrev_b32_e32 v24, 3, v22
	v_cmp_gt_u32_e64 s[4:5], 8, v22
	v_min_u32_e32 v22, 32, v19
	v_subrev_u32_e32 v19, 28, v22
	v_lshlrev_b64 v[19:20], v19, v[21:22]
	v_sub_u32_e32 v20, 29, v22
	v_and_b32_e32 v19, 7, v19
	v_cndmask_b32_e64 v20, v24, v20, s[4:5]
	v_cndmask_b32_e64 v19, v23, v19, s[4:5]
	v_bfrev_b32_e32 v23, 60
	v_lshlrev_b32_e32 v19, 20, v19
	v_and_b32_sdwa v22, sext(v21), s54 dst_sel:DWORD dst_unused:UNUSED_PAD src0_sel:BYTE_0 src1_sel:DWORD
	v_lshl_add_u32 v20, v20, 23, v23
	v_or3_b32 v19, v22, v20, v19
	v_mov_b32_e32 v20, v49
.LBB202_298:                            ;   in Loop: Header=BB202_13 Depth=1
	s_or_b64 exec, exec, s[44:45]
.LBB202_299:                            ;   in Loop: Header=BB202_13 Depth=1
	s_or_b64 exec, exec, s[42:43]
.LBB202_300:                            ;   in Loop: Header=BB202_13 Depth=1
	s_or_b64 exec, exec, s[40:41]
	v_cmp_ne_u16_sdwa s[4:5], v21, v49 src0_sel:BYTE_1 src1_sel:DWORD
	s_and_saveexec_b64 s[40:41], s[4:5]
	s_cbranch_execz .LBB202_306
; %bb.301:                              ;   in Loop: Header=BB202_13 Depth=1
	v_mov_b32_e32 v56, v50
	v_cmp_ne_u16_sdwa s[4:5], v21, s52 src0_sel:BYTE_1 src1_sel:DWORD
	v_mov_b32_e32 v55, v49
	s_and_saveexec_b64 s[42:43], s[4:5]
	s_cbranch_execz .LBB202_305
; %bb.302:                              ;   in Loop: Header=BB202_13 Depth=1
	v_and_b32_sdwa v22, v21, s53 dst_sel:DWORD dst_unused:UNUSED_PAD src0_sel:BYTE_1 src1_sel:DWORD
	v_mov_b32_e32 v27, v49
	v_mov_b32_e32 v56, v28
	v_cmp_ne_u32_e64 s[4:5], s53, v22
	v_mov_b32_e32 v55, v27
	s_and_saveexec_b64 s[44:45], s[4:5]
	s_cbranch_execz .LBB202_304
; %bb.303:                              ;   in Loop: Header=BB202_13 Depth=1
	v_mov_b32_e32 v23, 7
	v_and_b32_sdwa v23, v21, v23 dst_sel:DWORD dst_unused:UNUSED_PAD src0_sel:BYTE_1 src1_sel:DWORD
	v_lshrrev_b32_e32 v26, 3, v22
	v_cmp_gt_u32_e64 s[4:5], 8, v22
	v_ffbh_u32_e32 v22, v23
	v_min_u32_e32 v22, 32, v22
	v_mov_b32_e32 v24, v49
	v_subrev_u32_e32 v25, 28, v22
	v_lshlrev_b64 v[24:25], v25, v[23:24]
	v_sub_u32_e32 v22, 29, v22
	v_and_b32_e32 v24, 7, v24
	v_cndmask_b32_e64 v22, v26, v22, s[4:5]
	v_cndmask_b32_e64 v23, v23, v24, s[4:5]
	v_bfrev_b32_e32 v24, 60
	v_lshlrev_b32_e32 v21, 16, v21
	v_lshl_add_u32 v22, v22, 23, v24
	v_and_or_b32 v21, v21, s54, v22
	v_lshlrev_b32_e32 v22, 20, v23
	v_or_b32_e32 v56, v21, v22
	v_mov_b32_e32 v55, v49
.LBB202_304:                            ;   in Loop: Header=BB202_13 Depth=1
	s_or_b64 exec, exec, s[44:45]
.LBB202_305:                            ;   in Loop: Header=BB202_13 Depth=1
	s_or_b64 exec, exec, s[42:43]
.LBB202_306:                            ;   in Loop: Header=BB202_13 Depth=1
	s_or_b64 exec, exec, s[40:41]
	global_load_ushort v21, v[59:60], off offset:3072
	v_mov_b32_e32 v61, 0
	v_mov_b32_e32 v62, 0
	s_waitcnt vmcnt(0)
	v_and_b32_e32 v23, 0xffff, v21
	v_cmp_ne_u16_sdwa s[4:5], v21, v49 src0_sel:BYTE_0 src1_sel:DWORD
	v_mov_b32_e32 v21, 0
	v_mov_b32_e32 v22, 0
	s_and_saveexec_b64 s[40:41], s[4:5]
	s_cbranch_execz .LBB202_312
; %bb.307:                              ;   in Loop: Header=BB202_13 Depth=1
	v_bfrev_b32_e32 v61, 1
	v_mov_b32_e32 v62, 0
	v_cmp_ne_u16_sdwa s[4:5], v23, s52 src0_sel:BYTE_0 src1_sel:DWORD
	s_and_saveexec_b64 s[42:43], s[4:5]
	s_cbranch_execz .LBB202_311
; %bb.308:                              ;   in Loop: Header=BB202_13 Depth=1
	v_and_b32_e32 v24, 0x7f, v23
	v_mov_b32_e32 v61, 0x7f800001
	v_mov_b32_e32 v62, 0
	v_cmp_ne_u32_e64 s[4:5], s53, v24
	s_and_saveexec_b64 s[44:45], s[4:5]
	s_cbranch_execz .LBB202_310
; %bb.309:                              ;   in Loop: Header=BB202_13 Depth=1
	v_and_b32_e32 v26, 7, v23
	v_lshrrev_b32_e32 v27, 3, v24
	v_cmp_gt_u32_e64 s[4:5], 8, v24
	v_ffbh_u32_e32 v24, v26
	v_min_u32_e32 v29, 32, v24
	v_subrev_u32_e32 v24, 28, v29
	v_lshlrev_b64 v[24:25], v24, v[23:24]
	v_sub_u32_e32 v25, 29, v29
	v_and_b32_e32 v24, 7, v24
	v_cndmask_b32_e64 v25, v27, v25, s[4:5]
	v_cndmask_b32_e64 v24, v26, v24, s[4:5]
	v_bfrev_b32_e32 v27, 60
	v_lshlrev_b32_e32 v24, 20, v24
	v_and_b32_sdwa v26, sext(v23), s54 dst_sel:DWORD dst_unused:UNUSED_PAD src0_sel:BYTE_0 src1_sel:DWORD
	v_lshl_add_u32 v25, v25, 23, v27
	v_or3_b32 v61, v26, v25, v24
	v_mov_b32_e32 v62, v49
.LBB202_310:                            ;   in Loop: Header=BB202_13 Depth=1
	s_or_b64 exec, exec, s[44:45]
.LBB202_311:                            ;   in Loop: Header=BB202_13 Depth=1
	s_or_b64 exec, exec, s[42:43]
.LBB202_312:                            ;   in Loop: Header=BB202_13 Depth=1
	s_or_b64 exec, exec, s[40:41]
	v_cmp_ne_u16_sdwa s[4:5], v23, v49 src0_sel:BYTE_1 src1_sel:DWORD
	s_and_saveexec_b64 s[40:41], s[4:5]
	s_cbranch_execz .LBB202_318
; %bb.313:                              ;   in Loop: Header=BB202_13 Depth=1
	v_mov_b32_e32 v21, v49
	v_cmp_ne_u16_sdwa s[4:5], v23, s52 src0_sel:BYTE_1 src1_sel:DWORD
	v_mov_b32_e32 v22, v50
	s_and_saveexec_b64 s[42:43], s[4:5]
	s_cbranch_execz .LBB202_317
; %bb.314:                              ;   in Loop: Header=BB202_13 Depth=1
	v_mov_b32_e32 v27, v49
	v_and_b32_sdwa v24, v23, s53 dst_sel:DWORD dst_unused:UNUSED_PAD src0_sel:BYTE_1 src1_sel:DWORD
	v_mov_b32_e32 v21, v27
	v_cmp_ne_u32_e64 s[4:5], s53, v24
	v_mov_b32_e32 v22, v28
	s_and_saveexec_b64 s[44:45], s[4:5]
	s_cbranch_execz .LBB202_316
; %bb.315:                              ;   in Loop: Header=BB202_13 Depth=1
	v_mov_b32_e32 v21, 7
	v_and_b32_sdwa v21, v23, v21 dst_sel:DWORD dst_unused:UNUSED_PAD src0_sel:BYTE_1 src1_sel:DWORD
	v_lshrrev_b32_e32 v26, 3, v24
	v_cmp_gt_u32_e64 s[4:5], 8, v24
	v_ffbh_u32_e32 v24, v21
	v_min_u32_e32 v27, 32, v24
	v_mov_b32_e32 v22, v49
	v_subrev_u32_e32 v24, 28, v27
	v_lshlrev_b64 v[24:25], v24, v[21:22]
	v_sub_u32_e32 v22, 29, v27
	v_and_b32_e32 v24, 7, v24
	v_cndmask_b32_e64 v22, v26, v22, s[4:5]
	v_cndmask_b32_e64 v21, v21, v24, s[4:5]
	v_bfrev_b32_e32 v24, 60
	v_lshlrev_b32_e32 v23, 16, v23
	v_lshl_add_u32 v22, v22, 23, v24
	v_and_or_b32 v22, v23, s54, v22
	v_lshlrev_b32_e32 v21, 20, v21
	v_or_b32_e32 v22, v22, v21
	v_mov_b32_e32 v21, v49
.LBB202_316:                            ;   in Loop: Header=BB202_13 Depth=1
	s_or_b64 exec, exec, s[44:45]
.LBB202_317:                            ;   in Loop: Header=BB202_13 Depth=1
	s_or_b64 exec, exec, s[42:43]
.LBB202_318:                            ;   in Loop: Header=BB202_13 Depth=1
	s_or_b64 exec, exec, s[40:41]
	global_load_ushort v23, v[59:60], off offset:3076
	v_mov_b32_e32 v51, 0
	v_mov_b32_e32 v52, 0
	s_waitcnt vmcnt(0)
	v_and_b32_e32 v25, 0xffff, v23
	v_cmp_ne_u16_sdwa s[4:5], v23, v49 src0_sel:BYTE_0 src1_sel:DWORD
	v_mov_b32_e32 v23, 0
	v_mov_b32_e32 v24, 0
	s_and_saveexec_b64 s[40:41], s[4:5]
	s_cbranch_execz .LBB202_324
; %bb.319:                              ;   in Loop: Header=BB202_13 Depth=1
	v_bfrev_b32_e32 v23, 1
	v_mov_b32_e32 v24, 0
	v_cmp_ne_u16_sdwa s[4:5], v25, s52 src0_sel:BYTE_0 src1_sel:DWORD
	s_and_saveexec_b64 s[42:43], s[4:5]
	s_cbranch_execz .LBB202_323
; %bb.320:                              ;   in Loop: Header=BB202_13 Depth=1
	v_and_b32_e32 v26, 0x7f, v25
	v_mov_b32_e32 v23, 0x7f800001
	v_mov_b32_e32 v24, 0
	v_cmp_ne_u32_e64 s[4:5], s53, v26
	s_and_saveexec_b64 s[44:45], s[4:5]
	s_cbranch_execz .LBB202_322
; %bb.321:                              ;   in Loop: Header=BB202_13 Depth=1
	v_and_b32_e32 v27, 7, v25
	v_ffbh_u32_e32 v23, v27
	v_lshrrev_b32_e32 v29, 3, v26
	v_cmp_gt_u32_e64 s[4:5], 8, v26
	v_min_u32_e32 v26, 32, v23
	v_subrev_u32_e32 v23, 28, v26
	v_lshlrev_b64 v[23:24], v23, v[25:26]
	v_sub_u32_e32 v24, 29, v26
	v_and_b32_e32 v23, 7, v23
	v_cndmask_b32_e64 v24, v29, v24, s[4:5]
	v_cndmask_b32_e64 v23, v27, v23, s[4:5]
	v_bfrev_b32_e32 v27, 60
	v_lshlrev_b32_e32 v23, 20, v23
	v_and_b32_sdwa v26, sext(v25), s54 dst_sel:DWORD dst_unused:UNUSED_PAD src0_sel:BYTE_0 src1_sel:DWORD
	v_lshl_add_u32 v24, v24, 23, v27
	v_or3_b32 v23, v26, v24, v23
	v_mov_b32_e32 v24, v49
.LBB202_322:                            ;   in Loop: Header=BB202_13 Depth=1
	s_or_b64 exec, exec, s[44:45]
.LBB202_323:                            ;   in Loop: Header=BB202_13 Depth=1
	s_or_b64 exec, exec, s[42:43]
.LBB202_324:                            ;   in Loop: Header=BB202_13 Depth=1
	s_or_b64 exec, exec, s[40:41]
	v_cmp_ne_u16_sdwa s[4:5], v25, v49 src0_sel:BYTE_1 src1_sel:DWORD
	s_and_saveexec_b64 s[40:41], s[4:5]
	s_cbranch_execz .LBB202_330
; %bb.325:                              ;   in Loop: Header=BB202_13 Depth=1
	v_mov_b32_e32 v52, v50
	v_cmp_ne_u16_sdwa s[4:5], v25, s52 src0_sel:BYTE_1 src1_sel:DWORD
	v_mov_b32_e32 v51, v49
	s_and_saveexec_b64 s[42:43], s[4:5]
	s_cbranch_execz .LBB202_329
; %bb.326:                              ;   in Loop: Header=BB202_13 Depth=1
	v_and_b32_sdwa v26, v25, s53 dst_sel:DWORD dst_unused:UNUSED_PAD src0_sel:BYTE_1 src1_sel:DWORD
	v_mov_b32_e32 v27, v49
	v_mov_b32_e32 v52, v28
	v_cmp_ne_u32_e64 s[4:5], s53, v26
	v_mov_b32_e32 v51, v27
	s_and_saveexec_b64 s[44:45], s[4:5]
	s_cbranch_execz .LBB202_328
; %bb.327:                              ;   in Loop: Header=BB202_13 Depth=1
	v_mov_b32_e32 v27, 7
	v_and_b32_sdwa v29, v25, v27 dst_sel:DWORD dst_unused:UNUSED_PAD src0_sel:BYTE_1 src1_sel:DWORD
	v_lshrrev_b32_e32 v31, 3, v26
	v_cmp_gt_u32_e64 s[4:5], 8, v26
	v_ffbh_u32_e32 v26, v29
	v_min_u32_e32 v34, 32, v26
	v_mov_b32_e32 v30, v49
	v_subrev_u32_e32 v26, 28, v34
	v_lshlrev_b64 v[26:27], v26, v[29:30]
	v_sub_u32_e32 v27, 29, v34
	v_and_b32_e32 v26, 7, v26
	v_cndmask_b32_e64 v27, v31, v27, s[4:5]
	v_cndmask_b32_e64 v26, v29, v26, s[4:5]
	v_bfrev_b32_e32 v29, 60
	v_lshlrev_b32_e32 v25, 16, v25
	v_lshl_add_u32 v27, v27, 23, v29
	v_and_or_b32 v25, v25, s54, v27
	v_lshlrev_b32_e32 v26, 20, v26
	v_or_b32_e32 v52, v25, v26
	v_mov_b32_e32 v51, v49
.LBB202_328:                            ;   in Loop: Header=BB202_13 Depth=1
	s_or_b64 exec, exec, s[44:45]
.LBB202_329:                            ;   in Loop: Header=BB202_13 Depth=1
	s_or_b64 exec, exec, s[42:43]
.LBB202_330:                            ;   in Loop: Header=BB202_13 Depth=1
	s_or_b64 exec, exec, s[40:41]
	global_load_ushort v25, v[59:60], off offset:3080
	v_mov_b32_e32 v57, 0
	v_mov_b32_e32 v58, 0
	s_waitcnt vmcnt(0)
	v_and_b32_e32 v29, 0xffff, v25
	v_cmp_ne_u16_sdwa s[4:5], v25, v49 src0_sel:BYTE_0 src1_sel:DWORD
	v_mov_b32_e32 v25, 0
	v_mov_b32_e32 v26, 0
	s_and_saveexec_b64 s[40:41], s[4:5]
	s_cbranch_execz .LBB202_336
; %bb.331:                              ;   in Loop: Header=BB202_13 Depth=1
	v_bfrev_b32_e32 v57, 1
	v_mov_b32_e32 v58, 0
	v_cmp_ne_u16_sdwa s[4:5], v29, s52 src0_sel:BYTE_0 src1_sel:DWORD
	s_and_saveexec_b64 s[42:43], s[4:5]
	s_cbranch_execz .LBB202_335
; %bb.332:                              ;   in Loop: Header=BB202_13 Depth=1
	v_and_b32_e32 v27, 0x7f, v29
	v_mov_b32_e32 v57, 0x7f800001
	v_mov_b32_e32 v58, 0
	v_cmp_ne_u32_e64 s[4:5], s53, v27
	s_and_saveexec_b64 s[44:45], s[4:5]
	s_cbranch_execz .LBB202_334
; %bb.333:                              ;   in Loop: Header=BB202_13 Depth=1
	v_mov_b32_e32 v1, v47
	v_mov_b32_e32 v2, v48
	;; [unrolled: 1-line block ×5, first 2 shown]
	v_and_b32_e32 v34, 7, v29
	v_mov_b32_e32 v38, v42
	v_mov_b32_e32 v42, v36
	;; [unrolled: 1-line block ×3, first 2 shown]
	v_lshrrev_b32_e32 v35, 3, v27
	v_cmp_gt_u32_e64 s[4:5], 8, v27
	v_ffbh_u32_e32 v27, v34
	v_min_u32_e32 v27, 32, v27
	v_subrev_u32_e32 v30, 28, v27
	v_lshlrev_b64 v[30:31], v30, v[29:30]
	v_sub_u32_e32 v27, 29, v27
	v_cndmask_b32_e64 v27, v35, v27, s[4:5]
	v_mov_b32_e32 v35, v41
	v_and_b32_e32 v30, 7, v30
	v_mov_b32_e32 v36, v42
	v_mov_b32_e32 v42, v38
	;; [unrolled: 1-line block ×4, first 2 shown]
	v_cndmask_b32_e64 v30, v34, v30, s[4:5]
	v_bfrev_b32_e32 v34, 60
	v_mov_b32_e32 v38, v48
	v_mov_b32_e32 v48, v2
	v_lshlrev_b32_e32 v30, 20, v30
	v_and_b32_sdwa v31, sext(v29), s54 dst_sel:DWORD dst_unused:UNUSED_PAD src0_sel:BYTE_0 src1_sel:DWORD
	v_lshl_add_u32 v27, v27, 23, v34
	v_mov_b32_e32 v47, v1
	v_or3_b32 v57, v31, v27, v30
	v_mov_b32_e32 v58, v49
.LBB202_334:                            ;   in Loop: Header=BB202_13 Depth=1
	s_or_b64 exec, exec, s[44:45]
.LBB202_335:                            ;   in Loop: Header=BB202_13 Depth=1
	s_or_b64 exec, exec, s[42:43]
.LBB202_336:                            ;   in Loop: Header=BB202_13 Depth=1
	s_or_b64 exec, exec, s[40:41]
	v_cmp_ne_u16_sdwa s[4:5], v29, v49 src0_sel:BYTE_1 src1_sel:DWORD
	s_and_saveexec_b64 s[40:41], s[4:5]
	s_cbranch_execz .LBB202_342
; %bb.337:                              ;   in Loop: Header=BB202_13 Depth=1
	v_mov_b32_e32 v25, v49
	v_cmp_ne_u16_sdwa s[4:5], v29, s52 src0_sel:BYTE_1 src1_sel:DWORD
	v_mov_b32_e32 v26, v50
	s_and_saveexec_b64 s[42:43], s[4:5]
	s_cbranch_execz .LBB202_341
; %bb.338:                              ;   in Loop: Header=BB202_13 Depth=1
	v_mov_b32_e32 v27, v49
	v_and_b32_sdwa v30, v29, s53 dst_sel:DWORD dst_unused:UNUSED_PAD src0_sel:BYTE_1 src1_sel:DWORD
	v_mov_b32_e32 v25, v27
	v_cmp_ne_u32_e64 s[4:5], s53, v30
	v_mov_b32_e32 v26, v28
	s_and_saveexec_b64 s[44:45], s[4:5]
	s_cbranch_execz .LBB202_340
; %bb.339:                              ;   in Loop: Header=BB202_13 Depth=1
	v_mov_b32_e32 v25, 7
	v_and_b32_sdwa v25, v29, v25 dst_sel:DWORD dst_unused:UNUSED_PAD src0_sel:BYTE_1 src1_sel:DWORD
	v_ffbh_u32_e32 v27, v25
	v_lshrrev_b32_e32 v31, 3, v30
	v_cmp_gt_u32_e64 s[4:5], 8, v30
	v_min_u32_e32 v30, 32, v27
	v_mov_b32_e32 v26, v49
	v_subrev_u32_e32 v27, 28, v30
	v_lshlrev_b64 v[26:27], v27, v[25:26]
	v_sub_u32_e32 v27, 29, v30
	v_and_b32_e32 v26, 7, v26
	v_cndmask_b32_e64 v27, v31, v27, s[4:5]
	v_cndmask_b32_e64 v25, v25, v26, s[4:5]
	v_lshlrev_b32_e32 v26, 16, v29
	v_bfrev_b32_e32 v29, 60
	v_lshl_add_u32 v27, v27, 23, v29
	v_and_or_b32 v26, v26, s54, v27
	v_lshlrev_b32_e32 v25, 20, v25
	v_or_b32_e32 v26, v26, v25
	v_mov_b32_e32 v25, v49
.LBB202_340:                            ;   in Loop: Header=BB202_13 Depth=1
	s_or_b64 exec, exec, s[44:45]
.LBB202_341:                            ;   in Loop: Header=BB202_13 Depth=1
	s_or_b64 exec, exec, s[42:43]
.LBB202_342:                            ;   in Loop: Header=BB202_13 Depth=1
	s_or_b64 exec, exec, s[40:41]
	global_load_ushort v27, v[59:60], off offset:3084
	v_mov_b32_e32 v29, 0
	v_mov_b32_e32 v59, 0
	;; [unrolled: 1-line block ×4, first 2 shown]
	s_waitcnt vmcnt(0)
	v_and_b32_e32 v31, 0xffff, v27
	v_cmp_ne_u16_sdwa s[4:5], v27, v49 src0_sel:BYTE_0 src1_sel:DWORD
	s_and_saveexec_b64 s[40:41], s[4:5]
	s_cbranch_execz .LBB202_348
; %bb.343:                              ;   in Loop: Header=BB202_13 Depth=1
	v_bfrev_b32_e32 v59, 1
	v_mov_b32_e32 v60, 0
	v_cmp_ne_u16_sdwa s[4:5], v31, s52 src0_sel:BYTE_0 src1_sel:DWORD
	s_and_saveexec_b64 s[42:43], s[4:5]
	s_cbranch_execz .LBB202_347
; %bb.344:                              ;   in Loop: Header=BB202_13 Depth=1
	v_and_b32_e32 v27, 0x7f, v31
	v_mov_b32_e32 v59, 0x7f800001
	v_mov_b32_e32 v60, 0
	v_cmp_ne_u32_e64 s[4:5], s53, v27
	s_and_saveexec_b64 s[44:45], s[4:5]
	s_cbranch_execz .LBB202_346
; %bb.345:                              ;   in Loop: Header=BB202_13 Depth=1
	v_mov_b32_e32 v1, v41
	v_and_b32_e32 v34, 7, v31
	v_mov_b32_e32 v2, v42
	v_mov_b32_e32 v42, v36
	;; [unrolled: 1-line block ×3, first 2 shown]
	v_lshrrev_b32_e32 v35, 3, v27
	v_cmp_gt_u32_e64 s[4:5], 8, v27
	v_ffbh_u32_e32 v27, v34
	v_min_u32_e32 v27, 32, v27
	v_subrev_u32_e32 v36, 28, v27
	v_lshlrev_b64 v[59:60], v36, v[31:32]
	v_sub_u32_e32 v27, 29, v27
	v_and_b32_e32 v36, 7, v59
	v_cndmask_b32_e64 v27, v35, v27, s[4:5]
	v_cndmask_b32_e64 v34, v34, v36, s[4:5]
	v_bfrev_b32_e32 v36, 60
	v_lshlrev_b32_e32 v34, 20, v34
	v_and_b32_sdwa v35, sext(v31), s54 dst_sel:DWORD dst_unused:UNUSED_PAD src0_sel:BYTE_0 src1_sel:DWORD
	v_lshl_add_u32 v27, v27, 23, v36
	v_or3_b32 v59, v35, v27, v34
	v_mov_b32_e32 v35, v41
	v_mov_b32_e32 v36, v42
	;; [unrolled: 1-line block ×5, first 2 shown]
.LBB202_346:                            ;   in Loop: Header=BB202_13 Depth=1
	s_or_b64 exec, exec, s[44:45]
.LBB202_347:                            ;   in Loop: Header=BB202_13 Depth=1
	s_or_b64 exec, exec, s[42:43]
.LBB202_348:                            ;   in Loop: Header=BB202_13 Depth=1
	s_or_b64 exec, exec, s[40:41]
	v_cmp_ne_u16_sdwa s[4:5], v31, v49 src0_sel:BYTE_1 src1_sel:DWORD
	s_and_saveexec_b64 s[40:41], s[4:5]
	s_cbranch_execz .LBB202_354
; %bb.349:                              ;   in Loop: Header=BB202_13 Depth=1
	v_mov_b32_e32 v29, v49
	v_cmp_ne_u16_sdwa s[4:5], v31, s52 src0_sel:BYTE_1 src1_sel:DWORD
	v_mov_b32_e32 v30, v50
	s_and_saveexec_b64 s[42:43], s[4:5]
	s_cbranch_execz .LBB202_353
; %bb.350:                              ;   in Loop: Header=BB202_13 Depth=1
	v_and_b32_sdwa v34, v31, s53 dst_sel:DWORD dst_unused:UNUSED_PAD src0_sel:BYTE_1 src1_sel:DWORD
	v_mov_b32_e32 v27, v49
	v_mov_b32_e32 v30, v28
	v_cmp_ne_u32_e64 s[4:5], s53, v34
	v_mov_b32_e32 v29, v27
	s_and_saveexec_b64 s[44:45], s[4:5]
	s_cbranch_execz .LBB202_352
; %bb.351:                              ;   in Loop: Header=BB202_13 Depth=1
	v_mov_b32_e32 v1, v47
	v_mov_b32_e32 v27, 7
	;; [unrolled: 1-line block ×4, first 2 shown]
	v_and_b32_sdwa v29, v31, v27 dst_sel:DWORD dst_unused:UNUSED_PAD src0_sel:BYTE_1 src1_sel:DWORD
	v_mov_b32_e32 v47, v37
	v_mov_b32_e32 v37, v41
	v_lshrrev_b32_e32 v27, 3, v34
	v_cmp_gt_u32_e64 s[4:5], 8, v34
	v_ffbh_u32_e32 v34, v29
	v_mov_b32_e32 v38, v42
	v_mov_b32_e32 v42, v36
	;; [unrolled: 1-line block ×3, first 2 shown]
	v_min_u32_e32 v36, 32, v34
	v_mov_b32_e32 v30, v49
	v_subrev_u32_e32 v34, 28, v36
	v_lshlrev_b64 v[34:35], v34, v[29:30]
	v_sub_u32_e32 v30, 29, v36
	v_mov_b32_e32 v35, v41
	v_mov_b32_e32 v36, v42
	v_mov_b32_e32 v42, v38
	v_and_b32_e32 v34, 7, v34
	v_cndmask_b32_e64 v27, v27, v30, s[4:5]
	v_lshlrev_b32_e32 v30, 16, v31
	v_bfrev_b32_e32 v31, 60
	v_mov_b32_e32 v41, v37
	v_mov_b32_e32 v37, v47
	v_cndmask_b32_e64 v29, v29, v34, s[4:5]
	v_lshl_add_u32 v27, v27, 23, v31
	v_mov_b32_e32 v38, v48
	v_mov_b32_e32 v48, v2
	v_and_or_b32 v27, v30, s54, v27
	v_lshlrev_b32_e32 v29, 20, v29
	v_mov_b32_e32 v47, v1
	v_or_b32_e32 v30, v27, v29
	v_mov_b32_e32 v29, v49
.LBB202_352:                            ;   in Loop: Header=BB202_13 Depth=1
	s_or_b64 exec, exec, s[44:45]
.LBB202_353:                            ;   in Loop: Header=BB202_13 Depth=1
	s_or_b64 exec, exec, s[42:43]
.LBB202_354:                            ;   in Loop: Header=BB202_13 Depth=1
	s_or_b64 exec, exec, s[40:41]
	v_or_b32_e32 v27, v37, v39
	v_or_b32_e32 v35, v35, v41
	v_mul_f32_e32 v27, s55, v27
	v_mul_f32_e32 v35, s55, v35
	;; [unrolled: 1-line block ×3, first 2 shown]
	v_or_b32_e32 v34, v36, v42
	v_fmac_f32_e32 v27, v43, v35
	buffer_load_dword v1, off, s[56:59], 0 offset:12 ; 4-byte Folded Reload
	buffer_load_dword v2, off, s[56:59], 0 offset:16 ; 4-byte Folded Reload
	;; [unrolled: 1-line block ×4, first 2 shown]
	v_or_b32_e32 v31, v38, v40
	v_mul_f32_e32 v31, s55, v31
	v_mul_f32_e32 v34, s55, v34
	;; [unrolled: 1-line block ×3, first 2 shown]
	v_fmac_f32_e32 v31, v44, v34
	v_or_b32_e32 v16, v18, v16
	v_or_b32_e32 v18, v6, v4
	v_or_b32_e32 v26, v26, v58
	v_or_b32_e32 v25, v25, v57
	v_or_b32_e32 v20, v56, v20
	v_or_b32_e32 v19, v55, v19
	v_or_b32_e32 v22, v22, v62
	v_or_b32_e32 v24, v52, v24
	v_or_b32_e32 v23, v51, v23
	v_or_b32_e32 v21, v21, v61
	v_or_b32_e32 v15, v17, v15
	v_or_b32_e32 v12, v14, v12
	v_or_b32_e32 v14, v10, v8
	v_or_b32_e32 v17, v9, v7
	v_mul_f32_e32 v7, s55, v20
	v_mul_f32_e32 v8, s55, v19
	v_or_b32_e32 v13, v13, v11
	v_mul_f32_e32 v11, s55, v12
	v_mul_f32_e32 v12, s55, v13
	;; [unrolled: 1-line block ×7, first 2 shown]
	v_or_b32_e32 v30, v30, v60
	v_or_b32_e32 v29, v29, v59
	v_mul_f32_e32 v15, s55, v30
	v_mul_f32_e32 v18, s55, v29
	s_waitcnt vmcnt(1)
	v_or_b32_e32 v35, v35, v1
	s_waitcnt vmcnt(0)
	v_or_b32_e32 v34, v36, v2
	buffer_load_dword v1, off, s[56:59], 0 offset:4 ; 4-byte Folded Reload
	buffer_load_dword v2, off, s[56:59], 0 offset:8 ; 4-byte Folded Reload
	;; [unrolled: 1-line block ×6, first 2 shown]
	v_mul_f32_e32 v35, s55, v35
	v_mul_f32_e32 v34, s55, v34
	s_waitcnt vmcnt(5)
	v_or_b32_e32 v37, v1, v47
	s_waitcnt vmcnt(4)
	v_or_b32_e32 v36, v2, v48
	v_mul_f32_e32 v37, s55, v37
	s_waitcnt vmcnt(3)
	v_fmac_f32_e32 v27, v38, v37
	v_mul_f32_e32 v36, s55, v36
	s_waitcnt vmcnt(2)
	v_fmac_f32_e32 v31, v39, v36
	s_waitcnt vmcnt(1)
	v_fmac_f32_e32 v27, v40, v35
	buffer_load_dword v1, off, s[56:59], 0 offset:44 ; 4-byte Folded Reload
	buffer_load_dword v2, off, s[56:59], 0 offset:48 ; 4-byte Folded Reload
	buffer_load_dword v35, off, s[56:59], 0 offset:52 ; 4-byte Folded Reload
	buffer_load_dword v36, off, s[56:59], 0 offset:56 ; 4-byte Folded Reload
	s_waitcnt vmcnt(4)
	v_fmac_f32_e32 v31, v41, v34
	s_waitcnt vmcnt(1)
	v_or_b32_e32 v35, v35, v1
	s_waitcnt vmcnt(0)
	v_or_b32_e32 v34, v36, v2
	buffer_load_dword v1, off, s[56:59], 0 offset:28 ; 4-byte Folded Reload
	buffer_load_dword v2, off, s[56:59], 0 offset:32 ; 4-byte Folded Reload
	buffer_load_dword v37, off, s[56:59], 0 offset:36 ; 4-byte Folded Reload
	buffer_load_dword v38, off, s[56:59], 0 offset:40 ; 4-byte Folded Reload
	v_mul_f32_e32 v35, s55, v35
	v_mul_f32_e32 v34, s55, v34
	s_waitcnt vmcnt(1)
	v_or_b32_e32 v37, v37, v1
	s_waitcnt vmcnt(0)
	v_or_b32_e32 v36, v38, v2
	buffer_load_dword v38, off, s[56:59], 0 offset:432 ; 4-byte Folded Reload
	buffer_load_dword v39, off, s[56:59], 0 offset:436 ; 4-byte Folded Reload
	buffer_load_dword v40, off, s[56:59], 0 offset:440 ; 4-byte Folded Reload
	buffer_load_dword v41, off, s[56:59], 0 offset:444 ; 4-byte Folded Reload
	v_mul_f32_e32 v37, s55, v37
	v_mul_f32_e32 v36, s55, v36
	s_waitcnt vmcnt(3)
	v_fmac_f32_e32 v27, v38, v37
	s_waitcnt vmcnt(2)
	v_fmac_f32_e32 v31, v39, v36
	s_waitcnt vmcnt(1)
	v_fmac_f32_e32 v27, v40, v35
	buffer_load_dword v1, off, s[56:59], 0 offset:76 ; 4-byte Folded Reload
	buffer_load_dword v2, off, s[56:59], 0 offset:80 ; 4-byte Folded Reload
	buffer_load_dword v35, off, s[56:59], 0 offset:84 ; 4-byte Folded Reload
	buffer_load_dword v36, off, s[56:59], 0 offset:88 ; 4-byte Folded Reload
	s_waitcnt vmcnt(4)
	v_fmac_f32_e32 v31, v41, v34
	s_waitcnt vmcnt(1)
	v_or_b32_e32 v35, v35, v1
	s_waitcnt vmcnt(0)
	v_or_b32_e32 v34, v36, v2
	buffer_load_dword v1, off, s[56:59], 0 offset:60 ; 4-byte Folded Reload
	buffer_load_dword v2, off, s[56:59], 0 offset:64 ; 4-byte Folded Reload
	buffer_load_dword v37, off, s[56:59], 0 offset:68 ; 4-byte Folded Reload
	buffer_load_dword v38, off, s[56:59], 0 offset:72 ; 4-byte Folded Reload
	v_mul_f32_e32 v35, s55, v35
	v_mul_f32_e32 v34, s55, v34
	s_waitcnt vmcnt(1)
	v_or_b32_e32 v37, v37, v1
	s_waitcnt vmcnt(0)
	v_or_b32_e32 v36, v38, v2
	buffer_load_dword v38, off, s[56:59], 0 offset:384 ; 4-byte Folded Reload
	buffer_load_dword v39, off, s[56:59], 0 offset:388 ; 4-byte Folded Reload
	buffer_load_dword v40, off, s[56:59], 0 offset:392 ; 4-byte Folded Reload
	buffer_load_dword v41, off, s[56:59], 0 offset:396 ; 4-byte Folded Reload
	v_mul_f32_e32 v37, s55, v37
	v_mul_f32_e32 v36, s55, v36
	s_waitcnt vmcnt(3)
	v_fmac_f32_e32 v27, v38, v37
	;; [unrolled: 32-line block ×4, first 2 shown]
	s_waitcnt vmcnt(2)
	v_fmac_f32_e32 v31, v39, v36
	s_waitcnt vmcnt(1)
	v_fmac_f32_e32 v27, v40, v35
	;; [unrolled: 2-line block ×3, first 2 shown]
	v_or_b32_e32 v34, v5, v3
	buffer_load_dword v1, off, s[56:59], 0 offset:448 ; 4-byte Folded Reload
	buffer_load_dword v2, off, s[56:59], 0 offset:452 ; 4-byte Folded Reload
	;; [unrolled: 1-line block ×4, first 2 shown]
	v_mul_f32_e32 v19, s55, v34
	s_waitcnt vmcnt(1)
	v_or_b32_e32 v36, v3, v1
	s_waitcnt vmcnt(0)
	v_or_b32_e32 v35, v4, v2
	buffer_load_dword v1, off, s[56:59], 0 offset:236 ; 4-byte Folded Reload
	buffer_load_dword v2, off, s[56:59], 0 offset:240 ; 4-byte Folded Reload
	buffer_load_dword v3, off, s[56:59], 0 offset:244 ; 4-byte Folded Reload
	buffer_load_dword v4, off, s[56:59], 0 offset:248 ; 4-byte Folded Reload
	v_mul_f32_e32 v20, s55, v35
	s_waitcnt vmcnt(1)
	v_or_b32_e32 v38, v3, v1
	s_waitcnt vmcnt(0)
	v_or_b32_e32 v37, v4, v2
	buffer_load_dword v1, off, s[56:59], 0 offset:220 ; 4-byte Folded Reload
	buffer_load_dword v2, off, s[56:59], 0 offset:224 ; 4-byte Folded Reload
	buffer_load_dword v3, off, s[56:59], 0 offset:228 ; 4-byte Folded Reload
	buffer_load_dword v4, off, s[56:59], 0 offset:232 ; 4-byte Folded Reload
	s_waitcnt vmcnt(1)
	v_or_b32_e32 v39, v3, v1
	s_waitcnt vmcnt(0)
	v_or_b32_e32 v40, v4, v2
	buffer_load_dword v1, off, s[56:59], 0 offset:204 ; 4-byte Folded Reload
	buffer_load_dword v2, off, s[56:59], 0 offset:208 ; 4-byte Folded Reload
	buffer_load_dword v3, off, s[56:59], 0 offset:212 ; 4-byte Folded Reload
	buffer_load_dword v4, off, s[56:59], 0 offset:216 ; 4-byte Folded Reload
	;; [unrolled: 8-line block ×3, first 2 shown]
	v_mul_f32_e32 v34, s55, v42
	s_waitcnt vmcnt(1)
	v_or_b32_e32 v44, v3, v1
	s_waitcnt vmcnt(0)
	v_or_b32_e32 v43, v4, v2
	buffer_load_dword v1, off, s[56:59], 0 offset:172 ; 4-byte Folded Reload
	buffer_load_dword v2, off, s[56:59], 0 offset:176 ; 4-byte Folded Reload
	;; [unrolled: 1-line block ×4, first 2 shown]
	v_mul_f32_e32 v35, s55, v43
	s_waitcnt vmcnt(1)
	v_or_b32_e32 v1, v3, v1
	s_waitcnt vmcnt(0)
	v_or_b32_e32 v45, v4, v2
	buffer_load_dword v3, off, s[56:59], 0 offset:156 ; 4-byte Folded Reload
	buffer_load_dword v4, off, s[56:59], 0 offset:160 ; 4-byte Folded Reload
	;; [unrolled: 1-line block ×9, first 2 shown]
	v_mul_f32_e32 v1, s55, v1
	s_waitcnt vmcnt(6)
	v_or_b32_e32 v3, v5, v3
	s_waitcnt vmcnt(5)
	v_or_b32_e32 v2, v6, v4
	s_waitcnt vmcnt(4)
	v_and_b32_e32 v4, 64, v47
	v_mul_f32_e32 v2, s55, v2
	v_add_u32_e32 v4, 64, v4
	v_xor_b32_e32 v46, 1, v47
	v_mul_f32_e32 v3, s55, v3
	s_waitcnt vmcnt(2)
	v_fmac_f32_e32 v31, v56, v2
	v_mul_f32_e32 v5, s55, v22
	v_mul_f32_e32 v22, s55, v37
	;; [unrolled: 1-line block ×3, first 2 shown]
	v_cmp_lt_i32_e64 s[4:5], v46, v4
	v_fmac_f32_e32 v27, v55, v3
	v_mul_f32_e32 v2, s55, v25
	v_mul_f32_e32 v3, s55, v24
	;; [unrolled: 1-line block ×6, first 2 shown]
	s_waitcnt vmcnt(0)
	v_fmac_f32_e32 v31, v58, v37
	buffer_load_dword v37, off, s[56:59], 0 offset:320 ; 4-byte Folded Reload
	buffer_load_dword v38, off, s[56:59], 0 offset:324 ; 4-byte Folded Reload
	;; [unrolled: 1-line block ×4, first 2 shown]
	v_fmac_f32_e32 v27, v57, v1
	v_mul_f32_e32 v6, s55, v21
	v_mul_f32_e32 v21, s55, v36
	;; [unrolled: 1-line block ×5, first 2 shown]
	v_cndmask_b32_e64 v16, v47, v46, s[4:5]
	v_lshlrev_b32_e32 v16, 2, v16
	s_waitcnt vmcnt(3)
	v_fmac_f32_e32 v27, v37, v36
	s_waitcnt vmcnt(2)
	v_fmac_f32_e32 v31, v38, v35
	;; [unrolled: 2-line block ×3, first 2 shown]
	buffer_load_dword v34, off, s[56:59], 0 offset:304 ; 4-byte Folded Reload
	buffer_load_dword v35, off, s[56:59], 0 offset:308 ; 4-byte Folded Reload
	;; [unrolled: 1-line block ×4, first 2 shown]
	s_waitcnt vmcnt(4)
	v_fmac_f32_e32 v31, v40, v26
	s_waitcnt vmcnt(3)
	v_fmac_f32_e32 v27, v34, v25
	;; [unrolled: 2-line block ×5, first 2 shown]
	buffer_load_dword v22, off, s[56:59], 0 offset:272 ; 4-byte Folded Reload
	buffer_load_dword v23, off, s[56:59], 0 offset:276 ; 4-byte Folded Reload
	;; [unrolled: 1-line block ×4, first 2 shown]
	s_waitcnt vmcnt(3)
	v_fmac_f32_e32 v27, v22, v21
	s_waitcnt vmcnt(2)
	v_fmac_f32_e32 v31, v23, v20
	;; [unrolled: 2-line block ×3, first 2 shown]
	buffer_load_dword v19, off, s[56:59], 0 offset:336 ; 4-byte Folded Reload
	buffer_load_dword v20, off, s[56:59], 0 offset:340 ; 4-byte Folded Reload
	;; [unrolled: 1-line block ×4, first 2 shown]
	s_waitcnt vmcnt(4)
	v_fmac_f32_e32 v31, v25, v17
	s_waitcnt vmcnt(3)
	v_fmac_f32_e32 v27, v19, v14
	s_waitcnt vmcnt(2)
	v_fmac_f32_e32 v31, v20, v13
	s_waitcnt vmcnt(1)
	v_fmac_f32_e32 v27, v21, v12
	s_waitcnt vmcnt(0)
	v_fmac_f32_e32 v31, v22, v11
	buffer_load_dword v11, off, s[56:59], 0 offset:288 ; 4-byte Folded Reload
	buffer_load_dword v12, off, s[56:59], 0 offset:292 ; 4-byte Folded Reload
	;; [unrolled: 1-line block ×4, first 2 shown]
	s_waitcnt vmcnt(3)
	v_fmac_f32_e32 v27, v11, v10
	s_waitcnt vmcnt(2)
	v_fmac_f32_e32 v31, v12, v9
	;; [unrolled: 2-line block ×3, first 2 shown]
	ds_read2_b64 v[8:11], v32 offset0:25 offset1:26
	buffer_load_dword v12, off, s[56:59], 0 offset:264 ; 4-byte Folded Reload
	buffer_load_dword v13, off, s[56:59], 0 offset:268 ; 4-byte Folded Reload
	s_waitcnt vmcnt(2)
	v_fmac_f32_e32 v31, v14, v7
	s_waitcnt vmcnt(1)
	v_fmac_f32_e32 v27, v12, v6
	;; [unrolled: 2-line block ×3, first 2 shown]
	ds_read_b64 v[5:6], v32 offset:216
	s_waitcnt lgkmcnt(1)
	v_fmac_f32_e32 v27, v4, v8
	v_fmac_f32_e32 v31, v3, v9
	;; [unrolled: 1-line block ×4, first 2 shown]
	s_waitcnt lgkmcnt(0)
	v_fmac_f32_e32 v27, v18, v5
	v_fmac_f32_e32 v31, v15, v6
	v_add_f32_e32 v1, v27, v31
	ds_bpermute_b32 v2, v16, v1
	s_and_saveexec_b64 s[40:41], vcc
	s_cbranch_execz .LBB202_11
; %bb.355:                              ;   in Loop: Header=BB202_13 Depth=1
	buffer_load_dword v3, off, s[56:59], 0 offset:480 ; 4-byte Folded Reload
	buffer_load_dword v4, off, s[56:59], 0 offset:476 ; 4-byte Folded Reload
	s_waitcnt lgkmcnt(0)
	v_add_f32_e32 v1, v1, v2
	s_waitcnt vmcnt(1)
	v_add_u32_e32 v3, v3, v0
	v_cvt_f32_i32_e32 v3, v3
	v_mul_f32_e32 v2, s48, v3
	buffer_load_dword v3, off, s[56:59], 0 offset:460 ; 4-byte Folded Reload
	s_waitcnt vmcnt(1)
	v_add_u32_e32 v4, v4, v0
	v_cndmask_b32_e64 v2, 0, v2, s[2:3]
	v_fmac_f32_e32 v2, s37, v1
	v_cmp_gt_i32_e64 s[4:5], s33, v4
	v_cndmask_b32_e64 v1, 0, v2, s[4:5]
	ds_write_b32 v63, v1
	s_waitcnt vmcnt(0)
	v_max_f32_e32 v1, v3, v3
	v_max_f32_e32 v1, v1, v2
	v_cndmask_b32_e64 v3, v3, v1, s[4:5]
	buffer_store_dword v3, off, s[56:59], 0 offset:460 ; 4-byte Folded Spill
	s_branch .LBB202_11
.LBB202_356:
	s_or_b64 exec, exec, s[38:39]
	buffer_load_dword v11, off, s[56:59], 0 offset:488 ; 4-byte Folded Reload
	buffer_load_dword v12, off, s[56:59], 0 offset:492 ; 4-byte Folded Reload
	;; [unrolled: 1-line block ×3, first 2 shown]
	v_mbcnt_lo_u32_b32 v5, -1, 0
.LBB202_357:
	s_or_b64 exec, exec, s[18:19]
	v_mbcnt_hi_u32_b32 v0, -1, v5
	v_and_b32_e32 v6, 64, v0
	v_add_u32_e32 v7, 64, v6
	v_xor_b32_e32 v1, 32, v0
	v_cmp_lt_i32_e32 vcc, v1, v7
	v_cndmask_b32_e32 v1, v0, v1, vcc
	v_lshlrev_b32_e32 v1, 2, v1
	s_waitcnt vmcnt(0) lgkmcnt(0)
	ds_bpermute_b32 v2, v1, v3
	v_xor_b32_e32 v4, 16, v0
	v_max_f32_e32 v3, v3, v3
	v_cmp_lt_i32_e32 vcc, v4, v7
	v_xor_b32_e32 v5, 8, v0
	s_waitcnt lgkmcnt(0)
	v_max_f32_e32 v2, v2, v2
	v_max_f32_e32 v3, v3, v2
	v_cndmask_b32_e32 v2, v0, v4, vcc
	v_lshlrev_b32_e32 v2, 2, v2
	ds_bpermute_b32 v4, v2, v3
	v_cmp_lt_i32_e32 vcc, v5, v7
	v_xor_b32_e32 v8, 4, v0
	s_waitcnt lgkmcnt(0)
	v_max_f32_e32 v4, v4, v4
	v_max_f32_e32 v4, v3, v4
	v_cndmask_b32_e32 v3, v0, v5, vcc
	v_lshlrev_b32_e32 v3, 2, v3
	ds_bpermute_b32 v5, v3, v4
	v_cmp_lt_i32_e32 vcc, v8, v7
	s_waitcnt lgkmcnt(0)
	v_max_f32_e32 v5, v5, v5
	v_max_f32_e32 v4, v4, v5
	v_cndmask_b32_e32 v5, v0, v8, vcc
	v_lshlrev_b32_e32 v15, 2, v5
	ds_bpermute_b32 v5, v15, v4
	v_xor_b32_e32 v8, 2, v0
	v_cmp_lt_i32_e32 vcc, v8, v7
	s_waitcnt lgkmcnt(0)
	v_max_f32_e32 v5, v5, v5
	v_max_f32_e32 v5, v4, v5
	v_cndmask_b32_e32 v4, v0, v8, vcc
	v_lshlrev_b32_e32 v18, 2, v4
	buffer_load_dword v4, off, s[56:59], 0 offset:456 ; 4-byte Folded Reload
	ds_bpermute_b32 v8, v18, v5
	s_waitcnt vmcnt(0)
	v_and_b32_e32 v19, 63, v4
	buffer_load_dword v4, off, s[56:59], 0  ; 4-byte Folded Reload
	v_cmp_eq_u32_e32 vcc, 0, v19
	s_waitcnt vmcnt(0)
	v_lshlrev_b32_e32 v4, 2, v4
	s_and_saveexec_b64 s[2:3], vcc
	s_cbranch_execz .LBB202_359
; %bb.358:
	s_waitcnt lgkmcnt(0)
	v_max_f32_e32 v8, v8, v8
	v_max_f32_e32 v5, v5, v5
	v_max_f32_e32 v5, v5, v8
	ds_write_b32 v4, v5 offset:448
.LBB202_359:
	s_or_b64 exec, exec, s[2:3]
	v_cmp_gt_u32_e64 s[2:3], 2, v19
	s_waitcnt lgkmcnt(0)
	v_mov_b32_e32 v8, 0xff7fffff
	v_lshlrev_b32_e32 v5, 2, v19
	s_barrier
	s_and_saveexec_b64 s[4:5], s[2:3]
; %bb.360:
	ds_read_b32 v8, v5 offset:448
; %bb.361:
	s_or_b64 exec, exec, s[4:5]
	v_xor_b32_e32 v9, 1, v0
	v_cmp_lt_i32_e64 s[4:5], v9, v7
	v_cndmask_b32_e64 v7, v0, v9, s[4:5]
	v_lshlrev_b32_e32 v20, 2, v7
	s_waitcnt lgkmcnt(0)
	ds_bpermute_b32 v7, v20, v8
	v_max_f32_e32 v8, v8, v8
	v_lshlrev_b32_e32 v6, 2, v6
	s_lshl_b32 s4, s20, 5
	s_min_i32 s37, s4, s33
	s_waitcnt lgkmcnt(0)
	v_max_f32_e32 v7, v7, v7
	v_max_f32_e32 v7, v8, v7
	ds_bpermute_b32 v7, v6, v7
	buffer_load_dword v6, off, s[56:59], 0 offset:456 ; 4-byte Folded Reload
	s_waitcnt vmcnt(0)
	v_cmp_gt_i32_e64 s[4:5], s37, v6
	v_mov_b32_e32 v6, 0
	s_and_saveexec_b64 s[12:13], s[4:5]
	s_cbranch_execz .LBB202_365
; %bb.362:
	buffer_load_dword v9, off, s[56:59], 0 offset:456 ; 4-byte Folded Reload
	v_mov_b32_e32 v6, 0x1d0
	s_mov_b64 s[18:19], 0
	s_waitcnt vmcnt(0)
	v_lshl_add_u32 v8, v9, 2, v6
	v_mov_b32_e32 v6, 0
.LBB202_363:                            ; =>This Inner Loop Header: Depth=1
	ds_read_b32 v10, v8
	v_add_u32_e32 v9, 0x80, v9
	v_cmp_le_i32_e64 s[6:7], s37, v9
	s_or_b64 s[18:19], s[6:7], s[18:19]
	s_waitcnt lgkmcnt(0)
	v_sub_f32_e32 v10, v10, v7
	v_mul_f32_e32 v10, 0x3fb8aa3b, v10
	v_exp_f32_e32 v10, v10
	ds_write_b32 v8, v10
	v_add_f32_e32 v6, v6, v10
	v_add_u32_e32 v8, 0x200, v8
	s_andn2_b64 exec, exec, s[18:19]
	s_cbranch_execnz .LBB202_363
; %bb.364:
	s_or_b64 exec, exec, s[18:19]
.LBB202_365:
	s_or_b64 exec, exec, s[12:13]
	ds_bpermute_b32 v1, v1, v6
	s_waitcnt lgkmcnt(0)
	v_add_f32_e32 v1, v6, v1
	ds_bpermute_b32 v2, v2, v1
	s_waitcnt lgkmcnt(0)
	v_add_f32_e32 v1, v1, v2
	;; [unrolled: 3-line block ×6, first 2 shown]
	s_and_saveexec_b64 s[6:7], vcc
; %bb.366:
	ds_write_b32 v4, v1 offset:456
; %bb.367:
	s_or_b64 exec, exec, s[6:7]
	s_waitcnt lgkmcnt(0)
	s_barrier
	s_and_saveexec_b64 s[6:7], s[2:3]
; %bb.368:
	ds_read_b32 v1, v5 offset:456
; %bb.369:
	s_or_b64 exec, exec, s[6:7]
	s_waitcnt lgkmcnt(0)
	ds_bpermute_b32 v2, v20, v1
	v_lshlrev_b32_e32 v0, 2, v0
	v_and_b32_e32 v0, 0x100, v0
	s_waitcnt lgkmcnt(0)
	v_add_f32_e32 v1, v1, v2
	ds_bpermute_b32 v0, v0, v1
	s_and_saveexec_b64 s[2:3], s[4:5]
	s_cbranch_execz .LBB202_372
; %bb.370:
	s_waitcnt lgkmcnt(0)
	v_add_f32_e32 v1, 0x358637bd, v0
	v_div_scale_f32 v0, s[4:5], v1, v1, 1.0
	v_div_scale_f32 v2, vcc, 1.0, v1, 1.0
	s_mov_b64 s[4:5], 0
	v_rcp_f32_e32 v3, v0
	v_fma_f32 v4, -v0, v3, 1.0
	v_fmac_f32_e32 v3, v4, v3
	v_mul_f32_e32 v4, v2, v3
	v_fma_f32 v5, -v0, v4, v2
	v_fmac_f32_e32 v4, v5, v3
	v_fma_f32 v0, -v0, v4, v2
	v_div_fmas_f32 v2, v0, v3, v4
	buffer_load_dword v3, off, s[56:59], 0 offset:456 ; 4-byte Folded Reload
	v_mov_b32_e32 v0, 0x1d0
	v_div_fixup_f32 v1, v2, v1, 1.0
	s_waitcnt vmcnt(0)
	v_lshl_add_u32 v0, v3, 2, v0
	v_mov_b32_e32 v2, v3
.LBB202_371:                            ; =>This Inner Loop Header: Depth=1
	ds_read_b32 v3, v0
	v_add_u32_e32 v2, 0x80, v2
	v_cmp_le_i32_e32 vcc, s37, v2
	s_or_b64 s[4:5], vcc, s[4:5]
	s_waitcnt lgkmcnt(0)
	v_mul_f32_e32 v3, v1, v3
	ds_write_b32 v0, v3
	v_add_u32_e32 v0, 0x200, v0
	s_andn2_b64 exec, exec, s[4:5]
	s_cbranch_execnz .LBB202_371
.LBB202_372:
	s_or_b64 exec, exec, s[2:3]
	s_waitcnt lgkmcnt(0)
	s_barrier
	buffer_load_dword v0, off, s[56:59], 0 offset:456 ; 4-byte Folded Reload
	v_mov_b32_e32 v4, 0
	v_mov_b32_e32 v6, 0
	;; [unrolled: 1-line block ×14, first 2 shown]
	s_waitcnt vmcnt(0)
	v_and_b32_e32 v21, 7, v0
	s_and_saveexec_b64 s[2:3], s[0:1]
	s_cbranch_execz .LBB202_742
; %bb.373:
	s_sub_i32 s21, s16, s21
	s_ashr_i32 s0, s47, 31
	s_add_u32 s4, s34, s47
	v_and_b32_e32 v1, 28, v11
	buffer_store_dword v20, off, s[56:59], 0 offset:320 ; 4-byte Folded Spill
	buffer_store_dword v18, off, s[56:59], 0 offset:304 ; 4-byte Folded Spill
	;; [unrolled: 1-line block ×4, first 2 shown]
	s_addc_u32 s5, s35, s0
	buffer_store_dword v1, off, s[56:59], 0 offset:260 ; 4-byte Folded Spill
	v_and_b32_e32 v1, 0xfc, v11
	v_mov_b32_e32 v4, s5
	v_add_co_u32_e32 v6, vcc, s4, v1
	v_addc_co_u32_e32 v7, vcc, 0, v4, vcc
	buffer_store_dword v6, off, s[56:59], 0 offset:264 ; 4-byte Folded Spill
	s_nop 0
	buffer_store_dword v7, off, s[56:59], 0 offset:268 ; 4-byte Folded Spill
	buffer_load_dword v1, off, s[56:59], 0  ; 4-byte Folded Reload
	s_abs_i32 s22, s22
	v_cvt_f32_u32_e32 v0, s22
	s_sub_i32 s0, 0, s22
	s_add_i32 s35, s20, -1
	v_and_b32_e32 v2, 60, v12
	v_rcp_iflag_f32_e32 v0, v0
	v_mov_b32_e32 v5, 0
	buffer_store_dword v21, off, s[56:59], 0 offset:336 ; 4-byte Folded Spill
	s_mov_b32 s34, s17
	v_mul_f32_e32 v0, 0x4f7ffffe, v0
	v_cvt_u32_f32_e32 v0, v0
	s_mov_b64 s[4:5], 0
	v_bfrev_b32_e32 v27, 60
	v_bfrev_b32_e32 v6, 1
	v_mul_lo_u32 v3, s0, v0
	s_lshl_b64 s[0:1], s[30:31], 2
	s_add_u32 s0, s28, s0
	s_addc_u32 s1, s29, s1
	v_mul_hi_u32 v3, v0, v3
	v_add_co_u32_e32 v9, vcc, s0, v2
	s_movk_i32 s28, 0x80
	v_add_u32_e32 v0, v0, v3
	buffer_store_dword v0, off, s[56:59], 0 offset:252 ; 4-byte Folded Spill
	v_mov_b32_e32 v0, s1
	v_addc_co_u32_e32 v10, vcc, 0, v0, vcc
	v_lshlrev_b32_e32 v0, 4, v21
	s_movk_i32 s29, 0x7f
	s_brev_b32 s30, 1
	s_mov_b32 s31, 0xffffff
	v_mov_b32_e32 v12, 0x7f800001
	v_mov_b32_e32 v24, 7
	s_waitcnt vmcnt(2)
	v_lshl_or_b32 v0, v1, 7, v0
	v_add_u32_e32 v44, 0x1d0, v0
	v_mov_b32_e32 v0, v5
	buffer_store_dword v0, off, s[56:59], 0 offset:140 ; 4-byte Folded Spill
	buffer_store_dword v0, off, s[56:59], 0 offset:148 ; 4-byte Folded Spill
	;; [unrolled: 1-line block ×14, first 2 shown]
	buffer_load_dword v3, off, s[56:59], 0 offset:484 ; 4-byte Folded Reload
	s_branch .LBB202_376
.LBB202_374:                            ;   in Loop: Header=BB202_376 Depth=1
	s_or_b64 exec, exec, s[0:1]
	buffer_load_dword v8, off, s[56:59], 0 offset:148 ; 4-byte Folded Reload
	v_mul_f32_e32 v7, v1, v63
	v_fmac_f32_e32 v7, v2, v62
	v_fmac_f32_e32 v7, v3, v23
	v_fmac_f32_e32 v7, v4, v22
	v_mul_f32_e32 v0, v1, v0
	s_waitcnt vmcnt(0)
	v_add_f32_e32 v8, v8, v7
	buffer_store_dword v8, off, s[56:59], 0 offset:148 ; 4-byte Folded Spill
	buffer_load_dword v8, off, s[56:59], 0 offset:156 ; 4-byte Folded Reload
	v_mul_f32_e32 v7, v1, v61
	v_fmac_f32_e32 v7, v2, v58
	v_fmac_f32_e32 v7, v3, v60
	v_fmac_f32_e32 v7, v4, v59
	s_waitcnt vmcnt(0)
	v_add_f32_e32 v8, v8, v7
	buffer_store_dword v8, off, s[56:59], 0 offset:156 ; 4-byte Folded Spill
	buffer_load_dword v8, off, s[56:59], 0 offset:164 ; 4-byte Folded Reload
	v_mul_f32_e32 v7, v1, v57
	v_fmac_f32_e32 v7, v2, v51
	v_fmac_f32_e32 v7, v3, v56
	v_fmac_f32_e32 v7, v4, v45
	;; [unrolled: 8-line block ×7, first 2 shown]
	s_waitcnt vmcnt(0)
	v_add_f32_e32 v8, v8, v7
	buffer_load_dword v7, off, s[56:59], 0 offset:132 ; 4-byte Folded Reload
	s_waitcnt vmcnt(0)
	v_fmac_f32_e32 v0, v2, v7
	buffer_load_dword v7, off, s[56:59], 0 offset:212 ; 4-byte Folded Reload
	v_fmac_f32_e32 v0, v3, v46
	v_fmac_f32_e32 v0, v4, v47
	buffer_store_dword v8, off, s[56:59], 0 offset:204 ; 4-byte Folded Spill
	s_waitcnt vmcnt(1)
	v_add_f32_e32 v7, v7, v0
	buffer_load_dword v0, off, s[56:59], 0 offset:124 ; 4-byte Folded Reload
	s_nop 0
	buffer_store_dword v7, off, s[56:59], 0 offset:212 ; 4-byte Folded Spill
	buffer_load_dword v7, off, s[56:59], 0 offset:100 ; 4-byte Folded Reload
	s_waitcnt vmcnt(2)
	v_mul_f32_e32 v0, v1, v0
	s_waitcnt vmcnt(0)
	v_fmac_f32_e32 v0, v2, v7
	buffer_load_dword v7, off, s[56:59], 0 offset:116 ; 4-byte Folded Reload
	s_waitcnt vmcnt(0)
	v_fmac_f32_e32 v0, v3, v7
	buffer_load_dword v7, off, s[56:59], 0 offset:108 ; 4-byte Folded Reload
	s_waitcnt vmcnt(0)
	v_fmac_f32_e32 v0, v4, v7
	buffer_load_dword v7, off, s[56:59], 0 offset:220 ; 4-byte Folded Reload
	s_waitcnt vmcnt(0)
	v_add_f32_e32 v7, v7, v0
	buffer_load_dword v0, off, s[56:59], 0 offset:92 ; 4-byte Folded Reload
	s_nop 0
	buffer_store_dword v7, off, s[56:59], 0 offset:220 ; 4-byte Folded Spill
	buffer_load_dword v7, off, s[56:59], 0 offset:68 ; 4-byte Folded Reload
	s_waitcnt vmcnt(2)
	v_mul_f32_e32 v0, v1, v0
	s_waitcnt vmcnt(0)
	v_fmac_f32_e32 v0, v2, v7
	buffer_load_dword v7, off, s[56:59], 0 offset:84 ; 4-byte Folded Reload
	s_waitcnt vmcnt(0)
	v_fmac_f32_e32 v0, v3, v7
	buffer_load_dword v7, off, s[56:59], 0 offset:76 ; 4-byte Folded Reload
	s_waitcnt vmcnt(0)
	v_fmac_f32_e32 v0, v4, v7
	buffer_load_dword v7, off, s[56:59], 0 offset:228 ; 4-byte Folded Reload
	;; [unrolled: 17-line block ×4, first 2 shown]
	s_waitcnt vmcnt(0)
	v_add_f32_e32 v7, v7, v0
	v_mul_f32_e32 v0, v1, v15
	buffer_load_dword v1, off, s[56:59], 0 offset:140 ; 4-byte Folded Reload
	v_fmac_f32_e32 v0, v2, v11
	v_fmac_f32_e32 v0, v3, v14
	;; [unrolled: 1-line block ×3, first 2 shown]
	buffer_store_dword v7, off, s[56:59], 0 offset:236 ; 4-byte Folded Spill
	s_waitcnt vmcnt(1)
	v_add_f32_e32 v1, v1, v0
	buffer_store_dword v1, off, s[56:59], 0 offset:140 ; 4-byte Folded Spill
.LBB202_375:                            ;   in Loop: Header=BB202_376 Depth=1
	s_or_b64 exec, exec, s[6:7]
	buffer_load_dword v0, off, s[56:59], 0  ; 4-byte Folded Reload
	v_add_co_u32_e32 v9, vcc, 8, v9
	v_addc_co_u32_e32 v10, vcc, 0, v10, vcc
	v_mov_b32_e32 v3, v42
	v_add_u32_e32 v3, 64, v3
	v_add_u32_e32 v44, 0x100, v44
	s_waitcnt vmcnt(0)
	v_add_u32_e32 v0, 2, v0
	v_cmp_le_i32_e32 vcc, s20, v0
	s_or_b64 s[4:5], vcc, s[4:5]
	buffer_store_dword v0, off, s[56:59], 0 ; 4-byte Folded Spill
	s_andn2_b64 exec, exec, s[4:5]
	s_cbranch_execz .LBB202_741
.LBB202_376:                            ; =>This Inner Loop Header: Depth=1
	s_waitcnt vmcnt(0)
	v_mul_hi_u32 v0, v3, s46
	v_mov_b32_e32 v42, v3
	v_mul_lo_u32 v1, v0, s25
	v_add_u32_e32 v2, 1, v0
	v_sub_u32_e32 v1, v3, v1
	buffer_load_dword v3, off, s[56:59], 0 offset:252 ; 4-byte Folded Reload
	v_cmp_le_u32_e32 vcc, s25, v1
	v_cndmask_b32_e32 v0, v0, v2, vcc
	v_subrev_u32_e32 v2, s25, v1
	v_cndmask_b32_e32 v1, v1, v2, vcc
	v_add_u32_e32 v2, 1, v0
	v_cmp_le_u32_e32 vcc, s25, v1
	v_cndmask_b32_e32 v0, v0, v2, vcc
	v_xor_b32_e32 v0, s23, v0
	v_subrev_u32_e32 v0, s23, v0
	v_add_u32_e32 v1, s36, v0
	v_sub_u32_e32 v2, 0, v1
	v_max_i32_e32 v2, v1, v2
	v_ashrrev_i32_e32 v1, 31, v1
	v_cmp_lt_i32_e64 s[0:1], s21, v0
	s_waitcnt vmcnt(0)
	v_mul_hi_u32 v3, v2, v3
	v_mul_lo_u32 v3, v3, s22
	v_sub_u32_e32 v2, v2, v3
	v_subrev_u32_e32 v3, s22, v2
	v_cmp_le_u32_e32 vcc, s22, v2
	v_cndmask_b32_e32 v2, v2, v3, vcc
	v_subrev_u32_e32 v3, s22, v2
	v_cmp_le_u32_e32 vcc, s22, v2
	v_cndmask_b32_e32 v2, v2, v3, vcc
	v_xor_b32_e32 v2, v2, v1
	v_sub_u32_e32 v1, v2, v1
	v_cmp_eq_u32_e32 vcc, 0, v1
	s_or_b64 s[0:1], vcc, s[0:1]
	s_and_saveexec_b64 s[6:7], s[0:1]
	s_cbranch_execz .LBB202_375
; %bb.377:                              ;   in Loop: Header=BB202_376 Depth=1
	global_load_dword v0, v[9:10], off
	buffer_load_dword v1, off, s[56:59], 0 offset:264 ; 4-byte Folded Reload
	buffer_load_dword v2, off, s[56:59], 0 offset:268 ; 4-byte Folded Reload
	s_load_dword s37, s[14:15], 0x0
	v_mov_b32_e32 v18, 0
	v_mov_b32_e32 v16, 0
	;; [unrolled: 1-line block ×4, first 2 shown]
	s_waitcnt vmcnt(0)
	v_mad_i64_i32 v[13:14], s[0:1], v0, s34, v[1:2]
	ds_read_b128 v[1:4], v44
	global_load_dword v15, v[13:14], off
	s_waitcnt vmcnt(0)
	v_cmp_ne_u16_sdwa s[12:13], v15, v5 src0_sel:BYTE_0 src1_sel:DWORD
	s_and_saveexec_b64 s[0:1], s[12:13]
	s_cbranch_execz .LBB202_383
; %bb.378:                              ;   in Loop: Header=BB202_376 Depth=1
	v_bfrev_b32_e32 v16, 1
	v_mov_b32_e32 v17, 0
	v_cmp_ne_u16_sdwa s[16:17], v15, s28 src0_sel:BYTE_0 src1_sel:DWORD
	s_and_saveexec_b64 s[12:13], s[16:17]
	s_cbranch_execz .LBB202_382
; %bb.379:                              ;   in Loop: Header=BB202_376 Depth=1
	v_and_b32_e32 v0, 0x7f, v15
	v_mov_b32_e32 v16, 0x7f800001
	v_mov_b32_e32 v17, 0
	v_cmp_ne_u32_e32 vcc, s29, v0
	s_and_saveexec_b64 s[16:17], vcc
	s_cbranch_execz .LBB202_381
; %bb.380:                              ;   in Loop: Header=BB202_376 Depth=1
	v_and_b32_e32 v11, 7, v15
	v_ffbh_u32_e32 v7, v11
	v_min_u32_e32 v17, 32, v7
	v_lshrrev_b32_e32 v16, 3, v0
	v_subrev_u32_e32 v7, 28, v17
	v_lshlrev_b64 v[7:8], v7, v[15:16]
	v_sub_u32_e32 v8, 29, v17
	v_and_b32_e32 v7, 7, v7
	v_cmp_gt_u32_e32 vcc, 8, v0
	v_cndmask_b32_e32 v0, v16, v8, vcc
	v_cndmask_b32_e32 v7, v11, v7, vcc
	v_lshlrev_b32_e32 v7, 20, v7
	v_and_b32_sdwa v8, sext(v15), s30 dst_sel:DWORD dst_unused:UNUSED_PAD src0_sel:BYTE_0 src1_sel:DWORD
	v_lshl_add_u32 v0, v0, 23, v27
	v_or3_b32 v16, v8, v0, v7
	v_mov_b32_e32 v17, v5
.LBB202_381:                            ;   in Loop: Header=BB202_376 Depth=1
	s_or_b64 exec, exec, s[16:17]
.LBB202_382:                            ;   in Loop: Header=BB202_376 Depth=1
	s_or_b64 exec, exec, s[12:13]
.LBB202_383:                            ;   in Loop: Header=BB202_376 Depth=1
	s_or_b64 exec, exec, s[0:1]
	v_cmp_ne_u16_sdwa s[12:13], v15, v5 src0_sel:BYTE_1 src1_sel:DWORD
	s_and_saveexec_b64 s[0:1], s[12:13]
	s_cbranch_execz .LBB202_389
; %bb.384:                              ;   in Loop: Header=BB202_376 Depth=1
	v_mov_b32_e32 v19, v6
	v_cmp_ne_u16_sdwa s[16:17], v15, s28 src0_sel:BYTE_1 src1_sel:DWORD
	v_mov_b32_e32 v18, v5
	s_and_saveexec_b64 s[12:13], s[16:17]
	s_cbranch_execz .LBB202_388
; %bb.385:                              ;   in Loop: Header=BB202_376 Depth=1
	v_and_b32_sdwa v0, v15, s29 dst_sel:DWORD dst_unused:UNUSED_PAD src0_sel:BYTE_1 src1_sel:DWORD
	v_mov_b32_e32 v11, v5
	v_mov_b32_e32 v19, v12
	v_cmp_ne_u32_e32 vcc, s29, v0
	v_mov_b32_e32 v18, v11
	s_and_saveexec_b64 s[16:17], vcc
	s_cbranch_execz .LBB202_387
; %bb.386:                              ;   in Loop: Header=BB202_376 Depth=1
	v_and_b32_sdwa v7, v15, v24 dst_sel:DWORD dst_unused:UNUSED_PAD src0_sel:BYTE_1 src1_sel:DWORD
	v_ffbh_u32_e32 v18, v7
	v_min_u32_e32 v20, 32, v18
	v_mov_b32_e32 v8, v5
	v_subrev_u32_e32 v18, 28, v20
	v_lshlrev_b64 v[18:19], v18, v[7:8]
	v_lshrrev_b32_e32 v11, 3, v0
	v_sub_u32_e32 v8, 29, v20
	v_cmp_gt_u32_e32 vcc, 8, v0
	v_and_b32_e32 v18, 7, v18
	v_cndmask_b32_e32 v0, v11, v8, vcc
	v_cndmask_b32_e32 v7, v7, v18, vcc
	v_lshlrev_b32_e32 v8, 16, v15
	v_lshl_add_u32 v0, v0, 23, v27
	v_and_or_b32 v0, v8, s30, v0
	v_lshlrev_b32_e32 v7, 20, v7
	v_or_b32_e32 v19, v0, v7
	v_mov_b32_e32 v18, v5
.LBB202_387:                            ;   in Loop: Header=BB202_376 Depth=1
	s_or_b64 exec, exec, s[16:17]
.LBB202_388:                            ;   in Loop: Header=BB202_376 Depth=1
	s_or_b64 exec, exec, s[12:13]
.LBB202_389:                            ;   in Loop: Header=BB202_376 Depth=1
	s_or_b64 exec, exec, s[0:1]
	v_lshrrev_b32_e32 v11, 16, v15
	v_mov_b32_e32 v22, 0
	v_mov_b32_e32 v20, 0
	;; [unrolled: 1-line block ×4, first 2 shown]
	v_cmp_ne_u16_sdwa s[12:13], v11, v5 src0_sel:BYTE_0 src1_sel:DWORD
	s_and_saveexec_b64 s[0:1], s[12:13]
	s_cbranch_execz .LBB202_395
; %bb.390:                              ;   in Loop: Header=BB202_376 Depth=1
	v_bfrev_b32_e32 v20, 1
	v_mov_b32_e32 v21, 0
	v_cmp_ne_u16_sdwa s[16:17], v11, s28 src0_sel:BYTE_0 src1_sel:DWORD
	s_and_saveexec_b64 s[12:13], s[16:17]
	s_cbranch_execz .LBB202_394
; %bb.391:                              ;   in Loop: Header=BB202_376 Depth=1
	v_bfe_u32 v0, v15, 16, 7
	v_mov_b32_e32 v20, 0x7f800001
	v_mov_b32_e32 v21, 0
	v_cmp_ne_u32_e32 vcc, s29, v0
	s_and_saveexec_b64 s[16:17], vcc
	s_cbranch_execz .LBB202_393
; %bb.392:                              ;   in Loop: Header=BB202_376 Depth=1
	v_and_b32_e32 v20, 7, v11
	v_ffbh_u32_e32 v7, v20
	v_min_u32_e32 v24, 32, v7
	v_subrev_u32_e32 v7, 28, v24
	v_lshlrev_b64 v[7:8], v7, v[11:12]
	v_lshrrev_b32_e32 v21, 3, v0
	v_sub_u32_e32 v8, 29, v24
	v_and_b32_e32 v7, 7, v7
	v_cmp_gt_u32_e32 vcc, 8, v0
	v_cndmask_b32_e32 v0, v21, v8, vcc
	v_cndmask_b32_e32 v7, v20, v7, vcc
	v_lshlrev_b32_e32 v7, 20, v7
	v_and_b32_sdwa v8, sext(v11), s30 dst_sel:DWORD dst_unused:UNUSED_PAD src0_sel:BYTE_0 src1_sel:DWORD
	v_lshl_add_u32 v0, v0, 23, v27
	v_mov_b32_e32 v24, 7
	v_or3_b32 v20, v8, v0, v7
	v_mov_b32_e32 v21, v5
.LBB202_393:                            ;   in Loop: Header=BB202_376 Depth=1
	s_or_b64 exec, exec, s[16:17]
.LBB202_394:                            ;   in Loop: Header=BB202_376 Depth=1
	s_or_b64 exec, exec, s[12:13]
.LBB202_395:                            ;   in Loop: Header=BB202_376 Depth=1
	s_or_b64 exec, exec, s[0:1]
	v_cmp_lt_u32_e32 vcc, s31, v15
	s_and_saveexec_b64 s[0:1], vcc
	s_cbranch_execz .LBB202_401
; %bb.396:                              ;   in Loop: Header=BB202_376 Depth=1
	v_mov_b32_e32 v23, v6
	v_cmp_ne_u32_sdwa s[16:17], v15, s28 src0_sel:BYTE_3 src1_sel:DWORD
	v_mov_b32_e32 v22, v5
	s_and_saveexec_b64 s[12:13], s[16:17]
	s_cbranch_execz .LBB202_400
; %bb.397:                              ;   in Loop: Header=BB202_376 Depth=1
	v_bfe_u32 v0, v15, 24, 7
	v_mov_b32_e32 v11, v5
	v_mov_b32_e32 v23, v12
	v_cmp_ne_u32_e32 vcc, s29, v0
	v_mov_b32_e32 v22, v11
	s_and_saveexec_b64 s[16:17], vcc
	s_cbranch_execz .LBB202_399
; %bb.398:                              ;   in Loop: Header=BB202_376 Depth=1
	v_and_b32_sdwa v7, v15, v24 dst_sel:DWORD dst_unused:UNUSED_PAD src0_sel:BYTE_3 src1_sel:DWORD
	v_ffbh_u32_e32 v22, v7
	v_min_u32_e32 v24, 32, v22
	v_mov_b32_e32 v8, v5
	v_subrev_u32_e32 v22, 28, v24
	v_lshlrev_b64 v[22:23], v22, v[7:8]
	v_lshrrev_b32_e32 v11, 3, v0
	v_sub_u32_e32 v8, 29, v24
	v_cmp_gt_u32_e32 vcc, 8, v0
	v_and_b32_e32 v22, 7, v22
	v_cndmask_b32_e32 v0, v11, v8, vcc
	v_mov_b32_e32 v8, 24
	v_cndmask_b32_e32 v7, v7, v22, vcc
	v_lshlrev_b32_sdwa v8, v8, v15 dst_sel:DWORD dst_unused:UNUSED_PAD src0_sel:DWORD src1_sel:BYTE_3
	v_lshl_add_u32 v0, v0, 23, v27
	v_and_or_b32 v0, v8, s30, v0
	v_lshlrev_b32_e32 v7, 20, v7
	v_mov_b32_e32 v24, 7
	v_or_b32_e32 v23, v0, v7
	v_mov_b32_e32 v22, v5
.LBB202_399:                            ;   in Loop: Header=BB202_376 Depth=1
	s_or_b64 exec, exec, s[16:17]
.LBB202_400:                            ;   in Loop: Header=BB202_376 Depth=1
	s_or_b64 exec, exec, s[12:13]
.LBB202_401:                            ;   in Loop: Header=BB202_376 Depth=1
	s_or_b64 exec, exec, s[0:1]
	buffer_load_dword v0, off, s[56:59], 0 offset:260 ; 4-byte Folded Reload
	v_or_b32_e32 v7, v18, v16
	s_waitcnt vmcnt(0)
	v_add_u32_e32 v52, v0, v42
	buffer_load_dword v0, off, s[56:59], 0  ; 4-byte Folded Reload
	v_add_u32_e32 v55, 1, v52
	v_add_u32_e32 v54, 2, v52
	;; [unrolled: 1-line block ×3, first 2 shown]
	s_waitcnt vmcnt(0)
	v_cmp_eq_u32_e32 vcc, s35, v0
	v_or_b32_e32 v0, v19, v17
	s_waitcnt lgkmcnt(0)
	v_mul_f32_e32 v0, s37, v0
	buffer_store_dword v0, off, s[56:59], 0 offset:4 ; 4-byte Folded Spill
	v_mul_f32_e32 v0, s37, v7
	buffer_store_dword v0, off, s[56:59], 0 offset:28 ; 4-byte Folded Spill
	v_or_b32_e32 v0, v23, v21
	v_or_b32_e32 v7, v22, v20
	v_mul_f32_e32 v7, s37, v7
	v_mul_f32_e32 v0, s37, v0
	buffer_store_dword v7, off, s[56:59], 0 offset:20 ; 4-byte Folded Spill
	buffer_store_dword v0, off, s[56:59], 0 offset:12 ; 4-byte Folded Spill
	s_and_saveexec_b64 s[12:13], vcc
	s_cbranch_execz .LBB202_403
; %bb.402:                              ;   in Loop: Header=BB202_376 Depth=1
	buffer_load_dword v0, off, s[56:59], 0 offset:28 ; 4-byte Folded Reload
	v_cmp_gt_i32_e64 s[0:1], s33, v52
	s_waitcnt vmcnt(0)
	v_cndmask_b32_e64 v0, 0, v0, s[0:1]
	buffer_store_dword v0, off, s[56:59], 0 offset:28 ; 4-byte Folded Spill
	buffer_load_dword v0, off, s[56:59], 0 offset:4 ; 4-byte Folded Reload
	v_cmp_gt_i32_e64 s[0:1], s33, v55
	s_waitcnt vmcnt(0)
	v_cndmask_b32_e64 v0, 0, v0, s[0:1]
	buffer_store_dword v0, off, s[56:59], 0 offset:4 ; 4-byte Folded Spill
	;; [unrolled: 5-line block ×4, first 2 shown]
.LBB202_403:                            ;   in Loop: Header=BB202_376 Depth=1
	s_or_b64 exec, exec, s[12:13]
	global_load_dword v15, v[13:14], off offset:256
	v_mov_b32_e32 v18, 0
	v_mov_b32_e32 v16, 0
	;; [unrolled: 1-line block ×4, first 2 shown]
	s_waitcnt vmcnt(0)
	v_cmp_ne_u16_sdwa s[0:1], v15, v5 src0_sel:BYTE_0 src1_sel:DWORD
	s_and_saveexec_b64 s[12:13], s[0:1]
	s_cbranch_execz .LBB202_409
; %bb.404:                              ;   in Loop: Header=BB202_376 Depth=1
	v_bfrev_b32_e32 v16, 1
	v_mov_b32_e32 v17, 0
	v_cmp_ne_u16_sdwa s[0:1], v15, s28 src0_sel:BYTE_0 src1_sel:DWORD
	s_and_saveexec_b64 s[16:17], s[0:1]
	s_cbranch_execz .LBB202_408
; %bb.405:                              ;   in Loop: Header=BB202_376 Depth=1
	v_and_b32_e32 v0, 0x7f, v15
	v_mov_b32_e32 v16, 0x7f800001
	v_mov_b32_e32 v17, 0
	v_cmp_ne_u32_e64 s[0:1], s29, v0
	s_and_saveexec_b64 s[18:19], s[0:1]
	s_cbranch_execz .LBB202_407
; %bb.406:                              ;   in Loop: Header=BB202_376 Depth=1
	v_and_b32_e32 v11, 7, v15
	v_ffbh_u32_e32 v7, v11
	v_min_u32_e32 v17, 32, v7
	v_lshrrev_b32_e32 v16, 3, v0
	v_subrev_u32_e32 v7, 28, v17
	v_lshlrev_b64 v[7:8], v7, v[15:16]
	v_sub_u32_e32 v8, 29, v17
	v_and_b32_e32 v7, 7, v7
	v_cmp_gt_u32_e64 s[0:1], 8, v0
	v_cndmask_b32_e64 v0, v16, v8, s[0:1]
	v_cndmask_b32_e64 v7, v11, v7, s[0:1]
	v_lshlrev_b32_e32 v7, 20, v7
	v_and_b32_sdwa v8, sext(v15), s30 dst_sel:DWORD dst_unused:UNUSED_PAD src0_sel:BYTE_0 src1_sel:DWORD
	v_lshl_add_u32 v0, v0, 23, v27
	v_or3_b32 v16, v8, v0, v7
	v_mov_b32_e32 v17, v5
.LBB202_407:                            ;   in Loop: Header=BB202_376 Depth=1
	s_or_b64 exec, exec, s[18:19]
.LBB202_408:                            ;   in Loop: Header=BB202_376 Depth=1
	s_or_b64 exec, exec, s[16:17]
.LBB202_409:                            ;   in Loop: Header=BB202_376 Depth=1
	s_or_b64 exec, exec, s[12:13]
	v_cmp_ne_u16_sdwa s[0:1], v15, v5 src0_sel:BYTE_1 src1_sel:DWORD
	s_and_saveexec_b64 s[12:13], s[0:1]
	s_cbranch_execz .LBB202_415
; %bb.410:                              ;   in Loop: Header=BB202_376 Depth=1
	v_mov_b32_e32 v19, v6
	v_cmp_ne_u16_sdwa s[0:1], v15, s28 src0_sel:BYTE_1 src1_sel:DWORD
	v_mov_b32_e32 v18, v5
	s_and_saveexec_b64 s[16:17], s[0:1]
	s_cbranch_execz .LBB202_414
; %bb.411:                              ;   in Loop: Header=BB202_376 Depth=1
	v_and_b32_sdwa v0, v15, s29 dst_sel:DWORD dst_unused:UNUSED_PAD src0_sel:BYTE_1 src1_sel:DWORD
	v_mov_b32_e32 v11, v5
	v_mov_b32_e32 v19, v12
	v_cmp_ne_u32_e64 s[0:1], s29, v0
	v_mov_b32_e32 v18, v11
	s_and_saveexec_b64 s[18:19], s[0:1]
	s_cbranch_execz .LBB202_413
; %bb.412:                              ;   in Loop: Header=BB202_376 Depth=1
	v_and_b32_sdwa v7, v15, v24 dst_sel:DWORD dst_unused:UNUSED_PAD src0_sel:BYTE_1 src1_sel:DWORD
	v_ffbh_u32_e32 v18, v7
	v_min_u32_e32 v20, 32, v18
	v_mov_b32_e32 v8, v5
	v_subrev_u32_e32 v18, 28, v20
	v_lshlrev_b64 v[18:19], v18, v[7:8]
	v_lshrrev_b32_e32 v11, 3, v0
	v_sub_u32_e32 v8, 29, v20
	v_cmp_gt_u32_e64 s[0:1], 8, v0
	v_and_b32_e32 v18, 7, v18
	v_cndmask_b32_e64 v0, v11, v8, s[0:1]
	v_cndmask_b32_e64 v7, v7, v18, s[0:1]
	v_lshlrev_b32_e32 v8, 16, v15
	v_lshl_add_u32 v0, v0, 23, v27
	v_and_or_b32 v0, v8, s30, v0
	v_lshlrev_b32_e32 v7, 20, v7
	v_or_b32_e32 v19, v0, v7
	v_mov_b32_e32 v18, v5
.LBB202_413:                            ;   in Loop: Header=BB202_376 Depth=1
	s_or_b64 exec, exec, s[18:19]
.LBB202_414:                            ;   in Loop: Header=BB202_376 Depth=1
	s_or_b64 exec, exec, s[16:17]
.LBB202_415:                            ;   in Loop: Header=BB202_376 Depth=1
	s_or_b64 exec, exec, s[12:13]
	v_lshrrev_b32_e32 v11, 16, v15
	v_mov_b32_e32 v22, 0
	v_mov_b32_e32 v20, 0
	;; [unrolled: 1-line block ×4, first 2 shown]
	v_cmp_ne_u16_sdwa s[0:1], v11, v5 src0_sel:BYTE_0 src1_sel:DWORD
	s_and_saveexec_b64 s[12:13], s[0:1]
	s_cbranch_execz .LBB202_421
; %bb.416:                              ;   in Loop: Header=BB202_376 Depth=1
	v_bfrev_b32_e32 v20, 1
	v_mov_b32_e32 v21, 0
	v_cmp_ne_u16_sdwa s[0:1], v11, s28 src0_sel:BYTE_0 src1_sel:DWORD
	s_and_saveexec_b64 s[16:17], s[0:1]
	s_cbranch_execz .LBB202_420
; %bb.417:                              ;   in Loop: Header=BB202_376 Depth=1
	v_bfe_u32 v0, v15, 16, 7
	v_mov_b32_e32 v20, 0x7f800001
	v_mov_b32_e32 v21, 0
	v_cmp_ne_u32_e64 s[0:1], s29, v0
	s_and_saveexec_b64 s[18:19], s[0:1]
	s_cbranch_execz .LBB202_419
; %bb.418:                              ;   in Loop: Header=BB202_376 Depth=1
	v_and_b32_e32 v20, 7, v11
	v_ffbh_u32_e32 v7, v20
	v_min_u32_e32 v24, 32, v7
	v_subrev_u32_e32 v7, 28, v24
	v_lshlrev_b64 v[7:8], v7, v[11:12]
	v_lshrrev_b32_e32 v21, 3, v0
	v_sub_u32_e32 v8, 29, v24
	v_and_b32_e32 v7, 7, v7
	v_cmp_gt_u32_e64 s[0:1], 8, v0
	v_cndmask_b32_e64 v0, v21, v8, s[0:1]
	v_cndmask_b32_e64 v7, v20, v7, s[0:1]
	v_lshlrev_b32_e32 v7, 20, v7
	v_and_b32_sdwa v8, sext(v11), s30 dst_sel:DWORD dst_unused:UNUSED_PAD src0_sel:BYTE_0 src1_sel:DWORD
	v_lshl_add_u32 v0, v0, 23, v27
	v_mov_b32_e32 v24, 7
	v_or3_b32 v20, v8, v0, v7
	v_mov_b32_e32 v21, v5
.LBB202_419:                            ;   in Loop: Header=BB202_376 Depth=1
	s_or_b64 exec, exec, s[18:19]
.LBB202_420:                            ;   in Loop: Header=BB202_376 Depth=1
	s_or_b64 exec, exec, s[16:17]
.LBB202_421:                            ;   in Loop: Header=BB202_376 Depth=1
	s_or_b64 exec, exec, s[12:13]
	v_cmp_lt_u32_e64 s[0:1], s31, v15
	s_and_saveexec_b64 s[12:13], s[0:1]
	s_cbranch_execz .LBB202_427
; %bb.422:                              ;   in Loop: Header=BB202_376 Depth=1
	v_mov_b32_e32 v23, v6
	v_cmp_ne_u32_sdwa s[0:1], v15, s28 src0_sel:BYTE_3 src1_sel:DWORD
	v_mov_b32_e32 v22, v5
	s_and_saveexec_b64 s[16:17], s[0:1]
	s_cbranch_execz .LBB202_426
; %bb.423:                              ;   in Loop: Header=BB202_376 Depth=1
	v_bfe_u32 v0, v15, 24, 7
	v_mov_b32_e32 v11, v5
	v_mov_b32_e32 v23, v12
	v_cmp_ne_u32_e64 s[0:1], s29, v0
	v_mov_b32_e32 v22, v11
	s_and_saveexec_b64 s[18:19], s[0:1]
	s_cbranch_execz .LBB202_425
; %bb.424:                              ;   in Loop: Header=BB202_376 Depth=1
	v_and_b32_sdwa v7, v15, v24 dst_sel:DWORD dst_unused:UNUSED_PAD src0_sel:BYTE_3 src1_sel:DWORD
	v_ffbh_u32_e32 v22, v7
	v_min_u32_e32 v24, 32, v22
	v_mov_b32_e32 v8, v5
	v_subrev_u32_e32 v22, 28, v24
	v_lshlrev_b64 v[22:23], v22, v[7:8]
	v_lshrrev_b32_e32 v11, 3, v0
	v_sub_u32_e32 v8, 29, v24
	v_cmp_gt_u32_e64 s[0:1], 8, v0
	v_and_b32_e32 v22, 7, v22
	v_cndmask_b32_e64 v0, v11, v8, s[0:1]
	v_mov_b32_e32 v8, 24
	v_cndmask_b32_e64 v7, v7, v22, s[0:1]
	v_lshlrev_b32_sdwa v8, v8, v15 dst_sel:DWORD dst_unused:UNUSED_PAD src0_sel:DWORD src1_sel:BYTE_3
	v_lshl_add_u32 v0, v0, 23, v27
	v_and_or_b32 v0, v8, s30, v0
	v_lshlrev_b32_e32 v7, 20, v7
	v_mov_b32_e32 v24, 7
	v_or_b32_e32 v23, v0, v7
	v_mov_b32_e32 v22, v5
.LBB202_425:                            ;   in Loop: Header=BB202_376 Depth=1
	s_or_b64 exec, exec, s[18:19]
.LBB202_426:                            ;   in Loop: Header=BB202_376 Depth=1
	s_or_b64 exec, exec, s[16:17]
.LBB202_427:                            ;   in Loop: Header=BB202_376 Depth=1
	s_or_b64 exec, exec, s[12:13]
	s_mov_b32 s38, s37
	v_or_b32_e32 v0, v19, v17
	v_or_b32_e32 v7, v18, v16
	v_mul_f32_e32 v0, s38, v0
	buffer_store_dword v0, off, s[56:59], 0 offset:36 ; 4-byte Folded Spill
	v_mul_f32_e32 v0, s37, v7
	buffer_store_dword v0, off, s[56:59], 0 offset:60 ; 4-byte Folded Spill
	v_or_b32_e32 v0, v23, v21
	v_or_b32_e32 v7, v22, v20
	v_mul_f32_e32 v7, s37, v7
	v_mul_f32_e32 v0, s38, v0
	buffer_store_dword v7, off, s[56:59], 0 offset:52 ; 4-byte Folded Spill
	buffer_store_dword v0, off, s[56:59], 0 offset:44 ; 4-byte Folded Spill
	s_and_saveexec_b64 s[12:13], vcc
	s_cbranch_execz .LBB202_429
; %bb.428:                              ;   in Loop: Header=BB202_376 Depth=1
	buffer_load_dword v0, off, s[56:59], 0 offset:60 ; 4-byte Folded Reload
	v_cmp_gt_i32_e64 s[0:1], s33, v52
	s_waitcnt vmcnt(0)
	v_cndmask_b32_e64 v0, 0, v0, s[0:1]
	buffer_store_dword v0, off, s[56:59], 0 offset:60 ; 4-byte Folded Spill
	buffer_load_dword v0, off, s[56:59], 0 offset:36 ; 4-byte Folded Reload
	v_cmp_gt_i32_e64 s[0:1], s33, v55
	s_waitcnt vmcnt(0)
	v_cndmask_b32_e64 v0, 0, v0, s[0:1]
	buffer_store_dword v0, off, s[56:59], 0 offset:36 ; 4-byte Folded Spill
	;; [unrolled: 5-line block ×4, first 2 shown]
.LBB202_429:                            ;   in Loop: Header=BB202_376 Depth=1
	s_or_b64 exec, exec, s[12:13]
	global_load_dword v15, v[13:14], off offset:512
	v_mov_b32_e32 v18, 0
	v_mov_b32_e32 v16, 0
	;; [unrolled: 1-line block ×4, first 2 shown]
	s_waitcnt vmcnt(0)
	v_cmp_ne_u16_sdwa s[0:1], v15, v5 src0_sel:BYTE_0 src1_sel:DWORD
	s_and_saveexec_b64 s[12:13], s[0:1]
	s_cbranch_execz .LBB202_435
; %bb.430:                              ;   in Loop: Header=BB202_376 Depth=1
	v_bfrev_b32_e32 v16, 1
	v_mov_b32_e32 v17, 0
	v_cmp_ne_u16_sdwa s[0:1], v15, s28 src0_sel:BYTE_0 src1_sel:DWORD
	s_and_saveexec_b64 s[16:17], s[0:1]
	s_cbranch_execz .LBB202_434
; %bb.431:                              ;   in Loop: Header=BB202_376 Depth=1
	v_and_b32_e32 v0, 0x7f, v15
	v_mov_b32_e32 v16, 0x7f800001
	v_mov_b32_e32 v17, 0
	v_cmp_ne_u32_e64 s[0:1], s29, v0
	s_and_saveexec_b64 s[18:19], s[0:1]
	s_cbranch_execz .LBB202_433
; %bb.432:                              ;   in Loop: Header=BB202_376 Depth=1
	v_and_b32_e32 v11, 7, v15
	v_ffbh_u32_e32 v7, v11
	v_min_u32_e32 v17, 32, v7
	v_lshrrev_b32_e32 v16, 3, v0
	v_subrev_u32_e32 v7, 28, v17
	v_lshlrev_b64 v[7:8], v7, v[15:16]
	v_sub_u32_e32 v8, 29, v17
	v_and_b32_e32 v7, 7, v7
	v_cmp_gt_u32_e64 s[0:1], 8, v0
	v_cndmask_b32_e64 v0, v16, v8, s[0:1]
	v_cndmask_b32_e64 v7, v11, v7, s[0:1]
	v_lshlrev_b32_e32 v7, 20, v7
	v_and_b32_sdwa v8, sext(v15), s30 dst_sel:DWORD dst_unused:UNUSED_PAD src0_sel:BYTE_0 src1_sel:DWORD
	v_lshl_add_u32 v0, v0, 23, v27
	v_or3_b32 v16, v8, v0, v7
	v_mov_b32_e32 v17, v5
.LBB202_433:                            ;   in Loop: Header=BB202_376 Depth=1
	s_or_b64 exec, exec, s[18:19]
.LBB202_434:                            ;   in Loop: Header=BB202_376 Depth=1
	s_or_b64 exec, exec, s[16:17]
.LBB202_435:                            ;   in Loop: Header=BB202_376 Depth=1
	s_or_b64 exec, exec, s[12:13]
	v_cmp_ne_u16_sdwa s[0:1], v15, v5 src0_sel:BYTE_1 src1_sel:DWORD
	s_and_saveexec_b64 s[12:13], s[0:1]
	s_cbranch_execz .LBB202_441
; %bb.436:                              ;   in Loop: Header=BB202_376 Depth=1
	v_mov_b32_e32 v19, v6
	v_cmp_ne_u16_sdwa s[0:1], v15, s28 src0_sel:BYTE_1 src1_sel:DWORD
	v_mov_b32_e32 v18, v5
	s_and_saveexec_b64 s[16:17], s[0:1]
	s_cbranch_execz .LBB202_440
; %bb.437:                              ;   in Loop: Header=BB202_376 Depth=1
	v_and_b32_sdwa v0, v15, s29 dst_sel:DWORD dst_unused:UNUSED_PAD src0_sel:BYTE_1 src1_sel:DWORD
	v_mov_b32_e32 v11, v5
	v_mov_b32_e32 v19, v12
	v_cmp_ne_u32_e64 s[0:1], s29, v0
	v_mov_b32_e32 v18, v11
	s_and_saveexec_b64 s[18:19], s[0:1]
	s_cbranch_execz .LBB202_439
; %bb.438:                              ;   in Loop: Header=BB202_376 Depth=1
	v_and_b32_sdwa v7, v15, v24 dst_sel:DWORD dst_unused:UNUSED_PAD src0_sel:BYTE_1 src1_sel:DWORD
	v_ffbh_u32_e32 v18, v7
	v_min_u32_e32 v20, 32, v18
	v_mov_b32_e32 v8, v5
	v_subrev_u32_e32 v18, 28, v20
	v_lshlrev_b64 v[18:19], v18, v[7:8]
	v_lshrrev_b32_e32 v11, 3, v0
	v_sub_u32_e32 v8, 29, v20
	v_cmp_gt_u32_e64 s[0:1], 8, v0
	v_and_b32_e32 v18, 7, v18
	v_cndmask_b32_e64 v0, v11, v8, s[0:1]
	v_cndmask_b32_e64 v7, v7, v18, s[0:1]
	v_lshlrev_b32_e32 v8, 16, v15
	v_lshl_add_u32 v0, v0, 23, v27
	v_and_or_b32 v0, v8, s30, v0
	v_lshlrev_b32_e32 v7, 20, v7
	v_or_b32_e32 v19, v0, v7
	v_mov_b32_e32 v18, v5
.LBB202_439:                            ;   in Loop: Header=BB202_376 Depth=1
	s_or_b64 exec, exec, s[18:19]
.LBB202_440:                            ;   in Loop: Header=BB202_376 Depth=1
	s_or_b64 exec, exec, s[16:17]
.LBB202_441:                            ;   in Loop: Header=BB202_376 Depth=1
	s_or_b64 exec, exec, s[12:13]
	v_lshrrev_b32_e32 v11, 16, v15
	v_mov_b32_e32 v22, 0
	v_mov_b32_e32 v20, 0
	;; [unrolled: 1-line block ×4, first 2 shown]
	v_cmp_ne_u16_sdwa s[0:1], v11, v5 src0_sel:BYTE_0 src1_sel:DWORD
	s_and_saveexec_b64 s[12:13], s[0:1]
	s_cbranch_execz .LBB202_447
; %bb.442:                              ;   in Loop: Header=BB202_376 Depth=1
	v_bfrev_b32_e32 v20, 1
	v_mov_b32_e32 v21, 0
	v_cmp_ne_u16_sdwa s[0:1], v11, s28 src0_sel:BYTE_0 src1_sel:DWORD
	s_and_saveexec_b64 s[16:17], s[0:1]
	s_cbranch_execz .LBB202_446
; %bb.443:                              ;   in Loop: Header=BB202_376 Depth=1
	v_bfe_u32 v0, v15, 16, 7
	v_mov_b32_e32 v20, 0x7f800001
	v_mov_b32_e32 v21, 0
	v_cmp_ne_u32_e64 s[0:1], s29, v0
	s_and_saveexec_b64 s[18:19], s[0:1]
	s_cbranch_execz .LBB202_445
; %bb.444:                              ;   in Loop: Header=BB202_376 Depth=1
	v_and_b32_e32 v20, 7, v11
	v_lshrrev_b32_e32 v21, 3, v0
	v_cmp_gt_u32_e64 s[0:1], 8, v0
	v_ffbh_u32_e32 v0, v20
	v_min_u32_e32 v0, 32, v0
	v_subrev_u32_e32 v7, 28, v0
	v_lshlrev_b64 v[7:8], v7, v[11:12]
	v_sub_u32_e32 v0, 29, v0
	v_and_b32_e32 v7, 7, v7
	v_cndmask_b32_e64 v0, v21, v0, s[0:1]
	v_cndmask_b32_e64 v7, v20, v7, s[0:1]
	v_lshlrev_b32_e32 v7, 20, v7
	v_and_b32_sdwa v8, sext(v11), s30 dst_sel:DWORD dst_unused:UNUSED_PAD src0_sel:BYTE_0 src1_sel:DWORD
	v_lshl_add_u32 v0, v0, 23, v27
	v_or3_b32 v20, v8, v0, v7
	v_mov_b32_e32 v21, v5
.LBB202_445:                            ;   in Loop: Header=BB202_376 Depth=1
	s_or_b64 exec, exec, s[18:19]
.LBB202_446:                            ;   in Loop: Header=BB202_376 Depth=1
	s_or_b64 exec, exec, s[16:17]
.LBB202_447:                            ;   in Loop: Header=BB202_376 Depth=1
	s_or_b64 exec, exec, s[12:13]
	v_cmp_lt_u32_e64 s[0:1], s31, v15
	s_and_saveexec_b64 s[12:13], s[0:1]
	s_cbranch_execz .LBB202_453
; %bb.448:                              ;   in Loop: Header=BB202_376 Depth=1
	v_mov_b32_e32 v23, v6
	v_cmp_ne_u32_sdwa s[0:1], v15, s28 src0_sel:BYTE_3 src1_sel:DWORD
	v_mov_b32_e32 v22, v5
	s_and_saveexec_b64 s[16:17], s[0:1]
	s_cbranch_execz .LBB202_452
; %bb.449:                              ;   in Loop: Header=BB202_376 Depth=1
	v_bfe_u32 v0, v15, 24, 7
	v_mov_b32_e32 v11, v5
	v_mov_b32_e32 v23, v12
	v_cmp_ne_u32_e64 s[0:1], s29, v0
	v_mov_b32_e32 v22, v11
	s_and_saveexec_b64 s[18:19], s[0:1]
	s_cbranch_execz .LBB202_451
; %bb.450:                              ;   in Loop: Header=BB202_376 Depth=1
	v_and_b32_sdwa v7, v15, v24 dst_sel:DWORD dst_unused:UNUSED_PAD src0_sel:BYTE_3 src1_sel:DWORD
	v_lshrrev_b32_e32 v11, 3, v0
	v_cmp_gt_u32_e64 s[0:1], 8, v0
	v_ffbh_u32_e32 v0, v7
	v_min_u32_e32 v0, 32, v0
	v_mov_b32_e32 v8, v5
	v_subrev_u32_e32 v22, 28, v0
	v_lshlrev_b64 v[22:23], v22, v[7:8]
	v_sub_u32_e32 v0, 29, v0
	v_and_b32_e32 v8, 7, v22
	v_cndmask_b32_e64 v0, v11, v0, s[0:1]
	v_cndmask_b32_e64 v7, v7, v8, s[0:1]
	v_mov_b32_e32 v8, 24
	v_lshlrev_b32_sdwa v8, v8, v15 dst_sel:DWORD dst_unused:UNUSED_PAD src0_sel:DWORD src1_sel:BYTE_3
	v_lshl_add_u32 v0, v0, 23, v27
	v_and_or_b32 v0, v8, s30, v0
	v_lshlrev_b32_e32 v7, 20, v7
	v_or_b32_e32 v23, v0, v7
	v_mov_b32_e32 v22, v5
.LBB202_451:                            ;   in Loop: Header=BB202_376 Depth=1
	s_or_b64 exec, exec, s[18:19]
.LBB202_452:                            ;   in Loop: Header=BB202_376 Depth=1
	s_or_b64 exec, exec, s[16:17]
.LBB202_453:                            ;   in Loop: Header=BB202_376 Depth=1
	s_or_b64 exec, exec, s[12:13]
	v_or_b32_e32 v0, v19, v17
	v_or_b32_e32 v7, v18, v16
	v_mul_f32_e32 v0, s38, v0
	buffer_store_dword v0, off, s[56:59], 0 offset:68 ; 4-byte Folded Spill
	v_mul_f32_e32 v0, s37, v7
	buffer_store_dword v0, off, s[56:59], 0 offset:92 ; 4-byte Folded Spill
	v_or_b32_e32 v0, v23, v21
	v_or_b32_e32 v7, v22, v20
	v_mul_f32_e32 v7, s37, v7
	v_mul_f32_e32 v0, s38, v0
	buffer_store_dword v7, off, s[56:59], 0 offset:84 ; 4-byte Folded Spill
	buffer_store_dword v0, off, s[56:59], 0 offset:76 ; 4-byte Folded Spill
	s_and_saveexec_b64 s[12:13], vcc
	s_cbranch_execz .LBB202_455
; %bb.454:                              ;   in Loop: Header=BB202_376 Depth=1
	buffer_load_dword v0, off, s[56:59], 0 offset:92 ; 4-byte Folded Reload
	v_cmp_gt_i32_e64 s[0:1], s33, v52
	s_waitcnt vmcnt(0)
	v_cndmask_b32_e64 v0, 0, v0, s[0:1]
	buffer_store_dword v0, off, s[56:59], 0 offset:92 ; 4-byte Folded Spill
	buffer_load_dword v0, off, s[56:59], 0 offset:68 ; 4-byte Folded Reload
	v_cmp_gt_i32_e64 s[0:1], s33, v55
	s_waitcnt vmcnt(0)
	v_cndmask_b32_e64 v0, 0, v0, s[0:1]
	buffer_store_dword v0, off, s[56:59], 0 offset:68 ; 4-byte Folded Spill
	;; [unrolled: 5-line block ×4, first 2 shown]
.LBB202_455:                            ;   in Loop: Header=BB202_376 Depth=1
	s_or_b64 exec, exec, s[12:13]
	global_load_dword v15, v[13:14], off offset:768
	v_mov_b32_e32 v18, 0
	v_mov_b32_e32 v16, 0
	;; [unrolled: 1-line block ×4, first 2 shown]
	s_waitcnt vmcnt(0)
	v_cmp_ne_u16_sdwa s[0:1], v15, v5 src0_sel:BYTE_0 src1_sel:DWORD
	s_and_saveexec_b64 s[12:13], s[0:1]
	s_cbranch_execz .LBB202_461
; %bb.456:                              ;   in Loop: Header=BB202_376 Depth=1
	v_bfrev_b32_e32 v16, 1
	v_mov_b32_e32 v17, 0
	v_cmp_ne_u16_sdwa s[0:1], v15, s28 src0_sel:BYTE_0 src1_sel:DWORD
	s_and_saveexec_b64 s[16:17], s[0:1]
	s_cbranch_execz .LBB202_460
; %bb.457:                              ;   in Loop: Header=BB202_376 Depth=1
	v_and_b32_e32 v0, 0x7f, v15
	v_mov_b32_e32 v16, 0x7f800001
	v_mov_b32_e32 v17, 0
	v_cmp_ne_u32_e64 s[0:1], s29, v0
	s_and_saveexec_b64 s[18:19], s[0:1]
	s_cbranch_execz .LBB202_459
; %bb.458:                              ;   in Loop: Header=BB202_376 Depth=1
	v_and_b32_e32 v11, 7, v15
	v_lshrrev_b32_e32 v16, 3, v0
	v_cmp_gt_u32_e64 s[0:1], 8, v0
	v_ffbh_u32_e32 v0, v11
	v_min_u32_e32 v0, 32, v0
	v_subrev_u32_e32 v7, 28, v0
	v_lshlrev_b64 v[7:8], v7, v[15:16]
	v_sub_u32_e32 v0, 29, v0
	v_and_b32_e32 v7, 7, v7
	v_cndmask_b32_e64 v0, v16, v0, s[0:1]
	v_cndmask_b32_e64 v7, v11, v7, s[0:1]
	v_lshlrev_b32_e32 v7, 20, v7
	v_and_b32_sdwa v8, sext(v15), s30 dst_sel:DWORD dst_unused:UNUSED_PAD src0_sel:BYTE_0 src1_sel:DWORD
	v_lshl_add_u32 v0, v0, 23, v27
	v_or3_b32 v16, v8, v0, v7
	v_mov_b32_e32 v17, v5
.LBB202_459:                            ;   in Loop: Header=BB202_376 Depth=1
	s_or_b64 exec, exec, s[18:19]
.LBB202_460:                            ;   in Loop: Header=BB202_376 Depth=1
	s_or_b64 exec, exec, s[16:17]
.LBB202_461:                            ;   in Loop: Header=BB202_376 Depth=1
	s_or_b64 exec, exec, s[12:13]
	v_cmp_ne_u16_sdwa s[0:1], v15, v5 src0_sel:BYTE_1 src1_sel:DWORD
	s_and_saveexec_b64 s[12:13], s[0:1]
	s_cbranch_execz .LBB202_467
; %bb.462:                              ;   in Loop: Header=BB202_376 Depth=1
	v_mov_b32_e32 v19, v6
	v_cmp_ne_u16_sdwa s[0:1], v15, s28 src0_sel:BYTE_1 src1_sel:DWORD
	v_mov_b32_e32 v18, v5
	s_and_saveexec_b64 s[16:17], s[0:1]
	s_cbranch_execz .LBB202_466
; %bb.463:                              ;   in Loop: Header=BB202_376 Depth=1
	v_and_b32_sdwa v0, v15, s29 dst_sel:DWORD dst_unused:UNUSED_PAD src0_sel:BYTE_1 src1_sel:DWORD
	v_mov_b32_e32 v11, v5
	v_mov_b32_e32 v19, v12
	v_cmp_ne_u32_e64 s[0:1], s29, v0
	v_mov_b32_e32 v18, v11
	s_and_saveexec_b64 s[18:19], s[0:1]
	s_cbranch_execz .LBB202_465
; %bb.464:                              ;   in Loop: Header=BB202_376 Depth=1
	v_and_b32_sdwa v7, v15, v24 dst_sel:DWORD dst_unused:UNUSED_PAD src0_sel:BYTE_1 src1_sel:DWORD
	v_lshrrev_b32_e32 v11, 3, v0
	v_cmp_gt_u32_e64 s[0:1], 8, v0
	v_ffbh_u32_e32 v0, v7
	v_min_u32_e32 v0, 32, v0
	v_mov_b32_e32 v8, v5
	v_subrev_u32_e32 v18, 28, v0
	v_lshlrev_b64 v[18:19], v18, v[7:8]
	v_sub_u32_e32 v0, 29, v0
	v_and_b32_e32 v8, 7, v18
	v_cndmask_b32_e64 v0, v11, v0, s[0:1]
	v_cndmask_b32_e64 v7, v7, v8, s[0:1]
	v_lshlrev_b32_e32 v8, 16, v15
	v_lshl_add_u32 v0, v0, 23, v27
	v_and_or_b32 v0, v8, s30, v0
	v_lshlrev_b32_e32 v7, 20, v7
	v_or_b32_e32 v19, v0, v7
	v_mov_b32_e32 v18, v5
.LBB202_465:                            ;   in Loop: Header=BB202_376 Depth=1
	s_or_b64 exec, exec, s[18:19]
.LBB202_466:                            ;   in Loop: Header=BB202_376 Depth=1
	s_or_b64 exec, exec, s[16:17]
.LBB202_467:                            ;   in Loop: Header=BB202_376 Depth=1
	s_or_b64 exec, exec, s[12:13]
	v_lshrrev_b32_e32 v11, 16, v15
	v_mov_b32_e32 v22, 0
	v_mov_b32_e32 v20, 0
	;; [unrolled: 1-line block ×4, first 2 shown]
	v_cmp_ne_u16_sdwa s[0:1], v11, v5 src0_sel:BYTE_0 src1_sel:DWORD
	s_and_saveexec_b64 s[12:13], s[0:1]
	s_cbranch_execz .LBB202_473
; %bb.468:                              ;   in Loop: Header=BB202_376 Depth=1
	v_bfrev_b32_e32 v20, 1
	v_mov_b32_e32 v21, 0
	v_cmp_ne_u16_sdwa s[0:1], v11, s28 src0_sel:BYTE_0 src1_sel:DWORD
	s_and_saveexec_b64 s[16:17], s[0:1]
	s_cbranch_execz .LBB202_472
; %bb.469:                              ;   in Loop: Header=BB202_376 Depth=1
	v_bfe_u32 v0, v15, 16, 7
	v_mov_b32_e32 v20, 0x7f800001
	v_mov_b32_e32 v21, 0
	v_cmp_ne_u32_e64 s[0:1], s29, v0
	s_and_saveexec_b64 s[18:19], s[0:1]
	s_cbranch_execz .LBB202_471
; %bb.470:                              ;   in Loop: Header=BB202_376 Depth=1
	v_and_b32_e32 v20, 7, v11
	v_lshrrev_b32_e32 v21, 3, v0
	v_cmp_gt_u32_e64 s[0:1], 8, v0
	v_ffbh_u32_e32 v0, v20
	v_min_u32_e32 v0, 32, v0
	v_subrev_u32_e32 v7, 28, v0
	v_lshlrev_b64 v[7:8], v7, v[11:12]
	v_sub_u32_e32 v0, 29, v0
	v_and_b32_e32 v7, 7, v7
	v_cndmask_b32_e64 v0, v21, v0, s[0:1]
	v_cndmask_b32_e64 v7, v20, v7, s[0:1]
	v_lshlrev_b32_e32 v7, 20, v7
	v_and_b32_sdwa v8, sext(v11), s30 dst_sel:DWORD dst_unused:UNUSED_PAD src0_sel:BYTE_0 src1_sel:DWORD
	v_lshl_add_u32 v0, v0, 23, v27
	v_or3_b32 v20, v8, v0, v7
	v_mov_b32_e32 v21, v5
.LBB202_471:                            ;   in Loop: Header=BB202_376 Depth=1
	s_or_b64 exec, exec, s[18:19]
.LBB202_472:                            ;   in Loop: Header=BB202_376 Depth=1
	s_or_b64 exec, exec, s[16:17]
.LBB202_473:                            ;   in Loop: Header=BB202_376 Depth=1
	s_or_b64 exec, exec, s[12:13]
	v_cmp_lt_u32_e64 s[0:1], s31, v15
	s_and_saveexec_b64 s[12:13], s[0:1]
	s_cbranch_execz .LBB202_479
; %bb.474:                              ;   in Loop: Header=BB202_376 Depth=1
	v_mov_b32_e32 v23, v6
	v_cmp_ne_u32_sdwa s[0:1], v15, s28 src0_sel:BYTE_3 src1_sel:DWORD
	v_mov_b32_e32 v22, v5
	s_and_saveexec_b64 s[16:17], s[0:1]
	s_cbranch_execz .LBB202_478
; %bb.475:                              ;   in Loop: Header=BB202_376 Depth=1
	v_bfe_u32 v0, v15, 24, 7
	v_mov_b32_e32 v11, v5
	v_mov_b32_e32 v23, v12
	v_cmp_ne_u32_e64 s[0:1], s29, v0
	v_mov_b32_e32 v22, v11
	s_and_saveexec_b64 s[18:19], s[0:1]
	s_cbranch_execz .LBB202_477
; %bb.476:                              ;   in Loop: Header=BB202_376 Depth=1
	v_and_b32_sdwa v7, v15, v24 dst_sel:DWORD dst_unused:UNUSED_PAD src0_sel:BYTE_3 src1_sel:DWORD
	v_lshrrev_b32_e32 v11, 3, v0
	v_cmp_gt_u32_e64 s[0:1], 8, v0
	v_ffbh_u32_e32 v0, v7
	v_min_u32_e32 v0, 32, v0
	v_mov_b32_e32 v8, v5
	v_subrev_u32_e32 v22, 28, v0
	v_lshlrev_b64 v[22:23], v22, v[7:8]
	v_sub_u32_e32 v0, 29, v0
	v_and_b32_e32 v8, 7, v22
	v_cndmask_b32_e64 v0, v11, v0, s[0:1]
	v_cndmask_b32_e64 v7, v7, v8, s[0:1]
	v_mov_b32_e32 v8, 24
	v_lshlrev_b32_sdwa v8, v8, v15 dst_sel:DWORD dst_unused:UNUSED_PAD src0_sel:DWORD src1_sel:BYTE_3
	v_lshl_add_u32 v0, v0, 23, v27
	v_and_or_b32 v0, v8, s30, v0
	v_lshlrev_b32_e32 v7, 20, v7
	v_or_b32_e32 v23, v0, v7
	v_mov_b32_e32 v22, v5
.LBB202_477:                            ;   in Loop: Header=BB202_376 Depth=1
	s_or_b64 exec, exec, s[18:19]
.LBB202_478:                            ;   in Loop: Header=BB202_376 Depth=1
	s_or_b64 exec, exec, s[16:17]
.LBB202_479:                            ;   in Loop: Header=BB202_376 Depth=1
	s_or_b64 exec, exec, s[12:13]
	v_or_b32_e32 v0, v19, v17
	v_or_b32_e32 v7, v18, v16
	v_mul_f32_e32 v0, s38, v0
	buffer_store_dword v0, off, s[56:59], 0 offset:100 ; 4-byte Folded Spill
	v_mul_f32_e32 v0, s37, v7
	buffer_store_dword v0, off, s[56:59], 0 offset:124 ; 4-byte Folded Spill
	v_or_b32_e32 v0, v23, v21
	v_or_b32_e32 v7, v22, v20
	v_mul_f32_e32 v7, s37, v7
	v_mul_f32_e32 v0, s38, v0
	buffer_store_dword v7, off, s[56:59], 0 offset:116 ; 4-byte Folded Spill
	buffer_store_dword v0, off, s[56:59], 0 offset:108 ; 4-byte Folded Spill
	s_and_saveexec_b64 s[12:13], vcc
	s_cbranch_execz .LBB202_481
; %bb.480:                              ;   in Loop: Header=BB202_376 Depth=1
	buffer_load_dword v0, off, s[56:59], 0 offset:124 ; 4-byte Folded Reload
	v_cmp_gt_i32_e64 s[0:1], s33, v52
	s_waitcnt vmcnt(0)
	v_cndmask_b32_e64 v0, 0, v0, s[0:1]
	buffer_store_dword v0, off, s[56:59], 0 offset:124 ; 4-byte Folded Spill
	buffer_load_dword v0, off, s[56:59], 0 offset:100 ; 4-byte Folded Reload
	v_cmp_gt_i32_e64 s[0:1], s33, v55
	s_waitcnt vmcnt(0)
	v_cndmask_b32_e64 v0, 0, v0, s[0:1]
	buffer_store_dword v0, off, s[56:59], 0 offset:100 ; 4-byte Folded Spill
	;; [unrolled: 5-line block ×4, first 2 shown]
.LBB202_481:                            ;   in Loop: Header=BB202_376 Depth=1
	s_or_b64 exec, exec, s[12:13]
	global_load_dword v15, v[13:14], off offset:1024
	v_mov_b32_e32 v18, 0
	v_mov_b32_e32 v16, 0
	;; [unrolled: 1-line block ×4, first 2 shown]
	s_waitcnt vmcnt(0)
	v_cmp_ne_u16_sdwa s[0:1], v15, v5 src0_sel:BYTE_0 src1_sel:DWORD
	s_and_saveexec_b64 s[12:13], s[0:1]
	s_cbranch_execz .LBB202_487
; %bb.482:                              ;   in Loop: Header=BB202_376 Depth=1
	v_bfrev_b32_e32 v16, 1
	v_mov_b32_e32 v17, 0
	v_cmp_ne_u16_sdwa s[0:1], v15, s28 src0_sel:BYTE_0 src1_sel:DWORD
	s_and_saveexec_b64 s[16:17], s[0:1]
	s_cbranch_execz .LBB202_486
; %bb.483:                              ;   in Loop: Header=BB202_376 Depth=1
	v_and_b32_e32 v0, 0x7f, v15
	v_mov_b32_e32 v16, 0x7f800001
	v_mov_b32_e32 v17, 0
	v_cmp_ne_u32_e64 s[0:1], s29, v0
	s_and_saveexec_b64 s[18:19], s[0:1]
	s_cbranch_execz .LBB202_485
; %bb.484:                              ;   in Loop: Header=BB202_376 Depth=1
	v_and_b32_e32 v11, 7, v15
	v_lshrrev_b32_e32 v16, 3, v0
	v_cmp_gt_u32_e64 s[0:1], 8, v0
	v_ffbh_u32_e32 v0, v11
	v_min_u32_e32 v0, 32, v0
	v_subrev_u32_e32 v7, 28, v0
	v_lshlrev_b64 v[7:8], v7, v[15:16]
	v_sub_u32_e32 v0, 29, v0
	v_and_b32_e32 v7, 7, v7
	v_cndmask_b32_e64 v0, v16, v0, s[0:1]
	v_cndmask_b32_e64 v7, v11, v7, s[0:1]
	v_lshlrev_b32_e32 v7, 20, v7
	v_and_b32_sdwa v8, sext(v15), s30 dst_sel:DWORD dst_unused:UNUSED_PAD src0_sel:BYTE_0 src1_sel:DWORD
	v_lshl_add_u32 v0, v0, 23, v27
	v_or3_b32 v16, v8, v0, v7
	v_mov_b32_e32 v17, v5
.LBB202_485:                            ;   in Loop: Header=BB202_376 Depth=1
	s_or_b64 exec, exec, s[18:19]
.LBB202_486:                            ;   in Loop: Header=BB202_376 Depth=1
	s_or_b64 exec, exec, s[16:17]
.LBB202_487:                            ;   in Loop: Header=BB202_376 Depth=1
	s_or_b64 exec, exec, s[12:13]
	v_cmp_ne_u16_sdwa s[0:1], v15, v5 src0_sel:BYTE_1 src1_sel:DWORD
	s_and_saveexec_b64 s[12:13], s[0:1]
	s_cbranch_execz .LBB202_493
; %bb.488:                              ;   in Loop: Header=BB202_376 Depth=1
	v_mov_b32_e32 v19, v6
	v_cmp_ne_u16_sdwa s[0:1], v15, s28 src0_sel:BYTE_1 src1_sel:DWORD
	v_mov_b32_e32 v18, v5
	s_and_saveexec_b64 s[16:17], s[0:1]
	s_cbranch_execz .LBB202_492
; %bb.489:                              ;   in Loop: Header=BB202_376 Depth=1
	v_and_b32_sdwa v0, v15, s29 dst_sel:DWORD dst_unused:UNUSED_PAD src0_sel:BYTE_1 src1_sel:DWORD
	v_mov_b32_e32 v11, v5
	v_mov_b32_e32 v19, v12
	v_cmp_ne_u32_e64 s[0:1], s29, v0
	v_mov_b32_e32 v18, v11
	s_and_saveexec_b64 s[18:19], s[0:1]
	s_cbranch_execz .LBB202_491
; %bb.490:                              ;   in Loop: Header=BB202_376 Depth=1
	v_and_b32_sdwa v7, v15, v24 dst_sel:DWORD dst_unused:UNUSED_PAD src0_sel:BYTE_1 src1_sel:DWORD
	v_lshrrev_b32_e32 v11, 3, v0
	v_cmp_gt_u32_e64 s[0:1], 8, v0
	v_ffbh_u32_e32 v0, v7
	v_min_u32_e32 v0, 32, v0
	v_mov_b32_e32 v8, v5
	v_subrev_u32_e32 v18, 28, v0
	v_lshlrev_b64 v[18:19], v18, v[7:8]
	v_sub_u32_e32 v0, 29, v0
	v_and_b32_e32 v8, 7, v18
	v_cndmask_b32_e64 v0, v11, v0, s[0:1]
	v_cndmask_b32_e64 v7, v7, v8, s[0:1]
	v_lshlrev_b32_e32 v8, 16, v15
	v_lshl_add_u32 v0, v0, 23, v27
	v_and_or_b32 v0, v8, s30, v0
	v_lshlrev_b32_e32 v7, 20, v7
	v_or_b32_e32 v19, v0, v7
	v_mov_b32_e32 v18, v5
.LBB202_491:                            ;   in Loop: Header=BB202_376 Depth=1
	s_or_b64 exec, exec, s[18:19]
.LBB202_492:                            ;   in Loop: Header=BB202_376 Depth=1
	s_or_b64 exec, exec, s[16:17]
.LBB202_493:                            ;   in Loop: Header=BB202_376 Depth=1
	s_or_b64 exec, exec, s[12:13]
	v_lshrrev_b32_e32 v11, 16, v15
	v_mov_b32_e32 v22, 0
	v_mov_b32_e32 v20, 0
	;; [unrolled: 1-line block ×4, first 2 shown]
	v_cmp_ne_u16_sdwa s[0:1], v11, v5 src0_sel:BYTE_0 src1_sel:DWORD
	s_and_saveexec_b64 s[12:13], s[0:1]
	s_cbranch_execz .LBB202_499
; %bb.494:                              ;   in Loop: Header=BB202_376 Depth=1
	v_bfrev_b32_e32 v20, 1
	v_mov_b32_e32 v21, 0
	v_cmp_ne_u16_sdwa s[0:1], v11, s28 src0_sel:BYTE_0 src1_sel:DWORD
	s_and_saveexec_b64 s[16:17], s[0:1]
	s_cbranch_execz .LBB202_498
; %bb.495:                              ;   in Loop: Header=BB202_376 Depth=1
	v_bfe_u32 v0, v15, 16, 7
	v_mov_b32_e32 v20, 0x7f800001
	v_mov_b32_e32 v21, 0
	v_cmp_ne_u32_e64 s[0:1], s29, v0
	s_and_saveexec_b64 s[18:19], s[0:1]
	s_cbranch_execz .LBB202_497
; %bb.496:                              ;   in Loop: Header=BB202_376 Depth=1
	v_and_b32_e32 v20, 7, v11
	v_lshrrev_b32_e32 v21, 3, v0
	v_cmp_gt_u32_e64 s[0:1], 8, v0
	v_ffbh_u32_e32 v0, v20
	v_min_u32_e32 v0, 32, v0
	v_subrev_u32_e32 v7, 28, v0
	v_lshlrev_b64 v[7:8], v7, v[11:12]
	v_sub_u32_e32 v0, 29, v0
	v_and_b32_e32 v7, 7, v7
	v_cndmask_b32_e64 v0, v21, v0, s[0:1]
	v_cndmask_b32_e64 v7, v20, v7, s[0:1]
	v_lshlrev_b32_e32 v7, 20, v7
	v_and_b32_sdwa v8, sext(v11), s30 dst_sel:DWORD dst_unused:UNUSED_PAD src0_sel:BYTE_0 src1_sel:DWORD
	v_lshl_add_u32 v0, v0, 23, v27
	v_or3_b32 v20, v8, v0, v7
	v_mov_b32_e32 v21, v5
.LBB202_497:                            ;   in Loop: Header=BB202_376 Depth=1
	s_or_b64 exec, exec, s[18:19]
.LBB202_498:                            ;   in Loop: Header=BB202_376 Depth=1
	s_or_b64 exec, exec, s[16:17]
.LBB202_499:                            ;   in Loop: Header=BB202_376 Depth=1
	s_or_b64 exec, exec, s[12:13]
	v_cmp_lt_u32_e64 s[0:1], s31, v15
	s_and_saveexec_b64 s[12:13], s[0:1]
	s_cbranch_execz .LBB202_505
; %bb.500:                              ;   in Loop: Header=BB202_376 Depth=1
	v_mov_b32_e32 v23, v6
	v_cmp_ne_u32_sdwa s[0:1], v15, s28 src0_sel:BYTE_3 src1_sel:DWORD
	v_mov_b32_e32 v22, v5
	s_and_saveexec_b64 s[16:17], s[0:1]
	s_cbranch_execz .LBB202_504
; %bb.501:                              ;   in Loop: Header=BB202_376 Depth=1
	v_bfe_u32 v0, v15, 24, 7
	v_mov_b32_e32 v11, v5
	v_mov_b32_e32 v23, v12
	v_cmp_ne_u32_e64 s[0:1], s29, v0
	v_mov_b32_e32 v22, v11
	s_and_saveexec_b64 s[18:19], s[0:1]
	s_cbranch_execz .LBB202_503
; %bb.502:                              ;   in Loop: Header=BB202_376 Depth=1
	v_and_b32_sdwa v7, v15, v24 dst_sel:DWORD dst_unused:UNUSED_PAD src0_sel:BYTE_3 src1_sel:DWORD
	v_lshrrev_b32_e32 v11, 3, v0
	v_cmp_gt_u32_e64 s[0:1], 8, v0
	v_ffbh_u32_e32 v0, v7
	v_min_u32_e32 v0, 32, v0
	v_mov_b32_e32 v8, v5
	v_subrev_u32_e32 v22, 28, v0
	v_lshlrev_b64 v[22:23], v22, v[7:8]
	v_sub_u32_e32 v0, 29, v0
	v_and_b32_e32 v8, 7, v22
	v_cndmask_b32_e64 v0, v11, v0, s[0:1]
	v_cndmask_b32_e64 v7, v7, v8, s[0:1]
	v_mov_b32_e32 v8, 24
	v_lshlrev_b32_sdwa v8, v8, v15 dst_sel:DWORD dst_unused:UNUSED_PAD src0_sel:DWORD src1_sel:BYTE_3
	v_lshl_add_u32 v0, v0, 23, v27
	v_and_or_b32 v0, v8, s30, v0
	v_lshlrev_b32_e32 v7, 20, v7
	v_or_b32_e32 v23, v0, v7
	v_mov_b32_e32 v22, v5
.LBB202_503:                            ;   in Loop: Header=BB202_376 Depth=1
	s_or_b64 exec, exec, s[18:19]
.LBB202_504:                            ;   in Loop: Header=BB202_376 Depth=1
	s_or_b64 exec, exec, s[16:17]
.LBB202_505:                            ;   in Loop: Header=BB202_376 Depth=1
	s_or_b64 exec, exec, s[12:13]
	v_or_b32_e32 v0, v19, v17
	v_or_b32_e32 v7, v18, v16
	v_mul_f32_e32 v0, s38, v0
	buffer_store_dword v0, off, s[56:59], 0 offset:132 ; 4-byte Folded Spill
	v_mul_f32_e32 v0, s37, v7
	v_or_b32_e32 v7, v23, v21
	v_or_b32_e32 v8, v22, v20
	v_mul_f32_e32 v46, s37, v8
	v_mul_f32_e32 v47, s38, v7
	s_and_saveexec_b64 s[12:13], vcc
	s_cbranch_execz .LBB202_507
; %bb.506:                              ;   in Loop: Header=BB202_376 Depth=1
	buffer_load_dword v7, off, s[56:59], 0 offset:132 ; 4-byte Folded Reload
	v_cmp_gt_i32_e64 s[0:1], s33, v52
	v_cndmask_b32_e64 v0, 0, v0, s[0:1]
	v_cmp_gt_i32_e64 s[0:1], s33, v55
	s_waitcnt vmcnt(0)
	v_cndmask_b32_e64 v7, 0, v7, s[0:1]
	v_cmp_gt_i32_e64 s[0:1], s33, v54
	v_cndmask_b32_e64 v46, 0, v46, s[0:1]
	v_cmp_gt_i32_e64 s[0:1], s33, v53
	v_cndmask_b32_e64 v47, 0, v47, s[0:1]
	buffer_store_dword v7, off, s[56:59], 0 offset:132 ; 4-byte Folded Spill
.LBB202_507:                            ;   in Loop: Header=BB202_376 Depth=1
	s_or_b64 exec, exec, s[12:13]
	global_load_dword v15, v[13:14], off offset:1280
	v_mov_b32_e32 v18, 0
	v_mov_b32_e32 v16, 0
	;; [unrolled: 1-line block ×4, first 2 shown]
	s_waitcnt vmcnt(0)
	v_cmp_ne_u16_sdwa s[0:1], v15, v5 src0_sel:BYTE_0 src1_sel:DWORD
	s_and_saveexec_b64 s[12:13], s[0:1]
	s_cbranch_execz .LBB202_513
; %bb.508:                              ;   in Loop: Header=BB202_376 Depth=1
	v_bfrev_b32_e32 v16, 1
	v_mov_b32_e32 v17, 0
	v_cmp_ne_u16_sdwa s[0:1], v15, s28 src0_sel:BYTE_0 src1_sel:DWORD
	s_and_saveexec_b64 s[16:17], s[0:1]
	s_cbranch_execz .LBB202_512
; %bb.509:                              ;   in Loop: Header=BB202_376 Depth=1
	v_and_b32_e32 v11, 0x7f, v15
	v_mov_b32_e32 v16, 0x7f800001
	v_mov_b32_e32 v17, 0
	v_cmp_ne_u32_e64 s[0:1], s29, v11
	s_and_saveexec_b64 s[18:19], s[0:1]
	s_cbranch_execz .LBB202_511
; %bb.510:                              ;   in Loop: Header=BB202_376 Depth=1
	v_and_b32_e32 v7, 7, v15
	v_lshrrev_b32_e32 v8, 3, v11
	v_cmp_gt_u32_e64 s[0:1], 8, v11
	v_ffbh_u32_e32 v11, v7
	v_min_u32_e32 v11, 32, v11
	v_subrev_u32_e32 v16, 28, v11
	v_lshlrev_b64 v[16:17], v16, v[15:16]
	v_sub_u32_e32 v11, 29, v11
	v_and_b32_e32 v16, 7, v16
	v_cndmask_b32_e64 v8, v8, v11, s[0:1]
	v_cndmask_b32_e64 v7, v7, v16, s[0:1]
	v_lshlrev_b32_e32 v7, 20, v7
	v_and_b32_sdwa v11, sext(v15), s30 dst_sel:DWORD dst_unused:UNUSED_PAD src0_sel:BYTE_0 src1_sel:DWORD
	v_lshl_add_u32 v8, v8, 23, v27
	v_or3_b32 v16, v11, v8, v7
	v_mov_b32_e32 v17, v5
.LBB202_511:                            ;   in Loop: Header=BB202_376 Depth=1
	s_or_b64 exec, exec, s[18:19]
.LBB202_512:                            ;   in Loop: Header=BB202_376 Depth=1
	s_or_b64 exec, exec, s[16:17]
.LBB202_513:                            ;   in Loop: Header=BB202_376 Depth=1
	s_or_b64 exec, exec, s[12:13]
	v_cmp_ne_u16_sdwa s[0:1], v15, v5 src0_sel:BYTE_1 src1_sel:DWORD
	s_and_saveexec_b64 s[12:13], s[0:1]
	s_cbranch_execz .LBB202_519
; %bb.514:                              ;   in Loop: Header=BB202_376 Depth=1
	v_mov_b32_e32 v19, v6
	v_cmp_ne_u16_sdwa s[0:1], v15, s28 src0_sel:BYTE_1 src1_sel:DWORD
	v_mov_b32_e32 v18, v5
	s_and_saveexec_b64 s[16:17], s[0:1]
	s_cbranch_execz .LBB202_518
; %bb.515:                              ;   in Loop: Header=BB202_376 Depth=1
	v_and_b32_sdwa v20, v15, s29 dst_sel:DWORD dst_unused:UNUSED_PAD src0_sel:BYTE_1 src1_sel:DWORD
	v_mov_b32_e32 v11, v5
	v_mov_b32_e32 v19, v12
	v_cmp_ne_u32_e64 s[0:1], s29, v20
	v_mov_b32_e32 v18, v11
	s_and_saveexec_b64 s[18:19], s[0:1]
	s_cbranch_execz .LBB202_517
; %bb.516:                              ;   in Loop: Header=BB202_376 Depth=1
	v_and_b32_sdwa v18, v15, v24 dst_sel:DWORD dst_unused:UNUSED_PAD src0_sel:BYTE_1 src1_sel:DWORD
	v_ffbh_u32_e32 v8, v18
	v_min_u32_e32 v8, 32, v8
	v_mov_b32_e32 v19, v5
	v_subrev_u32_e32 v11, 28, v8
	v_lshrrev_b32_e32 v7, 3, v20
	v_cmp_gt_u32_e64 s[0:1], 8, v20
	v_lshlrev_b64 v[19:20], v11, v[18:19]
	v_sub_u32_e32 v8, 29, v8
	v_and_b32_e32 v11, 7, v19
	v_cndmask_b32_e64 v7, v7, v8, s[0:1]
	v_cndmask_b32_e64 v8, v18, v11, s[0:1]
	v_lshlrev_b32_e32 v11, 16, v15
	v_lshl_add_u32 v7, v7, 23, v27
	v_and_or_b32 v7, v11, s30, v7
	v_lshlrev_b32_e32 v8, 20, v8
	v_or_b32_e32 v19, v7, v8
	v_mov_b32_e32 v18, v5
.LBB202_517:                            ;   in Loop: Header=BB202_376 Depth=1
	s_or_b64 exec, exec, s[18:19]
.LBB202_518:                            ;   in Loop: Header=BB202_376 Depth=1
	s_or_b64 exec, exec, s[16:17]
.LBB202_519:                            ;   in Loop: Header=BB202_376 Depth=1
	s_or_b64 exec, exec, s[12:13]
	v_lshrrev_b32_e32 v11, 16, v15
	v_mov_b32_e32 v22, 0
	v_mov_b32_e32 v20, 0
	;; [unrolled: 1-line block ×4, first 2 shown]
	v_cmp_ne_u16_sdwa s[0:1], v11, v5 src0_sel:BYTE_0 src1_sel:DWORD
	s_and_saveexec_b64 s[12:13], s[0:1]
	s_cbranch_execz .LBB202_525
; %bb.520:                              ;   in Loop: Header=BB202_376 Depth=1
	v_bfrev_b32_e32 v20, 1
	v_mov_b32_e32 v21, 0
	v_cmp_ne_u16_sdwa s[0:1], v11, s28 src0_sel:BYTE_0 src1_sel:DWORD
	s_and_saveexec_b64 s[16:17], s[0:1]
	s_cbranch_execz .LBB202_524
; %bb.521:                              ;   in Loop: Header=BB202_376 Depth=1
	v_bfe_u32 v25, v15, 16, 7
	v_mov_b32_e32 v20, 0x7f800001
	v_mov_b32_e32 v21, 0
	v_cmp_ne_u32_e64 s[0:1], s29, v25
	s_and_saveexec_b64 s[18:19], s[0:1]
	s_cbranch_execz .LBB202_523
; %bb.522:                              ;   in Loop: Header=BB202_376 Depth=1
	v_and_b32_e32 v7, 7, v11
	v_ffbh_u32_e32 v20, v7
	v_lshrrev_b32_e32 v8, 3, v25
	v_cmp_gt_u32_e64 s[0:1], 8, v25
	v_min_u32_e32 v25, 32, v20
	v_subrev_u32_e32 v20, 28, v25
	v_lshlrev_b64 v[20:21], v20, v[11:12]
	v_sub_u32_e32 v21, 29, v25
	v_and_b32_e32 v20, 7, v20
	v_cndmask_b32_e64 v8, v8, v21, s[0:1]
	v_cndmask_b32_e64 v7, v7, v20, s[0:1]
	v_lshlrev_b32_e32 v7, 20, v7
	v_and_b32_sdwa v11, sext(v11), s30 dst_sel:DWORD dst_unused:UNUSED_PAD src0_sel:BYTE_0 src1_sel:DWORD
	v_lshl_add_u32 v8, v8, 23, v27
	v_or3_b32 v20, v11, v8, v7
	v_mov_b32_e32 v21, v5
.LBB202_523:                            ;   in Loop: Header=BB202_376 Depth=1
	s_or_b64 exec, exec, s[18:19]
.LBB202_524:                            ;   in Loop: Header=BB202_376 Depth=1
	s_or_b64 exec, exec, s[16:17]
.LBB202_525:                            ;   in Loop: Header=BB202_376 Depth=1
	s_or_b64 exec, exec, s[12:13]
	v_cmp_lt_u32_e64 s[0:1], s31, v15
	s_and_saveexec_b64 s[12:13], s[0:1]
	s_cbranch_execz .LBB202_531
; %bb.526:                              ;   in Loop: Header=BB202_376 Depth=1
	v_mov_b32_e32 v23, v6
	v_cmp_ne_u32_sdwa s[0:1], v15, s28 src0_sel:BYTE_3 src1_sel:DWORD
	v_mov_b32_e32 v22, v5
	s_and_saveexec_b64 s[16:17], s[0:1]
	s_cbranch_execz .LBB202_530
; %bb.527:                              ;   in Loop: Header=BB202_376 Depth=1
	v_bfe_u32 v25, v15, 24, 7
	v_mov_b32_e32 v11, v5
	v_mov_b32_e32 v23, v12
	v_cmp_ne_u32_e64 s[0:1], s29, v25
	v_mov_b32_e32 v22, v11
	s_and_saveexec_b64 s[18:19], s[0:1]
	s_cbranch_execz .LBB202_529
; %bb.528:                              ;   in Loop: Header=BB202_376 Depth=1
	v_and_b32_sdwa v22, v15, v24 dst_sel:DWORD dst_unused:UNUSED_PAD src0_sel:BYTE_3 src1_sel:DWORD
	v_ffbh_u32_e32 v8, v22
	v_min_u32_e32 v8, 32, v8
	v_mov_b32_e32 v23, v5
	v_subrev_u32_e32 v11, 28, v8
	v_lshrrev_b32_e32 v7, 3, v25
	v_cmp_gt_u32_e64 s[0:1], 8, v25
	v_lshlrev_b64 v[25:26], v11, v[22:23]
	v_sub_u32_e32 v8, 29, v8
	v_and_b32_e32 v11, 7, v25
	v_cndmask_b32_e64 v7, v7, v8, s[0:1]
	v_cndmask_b32_e64 v8, v22, v11, s[0:1]
	v_mov_b32_e32 v11, 24
	v_lshlrev_b32_sdwa v11, v11, v15 dst_sel:DWORD dst_unused:UNUSED_PAD src0_sel:DWORD src1_sel:BYTE_3
	v_lshl_add_u32 v7, v7, 23, v27
	v_and_or_b32 v7, v11, s30, v7
	v_lshlrev_b32_e32 v8, 20, v8
	v_or_b32_e32 v23, v7, v8
	v_mov_b32_e32 v22, v5
.LBB202_529:                            ;   in Loop: Header=BB202_376 Depth=1
	s_or_b64 exec, exec, s[18:19]
.LBB202_530:                            ;   in Loop: Header=BB202_376 Depth=1
	s_or_b64 exec, exec, s[16:17]
.LBB202_531:                            ;   in Loop: Header=BB202_376 Depth=1
	s_or_b64 exec, exec, s[12:13]
	v_or_b32_e32 v7, v19, v17
	v_or_b32_e32 v8, v18, v16
	v_mul_f32_e32 v25, s38, v7
	v_mul_f32_e32 v28, s37, v8
	v_or_b32_e32 v7, v23, v21
	v_or_b32_e32 v8, v22, v20
	v_mul_f32_e32 v26, s37, v8
	v_mul_f32_e32 v43, s38, v7
	s_and_saveexec_b64 s[12:13], vcc
; %bb.532:                              ;   in Loop: Header=BB202_376 Depth=1
	v_cmp_gt_i32_e64 s[0:1], s33, v52
	v_cndmask_b32_e64 v28, 0, v28, s[0:1]
	v_cmp_gt_i32_e64 s[0:1], s33, v55
	v_cndmask_b32_e64 v25, 0, v25, s[0:1]
	;; [unrolled: 2-line block ×4, first 2 shown]
; %bb.533:                              ;   in Loop: Header=BB202_376 Depth=1
	s_or_b64 exec, exec, s[12:13]
	global_load_dword v15, v[13:14], off offset:1536
	v_mov_b32_e32 v18, 0
	v_mov_b32_e32 v16, 0
	;; [unrolled: 1-line block ×4, first 2 shown]
	s_waitcnt vmcnt(0)
	v_cmp_ne_u16_sdwa s[0:1], v15, v5 src0_sel:BYTE_0 src1_sel:DWORD
	s_and_saveexec_b64 s[12:13], s[0:1]
	s_cbranch_execz .LBB202_539
; %bb.534:                              ;   in Loop: Header=BB202_376 Depth=1
	v_bfrev_b32_e32 v16, 1
	v_mov_b32_e32 v17, 0
	v_cmp_ne_u16_sdwa s[0:1], v15, s28 src0_sel:BYTE_0 src1_sel:DWORD
	s_and_saveexec_b64 s[16:17], s[0:1]
	s_cbranch_execz .LBB202_538
; %bb.535:                              ;   in Loop: Header=BB202_376 Depth=1
	v_and_b32_e32 v11, 0x7f, v15
	v_mov_b32_e32 v16, 0x7f800001
	v_mov_b32_e32 v17, 0
	v_cmp_ne_u32_e64 s[0:1], s29, v11
	s_and_saveexec_b64 s[18:19], s[0:1]
	s_cbranch_execz .LBB202_537
; %bb.536:                              ;   in Loop: Header=BB202_376 Depth=1
	v_and_b32_e32 v7, 7, v15
	v_lshrrev_b32_e32 v8, 3, v11
	v_cmp_gt_u32_e64 s[0:1], 8, v11
	v_ffbh_u32_e32 v11, v7
	v_min_u32_e32 v11, 32, v11
	v_subrev_u32_e32 v16, 28, v11
	v_lshlrev_b64 v[16:17], v16, v[15:16]
	v_sub_u32_e32 v11, 29, v11
	v_and_b32_e32 v16, 7, v16
	v_cndmask_b32_e64 v8, v8, v11, s[0:1]
	v_cndmask_b32_e64 v7, v7, v16, s[0:1]
	v_lshlrev_b32_e32 v7, 20, v7
	v_and_b32_sdwa v11, sext(v15), s30 dst_sel:DWORD dst_unused:UNUSED_PAD src0_sel:BYTE_0 src1_sel:DWORD
	v_lshl_add_u32 v8, v8, 23, v27
	v_or3_b32 v16, v11, v8, v7
	v_mov_b32_e32 v17, v5
.LBB202_537:                            ;   in Loop: Header=BB202_376 Depth=1
	s_or_b64 exec, exec, s[18:19]
.LBB202_538:                            ;   in Loop: Header=BB202_376 Depth=1
	s_or_b64 exec, exec, s[16:17]
.LBB202_539:                            ;   in Loop: Header=BB202_376 Depth=1
	s_or_b64 exec, exec, s[12:13]
	v_cmp_ne_u16_sdwa s[0:1], v15, v5 src0_sel:BYTE_1 src1_sel:DWORD
	s_and_saveexec_b64 s[12:13], s[0:1]
	s_cbranch_execz .LBB202_545
; %bb.540:                              ;   in Loop: Header=BB202_376 Depth=1
	v_mov_b32_e32 v19, v6
	v_cmp_ne_u16_sdwa s[0:1], v15, s28 src0_sel:BYTE_1 src1_sel:DWORD
	v_mov_b32_e32 v18, v5
	s_and_saveexec_b64 s[16:17], s[0:1]
	s_cbranch_execz .LBB202_544
; %bb.541:                              ;   in Loop: Header=BB202_376 Depth=1
	v_and_b32_sdwa v20, v15, s29 dst_sel:DWORD dst_unused:UNUSED_PAD src0_sel:BYTE_1 src1_sel:DWORD
	v_mov_b32_e32 v11, v5
	v_mov_b32_e32 v19, v12
	v_cmp_ne_u32_e64 s[0:1], s29, v20
	v_mov_b32_e32 v18, v11
	s_and_saveexec_b64 s[18:19], s[0:1]
	s_cbranch_execz .LBB202_543
; %bb.542:                              ;   in Loop: Header=BB202_376 Depth=1
	v_and_b32_sdwa v18, v15, v24 dst_sel:DWORD dst_unused:UNUSED_PAD src0_sel:BYTE_1 src1_sel:DWORD
	v_ffbh_u32_e32 v8, v18
	v_min_u32_e32 v8, 32, v8
	v_mov_b32_e32 v19, v5
	v_subrev_u32_e32 v11, 28, v8
	v_lshrrev_b32_e32 v7, 3, v20
	v_cmp_gt_u32_e64 s[0:1], 8, v20
	v_lshlrev_b64 v[19:20], v11, v[18:19]
	v_sub_u32_e32 v8, 29, v8
	v_and_b32_e32 v11, 7, v19
	v_cndmask_b32_e64 v7, v7, v8, s[0:1]
	v_cndmask_b32_e64 v8, v18, v11, s[0:1]
	v_lshlrev_b32_e32 v11, 16, v15
	v_lshl_add_u32 v7, v7, 23, v27
	v_and_or_b32 v7, v11, s30, v7
	v_lshlrev_b32_e32 v8, 20, v8
	v_or_b32_e32 v19, v7, v8
	v_mov_b32_e32 v18, v5
.LBB202_543:                            ;   in Loop: Header=BB202_376 Depth=1
	s_or_b64 exec, exec, s[18:19]
.LBB202_544:                            ;   in Loop: Header=BB202_376 Depth=1
	s_or_b64 exec, exec, s[16:17]
.LBB202_545:                            ;   in Loop: Header=BB202_376 Depth=1
	s_or_b64 exec, exec, s[12:13]
	v_lshrrev_b32_e32 v11, 16, v15
	v_mov_b32_e32 v22, 0
	v_mov_b32_e32 v20, 0
	;; [unrolled: 1-line block ×4, first 2 shown]
	v_cmp_ne_u16_sdwa s[0:1], v11, v5 src0_sel:BYTE_0 src1_sel:DWORD
	s_and_saveexec_b64 s[12:13], s[0:1]
	s_cbranch_execz .LBB202_551
; %bb.546:                              ;   in Loop: Header=BB202_376 Depth=1
	v_bfrev_b32_e32 v20, 1
	v_mov_b32_e32 v21, 0
	v_cmp_ne_u16_sdwa s[0:1], v11, s28 src0_sel:BYTE_0 src1_sel:DWORD
	s_and_saveexec_b64 s[16:17], s[0:1]
	s_cbranch_execz .LBB202_550
; %bb.547:                              ;   in Loop: Header=BB202_376 Depth=1
	v_bfe_u32 v27, v15, 16, 7
	v_mov_b32_e32 v20, 0x7f800001
	v_bfrev_b32_e32 v29, 60
	v_mov_b32_e32 v21, 0
	v_cmp_ne_u32_e64 s[0:1], s29, v27
	s_and_saveexec_b64 s[18:19], s[0:1]
	s_cbranch_execz .LBB202_549
; %bb.548:                              ;   in Loop: Header=BB202_376 Depth=1
	v_and_b32_e32 v7, 7, v11
	v_ffbh_u32_e32 v20, v7
	v_lshrrev_b32_e32 v8, 3, v27
	v_cmp_gt_u32_e64 s[0:1], 8, v27
	v_min_u32_e32 v27, 32, v20
	v_subrev_u32_e32 v20, 28, v27
	v_lshlrev_b64 v[20:21], v20, v[11:12]
	v_sub_u32_e32 v21, 29, v27
	v_and_b32_e32 v20, 7, v20
	v_cndmask_b32_e64 v8, v8, v21, s[0:1]
	v_cndmask_b32_e64 v7, v7, v20, s[0:1]
	v_lshlrev_b32_e32 v7, 20, v7
	v_and_b32_sdwa v11, sext(v11), s30 dst_sel:DWORD dst_unused:UNUSED_PAD src0_sel:BYTE_0 src1_sel:DWORD
	v_lshl_add_u32 v8, v8, 23, v29
	v_or3_b32 v20, v11, v8, v7
	v_mov_b32_e32 v21, v5
.LBB202_549:                            ;   in Loop: Header=BB202_376 Depth=1
	s_or_b64 exec, exec, s[18:19]
	v_bfrev_b32_e32 v27, 60
.LBB202_550:                            ;   in Loop: Header=BB202_376 Depth=1
	s_or_b64 exec, exec, s[16:17]
.LBB202_551:                            ;   in Loop: Header=BB202_376 Depth=1
	s_or_b64 exec, exec, s[12:13]
	v_cmp_lt_u32_e64 s[0:1], s31, v15
	s_and_saveexec_b64 s[12:13], s[0:1]
	s_cbranch_execz .LBB202_557
; %bb.552:                              ;   in Loop: Header=BB202_376 Depth=1
	v_mov_b32_e32 v23, v6
	v_cmp_ne_u32_sdwa s[0:1], v15, s28 src0_sel:BYTE_3 src1_sel:DWORD
	v_mov_b32_e32 v22, v5
	s_and_saveexec_b64 s[16:17], s[0:1]
	s_cbranch_execz .LBB202_556
; %bb.553:                              ;   in Loop: Header=BB202_376 Depth=1
	v_bfe_u32 v29, v15, 24, 7
	v_mov_b32_e32 v11, v5
	v_mov_b32_e32 v23, v12
	v_cmp_ne_u32_e64 s[0:1], s29, v29
	v_mov_b32_e32 v22, v11
	s_and_saveexec_b64 s[18:19], s[0:1]
	s_cbranch_execz .LBB202_555
; %bb.554:                              ;   in Loop: Header=BB202_376 Depth=1
	v_and_b32_sdwa v22, v15, v24 dst_sel:DWORD dst_unused:UNUSED_PAD src0_sel:BYTE_3 src1_sel:DWORD
	v_ffbh_u32_e32 v8, v22
	v_min_u32_e32 v8, 32, v8
	v_mov_b32_e32 v23, v5
	v_subrev_u32_e32 v11, 28, v8
	v_lshrrev_b32_e32 v7, 3, v29
	v_cmp_gt_u32_e64 s[0:1], 8, v29
	v_lshlrev_b64 v[29:30], v11, v[22:23]
	v_sub_u32_e32 v8, 29, v8
	v_and_b32_e32 v11, 7, v29
	v_cndmask_b32_e64 v7, v7, v8, s[0:1]
	v_cndmask_b32_e64 v8, v22, v11, s[0:1]
	v_mov_b32_e32 v11, 24
	v_lshlrev_b32_sdwa v11, v11, v15 dst_sel:DWORD dst_unused:UNUSED_PAD src0_sel:DWORD src1_sel:BYTE_3
	v_lshl_add_u32 v7, v7, 23, v27
	v_and_or_b32 v7, v11, s30, v7
	v_lshlrev_b32_e32 v8, 20, v8
	v_or_b32_e32 v23, v7, v8
	v_mov_b32_e32 v22, v5
.LBB202_555:                            ;   in Loop: Header=BB202_376 Depth=1
	s_or_b64 exec, exec, s[18:19]
.LBB202_556:                            ;   in Loop: Header=BB202_376 Depth=1
	s_or_b64 exec, exec, s[16:17]
.LBB202_557:                            ;   in Loop: Header=BB202_376 Depth=1
	s_or_b64 exec, exec, s[12:13]
	v_or_b32_e32 v7, v19, v17
	v_or_b32_e32 v8, v18, v16
	v_mul_f32_e32 v29, s38, v7
	v_mul_f32_e32 v32, s37, v8
	v_or_b32_e32 v7, v23, v21
	v_or_b32_e32 v8, v22, v20
	v_mul_f32_e32 v31, s37, v8
	v_mul_f32_e32 v30, s38, v7
	s_and_saveexec_b64 s[12:13], vcc
; %bb.558:                              ;   in Loop: Header=BB202_376 Depth=1
	v_cmp_gt_i32_e64 s[0:1], s33, v52
	v_cndmask_b32_e64 v32, 0, v32, s[0:1]
	v_cmp_gt_i32_e64 s[0:1], s33, v55
	v_cndmask_b32_e64 v29, 0, v29, s[0:1]
	;; [unrolled: 2-line block ×4, first 2 shown]
; %bb.559:                              ;   in Loop: Header=BB202_376 Depth=1
	s_or_b64 exec, exec, s[12:13]
	global_load_dword v15, v[13:14], off offset:1792
	v_mov_b32_e32 v18, 0
	v_mov_b32_e32 v16, 0
	;; [unrolled: 1-line block ×4, first 2 shown]
	s_waitcnt vmcnt(0)
	v_cmp_ne_u16_sdwa s[0:1], v15, v5 src0_sel:BYTE_0 src1_sel:DWORD
	s_and_saveexec_b64 s[12:13], s[0:1]
	s_cbranch_execz .LBB202_565
; %bb.560:                              ;   in Loop: Header=BB202_376 Depth=1
	v_bfrev_b32_e32 v16, 1
	v_mov_b32_e32 v17, 0
	v_cmp_ne_u16_sdwa s[0:1], v15, s28 src0_sel:BYTE_0 src1_sel:DWORD
	s_and_saveexec_b64 s[16:17], s[0:1]
	s_cbranch_execz .LBB202_564
; %bb.561:                              ;   in Loop: Header=BB202_376 Depth=1
	v_and_b32_e32 v11, 0x7f, v15
	v_mov_b32_e32 v16, 0x7f800001
	v_mov_b32_e32 v17, 0
	v_cmp_ne_u32_e64 s[0:1], s29, v11
	s_and_saveexec_b64 s[18:19], s[0:1]
	s_cbranch_execz .LBB202_563
; %bb.562:                              ;   in Loop: Header=BB202_376 Depth=1
	v_and_b32_e32 v7, 7, v15
	v_lshrrev_b32_e32 v8, 3, v11
	v_cmp_gt_u32_e64 s[0:1], 8, v11
	v_ffbh_u32_e32 v11, v7
	v_min_u32_e32 v11, 32, v11
	v_subrev_u32_e32 v16, 28, v11
	v_lshlrev_b64 v[16:17], v16, v[15:16]
	v_sub_u32_e32 v11, 29, v11
	v_and_b32_e32 v16, 7, v16
	v_cndmask_b32_e64 v8, v8, v11, s[0:1]
	v_cndmask_b32_e64 v7, v7, v16, s[0:1]
	v_lshlrev_b32_e32 v7, 20, v7
	v_and_b32_sdwa v11, sext(v15), s30 dst_sel:DWORD dst_unused:UNUSED_PAD src0_sel:BYTE_0 src1_sel:DWORD
	v_lshl_add_u32 v8, v8, 23, v27
	v_or3_b32 v16, v11, v8, v7
	v_mov_b32_e32 v17, v5
.LBB202_563:                            ;   in Loop: Header=BB202_376 Depth=1
	s_or_b64 exec, exec, s[18:19]
.LBB202_564:                            ;   in Loop: Header=BB202_376 Depth=1
	s_or_b64 exec, exec, s[16:17]
.LBB202_565:                            ;   in Loop: Header=BB202_376 Depth=1
	s_or_b64 exec, exec, s[12:13]
	v_cmp_ne_u16_sdwa s[0:1], v15, v5 src0_sel:BYTE_1 src1_sel:DWORD
	s_and_saveexec_b64 s[12:13], s[0:1]
	s_cbranch_execz .LBB202_571
; %bb.566:                              ;   in Loop: Header=BB202_376 Depth=1
	v_mov_b32_e32 v19, v6
	v_cmp_ne_u16_sdwa s[0:1], v15, s28 src0_sel:BYTE_1 src1_sel:DWORD
	v_mov_b32_e32 v18, v5
	s_and_saveexec_b64 s[16:17], s[0:1]
	s_cbranch_execz .LBB202_570
; %bb.567:                              ;   in Loop: Header=BB202_376 Depth=1
	v_and_b32_sdwa v20, v15, s29 dst_sel:DWORD dst_unused:UNUSED_PAD src0_sel:BYTE_1 src1_sel:DWORD
	v_mov_b32_e32 v11, v5
	v_mov_b32_e32 v19, v12
	v_cmp_ne_u32_e64 s[0:1], s29, v20
	v_mov_b32_e32 v18, v11
	s_and_saveexec_b64 s[18:19], s[0:1]
	s_cbranch_execz .LBB202_569
; %bb.568:                              ;   in Loop: Header=BB202_376 Depth=1
	v_and_b32_sdwa v18, v15, v24 dst_sel:DWORD dst_unused:UNUSED_PAD src0_sel:BYTE_1 src1_sel:DWORD
	v_ffbh_u32_e32 v8, v18
	v_min_u32_e32 v8, 32, v8
	v_mov_b32_e32 v19, v5
	v_subrev_u32_e32 v11, 28, v8
	v_lshrrev_b32_e32 v7, 3, v20
	v_cmp_gt_u32_e64 s[0:1], 8, v20
	v_lshlrev_b64 v[19:20], v11, v[18:19]
	v_sub_u32_e32 v8, 29, v8
	v_and_b32_e32 v11, 7, v19
	v_cndmask_b32_e64 v7, v7, v8, s[0:1]
	v_cndmask_b32_e64 v8, v18, v11, s[0:1]
	v_lshlrev_b32_e32 v11, 16, v15
	v_lshl_add_u32 v7, v7, 23, v27
	v_and_or_b32 v7, v11, s30, v7
	v_lshlrev_b32_e32 v8, 20, v8
	v_or_b32_e32 v19, v7, v8
	v_mov_b32_e32 v18, v5
.LBB202_569:                            ;   in Loop: Header=BB202_376 Depth=1
	s_or_b64 exec, exec, s[18:19]
.LBB202_570:                            ;   in Loop: Header=BB202_376 Depth=1
	s_or_b64 exec, exec, s[16:17]
.LBB202_571:                            ;   in Loop: Header=BB202_376 Depth=1
	s_or_b64 exec, exec, s[12:13]
	v_lshrrev_b32_e32 v11, 16, v15
	v_mov_b32_e32 v22, 0
	v_mov_b32_e32 v20, 0
	;; [unrolled: 1-line block ×4, first 2 shown]
	v_cmp_ne_u16_sdwa s[0:1], v11, v5 src0_sel:BYTE_0 src1_sel:DWORD
	s_and_saveexec_b64 s[12:13], s[0:1]
	s_cbranch_execz .LBB202_577
; %bb.572:                              ;   in Loop: Header=BB202_376 Depth=1
	v_bfrev_b32_e32 v20, 1
	v_mov_b32_e32 v21, 0
	v_cmp_ne_u16_sdwa s[0:1], v11, s28 src0_sel:BYTE_0 src1_sel:DWORD
	s_and_saveexec_b64 s[16:17], s[0:1]
	s_cbranch_execz .LBB202_576
; %bb.573:                              ;   in Loop: Header=BB202_376 Depth=1
	v_bfe_u32 v27, v15, 16, 7
	v_mov_b32_e32 v20, 0x7f800001
	v_bfrev_b32_e32 v33, 60
	v_mov_b32_e32 v21, 0
	v_cmp_ne_u32_e64 s[0:1], s29, v27
	s_and_saveexec_b64 s[18:19], s[0:1]
	s_cbranch_execz .LBB202_575
; %bb.574:                              ;   in Loop: Header=BB202_376 Depth=1
	v_and_b32_e32 v7, 7, v11
	v_ffbh_u32_e32 v20, v7
	v_lshrrev_b32_e32 v8, 3, v27
	v_cmp_gt_u32_e64 s[0:1], 8, v27
	v_min_u32_e32 v27, 32, v20
	v_subrev_u32_e32 v20, 28, v27
	v_lshlrev_b64 v[20:21], v20, v[11:12]
	v_sub_u32_e32 v21, 29, v27
	v_and_b32_e32 v20, 7, v20
	v_cndmask_b32_e64 v8, v8, v21, s[0:1]
	v_cndmask_b32_e64 v7, v7, v20, s[0:1]
	v_lshlrev_b32_e32 v7, 20, v7
	v_and_b32_sdwa v11, sext(v11), s30 dst_sel:DWORD dst_unused:UNUSED_PAD src0_sel:BYTE_0 src1_sel:DWORD
	v_lshl_add_u32 v8, v8, 23, v33
	v_or3_b32 v20, v11, v8, v7
	v_mov_b32_e32 v21, v5
.LBB202_575:                            ;   in Loop: Header=BB202_376 Depth=1
	s_or_b64 exec, exec, s[18:19]
	v_bfrev_b32_e32 v27, 60
.LBB202_576:                            ;   in Loop: Header=BB202_376 Depth=1
	s_or_b64 exec, exec, s[16:17]
.LBB202_577:                            ;   in Loop: Header=BB202_376 Depth=1
	s_or_b64 exec, exec, s[12:13]
	v_cmp_lt_u32_e64 s[0:1], s31, v15
	s_and_saveexec_b64 s[12:13], s[0:1]
	s_cbranch_execz .LBB202_583
; %bb.578:                              ;   in Loop: Header=BB202_376 Depth=1
	v_mov_b32_e32 v23, v6
	v_cmp_ne_u32_sdwa s[0:1], v15, s28 src0_sel:BYTE_3 src1_sel:DWORD
	v_mov_b32_e32 v22, v5
	s_and_saveexec_b64 s[16:17], s[0:1]
	s_cbranch_execz .LBB202_582
; %bb.579:                              ;   in Loop: Header=BB202_376 Depth=1
	v_bfe_u32 v33, v15, 24, 7
	v_mov_b32_e32 v11, v5
	v_mov_b32_e32 v23, v12
	v_cmp_ne_u32_e64 s[0:1], s29, v33
	v_mov_b32_e32 v22, v11
	s_and_saveexec_b64 s[18:19], s[0:1]
	s_cbranch_execz .LBB202_581
; %bb.580:                              ;   in Loop: Header=BB202_376 Depth=1
	v_and_b32_sdwa v22, v15, v24 dst_sel:DWORD dst_unused:UNUSED_PAD src0_sel:BYTE_3 src1_sel:DWORD
	v_ffbh_u32_e32 v8, v22
	v_min_u32_e32 v8, 32, v8
	v_mov_b32_e32 v23, v5
	v_subrev_u32_e32 v11, 28, v8
	v_lshrrev_b32_e32 v7, 3, v33
	v_cmp_gt_u32_e64 s[0:1], 8, v33
	v_lshlrev_b64 v[33:34], v11, v[22:23]
	v_sub_u32_e32 v8, 29, v8
	v_and_b32_e32 v11, 7, v33
	v_cndmask_b32_e64 v7, v7, v8, s[0:1]
	v_cndmask_b32_e64 v8, v22, v11, s[0:1]
	v_mov_b32_e32 v11, 24
	v_lshlrev_b32_sdwa v11, v11, v15 dst_sel:DWORD dst_unused:UNUSED_PAD src0_sel:DWORD src1_sel:BYTE_3
	v_lshl_add_u32 v7, v7, 23, v27
	v_and_or_b32 v7, v11, s30, v7
	v_lshlrev_b32_e32 v8, 20, v8
	v_or_b32_e32 v23, v7, v8
	v_mov_b32_e32 v22, v5
.LBB202_581:                            ;   in Loop: Header=BB202_376 Depth=1
	s_or_b64 exec, exec, s[18:19]
.LBB202_582:                            ;   in Loop: Header=BB202_376 Depth=1
	s_or_b64 exec, exec, s[16:17]
.LBB202_583:                            ;   in Loop: Header=BB202_376 Depth=1
	s_or_b64 exec, exec, s[12:13]
	v_or_b32_e32 v7, v19, v17
	v_or_b32_e32 v8, v18, v16
	v_mul_f32_e32 v33, s38, v7
	v_mul_f32_e32 v36, s37, v8
	v_or_b32_e32 v7, v23, v21
	v_or_b32_e32 v8, v22, v20
	v_mul_f32_e32 v35, s37, v8
	v_mul_f32_e32 v34, s38, v7
	s_and_saveexec_b64 s[12:13], vcc
; %bb.584:                              ;   in Loop: Header=BB202_376 Depth=1
	v_cmp_gt_i32_e64 s[0:1], s33, v52
	v_cndmask_b32_e64 v36, 0, v36, s[0:1]
	v_cmp_gt_i32_e64 s[0:1], s33, v55
	v_cndmask_b32_e64 v33, 0, v33, s[0:1]
	;; [unrolled: 2-line block ×4, first 2 shown]
; %bb.585:                              ;   in Loop: Header=BB202_376 Depth=1
	s_or_b64 exec, exec, s[12:13]
	global_load_dword v15, v[13:14], off offset:2048
	v_mov_b32_e32 v18, 0
	v_mov_b32_e32 v16, 0
	;; [unrolled: 1-line block ×4, first 2 shown]
	s_waitcnt vmcnt(0)
	v_cmp_ne_u16_sdwa s[0:1], v15, v5 src0_sel:BYTE_0 src1_sel:DWORD
	s_and_saveexec_b64 s[12:13], s[0:1]
	s_cbranch_execz .LBB202_591
; %bb.586:                              ;   in Loop: Header=BB202_376 Depth=1
	v_bfrev_b32_e32 v16, 1
	v_mov_b32_e32 v17, 0
	v_cmp_ne_u16_sdwa s[0:1], v15, s28 src0_sel:BYTE_0 src1_sel:DWORD
	s_and_saveexec_b64 s[16:17], s[0:1]
	s_cbranch_execz .LBB202_590
; %bb.587:                              ;   in Loop: Header=BB202_376 Depth=1
	v_and_b32_e32 v11, 0x7f, v15
	v_mov_b32_e32 v16, 0x7f800001
	v_mov_b32_e32 v17, 0
	v_cmp_ne_u32_e64 s[0:1], s29, v11
	s_and_saveexec_b64 s[18:19], s[0:1]
	s_cbranch_execz .LBB202_589
; %bb.588:                              ;   in Loop: Header=BB202_376 Depth=1
	v_and_b32_e32 v7, 7, v15
	v_lshrrev_b32_e32 v8, 3, v11
	v_cmp_gt_u32_e64 s[0:1], 8, v11
	v_ffbh_u32_e32 v11, v7
	v_min_u32_e32 v11, 32, v11
	v_subrev_u32_e32 v16, 28, v11
	v_lshlrev_b64 v[16:17], v16, v[15:16]
	v_sub_u32_e32 v11, 29, v11
	v_and_b32_e32 v16, 7, v16
	v_cndmask_b32_e64 v8, v8, v11, s[0:1]
	v_cndmask_b32_e64 v7, v7, v16, s[0:1]
	v_lshlrev_b32_e32 v7, 20, v7
	v_and_b32_sdwa v11, sext(v15), s30 dst_sel:DWORD dst_unused:UNUSED_PAD src0_sel:BYTE_0 src1_sel:DWORD
	v_lshl_add_u32 v8, v8, 23, v27
	v_or3_b32 v16, v11, v8, v7
	v_mov_b32_e32 v17, v5
.LBB202_589:                            ;   in Loop: Header=BB202_376 Depth=1
	s_or_b64 exec, exec, s[18:19]
.LBB202_590:                            ;   in Loop: Header=BB202_376 Depth=1
	s_or_b64 exec, exec, s[16:17]
.LBB202_591:                            ;   in Loop: Header=BB202_376 Depth=1
	s_or_b64 exec, exec, s[12:13]
	v_cmp_ne_u16_sdwa s[0:1], v15, v5 src0_sel:BYTE_1 src1_sel:DWORD
	s_and_saveexec_b64 s[12:13], s[0:1]
	s_cbranch_execz .LBB202_597
; %bb.592:                              ;   in Loop: Header=BB202_376 Depth=1
	v_mov_b32_e32 v19, v6
	v_cmp_ne_u16_sdwa s[0:1], v15, s28 src0_sel:BYTE_1 src1_sel:DWORD
	v_mov_b32_e32 v18, v5
	s_and_saveexec_b64 s[16:17], s[0:1]
	s_cbranch_execz .LBB202_596
; %bb.593:                              ;   in Loop: Header=BB202_376 Depth=1
	v_and_b32_sdwa v20, v15, s29 dst_sel:DWORD dst_unused:UNUSED_PAD src0_sel:BYTE_1 src1_sel:DWORD
	v_mov_b32_e32 v11, v5
	v_mov_b32_e32 v19, v12
	v_cmp_ne_u32_e64 s[0:1], s29, v20
	v_mov_b32_e32 v18, v11
	s_and_saveexec_b64 s[18:19], s[0:1]
	s_cbranch_execz .LBB202_595
; %bb.594:                              ;   in Loop: Header=BB202_376 Depth=1
	v_and_b32_sdwa v18, v15, v24 dst_sel:DWORD dst_unused:UNUSED_PAD src0_sel:BYTE_1 src1_sel:DWORD
	v_ffbh_u32_e32 v8, v18
	v_min_u32_e32 v8, 32, v8
	v_mov_b32_e32 v19, v5
	v_subrev_u32_e32 v11, 28, v8
	v_lshrrev_b32_e32 v7, 3, v20
	v_cmp_gt_u32_e64 s[0:1], 8, v20
	v_lshlrev_b64 v[19:20], v11, v[18:19]
	v_sub_u32_e32 v8, 29, v8
	v_and_b32_e32 v11, 7, v19
	v_cndmask_b32_e64 v7, v7, v8, s[0:1]
	v_cndmask_b32_e64 v8, v18, v11, s[0:1]
	v_lshlrev_b32_e32 v11, 16, v15
	v_lshl_add_u32 v7, v7, 23, v27
	v_and_or_b32 v7, v11, s30, v7
	v_lshlrev_b32_e32 v8, 20, v8
	v_or_b32_e32 v19, v7, v8
	v_mov_b32_e32 v18, v5
.LBB202_595:                            ;   in Loop: Header=BB202_376 Depth=1
	s_or_b64 exec, exec, s[18:19]
.LBB202_596:                            ;   in Loop: Header=BB202_376 Depth=1
	s_or_b64 exec, exec, s[16:17]
.LBB202_597:                            ;   in Loop: Header=BB202_376 Depth=1
	s_or_b64 exec, exec, s[12:13]
	v_lshrrev_b32_e32 v11, 16, v15
	v_mov_b32_e32 v22, 0
	v_mov_b32_e32 v20, 0
	;; [unrolled: 1-line block ×4, first 2 shown]
	v_cmp_ne_u16_sdwa s[0:1], v11, v5 src0_sel:BYTE_0 src1_sel:DWORD
	s_and_saveexec_b64 s[12:13], s[0:1]
	s_cbranch_execz .LBB202_603
; %bb.598:                              ;   in Loop: Header=BB202_376 Depth=1
	v_bfrev_b32_e32 v20, 1
	v_mov_b32_e32 v21, 0
	v_cmp_ne_u16_sdwa s[0:1], v11, s28 src0_sel:BYTE_0 src1_sel:DWORD
	s_and_saveexec_b64 s[16:17], s[0:1]
	s_cbranch_execz .LBB202_602
; %bb.599:                              ;   in Loop: Header=BB202_376 Depth=1
	v_bfe_u32 v27, v15, 16, 7
	v_mov_b32_e32 v20, 0x7f800001
	v_bfrev_b32_e32 v37, 60
	v_mov_b32_e32 v21, 0
	v_cmp_ne_u32_e64 s[0:1], s29, v27
	s_and_saveexec_b64 s[18:19], s[0:1]
	s_cbranch_execz .LBB202_601
; %bb.600:                              ;   in Loop: Header=BB202_376 Depth=1
	v_and_b32_e32 v7, 7, v11
	v_ffbh_u32_e32 v20, v7
	v_lshrrev_b32_e32 v8, 3, v27
	v_cmp_gt_u32_e64 s[0:1], 8, v27
	v_min_u32_e32 v27, 32, v20
	v_subrev_u32_e32 v20, 28, v27
	v_lshlrev_b64 v[20:21], v20, v[11:12]
	v_sub_u32_e32 v21, 29, v27
	v_and_b32_e32 v20, 7, v20
	v_cndmask_b32_e64 v8, v8, v21, s[0:1]
	v_cndmask_b32_e64 v7, v7, v20, s[0:1]
	v_lshlrev_b32_e32 v7, 20, v7
	v_and_b32_sdwa v11, sext(v11), s30 dst_sel:DWORD dst_unused:UNUSED_PAD src0_sel:BYTE_0 src1_sel:DWORD
	v_lshl_add_u32 v8, v8, 23, v37
	v_or3_b32 v20, v11, v8, v7
	v_mov_b32_e32 v21, v5
.LBB202_601:                            ;   in Loop: Header=BB202_376 Depth=1
	s_or_b64 exec, exec, s[18:19]
	v_bfrev_b32_e32 v27, 60
.LBB202_602:                            ;   in Loop: Header=BB202_376 Depth=1
	s_or_b64 exec, exec, s[16:17]
.LBB202_603:                            ;   in Loop: Header=BB202_376 Depth=1
	s_or_b64 exec, exec, s[12:13]
	v_cmp_lt_u32_e64 s[0:1], s31, v15
	s_and_saveexec_b64 s[12:13], s[0:1]
	s_cbranch_execz .LBB202_609
; %bb.604:                              ;   in Loop: Header=BB202_376 Depth=1
	v_mov_b32_e32 v23, v6
	v_cmp_ne_u32_sdwa s[0:1], v15, s28 src0_sel:BYTE_3 src1_sel:DWORD
	v_mov_b32_e32 v22, v5
	s_and_saveexec_b64 s[16:17], s[0:1]
	s_cbranch_execz .LBB202_608
; %bb.605:                              ;   in Loop: Header=BB202_376 Depth=1
	v_bfe_u32 v37, v15, 24, 7
	v_mov_b32_e32 v11, v5
	v_mov_b32_e32 v23, v12
	v_cmp_ne_u32_e64 s[0:1], s29, v37
	v_mov_b32_e32 v22, v11
	s_and_saveexec_b64 s[18:19], s[0:1]
	s_cbranch_execz .LBB202_607
; %bb.606:                              ;   in Loop: Header=BB202_376 Depth=1
	v_and_b32_sdwa v22, v15, v24 dst_sel:DWORD dst_unused:UNUSED_PAD src0_sel:BYTE_3 src1_sel:DWORD
	v_ffbh_u32_e32 v8, v22
	v_min_u32_e32 v8, 32, v8
	v_mov_b32_e32 v23, v5
	v_subrev_u32_e32 v11, 28, v8
	v_lshrrev_b32_e32 v7, 3, v37
	v_cmp_gt_u32_e64 s[0:1], 8, v37
	v_lshlrev_b64 v[37:38], v11, v[22:23]
	v_sub_u32_e32 v8, 29, v8
	v_and_b32_e32 v11, 7, v37
	v_cndmask_b32_e64 v7, v7, v8, s[0:1]
	v_cndmask_b32_e64 v8, v22, v11, s[0:1]
	v_mov_b32_e32 v11, 24
	v_lshlrev_b32_sdwa v11, v11, v15 dst_sel:DWORD dst_unused:UNUSED_PAD src0_sel:DWORD src1_sel:BYTE_3
	v_lshl_add_u32 v7, v7, 23, v27
	v_and_or_b32 v7, v11, s30, v7
	v_lshlrev_b32_e32 v8, 20, v8
	v_or_b32_e32 v23, v7, v8
	v_mov_b32_e32 v22, v5
.LBB202_607:                            ;   in Loop: Header=BB202_376 Depth=1
	s_or_b64 exec, exec, s[18:19]
.LBB202_608:                            ;   in Loop: Header=BB202_376 Depth=1
	s_or_b64 exec, exec, s[16:17]
.LBB202_609:                            ;   in Loop: Header=BB202_376 Depth=1
	s_or_b64 exec, exec, s[12:13]
	v_or_b32_e32 v7, v19, v17
	v_or_b32_e32 v8, v18, v16
	v_mul_f32_e32 v37, s38, v7
	v_mul_f32_e32 v40, s37, v8
	v_or_b32_e32 v7, v23, v21
	v_or_b32_e32 v8, v22, v20
	v_mul_f32_e32 v39, s37, v8
	v_mul_f32_e32 v38, s38, v7
	s_and_saveexec_b64 s[12:13], vcc
; %bb.610:                              ;   in Loop: Header=BB202_376 Depth=1
	v_cmp_gt_i32_e64 s[0:1], s33, v52
	v_cndmask_b32_e64 v40, 0, v40, s[0:1]
	v_cmp_gt_i32_e64 s[0:1], s33, v55
	v_cndmask_b32_e64 v37, 0, v37, s[0:1]
	;; [unrolled: 2-line block ×4, first 2 shown]
; %bb.611:                              ;   in Loop: Header=BB202_376 Depth=1
	s_or_b64 exec, exec, s[12:13]
	global_load_dword v15, v[13:14], off offset:2304
	v_mov_b32_e32 v18, 0
	v_mov_b32_e32 v16, 0
	;; [unrolled: 1-line block ×4, first 2 shown]
	s_waitcnt vmcnt(0)
	v_cmp_ne_u16_sdwa s[0:1], v15, v5 src0_sel:BYTE_0 src1_sel:DWORD
	s_and_saveexec_b64 s[12:13], s[0:1]
	s_cbranch_execz .LBB202_617
; %bb.612:                              ;   in Loop: Header=BB202_376 Depth=1
	v_bfrev_b32_e32 v16, 1
	v_mov_b32_e32 v17, 0
	v_cmp_ne_u16_sdwa s[0:1], v15, s28 src0_sel:BYTE_0 src1_sel:DWORD
	s_and_saveexec_b64 s[16:17], s[0:1]
	s_cbranch_execz .LBB202_616
; %bb.613:                              ;   in Loop: Header=BB202_376 Depth=1
	v_and_b32_e32 v11, 0x7f, v15
	v_mov_b32_e32 v16, 0x7f800001
	v_mov_b32_e32 v17, 0
	v_cmp_ne_u32_e64 s[0:1], s29, v11
	s_and_saveexec_b64 s[18:19], s[0:1]
	s_cbranch_execz .LBB202_615
; %bb.614:                              ;   in Loop: Header=BB202_376 Depth=1
	v_and_b32_e32 v7, 7, v15
	v_lshrrev_b32_e32 v8, 3, v11
	v_cmp_gt_u32_e64 s[0:1], 8, v11
	v_ffbh_u32_e32 v11, v7
	v_min_u32_e32 v11, 32, v11
	v_subrev_u32_e32 v16, 28, v11
	v_lshlrev_b64 v[16:17], v16, v[15:16]
	v_sub_u32_e32 v11, 29, v11
	v_and_b32_e32 v16, 7, v16
	v_cndmask_b32_e64 v8, v8, v11, s[0:1]
	v_cndmask_b32_e64 v7, v7, v16, s[0:1]
	v_lshlrev_b32_e32 v7, 20, v7
	v_and_b32_sdwa v11, sext(v15), s30 dst_sel:DWORD dst_unused:UNUSED_PAD src0_sel:BYTE_0 src1_sel:DWORD
	v_lshl_add_u32 v8, v8, 23, v27
	v_or3_b32 v16, v11, v8, v7
	v_mov_b32_e32 v17, v5
.LBB202_615:                            ;   in Loop: Header=BB202_376 Depth=1
	s_or_b64 exec, exec, s[18:19]
.LBB202_616:                            ;   in Loop: Header=BB202_376 Depth=1
	s_or_b64 exec, exec, s[16:17]
.LBB202_617:                            ;   in Loop: Header=BB202_376 Depth=1
	s_or_b64 exec, exec, s[12:13]
	v_cmp_ne_u16_sdwa s[0:1], v15, v5 src0_sel:BYTE_1 src1_sel:DWORD
	s_and_saveexec_b64 s[12:13], s[0:1]
	s_cbranch_execz .LBB202_623
; %bb.618:                              ;   in Loop: Header=BB202_376 Depth=1
	v_mov_b32_e32 v19, v6
	v_cmp_ne_u16_sdwa s[0:1], v15, s28 src0_sel:BYTE_1 src1_sel:DWORD
	v_mov_b32_e32 v18, v5
	s_and_saveexec_b64 s[16:17], s[0:1]
	s_cbranch_execz .LBB202_622
; %bb.619:                              ;   in Loop: Header=BB202_376 Depth=1
	v_and_b32_sdwa v20, v15, s29 dst_sel:DWORD dst_unused:UNUSED_PAD src0_sel:BYTE_1 src1_sel:DWORD
	v_mov_b32_e32 v11, v5
	v_mov_b32_e32 v19, v12
	v_cmp_ne_u32_e64 s[0:1], s29, v20
	v_mov_b32_e32 v18, v11
	s_and_saveexec_b64 s[18:19], s[0:1]
	s_cbranch_execz .LBB202_621
; %bb.620:                              ;   in Loop: Header=BB202_376 Depth=1
	v_and_b32_sdwa v18, v15, v24 dst_sel:DWORD dst_unused:UNUSED_PAD src0_sel:BYTE_1 src1_sel:DWORD
	v_ffbh_u32_e32 v8, v18
	v_min_u32_e32 v8, 32, v8
	v_mov_b32_e32 v19, v5
	v_subrev_u32_e32 v11, 28, v8
	v_lshrrev_b32_e32 v7, 3, v20
	v_cmp_gt_u32_e64 s[0:1], 8, v20
	v_lshlrev_b64 v[19:20], v11, v[18:19]
	v_sub_u32_e32 v8, 29, v8
	v_and_b32_e32 v11, 7, v19
	v_cndmask_b32_e64 v7, v7, v8, s[0:1]
	v_cndmask_b32_e64 v8, v18, v11, s[0:1]
	v_lshlrev_b32_e32 v11, 16, v15
	v_lshl_add_u32 v7, v7, 23, v27
	v_and_or_b32 v7, v11, s30, v7
	v_lshlrev_b32_e32 v8, 20, v8
	v_or_b32_e32 v19, v7, v8
	v_mov_b32_e32 v18, v5
.LBB202_621:                            ;   in Loop: Header=BB202_376 Depth=1
	s_or_b64 exec, exec, s[18:19]
.LBB202_622:                            ;   in Loop: Header=BB202_376 Depth=1
	s_or_b64 exec, exec, s[16:17]
.LBB202_623:                            ;   in Loop: Header=BB202_376 Depth=1
	s_or_b64 exec, exec, s[12:13]
	v_lshrrev_b32_e32 v11, 16, v15
	v_mov_b32_e32 v22, 0
	v_mov_b32_e32 v20, 0
	;; [unrolled: 1-line block ×4, first 2 shown]
	v_cmp_ne_u16_sdwa s[0:1], v11, v5 src0_sel:BYTE_0 src1_sel:DWORD
	s_and_saveexec_b64 s[12:13], s[0:1]
	s_cbranch_execz .LBB202_629
; %bb.624:                              ;   in Loop: Header=BB202_376 Depth=1
	v_bfrev_b32_e32 v20, 1
	v_mov_b32_e32 v21, 0
	v_cmp_ne_u16_sdwa s[0:1], v11, s28 src0_sel:BYTE_0 src1_sel:DWORD
	s_and_saveexec_b64 s[16:17], s[0:1]
	s_cbranch_execz .LBB202_628
; %bb.625:                              ;   in Loop: Header=BB202_376 Depth=1
	v_bfe_u32 v27, v15, 16, 7
	v_mov_b32_e32 v20, 0x7f800001
	v_bfrev_b32_e32 v41, 60
	v_mov_b32_e32 v21, 0
	v_cmp_ne_u32_e64 s[0:1], s29, v27
	s_and_saveexec_b64 s[18:19], s[0:1]
	s_cbranch_execz .LBB202_627
; %bb.626:                              ;   in Loop: Header=BB202_376 Depth=1
	v_and_b32_e32 v7, 7, v11
	v_ffbh_u32_e32 v20, v7
	v_lshrrev_b32_e32 v8, 3, v27
	v_cmp_gt_u32_e64 s[0:1], 8, v27
	v_min_u32_e32 v27, 32, v20
	v_subrev_u32_e32 v20, 28, v27
	v_lshlrev_b64 v[20:21], v20, v[11:12]
	v_sub_u32_e32 v21, 29, v27
	v_and_b32_e32 v20, 7, v20
	v_cndmask_b32_e64 v8, v8, v21, s[0:1]
	v_cndmask_b32_e64 v7, v7, v20, s[0:1]
	v_lshlrev_b32_e32 v7, 20, v7
	v_and_b32_sdwa v11, sext(v11), s30 dst_sel:DWORD dst_unused:UNUSED_PAD src0_sel:BYTE_0 src1_sel:DWORD
	v_lshl_add_u32 v8, v8, 23, v41
	v_or3_b32 v20, v11, v8, v7
	v_mov_b32_e32 v21, v5
.LBB202_627:                            ;   in Loop: Header=BB202_376 Depth=1
	s_or_b64 exec, exec, s[18:19]
	v_bfrev_b32_e32 v27, 60
.LBB202_628:                            ;   in Loop: Header=BB202_376 Depth=1
	s_or_b64 exec, exec, s[16:17]
.LBB202_629:                            ;   in Loop: Header=BB202_376 Depth=1
	s_or_b64 exec, exec, s[12:13]
	v_cmp_lt_u32_e64 s[0:1], s31, v15
	s_and_saveexec_b64 s[12:13], s[0:1]
	s_cbranch_execz .LBB202_635
; %bb.630:                              ;   in Loop: Header=BB202_376 Depth=1
	v_mov_b32_e32 v23, v6
	v_cmp_ne_u32_sdwa s[0:1], v15, s28 src0_sel:BYTE_3 src1_sel:DWORD
	v_mov_b32_e32 v22, v5
	s_and_saveexec_b64 s[16:17], s[0:1]
	s_cbranch_execz .LBB202_634
; %bb.631:                              ;   in Loop: Header=BB202_376 Depth=1
	v_bfe_u32 v41, v15, 24, 7
	v_mov_b32_e32 v11, v5
	v_mov_b32_e32 v23, v12
	v_cmp_ne_u32_e64 s[0:1], s29, v41
	v_mov_b32_e32 v22, v11
	s_and_saveexec_b64 s[18:19], s[0:1]
	s_cbranch_execz .LBB202_633
; %bb.632:                              ;   in Loop: Header=BB202_376 Depth=1
	v_and_b32_sdwa v22, v15, v24 dst_sel:DWORD dst_unused:UNUSED_PAD src0_sel:BYTE_3 src1_sel:DWORD
	v_ffbh_u32_e32 v8, v22
	v_min_u32_e32 v8, 32, v8
	v_mov_b32_e32 v23, v5
	v_subrev_u32_e32 v11, 28, v8
	v_lshlrev_b64 v[48:49], v11, v[22:23]
	v_lshrrev_b32_e32 v7, 3, v41
	v_cmp_gt_u32_e64 s[0:1], 8, v41
	v_sub_u32_e32 v8, 29, v8
	v_and_b32_e32 v11, 7, v48
	v_cndmask_b32_e64 v7, v7, v8, s[0:1]
	v_cndmask_b32_e64 v8, v22, v11, s[0:1]
	v_mov_b32_e32 v11, 24
	v_lshlrev_b32_sdwa v11, v11, v15 dst_sel:DWORD dst_unused:UNUSED_PAD src0_sel:DWORD src1_sel:BYTE_3
	v_lshl_add_u32 v7, v7, 23, v27
	v_and_or_b32 v7, v11, s30, v7
	v_lshlrev_b32_e32 v8, 20, v8
	v_or_b32_e32 v23, v7, v8
	v_mov_b32_e32 v22, v5
.LBB202_633:                            ;   in Loop: Header=BB202_376 Depth=1
	s_or_b64 exec, exec, s[18:19]
.LBB202_634:                            ;   in Loop: Header=BB202_376 Depth=1
	s_or_b64 exec, exec, s[16:17]
.LBB202_635:                            ;   in Loop: Header=BB202_376 Depth=1
	s_or_b64 exec, exec, s[12:13]
	v_or_b32_e32 v7, v19, v17
	v_or_b32_e32 v8, v18, v16
	v_mul_f32_e32 v41, s38, v7
	v_mul_f32_e32 v50, s37, v8
	v_or_b32_e32 v7, v23, v21
	v_or_b32_e32 v8, v22, v20
	v_mul_f32_e32 v49, s37, v8
	v_mul_f32_e32 v48, s38, v7
	s_and_saveexec_b64 s[12:13], vcc
; %bb.636:                              ;   in Loop: Header=BB202_376 Depth=1
	v_cmp_gt_i32_e64 s[0:1], s33, v52
	v_cndmask_b32_e64 v50, 0, v50, s[0:1]
	v_cmp_gt_i32_e64 s[0:1], s33, v55
	v_cndmask_b32_e64 v41, 0, v41, s[0:1]
	;; [unrolled: 2-line block ×4, first 2 shown]
; %bb.637:                              ;   in Loop: Header=BB202_376 Depth=1
	s_or_b64 exec, exec, s[12:13]
	global_load_dword v15, v[13:14], off offset:2560
	v_mov_b32_e32 v18, 0
	v_mov_b32_e32 v16, 0
	;; [unrolled: 1-line block ×4, first 2 shown]
	s_waitcnt vmcnt(0)
	v_cmp_ne_u16_sdwa s[0:1], v15, v5 src0_sel:BYTE_0 src1_sel:DWORD
	s_and_saveexec_b64 s[12:13], s[0:1]
	s_cbranch_execz .LBB202_643
; %bb.638:                              ;   in Loop: Header=BB202_376 Depth=1
	v_bfrev_b32_e32 v16, 1
	v_mov_b32_e32 v17, 0
	v_cmp_ne_u16_sdwa s[0:1], v15, s28 src0_sel:BYTE_0 src1_sel:DWORD
	s_and_saveexec_b64 s[16:17], s[0:1]
	s_cbranch_execz .LBB202_642
; %bb.639:                              ;   in Loop: Header=BB202_376 Depth=1
	v_and_b32_e32 v11, 0x7f, v15
	v_mov_b32_e32 v16, 0x7f800001
	v_mov_b32_e32 v17, 0
	v_cmp_ne_u32_e64 s[0:1], s29, v11
	s_and_saveexec_b64 s[18:19], s[0:1]
	s_cbranch_execz .LBB202_641
; %bb.640:                              ;   in Loop: Header=BB202_376 Depth=1
	v_and_b32_e32 v7, 7, v15
	v_lshrrev_b32_e32 v8, 3, v11
	v_cmp_gt_u32_e64 s[0:1], 8, v11
	v_ffbh_u32_e32 v11, v7
	v_min_u32_e32 v11, 32, v11
	v_subrev_u32_e32 v16, 28, v11
	v_lshlrev_b64 v[16:17], v16, v[15:16]
	v_sub_u32_e32 v11, 29, v11
	v_and_b32_e32 v16, 7, v16
	v_cndmask_b32_e64 v8, v8, v11, s[0:1]
	v_cndmask_b32_e64 v7, v7, v16, s[0:1]
	v_lshlrev_b32_e32 v7, 20, v7
	v_and_b32_sdwa v11, sext(v15), s30 dst_sel:DWORD dst_unused:UNUSED_PAD src0_sel:BYTE_0 src1_sel:DWORD
	v_lshl_add_u32 v8, v8, 23, v27
	v_or3_b32 v16, v11, v8, v7
	v_mov_b32_e32 v17, v5
.LBB202_641:                            ;   in Loop: Header=BB202_376 Depth=1
	s_or_b64 exec, exec, s[18:19]
.LBB202_642:                            ;   in Loop: Header=BB202_376 Depth=1
	s_or_b64 exec, exec, s[16:17]
.LBB202_643:                            ;   in Loop: Header=BB202_376 Depth=1
	s_or_b64 exec, exec, s[12:13]
	v_cmp_ne_u16_sdwa s[0:1], v15, v5 src0_sel:BYTE_1 src1_sel:DWORD
	s_and_saveexec_b64 s[12:13], s[0:1]
	s_cbranch_execz .LBB202_649
; %bb.644:                              ;   in Loop: Header=BB202_376 Depth=1
	v_mov_b32_e32 v19, v6
	v_cmp_ne_u16_sdwa s[0:1], v15, s28 src0_sel:BYTE_1 src1_sel:DWORD
	v_mov_b32_e32 v18, v5
	s_and_saveexec_b64 s[16:17], s[0:1]
	s_cbranch_execz .LBB202_648
; %bb.645:                              ;   in Loop: Header=BB202_376 Depth=1
	v_and_b32_sdwa v20, v15, s29 dst_sel:DWORD dst_unused:UNUSED_PAD src0_sel:BYTE_1 src1_sel:DWORD
	v_mov_b32_e32 v11, v5
	v_mov_b32_e32 v19, v12
	v_cmp_ne_u32_e64 s[0:1], s29, v20
	v_mov_b32_e32 v18, v11
	s_and_saveexec_b64 s[18:19], s[0:1]
	s_cbranch_execz .LBB202_647
; %bb.646:                              ;   in Loop: Header=BB202_376 Depth=1
	v_and_b32_sdwa v18, v15, v24 dst_sel:DWORD dst_unused:UNUSED_PAD src0_sel:BYTE_1 src1_sel:DWORD
	v_ffbh_u32_e32 v8, v18
	v_min_u32_e32 v8, 32, v8
	v_mov_b32_e32 v19, v5
	v_subrev_u32_e32 v11, 28, v8
	v_lshrrev_b32_e32 v7, 3, v20
	v_cmp_gt_u32_e64 s[0:1], 8, v20
	v_lshlrev_b64 v[19:20], v11, v[18:19]
	v_sub_u32_e32 v8, 29, v8
	v_and_b32_e32 v11, 7, v19
	v_cndmask_b32_e64 v7, v7, v8, s[0:1]
	v_cndmask_b32_e64 v8, v18, v11, s[0:1]
	v_lshlrev_b32_e32 v11, 16, v15
	v_lshl_add_u32 v7, v7, 23, v27
	v_and_or_b32 v7, v11, s30, v7
	v_lshlrev_b32_e32 v8, 20, v8
	v_or_b32_e32 v19, v7, v8
	v_mov_b32_e32 v18, v5
.LBB202_647:                            ;   in Loop: Header=BB202_376 Depth=1
	s_or_b64 exec, exec, s[18:19]
.LBB202_648:                            ;   in Loop: Header=BB202_376 Depth=1
	s_or_b64 exec, exec, s[16:17]
.LBB202_649:                            ;   in Loop: Header=BB202_376 Depth=1
	s_or_b64 exec, exec, s[12:13]
	v_lshrrev_b32_e32 v11, 16, v15
	v_mov_b32_e32 v22, 0
	v_mov_b32_e32 v20, 0
	;; [unrolled: 1-line block ×4, first 2 shown]
	v_cmp_ne_u16_sdwa s[0:1], v11, v5 src0_sel:BYTE_0 src1_sel:DWORD
	s_and_saveexec_b64 s[12:13], s[0:1]
	s_cbranch_execz .LBB202_655
; %bb.650:                              ;   in Loop: Header=BB202_376 Depth=1
	v_bfrev_b32_e32 v20, 1
	v_mov_b32_e32 v21, 0
	v_cmp_ne_u16_sdwa s[0:1], v11, s28 src0_sel:BYTE_0 src1_sel:DWORD
	s_and_saveexec_b64 s[16:17], s[0:1]
	s_cbranch_execz .LBB202_654
; %bb.651:                              ;   in Loop: Header=BB202_376 Depth=1
	v_bfe_u32 v27, v15, 16, 7
	v_mov_b32_e32 v20, 0x7f800001
	v_bfrev_b32_e32 v45, 60
	v_mov_b32_e32 v21, 0
	v_cmp_ne_u32_e64 s[0:1], s29, v27
	s_and_saveexec_b64 s[18:19], s[0:1]
	s_cbranch_execz .LBB202_653
; %bb.652:                              ;   in Loop: Header=BB202_376 Depth=1
	v_and_b32_e32 v7, 7, v11
	v_ffbh_u32_e32 v20, v7
	v_lshrrev_b32_e32 v8, 3, v27
	v_cmp_gt_u32_e64 s[0:1], 8, v27
	v_min_u32_e32 v27, 32, v20
	v_subrev_u32_e32 v20, 28, v27
	v_lshlrev_b64 v[20:21], v20, v[11:12]
	v_sub_u32_e32 v21, 29, v27
	v_and_b32_e32 v20, 7, v20
	v_cndmask_b32_e64 v8, v8, v21, s[0:1]
	v_cndmask_b32_e64 v7, v7, v20, s[0:1]
	v_lshlrev_b32_e32 v7, 20, v7
	v_and_b32_sdwa v11, sext(v11), s30 dst_sel:DWORD dst_unused:UNUSED_PAD src0_sel:BYTE_0 src1_sel:DWORD
	v_lshl_add_u32 v8, v8, 23, v45
	v_or3_b32 v20, v11, v8, v7
	v_mov_b32_e32 v21, v5
.LBB202_653:                            ;   in Loop: Header=BB202_376 Depth=1
	s_or_b64 exec, exec, s[18:19]
	v_bfrev_b32_e32 v27, 60
.LBB202_654:                            ;   in Loop: Header=BB202_376 Depth=1
	s_or_b64 exec, exec, s[16:17]
.LBB202_655:                            ;   in Loop: Header=BB202_376 Depth=1
	s_or_b64 exec, exec, s[12:13]
	v_cmp_lt_u32_e64 s[0:1], s31, v15
	s_and_saveexec_b64 s[12:13], s[0:1]
	s_cbranch_execz .LBB202_661
; %bb.656:                              ;   in Loop: Header=BB202_376 Depth=1
	v_mov_b32_e32 v23, v6
	v_cmp_ne_u32_sdwa s[0:1], v15, s28 src0_sel:BYTE_3 src1_sel:DWORD
	v_mov_b32_e32 v22, v5
	s_and_saveexec_b64 s[16:17], s[0:1]
	s_cbranch_execz .LBB202_660
; %bb.657:                              ;   in Loop: Header=BB202_376 Depth=1
	v_bfe_u32 v45, v15, 24, 7
	v_mov_b32_e32 v11, v5
	v_mov_b32_e32 v23, v12
	v_cmp_ne_u32_e64 s[0:1], s29, v45
	v_mov_b32_e32 v22, v11
	s_and_saveexec_b64 s[18:19], s[0:1]
	s_cbranch_execz .LBB202_659
; %bb.658:                              ;   in Loop: Header=BB202_376 Depth=1
	v_and_b32_sdwa v22, v15, v24 dst_sel:DWORD dst_unused:UNUSED_PAD src0_sel:BYTE_3 src1_sel:DWORD
	v_ffbh_u32_e32 v8, v22
	v_min_u32_e32 v8, 32, v8
	v_mov_b32_e32 v23, v5
	v_subrev_u32_e32 v11, 28, v8
	v_lshlrev_b64 v[56:57], v11, v[22:23]
	v_lshrrev_b32_e32 v7, 3, v45
	v_cmp_gt_u32_e64 s[0:1], 8, v45
	v_sub_u32_e32 v8, 29, v8
	v_and_b32_e32 v11, 7, v56
	v_cndmask_b32_e64 v7, v7, v8, s[0:1]
	v_cndmask_b32_e64 v8, v22, v11, s[0:1]
	v_mov_b32_e32 v11, 24
	v_lshlrev_b32_sdwa v11, v11, v15 dst_sel:DWORD dst_unused:UNUSED_PAD src0_sel:DWORD src1_sel:BYTE_3
	v_lshl_add_u32 v7, v7, 23, v27
	v_and_or_b32 v7, v11, s30, v7
	v_lshlrev_b32_e32 v8, 20, v8
	v_or_b32_e32 v23, v7, v8
	v_mov_b32_e32 v22, v5
.LBB202_659:                            ;   in Loop: Header=BB202_376 Depth=1
	s_or_b64 exec, exec, s[18:19]
.LBB202_660:                            ;   in Loop: Header=BB202_376 Depth=1
	s_or_b64 exec, exec, s[16:17]
.LBB202_661:                            ;   in Loop: Header=BB202_376 Depth=1
	s_or_b64 exec, exec, s[12:13]
	v_or_b32_e32 v7, v19, v17
	v_or_b32_e32 v8, v18, v16
	v_mul_f32_e32 v51, s38, v7
	v_mul_f32_e32 v57, s37, v8
	v_or_b32_e32 v7, v23, v21
	v_or_b32_e32 v8, v22, v20
	v_mul_f32_e32 v56, s37, v8
	v_mul_f32_e32 v45, s38, v7
	s_and_saveexec_b64 s[12:13], vcc
; %bb.662:                              ;   in Loop: Header=BB202_376 Depth=1
	v_cmp_gt_i32_e64 s[0:1], s33, v52
	v_cndmask_b32_e64 v57, 0, v57, s[0:1]
	v_cmp_gt_i32_e64 s[0:1], s33, v55
	v_cndmask_b32_e64 v51, 0, v51, s[0:1]
	;; [unrolled: 2-line block ×4, first 2 shown]
; %bb.663:                              ;   in Loop: Header=BB202_376 Depth=1
	s_or_b64 exec, exec, s[12:13]
	global_load_dword v15, v[13:14], off offset:2816
	v_mov_b32_e32 v18, 0
	v_mov_b32_e32 v16, 0
	;; [unrolled: 1-line block ×4, first 2 shown]
	s_waitcnt vmcnt(0)
	v_cmp_ne_u16_sdwa s[0:1], v15, v5 src0_sel:BYTE_0 src1_sel:DWORD
	s_and_saveexec_b64 s[12:13], s[0:1]
	s_cbranch_execz .LBB202_669
; %bb.664:                              ;   in Loop: Header=BB202_376 Depth=1
	v_bfrev_b32_e32 v16, 1
	v_mov_b32_e32 v17, 0
	v_cmp_ne_u16_sdwa s[0:1], v15, s28 src0_sel:BYTE_0 src1_sel:DWORD
	s_and_saveexec_b64 s[16:17], s[0:1]
	s_cbranch_execz .LBB202_668
; %bb.665:                              ;   in Loop: Header=BB202_376 Depth=1
	v_and_b32_e32 v11, 0x7f, v15
	v_mov_b32_e32 v16, 0x7f800001
	v_mov_b32_e32 v17, 0
	v_cmp_ne_u32_e64 s[0:1], s29, v11
	s_and_saveexec_b64 s[18:19], s[0:1]
	s_cbranch_execz .LBB202_667
; %bb.666:                              ;   in Loop: Header=BB202_376 Depth=1
	v_and_b32_e32 v7, 7, v15
	v_lshrrev_b32_e32 v8, 3, v11
	v_cmp_gt_u32_e64 s[0:1], 8, v11
	v_ffbh_u32_e32 v11, v7
	v_min_u32_e32 v11, 32, v11
	v_subrev_u32_e32 v16, 28, v11
	v_lshlrev_b64 v[16:17], v16, v[15:16]
	v_sub_u32_e32 v11, 29, v11
	v_and_b32_e32 v16, 7, v16
	v_cndmask_b32_e64 v8, v8, v11, s[0:1]
	v_cndmask_b32_e64 v7, v7, v16, s[0:1]
	v_lshlrev_b32_e32 v7, 20, v7
	v_and_b32_sdwa v11, sext(v15), s30 dst_sel:DWORD dst_unused:UNUSED_PAD src0_sel:BYTE_0 src1_sel:DWORD
	v_lshl_add_u32 v8, v8, 23, v27
	v_or3_b32 v16, v11, v8, v7
	v_mov_b32_e32 v17, v5
.LBB202_667:                            ;   in Loop: Header=BB202_376 Depth=1
	s_or_b64 exec, exec, s[18:19]
.LBB202_668:                            ;   in Loop: Header=BB202_376 Depth=1
	s_or_b64 exec, exec, s[16:17]
.LBB202_669:                            ;   in Loop: Header=BB202_376 Depth=1
	s_or_b64 exec, exec, s[12:13]
	v_cmp_ne_u16_sdwa s[0:1], v15, v5 src0_sel:BYTE_1 src1_sel:DWORD
	s_and_saveexec_b64 s[12:13], s[0:1]
	s_cbranch_execz .LBB202_675
; %bb.670:                              ;   in Loop: Header=BB202_376 Depth=1
	v_mov_b32_e32 v19, v6
	v_cmp_ne_u16_sdwa s[0:1], v15, s28 src0_sel:BYTE_1 src1_sel:DWORD
	v_mov_b32_e32 v18, v5
	s_and_saveexec_b64 s[16:17], s[0:1]
	s_cbranch_execz .LBB202_674
; %bb.671:                              ;   in Loop: Header=BB202_376 Depth=1
	v_and_b32_sdwa v20, v15, s29 dst_sel:DWORD dst_unused:UNUSED_PAD src0_sel:BYTE_1 src1_sel:DWORD
	v_mov_b32_e32 v11, v5
	v_mov_b32_e32 v19, v12
	v_cmp_ne_u32_e64 s[0:1], s29, v20
	v_mov_b32_e32 v18, v11
	s_and_saveexec_b64 s[18:19], s[0:1]
	s_cbranch_execz .LBB202_673
; %bb.672:                              ;   in Loop: Header=BB202_376 Depth=1
	v_and_b32_sdwa v18, v15, v24 dst_sel:DWORD dst_unused:UNUSED_PAD src0_sel:BYTE_1 src1_sel:DWORD
	v_ffbh_u32_e32 v8, v18
	v_min_u32_e32 v8, 32, v8
	v_mov_b32_e32 v19, v5
	v_subrev_u32_e32 v11, 28, v8
	v_lshrrev_b32_e32 v7, 3, v20
	v_cmp_gt_u32_e64 s[0:1], 8, v20
	v_lshlrev_b64 v[19:20], v11, v[18:19]
	v_sub_u32_e32 v8, 29, v8
	v_and_b32_e32 v11, 7, v19
	v_cndmask_b32_e64 v7, v7, v8, s[0:1]
	v_cndmask_b32_e64 v8, v18, v11, s[0:1]
	v_lshlrev_b32_e32 v11, 16, v15
	v_lshl_add_u32 v7, v7, 23, v27
	v_and_or_b32 v7, v11, s30, v7
	v_lshlrev_b32_e32 v8, 20, v8
	v_or_b32_e32 v19, v7, v8
	v_mov_b32_e32 v18, v5
.LBB202_673:                            ;   in Loop: Header=BB202_376 Depth=1
	s_or_b64 exec, exec, s[18:19]
.LBB202_674:                            ;   in Loop: Header=BB202_376 Depth=1
	s_or_b64 exec, exec, s[16:17]
.LBB202_675:                            ;   in Loop: Header=BB202_376 Depth=1
	s_or_b64 exec, exec, s[12:13]
	v_lshrrev_b32_e32 v11, 16, v15
	v_mov_b32_e32 v22, 0
	v_mov_b32_e32 v20, 0
	;; [unrolled: 1-line block ×4, first 2 shown]
	v_cmp_ne_u16_sdwa s[0:1], v11, v5 src0_sel:BYTE_0 src1_sel:DWORD
	s_and_saveexec_b64 s[12:13], s[0:1]
	s_cbranch_execz .LBB202_681
; %bb.676:                              ;   in Loop: Header=BB202_376 Depth=1
	v_bfrev_b32_e32 v20, 1
	v_mov_b32_e32 v21, 0
	v_cmp_ne_u16_sdwa s[0:1], v11, s28 src0_sel:BYTE_0 src1_sel:DWORD
	s_and_saveexec_b64 s[16:17], s[0:1]
	s_cbranch_execz .LBB202_680
; %bb.677:                              ;   in Loop: Header=BB202_376 Depth=1
	v_bfe_u32 v27, v15, 16, 7
	v_mov_b32_e32 v20, 0x7f800001
	v_bfrev_b32_e32 v58, 60
	v_mov_b32_e32 v21, 0
	v_cmp_ne_u32_e64 s[0:1], s29, v27
	s_and_saveexec_b64 s[18:19], s[0:1]
	s_cbranch_execz .LBB202_679
; %bb.678:                              ;   in Loop: Header=BB202_376 Depth=1
	v_and_b32_e32 v7, 7, v11
	v_ffbh_u32_e32 v20, v7
	v_lshrrev_b32_e32 v8, 3, v27
	v_cmp_gt_u32_e64 s[0:1], 8, v27
	v_min_u32_e32 v27, 32, v20
	v_subrev_u32_e32 v20, 28, v27
	v_lshlrev_b64 v[20:21], v20, v[11:12]
	v_sub_u32_e32 v21, 29, v27
	v_and_b32_e32 v20, 7, v20
	v_cndmask_b32_e64 v8, v8, v21, s[0:1]
	v_cndmask_b32_e64 v7, v7, v20, s[0:1]
	v_lshlrev_b32_e32 v7, 20, v7
	v_and_b32_sdwa v11, sext(v11), s30 dst_sel:DWORD dst_unused:UNUSED_PAD src0_sel:BYTE_0 src1_sel:DWORD
	v_lshl_add_u32 v8, v8, 23, v58
	v_or3_b32 v20, v11, v8, v7
	v_mov_b32_e32 v21, v5
.LBB202_679:                            ;   in Loop: Header=BB202_376 Depth=1
	s_or_b64 exec, exec, s[18:19]
	v_bfrev_b32_e32 v27, 60
.LBB202_680:                            ;   in Loop: Header=BB202_376 Depth=1
	s_or_b64 exec, exec, s[16:17]
.LBB202_681:                            ;   in Loop: Header=BB202_376 Depth=1
	s_or_b64 exec, exec, s[12:13]
	v_cmp_lt_u32_e64 s[0:1], s31, v15
	s_and_saveexec_b64 s[12:13], s[0:1]
	s_cbranch_execz .LBB202_687
; %bb.682:                              ;   in Loop: Header=BB202_376 Depth=1
	v_mov_b32_e32 v23, v6
	v_cmp_ne_u32_sdwa s[0:1], v15, s28 src0_sel:BYTE_3 src1_sel:DWORD
	v_mov_b32_e32 v22, v5
	s_and_saveexec_b64 s[16:17], s[0:1]
	s_cbranch_execz .LBB202_686
; %bb.683:                              ;   in Loop: Header=BB202_376 Depth=1
	v_bfe_u32 v58, v15, 24, 7
	v_mov_b32_e32 v11, v5
	v_mov_b32_e32 v23, v12
	v_cmp_ne_u32_e64 s[0:1], s29, v58
	v_mov_b32_e32 v22, v11
	s_and_saveexec_b64 s[18:19], s[0:1]
	s_cbranch_execz .LBB202_685
; %bb.684:                              ;   in Loop: Header=BB202_376 Depth=1
	v_and_b32_sdwa v22, v15, v24 dst_sel:DWORD dst_unused:UNUSED_PAD src0_sel:BYTE_3 src1_sel:DWORD
	v_ffbh_u32_e32 v8, v22
	v_min_u32_e32 v8, 32, v8
	v_mov_b32_e32 v23, v5
	v_subrev_u32_e32 v11, 28, v8
	v_lshrrev_b32_e32 v7, 3, v58
	v_cmp_gt_u32_e64 s[0:1], 8, v58
	v_lshlrev_b64 v[58:59], v11, v[22:23]
	v_sub_u32_e32 v8, 29, v8
	v_and_b32_e32 v11, 7, v58
	v_cndmask_b32_e64 v7, v7, v8, s[0:1]
	v_cndmask_b32_e64 v8, v22, v11, s[0:1]
	v_mov_b32_e32 v11, 24
	v_lshlrev_b32_sdwa v11, v11, v15 dst_sel:DWORD dst_unused:UNUSED_PAD src0_sel:DWORD src1_sel:BYTE_3
	v_lshl_add_u32 v7, v7, 23, v27
	v_and_or_b32 v7, v11, s30, v7
	v_lshlrev_b32_e32 v8, 20, v8
	v_or_b32_e32 v23, v7, v8
	v_mov_b32_e32 v22, v5
.LBB202_685:                            ;   in Loop: Header=BB202_376 Depth=1
	s_or_b64 exec, exec, s[18:19]
.LBB202_686:                            ;   in Loop: Header=BB202_376 Depth=1
	s_or_b64 exec, exec, s[16:17]
.LBB202_687:                            ;   in Loop: Header=BB202_376 Depth=1
	s_or_b64 exec, exec, s[12:13]
	v_or_b32_e32 v7, v19, v17
	v_or_b32_e32 v8, v18, v16
	v_mul_f32_e32 v58, s38, v7
	v_mul_f32_e32 v61, s37, v8
	v_or_b32_e32 v7, v23, v21
	v_or_b32_e32 v8, v22, v20
	v_mul_f32_e32 v60, s37, v8
	v_mul_f32_e32 v59, s38, v7
	s_and_saveexec_b64 s[12:13], vcc
; %bb.688:                              ;   in Loop: Header=BB202_376 Depth=1
	v_cmp_gt_i32_e64 s[0:1], s33, v52
	v_cndmask_b32_e64 v61, 0, v61, s[0:1]
	v_cmp_gt_i32_e64 s[0:1], s33, v55
	v_cndmask_b32_e64 v58, 0, v58, s[0:1]
	;; [unrolled: 2-line block ×4, first 2 shown]
; %bb.689:                              ;   in Loop: Header=BB202_376 Depth=1
	s_or_b64 exec, exec, s[12:13]
	global_load_dword v15, v[13:14], off offset:3072
	v_mov_b32_e32 v18, 0
	v_mov_b32_e32 v16, 0
	;; [unrolled: 1-line block ×4, first 2 shown]
	s_waitcnt vmcnt(0)
	v_cmp_ne_u16_sdwa s[0:1], v15, v5 src0_sel:BYTE_0 src1_sel:DWORD
	s_and_saveexec_b64 s[12:13], s[0:1]
	s_cbranch_execz .LBB202_695
; %bb.690:                              ;   in Loop: Header=BB202_376 Depth=1
	v_bfrev_b32_e32 v16, 1
	v_mov_b32_e32 v17, 0
	v_cmp_ne_u16_sdwa s[0:1], v15, s28 src0_sel:BYTE_0 src1_sel:DWORD
	s_and_saveexec_b64 s[16:17], s[0:1]
	s_cbranch_execz .LBB202_694
; %bb.691:                              ;   in Loop: Header=BB202_376 Depth=1
	v_and_b32_e32 v11, 0x7f, v15
	v_mov_b32_e32 v16, 0x7f800001
	v_mov_b32_e32 v17, 0
	v_cmp_ne_u32_e64 s[0:1], s29, v11
	s_and_saveexec_b64 s[18:19], s[0:1]
	s_cbranch_execz .LBB202_693
; %bb.692:                              ;   in Loop: Header=BB202_376 Depth=1
	v_and_b32_e32 v7, 7, v15
	v_lshrrev_b32_e32 v8, 3, v11
	v_cmp_gt_u32_e64 s[0:1], 8, v11
	v_ffbh_u32_e32 v11, v7
	v_min_u32_e32 v11, 32, v11
	v_subrev_u32_e32 v16, 28, v11
	v_lshlrev_b64 v[16:17], v16, v[15:16]
	v_sub_u32_e32 v11, 29, v11
	v_and_b32_e32 v16, 7, v16
	v_cndmask_b32_e64 v8, v8, v11, s[0:1]
	v_cndmask_b32_e64 v7, v7, v16, s[0:1]
	v_lshlrev_b32_e32 v7, 20, v7
	v_and_b32_sdwa v11, sext(v15), s30 dst_sel:DWORD dst_unused:UNUSED_PAD src0_sel:BYTE_0 src1_sel:DWORD
	v_lshl_add_u32 v8, v8, 23, v27
	v_or3_b32 v16, v11, v8, v7
	v_mov_b32_e32 v17, v5
.LBB202_693:                            ;   in Loop: Header=BB202_376 Depth=1
	s_or_b64 exec, exec, s[18:19]
.LBB202_694:                            ;   in Loop: Header=BB202_376 Depth=1
	s_or_b64 exec, exec, s[16:17]
.LBB202_695:                            ;   in Loop: Header=BB202_376 Depth=1
	s_or_b64 exec, exec, s[12:13]
	v_cmp_ne_u16_sdwa s[0:1], v15, v5 src0_sel:BYTE_1 src1_sel:DWORD
	s_and_saveexec_b64 s[12:13], s[0:1]
	s_cbranch_execz .LBB202_701
; %bb.696:                              ;   in Loop: Header=BB202_376 Depth=1
	v_mov_b32_e32 v19, v6
	v_cmp_ne_u16_sdwa s[0:1], v15, s28 src0_sel:BYTE_1 src1_sel:DWORD
	v_mov_b32_e32 v18, v5
	s_and_saveexec_b64 s[16:17], s[0:1]
	s_cbranch_execz .LBB202_700
; %bb.697:                              ;   in Loop: Header=BB202_376 Depth=1
	v_and_b32_sdwa v20, v15, s29 dst_sel:DWORD dst_unused:UNUSED_PAD src0_sel:BYTE_1 src1_sel:DWORD
	v_mov_b32_e32 v11, v5
	v_mov_b32_e32 v19, v12
	v_cmp_ne_u32_e64 s[0:1], s29, v20
	v_mov_b32_e32 v18, v11
	s_and_saveexec_b64 s[18:19], s[0:1]
	s_cbranch_execz .LBB202_699
; %bb.698:                              ;   in Loop: Header=BB202_376 Depth=1
	v_and_b32_sdwa v18, v15, v24 dst_sel:DWORD dst_unused:UNUSED_PAD src0_sel:BYTE_1 src1_sel:DWORD
	v_ffbh_u32_e32 v8, v18
	v_min_u32_e32 v8, 32, v8
	v_mov_b32_e32 v19, v5
	v_subrev_u32_e32 v11, 28, v8
	v_lshrrev_b32_e32 v7, 3, v20
	v_cmp_gt_u32_e64 s[0:1], 8, v20
	v_lshlrev_b64 v[19:20], v11, v[18:19]
	v_sub_u32_e32 v8, 29, v8
	v_and_b32_e32 v11, 7, v19
	v_cndmask_b32_e64 v7, v7, v8, s[0:1]
	v_cndmask_b32_e64 v8, v18, v11, s[0:1]
	v_lshlrev_b32_e32 v11, 16, v15
	v_lshl_add_u32 v7, v7, 23, v27
	v_and_or_b32 v7, v11, s30, v7
	v_lshlrev_b32_e32 v8, 20, v8
	v_or_b32_e32 v19, v7, v8
	v_mov_b32_e32 v18, v5
.LBB202_699:                            ;   in Loop: Header=BB202_376 Depth=1
	s_or_b64 exec, exec, s[18:19]
.LBB202_700:                            ;   in Loop: Header=BB202_376 Depth=1
	s_or_b64 exec, exec, s[16:17]
.LBB202_701:                            ;   in Loop: Header=BB202_376 Depth=1
	s_or_b64 exec, exec, s[12:13]
	v_lshrrev_b32_e32 v11, 16, v15
	v_mov_b32_e32 v22, 0
	v_mov_b32_e32 v20, 0
	;; [unrolled: 1-line block ×4, first 2 shown]
	v_cmp_ne_u16_sdwa s[0:1], v11, v5 src0_sel:BYTE_0 src1_sel:DWORD
	s_and_saveexec_b64 s[12:13], s[0:1]
	s_cbranch_execz .LBB202_707
; %bb.702:                              ;   in Loop: Header=BB202_376 Depth=1
	v_bfrev_b32_e32 v20, 1
	v_mov_b32_e32 v21, 0
	v_cmp_ne_u16_sdwa s[0:1], v11, s28 src0_sel:BYTE_0 src1_sel:DWORD
	s_and_saveexec_b64 s[16:17], s[0:1]
	s_cbranch_execz .LBB202_706
; %bb.703:                              ;   in Loop: Header=BB202_376 Depth=1
	v_bfe_u32 v27, v15, 16, 7
	v_mov_b32_e32 v20, 0x7f800001
	v_bfrev_b32_e32 v62, 60
	v_mov_b32_e32 v21, 0
	v_cmp_ne_u32_e64 s[0:1], s29, v27
	s_and_saveexec_b64 s[18:19], s[0:1]
	s_cbranch_execz .LBB202_705
; %bb.704:                              ;   in Loop: Header=BB202_376 Depth=1
	v_and_b32_e32 v7, 7, v11
	v_ffbh_u32_e32 v20, v7
	v_lshrrev_b32_e32 v8, 3, v27
	v_cmp_gt_u32_e64 s[0:1], 8, v27
	v_min_u32_e32 v27, 32, v20
	v_subrev_u32_e32 v20, 28, v27
	v_lshlrev_b64 v[20:21], v20, v[11:12]
	v_sub_u32_e32 v21, 29, v27
	v_and_b32_e32 v20, 7, v20
	v_cndmask_b32_e64 v8, v8, v21, s[0:1]
	v_cndmask_b32_e64 v7, v7, v20, s[0:1]
	v_lshlrev_b32_e32 v7, 20, v7
	v_and_b32_sdwa v11, sext(v11), s30 dst_sel:DWORD dst_unused:UNUSED_PAD src0_sel:BYTE_0 src1_sel:DWORD
	v_lshl_add_u32 v8, v8, 23, v62
	v_or3_b32 v20, v11, v8, v7
	v_mov_b32_e32 v21, v5
.LBB202_705:                            ;   in Loop: Header=BB202_376 Depth=1
	s_or_b64 exec, exec, s[18:19]
	v_bfrev_b32_e32 v27, 60
.LBB202_706:                            ;   in Loop: Header=BB202_376 Depth=1
	s_or_b64 exec, exec, s[16:17]
.LBB202_707:                            ;   in Loop: Header=BB202_376 Depth=1
	s_or_b64 exec, exec, s[12:13]
	v_cmp_lt_u32_e64 s[0:1], s31, v15
	s_and_saveexec_b64 s[12:13], s[0:1]
	s_cbranch_execz .LBB202_713
; %bb.708:                              ;   in Loop: Header=BB202_376 Depth=1
	v_mov_b32_e32 v23, v6
	v_cmp_ne_u32_sdwa s[0:1], v15, s28 src0_sel:BYTE_3 src1_sel:DWORD
	v_mov_b32_e32 v22, v5
	s_and_saveexec_b64 s[16:17], s[0:1]
	s_cbranch_execz .LBB202_712
; %bb.709:                              ;   in Loop: Header=BB202_376 Depth=1
	v_bfe_u32 v62, v15, 24, 7
	v_mov_b32_e32 v11, v5
	v_mov_b32_e32 v23, v12
	v_cmp_ne_u32_e64 s[0:1], s29, v62
	v_mov_b32_e32 v22, v11
	s_and_saveexec_b64 s[18:19], s[0:1]
	s_cbranch_execz .LBB202_711
; %bb.710:                              ;   in Loop: Header=BB202_376 Depth=1
	v_and_b32_sdwa v22, v15, v24 dst_sel:DWORD dst_unused:UNUSED_PAD src0_sel:BYTE_3 src1_sel:DWORD
	v_ffbh_u32_e32 v8, v22
	v_min_u32_e32 v8, 32, v8
	v_mov_b32_e32 v23, v5
	v_subrev_u32_e32 v11, 28, v8
	v_lshrrev_b32_e32 v7, 3, v62
	v_cmp_gt_u32_e64 s[0:1], 8, v62
	v_lshlrev_b64 v[62:63], v11, v[22:23]
	v_sub_u32_e32 v8, 29, v8
	v_and_b32_e32 v11, 7, v62
	v_cndmask_b32_e64 v7, v7, v8, s[0:1]
	v_cndmask_b32_e64 v8, v22, v11, s[0:1]
	v_mov_b32_e32 v11, 24
	v_lshlrev_b32_sdwa v11, v11, v15 dst_sel:DWORD dst_unused:UNUSED_PAD src0_sel:DWORD src1_sel:BYTE_3
	v_lshl_add_u32 v7, v7, 23, v27
	v_and_or_b32 v7, v11, s30, v7
	v_lshlrev_b32_e32 v8, 20, v8
	v_or_b32_e32 v23, v7, v8
	v_mov_b32_e32 v22, v5
.LBB202_711:                            ;   in Loop: Header=BB202_376 Depth=1
	s_or_b64 exec, exec, s[18:19]
.LBB202_712:                            ;   in Loop: Header=BB202_376 Depth=1
	s_or_b64 exec, exec, s[16:17]
.LBB202_713:                            ;   in Loop: Header=BB202_376 Depth=1
	s_or_b64 exec, exec, s[12:13]
	v_or_b32_e32 v7, v19, v17
	v_or_b32_e32 v8, v18, v16
	v_mul_f32_e32 v62, s38, v7
	v_mul_f32_e32 v63, s37, v8
	v_or_b32_e32 v7, v23, v21
	v_or_b32_e32 v8, v22, v20
	v_mul_f32_e32 v23, s37, v8
	v_mul_f32_e32 v22, s38, v7
	s_and_saveexec_b64 s[12:13], vcc
; %bb.714:                              ;   in Loop: Header=BB202_376 Depth=1
	v_cmp_gt_i32_e64 s[0:1], s33, v52
	v_cndmask_b32_e64 v63, 0, v63, s[0:1]
	v_cmp_gt_i32_e64 s[0:1], s33, v55
	v_cndmask_b32_e64 v62, 0, v62, s[0:1]
	v_cmp_gt_i32_e64 s[0:1], s33, v54
	v_cndmask_b32_e64 v23, 0, v23, s[0:1]
	v_cmp_gt_i32_e64 s[0:1], s33, v53
	v_cndmask_b32_e64 v22, 0, v22, s[0:1]
; %bb.715:                              ;   in Loop: Header=BB202_376 Depth=1
	s_or_b64 exec, exec, s[12:13]
	global_load_dword v13, v[13:14], off offset:3328
	v_mov_b32_e32 v16, 0
	v_mov_b32_e32 v14, 0
	;; [unrolled: 1-line block ×4, first 2 shown]
	s_waitcnt vmcnt(0)
	v_cmp_ne_u16_sdwa s[0:1], v13, v5 src0_sel:BYTE_0 src1_sel:DWORD
	s_and_saveexec_b64 s[12:13], s[0:1]
	s_cbranch_execz .LBB202_721
; %bb.716:                              ;   in Loop: Header=BB202_376 Depth=1
	v_bfrev_b32_e32 v14, 1
	v_mov_b32_e32 v15, 0
	v_cmp_ne_u16_sdwa s[0:1], v13, s28 src0_sel:BYTE_0 src1_sel:DWORD
	s_and_saveexec_b64 s[16:17], s[0:1]
	s_cbranch_execz .LBB202_720
; %bb.717:                              ;   in Loop: Header=BB202_376 Depth=1
	v_and_b32_e32 v11, 0x7f, v13
	v_mov_b32_e32 v14, 0x7f800001
	v_mov_b32_e32 v15, 0
	v_cmp_ne_u32_e64 s[0:1], s29, v11
	s_and_saveexec_b64 s[18:19], s[0:1]
	s_cbranch_execz .LBB202_719
; %bb.718:                              ;   in Loop: Header=BB202_376 Depth=1
	v_and_b32_e32 v7, 7, v13
	v_lshrrev_b32_e32 v8, 3, v11
	v_cmp_gt_u32_e64 s[0:1], 8, v11
	v_ffbh_u32_e32 v11, v7
	v_min_u32_e32 v11, 32, v11
	v_subrev_u32_e32 v14, 28, v11
	v_lshlrev_b64 v[14:15], v14, v[13:14]
	v_sub_u32_e32 v11, 29, v11
	v_and_b32_e32 v14, 7, v14
	v_cndmask_b32_e64 v8, v8, v11, s[0:1]
	v_cndmask_b32_e64 v7, v7, v14, s[0:1]
	v_lshlrev_b32_e32 v7, 20, v7
	v_and_b32_sdwa v11, sext(v13), s30 dst_sel:DWORD dst_unused:UNUSED_PAD src0_sel:BYTE_0 src1_sel:DWORD
	v_lshl_add_u32 v8, v8, 23, v27
	v_or3_b32 v14, v11, v8, v7
	v_mov_b32_e32 v15, v5
.LBB202_719:                            ;   in Loop: Header=BB202_376 Depth=1
	s_or_b64 exec, exec, s[18:19]
.LBB202_720:                            ;   in Loop: Header=BB202_376 Depth=1
	s_or_b64 exec, exec, s[16:17]
.LBB202_721:                            ;   in Loop: Header=BB202_376 Depth=1
	s_or_b64 exec, exec, s[12:13]
	v_cmp_ne_u16_sdwa s[0:1], v13, v5 src0_sel:BYTE_1 src1_sel:DWORD
	s_and_saveexec_b64 s[12:13], s[0:1]
	s_cbranch_execz .LBB202_727
; %bb.722:                              ;   in Loop: Header=BB202_376 Depth=1
	v_mov_b32_e32 v17, v6
	v_cmp_ne_u16_sdwa s[0:1], v13, s28 src0_sel:BYTE_1 src1_sel:DWORD
	v_mov_b32_e32 v16, v5
	s_and_saveexec_b64 s[16:17], s[0:1]
	s_cbranch_execz .LBB202_726
; %bb.723:                              ;   in Loop: Header=BB202_376 Depth=1
	v_and_b32_sdwa v18, v13, s29 dst_sel:DWORD dst_unused:UNUSED_PAD src0_sel:BYTE_1 src1_sel:DWORD
	v_mov_b32_e32 v11, v5
	v_mov_b32_e32 v17, v12
	v_cmp_ne_u32_e64 s[0:1], s29, v18
	v_mov_b32_e32 v16, v11
	s_and_saveexec_b64 s[18:19], s[0:1]
	s_cbranch_execz .LBB202_725
; %bb.724:                              ;   in Loop: Header=BB202_376 Depth=1
	v_and_b32_sdwa v16, v13, v24 dst_sel:DWORD dst_unused:UNUSED_PAD src0_sel:BYTE_1 src1_sel:DWORD
	v_ffbh_u32_e32 v8, v16
	v_min_u32_e32 v8, 32, v8
	v_mov_b32_e32 v17, v5
	v_subrev_u32_e32 v11, 28, v8
	v_lshrrev_b32_e32 v7, 3, v18
	v_cmp_gt_u32_e64 s[0:1], 8, v18
	v_lshlrev_b64 v[17:18], v11, v[16:17]
	v_sub_u32_e32 v8, 29, v8
	v_and_b32_e32 v11, 7, v17
	v_cndmask_b32_e64 v7, v7, v8, s[0:1]
	v_cndmask_b32_e64 v8, v16, v11, s[0:1]
	v_lshlrev_b32_e32 v11, 16, v13
	v_lshl_add_u32 v7, v7, 23, v27
	v_and_or_b32 v7, v11, s30, v7
	v_lshlrev_b32_e32 v8, 20, v8
	v_or_b32_e32 v17, v7, v8
	v_mov_b32_e32 v16, v5
.LBB202_725:                            ;   in Loop: Header=BB202_376 Depth=1
	s_or_b64 exec, exec, s[18:19]
.LBB202_726:                            ;   in Loop: Header=BB202_376 Depth=1
	s_or_b64 exec, exec, s[16:17]
.LBB202_727:                            ;   in Loop: Header=BB202_376 Depth=1
	s_or_b64 exec, exec, s[12:13]
	v_lshrrev_b32_e32 v11, 16, v13
	v_mov_b32_e32 v20, 0
	v_mov_b32_e32 v18, 0
	;; [unrolled: 1-line block ×4, first 2 shown]
	v_cmp_ne_u16_sdwa s[0:1], v11, v5 src0_sel:BYTE_0 src1_sel:DWORD
	s_and_saveexec_b64 s[12:13], s[0:1]
	s_cbranch_execz .LBB202_733
; %bb.728:                              ;   in Loop: Header=BB202_376 Depth=1
	v_bfrev_b32_e32 v18, 1
	v_mov_b32_e32 v19, 0
	v_cmp_ne_u16_sdwa s[0:1], v11, s28 src0_sel:BYTE_0 src1_sel:DWORD
	s_and_saveexec_b64 s[16:17], s[0:1]
	s_cbranch_execz .LBB202_732
; %bb.729:                              ;   in Loop: Header=BB202_376 Depth=1
	v_bfe_u32 v27, v13, 16, 7
	v_mov_b32_e32 v18, 0x7f800001
	v_bfrev_b32_e32 v24, 60
	v_mov_b32_e32 v19, 0
	v_cmp_ne_u32_e64 s[0:1], s29, v27
	s_and_saveexec_b64 s[18:19], s[0:1]
	s_cbranch_execz .LBB202_731
; %bb.730:                              ;   in Loop: Header=BB202_376 Depth=1
	v_and_b32_e32 v7, 7, v11
	v_ffbh_u32_e32 v18, v7
	v_lshrrev_b32_e32 v8, 3, v27
	v_cmp_gt_u32_e64 s[0:1], 8, v27
	v_min_u32_e32 v27, 32, v18
	v_subrev_u32_e32 v18, 28, v27
	v_lshlrev_b64 v[18:19], v18, v[11:12]
	v_sub_u32_e32 v19, 29, v27
	v_and_b32_e32 v18, 7, v18
	v_cndmask_b32_e64 v8, v8, v19, s[0:1]
	v_cndmask_b32_e64 v7, v7, v18, s[0:1]
	v_lshlrev_b32_e32 v7, 20, v7
	v_and_b32_sdwa v11, sext(v11), s30 dst_sel:DWORD dst_unused:UNUSED_PAD src0_sel:BYTE_0 src1_sel:DWORD
	v_lshl_add_u32 v8, v8, 23, v24
	v_or3_b32 v18, v11, v8, v7
	v_mov_b32_e32 v19, v5
.LBB202_731:                            ;   in Loop: Header=BB202_376 Depth=1
	s_or_b64 exec, exec, s[18:19]
	v_bfrev_b32_e32 v27, 60
	v_mov_b32_e32 v24, 7
.LBB202_732:                            ;   in Loop: Header=BB202_376 Depth=1
	s_or_b64 exec, exec, s[16:17]
.LBB202_733:                            ;   in Loop: Header=BB202_376 Depth=1
	s_or_b64 exec, exec, s[12:13]
	v_cmp_lt_u32_e64 s[0:1], s31, v13
	s_and_saveexec_b64 s[12:13], s[0:1]
	s_cbranch_execz .LBB202_739
; %bb.734:                              ;   in Loop: Header=BB202_376 Depth=1
	v_mov_b32_e32 v21, v6
	v_cmp_ne_u32_sdwa s[0:1], v13, s28 src0_sel:BYTE_3 src1_sel:DWORD
	v_mov_b32_e32 v20, v5
	s_and_saveexec_b64 s[16:17], s[0:1]
	s_cbranch_execz .LBB202_738
; %bb.735:                              ;   in Loop: Header=BB202_376 Depth=1
	v_bfe_u32 v27, v13, 24, 7
	v_mov_b32_e32 v11, v5
	v_mov_b32_e32 v21, v12
	;; [unrolled: 1-line block ×3, first 2 shown]
	v_bfrev_b32_e32 v24, 60
	v_cmp_ne_u32_e64 s[0:1], s29, v27
	v_mov_b32_e32 v20, v11
	s_and_saveexec_b64 s[18:19], s[0:1]
	s_cbranch_execz .LBB202_737
; %bb.736:                              ;   in Loop: Header=BB202_376 Depth=1
	v_and_b32_sdwa v20, v13, v7 dst_sel:DWORD dst_unused:UNUSED_PAD src0_sel:BYTE_3 src1_sel:DWORD
	v_ffbh_u32_e32 v7, v20
	v_lshrrev_b32_e32 v11, 3, v27
	v_cmp_gt_u32_e64 s[0:1], 8, v27
	v_min_u32_e32 v27, 32, v7
	v_mov_b32_e32 v21, v5
	v_subrev_u32_e32 v7, 28, v27
	v_lshlrev_b64 v[7:8], v7, v[20:21]
	v_sub_u32_e32 v8, 29, v27
	v_and_b32_e32 v7, 7, v7
	v_cndmask_b32_e64 v8, v11, v8, s[0:1]
	v_mov_b32_e32 v11, 24
	v_cndmask_b32_e64 v7, v20, v7, s[0:1]
	v_lshlrev_b32_sdwa v11, v11, v13 dst_sel:DWORD dst_unused:UNUSED_PAD src0_sel:DWORD src1_sel:BYTE_3
	v_lshl_add_u32 v8, v8, 23, v24
	v_and_or_b32 v8, v11, s30, v8
	v_lshlrev_b32_e32 v7, 20, v7
	v_or_b32_e32 v21, v8, v7
	v_mov_b32_e32 v20, v5
.LBB202_737:                            ;   in Loop: Header=BB202_376 Depth=1
	s_or_b64 exec, exec, s[18:19]
	v_bfrev_b32_e32 v27, 60
	v_mov_b32_e32 v24, 7
.LBB202_738:                            ;   in Loop: Header=BB202_376 Depth=1
	s_or_b64 exec, exec, s[16:17]
.LBB202_739:                            ;   in Loop: Header=BB202_376 Depth=1
	s_or_b64 exec, exec, s[12:13]
	v_or_b32_e32 v7, v17, v15
	v_or_b32_e32 v8, v16, v14
	v_mul_f32_e32 v11, s38, v7
	v_mul_f32_e32 v15, s37, v8
	v_or_b32_e32 v7, v21, v19
	v_or_b32_e32 v8, v20, v18
	v_mul_f32_e32 v14, s37, v8
	v_mul_f32_e32 v13, s38, v7
	s_and_saveexec_b64 s[0:1], vcc
	s_cbranch_execz .LBB202_374
; %bb.740:                              ;   in Loop: Header=BB202_376 Depth=1
	v_cmp_gt_i32_e32 vcc, s33, v52
	v_cndmask_b32_e32 v15, 0, v15, vcc
	v_cmp_gt_i32_e32 vcc, s33, v55
	v_cndmask_b32_e32 v11, 0, v11, vcc
	;; [unrolled: 2-line block ×4, first 2 shown]
	s_branch .LBB202_374
.LBB202_741:
	s_or_b64 exec, exec, s[4:5]
	buffer_load_dword v19, off, s[56:59], 0 offset:272 ; 4-byte Folded Reload
	buffer_load_dword v15, off, s[56:59], 0 offset:288 ; 4-byte Folded Reload
	;; [unrolled: 1-line block ×19, first 2 shown]
.LBB202_742:
	s_or_b64 exec, exec, s[2:3]
	s_waitcnt vmcnt(0)
	ds_bpermute_b32 v1, v15, v6
	ds_bpermute_b32 v0, v15, v4
	;; [unrolled: 1-line block ×5, first 2 shown]
	s_waitcnt lgkmcnt(4)
	v_add_f32_e32 v1, v6, v1
	s_waitcnt lgkmcnt(3)
	v_add_f32_e32 v0, v4, v0
	;; [unrolled: 2-line block ×3, first 2 shown]
	ds_bpermute_b32 v5, v18, v1
	ds_bpermute_b32 v4, v18, v0
	;; [unrolled: 1-line block ×3, first 2 shown]
	s_waitcnt lgkmcnt(4)
	v_add_f32_e32 v3, v10, v3
	ds_bpermute_b32 v12, v15, v23
	s_waitcnt lgkmcnt(3)
	v_add_f32_e32 v1, v1, v5
	s_waitcnt lgkmcnt(2)
	v_add_f32_e32 v0, v0, v4
	ds_bpermute_b32 v5, v20, v1
	ds_bpermute_b32 v4, v20, v0
	s_waitcnt lgkmcnt(3)
	v_add_f32_e32 v2, v2, v6
	ds_bpermute_b32 v6, v20, v2
	s_waitcnt lgkmcnt(0)
	v_add_f32_e32 v1, v1, v5
	v_add_f32_e32 v5, v8, v7
	;; [unrolled: 1-line block ×3, first 2 shown]
	ds_bpermute_b32 v4, v18, v3
	ds_bpermute_b32 v7, v18, v5
	v_add_f32_e32 v2, v2, v6
	s_waitcnt lgkmcnt(0)
	s_barrier
	v_add_f32_e32 v3, v3, v4
	v_add_f32_e32 v5, v5, v7
	ds_bpermute_b32 v4, v15, v9
	ds_bpermute_b32 v6, v20, v3
	;; [unrolled: 1-line block ×4, first 2 shown]
	s_waitcnt lgkmcnt(3)
	v_add_f32_e32 v9, v9, v4
	s_waitcnt lgkmcnt(2)
	v_add_f32_e32 v3, v3, v6
	;; [unrolled: 2-line block ×4, first 2 shown]
	ds_bpermute_b32 v8, v15, v24
	ds_bpermute_b32 v10, v18, v9
	;; [unrolled: 1-line block ×3, first 2 shown]
	s_waitcnt lgkmcnt(2)
	v_add_f32_e32 v8, v24, v8
	s_waitcnt lgkmcnt(1)
	v_add_f32_e32 v5, v9, v10
	;; [unrolled: 2-line block ×3, first 2 shown]
	ds_bpermute_b32 v7, v15, v13
	ds_bpermute_b32 v11, v18, v8
	;; [unrolled: 1-line block ×4, first 2 shown]
	s_waitcnt lgkmcnt(3)
	v_add_f32_e32 v7, v13, v7
	s_waitcnt lgkmcnt(2)
	v_add_f32_e32 v8, v8, v11
	;; [unrolled: 2-line block ×3, first 2 shown]
	ds_bpermute_b32 v9, v18, v7
	s_waitcnt lgkmcnt(1)
	v_add_f32_e32 v6, v6, v10
	ds_bpermute_b32 v10, v15, v14
	ds_bpermute_b32 v11, v20, v8
	s_waitcnt lgkmcnt(2)
	v_add_f32_e32 v9, v7, v9
	ds_bpermute_b32 v13, v20, v9
	s_waitcnt lgkmcnt(2)
	v_add_f32_e32 v10, v14, v10
	s_waitcnt lgkmcnt(1)
	v_add_f32_e32 v7, v8, v11
	v_add_f32_e32 v11, v23, v12
	ds_bpermute_b32 v14, v18, v10
	ds_bpermute_b32 v12, v18, v11
	s_waitcnt lgkmcnt(2)
	v_add_f32_e32 v8, v9, v13
	ds_bpermute_b32 v13, v15, v16
	s_waitcnt lgkmcnt(2)
	v_add_f32_e32 v9, v10, v14
	s_waitcnt lgkmcnt(1)
	v_add_f32_e32 v11, v11, v12
	ds_bpermute_b32 v10, v20, v9
	ds_bpermute_b32 v14, v20, v11
	;; [unrolled: 1-line block ×4, first 2 shown]
	s_waitcnt lgkmcnt(4)
	v_add_f32_e32 v13, v16, v13
	s_waitcnt lgkmcnt(3)
	v_add_f32_e32 v9, v9, v10
	;; [unrolled: 2-line block ×3, first 2 shown]
	buffer_load_dword v14, off, s[56:59], 0 offset:456 ; 4-byte Folded Reload
	s_waitcnt lgkmcnt(1)
	v_add_f32_e32 v12, v17, v12
	s_waitcnt lgkmcnt(0)
	v_add_f32_e32 v15, v22, v15
	ds_bpermute_b32 v16, v18, v13
	ds_bpermute_b32 v17, v18, v12
	;; [unrolled: 1-line block ×3, first 2 shown]
	s_waitcnt lgkmcnt(2)
	v_add_f32_e32 v13, v13, v16
	ds_bpermute_b32 v16, v20, v13
	s_waitcnt lgkmcnt(1)
	v_add_f32_e32 v15, v15, v18
	v_add_f32_e32 v12, v12, v17
	ds_bpermute_b32 v18, v20, v15
	ds_bpermute_b32 v17, v20, v12
	s_waitcnt lgkmcnt(2)
	v_add_f32_e32 v11, v13, v16
	s_waitcnt lgkmcnt(1)
	v_add_f32_e32 v13, v15, v18
	;; [unrolled: 2-line block ×3, first 2 shown]
	s_waitcnt vmcnt(0)
	v_and_b32_e32 v15, 0x3c7, v14
	v_cmp_eq_u32_e32 vcc, 64, v15
	s_and_saveexec_b64 s[0:1], vcc
	s_cbranch_execz .LBB202_744
; %bb.743:
	v_lshrrev_b32_e32 v14, 1, v19
	v_add_u32_e32 v14, 0x1d0, v14
	ds_write2_b32 v14, v0, v1 offset1:8
	ds_write2_b32 v14, v2, v3 offset0:16 offset1:24
	ds_write2_b32 v14, v4, v5 offset0:32 offset1:40
	;; [unrolled: 1-line block ×6, first 2 shown]
.LBB202_744:
	s_or_b64 exec, exec, s[0:1]
	buffer_load_dword v14, off, s[56:59], 0 offset:456 ; 4-byte Folded Reload
	s_waitcnt vmcnt(0) lgkmcnt(0)
	s_barrier
	v_cmp_gt_u32_e32 vcc, 64, v14
	v_lshrrev_b32_e32 v14, 3, v14
	s_and_saveexec_b64 s[0:1], vcc
	s_cbranch_execz .LBB202_761
; %bb.745:
	v_mov_b32_e32 v16, 0x1d0
	v_cmp_eq_u32_e32 vcc, 0, v21
	v_lshl_add_u32 v16, v14, 2, v16
	s_and_saveexec_b64 s[2:3], vcc
	s_cbranch_execnz .LBB202_764
; %bb.746:
	s_or_b64 exec, exec, s[2:3]
	s_and_saveexec_b64 s[2:3], vcc
	s_cbranch_execnz .LBB202_765
.LBB202_747:
	s_or_b64 exec, exec, s[2:3]
	s_and_saveexec_b64 s[2:3], vcc
	s_cbranch_execnz .LBB202_766
.LBB202_748:
	s_or_b64 exec, exec, s[2:3]
	s_and_saveexec_b64 s[2:3], vcc
	s_cbranch_execnz .LBB202_767
.LBB202_749:
	s_or_b64 exec, exec, s[2:3]
	s_and_saveexec_b64 s[2:3], vcc
	s_cbranch_execnz .LBB202_768
.LBB202_750:
	s_or_b64 exec, exec, s[2:3]
	s_and_saveexec_b64 s[2:3], vcc
	s_cbranch_execnz .LBB202_769
.LBB202_751:
	s_or_b64 exec, exec, s[2:3]
	s_and_saveexec_b64 s[2:3], vcc
	s_cbranch_execnz .LBB202_770
.LBB202_752:
	s_or_b64 exec, exec, s[2:3]
	s_and_saveexec_b64 s[2:3], vcc
	s_cbranch_execnz .LBB202_771
.LBB202_753:
	s_or_b64 exec, exec, s[2:3]
	s_and_saveexec_b64 s[2:3], vcc
	s_cbranch_execnz .LBB202_772
.LBB202_754:
	s_or_b64 exec, exec, s[2:3]
	s_and_saveexec_b64 s[2:3], vcc
	s_cbranch_execnz .LBB202_773
.LBB202_755:
	s_or_b64 exec, exec, s[2:3]
	s_and_saveexec_b64 s[2:3], vcc
	s_cbranch_execnz .LBB202_774
.LBB202_756:
	s_or_b64 exec, exec, s[2:3]
	s_and_saveexec_b64 s[2:3], vcc
	s_cbranch_execnz .LBB202_775
.LBB202_757:
	s_or_b64 exec, exec, s[2:3]
	s_and_saveexec_b64 s[2:3], vcc
	s_cbranch_execnz .LBB202_776
.LBB202_758:
	s_or_b64 exec, exec, s[2:3]
	s_and_saveexec_b64 s[2:3], vcc
	s_cbranch_execz .LBB202_760
.LBB202_759:
	ds_read_b32 v16, v16 offset:416
	s_waitcnt lgkmcnt(0)
	v_add_f32_e32 v13, v13, v16
.LBB202_760:
	s_or_b64 exec, exec, s[2:3]
.LBB202_761:
	s_or_b64 exec, exec, s[0:1]
	v_cmp_eq_u32_e32 vcc, 0, v15
	s_barrier
	s_and_saveexec_b64 s[0:1], vcc
	s_cbranch_execz .LBB202_763
; %bb.762:
	s_mul_i32 s0, s10, s11
	s_mul_i32 s0, s0, s9
	s_mulk_i32 s0, 0x70
	s_ashr_i32 s1, s0, 31
	s_lshl_b64 s[0:1], s[0:1], 2
	s_add_u32 s2, s26, s0
	s_mul_i32 s0, s11, s24
	s_addc_u32 s3, s27, s1
	s_ashr_i32 s1, s0, 31
	s_lshl_b64 s[0:1], s[0:1], 2
	s_add_u32 s2, s2, s0
	s_mul_i32 s0, s8, 0x70
	s_addc_u32 s3, s3, s1
	s_ashr_i32 s1, s0, 31
	s_lshl_b64 s[0:1], s[0:1], 2
	s_add_u32 s0, s2, s0
	s_addc_u32 s1, s3, s1
	v_lshlrev_b32_e32 v14, 2, v14
	global_store_dword v14, v0, s[0:1]
	global_store_dword v14, v1, s[0:1] offset:32
	global_store_dword v14, v2, s[0:1] offset:64
	;; [unrolled: 1-line block ×13, first 2 shown]
.LBB202_763:
	s_endpgm
.LBB202_764:
	ds_read_b32 v17, v16
	s_waitcnt lgkmcnt(0)
	v_add_f32_e32 v0, v0, v17
	s_or_b64 exec, exec, s[2:3]
	s_and_saveexec_b64 s[2:3], vcc
	s_cbranch_execz .LBB202_747
.LBB202_765:
	ds_read_b32 v17, v16 offset:32
	s_waitcnt lgkmcnt(0)
	v_add_f32_e32 v1, v1, v17
	s_or_b64 exec, exec, s[2:3]
	s_and_saveexec_b64 s[2:3], vcc
	s_cbranch_execz .LBB202_748
.LBB202_766:
	ds_read_b32 v17, v16 offset:64
	s_waitcnt lgkmcnt(0)
	v_add_f32_e32 v2, v2, v17
	s_or_b64 exec, exec, s[2:3]
	s_and_saveexec_b64 s[2:3], vcc
	s_cbranch_execz .LBB202_749
.LBB202_767:
	ds_read_b32 v17, v16 offset:96
	s_waitcnt lgkmcnt(0)
	v_add_f32_e32 v3, v3, v17
	s_or_b64 exec, exec, s[2:3]
	s_and_saveexec_b64 s[2:3], vcc
	s_cbranch_execz .LBB202_750
.LBB202_768:
	ds_read_b32 v17, v16 offset:128
	s_waitcnt lgkmcnt(0)
	v_add_f32_e32 v4, v4, v17
	s_or_b64 exec, exec, s[2:3]
	s_and_saveexec_b64 s[2:3], vcc
	s_cbranch_execz .LBB202_751
.LBB202_769:
	ds_read_b32 v17, v16 offset:160
	s_waitcnt lgkmcnt(0)
	v_add_f32_e32 v5, v5, v17
	s_or_b64 exec, exec, s[2:3]
	s_and_saveexec_b64 s[2:3], vcc
	s_cbranch_execz .LBB202_752
.LBB202_770:
	ds_read_b32 v17, v16 offset:192
	s_waitcnt lgkmcnt(0)
	v_add_f32_e32 v6, v6, v17
	s_or_b64 exec, exec, s[2:3]
	s_and_saveexec_b64 s[2:3], vcc
	s_cbranch_execz .LBB202_753
.LBB202_771:
	ds_read_b32 v17, v16 offset:224
	s_waitcnt lgkmcnt(0)
	v_add_f32_e32 v7, v7, v17
	s_or_b64 exec, exec, s[2:3]
	s_and_saveexec_b64 s[2:3], vcc
	s_cbranch_execz .LBB202_754
.LBB202_772:
	ds_read_b32 v17, v16 offset:256
	s_waitcnt lgkmcnt(0)
	v_add_f32_e32 v8, v8, v17
	s_or_b64 exec, exec, s[2:3]
	s_and_saveexec_b64 s[2:3], vcc
	s_cbranch_execz .LBB202_755
.LBB202_773:
	ds_read_b32 v17, v16 offset:288
	s_waitcnt lgkmcnt(0)
	v_add_f32_e32 v9, v9, v17
	s_or_b64 exec, exec, s[2:3]
	s_and_saveexec_b64 s[2:3], vcc
	s_cbranch_execz .LBB202_756
.LBB202_774:
	ds_read_b32 v17, v16 offset:320
	s_waitcnt lgkmcnt(0)
	v_add_f32_e32 v10, v10, v17
	s_or_b64 exec, exec, s[2:3]
	s_and_saveexec_b64 s[2:3], vcc
	s_cbranch_execz .LBB202_757
.LBB202_775:
	ds_read_b32 v17, v16 offset:352
	s_waitcnt lgkmcnt(0)
	v_add_f32_e32 v11, v11, v17
	s_or_b64 exec, exec, s[2:3]
	s_and_saveexec_b64 s[2:3], vcc
	s_cbranch_execz .LBB202_758
.LBB202_776:
	ds_read_b32 v17, v16 offset:384
	s_waitcnt lgkmcnt(0)
	v_add_f32_e32 v12, v12, v17
	s_or_b64 exec, exec, s[2:3]
	s_and_saveexec_b64 s[2:3], vcc
	s_cbranch_execnz .LBB202_759
	s_branch .LBB202_760
	.section	.rodata,"a",@progbits
	.p2align	6, 0x0
	.amdhsa_kernel _ZN4vllm25paged_attention_v1_kernelIfhLi112ELi32ELi128ELNS_18Fp8KVCacheDataTypeE1ELb1EEEvPT_PKS2_PKT0_S8_ifPKiSA_iPKfiiiSC_SC_iiiii
		.amdhsa_group_segment_fixed_size 464
		.amdhsa_private_segment_fixed_size 500
		.amdhsa_kernarg_size 384
		.amdhsa_user_sgpr_count 6
		.amdhsa_user_sgpr_private_segment_buffer 1
		.amdhsa_user_sgpr_dispatch_ptr 0
		.amdhsa_user_sgpr_queue_ptr 0
		.amdhsa_user_sgpr_kernarg_segment_ptr 1
		.amdhsa_user_sgpr_dispatch_id 0
		.amdhsa_user_sgpr_flat_scratch_init 0
		.amdhsa_user_sgpr_private_segment_size 0
		.amdhsa_uses_dynamic_stack 0
		.amdhsa_system_sgpr_private_segment_wavefront_offset 1
		.amdhsa_system_sgpr_workgroup_id_x 1
		.amdhsa_system_sgpr_workgroup_id_y 1
		.amdhsa_system_sgpr_workgroup_id_z 1
		.amdhsa_system_sgpr_workgroup_info 0
		.amdhsa_system_vgpr_workitem_id 0
		.amdhsa_next_free_vgpr 64
		.amdhsa_next_free_sgpr 60
		.amdhsa_reserve_vcc 1
		.amdhsa_reserve_flat_scratch 0
		.amdhsa_float_round_mode_32 0
		.amdhsa_float_round_mode_16_64 0
		.amdhsa_float_denorm_mode_32 3
		.amdhsa_float_denorm_mode_16_64 3
		.amdhsa_dx10_clamp 1
		.amdhsa_ieee_mode 1
		.amdhsa_fp16_overflow 0
		.amdhsa_exception_fp_ieee_invalid_op 0
		.amdhsa_exception_fp_denorm_src 0
		.amdhsa_exception_fp_ieee_div_zero 0
		.amdhsa_exception_fp_ieee_overflow 0
		.amdhsa_exception_fp_ieee_underflow 0
		.amdhsa_exception_fp_ieee_inexact 0
		.amdhsa_exception_int_div_zero 0
	.end_amdhsa_kernel
	.section	.text._ZN4vllm25paged_attention_v1_kernelIfhLi112ELi32ELi128ELNS_18Fp8KVCacheDataTypeE1ELb1EEEvPT_PKS2_PKT0_S8_ifPKiSA_iPKfiiiSC_SC_iiiii,"axG",@progbits,_ZN4vllm25paged_attention_v1_kernelIfhLi112ELi32ELi128ELNS_18Fp8KVCacheDataTypeE1ELb1EEEvPT_PKS2_PKT0_S8_ifPKiSA_iPKfiiiSC_SC_iiiii,comdat
.Lfunc_end202:
	.size	_ZN4vllm25paged_attention_v1_kernelIfhLi112ELi32ELi128ELNS_18Fp8KVCacheDataTypeE1ELb1EEEvPT_PKS2_PKT0_S8_ifPKiSA_iPKfiiiSC_SC_iiiii, .Lfunc_end202-_ZN4vllm25paged_attention_v1_kernelIfhLi112ELi32ELi128ELNS_18Fp8KVCacheDataTypeE1ELb1EEEvPT_PKS2_PKT0_S8_ifPKiSA_iPKfiiiSC_SC_iiiii
                                        ; -- End function
	.set _ZN4vllm25paged_attention_v1_kernelIfhLi112ELi32ELi128ELNS_18Fp8KVCacheDataTypeE1ELb1EEEvPT_PKS2_PKT0_S8_ifPKiSA_iPKfiiiSC_SC_iiiii.num_vgpr, 64
	.set _ZN4vllm25paged_attention_v1_kernelIfhLi112ELi32ELi128ELNS_18Fp8KVCacheDataTypeE1ELb1EEEvPT_PKS2_PKT0_S8_ifPKiSA_iPKfiiiSC_SC_iiiii.num_agpr, 0
	.set _ZN4vllm25paged_attention_v1_kernelIfhLi112ELi32ELi128ELNS_18Fp8KVCacheDataTypeE1ELb1EEEvPT_PKS2_PKT0_S8_ifPKiSA_iPKfiiiSC_SC_iiiii.numbered_sgpr, 60
	.set _ZN4vllm25paged_attention_v1_kernelIfhLi112ELi32ELi128ELNS_18Fp8KVCacheDataTypeE1ELb1EEEvPT_PKS2_PKT0_S8_ifPKiSA_iPKfiiiSC_SC_iiiii.num_named_barrier, 0
	.set _ZN4vllm25paged_attention_v1_kernelIfhLi112ELi32ELi128ELNS_18Fp8KVCacheDataTypeE1ELb1EEEvPT_PKS2_PKT0_S8_ifPKiSA_iPKfiiiSC_SC_iiiii.private_seg_size, 500
	.set _ZN4vllm25paged_attention_v1_kernelIfhLi112ELi32ELi128ELNS_18Fp8KVCacheDataTypeE1ELb1EEEvPT_PKS2_PKT0_S8_ifPKiSA_iPKfiiiSC_SC_iiiii.uses_vcc, 1
	.set _ZN4vllm25paged_attention_v1_kernelIfhLi112ELi32ELi128ELNS_18Fp8KVCacheDataTypeE1ELb1EEEvPT_PKS2_PKT0_S8_ifPKiSA_iPKfiiiSC_SC_iiiii.uses_flat_scratch, 0
	.set _ZN4vllm25paged_attention_v1_kernelIfhLi112ELi32ELi128ELNS_18Fp8KVCacheDataTypeE1ELb1EEEvPT_PKS2_PKT0_S8_ifPKiSA_iPKfiiiSC_SC_iiiii.has_dyn_sized_stack, 0
	.set _ZN4vllm25paged_attention_v1_kernelIfhLi112ELi32ELi128ELNS_18Fp8KVCacheDataTypeE1ELb1EEEvPT_PKS2_PKT0_S8_ifPKiSA_iPKfiiiSC_SC_iiiii.has_recursion, 0
	.set _ZN4vllm25paged_attention_v1_kernelIfhLi112ELi32ELi128ELNS_18Fp8KVCacheDataTypeE1ELb1EEEvPT_PKS2_PKT0_S8_ifPKiSA_iPKfiiiSC_SC_iiiii.has_indirect_call, 0
	.section	.AMDGPU.csdata,"",@progbits
; Kernel info:
; codeLenInByte = 35696
; TotalNumSgprs: 64
; NumVgprs: 64
; ScratchSize: 500
; MemoryBound: 0
; FloatMode: 240
; IeeeMode: 1
; LDSByteSize: 464 bytes/workgroup (compile time only)
; SGPRBlocks: 7
; VGPRBlocks: 15
; NumSGPRsForWavesPerEU: 64
; NumVGPRsForWavesPerEU: 64
; Occupancy: 4
; WaveLimiterHint : 1
; COMPUTE_PGM_RSRC2:SCRATCH_EN: 1
; COMPUTE_PGM_RSRC2:USER_SGPR: 6
; COMPUTE_PGM_RSRC2:TRAP_HANDLER: 0
; COMPUTE_PGM_RSRC2:TGID_X_EN: 1
; COMPUTE_PGM_RSRC2:TGID_Y_EN: 1
; COMPUTE_PGM_RSRC2:TGID_Z_EN: 1
; COMPUTE_PGM_RSRC2:TIDIG_COMP_CNT: 0
	.section	.text._ZN4vllm25paged_attention_v1_kernelIfhLi120ELi32ELi128ELNS_18Fp8KVCacheDataTypeE1ELb1EEEvPT_PKS2_PKT0_S8_ifPKiSA_iPKfiiiSC_SC_iiiii,"axG",@progbits,_ZN4vllm25paged_attention_v1_kernelIfhLi120ELi32ELi128ELNS_18Fp8KVCacheDataTypeE1ELb1EEEvPT_PKS2_PKT0_S8_ifPKiSA_iPKfiiiSC_SC_iiiii,comdat
	.protected	_ZN4vllm25paged_attention_v1_kernelIfhLi120ELi32ELi128ELNS_18Fp8KVCacheDataTypeE1ELb1EEEvPT_PKS2_PKT0_S8_ifPKiSA_iPKfiiiSC_SC_iiiii ; -- Begin function _ZN4vllm25paged_attention_v1_kernelIfhLi120ELi32ELi128ELNS_18Fp8KVCacheDataTypeE1ELb1EEEvPT_PKS2_PKT0_S8_ifPKiSA_iPKfiiiSC_SC_iiiii
	.globl	_ZN4vllm25paged_attention_v1_kernelIfhLi120ELi32ELi128ELNS_18Fp8KVCacheDataTypeE1ELb1EEEvPT_PKS2_PKT0_S8_ifPKiSA_iPKfiiiSC_SC_iiiii
	.p2align	8
	.type	_ZN4vllm25paged_attention_v1_kernelIfhLi120ELi32ELi128ELNS_18Fp8KVCacheDataTypeE1ELb1EEEvPT_PKS2_PKT0_S8_ifPKiSA_iPKfiiiSC_SC_iiiii,@function
_ZN4vllm25paged_attention_v1_kernelIfhLi120ELi32ELi128ELNS_18Fp8KVCacheDataTypeE1ELb1EEEvPT_PKS2_PKT0_S8_ifPKiSA_iPKfiiiSC_SC_iiiii: ; @_ZN4vllm25paged_attention_v1_kernelIfhLi120ELi32ELi128ELNS_18Fp8KVCacheDataTypeE1ELb1EEEvPT_PKS2_PKT0_S8_ifPKiSA_iPKfiiiSC_SC_iiiii
; %bb.0:
	s_mov_b64 s[58:59], s[2:3]
	s_mov_b64 s[56:57], s[0:1]
	s_add_u32 s56, s56, s9
	s_addc_u32 s57, s57, 0
	buffer_store_dword v0, off, s[56:59], 0 offset:492 ; 4-byte Folded Spill
	s_load_dword s9, s[4:5], 0x80
	s_load_dwordx2 s[0:1], s[4:5], 0x30
	s_load_dwordx2 s[36:37], s[4:5], 0x20
	s_mov_b32 s10, s7
	s_ashr_i32 s11, s7, 31
	s_lshl_b64 s[2:3], s[10:11], 2
	s_waitcnt lgkmcnt(0)
	s_add_u32 s0, s0, s2
	s_addc_u32 s1, s1, s3
	s_abs_i32 s2, s36
	v_cvt_f32_u32_e32 v0, s2
	s_sub_i32 s11, 0, s2
	s_abs_i32 s7, s9
	s_xor_b32 s3, s9, s36
	v_rcp_iflag_f32_e32 v0, v0
	s_ashr_i32 s3, s3, 31
	s_mov_b32 s48, 0
	v_mul_f32_e32 v0, 0x4f7ffffe, v0
	v_cvt_u32_f32_e32 v0, v0
	v_readfirstlane_b32 s12, v0
	s_mul_i32 s11, s11, s12
	s_mul_hi_u32 s11, s12, s11
	s_add_i32 s12, s12, s11
	s_mul_hi_u32 s11, s7, s12
	s_mul_i32 s12, s11, s2
	s_sub_i32 s7, s7, s12
	s_add_i32 s12, s11, 1
	s_sub_i32 s13, s7, s2
	s_cmp_ge_u32 s7, s2
	s_cselect_b32 s11, s12, s11
	s_cselect_b32 s7, s13, s7
	s_add_i32 s12, s11, 1
	s_cmp_ge_u32 s7, s2
	s_cselect_b32 s2, s12, s11
	s_xor_b32 s2, s2, s3
	s_sub_i32 s14, s2, s3
	s_abs_i32 s11, s14
	v_cvt_f32_u32_e32 v0, s11
	s_load_dwordx2 s[2:3], s[4:5], 0x40
	s_sub_i32 s7, 0, s11
	s_abs_i32 s12, s6
	v_rcp_iflag_f32_e32 v0, v0
	v_mul_f32_e32 v0, 0x4f7ffffe, v0
	v_cvt_u32_f32_e32 v0, v0
	v_readfirstlane_b32 s13, v0
	s_mul_i32 s7, s7, s13
	s_mul_hi_u32 s7, s13, s7
	s_add_i32 s13, s13, s7
	s_waitcnt lgkmcnt(0)
	s_cmp_eq_u64 s[2:3], 0
	s_mul_hi_u32 s13, s12, s13
	s_cbranch_scc1 .LBB203_2
; %bb.1:
	s_ashr_i32 s7, s6, 31
	s_lshl_b64 s[16:17], s[6:7], 2
	s_add_u32 s2, s2, s16
	s_addc_u32 s3, s3, s17
	s_load_dword s48, s[2:3], 0x0
.LBB203_2:
	buffer_load_dword v1, off, s[56:59], 0 offset:492 ; 4-byte Folded Reload
	s_load_dword s33, s[0:1], 0x0
	s_load_dwordx4 s[16:19], s[4:5], 0x48
	s_ashr_i32 s3, s6, 31
	s_ashr_i32 s7, s14, 31
	s_mul_i32 s24, s6, 0x78
	s_waitcnt vmcnt(0)
	v_and_b32_e32 v0, 1, v1
	v_cmp_gt_u32_e32 vcc, 60, v1
	v_lshlrev_b32_e32 v11, 2, v1
	s_and_saveexec_b64 s[0:1], vcc
	s_cbranch_execz .LBB203_4
; %bb.3:
	buffer_load_dword v1, off, s[56:59], 0 offset:492 ; 4-byte Folded Reload
	s_load_dwordx2 s[14:15], s[4:5], 0x8
	s_waitcnt lgkmcnt(0)
	s_mul_i32 s20, s16, s10
	s_ashr_i32 s21, s20, 31
	s_lshl_b64 s[20:21], s[20:21], 2
	v_and_b32_e32 v3, 0xff8, v11
	s_add_u32 s2, s14, s20
	s_addc_u32 s16, s15, s21
	s_ashr_i32 s25, s24, 31
	s_lshl_b64 s[14:15], s[24:25], 2
	s_add_u32 s14, s2, s14
	s_addc_u32 s15, s16, s15
	s_movk_i32 s2, 0xf0
	v_mad_u32_u24 v3, v0, s2, v3
	s_waitcnt vmcnt(0)
	v_lshlrev_b32_e32 v1, 3, v1
	global_load_dwordx2 v[1:2], v1, s[14:15]
	s_waitcnt vmcnt(0)
	ds_write_b64 v3, v[1:2]
.LBB203_4:
	s_or_b64 exec, exec, s[0:1]
	s_mul_i32 s1, s13, s11
	s_sub_i32 s1, s12, s1
	s_xor_b32 s0, s3, s7
	s_add_i32 s3, s13, 1
	s_sub_i32 s7, s1, s11
	s_load_dwordx4 s[20:23], s[4:5], 0x68
	s_load_dword s2, s[4:5], 0x78
	s_cmp_ge_u32 s1, s11
	s_cselect_b32 s3, s3, s13
	s_cselect_b32 s1, s7, s1
	s_add_i32 s7, s3, 1
	s_cmp_ge_u32 s1, s11
	s_cselect_b32 s1, s7, s3
	s_waitcnt lgkmcnt(0)
	s_abs_i32 s25, s23
	v_cvt_f32_u32_e32 v1, s25
	s_xor_b32 s1, s1, s0
	s_sub_i32 s47, s1, s0
	s_sub_i32 s0, 0, s25
	v_rcp_iflag_f32_e32 v1, v1
	s_add_i32 s11, s33, -1
	s_abs_i32 s3, s11
	v_mul_f32_e32 v1, 0x4f7ffffe, v1
	v_cvt_u32_f32_e32 v1, v1
	s_barrier
	v_readfirstlane_b32 s46, v1
	s_mul_i32 s0, s0, s46
	s_mul_hi_u32 s0, s46, s0
	s_add_i32 s46, s46, s0
	s_cmp_lt_i32 s2, 0
	s_mul_hi_u32 s7, s3, s46
	s_cbranch_scc0 .LBB203_6
; %bb.5:
	s_mul_i32 s0, s20, s36
	s_add_i32 s0, s47, s0
	s_mul_i32 s0, s0, s2
	s_sub_i32 s36, 1, s0
	s_mov_b64 s[0:1], 0
	s_branch .LBB203_7
.LBB203_6:
	s_mov_b64 s[0:1], -1
                                        ; implicit-def: $sgpr36
.LBB203_7:
	s_load_dwordx2 s[28:29], s[4:5], 0x28
	s_ashr_i32 s16, s11, 31
	s_andn2_b64 vcc, exec, s[0:1]
	s_ashr_i32 s23, s23, 31
	s_cbranch_vccnz .LBB203_9
; %bb.8:
	s_mul_i32 s0, s9, s20
	s_add_i32 s0, s0, s6
	s_mul_i32 s0, s0, s2
	s_add_i32 s36, s0, 1
.LBB203_9:
	s_load_dword s0, s[4:5], 0x38
	s_load_dwordx2 s[26:27], s[4:5], 0x0
	s_load_dwordx2 s[34:35], s[4:5], 0x18
	s_load_dword s11, s[4:5], 0x88
	s_load_dwordx4 s[12:15], s[4:5], 0x58
	buffer_load_dword v1, off, s[56:59], 0 offset:492 ; 4-byte Folded Reload
	s_mul_i32 s1, s7, s25
	s_waitcnt lgkmcnt(0)
	s_mul_i32 s30, s0, s10
	s_sub_i32 s1, s3, s1
	s_ashr_i32 s31, s30, 31
	s_xor_b32 s0, s16, s23
	s_add_i32 s2, s7, 1
	s_sub_i32 s3, s1, s25
	s_cmp_ge_u32 s1, s25
	s_cselect_b32 s2, s2, s7
	s_cselect_b32 s1, s3, s1
	s_add_i32 s3, s2, 1
	s_cmp_ge_u32 s1, s25
	s_cselect_b32 s1, s3, s2
	s_xor_b32 s1, s1, s0
	s_sub_i32 s16, s1, s0
	s_add_i32 s0, s33, 31
	s_ashr_i32 s1, s0, 31
	s_lshr_b32 s1, s1, 27
	s_add_i32 s0, s0, s1
	s_ashr_i32 s20, s0, 5
	v_mov_b32_e32 v3, 0xff7fffff
	s_mul_i32 s47, s47, s18
	v_mbcnt_lo_u32_b32 v6, -1, 0
	s_waitcnt vmcnt(0)
	v_lshrrev_b32_e32 v2, 6, v1
	v_cmp_gt_i32_e64 s[0:1], s20, v2
	v_lshrrev_b32_e32 v12, 4, v1
	v_lshlrev_b32_e32 v1, 5, v2
	buffer_store_dword v2, off, s[56:59], 0 ; 4-byte Folded Spill
	buffer_store_dword v1, off, s[56:59], 0 offset:4 ; 4-byte Folded Spill
	s_and_saveexec_b64 s[18:19], s[0:1]
	s_cbranch_execz .LBB203_381
; %bb.10:
	buffer_load_dword v2, off, s[56:59], 0 offset:492 ; 4-byte Folded Reload
	s_load_dwordx2 s[2:3], s[4:5], 0x10
	s_sub_i32 s49, s16, s21
	s_ashr_i32 s4, s47, 31
	buffer_store_dword v11, off, s[56:59], 0 offset:520 ; 4-byte Folded Spill
	v_cmp_eq_u32_e32 vcc, 0, v0
	s_waitcnt lgkmcnt(0)
	s_add_u32 s5, s2, s47
	s_addc_u32 s4, s3, s4
	s_abs_i32 s50, s22
	v_cvt_f32_u32_e32 v1, s50
	s_sub_i32 s2, 0, s50
	v_mov_b32_e32 v5, s4
	s_mov_b32 s51, s17
	v_rcp_iflag_f32_e32 v1, v1
	v_mov_b32_e32 v49, 0
	s_mov_b64 s[38:39], 0
	s_movk_i32 s52, 0x80
	v_mul_f32_e32 v1, 0x4f7ffffe, v1
	v_cvt_u32_f32_e32 v1, v1
	s_movk_i32 s53, 0x7f
	s_brev_b32 s54, 1
	v_bfrev_b32_e32 v50, 1
	v_mul_lo_u32 v3, s2, v1
	v_cmp_neq_f32_e64 s[2:3], s48, 0
	v_mov_b32_e32 v63, 0x7f800001
	v_mul_hi_u32 v3, v1, v3
	v_add_u32_e32 v1, v1, v3
	buffer_store_dword v1, off, s[56:59], 0 offset:288 ; 4-byte Folded Spill
	s_waitcnt vmcnt(2)
	v_bfe_u32 v7, v2, 1, 5
	v_lshlrev_b32_e32 v4, 4, v7
	v_add_co_u32_e64 v4, s[4:5], s5, v4
	v_lshlrev_b32_e32 v2, 1, v0
	v_addc_co_u32_e64 v5, s[4:5], 0, v5, s[4:5]
	v_add_co_u32_e64 v1, s[4:5], v4, v2
	v_addc_co_u32_e64 v2, s[4:5], 0, v5, s[4:5]
	buffer_store_dword v1, off, s[56:59], 0 offset:500 ; 4-byte Folded Spill
	s_nop 0
	buffer_store_dword v2, off, s[56:59], 0 offset:504 ; 4-byte Folded Spill
	buffer_store_dword v12, off, s[56:59], 0 offset:524 ; 4-byte Folded Spill
	buffer_load_dword v38, off, s[56:59], 0 ; 4-byte Folded Reload
	s_lshl_b64 s[4:5], s[30:31], 2
	s_add_u32 s4, s28, s4
	v_and_b32_e32 v1, 60, v12
	s_addc_u32 s5, s29, s5
	v_mov_b32_e32 v2, s5
	v_add_co_u32_e64 v53, s[4:5], s4, v1
	v_subrev_u32_e32 v1, s33, v7
	v_add_u32_e32 v1, 1, v1
	buffer_store_dword v1, off, s[56:59], 0 offset:516 ; 4-byte Folded Spill
	buffer_store_dword v7, off, s[56:59], 0 offset:512 ; 4-byte Folded Spill
	v_lshlrev_b32_e32 v1, 2, v7
	v_mul_u32_u24_e32 v0, 0xf0, v0
	v_addc_co_u32_e64 v54, s[4:5], 0, v2, s[4:5]
	s_waitcnt vmcnt(2)
	v_lshl_or_b32 v1, v38, 7, v1
	v_add_u32_e32 v37, 0x1f0, v1
	v_mbcnt_hi_u32_b32 v1, -1, v6
	v_lshlrev_b32_e32 v36, 5, v38
	buffer_store_dword v1, off, s[56:59], 0 offset:508 ; 4-byte Folded Spill
	v_mov_b32_e32 v1, 0xff7fffff
	buffer_store_dword v1, off, s[56:59], 0 offset:496 ; 4-byte Folded Spill
	s_branch .LBB203_13
.LBB203_11:                             ;   in Loop: Header=BB203_13 Depth=1
	s_or_b64 exec, exec, s[40:41]
.LBB203_12:                             ;   in Loop: Header=BB203_13 Depth=1
	s_or_b64 exec, exec, s[6:7]
	v_add_co_u32_e64 v53, s[4:5], 8, v53
	v_add_u32_e32 v38, 2, v38
	v_addc_co_u32_e64 v54, s[4:5], 0, v54, s[4:5]
	v_cmp_le_i32_e64 s[4:5], s20, v38
	v_add_u32_e32 v36, 64, v36
	s_or_b64 s[38:39], s[4:5], s[38:39]
	v_add_u32_e32 v37, 0x100, v37
	s_andn2_b64 exec, exec, s[38:39]
	s_cbranch_execz .LBB203_380
.LBB203_13:                             ; =>This Inner Loop Header: Depth=1
	buffer_load_dword v4, off, s[56:59], 0 offset:288 ; 4-byte Folded Reload
	v_mul_hi_u32 v1, v36, s46
	s_waitcnt lgkmcnt(0)
	v_mul_lo_u32 v2, v1, s25
	v_add_u32_e32 v3, 1, v1
	v_sub_u32_e32 v2, v36, v2
	v_cmp_le_u32_e64 s[4:5], s25, v2
	v_cndmask_b32_e64 v1, v1, v3, s[4:5]
	v_subrev_u32_e32 v3, s25, v2
	v_cndmask_b32_e64 v2, v2, v3, s[4:5]
	v_add_u32_e32 v3, 1, v1
	v_cmp_le_u32_e64 s[4:5], s25, v2
	v_cndmask_b32_e64 v1, v1, v3, s[4:5]
	v_xor_b32_e32 v1, s23, v1
	v_subrev_u32_e32 v1, s23, v1
	v_add_u32_e32 v2, s36, v1
	v_sub_u32_e32 v3, 0, v2
	v_max_i32_e32 v3, v2, v3
	v_ashrrev_i32_e32 v2, 31, v2
	v_cmp_ge_i32_e64 s[6:7], s49, v1
	s_waitcnt vmcnt(0)
	v_mul_hi_u32 v4, v3, v4
	v_mul_lo_u32 v4, v4, s50
	v_sub_u32_e32 v3, v3, v4
	v_subrev_u32_e32 v4, s50, v3
	v_cmp_le_u32_e64 s[4:5], s50, v3
	v_cndmask_b32_e64 v3, v3, v4, s[4:5]
	v_subrev_u32_e32 v4, s50, v3
	v_cmp_le_u32_e64 s[4:5], s50, v3
	v_cndmask_b32_e64 v3, v3, v4, s[4:5]
	v_xor_b32_e32 v3, v3, v2
	v_sub_u32_e32 v2, v3, v2
	v_cmp_ne_u32_e64 s[4:5], 0, v2
	s_and_b64 s[4:5], s[4:5], s[6:7]
	s_and_saveexec_b64 s[6:7], s[4:5]
	s_xor_b64 s[4:5], exec, s[6:7]
	s_cbranch_execz .LBB203_17
; %bb.14:                               ;   in Loop: Header=BB203_13 Depth=1
	s_and_saveexec_b64 s[6:7], vcc
; %bb.15:                               ;   in Loop: Header=BB203_13 Depth=1
	v_mov_b32_e32 v1, 0xff7fffff
	ds_write_b32 v37, v1
; %bb.16:                               ;   in Loop: Header=BB203_13 Depth=1
	s_or_b64 exec, exec, s[6:7]
.LBB203_17:                             ;   in Loop: Header=BB203_13 Depth=1
	s_andn2_saveexec_b64 s[6:7], s[4:5]
	s_cbranch_execz .LBB203_12
; %bb.18:                               ;   in Loop: Header=BB203_13 Depth=1
	global_load_dword v1, v[53:54], off
	buffer_load_dword v2, off, s[56:59], 0 offset:500 ; 4-byte Folded Reload
	buffer_load_dword v3, off, s[56:59], 0 offset:504 ; 4-byte Folded Reload
	v_mov_b32_e32 v45, 0
	v_mov_b32_e32 v43, 0
	;; [unrolled: 1-line block ×4, first 2 shown]
	s_waitcnt vmcnt(0)
	v_mad_i64_i32 v[59:60], s[4:5], v1, s51, v[2:3]
	ds_read_b128 v[3:6], v0
	global_load_ushort v2, v[59:60], off
	s_waitcnt lgkmcnt(0)
	buffer_store_dword v3, off, s[56:59], 0 offset:460 ; 4-byte Folded Spill
	s_nop 0
	buffer_store_dword v4, off, s[56:59], 0 offset:464 ; 4-byte Folded Spill
	buffer_store_dword v5, off, s[56:59], 0 offset:468 ; 4-byte Folded Spill
	;; [unrolled: 1-line block ×3, first 2 shown]
	ds_read_b128 v[3:6], v0 offset:16
	s_waitcnt lgkmcnt(0)
	buffer_store_dword v3, off, s[56:59], 0 offset:476 ; 4-byte Folded Spill
	s_nop 0
	buffer_store_dword v4, off, s[56:59], 0 offset:480 ; 4-byte Folded Spill
	buffer_store_dword v5, off, s[56:59], 0 offset:484 ; 4-byte Folded Spill
	;; [unrolled: 1-line block ×3, first 2 shown]
	ds_read_b64 v[3:4], v0 offset:192
	s_waitcnt lgkmcnt(0)
	buffer_store_dword v3, off, s[56:59], 0 offset:292 ; 4-byte Folded Spill
	s_nop 0
	buffer_store_dword v4, off, s[56:59], 0 offset:296 ; 4-byte Folded Spill
	ds_read_b128 v[3:6], v0 offset:32
	s_load_dword s55, s[12:13], 0x0
	s_waitcnt lgkmcnt(0)
	buffer_store_dword v3, off, s[56:59], 0 offset:428 ; 4-byte Folded Spill
	s_nop 0
	buffer_store_dword v4, off, s[56:59], 0 offset:432 ; 4-byte Folded Spill
	buffer_store_dword v5, off, s[56:59], 0 offset:436 ; 4-byte Folded Spill
	buffer_store_dword v6, off, s[56:59], 0 offset:440 ; 4-byte Folded Spill
	ds_read_b128 v[3:6], v0 offset:48
	s_waitcnt lgkmcnt(0)
	buffer_store_dword v3, off, s[56:59], 0 offset:444 ; 4-byte Folded Spill
	s_nop 0
	buffer_store_dword v4, off, s[56:59], 0 offset:448 ; 4-byte Folded Spill
	buffer_store_dword v5, off, s[56:59], 0 offset:452 ; 4-byte Folded Spill
	buffer_store_dword v6, off, s[56:59], 0 offset:456 ; 4-byte Folded Spill
	ds_read_b128 v[3:6], v0 offset:64
	;; [unrolled: 7-line block ×7, first 2 shown]
	s_waitcnt lgkmcnt(0)
	buffer_store_dword v3, off, s[56:59], 0 offset:300 ; 4-byte Folded Spill
	s_nop 0
	buffer_store_dword v4, off, s[56:59], 0 offset:304 ; 4-byte Folded Spill
	buffer_store_dword v5, off, s[56:59], 0 offset:308 ; 4-byte Folded Spill
	;; [unrolled: 1-line block ×3, first 2 shown]
	s_waitcnt vmcnt(42)
	v_and_b32_e32 v1, 0xffff, v2
	v_cmp_ne_u16_sdwa s[4:5], v2, v49 src0_sel:BYTE_0 src1_sel:DWORD
	ds_read_b128 v[2:5], v0 offset:160
	s_waitcnt lgkmcnt(0)
	buffer_store_dword v2, off, s[56:59], 0 offset:348 ; 4-byte Folded Spill
	s_nop 0
	buffer_store_dword v3, off, s[56:59], 0 offset:352 ; 4-byte Folded Spill
	buffer_store_dword v4, off, s[56:59], 0 offset:356 ; 4-byte Folded Spill
	;; [unrolled: 1-line block ×3, first 2 shown]
	ds_read_b128 v[2:5], v0 offset:176
	s_waitcnt lgkmcnt(0)
	buffer_store_dword v2, off, s[56:59], 0 offset:316 ; 4-byte Folded Spill
	s_nop 0
	buffer_store_dword v3, off, s[56:59], 0 offset:320 ; 4-byte Folded Spill
	buffer_store_dword v4, off, s[56:59], 0 offset:324 ; 4-byte Folded Spill
	;; [unrolled: 1-line block ×3, first 2 shown]
	s_and_saveexec_b64 s[40:41], s[4:5]
	s_cbranch_execz .LBB203_24
; %bb.19:                               ;   in Loop: Header=BB203_13 Depth=1
	v_bfrev_b32_e32 v43, 1
	v_mov_b32_e32 v44, 0
	v_cmp_ne_u16_sdwa s[4:5], v1, s52 src0_sel:BYTE_0 src1_sel:DWORD
	s_and_saveexec_b64 s[42:43], s[4:5]
	s_cbranch_execz .LBB203_23
; %bb.20:                               ;   in Loop: Header=BB203_13 Depth=1
	v_and_b32_e32 v2, 0x7f, v1
	v_mov_b32_e32 v43, 0x7f800001
	v_mov_b32_e32 v44, 0
	v_cmp_ne_u32_e64 s[4:5], s53, v2
	s_and_saveexec_b64 s[44:45], s[4:5]
	s_cbranch_execz .LBB203_22
; %bb.21:                               ;   in Loop: Header=BB203_13 Depth=1
	v_and_b32_e32 v4, 7, v1
	v_lshrrev_b32_e32 v5, 3, v2
	v_cmp_gt_u32_e64 s[4:5], 8, v2
	v_ffbh_u32_e32 v2, v4
	v_min_u32_e32 v6, 32, v2
	v_subrev_u32_e32 v2, 28, v6
	v_lshlrev_b64 v[2:3], v2, v[1:2]
	v_sub_u32_e32 v3, 29, v6
	v_and_b32_e32 v2, 7, v2
	v_cndmask_b32_e64 v3, v5, v3, s[4:5]
	v_cndmask_b32_e64 v2, v4, v2, s[4:5]
	v_bfrev_b32_e32 v5, 60
	v_lshlrev_b32_e32 v2, 20, v2
	v_and_b32_sdwa v4, sext(v1), s54 dst_sel:DWORD dst_unused:UNUSED_PAD src0_sel:BYTE_0 src1_sel:DWORD
	v_lshl_add_u32 v3, v3, 23, v5
	v_or3_b32 v43, v4, v3, v2
	v_mov_b32_e32 v44, v49
.LBB203_22:                             ;   in Loop: Header=BB203_13 Depth=1
	s_or_b64 exec, exec, s[44:45]
.LBB203_23:                             ;   in Loop: Header=BB203_13 Depth=1
	s_or_b64 exec, exec, s[42:43]
.LBB203_24:                             ;   in Loop: Header=BB203_13 Depth=1
	s_or_b64 exec, exec, s[40:41]
	v_cmp_ne_u16_sdwa s[4:5], v1, v49 src0_sel:BYTE_1 src1_sel:DWORD
	s_and_saveexec_b64 s[40:41], s[4:5]
	s_cbranch_execz .LBB203_30
; %bb.25:                               ;   in Loop: Header=BB203_13 Depth=1
	v_mov_b32_e32 v45, v49
	v_cmp_ne_u16_sdwa s[4:5], v1, s52 src0_sel:BYTE_1 src1_sel:DWORD
	v_mov_b32_e32 v46, v50
	s_and_saveexec_b64 s[42:43], s[4:5]
	s_cbranch_execz .LBB203_29
; %bb.26:                               ;   in Loop: Header=BB203_13 Depth=1
	v_mov_b32_e32 v62, v49
	v_and_b32_sdwa v2, v1, s53 dst_sel:DWORD dst_unused:UNUSED_PAD src0_sel:BYTE_1 src1_sel:DWORD
	v_mov_b32_e32 v45, v62
	v_cmp_ne_u32_e64 s[4:5], s53, v2
	v_mov_b32_e32 v46, v63
	s_and_saveexec_b64 s[44:45], s[4:5]
	s_cbranch_execz .LBB203_28
; %bb.27:                               ;   in Loop: Header=BB203_13 Depth=1
	v_mov_b32_e32 v3, 7
	v_and_b32_sdwa v3, v1, v3 dst_sel:DWORD dst_unused:UNUSED_PAD src0_sel:BYTE_1 src1_sel:DWORD
	v_lshrrev_b32_e32 v6, 3, v2
	v_cmp_gt_u32_e64 s[4:5], 8, v2
	v_ffbh_u32_e32 v2, v3
	v_min_u32_e32 v2, 32, v2
	v_mov_b32_e32 v4, v49
	v_subrev_u32_e32 v5, 28, v2
	v_lshlrev_b64 v[4:5], v5, v[3:4]
	v_sub_u32_e32 v2, 29, v2
	v_and_b32_e32 v4, 7, v4
	v_cndmask_b32_e64 v2, v6, v2, s[4:5]
	v_cndmask_b32_e64 v3, v3, v4, s[4:5]
	v_bfrev_b32_e32 v4, 60
	v_lshlrev_b32_e32 v1, 16, v1
	v_lshl_add_u32 v2, v2, 23, v4
	v_and_or_b32 v1, v1, s54, v2
	v_lshlrev_b32_e32 v2, 20, v3
	v_or_b32_e32 v46, v1, v2
	v_mov_b32_e32 v45, v49
.LBB203_28:                             ;   in Loop: Header=BB203_13 Depth=1
	s_or_b64 exec, exec, s[44:45]
.LBB203_29:                             ;   in Loop: Header=BB203_13 Depth=1
	s_or_b64 exec, exec, s[42:43]
.LBB203_30:                             ;   in Loop: Header=BB203_13 Depth=1
	s_or_b64 exec, exec, s[40:41]
	global_load_ushort v2, v[59:60], off offset:4
	v_mov_b32_e32 v41, 0
	v_mov_b32_e32 v47, 0
	;; [unrolled: 1-line block ×4, first 2 shown]
	s_waitcnt vmcnt(0)
	v_and_b32_e32 v1, 0xffff, v2
	v_cmp_ne_u16_sdwa s[4:5], v2, v49 src0_sel:BYTE_0 src1_sel:DWORD
	s_and_saveexec_b64 s[40:41], s[4:5]
	s_cbranch_execz .LBB203_36
; %bb.31:                               ;   in Loop: Header=BB203_13 Depth=1
	v_bfrev_b32_e32 v47, 1
	v_mov_b32_e32 v48, 0
	v_cmp_ne_u16_sdwa s[4:5], v1, s52 src0_sel:BYTE_0 src1_sel:DWORD
	s_and_saveexec_b64 s[42:43], s[4:5]
	s_cbranch_execz .LBB203_35
; %bb.32:                               ;   in Loop: Header=BB203_13 Depth=1
	v_and_b32_e32 v2, 0x7f, v1
	v_mov_b32_e32 v47, 0x7f800001
	v_mov_b32_e32 v48, 0
	v_cmp_ne_u32_e64 s[4:5], s53, v2
	s_and_saveexec_b64 s[44:45], s[4:5]
	s_cbranch_execz .LBB203_34
; %bb.33:                               ;   in Loop: Header=BB203_13 Depth=1
	v_and_b32_e32 v4, 7, v1
	v_lshrrev_b32_e32 v5, 3, v2
	v_cmp_gt_u32_e64 s[4:5], 8, v2
	v_ffbh_u32_e32 v2, v4
	v_min_u32_e32 v6, 32, v2
	v_subrev_u32_e32 v2, 28, v6
	v_lshlrev_b64 v[2:3], v2, v[1:2]
	v_sub_u32_e32 v3, 29, v6
	v_and_b32_e32 v2, 7, v2
	v_cndmask_b32_e64 v3, v5, v3, s[4:5]
	v_cndmask_b32_e64 v2, v4, v2, s[4:5]
	v_bfrev_b32_e32 v5, 60
	v_lshlrev_b32_e32 v2, 20, v2
	v_and_b32_sdwa v4, sext(v1), s54 dst_sel:DWORD dst_unused:UNUSED_PAD src0_sel:BYTE_0 src1_sel:DWORD
	v_lshl_add_u32 v3, v3, 23, v5
	v_or3_b32 v47, v4, v3, v2
	v_mov_b32_e32 v48, v49
.LBB203_34:                             ;   in Loop: Header=BB203_13 Depth=1
	s_or_b64 exec, exec, s[44:45]
.LBB203_35:                             ;   in Loop: Header=BB203_13 Depth=1
	s_or_b64 exec, exec, s[42:43]
.LBB203_36:                             ;   in Loop: Header=BB203_13 Depth=1
	s_or_b64 exec, exec, s[40:41]
	v_cmp_ne_u16_sdwa s[4:5], v1, v49 src0_sel:BYTE_1 src1_sel:DWORD
	s_and_saveexec_b64 s[40:41], s[4:5]
	s_cbranch_execz .LBB203_42
; %bb.37:                               ;   in Loop: Header=BB203_13 Depth=1
	v_mov_b32_e32 v41, v49
	v_cmp_ne_u16_sdwa s[4:5], v1, s52 src0_sel:BYTE_1 src1_sel:DWORD
	v_mov_b32_e32 v42, v50
	s_and_saveexec_b64 s[42:43], s[4:5]
	s_cbranch_execz .LBB203_41
; %bb.38:                               ;   in Loop: Header=BB203_13 Depth=1
	v_mov_b32_e32 v62, v49
	v_and_b32_sdwa v2, v1, s53 dst_sel:DWORD dst_unused:UNUSED_PAD src0_sel:BYTE_1 src1_sel:DWORD
	v_mov_b32_e32 v41, v62
	v_cmp_ne_u32_e64 s[4:5], s53, v2
	v_mov_b32_e32 v42, v63
	s_and_saveexec_b64 s[44:45], s[4:5]
	s_cbranch_execz .LBB203_40
; %bb.39:                               ;   in Loop: Header=BB203_13 Depth=1
	v_mov_b32_e32 v3, 7
	v_and_b32_sdwa v3, v1, v3 dst_sel:DWORD dst_unused:UNUSED_PAD src0_sel:BYTE_1 src1_sel:DWORD
	v_lshrrev_b32_e32 v6, 3, v2
	v_cmp_gt_u32_e64 s[4:5], 8, v2
	v_ffbh_u32_e32 v2, v3
	v_min_u32_e32 v2, 32, v2
	v_mov_b32_e32 v4, v49
	v_subrev_u32_e32 v5, 28, v2
	v_lshlrev_b64 v[4:5], v5, v[3:4]
	v_sub_u32_e32 v2, 29, v2
	v_and_b32_e32 v4, 7, v4
	v_cndmask_b32_e64 v2, v6, v2, s[4:5]
	v_cndmask_b32_e64 v3, v3, v4, s[4:5]
	v_bfrev_b32_e32 v4, 60
	v_lshlrev_b32_e32 v1, 16, v1
	v_lshl_add_u32 v2, v2, 23, v4
	v_and_or_b32 v1, v1, s54, v2
	v_lshlrev_b32_e32 v2, 20, v3
	v_or_b32_e32 v42, v1, v2
	v_mov_b32_e32 v41, v49
.LBB203_40:                             ;   in Loop: Header=BB203_13 Depth=1
	s_or_b64 exec, exec, s[44:45]
.LBB203_41:                             ;   in Loop: Header=BB203_13 Depth=1
	s_or_b64 exec, exec, s[42:43]
.LBB203_42:                             ;   in Loop: Header=BB203_13 Depth=1
	s_or_b64 exec, exec, s[40:41]
	global_load_ushort v2, v[59:60], off offset:8
	s_waitcnt vmcnt(0)
	v_and_b32_e32 v1, 0xffff, v2
	v_cmp_ne_u16_sdwa s[4:5], v2, v49 src0_sel:BYTE_0 src1_sel:DWORD
	v_mov_b32_e32 v2, 0
	v_mov_b32_e32 v3, 0
	buffer_store_dword v2, off, s[56:59], 0 offset:16 ; 4-byte Folded Spill
	s_nop 0
	buffer_store_dword v3, off, s[56:59], 0 offset:20 ; 4-byte Folded Spill
	v_mov_b32_e32 v2, 0
	v_mov_b32_e32 v3, 0
	buffer_store_dword v2, off, s[56:59], 0 offset:8 ; 4-byte Folded Spill
	s_nop 0
	buffer_store_dword v3, off, s[56:59], 0 offset:12 ; 4-byte Folded Spill
	s_and_saveexec_b64 s[40:41], s[4:5]
	s_cbranch_execz .LBB203_48
; %bb.43:                               ;   in Loop: Header=BB203_13 Depth=1
	v_bfrev_b32_e32 v2, 1
	v_mov_b32_e32 v3, 0
	v_cmp_ne_u16_sdwa s[4:5], v1, s52 src0_sel:BYTE_0 src1_sel:DWORD
	buffer_store_dword v2, off, s[56:59], 0 offset:8 ; 4-byte Folded Spill
	s_nop 0
	buffer_store_dword v3, off, s[56:59], 0 offset:12 ; 4-byte Folded Spill
	s_and_saveexec_b64 s[42:43], s[4:5]
	s_cbranch_execz .LBB203_47
; %bb.44:                               ;   in Loop: Header=BB203_13 Depth=1
	v_and_b32_e32 v2, 0x7f, v1
	v_mov_b32_e32 v3, 0x7f800001
	v_mov_b32_e32 v4, 0
	v_cmp_ne_u32_e64 s[4:5], s53, v2
	buffer_store_dword v3, off, s[56:59], 0 offset:8 ; 4-byte Folded Spill
	s_nop 0
	buffer_store_dword v4, off, s[56:59], 0 offset:12 ; 4-byte Folded Spill
	s_and_saveexec_b64 s[44:45], s[4:5]
	s_cbranch_execz .LBB203_46
; %bb.45:                               ;   in Loop: Header=BB203_13 Depth=1
	v_and_b32_e32 v4, 7, v1
	v_lshrrev_b32_e32 v5, 3, v2
	v_cmp_gt_u32_e64 s[4:5], 8, v2
	v_ffbh_u32_e32 v2, v4
	v_min_u32_e32 v6, 32, v2
	v_subrev_u32_e32 v2, 28, v6
	v_lshlrev_b64 v[2:3], v2, v[1:2]
	v_sub_u32_e32 v3, 29, v6
	v_and_b32_e32 v2, 7, v2
	v_cndmask_b32_e64 v3, v5, v3, s[4:5]
	v_cndmask_b32_e64 v2, v4, v2, s[4:5]
	v_bfrev_b32_e32 v5, 60
	v_lshlrev_b32_e32 v2, 20, v2
	v_and_b32_sdwa v4, sext(v1), s54 dst_sel:DWORD dst_unused:UNUSED_PAD src0_sel:BYTE_0 src1_sel:DWORD
	v_lshl_add_u32 v3, v3, 23, v5
	v_or3_b32 v2, v4, v3, v2
	v_mov_b32_e32 v3, v49
	buffer_store_dword v2, off, s[56:59], 0 offset:8 ; 4-byte Folded Spill
	s_nop 0
	buffer_store_dword v3, off, s[56:59], 0 offset:12 ; 4-byte Folded Spill
.LBB203_46:                             ;   in Loop: Header=BB203_13 Depth=1
	s_or_b64 exec, exec, s[44:45]
.LBB203_47:                             ;   in Loop: Header=BB203_13 Depth=1
	s_or_b64 exec, exec, s[42:43]
.LBB203_48:                             ;   in Loop: Header=BB203_13 Depth=1
	s_or_b64 exec, exec, s[40:41]
	v_cmp_ne_u16_sdwa s[4:5], v1, v49 src0_sel:BYTE_1 src1_sel:DWORD
	s_and_saveexec_b64 s[40:41], s[4:5]
	s_cbranch_execz .LBB203_54
; %bb.49:                               ;   in Loop: Header=BB203_13 Depth=1
	v_cmp_ne_u16_sdwa s[4:5], v1, s52 src0_sel:BYTE_1 src1_sel:DWORD
	buffer_store_dword v49, off, s[56:59], 0 offset:16 ; 4-byte Folded Spill
	s_nop 0
	buffer_store_dword v50, off, s[56:59], 0 offset:20 ; 4-byte Folded Spill
	s_and_saveexec_b64 s[42:43], s[4:5]
	s_cbranch_execz .LBB203_53
; %bb.50:                               ;   in Loop: Header=BB203_13 Depth=1
	v_and_b32_sdwa v2, v1, s53 dst_sel:DWORD dst_unused:UNUSED_PAD src0_sel:BYTE_1 src1_sel:DWORD
	v_cmp_ne_u32_e64 s[4:5], s53, v2
	v_mov_b32_e32 v62, v49
	buffer_store_dword v62, off, s[56:59], 0 offset:16 ; 4-byte Folded Spill
	s_nop 0
	buffer_store_dword v63, off, s[56:59], 0 offset:20 ; 4-byte Folded Spill
	s_and_saveexec_b64 s[44:45], s[4:5]
	s_cbranch_execz .LBB203_52
; %bb.51:                               ;   in Loop: Header=BB203_13 Depth=1
	v_mov_b32_e32 v3, 7
	v_and_b32_sdwa v3, v1, v3 dst_sel:DWORD dst_unused:UNUSED_PAD src0_sel:BYTE_1 src1_sel:DWORD
	v_lshrrev_b32_e32 v6, 3, v2
	v_cmp_gt_u32_e64 s[4:5], 8, v2
	v_ffbh_u32_e32 v2, v3
	v_min_u32_e32 v2, 32, v2
	v_mov_b32_e32 v4, v49
	v_subrev_u32_e32 v5, 28, v2
	v_lshlrev_b64 v[4:5], v5, v[3:4]
	v_sub_u32_e32 v2, 29, v2
	v_and_b32_e32 v4, 7, v4
	v_cndmask_b32_e64 v2, v6, v2, s[4:5]
	v_cndmask_b32_e64 v3, v3, v4, s[4:5]
	v_bfrev_b32_e32 v4, 60
	v_lshlrev_b32_e32 v1, 16, v1
	v_lshl_add_u32 v2, v2, 23, v4
	v_and_or_b32 v1, v1, s54, v2
	v_lshlrev_b32_e32 v2, 20, v3
	v_or_b32_e32 v2, v1, v2
	v_mov_b32_e32 v1, v49
	buffer_store_dword v1, off, s[56:59], 0 offset:16 ; 4-byte Folded Spill
	s_nop 0
	buffer_store_dword v2, off, s[56:59], 0 offset:20 ; 4-byte Folded Spill
.LBB203_52:                             ;   in Loop: Header=BB203_13 Depth=1
	s_or_b64 exec, exec, s[44:45]
.LBB203_53:                             ;   in Loop: Header=BB203_13 Depth=1
	s_or_b64 exec, exec, s[42:43]
.LBB203_54:                             ;   in Loop: Header=BB203_13 Depth=1
	s_or_b64 exec, exec, s[40:41]
	global_load_ushort v2, v[59:60], off offset:12
	s_waitcnt vmcnt(0)
	v_and_b32_e32 v1, 0xffff, v2
	v_cmp_ne_u16_sdwa s[4:5], v2, v49 src0_sel:BYTE_0 src1_sel:DWORD
	v_mov_b32_e32 v2, 0
	v_mov_b32_e32 v3, 0
	buffer_store_dword v2, off, s[56:59], 0 offset:32 ; 4-byte Folded Spill
	s_nop 0
	buffer_store_dword v3, off, s[56:59], 0 offset:36 ; 4-byte Folded Spill
	v_mov_b32_e32 v2, 0
	v_mov_b32_e32 v3, 0
	buffer_store_dword v2, off, s[56:59], 0 offset:24 ; 4-byte Folded Spill
	s_nop 0
	buffer_store_dword v3, off, s[56:59], 0 offset:28 ; 4-byte Folded Spill
	s_and_saveexec_b64 s[40:41], s[4:5]
	s_cbranch_execz .LBB203_60
; %bb.55:                               ;   in Loop: Header=BB203_13 Depth=1
	v_bfrev_b32_e32 v2, 1
	v_mov_b32_e32 v3, 0
	v_cmp_ne_u16_sdwa s[4:5], v1, s52 src0_sel:BYTE_0 src1_sel:DWORD
	buffer_store_dword v2, off, s[56:59], 0 offset:24 ; 4-byte Folded Spill
	s_nop 0
	buffer_store_dword v3, off, s[56:59], 0 offset:28 ; 4-byte Folded Spill
	s_and_saveexec_b64 s[42:43], s[4:5]
	s_cbranch_execz .LBB203_59
; %bb.56:                               ;   in Loop: Header=BB203_13 Depth=1
	v_and_b32_e32 v2, 0x7f, v1
	v_mov_b32_e32 v3, 0x7f800001
	v_mov_b32_e32 v4, 0
	v_cmp_ne_u32_e64 s[4:5], s53, v2
	buffer_store_dword v3, off, s[56:59], 0 offset:24 ; 4-byte Folded Spill
	s_nop 0
	buffer_store_dword v4, off, s[56:59], 0 offset:28 ; 4-byte Folded Spill
	s_and_saveexec_b64 s[44:45], s[4:5]
	s_cbranch_execz .LBB203_58
; %bb.57:                               ;   in Loop: Header=BB203_13 Depth=1
	v_and_b32_e32 v4, 7, v1
	v_lshrrev_b32_e32 v5, 3, v2
	v_cmp_gt_u32_e64 s[4:5], 8, v2
	v_ffbh_u32_e32 v2, v4
	v_min_u32_e32 v6, 32, v2
	v_subrev_u32_e32 v2, 28, v6
	v_lshlrev_b64 v[2:3], v2, v[1:2]
	v_sub_u32_e32 v3, 29, v6
	v_and_b32_e32 v2, 7, v2
	v_cndmask_b32_e64 v3, v5, v3, s[4:5]
	v_cndmask_b32_e64 v2, v4, v2, s[4:5]
	v_bfrev_b32_e32 v5, 60
	v_lshlrev_b32_e32 v2, 20, v2
	v_and_b32_sdwa v4, sext(v1), s54 dst_sel:DWORD dst_unused:UNUSED_PAD src0_sel:BYTE_0 src1_sel:DWORD
	v_lshl_add_u32 v3, v3, 23, v5
	v_or3_b32 v2, v4, v3, v2
	v_mov_b32_e32 v3, v49
	buffer_store_dword v2, off, s[56:59], 0 offset:24 ; 4-byte Folded Spill
	s_nop 0
	buffer_store_dword v3, off, s[56:59], 0 offset:28 ; 4-byte Folded Spill
.LBB203_58:                             ;   in Loop: Header=BB203_13 Depth=1
	s_or_b64 exec, exec, s[44:45]
.LBB203_59:                             ;   in Loop: Header=BB203_13 Depth=1
	s_or_b64 exec, exec, s[42:43]
.LBB203_60:                             ;   in Loop: Header=BB203_13 Depth=1
	s_or_b64 exec, exec, s[40:41]
	v_cmp_ne_u16_sdwa s[4:5], v1, v49 src0_sel:BYTE_1 src1_sel:DWORD
	s_and_saveexec_b64 s[40:41], s[4:5]
	s_cbranch_execz .LBB203_66
; %bb.61:                               ;   in Loop: Header=BB203_13 Depth=1
	v_cmp_ne_u16_sdwa s[4:5], v1, s52 src0_sel:BYTE_1 src1_sel:DWORD
	buffer_store_dword v49, off, s[56:59], 0 offset:32 ; 4-byte Folded Spill
	s_nop 0
	buffer_store_dword v50, off, s[56:59], 0 offset:36 ; 4-byte Folded Spill
	s_and_saveexec_b64 s[42:43], s[4:5]
	s_cbranch_execz .LBB203_65
; %bb.62:                               ;   in Loop: Header=BB203_13 Depth=1
	v_and_b32_sdwa v2, v1, s53 dst_sel:DWORD dst_unused:UNUSED_PAD src0_sel:BYTE_1 src1_sel:DWORD
	v_cmp_ne_u32_e64 s[4:5], s53, v2
	v_mov_b32_e32 v62, v49
	buffer_store_dword v62, off, s[56:59], 0 offset:32 ; 4-byte Folded Spill
	s_nop 0
	buffer_store_dword v63, off, s[56:59], 0 offset:36 ; 4-byte Folded Spill
	s_and_saveexec_b64 s[44:45], s[4:5]
	s_cbranch_execz .LBB203_64
; %bb.63:                               ;   in Loop: Header=BB203_13 Depth=1
	v_mov_b32_e32 v3, 7
	v_and_b32_sdwa v3, v1, v3 dst_sel:DWORD dst_unused:UNUSED_PAD src0_sel:BYTE_1 src1_sel:DWORD
	v_lshrrev_b32_e32 v6, 3, v2
	v_cmp_gt_u32_e64 s[4:5], 8, v2
	v_ffbh_u32_e32 v2, v3
	v_min_u32_e32 v2, 32, v2
	v_mov_b32_e32 v4, v49
	v_subrev_u32_e32 v5, 28, v2
	v_lshlrev_b64 v[4:5], v5, v[3:4]
	v_sub_u32_e32 v2, 29, v2
	v_and_b32_e32 v4, 7, v4
	v_cndmask_b32_e64 v2, v6, v2, s[4:5]
	v_cndmask_b32_e64 v3, v3, v4, s[4:5]
	v_bfrev_b32_e32 v4, 60
	v_lshlrev_b32_e32 v1, 16, v1
	v_lshl_add_u32 v2, v2, 23, v4
	v_and_or_b32 v1, v1, s54, v2
	v_lshlrev_b32_e32 v2, 20, v3
	v_or_b32_e32 v2, v1, v2
	v_mov_b32_e32 v1, v49
	buffer_store_dword v1, off, s[56:59], 0 offset:32 ; 4-byte Folded Spill
	s_nop 0
	buffer_store_dword v2, off, s[56:59], 0 offset:36 ; 4-byte Folded Spill
.LBB203_64:                             ;   in Loop: Header=BB203_13 Depth=1
	s_or_b64 exec, exec, s[44:45]
.LBB203_65:                             ;   in Loop: Header=BB203_13 Depth=1
	s_or_b64 exec, exec, s[42:43]
.LBB203_66:                             ;   in Loop: Header=BB203_13 Depth=1
	s_or_b64 exec, exec, s[40:41]
	global_load_ushort v2, v[59:60], off offset:512
	s_waitcnt vmcnt(0)
	v_and_b32_e32 v1, 0xffff, v2
	v_cmp_ne_u16_sdwa s[4:5], v2, v49 src0_sel:BYTE_0 src1_sel:DWORD
	v_mov_b32_e32 v2, 0
	v_mov_b32_e32 v3, 0
	buffer_store_dword v2, off, s[56:59], 0 offset:48 ; 4-byte Folded Spill
	s_nop 0
	buffer_store_dword v3, off, s[56:59], 0 offset:52 ; 4-byte Folded Spill
	v_mov_b32_e32 v2, 0
	v_mov_b32_e32 v3, 0
	buffer_store_dword v2, off, s[56:59], 0 offset:40 ; 4-byte Folded Spill
	s_nop 0
	buffer_store_dword v3, off, s[56:59], 0 offset:44 ; 4-byte Folded Spill
	s_and_saveexec_b64 s[40:41], s[4:5]
	s_cbranch_execz .LBB203_72
; %bb.67:                               ;   in Loop: Header=BB203_13 Depth=1
	v_bfrev_b32_e32 v2, 1
	v_mov_b32_e32 v3, 0
	v_cmp_ne_u16_sdwa s[4:5], v1, s52 src0_sel:BYTE_0 src1_sel:DWORD
	buffer_store_dword v2, off, s[56:59], 0 offset:40 ; 4-byte Folded Spill
	s_nop 0
	buffer_store_dword v3, off, s[56:59], 0 offset:44 ; 4-byte Folded Spill
	s_and_saveexec_b64 s[42:43], s[4:5]
	s_cbranch_execz .LBB203_71
; %bb.68:                               ;   in Loop: Header=BB203_13 Depth=1
	v_and_b32_e32 v2, 0x7f, v1
	v_mov_b32_e32 v3, 0x7f800001
	v_mov_b32_e32 v4, 0
	v_cmp_ne_u32_e64 s[4:5], s53, v2
	buffer_store_dword v3, off, s[56:59], 0 offset:40 ; 4-byte Folded Spill
	s_nop 0
	buffer_store_dword v4, off, s[56:59], 0 offset:44 ; 4-byte Folded Spill
	s_and_saveexec_b64 s[44:45], s[4:5]
	s_cbranch_execz .LBB203_70
; %bb.69:                               ;   in Loop: Header=BB203_13 Depth=1
	v_and_b32_e32 v4, 7, v1
	v_lshrrev_b32_e32 v5, 3, v2
	v_cmp_gt_u32_e64 s[4:5], 8, v2
	v_ffbh_u32_e32 v2, v4
	v_min_u32_e32 v6, 32, v2
	v_subrev_u32_e32 v2, 28, v6
	v_lshlrev_b64 v[2:3], v2, v[1:2]
	v_sub_u32_e32 v3, 29, v6
	v_and_b32_e32 v2, 7, v2
	v_cndmask_b32_e64 v3, v5, v3, s[4:5]
	v_cndmask_b32_e64 v2, v4, v2, s[4:5]
	v_bfrev_b32_e32 v5, 60
	v_lshlrev_b32_e32 v2, 20, v2
	v_and_b32_sdwa v4, sext(v1), s54 dst_sel:DWORD dst_unused:UNUSED_PAD src0_sel:BYTE_0 src1_sel:DWORD
	v_lshl_add_u32 v3, v3, 23, v5
	v_or3_b32 v2, v4, v3, v2
	v_mov_b32_e32 v3, v49
	buffer_store_dword v2, off, s[56:59], 0 offset:40 ; 4-byte Folded Spill
	s_nop 0
	buffer_store_dword v3, off, s[56:59], 0 offset:44 ; 4-byte Folded Spill
.LBB203_70:                             ;   in Loop: Header=BB203_13 Depth=1
	s_or_b64 exec, exec, s[44:45]
.LBB203_71:                             ;   in Loop: Header=BB203_13 Depth=1
	s_or_b64 exec, exec, s[42:43]
.LBB203_72:                             ;   in Loop: Header=BB203_13 Depth=1
	s_or_b64 exec, exec, s[40:41]
	v_cmp_ne_u16_sdwa s[4:5], v1, v49 src0_sel:BYTE_1 src1_sel:DWORD
	s_and_saveexec_b64 s[40:41], s[4:5]
	s_cbranch_execz .LBB203_78
; %bb.73:                               ;   in Loop: Header=BB203_13 Depth=1
	v_cmp_ne_u16_sdwa s[4:5], v1, s52 src0_sel:BYTE_1 src1_sel:DWORD
	buffer_store_dword v49, off, s[56:59], 0 offset:48 ; 4-byte Folded Spill
	s_nop 0
	buffer_store_dword v50, off, s[56:59], 0 offset:52 ; 4-byte Folded Spill
	s_and_saveexec_b64 s[42:43], s[4:5]
	s_cbranch_execz .LBB203_77
; %bb.74:                               ;   in Loop: Header=BB203_13 Depth=1
	v_and_b32_sdwa v2, v1, s53 dst_sel:DWORD dst_unused:UNUSED_PAD src0_sel:BYTE_1 src1_sel:DWORD
	v_cmp_ne_u32_e64 s[4:5], s53, v2
	v_mov_b32_e32 v62, v49
	buffer_store_dword v62, off, s[56:59], 0 offset:48 ; 4-byte Folded Spill
	s_nop 0
	buffer_store_dword v63, off, s[56:59], 0 offset:52 ; 4-byte Folded Spill
	s_and_saveexec_b64 s[44:45], s[4:5]
	s_cbranch_execz .LBB203_76
; %bb.75:                               ;   in Loop: Header=BB203_13 Depth=1
	v_mov_b32_e32 v3, 7
	v_and_b32_sdwa v3, v1, v3 dst_sel:DWORD dst_unused:UNUSED_PAD src0_sel:BYTE_1 src1_sel:DWORD
	v_lshrrev_b32_e32 v6, 3, v2
	v_cmp_gt_u32_e64 s[4:5], 8, v2
	v_ffbh_u32_e32 v2, v3
	v_min_u32_e32 v2, 32, v2
	v_mov_b32_e32 v4, v49
	v_subrev_u32_e32 v5, 28, v2
	v_lshlrev_b64 v[4:5], v5, v[3:4]
	v_sub_u32_e32 v2, 29, v2
	v_and_b32_e32 v4, 7, v4
	v_cndmask_b32_e64 v2, v6, v2, s[4:5]
	v_cndmask_b32_e64 v3, v3, v4, s[4:5]
	v_bfrev_b32_e32 v4, 60
	v_lshlrev_b32_e32 v1, 16, v1
	v_lshl_add_u32 v2, v2, 23, v4
	v_and_or_b32 v1, v1, s54, v2
	v_lshlrev_b32_e32 v2, 20, v3
	v_or_b32_e32 v2, v1, v2
	v_mov_b32_e32 v1, v49
	buffer_store_dword v1, off, s[56:59], 0 offset:48 ; 4-byte Folded Spill
	s_nop 0
	buffer_store_dword v2, off, s[56:59], 0 offset:52 ; 4-byte Folded Spill
.LBB203_76:                             ;   in Loop: Header=BB203_13 Depth=1
	s_or_b64 exec, exec, s[44:45]
.LBB203_77:                             ;   in Loop: Header=BB203_13 Depth=1
	s_or_b64 exec, exec, s[42:43]
.LBB203_78:                             ;   in Loop: Header=BB203_13 Depth=1
	s_or_b64 exec, exec, s[40:41]
	global_load_ushort v2, v[59:60], off offset:516
	s_waitcnt vmcnt(0)
	v_and_b32_e32 v1, 0xffff, v2
	v_cmp_ne_u16_sdwa s[4:5], v2, v49 src0_sel:BYTE_0 src1_sel:DWORD
	v_mov_b32_e32 v2, 0
	v_mov_b32_e32 v3, 0
	buffer_store_dword v2, off, s[56:59], 0 offset:64 ; 4-byte Folded Spill
	s_nop 0
	buffer_store_dword v3, off, s[56:59], 0 offset:68 ; 4-byte Folded Spill
	v_mov_b32_e32 v2, 0
	v_mov_b32_e32 v3, 0
	buffer_store_dword v2, off, s[56:59], 0 offset:56 ; 4-byte Folded Spill
	s_nop 0
	buffer_store_dword v3, off, s[56:59], 0 offset:60 ; 4-byte Folded Spill
	s_and_saveexec_b64 s[40:41], s[4:5]
	s_cbranch_execz .LBB203_84
; %bb.79:                               ;   in Loop: Header=BB203_13 Depth=1
	v_bfrev_b32_e32 v2, 1
	v_mov_b32_e32 v3, 0
	v_cmp_ne_u16_sdwa s[4:5], v1, s52 src0_sel:BYTE_0 src1_sel:DWORD
	buffer_store_dword v2, off, s[56:59], 0 offset:56 ; 4-byte Folded Spill
	s_nop 0
	buffer_store_dword v3, off, s[56:59], 0 offset:60 ; 4-byte Folded Spill
	s_and_saveexec_b64 s[42:43], s[4:5]
	s_cbranch_execz .LBB203_83
; %bb.80:                               ;   in Loop: Header=BB203_13 Depth=1
	v_and_b32_e32 v2, 0x7f, v1
	v_mov_b32_e32 v3, 0x7f800001
	v_mov_b32_e32 v4, 0
	v_cmp_ne_u32_e64 s[4:5], s53, v2
	buffer_store_dword v3, off, s[56:59], 0 offset:56 ; 4-byte Folded Spill
	s_nop 0
	buffer_store_dword v4, off, s[56:59], 0 offset:60 ; 4-byte Folded Spill
	s_and_saveexec_b64 s[44:45], s[4:5]
	s_cbranch_execz .LBB203_82
; %bb.81:                               ;   in Loop: Header=BB203_13 Depth=1
	v_and_b32_e32 v4, 7, v1
	v_lshrrev_b32_e32 v5, 3, v2
	v_cmp_gt_u32_e64 s[4:5], 8, v2
	v_ffbh_u32_e32 v2, v4
	v_min_u32_e32 v6, 32, v2
	v_subrev_u32_e32 v2, 28, v6
	v_lshlrev_b64 v[2:3], v2, v[1:2]
	v_sub_u32_e32 v3, 29, v6
	v_and_b32_e32 v2, 7, v2
	v_cndmask_b32_e64 v3, v5, v3, s[4:5]
	v_cndmask_b32_e64 v2, v4, v2, s[4:5]
	v_bfrev_b32_e32 v5, 60
	v_lshlrev_b32_e32 v2, 20, v2
	v_and_b32_sdwa v4, sext(v1), s54 dst_sel:DWORD dst_unused:UNUSED_PAD src0_sel:BYTE_0 src1_sel:DWORD
	v_lshl_add_u32 v3, v3, 23, v5
	v_or3_b32 v2, v4, v3, v2
	v_mov_b32_e32 v3, v49
	buffer_store_dword v2, off, s[56:59], 0 offset:56 ; 4-byte Folded Spill
	s_nop 0
	buffer_store_dword v3, off, s[56:59], 0 offset:60 ; 4-byte Folded Spill
.LBB203_82:                             ;   in Loop: Header=BB203_13 Depth=1
	s_or_b64 exec, exec, s[44:45]
.LBB203_83:                             ;   in Loop: Header=BB203_13 Depth=1
	s_or_b64 exec, exec, s[42:43]
.LBB203_84:                             ;   in Loop: Header=BB203_13 Depth=1
	s_or_b64 exec, exec, s[40:41]
	v_cmp_ne_u16_sdwa s[4:5], v1, v49 src0_sel:BYTE_1 src1_sel:DWORD
	s_and_saveexec_b64 s[40:41], s[4:5]
	s_cbranch_execz .LBB203_90
; %bb.85:                               ;   in Loop: Header=BB203_13 Depth=1
	v_cmp_ne_u16_sdwa s[4:5], v1, s52 src0_sel:BYTE_1 src1_sel:DWORD
	buffer_store_dword v49, off, s[56:59], 0 offset:64 ; 4-byte Folded Spill
	s_nop 0
	buffer_store_dword v50, off, s[56:59], 0 offset:68 ; 4-byte Folded Spill
	s_and_saveexec_b64 s[42:43], s[4:5]
	s_cbranch_execz .LBB203_89
; %bb.86:                               ;   in Loop: Header=BB203_13 Depth=1
	v_and_b32_sdwa v2, v1, s53 dst_sel:DWORD dst_unused:UNUSED_PAD src0_sel:BYTE_1 src1_sel:DWORD
	v_cmp_ne_u32_e64 s[4:5], s53, v2
	v_mov_b32_e32 v62, v49
	buffer_store_dword v62, off, s[56:59], 0 offset:64 ; 4-byte Folded Spill
	s_nop 0
	buffer_store_dword v63, off, s[56:59], 0 offset:68 ; 4-byte Folded Spill
	s_and_saveexec_b64 s[44:45], s[4:5]
	s_cbranch_execz .LBB203_88
; %bb.87:                               ;   in Loop: Header=BB203_13 Depth=1
	v_mov_b32_e32 v3, 7
	v_and_b32_sdwa v3, v1, v3 dst_sel:DWORD dst_unused:UNUSED_PAD src0_sel:BYTE_1 src1_sel:DWORD
	v_lshrrev_b32_e32 v6, 3, v2
	v_cmp_gt_u32_e64 s[4:5], 8, v2
	v_ffbh_u32_e32 v2, v3
	v_min_u32_e32 v2, 32, v2
	v_mov_b32_e32 v4, v49
	v_subrev_u32_e32 v5, 28, v2
	v_lshlrev_b64 v[4:5], v5, v[3:4]
	v_sub_u32_e32 v2, 29, v2
	v_and_b32_e32 v4, 7, v4
	v_cndmask_b32_e64 v2, v6, v2, s[4:5]
	v_cndmask_b32_e64 v3, v3, v4, s[4:5]
	v_bfrev_b32_e32 v4, 60
	v_lshlrev_b32_e32 v1, 16, v1
	v_lshl_add_u32 v2, v2, 23, v4
	v_and_or_b32 v1, v1, s54, v2
	v_lshlrev_b32_e32 v2, 20, v3
	v_or_b32_e32 v2, v1, v2
	v_mov_b32_e32 v1, v49
	buffer_store_dword v1, off, s[56:59], 0 offset:64 ; 4-byte Folded Spill
	s_nop 0
	buffer_store_dword v2, off, s[56:59], 0 offset:68 ; 4-byte Folded Spill
.LBB203_88:                             ;   in Loop: Header=BB203_13 Depth=1
	s_or_b64 exec, exec, s[44:45]
.LBB203_89:                             ;   in Loop: Header=BB203_13 Depth=1
	s_or_b64 exec, exec, s[42:43]
.LBB203_90:                             ;   in Loop: Header=BB203_13 Depth=1
	s_or_b64 exec, exec, s[40:41]
	global_load_ushort v2, v[59:60], off offset:520
	s_waitcnt vmcnt(0)
	v_and_b32_e32 v1, 0xffff, v2
	v_cmp_ne_u16_sdwa s[4:5], v2, v49 src0_sel:BYTE_0 src1_sel:DWORD
	v_mov_b32_e32 v2, 0
	v_mov_b32_e32 v3, 0
	buffer_store_dword v2, off, s[56:59], 0 offset:80 ; 4-byte Folded Spill
	s_nop 0
	buffer_store_dword v3, off, s[56:59], 0 offset:84 ; 4-byte Folded Spill
	v_mov_b32_e32 v2, 0
	v_mov_b32_e32 v3, 0
	buffer_store_dword v2, off, s[56:59], 0 offset:72 ; 4-byte Folded Spill
	s_nop 0
	buffer_store_dword v3, off, s[56:59], 0 offset:76 ; 4-byte Folded Spill
	s_and_saveexec_b64 s[40:41], s[4:5]
	s_cbranch_execz .LBB203_96
; %bb.91:                               ;   in Loop: Header=BB203_13 Depth=1
	v_bfrev_b32_e32 v2, 1
	v_mov_b32_e32 v3, 0
	v_cmp_ne_u16_sdwa s[4:5], v1, s52 src0_sel:BYTE_0 src1_sel:DWORD
	buffer_store_dword v2, off, s[56:59], 0 offset:72 ; 4-byte Folded Spill
	s_nop 0
	buffer_store_dword v3, off, s[56:59], 0 offset:76 ; 4-byte Folded Spill
	s_and_saveexec_b64 s[42:43], s[4:5]
	s_cbranch_execz .LBB203_95
; %bb.92:                               ;   in Loop: Header=BB203_13 Depth=1
	v_and_b32_e32 v2, 0x7f, v1
	v_mov_b32_e32 v3, 0x7f800001
	v_mov_b32_e32 v4, 0
	v_cmp_ne_u32_e64 s[4:5], s53, v2
	buffer_store_dword v3, off, s[56:59], 0 offset:72 ; 4-byte Folded Spill
	s_nop 0
	buffer_store_dword v4, off, s[56:59], 0 offset:76 ; 4-byte Folded Spill
	s_and_saveexec_b64 s[44:45], s[4:5]
	s_cbranch_execz .LBB203_94
; %bb.93:                               ;   in Loop: Header=BB203_13 Depth=1
	v_and_b32_e32 v4, 7, v1
	v_lshrrev_b32_e32 v5, 3, v2
	v_cmp_gt_u32_e64 s[4:5], 8, v2
	v_ffbh_u32_e32 v2, v4
	v_min_u32_e32 v6, 32, v2
	v_subrev_u32_e32 v2, 28, v6
	v_lshlrev_b64 v[2:3], v2, v[1:2]
	v_sub_u32_e32 v3, 29, v6
	v_and_b32_e32 v2, 7, v2
	v_cndmask_b32_e64 v3, v5, v3, s[4:5]
	v_cndmask_b32_e64 v2, v4, v2, s[4:5]
	v_bfrev_b32_e32 v5, 60
	v_lshlrev_b32_e32 v2, 20, v2
	v_and_b32_sdwa v4, sext(v1), s54 dst_sel:DWORD dst_unused:UNUSED_PAD src0_sel:BYTE_0 src1_sel:DWORD
	v_lshl_add_u32 v3, v3, 23, v5
	v_or3_b32 v2, v4, v3, v2
	v_mov_b32_e32 v3, v49
	buffer_store_dword v2, off, s[56:59], 0 offset:72 ; 4-byte Folded Spill
	s_nop 0
	buffer_store_dword v3, off, s[56:59], 0 offset:76 ; 4-byte Folded Spill
.LBB203_94:                             ;   in Loop: Header=BB203_13 Depth=1
	s_or_b64 exec, exec, s[44:45]
.LBB203_95:                             ;   in Loop: Header=BB203_13 Depth=1
	s_or_b64 exec, exec, s[42:43]
.LBB203_96:                             ;   in Loop: Header=BB203_13 Depth=1
	s_or_b64 exec, exec, s[40:41]
	v_cmp_ne_u16_sdwa s[4:5], v1, v49 src0_sel:BYTE_1 src1_sel:DWORD
	s_and_saveexec_b64 s[40:41], s[4:5]
	s_cbranch_execz .LBB203_102
; %bb.97:                               ;   in Loop: Header=BB203_13 Depth=1
	v_cmp_ne_u16_sdwa s[4:5], v1, s52 src0_sel:BYTE_1 src1_sel:DWORD
	buffer_store_dword v49, off, s[56:59], 0 offset:80 ; 4-byte Folded Spill
	s_nop 0
	buffer_store_dword v50, off, s[56:59], 0 offset:84 ; 4-byte Folded Spill
	s_and_saveexec_b64 s[42:43], s[4:5]
	s_cbranch_execz .LBB203_101
; %bb.98:                               ;   in Loop: Header=BB203_13 Depth=1
	v_and_b32_sdwa v2, v1, s53 dst_sel:DWORD dst_unused:UNUSED_PAD src0_sel:BYTE_1 src1_sel:DWORD
	v_cmp_ne_u32_e64 s[4:5], s53, v2
	v_mov_b32_e32 v62, v49
	buffer_store_dword v62, off, s[56:59], 0 offset:80 ; 4-byte Folded Spill
	s_nop 0
	buffer_store_dword v63, off, s[56:59], 0 offset:84 ; 4-byte Folded Spill
	s_and_saveexec_b64 s[44:45], s[4:5]
	s_cbranch_execz .LBB203_100
; %bb.99:                               ;   in Loop: Header=BB203_13 Depth=1
	v_mov_b32_e32 v3, 7
	v_and_b32_sdwa v3, v1, v3 dst_sel:DWORD dst_unused:UNUSED_PAD src0_sel:BYTE_1 src1_sel:DWORD
	v_lshrrev_b32_e32 v6, 3, v2
	v_cmp_gt_u32_e64 s[4:5], 8, v2
	v_ffbh_u32_e32 v2, v3
	v_min_u32_e32 v2, 32, v2
	v_mov_b32_e32 v4, v49
	v_subrev_u32_e32 v5, 28, v2
	v_lshlrev_b64 v[4:5], v5, v[3:4]
	v_sub_u32_e32 v2, 29, v2
	v_and_b32_e32 v4, 7, v4
	v_cndmask_b32_e64 v2, v6, v2, s[4:5]
	v_cndmask_b32_e64 v3, v3, v4, s[4:5]
	v_bfrev_b32_e32 v4, 60
	v_lshlrev_b32_e32 v1, 16, v1
	v_lshl_add_u32 v2, v2, 23, v4
	v_and_or_b32 v1, v1, s54, v2
	v_lshlrev_b32_e32 v2, 20, v3
	v_or_b32_e32 v2, v1, v2
	v_mov_b32_e32 v1, v49
	buffer_store_dword v1, off, s[56:59], 0 offset:80 ; 4-byte Folded Spill
	s_nop 0
	buffer_store_dword v2, off, s[56:59], 0 offset:84 ; 4-byte Folded Spill
.LBB203_100:                            ;   in Loop: Header=BB203_13 Depth=1
	s_or_b64 exec, exec, s[44:45]
.LBB203_101:                            ;   in Loop: Header=BB203_13 Depth=1
	s_or_b64 exec, exec, s[42:43]
.LBB203_102:                            ;   in Loop: Header=BB203_13 Depth=1
	s_or_b64 exec, exec, s[40:41]
	global_load_ushort v2, v[59:60], off offset:524
	s_waitcnt vmcnt(0)
	v_and_b32_e32 v1, 0xffff, v2
	v_cmp_ne_u16_sdwa s[4:5], v2, v49 src0_sel:BYTE_0 src1_sel:DWORD
	v_mov_b32_e32 v2, 0
	v_mov_b32_e32 v3, 0
	buffer_store_dword v2, off, s[56:59], 0 offset:96 ; 4-byte Folded Spill
	s_nop 0
	buffer_store_dword v3, off, s[56:59], 0 offset:100 ; 4-byte Folded Spill
	v_mov_b32_e32 v2, 0
	v_mov_b32_e32 v3, 0
	buffer_store_dword v2, off, s[56:59], 0 offset:88 ; 4-byte Folded Spill
	s_nop 0
	buffer_store_dword v3, off, s[56:59], 0 offset:92 ; 4-byte Folded Spill
	s_and_saveexec_b64 s[40:41], s[4:5]
	s_cbranch_execz .LBB203_108
; %bb.103:                              ;   in Loop: Header=BB203_13 Depth=1
	v_bfrev_b32_e32 v2, 1
	v_mov_b32_e32 v3, 0
	v_cmp_ne_u16_sdwa s[4:5], v1, s52 src0_sel:BYTE_0 src1_sel:DWORD
	buffer_store_dword v2, off, s[56:59], 0 offset:88 ; 4-byte Folded Spill
	s_nop 0
	buffer_store_dword v3, off, s[56:59], 0 offset:92 ; 4-byte Folded Spill
	s_and_saveexec_b64 s[42:43], s[4:5]
	s_cbranch_execz .LBB203_107
; %bb.104:                              ;   in Loop: Header=BB203_13 Depth=1
	v_and_b32_e32 v2, 0x7f, v1
	v_mov_b32_e32 v3, 0x7f800001
	v_mov_b32_e32 v4, 0
	v_cmp_ne_u32_e64 s[4:5], s53, v2
	buffer_store_dword v3, off, s[56:59], 0 offset:88 ; 4-byte Folded Spill
	s_nop 0
	buffer_store_dword v4, off, s[56:59], 0 offset:92 ; 4-byte Folded Spill
	s_and_saveexec_b64 s[44:45], s[4:5]
	s_cbranch_execz .LBB203_106
; %bb.105:                              ;   in Loop: Header=BB203_13 Depth=1
	v_and_b32_e32 v4, 7, v1
	v_lshrrev_b32_e32 v5, 3, v2
	v_cmp_gt_u32_e64 s[4:5], 8, v2
	v_ffbh_u32_e32 v2, v4
	v_min_u32_e32 v6, 32, v2
	v_subrev_u32_e32 v2, 28, v6
	v_lshlrev_b64 v[2:3], v2, v[1:2]
	v_sub_u32_e32 v3, 29, v6
	v_and_b32_e32 v2, 7, v2
	v_cndmask_b32_e64 v3, v5, v3, s[4:5]
	v_cndmask_b32_e64 v2, v4, v2, s[4:5]
	v_bfrev_b32_e32 v5, 60
	v_lshlrev_b32_e32 v2, 20, v2
	v_and_b32_sdwa v4, sext(v1), s54 dst_sel:DWORD dst_unused:UNUSED_PAD src0_sel:BYTE_0 src1_sel:DWORD
	v_lshl_add_u32 v3, v3, 23, v5
	v_or3_b32 v2, v4, v3, v2
	v_mov_b32_e32 v3, v49
	buffer_store_dword v2, off, s[56:59], 0 offset:88 ; 4-byte Folded Spill
	s_nop 0
	buffer_store_dword v3, off, s[56:59], 0 offset:92 ; 4-byte Folded Spill
.LBB203_106:                            ;   in Loop: Header=BB203_13 Depth=1
	s_or_b64 exec, exec, s[44:45]
.LBB203_107:                            ;   in Loop: Header=BB203_13 Depth=1
	s_or_b64 exec, exec, s[42:43]
.LBB203_108:                            ;   in Loop: Header=BB203_13 Depth=1
	s_or_b64 exec, exec, s[40:41]
	v_cmp_ne_u16_sdwa s[4:5], v1, v49 src0_sel:BYTE_1 src1_sel:DWORD
	s_and_saveexec_b64 s[40:41], s[4:5]
	s_cbranch_execz .LBB203_114
; %bb.109:                              ;   in Loop: Header=BB203_13 Depth=1
	v_cmp_ne_u16_sdwa s[4:5], v1, s52 src0_sel:BYTE_1 src1_sel:DWORD
	buffer_store_dword v49, off, s[56:59], 0 offset:96 ; 4-byte Folded Spill
	s_nop 0
	buffer_store_dword v50, off, s[56:59], 0 offset:100 ; 4-byte Folded Spill
	s_and_saveexec_b64 s[42:43], s[4:5]
	s_cbranch_execz .LBB203_113
; %bb.110:                              ;   in Loop: Header=BB203_13 Depth=1
	v_and_b32_sdwa v2, v1, s53 dst_sel:DWORD dst_unused:UNUSED_PAD src0_sel:BYTE_1 src1_sel:DWORD
	v_cmp_ne_u32_e64 s[4:5], s53, v2
	v_mov_b32_e32 v62, v49
	buffer_store_dword v62, off, s[56:59], 0 offset:96 ; 4-byte Folded Spill
	s_nop 0
	buffer_store_dword v63, off, s[56:59], 0 offset:100 ; 4-byte Folded Spill
	s_and_saveexec_b64 s[44:45], s[4:5]
	s_cbranch_execz .LBB203_112
; %bb.111:                              ;   in Loop: Header=BB203_13 Depth=1
	v_mov_b32_e32 v3, 7
	v_and_b32_sdwa v3, v1, v3 dst_sel:DWORD dst_unused:UNUSED_PAD src0_sel:BYTE_1 src1_sel:DWORD
	v_lshrrev_b32_e32 v6, 3, v2
	v_cmp_gt_u32_e64 s[4:5], 8, v2
	v_ffbh_u32_e32 v2, v3
	v_min_u32_e32 v2, 32, v2
	v_mov_b32_e32 v4, v49
	v_subrev_u32_e32 v5, 28, v2
	v_lshlrev_b64 v[4:5], v5, v[3:4]
	v_sub_u32_e32 v2, 29, v2
	v_and_b32_e32 v4, 7, v4
	v_cndmask_b32_e64 v2, v6, v2, s[4:5]
	v_cndmask_b32_e64 v3, v3, v4, s[4:5]
	v_bfrev_b32_e32 v4, 60
	v_lshlrev_b32_e32 v1, 16, v1
	v_lshl_add_u32 v2, v2, 23, v4
	v_and_or_b32 v1, v1, s54, v2
	v_lshlrev_b32_e32 v2, 20, v3
	v_or_b32_e32 v2, v1, v2
	v_mov_b32_e32 v1, v49
	buffer_store_dword v1, off, s[56:59], 0 offset:96 ; 4-byte Folded Spill
	s_nop 0
	buffer_store_dword v2, off, s[56:59], 0 offset:100 ; 4-byte Folded Spill
.LBB203_112:                            ;   in Loop: Header=BB203_13 Depth=1
	s_or_b64 exec, exec, s[44:45]
.LBB203_113:                            ;   in Loop: Header=BB203_13 Depth=1
	s_or_b64 exec, exec, s[42:43]
.LBB203_114:                            ;   in Loop: Header=BB203_13 Depth=1
	s_or_b64 exec, exec, s[40:41]
	global_load_ushort v2, v[59:60], off offset:1024
	s_waitcnt vmcnt(0)
	v_and_b32_e32 v1, 0xffff, v2
	v_cmp_ne_u16_sdwa s[4:5], v2, v49 src0_sel:BYTE_0 src1_sel:DWORD
	v_mov_b32_e32 v2, 0
	v_mov_b32_e32 v3, 0
	buffer_store_dword v2, off, s[56:59], 0 offset:112 ; 4-byte Folded Spill
	s_nop 0
	buffer_store_dword v3, off, s[56:59], 0 offset:116 ; 4-byte Folded Spill
	v_mov_b32_e32 v2, 0
	v_mov_b32_e32 v3, 0
	buffer_store_dword v2, off, s[56:59], 0 offset:104 ; 4-byte Folded Spill
	s_nop 0
	buffer_store_dword v3, off, s[56:59], 0 offset:108 ; 4-byte Folded Spill
	s_and_saveexec_b64 s[40:41], s[4:5]
	s_cbranch_execz .LBB203_120
; %bb.115:                              ;   in Loop: Header=BB203_13 Depth=1
	v_bfrev_b32_e32 v2, 1
	v_mov_b32_e32 v3, 0
	v_cmp_ne_u16_sdwa s[4:5], v1, s52 src0_sel:BYTE_0 src1_sel:DWORD
	buffer_store_dword v2, off, s[56:59], 0 offset:104 ; 4-byte Folded Spill
	s_nop 0
	buffer_store_dword v3, off, s[56:59], 0 offset:108 ; 4-byte Folded Spill
	s_and_saveexec_b64 s[42:43], s[4:5]
	s_cbranch_execz .LBB203_119
; %bb.116:                              ;   in Loop: Header=BB203_13 Depth=1
	v_and_b32_e32 v2, 0x7f, v1
	v_mov_b32_e32 v3, 0x7f800001
	v_mov_b32_e32 v4, 0
	v_cmp_ne_u32_e64 s[4:5], s53, v2
	buffer_store_dword v3, off, s[56:59], 0 offset:104 ; 4-byte Folded Spill
	s_nop 0
	buffer_store_dword v4, off, s[56:59], 0 offset:108 ; 4-byte Folded Spill
	s_and_saveexec_b64 s[44:45], s[4:5]
	s_cbranch_execz .LBB203_118
; %bb.117:                              ;   in Loop: Header=BB203_13 Depth=1
	v_and_b32_e32 v4, 7, v1
	v_lshrrev_b32_e32 v5, 3, v2
	v_cmp_gt_u32_e64 s[4:5], 8, v2
	v_ffbh_u32_e32 v2, v4
	v_min_u32_e32 v6, 32, v2
	v_subrev_u32_e32 v2, 28, v6
	v_lshlrev_b64 v[2:3], v2, v[1:2]
	v_sub_u32_e32 v3, 29, v6
	v_and_b32_e32 v2, 7, v2
	v_cndmask_b32_e64 v3, v5, v3, s[4:5]
	v_cndmask_b32_e64 v2, v4, v2, s[4:5]
	v_bfrev_b32_e32 v5, 60
	v_lshlrev_b32_e32 v2, 20, v2
	v_and_b32_sdwa v4, sext(v1), s54 dst_sel:DWORD dst_unused:UNUSED_PAD src0_sel:BYTE_0 src1_sel:DWORD
	v_lshl_add_u32 v3, v3, 23, v5
	v_or3_b32 v2, v4, v3, v2
	v_mov_b32_e32 v3, v49
	buffer_store_dword v2, off, s[56:59], 0 offset:104 ; 4-byte Folded Spill
	s_nop 0
	buffer_store_dword v3, off, s[56:59], 0 offset:108 ; 4-byte Folded Spill
.LBB203_118:                            ;   in Loop: Header=BB203_13 Depth=1
	s_or_b64 exec, exec, s[44:45]
.LBB203_119:                            ;   in Loop: Header=BB203_13 Depth=1
	s_or_b64 exec, exec, s[42:43]
.LBB203_120:                            ;   in Loop: Header=BB203_13 Depth=1
	s_or_b64 exec, exec, s[40:41]
	v_cmp_ne_u16_sdwa s[4:5], v1, v49 src0_sel:BYTE_1 src1_sel:DWORD
	s_and_saveexec_b64 s[40:41], s[4:5]
	s_cbranch_execz .LBB203_126
; %bb.121:                              ;   in Loop: Header=BB203_13 Depth=1
	v_cmp_ne_u16_sdwa s[4:5], v1, s52 src0_sel:BYTE_1 src1_sel:DWORD
	buffer_store_dword v49, off, s[56:59], 0 offset:112 ; 4-byte Folded Spill
	s_nop 0
	buffer_store_dword v50, off, s[56:59], 0 offset:116 ; 4-byte Folded Spill
	s_and_saveexec_b64 s[42:43], s[4:5]
	s_cbranch_execz .LBB203_125
; %bb.122:                              ;   in Loop: Header=BB203_13 Depth=1
	v_and_b32_sdwa v2, v1, s53 dst_sel:DWORD dst_unused:UNUSED_PAD src0_sel:BYTE_1 src1_sel:DWORD
	v_cmp_ne_u32_e64 s[4:5], s53, v2
	v_mov_b32_e32 v62, v49
	buffer_store_dword v62, off, s[56:59], 0 offset:112 ; 4-byte Folded Spill
	s_nop 0
	buffer_store_dword v63, off, s[56:59], 0 offset:116 ; 4-byte Folded Spill
	s_and_saveexec_b64 s[44:45], s[4:5]
	s_cbranch_execz .LBB203_124
; %bb.123:                              ;   in Loop: Header=BB203_13 Depth=1
	v_mov_b32_e32 v3, 7
	v_and_b32_sdwa v3, v1, v3 dst_sel:DWORD dst_unused:UNUSED_PAD src0_sel:BYTE_1 src1_sel:DWORD
	v_lshrrev_b32_e32 v6, 3, v2
	v_cmp_gt_u32_e64 s[4:5], 8, v2
	v_ffbh_u32_e32 v2, v3
	v_min_u32_e32 v2, 32, v2
	v_mov_b32_e32 v4, v49
	v_subrev_u32_e32 v5, 28, v2
	v_lshlrev_b64 v[4:5], v5, v[3:4]
	v_sub_u32_e32 v2, 29, v2
	v_and_b32_e32 v4, 7, v4
	v_cndmask_b32_e64 v2, v6, v2, s[4:5]
	v_cndmask_b32_e64 v3, v3, v4, s[4:5]
	v_bfrev_b32_e32 v4, 60
	v_lshlrev_b32_e32 v1, 16, v1
	v_lshl_add_u32 v2, v2, 23, v4
	v_and_or_b32 v1, v1, s54, v2
	v_lshlrev_b32_e32 v2, 20, v3
	v_or_b32_e32 v2, v1, v2
	v_mov_b32_e32 v1, v49
	buffer_store_dword v1, off, s[56:59], 0 offset:112 ; 4-byte Folded Spill
	s_nop 0
	buffer_store_dword v2, off, s[56:59], 0 offset:116 ; 4-byte Folded Spill
.LBB203_124:                            ;   in Loop: Header=BB203_13 Depth=1
	s_or_b64 exec, exec, s[44:45]
.LBB203_125:                            ;   in Loop: Header=BB203_13 Depth=1
	s_or_b64 exec, exec, s[42:43]
.LBB203_126:                            ;   in Loop: Header=BB203_13 Depth=1
	s_or_b64 exec, exec, s[40:41]
	global_load_ushort v2, v[59:60], off offset:1028
	s_waitcnt vmcnt(0)
	v_and_b32_e32 v1, 0xffff, v2
	v_cmp_ne_u16_sdwa s[4:5], v2, v49 src0_sel:BYTE_0 src1_sel:DWORD
	v_mov_b32_e32 v2, 0
	v_mov_b32_e32 v3, 0
	buffer_store_dword v2, off, s[56:59], 0 offset:128 ; 4-byte Folded Spill
	s_nop 0
	buffer_store_dword v3, off, s[56:59], 0 offset:132 ; 4-byte Folded Spill
	v_mov_b32_e32 v2, 0
	v_mov_b32_e32 v3, 0
	buffer_store_dword v2, off, s[56:59], 0 offset:120 ; 4-byte Folded Spill
	s_nop 0
	buffer_store_dword v3, off, s[56:59], 0 offset:124 ; 4-byte Folded Spill
	s_and_saveexec_b64 s[40:41], s[4:5]
	s_cbranch_execz .LBB203_132
; %bb.127:                              ;   in Loop: Header=BB203_13 Depth=1
	v_bfrev_b32_e32 v2, 1
	v_mov_b32_e32 v3, 0
	v_cmp_ne_u16_sdwa s[4:5], v1, s52 src0_sel:BYTE_0 src1_sel:DWORD
	buffer_store_dword v2, off, s[56:59], 0 offset:120 ; 4-byte Folded Spill
	s_nop 0
	buffer_store_dword v3, off, s[56:59], 0 offset:124 ; 4-byte Folded Spill
	s_and_saveexec_b64 s[42:43], s[4:5]
	s_cbranch_execz .LBB203_131
; %bb.128:                              ;   in Loop: Header=BB203_13 Depth=1
	v_and_b32_e32 v2, 0x7f, v1
	v_mov_b32_e32 v3, 0x7f800001
	v_mov_b32_e32 v4, 0
	v_cmp_ne_u32_e64 s[4:5], s53, v2
	buffer_store_dword v3, off, s[56:59], 0 offset:120 ; 4-byte Folded Spill
	s_nop 0
	buffer_store_dword v4, off, s[56:59], 0 offset:124 ; 4-byte Folded Spill
	s_and_saveexec_b64 s[44:45], s[4:5]
	s_cbranch_execz .LBB203_130
; %bb.129:                              ;   in Loop: Header=BB203_13 Depth=1
	v_and_b32_e32 v4, 7, v1
	v_lshrrev_b32_e32 v5, 3, v2
	v_cmp_gt_u32_e64 s[4:5], 8, v2
	v_ffbh_u32_e32 v2, v4
	v_min_u32_e32 v6, 32, v2
	v_subrev_u32_e32 v2, 28, v6
	v_lshlrev_b64 v[2:3], v2, v[1:2]
	v_sub_u32_e32 v3, 29, v6
	v_and_b32_e32 v2, 7, v2
	v_cndmask_b32_e64 v3, v5, v3, s[4:5]
	v_cndmask_b32_e64 v2, v4, v2, s[4:5]
	v_bfrev_b32_e32 v5, 60
	v_lshlrev_b32_e32 v2, 20, v2
	v_and_b32_sdwa v4, sext(v1), s54 dst_sel:DWORD dst_unused:UNUSED_PAD src0_sel:BYTE_0 src1_sel:DWORD
	v_lshl_add_u32 v3, v3, 23, v5
	v_or3_b32 v2, v4, v3, v2
	v_mov_b32_e32 v3, v49
	buffer_store_dword v2, off, s[56:59], 0 offset:120 ; 4-byte Folded Spill
	s_nop 0
	buffer_store_dword v3, off, s[56:59], 0 offset:124 ; 4-byte Folded Spill
.LBB203_130:                            ;   in Loop: Header=BB203_13 Depth=1
	s_or_b64 exec, exec, s[44:45]
.LBB203_131:                            ;   in Loop: Header=BB203_13 Depth=1
	s_or_b64 exec, exec, s[42:43]
.LBB203_132:                            ;   in Loop: Header=BB203_13 Depth=1
	s_or_b64 exec, exec, s[40:41]
	v_cmp_ne_u16_sdwa s[4:5], v1, v49 src0_sel:BYTE_1 src1_sel:DWORD
	s_and_saveexec_b64 s[40:41], s[4:5]
	s_cbranch_execz .LBB203_138
; %bb.133:                              ;   in Loop: Header=BB203_13 Depth=1
	v_cmp_ne_u16_sdwa s[4:5], v1, s52 src0_sel:BYTE_1 src1_sel:DWORD
	buffer_store_dword v49, off, s[56:59], 0 offset:128 ; 4-byte Folded Spill
	s_nop 0
	buffer_store_dword v50, off, s[56:59], 0 offset:132 ; 4-byte Folded Spill
	s_and_saveexec_b64 s[42:43], s[4:5]
	s_cbranch_execz .LBB203_137
; %bb.134:                              ;   in Loop: Header=BB203_13 Depth=1
	v_and_b32_sdwa v2, v1, s53 dst_sel:DWORD dst_unused:UNUSED_PAD src0_sel:BYTE_1 src1_sel:DWORD
	v_cmp_ne_u32_e64 s[4:5], s53, v2
	v_mov_b32_e32 v62, v49
	buffer_store_dword v62, off, s[56:59], 0 offset:128 ; 4-byte Folded Spill
	s_nop 0
	buffer_store_dword v63, off, s[56:59], 0 offset:132 ; 4-byte Folded Spill
	s_and_saveexec_b64 s[44:45], s[4:5]
	s_cbranch_execz .LBB203_136
; %bb.135:                              ;   in Loop: Header=BB203_13 Depth=1
	v_mov_b32_e32 v3, 7
	v_and_b32_sdwa v3, v1, v3 dst_sel:DWORD dst_unused:UNUSED_PAD src0_sel:BYTE_1 src1_sel:DWORD
	v_lshrrev_b32_e32 v6, 3, v2
	v_cmp_gt_u32_e64 s[4:5], 8, v2
	v_ffbh_u32_e32 v2, v3
	v_min_u32_e32 v2, 32, v2
	v_mov_b32_e32 v4, v49
	v_subrev_u32_e32 v5, 28, v2
	v_lshlrev_b64 v[4:5], v5, v[3:4]
	v_sub_u32_e32 v2, 29, v2
	v_and_b32_e32 v4, 7, v4
	v_cndmask_b32_e64 v2, v6, v2, s[4:5]
	v_cndmask_b32_e64 v3, v3, v4, s[4:5]
	v_bfrev_b32_e32 v4, 60
	v_lshlrev_b32_e32 v1, 16, v1
	v_lshl_add_u32 v2, v2, 23, v4
	v_and_or_b32 v1, v1, s54, v2
	v_lshlrev_b32_e32 v2, 20, v3
	v_or_b32_e32 v2, v1, v2
	v_mov_b32_e32 v1, v49
	buffer_store_dword v1, off, s[56:59], 0 offset:128 ; 4-byte Folded Spill
	s_nop 0
	buffer_store_dword v2, off, s[56:59], 0 offset:132 ; 4-byte Folded Spill
.LBB203_136:                            ;   in Loop: Header=BB203_13 Depth=1
	s_or_b64 exec, exec, s[44:45]
.LBB203_137:                            ;   in Loop: Header=BB203_13 Depth=1
	s_or_b64 exec, exec, s[42:43]
.LBB203_138:                            ;   in Loop: Header=BB203_13 Depth=1
	s_or_b64 exec, exec, s[40:41]
	global_load_ushort v2, v[59:60], off offset:1032
	s_waitcnt vmcnt(0)
	v_and_b32_e32 v1, 0xffff, v2
	v_cmp_ne_u16_sdwa s[4:5], v2, v49 src0_sel:BYTE_0 src1_sel:DWORD
	v_mov_b32_e32 v2, 0
	v_mov_b32_e32 v3, 0
	buffer_store_dword v2, off, s[56:59], 0 offset:144 ; 4-byte Folded Spill
	s_nop 0
	buffer_store_dword v3, off, s[56:59], 0 offset:148 ; 4-byte Folded Spill
	v_mov_b32_e32 v2, 0
	v_mov_b32_e32 v3, 0
	buffer_store_dword v2, off, s[56:59], 0 offset:136 ; 4-byte Folded Spill
	s_nop 0
	buffer_store_dword v3, off, s[56:59], 0 offset:140 ; 4-byte Folded Spill
	s_and_saveexec_b64 s[40:41], s[4:5]
	s_cbranch_execz .LBB203_144
; %bb.139:                              ;   in Loop: Header=BB203_13 Depth=1
	v_bfrev_b32_e32 v2, 1
	v_mov_b32_e32 v3, 0
	v_cmp_ne_u16_sdwa s[4:5], v1, s52 src0_sel:BYTE_0 src1_sel:DWORD
	buffer_store_dword v2, off, s[56:59], 0 offset:136 ; 4-byte Folded Spill
	s_nop 0
	buffer_store_dword v3, off, s[56:59], 0 offset:140 ; 4-byte Folded Spill
	s_and_saveexec_b64 s[42:43], s[4:5]
	s_cbranch_execz .LBB203_143
; %bb.140:                              ;   in Loop: Header=BB203_13 Depth=1
	v_and_b32_e32 v2, 0x7f, v1
	v_mov_b32_e32 v3, 0x7f800001
	v_mov_b32_e32 v4, 0
	v_cmp_ne_u32_e64 s[4:5], s53, v2
	buffer_store_dword v3, off, s[56:59], 0 offset:136 ; 4-byte Folded Spill
	s_nop 0
	buffer_store_dword v4, off, s[56:59], 0 offset:140 ; 4-byte Folded Spill
	s_and_saveexec_b64 s[44:45], s[4:5]
	s_cbranch_execz .LBB203_142
; %bb.141:                              ;   in Loop: Header=BB203_13 Depth=1
	v_and_b32_e32 v4, 7, v1
	v_lshrrev_b32_e32 v5, 3, v2
	v_cmp_gt_u32_e64 s[4:5], 8, v2
	v_ffbh_u32_e32 v2, v4
	v_min_u32_e32 v6, 32, v2
	v_subrev_u32_e32 v2, 28, v6
	v_lshlrev_b64 v[2:3], v2, v[1:2]
	v_sub_u32_e32 v3, 29, v6
	v_and_b32_e32 v2, 7, v2
	v_cndmask_b32_e64 v3, v5, v3, s[4:5]
	v_cndmask_b32_e64 v2, v4, v2, s[4:5]
	v_bfrev_b32_e32 v5, 60
	v_lshlrev_b32_e32 v2, 20, v2
	v_and_b32_sdwa v4, sext(v1), s54 dst_sel:DWORD dst_unused:UNUSED_PAD src0_sel:BYTE_0 src1_sel:DWORD
	v_lshl_add_u32 v3, v3, 23, v5
	v_or3_b32 v2, v4, v3, v2
	v_mov_b32_e32 v3, v49
	buffer_store_dword v2, off, s[56:59], 0 offset:136 ; 4-byte Folded Spill
	s_nop 0
	buffer_store_dword v3, off, s[56:59], 0 offset:140 ; 4-byte Folded Spill
.LBB203_142:                            ;   in Loop: Header=BB203_13 Depth=1
	s_or_b64 exec, exec, s[44:45]
.LBB203_143:                            ;   in Loop: Header=BB203_13 Depth=1
	s_or_b64 exec, exec, s[42:43]
.LBB203_144:                            ;   in Loop: Header=BB203_13 Depth=1
	s_or_b64 exec, exec, s[40:41]
	v_cmp_ne_u16_sdwa s[4:5], v1, v49 src0_sel:BYTE_1 src1_sel:DWORD
	s_and_saveexec_b64 s[40:41], s[4:5]
	s_cbranch_execz .LBB203_150
; %bb.145:                              ;   in Loop: Header=BB203_13 Depth=1
	v_cmp_ne_u16_sdwa s[4:5], v1, s52 src0_sel:BYTE_1 src1_sel:DWORD
	buffer_store_dword v49, off, s[56:59], 0 offset:144 ; 4-byte Folded Spill
	s_nop 0
	buffer_store_dword v50, off, s[56:59], 0 offset:148 ; 4-byte Folded Spill
	s_and_saveexec_b64 s[42:43], s[4:5]
	s_cbranch_execz .LBB203_149
; %bb.146:                              ;   in Loop: Header=BB203_13 Depth=1
	v_and_b32_sdwa v2, v1, s53 dst_sel:DWORD dst_unused:UNUSED_PAD src0_sel:BYTE_1 src1_sel:DWORD
	v_cmp_ne_u32_e64 s[4:5], s53, v2
	v_mov_b32_e32 v62, v49
	buffer_store_dword v62, off, s[56:59], 0 offset:144 ; 4-byte Folded Spill
	s_nop 0
	buffer_store_dword v63, off, s[56:59], 0 offset:148 ; 4-byte Folded Spill
	s_and_saveexec_b64 s[44:45], s[4:5]
	s_cbranch_execz .LBB203_148
; %bb.147:                              ;   in Loop: Header=BB203_13 Depth=1
	v_mov_b32_e32 v3, 7
	v_and_b32_sdwa v3, v1, v3 dst_sel:DWORD dst_unused:UNUSED_PAD src0_sel:BYTE_1 src1_sel:DWORD
	v_lshrrev_b32_e32 v6, 3, v2
	v_cmp_gt_u32_e64 s[4:5], 8, v2
	v_ffbh_u32_e32 v2, v3
	v_min_u32_e32 v2, 32, v2
	v_mov_b32_e32 v4, v49
	v_subrev_u32_e32 v5, 28, v2
	v_lshlrev_b64 v[4:5], v5, v[3:4]
	v_sub_u32_e32 v2, 29, v2
	v_and_b32_e32 v4, 7, v4
	v_cndmask_b32_e64 v2, v6, v2, s[4:5]
	v_cndmask_b32_e64 v3, v3, v4, s[4:5]
	v_bfrev_b32_e32 v4, 60
	v_lshlrev_b32_e32 v1, 16, v1
	v_lshl_add_u32 v2, v2, 23, v4
	v_and_or_b32 v1, v1, s54, v2
	v_lshlrev_b32_e32 v2, 20, v3
	v_or_b32_e32 v2, v1, v2
	v_mov_b32_e32 v1, v49
	buffer_store_dword v1, off, s[56:59], 0 offset:144 ; 4-byte Folded Spill
	s_nop 0
	buffer_store_dword v2, off, s[56:59], 0 offset:148 ; 4-byte Folded Spill
.LBB203_148:                            ;   in Loop: Header=BB203_13 Depth=1
	s_or_b64 exec, exec, s[44:45]
.LBB203_149:                            ;   in Loop: Header=BB203_13 Depth=1
	s_or_b64 exec, exec, s[42:43]
.LBB203_150:                            ;   in Loop: Header=BB203_13 Depth=1
	s_or_b64 exec, exec, s[40:41]
	global_load_ushort v2, v[59:60], off offset:1036
	s_waitcnt vmcnt(0)
	v_and_b32_e32 v1, 0xffff, v2
	v_cmp_ne_u16_sdwa s[4:5], v2, v49 src0_sel:BYTE_0 src1_sel:DWORD
	v_mov_b32_e32 v2, 0
	v_mov_b32_e32 v3, 0
	buffer_store_dword v2, off, s[56:59], 0 offset:160 ; 4-byte Folded Spill
	s_nop 0
	buffer_store_dword v3, off, s[56:59], 0 offset:164 ; 4-byte Folded Spill
	v_mov_b32_e32 v2, 0
	v_mov_b32_e32 v3, 0
	buffer_store_dword v2, off, s[56:59], 0 offset:152 ; 4-byte Folded Spill
	s_nop 0
	buffer_store_dword v3, off, s[56:59], 0 offset:156 ; 4-byte Folded Spill
	s_and_saveexec_b64 s[40:41], s[4:5]
	s_cbranch_execz .LBB203_156
; %bb.151:                              ;   in Loop: Header=BB203_13 Depth=1
	v_bfrev_b32_e32 v2, 1
	v_mov_b32_e32 v3, 0
	v_cmp_ne_u16_sdwa s[4:5], v1, s52 src0_sel:BYTE_0 src1_sel:DWORD
	buffer_store_dword v2, off, s[56:59], 0 offset:152 ; 4-byte Folded Spill
	s_nop 0
	buffer_store_dword v3, off, s[56:59], 0 offset:156 ; 4-byte Folded Spill
	s_and_saveexec_b64 s[42:43], s[4:5]
	s_cbranch_execz .LBB203_155
; %bb.152:                              ;   in Loop: Header=BB203_13 Depth=1
	v_and_b32_e32 v2, 0x7f, v1
	v_mov_b32_e32 v3, 0x7f800001
	v_mov_b32_e32 v4, 0
	v_cmp_ne_u32_e64 s[4:5], s53, v2
	buffer_store_dword v3, off, s[56:59], 0 offset:152 ; 4-byte Folded Spill
	s_nop 0
	buffer_store_dword v4, off, s[56:59], 0 offset:156 ; 4-byte Folded Spill
	s_and_saveexec_b64 s[44:45], s[4:5]
	s_cbranch_execz .LBB203_154
; %bb.153:                              ;   in Loop: Header=BB203_13 Depth=1
	v_and_b32_e32 v4, 7, v1
	v_lshrrev_b32_e32 v5, 3, v2
	v_cmp_gt_u32_e64 s[4:5], 8, v2
	v_ffbh_u32_e32 v2, v4
	v_min_u32_e32 v6, 32, v2
	v_subrev_u32_e32 v2, 28, v6
	v_lshlrev_b64 v[2:3], v2, v[1:2]
	v_sub_u32_e32 v3, 29, v6
	v_and_b32_e32 v2, 7, v2
	v_cndmask_b32_e64 v3, v5, v3, s[4:5]
	v_cndmask_b32_e64 v2, v4, v2, s[4:5]
	v_bfrev_b32_e32 v5, 60
	v_lshlrev_b32_e32 v2, 20, v2
	v_and_b32_sdwa v4, sext(v1), s54 dst_sel:DWORD dst_unused:UNUSED_PAD src0_sel:BYTE_0 src1_sel:DWORD
	v_lshl_add_u32 v3, v3, 23, v5
	v_or3_b32 v2, v4, v3, v2
	v_mov_b32_e32 v3, v49
	buffer_store_dword v2, off, s[56:59], 0 offset:152 ; 4-byte Folded Spill
	s_nop 0
	buffer_store_dword v3, off, s[56:59], 0 offset:156 ; 4-byte Folded Spill
.LBB203_154:                            ;   in Loop: Header=BB203_13 Depth=1
	s_or_b64 exec, exec, s[44:45]
.LBB203_155:                            ;   in Loop: Header=BB203_13 Depth=1
	s_or_b64 exec, exec, s[42:43]
.LBB203_156:                            ;   in Loop: Header=BB203_13 Depth=1
	s_or_b64 exec, exec, s[40:41]
	v_cmp_ne_u16_sdwa s[4:5], v1, v49 src0_sel:BYTE_1 src1_sel:DWORD
	s_and_saveexec_b64 s[40:41], s[4:5]
	s_cbranch_execz .LBB203_162
; %bb.157:                              ;   in Loop: Header=BB203_13 Depth=1
	v_cmp_ne_u16_sdwa s[4:5], v1, s52 src0_sel:BYTE_1 src1_sel:DWORD
	buffer_store_dword v49, off, s[56:59], 0 offset:160 ; 4-byte Folded Spill
	s_nop 0
	buffer_store_dword v50, off, s[56:59], 0 offset:164 ; 4-byte Folded Spill
	s_and_saveexec_b64 s[42:43], s[4:5]
	s_cbranch_execz .LBB203_161
; %bb.158:                              ;   in Loop: Header=BB203_13 Depth=1
	v_and_b32_sdwa v2, v1, s53 dst_sel:DWORD dst_unused:UNUSED_PAD src0_sel:BYTE_1 src1_sel:DWORD
	v_cmp_ne_u32_e64 s[4:5], s53, v2
	v_mov_b32_e32 v62, v49
	buffer_store_dword v62, off, s[56:59], 0 offset:160 ; 4-byte Folded Spill
	s_nop 0
	buffer_store_dword v63, off, s[56:59], 0 offset:164 ; 4-byte Folded Spill
	s_and_saveexec_b64 s[44:45], s[4:5]
	s_cbranch_execz .LBB203_160
; %bb.159:                              ;   in Loop: Header=BB203_13 Depth=1
	v_mov_b32_e32 v3, 7
	v_and_b32_sdwa v3, v1, v3 dst_sel:DWORD dst_unused:UNUSED_PAD src0_sel:BYTE_1 src1_sel:DWORD
	v_lshrrev_b32_e32 v6, 3, v2
	v_cmp_gt_u32_e64 s[4:5], 8, v2
	v_ffbh_u32_e32 v2, v3
	v_min_u32_e32 v2, 32, v2
	v_mov_b32_e32 v4, v49
	v_subrev_u32_e32 v5, 28, v2
	v_lshlrev_b64 v[4:5], v5, v[3:4]
	v_sub_u32_e32 v2, 29, v2
	v_and_b32_e32 v4, 7, v4
	v_cndmask_b32_e64 v2, v6, v2, s[4:5]
	v_cndmask_b32_e64 v3, v3, v4, s[4:5]
	v_bfrev_b32_e32 v4, 60
	v_lshlrev_b32_e32 v1, 16, v1
	v_lshl_add_u32 v2, v2, 23, v4
	v_and_or_b32 v1, v1, s54, v2
	v_lshlrev_b32_e32 v2, 20, v3
	v_or_b32_e32 v2, v1, v2
	v_mov_b32_e32 v1, v49
	buffer_store_dword v1, off, s[56:59], 0 offset:160 ; 4-byte Folded Spill
	s_nop 0
	buffer_store_dword v2, off, s[56:59], 0 offset:164 ; 4-byte Folded Spill
.LBB203_160:                            ;   in Loop: Header=BB203_13 Depth=1
	s_or_b64 exec, exec, s[44:45]
.LBB203_161:                            ;   in Loop: Header=BB203_13 Depth=1
	s_or_b64 exec, exec, s[42:43]
.LBB203_162:                            ;   in Loop: Header=BB203_13 Depth=1
	s_or_b64 exec, exec, s[40:41]
	global_load_ushort v2, v[59:60], off offset:1536
	s_waitcnt vmcnt(0)
	v_and_b32_e32 v1, 0xffff, v2
	v_cmp_ne_u16_sdwa s[4:5], v2, v49 src0_sel:BYTE_0 src1_sel:DWORD
	v_mov_b32_e32 v2, 0
	v_mov_b32_e32 v3, 0
	buffer_store_dword v2, off, s[56:59], 0 offset:176 ; 4-byte Folded Spill
	s_nop 0
	buffer_store_dword v3, off, s[56:59], 0 offset:180 ; 4-byte Folded Spill
	v_mov_b32_e32 v2, 0
	v_mov_b32_e32 v3, 0
	buffer_store_dword v2, off, s[56:59], 0 offset:168 ; 4-byte Folded Spill
	s_nop 0
	buffer_store_dword v3, off, s[56:59], 0 offset:172 ; 4-byte Folded Spill
	s_and_saveexec_b64 s[40:41], s[4:5]
	s_cbranch_execz .LBB203_168
; %bb.163:                              ;   in Loop: Header=BB203_13 Depth=1
	v_bfrev_b32_e32 v2, 1
	v_mov_b32_e32 v3, 0
	v_cmp_ne_u16_sdwa s[4:5], v1, s52 src0_sel:BYTE_0 src1_sel:DWORD
	buffer_store_dword v2, off, s[56:59], 0 offset:168 ; 4-byte Folded Spill
	s_nop 0
	buffer_store_dword v3, off, s[56:59], 0 offset:172 ; 4-byte Folded Spill
	s_and_saveexec_b64 s[42:43], s[4:5]
	s_cbranch_execz .LBB203_167
; %bb.164:                              ;   in Loop: Header=BB203_13 Depth=1
	v_and_b32_e32 v2, 0x7f, v1
	v_mov_b32_e32 v3, 0x7f800001
	v_mov_b32_e32 v4, 0
	v_cmp_ne_u32_e64 s[4:5], s53, v2
	buffer_store_dword v3, off, s[56:59], 0 offset:168 ; 4-byte Folded Spill
	s_nop 0
	buffer_store_dword v4, off, s[56:59], 0 offset:172 ; 4-byte Folded Spill
	s_and_saveexec_b64 s[44:45], s[4:5]
	s_cbranch_execz .LBB203_166
; %bb.165:                              ;   in Loop: Header=BB203_13 Depth=1
	v_and_b32_e32 v4, 7, v1
	v_lshrrev_b32_e32 v5, 3, v2
	v_cmp_gt_u32_e64 s[4:5], 8, v2
	v_ffbh_u32_e32 v2, v4
	v_min_u32_e32 v6, 32, v2
	v_subrev_u32_e32 v2, 28, v6
	v_lshlrev_b64 v[2:3], v2, v[1:2]
	v_sub_u32_e32 v3, 29, v6
	v_and_b32_e32 v2, 7, v2
	v_cndmask_b32_e64 v3, v5, v3, s[4:5]
	v_cndmask_b32_e64 v2, v4, v2, s[4:5]
	v_bfrev_b32_e32 v5, 60
	v_lshlrev_b32_e32 v2, 20, v2
	v_and_b32_sdwa v4, sext(v1), s54 dst_sel:DWORD dst_unused:UNUSED_PAD src0_sel:BYTE_0 src1_sel:DWORD
	v_lshl_add_u32 v3, v3, 23, v5
	v_or3_b32 v2, v4, v3, v2
	v_mov_b32_e32 v3, v49
	buffer_store_dword v2, off, s[56:59], 0 offset:168 ; 4-byte Folded Spill
	s_nop 0
	buffer_store_dword v3, off, s[56:59], 0 offset:172 ; 4-byte Folded Spill
.LBB203_166:                            ;   in Loop: Header=BB203_13 Depth=1
	s_or_b64 exec, exec, s[44:45]
.LBB203_167:                            ;   in Loop: Header=BB203_13 Depth=1
	s_or_b64 exec, exec, s[42:43]
.LBB203_168:                            ;   in Loop: Header=BB203_13 Depth=1
	s_or_b64 exec, exec, s[40:41]
	v_cmp_ne_u16_sdwa s[4:5], v1, v49 src0_sel:BYTE_1 src1_sel:DWORD
	s_and_saveexec_b64 s[40:41], s[4:5]
	s_cbranch_execz .LBB203_174
; %bb.169:                              ;   in Loop: Header=BB203_13 Depth=1
	v_cmp_ne_u16_sdwa s[4:5], v1, s52 src0_sel:BYTE_1 src1_sel:DWORD
	buffer_store_dword v49, off, s[56:59], 0 offset:176 ; 4-byte Folded Spill
	s_nop 0
	buffer_store_dword v50, off, s[56:59], 0 offset:180 ; 4-byte Folded Spill
	s_and_saveexec_b64 s[42:43], s[4:5]
	s_cbranch_execz .LBB203_173
; %bb.170:                              ;   in Loop: Header=BB203_13 Depth=1
	v_and_b32_sdwa v2, v1, s53 dst_sel:DWORD dst_unused:UNUSED_PAD src0_sel:BYTE_1 src1_sel:DWORD
	v_cmp_ne_u32_e64 s[4:5], s53, v2
	v_mov_b32_e32 v62, v49
	buffer_store_dword v62, off, s[56:59], 0 offset:176 ; 4-byte Folded Spill
	s_nop 0
	buffer_store_dword v63, off, s[56:59], 0 offset:180 ; 4-byte Folded Spill
	s_and_saveexec_b64 s[44:45], s[4:5]
	s_cbranch_execz .LBB203_172
; %bb.171:                              ;   in Loop: Header=BB203_13 Depth=1
	v_mov_b32_e32 v3, 7
	v_and_b32_sdwa v3, v1, v3 dst_sel:DWORD dst_unused:UNUSED_PAD src0_sel:BYTE_1 src1_sel:DWORD
	v_lshrrev_b32_e32 v6, 3, v2
	v_cmp_gt_u32_e64 s[4:5], 8, v2
	v_ffbh_u32_e32 v2, v3
	v_min_u32_e32 v2, 32, v2
	v_mov_b32_e32 v4, v49
	v_subrev_u32_e32 v5, 28, v2
	v_lshlrev_b64 v[4:5], v5, v[3:4]
	v_sub_u32_e32 v2, 29, v2
	v_and_b32_e32 v4, 7, v4
	v_cndmask_b32_e64 v2, v6, v2, s[4:5]
	v_cndmask_b32_e64 v3, v3, v4, s[4:5]
	v_bfrev_b32_e32 v4, 60
	v_lshlrev_b32_e32 v1, 16, v1
	v_lshl_add_u32 v2, v2, 23, v4
	v_and_or_b32 v1, v1, s54, v2
	v_lshlrev_b32_e32 v2, 20, v3
	v_or_b32_e32 v2, v1, v2
	v_mov_b32_e32 v1, v49
	buffer_store_dword v1, off, s[56:59], 0 offset:176 ; 4-byte Folded Spill
	s_nop 0
	buffer_store_dword v2, off, s[56:59], 0 offset:180 ; 4-byte Folded Spill
.LBB203_172:                            ;   in Loop: Header=BB203_13 Depth=1
	s_or_b64 exec, exec, s[44:45]
.LBB203_173:                            ;   in Loop: Header=BB203_13 Depth=1
	s_or_b64 exec, exec, s[42:43]
.LBB203_174:                            ;   in Loop: Header=BB203_13 Depth=1
	s_or_b64 exec, exec, s[40:41]
	global_load_ushort v2, v[59:60], off offset:1540
	s_waitcnt vmcnt(0)
	v_and_b32_e32 v1, 0xffff, v2
	v_cmp_ne_u16_sdwa s[4:5], v2, v49 src0_sel:BYTE_0 src1_sel:DWORD
	v_mov_b32_e32 v2, 0
	v_mov_b32_e32 v3, 0
	buffer_store_dword v2, off, s[56:59], 0 offset:192 ; 4-byte Folded Spill
	s_nop 0
	buffer_store_dword v3, off, s[56:59], 0 offset:196 ; 4-byte Folded Spill
	v_mov_b32_e32 v2, 0
	v_mov_b32_e32 v3, 0
	buffer_store_dword v2, off, s[56:59], 0 offset:184 ; 4-byte Folded Spill
	s_nop 0
	buffer_store_dword v3, off, s[56:59], 0 offset:188 ; 4-byte Folded Spill
	s_and_saveexec_b64 s[40:41], s[4:5]
	s_cbranch_execz .LBB203_180
; %bb.175:                              ;   in Loop: Header=BB203_13 Depth=1
	v_bfrev_b32_e32 v2, 1
	v_mov_b32_e32 v3, 0
	v_cmp_ne_u16_sdwa s[4:5], v1, s52 src0_sel:BYTE_0 src1_sel:DWORD
	buffer_store_dword v2, off, s[56:59], 0 offset:184 ; 4-byte Folded Spill
	s_nop 0
	buffer_store_dword v3, off, s[56:59], 0 offset:188 ; 4-byte Folded Spill
	s_and_saveexec_b64 s[42:43], s[4:5]
	s_cbranch_execz .LBB203_179
; %bb.176:                              ;   in Loop: Header=BB203_13 Depth=1
	v_and_b32_e32 v2, 0x7f, v1
	v_mov_b32_e32 v3, 0x7f800001
	v_mov_b32_e32 v4, 0
	v_cmp_ne_u32_e64 s[4:5], s53, v2
	buffer_store_dword v3, off, s[56:59], 0 offset:184 ; 4-byte Folded Spill
	s_nop 0
	buffer_store_dword v4, off, s[56:59], 0 offset:188 ; 4-byte Folded Spill
	s_and_saveexec_b64 s[44:45], s[4:5]
	s_cbranch_execz .LBB203_178
; %bb.177:                              ;   in Loop: Header=BB203_13 Depth=1
	v_and_b32_e32 v4, 7, v1
	v_lshrrev_b32_e32 v5, 3, v2
	v_cmp_gt_u32_e64 s[4:5], 8, v2
	v_ffbh_u32_e32 v2, v4
	v_min_u32_e32 v6, 32, v2
	v_subrev_u32_e32 v2, 28, v6
	v_lshlrev_b64 v[2:3], v2, v[1:2]
	v_sub_u32_e32 v3, 29, v6
	v_and_b32_e32 v2, 7, v2
	v_cndmask_b32_e64 v3, v5, v3, s[4:5]
	v_cndmask_b32_e64 v2, v4, v2, s[4:5]
	v_bfrev_b32_e32 v5, 60
	v_lshlrev_b32_e32 v2, 20, v2
	v_and_b32_sdwa v4, sext(v1), s54 dst_sel:DWORD dst_unused:UNUSED_PAD src0_sel:BYTE_0 src1_sel:DWORD
	v_lshl_add_u32 v3, v3, 23, v5
	v_or3_b32 v2, v4, v3, v2
	v_mov_b32_e32 v3, v49
	buffer_store_dword v2, off, s[56:59], 0 offset:184 ; 4-byte Folded Spill
	s_nop 0
	buffer_store_dword v3, off, s[56:59], 0 offset:188 ; 4-byte Folded Spill
.LBB203_178:                            ;   in Loop: Header=BB203_13 Depth=1
	s_or_b64 exec, exec, s[44:45]
.LBB203_179:                            ;   in Loop: Header=BB203_13 Depth=1
	s_or_b64 exec, exec, s[42:43]
.LBB203_180:                            ;   in Loop: Header=BB203_13 Depth=1
	s_or_b64 exec, exec, s[40:41]
	v_cmp_ne_u16_sdwa s[4:5], v1, v49 src0_sel:BYTE_1 src1_sel:DWORD
	s_and_saveexec_b64 s[40:41], s[4:5]
	s_cbranch_execz .LBB203_186
; %bb.181:                              ;   in Loop: Header=BB203_13 Depth=1
	v_cmp_ne_u16_sdwa s[4:5], v1, s52 src0_sel:BYTE_1 src1_sel:DWORD
	buffer_store_dword v49, off, s[56:59], 0 offset:192 ; 4-byte Folded Spill
	s_nop 0
	buffer_store_dword v50, off, s[56:59], 0 offset:196 ; 4-byte Folded Spill
	s_and_saveexec_b64 s[42:43], s[4:5]
	s_cbranch_execz .LBB203_185
; %bb.182:                              ;   in Loop: Header=BB203_13 Depth=1
	v_and_b32_sdwa v2, v1, s53 dst_sel:DWORD dst_unused:UNUSED_PAD src0_sel:BYTE_1 src1_sel:DWORD
	v_cmp_ne_u32_e64 s[4:5], s53, v2
	v_mov_b32_e32 v62, v49
	buffer_store_dword v62, off, s[56:59], 0 offset:192 ; 4-byte Folded Spill
	s_nop 0
	buffer_store_dword v63, off, s[56:59], 0 offset:196 ; 4-byte Folded Spill
	s_and_saveexec_b64 s[44:45], s[4:5]
	s_cbranch_execz .LBB203_184
; %bb.183:                              ;   in Loop: Header=BB203_13 Depth=1
	v_mov_b32_e32 v3, 7
	v_and_b32_sdwa v3, v1, v3 dst_sel:DWORD dst_unused:UNUSED_PAD src0_sel:BYTE_1 src1_sel:DWORD
	v_lshrrev_b32_e32 v6, 3, v2
	v_cmp_gt_u32_e64 s[4:5], 8, v2
	v_ffbh_u32_e32 v2, v3
	v_min_u32_e32 v2, 32, v2
	v_mov_b32_e32 v4, v49
	v_subrev_u32_e32 v5, 28, v2
	v_lshlrev_b64 v[4:5], v5, v[3:4]
	v_sub_u32_e32 v2, 29, v2
	v_and_b32_e32 v4, 7, v4
	v_cndmask_b32_e64 v2, v6, v2, s[4:5]
	v_cndmask_b32_e64 v3, v3, v4, s[4:5]
	v_bfrev_b32_e32 v4, 60
	v_lshlrev_b32_e32 v1, 16, v1
	v_lshl_add_u32 v2, v2, 23, v4
	v_and_or_b32 v1, v1, s54, v2
	v_lshlrev_b32_e32 v2, 20, v3
	v_or_b32_e32 v2, v1, v2
	v_mov_b32_e32 v1, v49
	buffer_store_dword v1, off, s[56:59], 0 offset:192 ; 4-byte Folded Spill
	s_nop 0
	buffer_store_dword v2, off, s[56:59], 0 offset:196 ; 4-byte Folded Spill
.LBB203_184:                            ;   in Loop: Header=BB203_13 Depth=1
	s_or_b64 exec, exec, s[44:45]
.LBB203_185:                            ;   in Loop: Header=BB203_13 Depth=1
	s_or_b64 exec, exec, s[42:43]
.LBB203_186:                            ;   in Loop: Header=BB203_13 Depth=1
	s_or_b64 exec, exec, s[40:41]
	global_load_ushort v2, v[59:60], off offset:1544
	s_waitcnt vmcnt(0)
	v_and_b32_e32 v1, 0xffff, v2
	v_cmp_ne_u16_sdwa s[4:5], v2, v49 src0_sel:BYTE_0 src1_sel:DWORD
	v_mov_b32_e32 v2, 0
	v_mov_b32_e32 v3, 0
	buffer_store_dword v2, off, s[56:59], 0 offset:208 ; 4-byte Folded Spill
	s_nop 0
	buffer_store_dword v3, off, s[56:59], 0 offset:212 ; 4-byte Folded Spill
	v_mov_b32_e32 v2, 0
	v_mov_b32_e32 v3, 0
	buffer_store_dword v2, off, s[56:59], 0 offset:200 ; 4-byte Folded Spill
	s_nop 0
	buffer_store_dword v3, off, s[56:59], 0 offset:204 ; 4-byte Folded Spill
	s_and_saveexec_b64 s[40:41], s[4:5]
	s_cbranch_execz .LBB203_192
; %bb.187:                              ;   in Loop: Header=BB203_13 Depth=1
	v_bfrev_b32_e32 v2, 1
	v_mov_b32_e32 v3, 0
	v_cmp_ne_u16_sdwa s[4:5], v1, s52 src0_sel:BYTE_0 src1_sel:DWORD
	buffer_store_dword v2, off, s[56:59], 0 offset:200 ; 4-byte Folded Spill
	s_nop 0
	buffer_store_dword v3, off, s[56:59], 0 offset:204 ; 4-byte Folded Spill
	s_and_saveexec_b64 s[42:43], s[4:5]
	s_cbranch_execz .LBB203_191
; %bb.188:                              ;   in Loop: Header=BB203_13 Depth=1
	v_and_b32_e32 v2, 0x7f, v1
	v_mov_b32_e32 v3, 0x7f800001
	v_mov_b32_e32 v4, 0
	v_cmp_ne_u32_e64 s[4:5], s53, v2
	buffer_store_dword v3, off, s[56:59], 0 offset:200 ; 4-byte Folded Spill
	s_nop 0
	buffer_store_dword v4, off, s[56:59], 0 offset:204 ; 4-byte Folded Spill
	s_and_saveexec_b64 s[44:45], s[4:5]
	s_cbranch_execz .LBB203_190
; %bb.189:                              ;   in Loop: Header=BB203_13 Depth=1
	v_and_b32_e32 v4, 7, v1
	v_lshrrev_b32_e32 v5, 3, v2
	v_cmp_gt_u32_e64 s[4:5], 8, v2
	v_ffbh_u32_e32 v2, v4
	v_min_u32_e32 v6, 32, v2
	v_subrev_u32_e32 v2, 28, v6
	v_lshlrev_b64 v[2:3], v2, v[1:2]
	v_sub_u32_e32 v3, 29, v6
	v_and_b32_e32 v2, 7, v2
	v_cndmask_b32_e64 v3, v5, v3, s[4:5]
	v_cndmask_b32_e64 v2, v4, v2, s[4:5]
	v_bfrev_b32_e32 v5, 60
	v_lshlrev_b32_e32 v2, 20, v2
	v_and_b32_sdwa v4, sext(v1), s54 dst_sel:DWORD dst_unused:UNUSED_PAD src0_sel:BYTE_0 src1_sel:DWORD
	v_lshl_add_u32 v3, v3, 23, v5
	v_or3_b32 v2, v4, v3, v2
	v_mov_b32_e32 v3, v49
	buffer_store_dword v2, off, s[56:59], 0 offset:200 ; 4-byte Folded Spill
	s_nop 0
	buffer_store_dword v3, off, s[56:59], 0 offset:204 ; 4-byte Folded Spill
.LBB203_190:                            ;   in Loop: Header=BB203_13 Depth=1
	s_or_b64 exec, exec, s[44:45]
.LBB203_191:                            ;   in Loop: Header=BB203_13 Depth=1
	s_or_b64 exec, exec, s[42:43]
.LBB203_192:                            ;   in Loop: Header=BB203_13 Depth=1
	s_or_b64 exec, exec, s[40:41]
	v_cmp_ne_u16_sdwa s[4:5], v1, v49 src0_sel:BYTE_1 src1_sel:DWORD
	s_and_saveexec_b64 s[40:41], s[4:5]
	s_cbranch_execz .LBB203_198
; %bb.193:                              ;   in Loop: Header=BB203_13 Depth=1
	v_cmp_ne_u16_sdwa s[4:5], v1, s52 src0_sel:BYTE_1 src1_sel:DWORD
	buffer_store_dword v49, off, s[56:59], 0 offset:208 ; 4-byte Folded Spill
	s_nop 0
	buffer_store_dword v50, off, s[56:59], 0 offset:212 ; 4-byte Folded Spill
	s_and_saveexec_b64 s[42:43], s[4:5]
	s_cbranch_execz .LBB203_197
; %bb.194:                              ;   in Loop: Header=BB203_13 Depth=1
	v_and_b32_sdwa v2, v1, s53 dst_sel:DWORD dst_unused:UNUSED_PAD src0_sel:BYTE_1 src1_sel:DWORD
	v_cmp_ne_u32_e64 s[4:5], s53, v2
	v_mov_b32_e32 v62, v49
	buffer_store_dword v62, off, s[56:59], 0 offset:208 ; 4-byte Folded Spill
	s_nop 0
	buffer_store_dword v63, off, s[56:59], 0 offset:212 ; 4-byte Folded Spill
	s_and_saveexec_b64 s[44:45], s[4:5]
	s_cbranch_execz .LBB203_196
; %bb.195:                              ;   in Loop: Header=BB203_13 Depth=1
	v_mov_b32_e32 v3, 7
	v_and_b32_sdwa v3, v1, v3 dst_sel:DWORD dst_unused:UNUSED_PAD src0_sel:BYTE_1 src1_sel:DWORD
	v_lshrrev_b32_e32 v6, 3, v2
	v_cmp_gt_u32_e64 s[4:5], 8, v2
	v_ffbh_u32_e32 v2, v3
	v_min_u32_e32 v2, 32, v2
	v_mov_b32_e32 v4, v49
	v_subrev_u32_e32 v5, 28, v2
	v_lshlrev_b64 v[4:5], v5, v[3:4]
	v_sub_u32_e32 v2, 29, v2
	v_and_b32_e32 v4, 7, v4
	v_cndmask_b32_e64 v2, v6, v2, s[4:5]
	v_cndmask_b32_e64 v3, v3, v4, s[4:5]
	v_bfrev_b32_e32 v4, 60
	v_lshlrev_b32_e32 v1, 16, v1
	v_lshl_add_u32 v2, v2, 23, v4
	v_and_or_b32 v1, v1, s54, v2
	v_lshlrev_b32_e32 v2, 20, v3
	v_or_b32_e32 v2, v1, v2
	v_mov_b32_e32 v1, v49
	buffer_store_dword v1, off, s[56:59], 0 offset:208 ; 4-byte Folded Spill
	s_nop 0
	buffer_store_dword v2, off, s[56:59], 0 offset:212 ; 4-byte Folded Spill
.LBB203_196:                            ;   in Loop: Header=BB203_13 Depth=1
	s_or_b64 exec, exec, s[44:45]
.LBB203_197:                            ;   in Loop: Header=BB203_13 Depth=1
	s_or_b64 exec, exec, s[42:43]
.LBB203_198:                            ;   in Loop: Header=BB203_13 Depth=1
	s_or_b64 exec, exec, s[40:41]
	global_load_ushort v2, v[59:60], off offset:1548
	s_waitcnt vmcnt(0)
	v_and_b32_e32 v1, 0xffff, v2
	v_cmp_ne_u16_sdwa s[4:5], v2, v49 src0_sel:BYTE_0 src1_sel:DWORD
	v_mov_b32_e32 v2, 0
	v_mov_b32_e32 v3, 0
	buffer_store_dword v2, off, s[56:59], 0 offset:224 ; 4-byte Folded Spill
	s_nop 0
	buffer_store_dword v3, off, s[56:59], 0 offset:228 ; 4-byte Folded Spill
	v_mov_b32_e32 v2, 0
	v_mov_b32_e32 v3, 0
	buffer_store_dword v2, off, s[56:59], 0 offset:216 ; 4-byte Folded Spill
	s_nop 0
	buffer_store_dword v3, off, s[56:59], 0 offset:220 ; 4-byte Folded Spill
	s_and_saveexec_b64 s[40:41], s[4:5]
	s_cbranch_execz .LBB203_204
; %bb.199:                              ;   in Loop: Header=BB203_13 Depth=1
	v_bfrev_b32_e32 v2, 1
	v_mov_b32_e32 v3, 0
	v_cmp_ne_u16_sdwa s[4:5], v1, s52 src0_sel:BYTE_0 src1_sel:DWORD
	buffer_store_dword v2, off, s[56:59], 0 offset:216 ; 4-byte Folded Spill
	s_nop 0
	buffer_store_dword v3, off, s[56:59], 0 offset:220 ; 4-byte Folded Spill
	s_and_saveexec_b64 s[42:43], s[4:5]
	s_cbranch_execz .LBB203_203
; %bb.200:                              ;   in Loop: Header=BB203_13 Depth=1
	v_and_b32_e32 v2, 0x7f, v1
	v_mov_b32_e32 v3, 0x7f800001
	v_mov_b32_e32 v4, 0
	v_cmp_ne_u32_e64 s[4:5], s53, v2
	buffer_store_dword v3, off, s[56:59], 0 offset:216 ; 4-byte Folded Spill
	s_nop 0
	buffer_store_dword v4, off, s[56:59], 0 offset:220 ; 4-byte Folded Spill
	s_and_saveexec_b64 s[44:45], s[4:5]
	s_cbranch_execz .LBB203_202
; %bb.201:                              ;   in Loop: Header=BB203_13 Depth=1
	v_and_b32_e32 v4, 7, v1
	v_lshrrev_b32_e32 v5, 3, v2
	v_cmp_gt_u32_e64 s[4:5], 8, v2
	v_ffbh_u32_e32 v2, v4
	v_min_u32_e32 v6, 32, v2
	v_subrev_u32_e32 v2, 28, v6
	v_lshlrev_b64 v[2:3], v2, v[1:2]
	v_sub_u32_e32 v3, 29, v6
	v_and_b32_e32 v2, 7, v2
	v_cndmask_b32_e64 v3, v5, v3, s[4:5]
	v_cndmask_b32_e64 v2, v4, v2, s[4:5]
	v_bfrev_b32_e32 v5, 60
	v_lshlrev_b32_e32 v2, 20, v2
	v_and_b32_sdwa v4, sext(v1), s54 dst_sel:DWORD dst_unused:UNUSED_PAD src0_sel:BYTE_0 src1_sel:DWORD
	v_lshl_add_u32 v3, v3, 23, v5
	v_or3_b32 v2, v4, v3, v2
	v_mov_b32_e32 v3, v49
	buffer_store_dword v2, off, s[56:59], 0 offset:216 ; 4-byte Folded Spill
	s_nop 0
	buffer_store_dword v3, off, s[56:59], 0 offset:220 ; 4-byte Folded Spill
.LBB203_202:                            ;   in Loop: Header=BB203_13 Depth=1
	s_or_b64 exec, exec, s[44:45]
.LBB203_203:                            ;   in Loop: Header=BB203_13 Depth=1
	s_or_b64 exec, exec, s[42:43]
.LBB203_204:                            ;   in Loop: Header=BB203_13 Depth=1
	s_or_b64 exec, exec, s[40:41]
	v_cmp_ne_u16_sdwa s[4:5], v1, v49 src0_sel:BYTE_1 src1_sel:DWORD
	s_and_saveexec_b64 s[40:41], s[4:5]
	s_cbranch_execz .LBB203_210
; %bb.205:                              ;   in Loop: Header=BB203_13 Depth=1
	v_cmp_ne_u16_sdwa s[4:5], v1, s52 src0_sel:BYTE_1 src1_sel:DWORD
	buffer_store_dword v49, off, s[56:59], 0 offset:224 ; 4-byte Folded Spill
	s_nop 0
	buffer_store_dword v50, off, s[56:59], 0 offset:228 ; 4-byte Folded Spill
	s_and_saveexec_b64 s[42:43], s[4:5]
	s_cbranch_execz .LBB203_209
; %bb.206:                              ;   in Loop: Header=BB203_13 Depth=1
	v_and_b32_sdwa v2, v1, s53 dst_sel:DWORD dst_unused:UNUSED_PAD src0_sel:BYTE_1 src1_sel:DWORD
	v_cmp_ne_u32_e64 s[4:5], s53, v2
	v_mov_b32_e32 v62, v49
	buffer_store_dword v62, off, s[56:59], 0 offset:224 ; 4-byte Folded Spill
	s_nop 0
	buffer_store_dword v63, off, s[56:59], 0 offset:228 ; 4-byte Folded Spill
	s_and_saveexec_b64 s[44:45], s[4:5]
	s_cbranch_execz .LBB203_208
; %bb.207:                              ;   in Loop: Header=BB203_13 Depth=1
	v_mov_b32_e32 v3, 7
	v_and_b32_sdwa v3, v1, v3 dst_sel:DWORD dst_unused:UNUSED_PAD src0_sel:BYTE_1 src1_sel:DWORD
	v_lshrrev_b32_e32 v6, 3, v2
	v_cmp_gt_u32_e64 s[4:5], 8, v2
	v_ffbh_u32_e32 v2, v3
	v_min_u32_e32 v2, 32, v2
	v_mov_b32_e32 v4, v49
	v_subrev_u32_e32 v5, 28, v2
	v_lshlrev_b64 v[4:5], v5, v[3:4]
	v_sub_u32_e32 v2, 29, v2
	v_and_b32_e32 v4, 7, v4
	v_cndmask_b32_e64 v2, v6, v2, s[4:5]
	v_cndmask_b32_e64 v3, v3, v4, s[4:5]
	v_bfrev_b32_e32 v4, 60
	v_lshlrev_b32_e32 v1, 16, v1
	v_lshl_add_u32 v2, v2, 23, v4
	v_and_or_b32 v1, v1, s54, v2
	v_lshlrev_b32_e32 v2, 20, v3
	v_or_b32_e32 v2, v1, v2
	v_mov_b32_e32 v1, v49
	buffer_store_dword v1, off, s[56:59], 0 offset:224 ; 4-byte Folded Spill
	s_nop 0
	buffer_store_dword v2, off, s[56:59], 0 offset:228 ; 4-byte Folded Spill
.LBB203_208:                            ;   in Loop: Header=BB203_13 Depth=1
	s_or_b64 exec, exec, s[44:45]
.LBB203_209:                            ;   in Loop: Header=BB203_13 Depth=1
	s_or_b64 exec, exec, s[42:43]
.LBB203_210:                            ;   in Loop: Header=BB203_13 Depth=1
	s_or_b64 exec, exec, s[40:41]
	global_load_ushort v2, v[59:60], off offset:2048
	s_waitcnt vmcnt(0)
	v_and_b32_e32 v1, 0xffff, v2
	v_cmp_ne_u16_sdwa s[4:5], v2, v49 src0_sel:BYTE_0 src1_sel:DWORD
	v_mov_b32_e32 v2, 0
	v_mov_b32_e32 v3, 0
	buffer_store_dword v2, off, s[56:59], 0 offset:240 ; 4-byte Folded Spill
	s_nop 0
	buffer_store_dword v3, off, s[56:59], 0 offset:244 ; 4-byte Folded Spill
	v_mov_b32_e32 v2, 0
	v_mov_b32_e32 v3, 0
	buffer_store_dword v2, off, s[56:59], 0 offset:232 ; 4-byte Folded Spill
	s_nop 0
	buffer_store_dword v3, off, s[56:59], 0 offset:236 ; 4-byte Folded Spill
	s_and_saveexec_b64 s[40:41], s[4:5]
	s_cbranch_execz .LBB203_216
; %bb.211:                              ;   in Loop: Header=BB203_13 Depth=1
	v_bfrev_b32_e32 v2, 1
	v_mov_b32_e32 v3, 0
	v_cmp_ne_u16_sdwa s[4:5], v1, s52 src0_sel:BYTE_0 src1_sel:DWORD
	buffer_store_dword v2, off, s[56:59], 0 offset:232 ; 4-byte Folded Spill
	s_nop 0
	buffer_store_dword v3, off, s[56:59], 0 offset:236 ; 4-byte Folded Spill
	s_and_saveexec_b64 s[42:43], s[4:5]
	s_cbranch_execz .LBB203_215
; %bb.212:                              ;   in Loop: Header=BB203_13 Depth=1
	v_and_b32_e32 v2, 0x7f, v1
	v_mov_b32_e32 v3, 0x7f800001
	v_mov_b32_e32 v4, 0
	v_cmp_ne_u32_e64 s[4:5], s53, v2
	buffer_store_dword v3, off, s[56:59], 0 offset:232 ; 4-byte Folded Spill
	s_nop 0
	buffer_store_dword v4, off, s[56:59], 0 offset:236 ; 4-byte Folded Spill
	s_and_saveexec_b64 s[44:45], s[4:5]
	s_cbranch_execz .LBB203_214
; %bb.213:                              ;   in Loop: Header=BB203_13 Depth=1
	v_and_b32_e32 v4, 7, v1
	v_lshrrev_b32_e32 v5, 3, v2
	v_cmp_gt_u32_e64 s[4:5], 8, v2
	v_ffbh_u32_e32 v2, v4
	v_min_u32_e32 v6, 32, v2
	v_subrev_u32_e32 v2, 28, v6
	v_lshlrev_b64 v[2:3], v2, v[1:2]
	v_sub_u32_e32 v3, 29, v6
	v_and_b32_e32 v2, 7, v2
	v_cndmask_b32_e64 v3, v5, v3, s[4:5]
	v_cndmask_b32_e64 v2, v4, v2, s[4:5]
	v_bfrev_b32_e32 v5, 60
	v_lshlrev_b32_e32 v2, 20, v2
	v_and_b32_sdwa v4, sext(v1), s54 dst_sel:DWORD dst_unused:UNUSED_PAD src0_sel:BYTE_0 src1_sel:DWORD
	v_lshl_add_u32 v3, v3, 23, v5
	v_or3_b32 v2, v4, v3, v2
	v_mov_b32_e32 v3, v49
	buffer_store_dword v2, off, s[56:59], 0 offset:232 ; 4-byte Folded Spill
	s_nop 0
	buffer_store_dword v3, off, s[56:59], 0 offset:236 ; 4-byte Folded Spill
.LBB203_214:                            ;   in Loop: Header=BB203_13 Depth=1
	s_or_b64 exec, exec, s[44:45]
.LBB203_215:                            ;   in Loop: Header=BB203_13 Depth=1
	s_or_b64 exec, exec, s[42:43]
.LBB203_216:                            ;   in Loop: Header=BB203_13 Depth=1
	s_or_b64 exec, exec, s[40:41]
	v_cmp_ne_u16_sdwa s[4:5], v1, v49 src0_sel:BYTE_1 src1_sel:DWORD
	s_and_saveexec_b64 s[40:41], s[4:5]
	s_cbranch_execz .LBB203_222
; %bb.217:                              ;   in Loop: Header=BB203_13 Depth=1
	v_cmp_ne_u16_sdwa s[4:5], v1, s52 src0_sel:BYTE_1 src1_sel:DWORD
	buffer_store_dword v49, off, s[56:59], 0 offset:240 ; 4-byte Folded Spill
	s_nop 0
	buffer_store_dword v50, off, s[56:59], 0 offset:244 ; 4-byte Folded Spill
	s_and_saveexec_b64 s[42:43], s[4:5]
	s_cbranch_execz .LBB203_221
; %bb.218:                              ;   in Loop: Header=BB203_13 Depth=1
	v_and_b32_sdwa v2, v1, s53 dst_sel:DWORD dst_unused:UNUSED_PAD src0_sel:BYTE_1 src1_sel:DWORD
	v_cmp_ne_u32_e64 s[4:5], s53, v2
	v_mov_b32_e32 v62, v49
	buffer_store_dword v62, off, s[56:59], 0 offset:240 ; 4-byte Folded Spill
	s_nop 0
	buffer_store_dword v63, off, s[56:59], 0 offset:244 ; 4-byte Folded Spill
	s_and_saveexec_b64 s[44:45], s[4:5]
	s_cbranch_execz .LBB203_220
; %bb.219:                              ;   in Loop: Header=BB203_13 Depth=1
	v_mov_b32_e32 v3, 7
	v_and_b32_sdwa v3, v1, v3 dst_sel:DWORD dst_unused:UNUSED_PAD src0_sel:BYTE_1 src1_sel:DWORD
	v_lshrrev_b32_e32 v6, 3, v2
	v_cmp_gt_u32_e64 s[4:5], 8, v2
	v_ffbh_u32_e32 v2, v3
	v_min_u32_e32 v2, 32, v2
	v_mov_b32_e32 v4, v49
	v_subrev_u32_e32 v5, 28, v2
	v_lshlrev_b64 v[4:5], v5, v[3:4]
	v_sub_u32_e32 v2, 29, v2
	v_and_b32_e32 v4, 7, v4
	v_cndmask_b32_e64 v2, v6, v2, s[4:5]
	v_cndmask_b32_e64 v3, v3, v4, s[4:5]
	v_bfrev_b32_e32 v4, 60
	v_lshlrev_b32_e32 v1, 16, v1
	v_lshl_add_u32 v2, v2, 23, v4
	v_and_or_b32 v1, v1, s54, v2
	v_lshlrev_b32_e32 v2, 20, v3
	v_or_b32_e32 v2, v1, v2
	v_mov_b32_e32 v1, v49
	buffer_store_dword v1, off, s[56:59], 0 offset:240 ; 4-byte Folded Spill
	s_nop 0
	buffer_store_dword v2, off, s[56:59], 0 offset:244 ; 4-byte Folded Spill
.LBB203_220:                            ;   in Loop: Header=BB203_13 Depth=1
	s_or_b64 exec, exec, s[44:45]
.LBB203_221:                            ;   in Loop: Header=BB203_13 Depth=1
	s_or_b64 exec, exec, s[42:43]
.LBB203_222:                            ;   in Loop: Header=BB203_13 Depth=1
	s_or_b64 exec, exec, s[40:41]
	global_load_ushort v2, v[59:60], off offset:2052
	s_waitcnt vmcnt(0)
	v_and_b32_e32 v1, 0xffff, v2
	v_cmp_ne_u16_sdwa s[4:5], v2, v49 src0_sel:BYTE_0 src1_sel:DWORD
	v_mov_b32_e32 v2, 0
	v_mov_b32_e32 v3, 0
	buffer_store_dword v2, off, s[56:59], 0 offset:256 ; 4-byte Folded Spill
	s_nop 0
	buffer_store_dword v3, off, s[56:59], 0 offset:260 ; 4-byte Folded Spill
	v_mov_b32_e32 v2, 0
	v_mov_b32_e32 v3, 0
	buffer_store_dword v2, off, s[56:59], 0 offset:248 ; 4-byte Folded Spill
	s_nop 0
	buffer_store_dword v3, off, s[56:59], 0 offset:252 ; 4-byte Folded Spill
	s_and_saveexec_b64 s[40:41], s[4:5]
	s_cbranch_execz .LBB203_228
; %bb.223:                              ;   in Loop: Header=BB203_13 Depth=1
	v_bfrev_b32_e32 v2, 1
	v_mov_b32_e32 v3, 0
	v_cmp_ne_u16_sdwa s[4:5], v1, s52 src0_sel:BYTE_0 src1_sel:DWORD
	buffer_store_dword v2, off, s[56:59], 0 offset:248 ; 4-byte Folded Spill
	s_nop 0
	buffer_store_dword v3, off, s[56:59], 0 offset:252 ; 4-byte Folded Spill
	s_and_saveexec_b64 s[42:43], s[4:5]
	s_cbranch_execz .LBB203_227
; %bb.224:                              ;   in Loop: Header=BB203_13 Depth=1
	v_and_b32_e32 v2, 0x7f, v1
	v_mov_b32_e32 v3, 0x7f800001
	v_mov_b32_e32 v4, 0
	v_cmp_ne_u32_e64 s[4:5], s53, v2
	buffer_store_dword v3, off, s[56:59], 0 offset:248 ; 4-byte Folded Spill
	s_nop 0
	buffer_store_dword v4, off, s[56:59], 0 offset:252 ; 4-byte Folded Spill
	s_and_saveexec_b64 s[44:45], s[4:5]
	s_cbranch_execz .LBB203_226
; %bb.225:                              ;   in Loop: Header=BB203_13 Depth=1
	v_and_b32_e32 v4, 7, v1
	v_lshrrev_b32_e32 v5, 3, v2
	v_cmp_gt_u32_e64 s[4:5], 8, v2
	v_ffbh_u32_e32 v2, v4
	v_min_u32_e32 v6, 32, v2
	v_subrev_u32_e32 v2, 28, v6
	v_lshlrev_b64 v[2:3], v2, v[1:2]
	v_sub_u32_e32 v3, 29, v6
	v_and_b32_e32 v2, 7, v2
	v_cndmask_b32_e64 v3, v5, v3, s[4:5]
	v_cndmask_b32_e64 v2, v4, v2, s[4:5]
	v_bfrev_b32_e32 v5, 60
	v_lshlrev_b32_e32 v2, 20, v2
	v_and_b32_sdwa v4, sext(v1), s54 dst_sel:DWORD dst_unused:UNUSED_PAD src0_sel:BYTE_0 src1_sel:DWORD
	v_lshl_add_u32 v3, v3, 23, v5
	v_or3_b32 v2, v4, v3, v2
	v_mov_b32_e32 v3, v49
	buffer_store_dword v2, off, s[56:59], 0 offset:248 ; 4-byte Folded Spill
	s_nop 0
	buffer_store_dword v3, off, s[56:59], 0 offset:252 ; 4-byte Folded Spill
.LBB203_226:                            ;   in Loop: Header=BB203_13 Depth=1
	s_or_b64 exec, exec, s[44:45]
.LBB203_227:                            ;   in Loop: Header=BB203_13 Depth=1
	s_or_b64 exec, exec, s[42:43]
.LBB203_228:                            ;   in Loop: Header=BB203_13 Depth=1
	s_or_b64 exec, exec, s[40:41]
	v_cmp_ne_u16_sdwa s[4:5], v1, v49 src0_sel:BYTE_1 src1_sel:DWORD
	s_and_saveexec_b64 s[40:41], s[4:5]
	s_cbranch_execz .LBB203_234
; %bb.229:                              ;   in Loop: Header=BB203_13 Depth=1
	v_cmp_ne_u16_sdwa s[4:5], v1, s52 src0_sel:BYTE_1 src1_sel:DWORD
	buffer_store_dword v49, off, s[56:59], 0 offset:256 ; 4-byte Folded Spill
	s_nop 0
	buffer_store_dword v50, off, s[56:59], 0 offset:260 ; 4-byte Folded Spill
	s_and_saveexec_b64 s[42:43], s[4:5]
	s_cbranch_execz .LBB203_233
; %bb.230:                              ;   in Loop: Header=BB203_13 Depth=1
	v_and_b32_sdwa v2, v1, s53 dst_sel:DWORD dst_unused:UNUSED_PAD src0_sel:BYTE_1 src1_sel:DWORD
	v_cmp_ne_u32_e64 s[4:5], s53, v2
	v_mov_b32_e32 v62, v49
	buffer_store_dword v62, off, s[56:59], 0 offset:256 ; 4-byte Folded Spill
	s_nop 0
	buffer_store_dword v63, off, s[56:59], 0 offset:260 ; 4-byte Folded Spill
	s_and_saveexec_b64 s[44:45], s[4:5]
	s_cbranch_execz .LBB203_232
; %bb.231:                              ;   in Loop: Header=BB203_13 Depth=1
	v_mov_b32_e32 v3, 7
	v_and_b32_sdwa v3, v1, v3 dst_sel:DWORD dst_unused:UNUSED_PAD src0_sel:BYTE_1 src1_sel:DWORD
	v_lshrrev_b32_e32 v6, 3, v2
	v_cmp_gt_u32_e64 s[4:5], 8, v2
	v_ffbh_u32_e32 v2, v3
	v_min_u32_e32 v2, 32, v2
	v_mov_b32_e32 v4, v49
	v_subrev_u32_e32 v5, 28, v2
	v_lshlrev_b64 v[4:5], v5, v[3:4]
	v_sub_u32_e32 v2, 29, v2
	v_and_b32_e32 v4, 7, v4
	v_cndmask_b32_e64 v2, v6, v2, s[4:5]
	v_cndmask_b32_e64 v3, v3, v4, s[4:5]
	v_bfrev_b32_e32 v4, 60
	v_lshlrev_b32_e32 v1, 16, v1
	v_lshl_add_u32 v2, v2, 23, v4
	v_and_or_b32 v1, v1, s54, v2
	v_lshlrev_b32_e32 v2, 20, v3
	v_or_b32_e32 v2, v1, v2
	v_mov_b32_e32 v1, v49
	buffer_store_dword v1, off, s[56:59], 0 offset:256 ; 4-byte Folded Spill
	s_nop 0
	buffer_store_dword v2, off, s[56:59], 0 offset:260 ; 4-byte Folded Spill
.LBB203_232:                            ;   in Loop: Header=BB203_13 Depth=1
	s_or_b64 exec, exec, s[44:45]
.LBB203_233:                            ;   in Loop: Header=BB203_13 Depth=1
	s_or_b64 exec, exec, s[42:43]
.LBB203_234:                            ;   in Loop: Header=BB203_13 Depth=1
	s_or_b64 exec, exec, s[40:41]
	global_load_ushort v2, v[59:60], off offset:2056
	s_waitcnt vmcnt(0)
	v_and_b32_e32 v1, 0xffff, v2
	v_cmp_ne_u16_sdwa s[4:5], v2, v49 src0_sel:BYTE_0 src1_sel:DWORD
	v_mov_b32_e32 v2, 0
	v_mov_b32_e32 v3, 0
	buffer_store_dword v2, off, s[56:59], 0 offset:272 ; 4-byte Folded Spill
	s_nop 0
	buffer_store_dword v3, off, s[56:59], 0 offset:276 ; 4-byte Folded Spill
	v_mov_b32_e32 v2, 0
	v_mov_b32_e32 v3, 0
	buffer_store_dword v2, off, s[56:59], 0 offset:264 ; 4-byte Folded Spill
	s_nop 0
	buffer_store_dword v3, off, s[56:59], 0 offset:268 ; 4-byte Folded Spill
	s_and_saveexec_b64 s[40:41], s[4:5]
	s_cbranch_execz .LBB203_240
; %bb.235:                              ;   in Loop: Header=BB203_13 Depth=1
	v_bfrev_b32_e32 v2, 1
	v_mov_b32_e32 v3, 0
	v_cmp_ne_u16_sdwa s[4:5], v1, s52 src0_sel:BYTE_0 src1_sel:DWORD
	buffer_store_dword v2, off, s[56:59], 0 offset:264 ; 4-byte Folded Spill
	s_nop 0
	buffer_store_dword v3, off, s[56:59], 0 offset:268 ; 4-byte Folded Spill
	s_and_saveexec_b64 s[42:43], s[4:5]
	s_cbranch_execz .LBB203_239
; %bb.236:                              ;   in Loop: Header=BB203_13 Depth=1
	v_and_b32_e32 v2, 0x7f, v1
	v_mov_b32_e32 v3, 0x7f800001
	v_mov_b32_e32 v4, 0
	v_cmp_ne_u32_e64 s[4:5], s53, v2
	buffer_store_dword v3, off, s[56:59], 0 offset:264 ; 4-byte Folded Spill
	s_nop 0
	buffer_store_dword v4, off, s[56:59], 0 offset:268 ; 4-byte Folded Spill
	s_and_saveexec_b64 s[44:45], s[4:5]
	s_cbranch_execz .LBB203_238
; %bb.237:                              ;   in Loop: Header=BB203_13 Depth=1
	v_and_b32_e32 v4, 7, v1
	v_lshrrev_b32_e32 v5, 3, v2
	v_cmp_gt_u32_e64 s[4:5], 8, v2
	v_ffbh_u32_e32 v2, v4
	v_min_u32_e32 v6, 32, v2
	v_subrev_u32_e32 v2, 28, v6
	v_lshlrev_b64 v[2:3], v2, v[1:2]
	v_sub_u32_e32 v3, 29, v6
	v_and_b32_e32 v2, 7, v2
	v_cndmask_b32_e64 v3, v5, v3, s[4:5]
	v_cndmask_b32_e64 v2, v4, v2, s[4:5]
	v_bfrev_b32_e32 v5, 60
	v_lshlrev_b32_e32 v2, 20, v2
	v_and_b32_sdwa v4, sext(v1), s54 dst_sel:DWORD dst_unused:UNUSED_PAD src0_sel:BYTE_0 src1_sel:DWORD
	v_lshl_add_u32 v3, v3, 23, v5
	v_or3_b32 v2, v4, v3, v2
	v_mov_b32_e32 v3, v49
	buffer_store_dword v2, off, s[56:59], 0 offset:264 ; 4-byte Folded Spill
	s_nop 0
	buffer_store_dword v3, off, s[56:59], 0 offset:268 ; 4-byte Folded Spill
.LBB203_238:                            ;   in Loop: Header=BB203_13 Depth=1
	s_or_b64 exec, exec, s[44:45]
.LBB203_239:                            ;   in Loop: Header=BB203_13 Depth=1
	s_or_b64 exec, exec, s[42:43]
.LBB203_240:                            ;   in Loop: Header=BB203_13 Depth=1
	s_or_b64 exec, exec, s[40:41]
	v_cmp_ne_u16_sdwa s[4:5], v1, v49 src0_sel:BYTE_1 src1_sel:DWORD
	s_and_saveexec_b64 s[40:41], s[4:5]
	s_cbranch_execz .LBB203_246
; %bb.241:                              ;   in Loop: Header=BB203_13 Depth=1
	v_cmp_ne_u16_sdwa s[4:5], v1, s52 src0_sel:BYTE_1 src1_sel:DWORD
	buffer_store_dword v49, off, s[56:59], 0 offset:272 ; 4-byte Folded Spill
	s_nop 0
	buffer_store_dword v50, off, s[56:59], 0 offset:276 ; 4-byte Folded Spill
	s_and_saveexec_b64 s[42:43], s[4:5]
	s_cbranch_execz .LBB203_245
; %bb.242:                              ;   in Loop: Header=BB203_13 Depth=1
	v_and_b32_sdwa v2, v1, s53 dst_sel:DWORD dst_unused:UNUSED_PAD src0_sel:BYTE_1 src1_sel:DWORD
	v_cmp_ne_u32_e64 s[4:5], s53, v2
	v_mov_b32_e32 v62, v49
	buffer_store_dword v62, off, s[56:59], 0 offset:272 ; 4-byte Folded Spill
	s_nop 0
	buffer_store_dword v63, off, s[56:59], 0 offset:276 ; 4-byte Folded Spill
	s_and_saveexec_b64 s[44:45], s[4:5]
	s_cbranch_execz .LBB203_244
; %bb.243:                              ;   in Loop: Header=BB203_13 Depth=1
	v_mov_b32_e32 v3, 7
	v_and_b32_sdwa v3, v1, v3 dst_sel:DWORD dst_unused:UNUSED_PAD src0_sel:BYTE_1 src1_sel:DWORD
	v_lshrrev_b32_e32 v6, 3, v2
	v_cmp_gt_u32_e64 s[4:5], 8, v2
	v_ffbh_u32_e32 v2, v3
	v_min_u32_e32 v2, 32, v2
	v_mov_b32_e32 v4, v49
	v_subrev_u32_e32 v5, 28, v2
	v_lshlrev_b64 v[4:5], v5, v[3:4]
	v_sub_u32_e32 v2, 29, v2
	v_and_b32_e32 v4, 7, v4
	v_cndmask_b32_e64 v2, v6, v2, s[4:5]
	v_cndmask_b32_e64 v3, v3, v4, s[4:5]
	v_bfrev_b32_e32 v4, 60
	v_lshlrev_b32_e32 v1, 16, v1
	v_lshl_add_u32 v2, v2, 23, v4
	v_and_or_b32 v1, v1, s54, v2
	v_lshlrev_b32_e32 v2, 20, v3
	v_or_b32_e32 v2, v1, v2
	v_mov_b32_e32 v1, v49
	buffer_store_dword v1, off, s[56:59], 0 offset:272 ; 4-byte Folded Spill
	s_nop 0
	buffer_store_dword v2, off, s[56:59], 0 offset:276 ; 4-byte Folded Spill
.LBB203_244:                            ;   in Loop: Header=BB203_13 Depth=1
	s_or_b64 exec, exec, s[44:45]
.LBB203_245:                            ;   in Loop: Header=BB203_13 Depth=1
	s_or_b64 exec, exec, s[42:43]
.LBB203_246:                            ;   in Loop: Header=BB203_13 Depth=1
	s_or_b64 exec, exec, s[40:41]
	global_load_ushort v1, v[59:60], off offset:2060
	s_waitcnt vmcnt(0)
	v_and_b32_e32 v5, 0xffff, v1
	v_cmp_ne_u16_sdwa s[4:5], v1, v49 src0_sel:BYTE_0 src1_sel:DWORD
	v_mov_b32_e32 v1, 0
	v_mov_b32_e32 v2, 0
	buffer_store_dword v1, off, s[56:59], 0 offset:280 ; 4-byte Folded Spill
	s_nop 0
	buffer_store_dword v2, off, s[56:59], 0 offset:284 ; 4-byte Folded Spill
	v_mov_b32_e32 v1, 0
	v_mov_b32_e32 v2, 0
	s_and_saveexec_b64 s[40:41], s[4:5]
	s_cbranch_execz .LBB203_252
; %bb.247:                              ;   in Loop: Header=BB203_13 Depth=1
	v_bfrev_b32_e32 v1, 1
	v_mov_b32_e32 v2, 0
	v_cmp_ne_u16_sdwa s[4:5], v5, s52 src0_sel:BYTE_0 src1_sel:DWORD
	s_and_saveexec_b64 s[42:43], s[4:5]
	s_cbranch_execz .LBB203_251
; %bb.248:                              ;   in Loop: Header=BB203_13 Depth=1
	v_and_b32_e32 v6, 0x7f, v5
	v_mov_b32_e32 v1, 0x7f800001
	v_mov_b32_e32 v2, 0
	v_cmp_ne_u32_e64 s[4:5], s53, v6
	s_and_saveexec_b64 s[44:45], s[4:5]
	s_cbranch_execz .LBB203_250
; %bb.249:                              ;   in Loop: Header=BB203_13 Depth=1
	v_and_b32_e32 v7, 7, v5
	v_ffbh_u32_e32 v1, v7
	v_lshrrev_b32_e32 v8, 3, v6
	v_cmp_gt_u32_e64 s[4:5], 8, v6
	v_min_u32_e32 v6, 32, v1
	v_subrev_u32_e32 v1, 28, v6
	v_lshlrev_b64 v[1:2], v1, v[5:6]
	v_sub_u32_e32 v2, 29, v6
	v_and_b32_e32 v1, 7, v1
	v_cndmask_b32_e64 v2, v8, v2, s[4:5]
	v_cndmask_b32_e64 v1, v7, v1, s[4:5]
	v_bfrev_b32_e32 v7, 60
	v_lshlrev_b32_e32 v1, 20, v1
	v_and_b32_sdwa v6, sext(v5), s54 dst_sel:DWORD dst_unused:UNUSED_PAD src0_sel:BYTE_0 src1_sel:DWORD
	v_lshl_add_u32 v2, v2, 23, v7
	v_or3_b32 v1, v6, v2, v1
	v_mov_b32_e32 v2, v49
.LBB203_250:                            ;   in Loop: Header=BB203_13 Depth=1
	s_or_b64 exec, exec, s[44:45]
.LBB203_251:                            ;   in Loop: Header=BB203_13 Depth=1
	s_or_b64 exec, exec, s[42:43]
.LBB203_252:                            ;   in Loop: Header=BB203_13 Depth=1
	s_or_b64 exec, exec, s[40:41]
	v_cmp_ne_u16_sdwa s[4:5], v5, v49 src0_sel:BYTE_1 src1_sel:DWORD
	s_and_saveexec_b64 s[40:41], s[4:5]
	s_cbranch_execz .LBB203_258
; %bb.253:                              ;   in Loop: Header=BB203_13 Depth=1
	v_cmp_ne_u16_sdwa s[4:5], v5, s52 src0_sel:BYTE_1 src1_sel:DWORD
	buffer_store_dword v49, off, s[56:59], 0 offset:280 ; 4-byte Folded Spill
	s_nop 0
	buffer_store_dword v50, off, s[56:59], 0 offset:284 ; 4-byte Folded Spill
	s_and_saveexec_b64 s[42:43], s[4:5]
	s_cbranch_execz .LBB203_257
; %bb.254:                              ;   in Loop: Header=BB203_13 Depth=1
	v_and_b32_sdwa v6, v5, s53 dst_sel:DWORD dst_unused:UNUSED_PAD src0_sel:BYTE_1 src1_sel:DWORD
	v_cmp_ne_u32_e64 s[4:5], s53, v6
	v_mov_b32_e32 v62, v49
	buffer_store_dword v62, off, s[56:59], 0 offset:280 ; 4-byte Folded Spill
	s_nop 0
	buffer_store_dword v63, off, s[56:59], 0 offset:284 ; 4-byte Folded Spill
	s_and_saveexec_b64 s[44:45], s[4:5]
	s_cbranch_execz .LBB203_256
; %bb.255:                              ;   in Loop: Header=BB203_13 Depth=1
	v_mov_b32_e32 v3, 7
	v_and_b32_sdwa v3, v5, v3 dst_sel:DWORD dst_unused:UNUSED_PAD src0_sel:BYTE_1 src1_sel:DWORD
	v_lshrrev_b32_e32 v8, 3, v6
	v_cmp_gt_u32_e64 s[4:5], 8, v6
	v_ffbh_u32_e32 v6, v3
	v_min_u32_e32 v9, 32, v6
	v_mov_b32_e32 v4, v49
	v_subrev_u32_e32 v6, 28, v9
	v_lshlrev_b64 v[6:7], v6, v[3:4]
	v_sub_u32_e32 v4, 29, v9
	v_and_b32_e32 v6, 7, v6
	v_cndmask_b32_e64 v4, v8, v4, s[4:5]
	v_cndmask_b32_e64 v3, v3, v6, s[4:5]
	v_bfrev_b32_e32 v6, 60
	v_lshlrev_b32_e32 v5, 16, v5
	v_lshl_add_u32 v4, v4, 23, v6
	v_and_or_b32 v4, v5, s54, v4
	v_lshlrev_b32_e32 v3, 20, v3
	v_or_b32_e32 v4, v4, v3
	v_mov_b32_e32 v3, v49
	buffer_store_dword v3, off, s[56:59], 0 offset:280 ; 4-byte Folded Spill
	s_nop 0
	buffer_store_dword v4, off, s[56:59], 0 offset:284 ; 4-byte Folded Spill
.LBB203_256:                            ;   in Loop: Header=BB203_13 Depth=1
	s_or_b64 exec, exec, s[44:45]
.LBB203_257:                            ;   in Loop: Header=BB203_13 Depth=1
	s_or_b64 exec, exec, s[42:43]
.LBB203_258:                            ;   in Loop: Header=BB203_13 Depth=1
	s_or_b64 exec, exec, s[40:41]
	global_load_ushort v5, v[59:60], off offset:2560
	v_mov_b32_e32 v7, 0
	v_mov_b32_e32 v8, 0
	s_waitcnt vmcnt(0)
	v_and_b32_e32 v9, 0xffff, v5
	v_cmp_ne_u16_sdwa s[4:5], v5, v49 src0_sel:BYTE_0 src1_sel:DWORD
	v_mov_b32_e32 v5, 0
	v_mov_b32_e32 v6, 0
	s_and_saveexec_b64 s[40:41], s[4:5]
	s_cbranch_execz .LBB203_264
; %bb.259:                              ;   in Loop: Header=BB203_13 Depth=1
	v_bfrev_b32_e32 v5, 1
	v_mov_b32_e32 v6, 0
	v_cmp_ne_u16_sdwa s[4:5], v9, s52 src0_sel:BYTE_0 src1_sel:DWORD
	s_and_saveexec_b64 s[42:43], s[4:5]
	s_cbranch_execz .LBB203_263
; %bb.260:                              ;   in Loop: Header=BB203_13 Depth=1
	v_and_b32_e32 v10, 0x7f, v9
	v_mov_b32_e32 v5, 0x7f800001
	v_mov_b32_e32 v6, 0
	v_cmp_ne_u32_e64 s[4:5], s53, v10
	s_and_saveexec_b64 s[44:45], s[4:5]
	s_cbranch_execz .LBB203_262
; %bb.261:                              ;   in Loop: Header=BB203_13 Depth=1
	v_and_b32_e32 v11, 7, v9
	v_ffbh_u32_e32 v5, v11
	v_lshrrev_b32_e32 v12, 3, v10
	v_cmp_gt_u32_e64 s[4:5], 8, v10
	v_min_u32_e32 v10, 32, v5
	v_subrev_u32_e32 v5, 28, v10
	v_lshlrev_b64 v[5:6], v5, v[9:10]
	v_sub_u32_e32 v6, 29, v10
	v_and_b32_e32 v5, 7, v5
	v_cndmask_b32_e64 v6, v12, v6, s[4:5]
	v_cndmask_b32_e64 v5, v11, v5, s[4:5]
	v_bfrev_b32_e32 v11, 60
	v_lshlrev_b32_e32 v5, 20, v5
	v_and_b32_sdwa v10, sext(v9), s54 dst_sel:DWORD dst_unused:UNUSED_PAD src0_sel:BYTE_0 src1_sel:DWORD
	v_lshl_add_u32 v6, v6, 23, v11
	v_or3_b32 v5, v10, v6, v5
	v_mov_b32_e32 v6, v49
.LBB203_262:                            ;   in Loop: Header=BB203_13 Depth=1
	s_or_b64 exec, exec, s[44:45]
.LBB203_263:                            ;   in Loop: Header=BB203_13 Depth=1
	s_or_b64 exec, exec, s[42:43]
.LBB203_264:                            ;   in Loop: Header=BB203_13 Depth=1
	s_or_b64 exec, exec, s[40:41]
	v_cmp_ne_u16_sdwa s[4:5], v9, v49 src0_sel:BYTE_1 src1_sel:DWORD
	s_and_saveexec_b64 s[40:41], s[4:5]
	s_cbranch_execz .LBB203_270
; %bb.265:                              ;   in Loop: Header=BB203_13 Depth=1
	v_mov_b32_e32 v7, v49
	v_cmp_ne_u16_sdwa s[4:5], v9, s52 src0_sel:BYTE_1 src1_sel:DWORD
	v_mov_b32_e32 v8, v50
	s_and_saveexec_b64 s[42:43], s[4:5]
	s_cbranch_execz .LBB203_269
; %bb.266:                              ;   in Loop: Header=BB203_13 Depth=1
	v_mov_b32_e32 v62, v49
	v_and_b32_sdwa v10, v9, s53 dst_sel:DWORD dst_unused:UNUSED_PAD src0_sel:BYTE_1 src1_sel:DWORD
	v_mov_b32_e32 v7, v62
	v_cmp_ne_u32_e64 s[4:5], s53, v10
	v_mov_b32_e32 v8, v63
	s_and_saveexec_b64 s[44:45], s[4:5]
	s_cbranch_execz .LBB203_268
; %bb.267:                              ;   in Loop: Header=BB203_13 Depth=1
	v_mov_b32_e32 v7, 7
	v_and_b32_sdwa v7, v9, v7 dst_sel:DWORD dst_unused:UNUSED_PAD src0_sel:BYTE_1 src1_sel:DWORD
	v_lshrrev_b32_e32 v12, 3, v10
	v_cmp_gt_u32_e64 s[4:5], 8, v10
	v_ffbh_u32_e32 v10, v7
	v_min_u32_e32 v13, 32, v10
	v_mov_b32_e32 v8, v49
	v_subrev_u32_e32 v10, 28, v13
	v_lshlrev_b64 v[10:11], v10, v[7:8]
	v_sub_u32_e32 v8, 29, v13
	v_and_b32_e32 v10, 7, v10
	v_cndmask_b32_e64 v8, v12, v8, s[4:5]
	v_cndmask_b32_e64 v7, v7, v10, s[4:5]
	v_bfrev_b32_e32 v10, 60
	v_lshlrev_b32_e32 v9, 16, v9
	v_lshl_add_u32 v8, v8, 23, v10
	v_and_or_b32 v8, v9, s54, v8
	v_lshlrev_b32_e32 v7, 20, v7
	v_or_b32_e32 v8, v8, v7
	v_mov_b32_e32 v7, v49
.LBB203_268:                            ;   in Loop: Header=BB203_13 Depth=1
	s_or_b64 exec, exec, s[44:45]
.LBB203_269:                            ;   in Loop: Header=BB203_13 Depth=1
	s_or_b64 exec, exec, s[42:43]
.LBB203_270:                            ;   in Loop: Header=BB203_13 Depth=1
	s_or_b64 exec, exec, s[40:41]
	global_load_ushort v9, v[59:60], off offset:2564
	v_mov_b32_e32 v11, 0
	v_mov_b32_e32 v12, 0
	s_waitcnt vmcnt(0)
	v_and_b32_e32 v13, 0xffff, v9
	v_cmp_ne_u16_sdwa s[4:5], v9, v49 src0_sel:BYTE_0 src1_sel:DWORD
	v_mov_b32_e32 v9, 0
	v_mov_b32_e32 v10, 0
	s_and_saveexec_b64 s[40:41], s[4:5]
	s_cbranch_execz .LBB203_276
; %bb.271:                              ;   in Loop: Header=BB203_13 Depth=1
	v_bfrev_b32_e32 v9, 1
	v_mov_b32_e32 v10, 0
	v_cmp_ne_u16_sdwa s[4:5], v13, s52 src0_sel:BYTE_0 src1_sel:DWORD
	s_and_saveexec_b64 s[42:43], s[4:5]
	s_cbranch_execz .LBB203_275
; %bb.272:                              ;   in Loop: Header=BB203_13 Depth=1
	v_and_b32_e32 v14, 0x7f, v13
	v_mov_b32_e32 v9, 0x7f800001
	v_mov_b32_e32 v10, 0
	v_cmp_ne_u32_e64 s[4:5], s53, v14
	s_and_saveexec_b64 s[44:45], s[4:5]
	s_cbranch_execz .LBB203_274
; %bb.273:                              ;   in Loop: Header=BB203_13 Depth=1
	v_and_b32_e32 v15, 7, v13
	v_ffbh_u32_e32 v9, v15
	v_lshrrev_b32_e32 v16, 3, v14
	v_cmp_gt_u32_e64 s[4:5], 8, v14
	v_min_u32_e32 v14, 32, v9
	v_subrev_u32_e32 v9, 28, v14
	v_lshlrev_b64 v[9:10], v9, v[13:14]
	v_sub_u32_e32 v10, 29, v14
	v_and_b32_e32 v9, 7, v9
	v_cndmask_b32_e64 v10, v16, v10, s[4:5]
	v_cndmask_b32_e64 v9, v15, v9, s[4:5]
	v_bfrev_b32_e32 v15, 60
	v_lshlrev_b32_e32 v9, 20, v9
	v_and_b32_sdwa v14, sext(v13), s54 dst_sel:DWORD dst_unused:UNUSED_PAD src0_sel:BYTE_0 src1_sel:DWORD
	v_lshl_add_u32 v10, v10, 23, v15
	v_or3_b32 v9, v14, v10, v9
	v_mov_b32_e32 v10, v49
.LBB203_274:                            ;   in Loop: Header=BB203_13 Depth=1
	s_or_b64 exec, exec, s[44:45]
.LBB203_275:                            ;   in Loop: Header=BB203_13 Depth=1
	s_or_b64 exec, exec, s[42:43]
.LBB203_276:                            ;   in Loop: Header=BB203_13 Depth=1
	s_or_b64 exec, exec, s[40:41]
	v_cmp_ne_u16_sdwa s[4:5], v13, v49 src0_sel:BYTE_1 src1_sel:DWORD
	s_and_saveexec_b64 s[40:41], s[4:5]
	s_cbranch_execz .LBB203_282
; %bb.277:                              ;   in Loop: Header=BB203_13 Depth=1
	v_mov_b32_e32 v11, v49
	v_cmp_ne_u16_sdwa s[4:5], v13, s52 src0_sel:BYTE_1 src1_sel:DWORD
	v_mov_b32_e32 v12, v50
	s_and_saveexec_b64 s[42:43], s[4:5]
	s_cbranch_execz .LBB203_281
; %bb.278:                              ;   in Loop: Header=BB203_13 Depth=1
	v_mov_b32_e32 v62, v49
	v_and_b32_sdwa v14, v13, s53 dst_sel:DWORD dst_unused:UNUSED_PAD src0_sel:BYTE_1 src1_sel:DWORD
	v_mov_b32_e32 v11, v62
	v_cmp_ne_u32_e64 s[4:5], s53, v14
	v_mov_b32_e32 v12, v63
	s_and_saveexec_b64 s[44:45], s[4:5]
	s_cbranch_execz .LBB203_280
; %bb.279:                              ;   in Loop: Header=BB203_13 Depth=1
	v_mov_b32_e32 v11, 7
	v_and_b32_sdwa v11, v13, v11 dst_sel:DWORD dst_unused:UNUSED_PAD src0_sel:BYTE_1 src1_sel:DWORD
	v_lshrrev_b32_e32 v16, 3, v14
	v_cmp_gt_u32_e64 s[4:5], 8, v14
	v_ffbh_u32_e32 v14, v11
	v_min_u32_e32 v17, 32, v14
	v_mov_b32_e32 v12, v49
	v_subrev_u32_e32 v14, 28, v17
	v_lshlrev_b64 v[14:15], v14, v[11:12]
	v_sub_u32_e32 v12, 29, v17
	v_and_b32_e32 v14, 7, v14
	v_cndmask_b32_e64 v12, v16, v12, s[4:5]
	v_cndmask_b32_e64 v11, v11, v14, s[4:5]
	v_bfrev_b32_e32 v14, 60
	v_lshlrev_b32_e32 v13, 16, v13
	v_lshl_add_u32 v12, v12, 23, v14
	v_and_or_b32 v12, v13, s54, v12
	v_lshlrev_b32_e32 v11, 20, v11
	v_or_b32_e32 v12, v12, v11
	v_mov_b32_e32 v11, v49
.LBB203_280:                            ;   in Loop: Header=BB203_13 Depth=1
	s_or_b64 exec, exec, s[44:45]
.LBB203_281:                            ;   in Loop: Header=BB203_13 Depth=1
	s_or_b64 exec, exec, s[42:43]
.LBB203_282:                            ;   in Loop: Header=BB203_13 Depth=1
	s_or_b64 exec, exec, s[40:41]
	global_load_ushort v13, v[59:60], off offset:2568
	v_mov_b32_e32 v15, 0
	v_mov_b32_e32 v16, 0
	s_waitcnt vmcnt(0)
	v_and_b32_e32 v17, 0xffff, v13
	v_cmp_ne_u16_sdwa s[4:5], v13, v49 src0_sel:BYTE_0 src1_sel:DWORD
	v_mov_b32_e32 v13, 0
	v_mov_b32_e32 v14, 0
	s_and_saveexec_b64 s[40:41], s[4:5]
	s_cbranch_execz .LBB203_288
; %bb.283:                              ;   in Loop: Header=BB203_13 Depth=1
	v_bfrev_b32_e32 v13, 1
	v_mov_b32_e32 v14, 0
	v_cmp_ne_u16_sdwa s[4:5], v17, s52 src0_sel:BYTE_0 src1_sel:DWORD
	s_and_saveexec_b64 s[42:43], s[4:5]
	s_cbranch_execz .LBB203_287
; %bb.284:                              ;   in Loop: Header=BB203_13 Depth=1
	v_and_b32_e32 v18, 0x7f, v17
	v_mov_b32_e32 v13, 0x7f800001
	v_mov_b32_e32 v14, 0
	v_cmp_ne_u32_e64 s[4:5], s53, v18
	s_and_saveexec_b64 s[44:45], s[4:5]
	s_cbranch_execz .LBB203_286
; %bb.285:                              ;   in Loop: Header=BB203_13 Depth=1
	v_and_b32_e32 v19, 7, v17
	v_ffbh_u32_e32 v13, v19
	v_lshrrev_b32_e32 v20, 3, v18
	v_cmp_gt_u32_e64 s[4:5], 8, v18
	v_min_u32_e32 v18, 32, v13
	v_subrev_u32_e32 v13, 28, v18
	v_lshlrev_b64 v[13:14], v13, v[17:18]
	v_sub_u32_e32 v14, 29, v18
	v_and_b32_e32 v13, 7, v13
	v_cndmask_b32_e64 v14, v20, v14, s[4:5]
	v_cndmask_b32_e64 v13, v19, v13, s[4:5]
	v_bfrev_b32_e32 v19, 60
	v_lshlrev_b32_e32 v13, 20, v13
	v_and_b32_sdwa v18, sext(v17), s54 dst_sel:DWORD dst_unused:UNUSED_PAD src0_sel:BYTE_0 src1_sel:DWORD
	v_lshl_add_u32 v14, v14, 23, v19
	v_or3_b32 v13, v18, v14, v13
	v_mov_b32_e32 v14, v49
.LBB203_286:                            ;   in Loop: Header=BB203_13 Depth=1
	s_or_b64 exec, exec, s[44:45]
.LBB203_287:                            ;   in Loop: Header=BB203_13 Depth=1
	s_or_b64 exec, exec, s[42:43]
.LBB203_288:                            ;   in Loop: Header=BB203_13 Depth=1
	s_or_b64 exec, exec, s[40:41]
	v_cmp_ne_u16_sdwa s[4:5], v17, v49 src0_sel:BYTE_1 src1_sel:DWORD
	s_and_saveexec_b64 s[40:41], s[4:5]
	s_cbranch_execz .LBB203_294
; %bb.289:                              ;   in Loop: Header=BB203_13 Depth=1
	v_mov_b32_e32 v15, v49
	v_cmp_ne_u16_sdwa s[4:5], v17, s52 src0_sel:BYTE_1 src1_sel:DWORD
	v_mov_b32_e32 v16, v50
	s_and_saveexec_b64 s[42:43], s[4:5]
	s_cbranch_execz .LBB203_293
; %bb.290:                              ;   in Loop: Header=BB203_13 Depth=1
	v_mov_b32_e32 v62, v49
	v_and_b32_sdwa v18, v17, s53 dst_sel:DWORD dst_unused:UNUSED_PAD src0_sel:BYTE_1 src1_sel:DWORD
	v_mov_b32_e32 v15, v62
	v_cmp_ne_u32_e64 s[4:5], s53, v18
	v_mov_b32_e32 v16, v63
	s_and_saveexec_b64 s[44:45], s[4:5]
	s_cbranch_execz .LBB203_292
; %bb.291:                              ;   in Loop: Header=BB203_13 Depth=1
	v_mov_b32_e32 v15, 7
	v_and_b32_sdwa v15, v17, v15 dst_sel:DWORD dst_unused:UNUSED_PAD src0_sel:BYTE_1 src1_sel:DWORD
	v_lshrrev_b32_e32 v20, 3, v18
	v_cmp_gt_u32_e64 s[4:5], 8, v18
	v_ffbh_u32_e32 v18, v15
	v_min_u32_e32 v21, 32, v18
	v_mov_b32_e32 v16, v49
	v_subrev_u32_e32 v18, 28, v21
	v_lshlrev_b64 v[18:19], v18, v[15:16]
	v_sub_u32_e32 v16, 29, v21
	v_and_b32_e32 v18, 7, v18
	v_cndmask_b32_e64 v16, v20, v16, s[4:5]
	v_cndmask_b32_e64 v15, v15, v18, s[4:5]
	v_bfrev_b32_e32 v18, 60
	v_lshlrev_b32_e32 v17, 16, v17
	v_lshl_add_u32 v16, v16, 23, v18
	v_and_or_b32 v16, v17, s54, v16
	v_lshlrev_b32_e32 v15, 20, v15
	v_or_b32_e32 v16, v16, v15
	v_mov_b32_e32 v15, v49
.LBB203_292:                            ;   in Loop: Header=BB203_13 Depth=1
	s_or_b64 exec, exec, s[44:45]
.LBB203_293:                            ;   in Loop: Header=BB203_13 Depth=1
	s_or_b64 exec, exec, s[42:43]
.LBB203_294:                            ;   in Loop: Header=BB203_13 Depth=1
	s_or_b64 exec, exec, s[40:41]
	global_load_ushort v17, v[59:60], off offset:2572
	v_mov_b32_e32 v19, 0
	v_mov_b32_e32 v20, 0
	s_waitcnt vmcnt(0)
	v_and_b32_e32 v21, 0xffff, v17
	v_cmp_ne_u16_sdwa s[4:5], v17, v49 src0_sel:BYTE_0 src1_sel:DWORD
	v_mov_b32_e32 v17, 0
	v_mov_b32_e32 v18, 0
	s_and_saveexec_b64 s[40:41], s[4:5]
	s_cbranch_execz .LBB203_300
; %bb.295:                              ;   in Loop: Header=BB203_13 Depth=1
	v_bfrev_b32_e32 v17, 1
	v_mov_b32_e32 v18, 0
	v_cmp_ne_u16_sdwa s[4:5], v21, s52 src0_sel:BYTE_0 src1_sel:DWORD
	s_and_saveexec_b64 s[42:43], s[4:5]
	s_cbranch_execz .LBB203_299
; %bb.296:                              ;   in Loop: Header=BB203_13 Depth=1
	v_and_b32_e32 v22, 0x7f, v21
	v_mov_b32_e32 v17, 0x7f800001
	v_mov_b32_e32 v18, 0
	v_cmp_ne_u32_e64 s[4:5], s53, v22
	s_and_saveexec_b64 s[44:45], s[4:5]
	s_cbranch_execz .LBB203_298
; %bb.297:                              ;   in Loop: Header=BB203_13 Depth=1
	v_and_b32_e32 v23, 7, v21
	v_ffbh_u32_e32 v17, v23
	v_lshrrev_b32_e32 v24, 3, v22
	v_cmp_gt_u32_e64 s[4:5], 8, v22
	v_min_u32_e32 v22, 32, v17
	v_subrev_u32_e32 v17, 28, v22
	v_lshlrev_b64 v[17:18], v17, v[21:22]
	v_sub_u32_e32 v18, 29, v22
	v_and_b32_e32 v17, 7, v17
	v_cndmask_b32_e64 v18, v24, v18, s[4:5]
	v_cndmask_b32_e64 v17, v23, v17, s[4:5]
	v_bfrev_b32_e32 v23, 60
	v_lshlrev_b32_e32 v17, 20, v17
	v_and_b32_sdwa v22, sext(v21), s54 dst_sel:DWORD dst_unused:UNUSED_PAD src0_sel:BYTE_0 src1_sel:DWORD
	v_lshl_add_u32 v18, v18, 23, v23
	v_or3_b32 v17, v22, v18, v17
	v_mov_b32_e32 v18, v49
.LBB203_298:                            ;   in Loop: Header=BB203_13 Depth=1
	s_or_b64 exec, exec, s[44:45]
.LBB203_299:                            ;   in Loop: Header=BB203_13 Depth=1
	s_or_b64 exec, exec, s[42:43]
.LBB203_300:                            ;   in Loop: Header=BB203_13 Depth=1
	s_or_b64 exec, exec, s[40:41]
	v_cmp_ne_u16_sdwa s[4:5], v21, v49 src0_sel:BYTE_1 src1_sel:DWORD
	s_and_saveexec_b64 s[40:41], s[4:5]
	s_cbranch_execz .LBB203_306
; %bb.301:                              ;   in Loop: Header=BB203_13 Depth=1
	v_mov_b32_e32 v19, v49
	v_cmp_ne_u16_sdwa s[4:5], v21, s52 src0_sel:BYTE_1 src1_sel:DWORD
	v_mov_b32_e32 v20, v50
	s_and_saveexec_b64 s[42:43], s[4:5]
	s_cbranch_execz .LBB203_305
; %bb.302:                              ;   in Loop: Header=BB203_13 Depth=1
	v_mov_b32_e32 v62, v49
	v_and_b32_sdwa v22, v21, s53 dst_sel:DWORD dst_unused:UNUSED_PAD src0_sel:BYTE_1 src1_sel:DWORD
	v_mov_b32_e32 v19, v62
	v_cmp_ne_u32_e64 s[4:5], s53, v22
	v_mov_b32_e32 v20, v63
	s_and_saveexec_b64 s[44:45], s[4:5]
	s_cbranch_execz .LBB203_304
; %bb.303:                              ;   in Loop: Header=BB203_13 Depth=1
	v_mov_b32_e32 v19, 7
	v_and_b32_sdwa v19, v21, v19 dst_sel:DWORD dst_unused:UNUSED_PAD src0_sel:BYTE_1 src1_sel:DWORD
	v_lshrrev_b32_e32 v24, 3, v22
	v_cmp_gt_u32_e64 s[4:5], 8, v22
	v_ffbh_u32_e32 v22, v19
	v_min_u32_e32 v25, 32, v22
	v_mov_b32_e32 v20, v49
	v_subrev_u32_e32 v22, 28, v25
	v_lshlrev_b64 v[22:23], v22, v[19:20]
	v_sub_u32_e32 v20, 29, v25
	v_and_b32_e32 v22, 7, v22
	v_cndmask_b32_e64 v20, v24, v20, s[4:5]
	v_cndmask_b32_e64 v19, v19, v22, s[4:5]
	v_bfrev_b32_e32 v22, 60
	v_lshlrev_b32_e32 v21, 16, v21
	v_lshl_add_u32 v20, v20, 23, v22
	v_and_or_b32 v20, v21, s54, v20
	v_lshlrev_b32_e32 v19, 20, v19
	v_or_b32_e32 v20, v20, v19
	v_mov_b32_e32 v19, v49
.LBB203_304:                            ;   in Loop: Header=BB203_13 Depth=1
	s_or_b64 exec, exec, s[44:45]
.LBB203_305:                            ;   in Loop: Header=BB203_13 Depth=1
	s_or_b64 exec, exec, s[42:43]
.LBB203_306:                            ;   in Loop: Header=BB203_13 Depth=1
	s_or_b64 exec, exec, s[40:41]
	global_load_ushort v22, v[59:60], off offset:3072
	v_mov_b32_e32 v57, 0
	v_mov_b32_e32 v51, 0
	;; [unrolled: 1-line block ×4, first 2 shown]
	s_waitcnt vmcnt(0)
	v_and_b32_e32 v21, 0xffff, v22
	v_cmp_ne_u16_sdwa s[4:5], v22, v49 src0_sel:BYTE_0 src1_sel:DWORD
	s_and_saveexec_b64 s[40:41], s[4:5]
	s_cbranch_execz .LBB203_312
; %bb.307:                              ;   in Loop: Header=BB203_13 Depth=1
	v_bfrev_b32_e32 v51, 1
	v_mov_b32_e32 v52, 0
	v_cmp_ne_u16_sdwa s[4:5], v21, s52 src0_sel:BYTE_0 src1_sel:DWORD
	s_and_saveexec_b64 s[42:43], s[4:5]
	s_cbranch_execz .LBB203_311
; %bb.308:                              ;   in Loop: Header=BB203_13 Depth=1
	v_and_b32_e32 v22, 0x7f, v21
	v_mov_b32_e32 v51, 0x7f800001
	v_mov_b32_e32 v52, 0
	v_cmp_ne_u32_e64 s[4:5], s53, v22
	s_and_saveexec_b64 s[44:45], s[4:5]
	s_cbranch_execz .LBB203_310
; %bb.309:                              ;   in Loop: Header=BB203_13 Depth=1
	v_and_b32_e32 v24, 7, v21
	v_lshrrev_b32_e32 v25, 3, v22
	v_cmp_gt_u32_e64 s[4:5], 8, v22
	v_ffbh_u32_e32 v22, v24
	v_min_u32_e32 v26, 32, v22
	v_subrev_u32_e32 v22, 28, v26
	v_lshlrev_b64 v[22:23], v22, v[21:22]
	v_sub_u32_e32 v23, 29, v26
	v_and_b32_e32 v22, 7, v22
	v_cndmask_b32_e64 v23, v25, v23, s[4:5]
	v_cndmask_b32_e64 v22, v24, v22, s[4:5]
	v_bfrev_b32_e32 v25, 60
	v_lshlrev_b32_e32 v22, 20, v22
	v_and_b32_sdwa v24, sext(v21), s54 dst_sel:DWORD dst_unused:UNUSED_PAD src0_sel:BYTE_0 src1_sel:DWORD
	v_lshl_add_u32 v23, v23, 23, v25
	v_or3_b32 v51, v24, v23, v22
	v_mov_b32_e32 v52, v49
.LBB203_310:                            ;   in Loop: Header=BB203_13 Depth=1
	s_or_b64 exec, exec, s[44:45]
.LBB203_311:                            ;   in Loop: Header=BB203_13 Depth=1
	s_or_b64 exec, exec, s[42:43]
.LBB203_312:                            ;   in Loop: Header=BB203_13 Depth=1
	s_or_b64 exec, exec, s[40:41]
	v_cmp_ne_u16_sdwa s[4:5], v21, v49 src0_sel:BYTE_1 src1_sel:DWORD
	s_and_saveexec_b64 s[40:41], s[4:5]
	s_cbranch_execz .LBB203_318
; %bb.313:                              ;   in Loop: Header=BB203_13 Depth=1
	v_mov_b32_e32 v58, v50
	v_cmp_ne_u16_sdwa s[4:5], v21, s52 src0_sel:BYTE_1 src1_sel:DWORD
	v_mov_b32_e32 v57, v49
	s_and_saveexec_b64 s[42:43], s[4:5]
	s_cbranch_execz .LBB203_317
; %bb.314:                              ;   in Loop: Header=BB203_13 Depth=1
	v_mov_b32_e32 v62, v49
	v_and_b32_sdwa v22, v21, s53 dst_sel:DWORD dst_unused:UNUSED_PAD src0_sel:BYTE_1 src1_sel:DWORD
	v_mov_b32_e32 v57, v62
	v_cmp_ne_u32_e64 s[4:5], s53, v22
	v_mov_b32_e32 v58, v63
	s_and_saveexec_b64 s[44:45], s[4:5]
	s_cbranch_execz .LBB203_316
; %bb.315:                              ;   in Loop: Header=BB203_13 Depth=1
	v_mov_b32_e32 v23, 7
	v_and_b32_sdwa v23, v21, v23 dst_sel:DWORD dst_unused:UNUSED_PAD src0_sel:BYTE_1 src1_sel:DWORD
	v_lshrrev_b32_e32 v26, 3, v22
	v_cmp_gt_u32_e64 s[4:5], 8, v22
	v_ffbh_u32_e32 v22, v23
	v_min_u32_e32 v22, 32, v22
	v_mov_b32_e32 v24, v49
	v_subrev_u32_e32 v25, 28, v22
	v_lshlrev_b64 v[24:25], v25, v[23:24]
	v_sub_u32_e32 v22, 29, v22
	v_and_b32_e32 v24, 7, v24
	v_cndmask_b32_e64 v22, v26, v22, s[4:5]
	v_cndmask_b32_e64 v23, v23, v24, s[4:5]
	v_bfrev_b32_e32 v24, 60
	v_lshlrev_b32_e32 v21, 16, v21
	v_lshl_add_u32 v22, v22, 23, v24
	v_and_or_b32 v21, v21, s54, v22
	v_lshlrev_b32_e32 v22, 20, v23
	v_or_b32_e32 v58, v21, v22
	v_mov_b32_e32 v57, v49
.LBB203_316:                            ;   in Loop: Header=BB203_13 Depth=1
	s_or_b64 exec, exec, s[44:45]
.LBB203_317:                            ;   in Loop: Header=BB203_13 Depth=1
	s_or_b64 exec, exec, s[42:43]
.LBB203_318:                            ;   in Loop: Header=BB203_13 Depth=1
	s_or_b64 exec, exec, s[40:41]
	global_load_ushort v21, v[59:60], off offset:3076
	v_mov_b32_e32 v23, 0
	v_mov_b32_e32 v24, 0
	s_waitcnt vmcnt(0)
	v_and_b32_e32 v25, 0xffff, v21
	v_cmp_ne_u16_sdwa s[4:5], v21, v49 src0_sel:BYTE_0 src1_sel:DWORD
	v_mov_b32_e32 v21, 0
	v_mov_b32_e32 v22, 0
	s_and_saveexec_b64 s[40:41], s[4:5]
	s_cbranch_execz .LBB203_324
; %bb.319:                              ;   in Loop: Header=BB203_13 Depth=1
	v_bfrev_b32_e32 v21, 1
	v_mov_b32_e32 v22, 0
	v_cmp_ne_u16_sdwa s[4:5], v25, s52 src0_sel:BYTE_0 src1_sel:DWORD
	s_and_saveexec_b64 s[42:43], s[4:5]
	s_cbranch_execz .LBB203_323
; %bb.320:                              ;   in Loop: Header=BB203_13 Depth=1
	v_and_b32_e32 v26, 0x7f, v25
	v_mov_b32_e32 v21, 0x7f800001
	v_mov_b32_e32 v22, 0
	v_cmp_ne_u32_e64 s[4:5], s53, v26
	s_and_saveexec_b64 s[44:45], s[4:5]
	s_cbranch_execz .LBB203_322
; %bb.321:                              ;   in Loop: Header=BB203_13 Depth=1
	v_and_b32_e32 v27, 7, v25
	v_ffbh_u32_e32 v21, v27
	v_lshrrev_b32_e32 v28, 3, v26
	v_cmp_gt_u32_e64 s[4:5], 8, v26
	v_min_u32_e32 v26, 32, v21
	v_subrev_u32_e32 v21, 28, v26
	v_lshlrev_b64 v[21:22], v21, v[25:26]
	v_sub_u32_e32 v22, 29, v26
	v_and_b32_e32 v21, 7, v21
	v_cndmask_b32_e64 v22, v28, v22, s[4:5]
	v_cndmask_b32_e64 v21, v27, v21, s[4:5]
	v_bfrev_b32_e32 v27, 60
	v_lshlrev_b32_e32 v21, 20, v21
	v_and_b32_sdwa v26, sext(v25), s54 dst_sel:DWORD dst_unused:UNUSED_PAD src0_sel:BYTE_0 src1_sel:DWORD
	v_lshl_add_u32 v22, v22, 23, v27
	v_or3_b32 v21, v26, v22, v21
	v_mov_b32_e32 v22, v49
.LBB203_322:                            ;   in Loop: Header=BB203_13 Depth=1
	s_or_b64 exec, exec, s[44:45]
.LBB203_323:                            ;   in Loop: Header=BB203_13 Depth=1
	s_or_b64 exec, exec, s[42:43]
.LBB203_324:                            ;   in Loop: Header=BB203_13 Depth=1
	s_or_b64 exec, exec, s[40:41]
	v_cmp_ne_u16_sdwa s[4:5], v25, v49 src0_sel:BYTE_1 src1_sel:DWORD
	s_and_saveexec_b64 s[40:41], s[4:5]
	s_cbranch_execz .LBB203_330
; %bb.325:                              ;   in Loop: Header=BB203_13 Depth=1
	v_mov_b32_e32 v23, v49
	v_cmp_ne_u16_sdwa s[4:5], v25, s52 src0_sel:BYTE_1 src1_sel:DWORD
	v_mov_b32_e32 v24, v50
	s_and_saveexec_b64 s[42:43], s[4:5]
	s_cbranch_execz .LBB203_329
; %bb.326:                              ;   in Loop: Header=BB203_13 Depth=1
	v_mov_b32_e32 v62, v49
	v_and_b32_sdwa v26, v25, s53 dst_sel:DWORD dst_unused:UNUSED_PAD src0_sel:BYTE_1 src1_sel:DWORD
	v_mov_b32_e32 v23, v62
	v_cmp_ne_u32_e64 s[4:5], s53, v26
	v_mov_b32_e32 v24, v63
	s_and_saveexec_b64 s[44:45], s[4:5]
	s_cbranch_execz .LBB203_328
; %bb.327:                              ;   in Loop: Header=BB203_13 Depth=1
	v_mov_b32_e32 v23, 7
	v_and_b32_sdwa v23, v25, v23 dst_sel:DWORD dst_unused:UNUSED_PAD src0_sel:BYTE_1 src1_sel:DWORD
	v_lshrrev_b32_e32 v28, 3, v26
	v_cmp_gt_u32_e64 s[4:5], 8, v26
	v_ffbh_u32_e32 v26, v23
	v_min_u32_e32 v29, 32, v26
	v_mov_b32_e32 v24, v49
	v_subrev_u32_e32 v26, 28, v29
	v_lshlrev_b64 v[26:27], v26, v[23:24]
	v_sub_u32_e32 v24, 29, v29
	v_and_b32_e32 v26, 7, v26
	v_cndmask_b32_e64 v24, v28, v24, s[4:5]
	v_cndmask_b32_e64 v23, v23, v26, s[4:5]
	v_bfrev_b32_e32 v26, 60
	v_lshlrev_b32_e32 v25, 16, v25
	v_lshl_add_u32 v24, v24, 23, v26
	v_and_or_b32 v24, v25, s54, v24
	v_lshlrev_b32_e32 v23, 20, v23
	v_or_b32_e32 v24, v24, v23
	v_mov_b32_e32 v23, v49
.LBB203_328:                            ;   in Loop: Header=BB203_13 Depth=1
	s_or_b64 exec, exec, s[44:45]
.LBB203_329:                            ;   in Loop: Header=BB203_13 Depth=1
	s_or_b64 exec, exec, s[42:43]
.LBB203_330:                            ;   in Loop: Header=BB203_13 Depth=1
	s_or_b64 exec, exec, s[40:41]
	global_load_ushort v25, v[59:60], off offset:3080
	v_mov_b32_e32 v55, 0
	v_mov_b32_e32 v56, 0
	s_waitcnt vmcnt(0)
	v_and_b32_e32 v27, 0xffff, v25
	v_cmp_ne_u16_sdwa s[4:5], v25, v49 src0_sel:BYTE_0 src1_sel:DWORD
	v_mov_b32_e32 v25, 0
	v_mov_b32_e32 v26, 0
	s_and_saveexec_b64 s[40:41], s[4:5]
	s_cbranch_execz .LBB203_336
; %bb.331:                              ;   in Loop: Header=BB203_13 Depth=1
	v_bfrev_b32_e32 v25, 1
	v_mov_b32_e32 v26, 0
	v_cmp_ne_u16_sdwa s[4:5], v27, s52 src0_sel:BYTE_0 src1_sel:DWORD
	s_and_saveexec_b64 s[42:43], s[4:5]
	s_cbranch_execz .LBB203_335
; %bb.332:                              ;   in Loop: Header=BB203_13 Depth=1
	v_and_b32_e32 v28, 0x7f, v27
	v_mov_b32_e32 v25, 0x7f800001
	v_mov_b32_e32 v26, 0
	v_cmp_ne_u32_e64 s[4:5], s53, v28
	s_and_saveexec_b64 s[44:45], s[4:5]
	s_cbranch_execz .LBB203_334
; %bb.333:                              ;   in Loop: Header=BB203_13 Depth=1
	v_and_b32_e32 v29, 7, v27
	v_ffbh_u32_e32 v25, v29
	v_lshrrev_b32_e32 v30, 3, v28
	v_cmp_gt_u32_e64 s[4:5], 8, v28
	v_min_u32_e32 v28, 32, v25
	v_subrev_u32_e32 v25, 28, v28
	v_lshlrev_b64 v[25:26], v25, v[27:28]
	v_sub_u32_e32 v26, 29, v28
	v_and_b32_e32 v25, 7, v25
	v_cndmask_b32_e64 v26, v30, v26, s[4:5]
	v_cndmask_b32_e64 v25, v29, v25, s[4:5]
	v_bfrev_b32_e32 v29, 60
	v_lshlrev_b32_e32 v25, 20, v25
	v_and_b32_sdwa v28, sext(v27), s54 dst_sel:DWORD dst_unused:UNUSED_PAD src0_sel:BYTE_0 src1_sel:DWORD
	v_lshl_add_u32 v26, v26, 23, v29
	v_or3_b32 v25, v28, v26, v25
	v_mov_b32_e32 v26, v49
.LBB203_334:                            ;   in Loop: Header=BB203_13 Depth=1
	s_or_b64 exec, exec, s[44:45]
.LBB203_335:                            ;   in Loop: Header=BB203_13 Depth=1
	s_or_b64 exec, exec, s[42:43]
.LBB203_336:                            ;   in Loop: Header=BB203_13 Depth=1
	s_or_b64 exec, exec, s[40:41]
	v_cmp_ne_u16_sdwa s[4:5], v27, v49 src0_sel:BYTE_1 src1_sel:DWORD
	s_and_saveexec_b64 s[40:41], s[4:5]
	s_cbranch_execz .LBB203_342
; %bb.337:                              ;   in Loop: Header=BB203_13 Depth=1
	v_mov_b32_e32 v56, v50
	v_cmp_ne_u16_sdwa s[4:5], v27, s52 src0_sel:BYTE_1 src1_sel:DWORD
	v_mov_b32_e32 v55, v49
	s_and_saveexec_b64 s[42:43], s[4:5]
	s_cbranch_execz .LBB203_341
; %bb.338:                              ;   in Loop: Header=BB203_13 Depth=1
	v_mov_b32_e32 v62, v49
	v_and_b32_sdwa v28, v27, s53 dst_sel:DWORD dst_unused:UNUSED_PAD src0_sel:BYTE_1 src1_sel:DWORD
	v_mov_b32_e32 v55, v62
	v_cmp_ne_u32_e64 s[4:5], s53, v28
	v_mov_b32_e32 v56, v63
	s_and_saveexec_b64 s[44:45], s[4:5]
	s_cbranch_execz .LBB203_340
; %bb.339:                              ;   in Loop: Header=BB203_13 Depth=1
	v_mov_b32_e32 v29, 7
	v_and_b32_sdwa v29, v27, v29 dst_sel:DWORD dst_unused:UNUSED_PAD src0_sel:BYTE_1 src1_sel:DWORD
	v_lshrrev_b32_e32 v32, 3, v28
	v_cmp_gt_u32_e64 s[4:5], 8, v28
	v_ffbh_u32_e32 v28, v29
	v_min_u32_e32 v28, 32, v28
	v_mov_b32_e32 v30, v49
	v_subrev_u32_e32 v31, 28, v28
	v_lshlrev_b64 v[30:31], v31, v[29:30]
	v_sub_u32_e32 v28, 29, v28
	v_and_b32_e32 v30, 7, v30
	v_cndmask_b32_e64 v28, v32, v28, s[4:5]
	v_cndmask_b32_e64 v29, v29, v30, s[4:5]
	v_bfrev_b32_e32 v30, 60
	v_lshlrev_b32_e32 v27, 16, v27
	v_lshl_add_u32 v28, v28, 23, v30
	v_and_or_b32 v27, v27, s54, v28
	v_lshlrev_b32_e32 v28, 20, v29
	v_or_b32_e32 v56, v27, v28
	v_mov_b32_e32 v55, v49
.LBB203_340:                            ;   in Loop: Header=BB203_13 Depth=1
	s_or_b64 exec, exec, s[44:45]
.LBB203_341:                            ;   in Loop: Header=BB203_13 Depth=1
	s_or_b64 exec, exec, s[42:43]
.LBB203_342:                            ;   in Loop: Header=BB203_13 Depth=1
	s_or_b64 exec, exec, s[40:41]
	global_load_ushort v27, v[59:60], off offset:3084
	v_mov_b32_e32 v29, 0
	v_mov_b32_e32 v30, 0
	s_waitcnt vmcnt(0)
	v_and_b32_e32 v31, 0xffff, v27
	v_cmp_ne_u16_sdwa s[4:5], v27, v49 src0_sel:BYTE_0 src1_sel:DWORD
	v_mov_b32_e32 v27, 0
	v_mov_b32_e32 v28, 0
	s_and_saveexec_b64 s[40:41], s[4:5]
	s_cbranch_execz .LBB203_348
; %bb.343:                              ;   in Loop: Header=BB203_13 Depth=1
	v_bfrev_b32_e32 v27, 1
	v_mov_b32_e32 v28, 0
	v_cmp_ne_u16_sdwa s[4:5], v31, s52 src0_sel:BYTE_0 src1_sel:DWORD
	s_and_saveexec_b64 s[42:43], s[4:5]
	s_cbranch_execz .LBB203_347
; %bb.344:                              ;   in Loop: Header=BB203_13 Depth=1
	v_and_b32_e32 v32, 0x7f, v31
	v_mov_b32_e32 v27, 0x7f800001
	v_mov_b32_e32 v28, 0
	v_cmp_ne_u32_e64 s[4:5], s53, v32
	s_and_saveexec_b64 s[44:45], s[4:5]
	s_cbranch_execz .LBB203_346
; %bb.345:                              ;   in Loop: Header=BB203_13 Depth=1
	v_and_b32_e32 v33, 7, v31
	v_ffbh_u32_e32 v27, v33
	v_lshrrev_b32_e32 v34, 3, v32
	v_cmp_gt_u32_e64 s[4:5], 8, v32
	v_min_u32_e32 v32, 32, v27
	v_subrev_u32_e32 v27, 28, v32
	v_lshlrev_b64 v[27:28], v27, v[31:32]
	v_sub_u32_e32 v28, 29, v32
	v_and_b32_e32 v27, 7, v27
	v_cndmask_b32_e64 v28, v34, v28, s[4:5]
	v_cndmask_b32_e64 v27, v33, v27, s[4:5]
	v_bfrev_b32_e32 v33, 60
	v_lshlrev_b32_e32 v27, 20, v27
	v_and_b32_sdwa v32, sext(v31), s54 dst_sel:DWORD dst_unused:UNUSED_PAD src0_sel:BYTE_0 src1_sel:DWORD
	v_lshl_add_u32 v28, v28, 23, v33
	v_or3_b32 v27, v32, v28, v27
	v_mov_b32_e32 v28, v49
.LBB203_346:                            ;   in Loop: Header=BB203_13 Depth=1
	s_or_b64 exec, exec, s[44:45]
.LBB203_347:                            ;   in Loop: Header=BB203_13 Depth=1
	s_or_b64 exec, exec, s[42:43]
.LBB203_348:                            ;   in Loop: Header=BB203_13 Depth=1
	s_or_b64 exec, exec, s[40:41]
	v_cmp_ne_u16_sdwa s[4:5], v31, v49 src0_sel:BYTE_1 src1_sel:DWORD
	s_and_saveexec_b64 s[40:41], s[4:5]
	s_cbranch_execz .LBB203_354
; %bb.349:                              ;   in Loop: Header=BB203_13 Depth=1
	v_mov_b32_e32 v29, v49
	v_cmp_ne_u16_sdwa s[4:5], v31, s52 src0_sel:BYTE_1 src1_sel:DWORD
	v_mov_b32_e32 v30, v50
	s_and_saveexec_b64 s[42:43], s[4:5]
	s_cbranch_execz .LBB203_353
; %bb.350:                              ;   in Loop: Header=BB203_13 Depth=1
	v_mov_b32_e32 v62, v49
	v_and_b32_sdwa v32, v31, s53 dst_sel:DWORD dst_unused:UNUSED_PAD src0_sel:BYTE_1 src1_sel:DWORD
	v_mov_b32_e32 v29, v62
	v_cmp_ne_u32_e64 s[4:5], s53, v32
	v_mov_b32_e32 v30, v63
	s_and_saveexec_b64 s[44:45], s[4:5]
	s_cbranch_execz .LBB203_352
; %bb.351:                              ;   in Loop: Header=BB203_13 Depth=1
	v_mov_b32_e32 v29, 7
	v_and_b32_sdwa v29, v31, v29 dst_sel:DWORD dst_unused:UNUSED_PAD src0_sel:BYTE_1 src1_sel:DWORD
	v_lshrrev_b32_e32 v34, 3, v32
	v_cmp_gt_u32_e64 s[4:5], 8, v32
	v_ffbh_u32_e32 v32, v29
	v_min_u32_e32 v35, 32, v32
	v_mov_b32_e32 v30, v49
	v_subrev_u32_e32 v32, 28, v35
	v_lshlrev_b64 v[32:33], v32, v[29:30]
	v_sub_u32_e32 v30, 29, v35
	v_and_b32_e32 v32, 7, v32
	v_cndmask_b32_e64 v30, v34, v30, s[4:5]
	v_cndmask_b32_e64 v29, v29, v32, s[4:5]
	v_bfrev_b32_e32 v32, 60
	v_lshlrev_b32_e32 v31, 16, v31
	v_lshl_add_u32 v30, v30, 23, v32
	v_and_or_b32 v30, v31, s54, v30
	v_lshlrev_b32_e32 v29, 20, v29
	v_or_b32_e32 v30, v30, v29
	v_mov_b32_e32 v29, v49
.LBB203_352:                            ;   in Loop: Header=BB203_13 Depth=1
	s_or_b64 exec, exec, s[44:45]
.LBB203_353:                            ;   in Loop: Header=BB203_13 Depth=1
	s_or_b64 exec, exec, s[42:43]
.LBB203_354:                            ;   in Loop: Header=BB203_13 Depth=1
	s_or_b64 exec, exec, s[40:41]
	global_load_ushort v31, v[59:60], off offset:3584
	v_mov_b32_e32 v33, 0
	v_mov_b32_e32 v34, 0
	s_waitcnt vmcnt(0)
	v_and_b32_e32 v35, 0xffff, v31
	v_cmp_ne_u16_sdwa s[4:5], v31, v49 src0_sel:BYTE_0 src1_sel:DWORD
	v_mov_b32_e32 v31, 0
	v_mov_b32_e32 v32, 0
	s_and_saveexec_b64 s[40:41], s[4:5]
	s_cbranch_execz .LBB203_360
; %bb.355:                              ;   in Loop: Header=BB203_13 Depth=1
	v_bfrev_b32_e32 v31, 1
	v_mov_b32_e32 v32, 0
	v_cmp_ne_u16_sdwa s[4:5], v35, s52 src0_sel:BYTE_0 src1_sel:DWORD
	s_and_saveexec_b64 s[42:43], s[4:5]
	s_cbranch_execz .LBB203_359
; %bb.356:                              ;   in Loop: Header=BB203_13 Depth=1
	v_and_b32_e32 v39, 0x7f, v35
	v_mov_b32_e32 v31, 0x7f800001
	v_mov_b32_e32 v32, 0
	v_cmp_ne_u32_e64 s[4:5], s53, v39
	s_and_saveexec_b64 s[44:45], s[4:5]
	s_cbranch_execz .LBB203_358
; %bb.357:                              ;   in Loop: Header=BB203_13 Depth=1
	v_and_b32_e32 v40, 7, v35
	v_ffbh_u32_e32 v31, v40
	v_lshrrev_b32_e32 v61, 3, v39
	v_cmp_gt_u32_e64 s[4:5], 8, v39
	v_min_u32_e32 v39, 32, v31
	v_subrev_u32_e32 v31, 28, v39
	v_lshlrev_b64 v[31:32], v31, v[35:36]
	v_sub_u32_e32 v32, 29, v39
	v_and_b32_e32 v31, 7, v31
	v_cndmask_b32_e64 v32, v61, v32, s[4:5]
	v_cndmask_b32_e64 v31, v40, v31, s[4:5]
	v_bfrev_b32_e32 v40, 60
	v_lshlrev_b32_e32 v31, 20, v31
	v_and_b32_sdwa v39, sext(v35), s54 dst_sel:DWORD dst_unused:UNUSED_PAD src0_sel:BYTE_0 src1_sel:DWORD
	v_lshl_add_u32 v32, v32, 23, v40
	v_or3_b32 v31, v39, v32, v31
	v_mov_b32_e32 v32, v49
.LBB203_358:                            ;   in Loop: Header=BB203_13 Depth=1
	s_or_b64 exec, exec, s[44:45]
.LBB203_359:                            ;   in Loop: Header=BB203_13 Depth=1
	s_or_b64 exec, exec, s[42:43]
.LBB203_360:                            ;   in Loop: Header=BB203_13 Depth=1
	s_or_b64 exec, exec, s[40:41]
	v_cmp_ne_u16_sdwa s[4:5], v35, v49 src0_sel:BYTE_1 src1_sel:DWORD
	s_and_saveexec_b64 s[40:41], s[4:5]
	s_cbranch_execz .LBB203_366
; %bb.361:                              ;   in Loop: Header=BB203_13 Depth=1
	v_mov_b32_e32 v33, v49
	v_cmp_ne_u16_sdwa s[4:5], v35, s52 src0_sel:BYTE_1 src1_sel:DWORD
	v_mov_b32_e32 v34, v50
	s_and_saveexec_b64 s[42:43], s[4:5]
	s_cbranch_execz .LBB203_365
; %bb.362:                              ;   in Loop: Header=BB203_13 Depth=1
	v_mov_b32_e32 v62, v49
	v_and_b32_sdwa v39, v35, s53 dst_sel:DWORD dst_unused:UNUSED_PAD src0_sel:BYTE_1 src1_sel:DWORD
	v_mov_b32_e32 v33, v62
	v_cmp_ne_u32_e64 s[4:5], s53, v39
	v_mov_b32_e32 v34, v63
	s_and_saveexec_b64 s[44:45], s[4:5]
	s_cbranch_execz .LBB203_364
; %bb.363:                              ;   in Loop: Header=BB203_13 Depth=1
	v_mov_b32_e32 v33, 7
	v_and_b32_sdwa v33, v35, v33 dst_sel:DWORD dst_unused:UNUSED_PAD src0_sel:BYTE_1 src1_sel:DWORD
	v_lshrrev_b32_e32 v61, 3, v39
	v_cmp_gt_u32_e64 s[4:5], 8, v39
	v_ffbh_u32_e32 v39, v33
	v_min_u32_e32 v62, 32, v39
	v_mov_b32_e32 v34, v49
	v_subrev_u32_e32 v39, 28, v62
	v_lshlrev_b64 v[39:40], v39, v[33:34]
	v_sub_u32_e32 v34, 29, v62
	v_and_b32_e32 v39, 7, v39
	v_cndmask_b32_e64 v34, v61, v34, s[4:5]
	v_cndmask_b32_e64 v33, v33, v39, s[4:5]
	v_bfrev_b32_e32 v39, 60
	v_lshlrev_b32_e32 v35, 16, v35
	v_lshl_add_u32 v34, v34, 23, v39
	v_and_or_b32 v34, v35, s54, v34
	v_lshlrev_b32_e32 v33, 20, v33
	v_or_b32_e32 v34, v34, v33
	v_mov_b32_e32 v33, v49
.LBB203_364:                            ;   in Loop: Header=BB203_13 Depth=1
	s_or_b64 exec, exec, s[44:45]
.LBB203_365:                            ;   in Loop: Header=BB203_13 Depth=1
	s_or_b64 exec, exec, s[42:43]
.LBB203_366:                            ;   in Loop: Header=BB203_13 Depth=1
	s_or_b64 exec, exec, s[40:41]
	global_load_ushort v39, v[59:60], off offset:3588
	v_mov_b32_e32 v61, 0
	v_mov_b32_e32 v59, 0
	;; [unrolled: 1-line block ×4, first 2 shown]
	s_waitcnt vmcnt(0)
	v_and_b32_e32 v35, 0xffff, v39
	v_cmp_ne_u16_sdwa s[4:5], v39, v49 src0_sel:BYTE_0 src1_sel:DWORD
	s_and_saveexec_b64 s[40:41], s[4:5]
	s_cbranch_execz .LBB203_372
; %bb.367:                              ;   in Loop: Header=BB203_13 Depth=1
	v_bfrev_b32_e32 v59, 1
	v_mov_b32_e32 v60, 0
	v_cmp_ne_u16_sdwa s[4:5], v35, s52 src0_sel:BYTE_0 src1_sel:DWORD
	s_and_saveexec_b64 s[42:43], s[4:5]
	s_cbranch_execz .LBB203_371
; %bb.368:                              ;   in Loop: Header=BB203_13 Depth=1
	v_and_b32_e32 v39, 0x7f, v35
	v_mov_b32_e32 v59, 0x7f800001
	v_mov_b32_e32 v60, 0
	v_cmp_ne_u32_e64 s[4:5], s53, v39
	s_and_saveexec_b64 s[44:45], s[4:5]
	s_cbranch_execz .LBB203_370
; %bb.369:                              ;   in Loop: Header=BB203_13 Depth=1
	v_mov_b32_e32 v4, v2
	v_mov_b32_e32 v3, v1
	;; [unrolled: 1-line block ×5, first 2 shown]
	v_and_b32_e32 v59, 7, v35
	v_mov_b32_e32 v47, v45
	v_mov_b32_e32 v46, v44
	v_lshrrev_b32_e32 v60, 3, v39
	v_cmp_gt_u32_e64 s[4:5], 8, v39
	v_ffbh_u32_e32 v39, v59
	v_mov_b32_e32 v45, v43
	v_mov_b32_e32 v44, v42
	;; [unrolled: 1-line block ×3, first 2 shown]
	v_min_u32_e32 v41, 32, v39
	v_subrev_u32_e32 v39, 28, v41
	v_lshlrev_b64 v[39:40], v39, v[35:36]
	v_sub_u32_e32 v40, 29, v41
	v_and_b32_e32 v39, 7, v39
	v_cndmask_b32_e64 v40, v60, v40, s[4:5]
	v_cndmask_b32_e64 v39, v59, v39, s[4:5]
	v_bfrev_b32_e32 v42, 60
	v_lshlrev_b32_e32 v39, 20, v39
	v_and_b32_sdwa v41, sext(v35), s54 dst_sel:DWORD dst_unused:UNUSED_PAD src0_sel:BYTE_0 src1_sel:DWORD
	v_lshl_add_u32 v40, v40, 23, v42
	v_or3_b32 v59, v41, v40, v39
	v_mov_b32_e32 v41, v43
	v_mov_b32_e32 v42, v44
	;; [unrolled: 1-line block ×11, first 2 shown]
.LBB203_370:                            ;   in Loop: Header=BB203_13 Depth=1
	s_or_b64 exec, exec, s[44:45]
.LBB203_371:                            ;   in Loop: Header=BB203_13 Depth=1
	s_or_b64 exec, exec, s[42:43]
.LBB203_372:                            ;   in Loop: Header=BB203_13 Depth=1
	s_or_b64 exec, exec, s[40:41]
	v_mov_b32_e32 v4, v2
	v_mov_b32_e32 v3, v1
	v_cmp_ne_u16_sdwa s[4:5], v35, v49 src0_sel:BYTE_1 src1_sel:DWORD
	s_and_saveexec_b64 s[40:41], s[4:5]
	s_cbranch_execz .LBB203_378
; %bb.373:                              ;   in Loop: Header=BB203_13 Depth=1
	v_mov_b32_e32 v62, v50
	v_cmp_ne_u16_sdwa s[4:5], v35, s52 src0_sel:BYTE_1 src1_sel:DWORD
	v_mov_b32_e32 v61, v49
	s_and_saveexec_b64 s[42:43], s[4:5]
	s_cbranch_execz .LBB203_377
; %bb.374:                              ;   in Loop: Header=BB203_13 Depth=1
	v_mov_b32_e32 v62, v49
	v_and_b32_sdwa v39, v35, s53 dst_sel:DWORD dst_unused:UNUSED_PAD src0_sel:BYTE_1 src1_sel:DWORD
	v_mov_b32_e32 v61, v62
	v_cmp_ne_u32_e64 s[4:5], s53, v39
	v_mov_b32_e32 v62, v63
	s_and_saveexec_b64 s[44:45], s[4:5]
	s_cbranch_execz .LBB203_376
; %bb.375:                              ;   in Loop: Header=BB203_13 Depth=1
	v_mov_b32_e32 v1, v47
	v_mov_b32_e32 v2, v48
	;; [unrolled: 1-line block ×6, first 2 shown]
	v_and_b32_sdwa v61, v35, v40 dst_sel:DWORD dst_unused:UNUSED_PAD src0_sel:BYTE_1 src1_sel:DWORD
	v_mov_b32_e32 v45, v43
	v_mov_b32_e32 v44, v42
	;; [unrolled: 1-line block ×3, first 2 shown]
	v_lshrrev_b32_e32 v41, 3, v39
	v_cmp_gt_u32_e64 s[4:5], 8, v39
	v_ffbh_u32_e32 v39, v61
	v_min_u32_e32 v42, 32, v39
	v_mov_b32_e32 v62, v49
	v_subrev_u32_e32 v39, 28, v42
	v_lshlrev_b64 v[39:40], v39, v[61:62]
	v_sub_u32_e32 v40, 29, v42
	v_cndmask_b32_e64 v40, v41, v40, s[4:5]
	v_bfrev_b32_e32 v41, 60
	v_lshl_add_u32 v40, v40, 23, v41
	v_mov_b32_e32 v41, v43
	v_and_b32_e32 v39, 7, v39
	v_mov_b32_e32 v42, v44
	v_mov_b32_e32 v43, v45
	v_cndmask_b32_e64 v39, v61, v39, s[4:5]
	v_lshlrev_b32_e32 v35, 16, v35
	v_mov_b32_e32 v44, v46
	v_mov_b32_e32 v45, v47
	;; [unrolled: 1-line block ×4, first 2 shown]
	v_and_or_b32 v35, v35, s54, v40
	v_lshlrev_b32_e32 v39, 20, v39
	v_mov_b32_e32 v47, v1
	v_or_b32_e32 v62, v35, v39
	v_mov_b32_e32 v61, v49
.LBB203_376:                            ;   in Loop: Header=BB203_13 Depth=1
	s_or_b64 exec, exec, s[44:45]
.LBB203_377:                            ;   in Loop: Header=BB203_13 Depth=1
	s_or_b64 exec, exec, s[42:43]
.LBB203_378:                            ;   in Loop: Header=BB203_13 Depth=1
	s_or_b64 exec, exec, s[40:41]
	v_or_b32_e32 v39, v42, v48
	v_or_b32_e32 v35, v41, v47
	;; [unrolled: 1-line block ×4, first 2 shown]
	buffer_load_dword v42, off, s[56:59], 0 offset:460 ; 4-byte Folded Reload
	buffer_load_dword v43, off, s[56:59], 0 offset:464 ; 4-byte Folded Reload
	;; [unrolled: 1-line block ×4, first 2 shown]
	v_mul_f32_e32 v35, s55, v35
	v_mul_f32_e32 v41, s55, v41
	;; [unrolled: 1-line block ×4, first 2 shown]
	v_or_b32_e32 v31, v33, v31
	v_or_b32_e32 v28, v30, v28
	;; [unrolled: 1-line block ×10, first 2 shown]
	v_mul_f32_e32 v5, s55, v26
	v_mul_f32_e32 v6, s55, v25
	v_mul_f32_e32 v8, s55, v21
	v_or_b32_e32 v23, v58, v52
	v_or_b32_e32 v22, v24, v22
	;; [unrolled: 1-line block ×4, first 2 shown]
	v_mul_f32_e32 v9, s55, v23
	v_mul_f32_e32 v7, s55, v22
	v_or_b32_e32 v14, v16, v14
	v_or_b32_e32 v16, v12, v10
	v_mul_f32_e32 v12, s55, v17
	v_mul_f32_e32 v17, s55, v20
	;; [unrolled: 1-line block ×3, first 2 shown]
	v_or_b32_e32 v24, v57, v51
	v_mul_f32_e32 v10, s55, v24
	v_or_b32_e32 v15, v15, v13
	v_mul_f32_e32 v13, s55, v14
	v_mul_f32_e32 v14, s55, v15
	;; [unrolled: 1-line block ×5, first 2 shown]
	v_or_b32_e32 v51, v62, v60
	v_or_b32_e32 v52, v61, v59
	s_waitcnt vmcnt(1)
	v_mul_f32_e32 v35, v44, v35
	v_fmac_f32_e32 v35, v42, v41
	buffer_load_dword v1, off, s[56:59], 0 offset:24 ; 4-byte Folded Reload
	buffer_load_dword v2, off, s[56:59], 0 offset:28 ; 4-byte Folded Reload
	;; [unrolled: 1-line block ×4, first 2 shown]
	s_waitcnt vmcnt(4)
	v_mul_f32_e32 v39, v45, v39
	v_fmac_f32_e32 v39, v43, v40
	s_waitcnt vmcnt(1)
	v_or_b32_e32 v41, v41, v1
	s_waitcnt vmcnt(0)
	v_or_b32_e32 v40, v42, v2
	buffer_load_dword v1, off, s[56:59], 0 offset:8 ; 4-byte Folded Reload
	buffer_load_dword v2, off, s[56:59], 0 offset:12 ; 4-byte Folded Reload
	buffer_load_dword v43, off, s[56:59], 0 offset:16 ; 4-byte Folded Reload
	buffer_load_dword v44, off, s[56:59], 0 offset:20 ; 4-byte Folded Reload
	v_mul_f32_e32 v41, s55, v41
	v_mul_f32_e32 v40, s55, v40
	s_waitcnt vmcnt(1)
	v_or_b32_e32 v43, v43, v1
	s_waitcnt vmcnt(0)
	v_or_b32_e32 v42, v44, v2
	buffer_load_dword v44, off, s[56:59], 0 offset:476 ; 4-byte Folded Reload
	buffer_load_dword v45, off, s[56:59], 0 offset:480 ; 4-byte Folded Reload
	buffer_load_dword v46, off, s[56:59], 0 offset:484 ; 4-byte Folded Reload
	buffer_load_dword v47, off, s[56:59], 0 offset:488 ; 4-byte Folded Reload
	v_mul_f32_e32 v43, s55, v43
	v_mul_f32_e32 v42, s55, v42
	s_waitcnt vmcnt(3)
	v_fmac_f32_e32 v35, v44, v43
	s_waitcnt vmcnt(2)
	v_fmac_f32_e32 v39, v45, v42
	s_waitcnt vmcnt(1)
	v_fmac_f32_e32 v35, v46, v41
	buffer_load_dword v1, off, s[56:59], 0 offset:56 ; 4-byte Folded Reload
	buffer_load_dword v2, off, s[56:59], 0 offset:60 ; 4-byte Folded Reload
	buffer_load_dword v41, off, s[56:59], 0 offset:64 ; 4-byte Folded Reload
	buffer_load_dword v42, off, s[56:59], 0 offset:68 ; 4-byte Folded Reload
	s_waitcnt vmcnt(4)
	v_fmac_f32_e32 v39, v47, v40
	s_waitcnt vmcnt(1)
	v_or_b32_e32 v41, v41, v1
	s_waitcnt vmcnt(0)
	v_or_b32_e32 v40, v42, v2
	buffer_load_dword v1, off, s[56:59], 0 offset:40 ; 4-byte Folded Reload
	buffer_load_dword v2, off, s[56:59], 0 offset:44 ; 4-byte Folded Reload
	buffer_load_dword v43, off, s[56:59], 0 offset:48 ; 4-byte Folded Reload
	buffer_load_dword v44, off, s[56:59], 0 offset:52 ; 4-byte Folded Reload
	v_mul_f32_e32 v41, s55, v41
	v_mul_f32_e32 v40, s55, v40
	s_waitcnt vmcnt(1)
	v_or_b32_e32 v43, v43, v1
	s_waitcnt vmcnt(0)
	v_or_b32_e32 v42, v44, v2
	buffer_load_dword v44, off, s[56:59], 0 offset:428 ; 4-byte Folded Reload
	buffer_load_dword v45, off, s[56:59], 0 offset:432 ; 4-byte Folded Reload
	buffer_load_dword v46, off, s[56:59], 0 offset:436 ; 4-byte Folded Reload
	buffer_load_dword v47, off, s[56:59], 0 offset:440 ; 4-byte Folded Reload
	v_mul_f32_e32 v43, s55, v43
	v_mul_f32_e32 v42, s55, v42
	s_waitcnt vmcnt(3)
	v_fmac_f32_e32 v35, v44, v43
	s_waitcnt vmcnt(2)
	v_fmac_f32_e32 v39, v45, v42
	s_waitcnt vmcnt(1)
	v_fmac_f32_e32 v35, v46, v41
	buffer_load_dword v1, off, s[56:59], 0 offset:88 ; 4-byte Folded Reload
	buffer_load_dword v2, off, s[56:59], 0 offset:92 ; 4-byte Folded Reload
	buffer_load_dword v41, off, s[56:59], 0 offset:96 ; 4-byte Folded Reload
	buffer_load_dword v42, off, s[56:59], 0 offset:100 ; 4-byte Folded Reload
	s_waitcnt vmcnt(4)
	;; [unrolled: 32-line block ×5, first 2 shown]
	v_fmac_f32_e32 v39, v47, v40
	s_waitcnt vmcnt(1)
	v_or_b32_e32 v41, v41, v1
	s_waitcnt vmcnt(0)
	v_or_b32_e32 v40, v42, v2
	buffer_load_dword v1, off, s[56:59], 0 offset:168 ; 4-byte Folded Reload
	buffer_load_dword v2, off, s[56:59], 0 offset:172 ; 4-byte Folded Reload
	;; [unrolled: 1-line block ×4, first 2 shown]
	v_mul_f32_e32 v40, s55, v40
	v_mul_f32_e32 v41, s55, v41
	s_waitcnt vmcnt(1)
	v_or_b32_e32 v43, v43, v1
	s_waitcnt vmcnt(0)
	v_or_b32_e32 v42, v44, v2
	buffer_load_dword v44, off, s[56:59], 0 offset:380 ; 4-byte Folded Reload
	buffer_load_dword v45, off, s[56:59], 0 offset:384 ; 4-byte Folded Reload
	;; [unrolled: 1-line block ×6, first 2 shown]
	v_mul_f32_e32 v42, s55, v42
	v_mul_f32_e32 v43, s55, v43
	s_waitcnt vmcnt(5)
	v_fmac_f32_e32 v35, v44, v43
	s_waitcnt vmcnt(4)
	v_fmac_f32_e32 v39, v45, v42
	;; [unrolled: 2-line block ×3, first 2 shown]
	s_waitcnt vmcnt(1)
	v_or_b32_e32 v33, v1, v3
	s_waitcnt vmcnt(0)
	v_or_b32_e32 v30, v2, v4
	buffer_load_dword v1, off, s[56:59], 0 offset:264 ; 4-byte Folded Reload
	buffer_load_dword v2, off, s[56:59], 0 offset:268 ; 4-byte Folded Reload
	;; [unrolled: 1-line block ×4, first 2 shown]
	v_fmac_f32_e32 v39, v47, v40
	v_mul_f32_e32 v23, s55, v33
	v_mul_f32_e32 v22, s55, v30
	s_waitcnt vmcnt(1)
	v_or_b32_e32 v40, v3, v1
	s_waitcnt vmcnt(0)
	v_or_b32_e32 v34, v4, v2
	buffer_load_dword v1, off, s[56:59], 0 offset:248 ; 4-byte Folded Reload
	buffer_load_dword v2, off, s[56:59], 0 offset:252 ; 4-byte Folded Reload
	;; [unrolled: 1-line block ×4, first 2 shown]
	v_mul_f32_e32 v25, s55, v40
	v_mul_f32_e32 v24, s55, v34
	s_waitcnt vmcnt(1)
	v_or_b32_e32 v42, v3, v1
	s_waitcnt vmcnt(0)
	v_or_b32_e32 v41, v4, v2
	buffer_load_dword v1, off, s[56:59], 0 offset:232 ; 4-byte Folded Reload
	buffer_load_dword v2, off, s[56:59], 0 offset:236 ; 4-byte Folded Reload
	buffer_load_dword v3, off, s[56:59], 0 offset:240 ; 4-byte Folded Reload
	buffer_load_dword v4, off, s[56:59], 0 offset:244 ; 4-byte Folded Reload
	v_mul_f32_e32 v26, s55, v41
	s_waitcnt vmcnt(1)
	v_or_b32_e32 v44, v3, v1
	s_waitcnt vmcnt(0)
	v_or_b32_e32 v43, v4, v2
	buffer_load_dword v1, off, s[56:59], 0 offset:216 ; 4-byte Folded Reload
	buffer_load_dword v2, off, s[56:59], 0 offset:220 ; 4-byte Folded Reload
	buffer_load_dword v3, off, s[56:59], 0 offset:224 ; 4-byte Folded Reload
	buffer_load_dword v4, off, s[56:59], 0 offset:228 ; 4-byte Folded Reload
	;; [unrolled: 9-line block ×3, first 2 shown]
	buffer_load_dword v21, off, s[56:59], 0 offset:508 ; 4-byte Folded Reload
	v_mul_f32_e32 v30, s55, v45
	s_waitcnt vmcnt(2)
	v_or_b32_e32 v48, v3, v1
	s_waitcnt vmcnt(1)
	v_or_b32_e32 v47, v4, v2
	v_mul_f32_e32 v3, s55, v28
	v_mul_f32_e32 v4, s55, v27
	;; [unrolled: 1-line block ×4, first 2 shown]
	buffer_load_dword v40, off, s[56:59], 0 offset:364 ; 4-byte Folded Reload
	buffer_load_dword v41, off, s[56:59], 0 offset:368 ; 4-byte Folded Reload
	;; [unrolled: 1-line block ×4, first 2 shown]
	v_mul_f32_e32 v1, s55, v32
	v_mul_f32_e32 v32, s55, v47
	v_mul_f32_e32 v33, s55, v48
	v_mul_f32_e32 v2, s55, v31
	v_mul_f32_e32 v31, s55, v46
	s_waitcnt vmcnt(4)
	v_and_b32_e32 v19, 64, v21
	v_xor_b32_e32 v18, 1, v21
	v_add_u32_e32 v19, 64, v19
	v_cmp_lt_i32_e64 s[4:5], v18, v19
	v_cndmask_b32_e64 v19, v21, v18, s[4:5]
	v_mul_f32_e32 v18, s55, v51
	v_mul_f32_e32 v21, s55, v52
	v_lshlrev_b32_e32 v19, 2, v19
	s_waitcnt vmcnt(3)
	v_fmac_f32_e32 v35, v40, v33
	s_waitcnt vmcnt(2)
	v_fmac_f32_e32 v39, v41, v32
	s_waitcnt vmcnt(1)
	v_fmac_f32_e32 v35, v42, v31
	s_waitcnt vmcnt(0)
	v_fmac_f32_e32 v39, v43, v30
	buffer_load_dword v30, off, s[56:59], 0 offset:332 ; 4-byte Folded Reload
	buffer_load_dword v31, off, s[56:59], 0 offset:336 ; 4-byte Folded Reload
	buffer_load_dword v32, off, s[56:59], 0 offset:340 ; 4-byte Folded Reload
	buffer_load_dword v33, off, s[56:59], 0 offset:344 ; 4-byte Folded Reload
	s_waitcnt vmcnt(3)
	v_fmac_f32_e32 v35, v30, v29
	s_waitcnt vmcnt(2)
	v_fmac_f32_e32 v39, v31, v28
	s_waitcnt vmcnt(1)
	v_fmac_f32_e32 v35, v32, v27
	s_waitcnt vmcnt(0)
	v_fmac_f32_e32 v39, v33, v26
	buffer_load_dword v26, off, s[56:59], 0 offset:300 ; 4-byte Folded Reload
	buffer_load_dword v27, off, s[56:59], 0 offset:304 ; 4-byte Folded Reload
	buffer_load_dword v28, off, s[56:59], 0 offset:308 ; 4-byte Folded Reload
	buffer_load_dword v29, off, s[56:59], 0 offset:312 ; 4-byte Folded Reload
	;; [unrolled: 12-line block ×4, first 2 shown]
	s_waitcnt vmcnt(3)
	v_fmac_f32_e32 v35, v22, v14
	s_waitcnt vmcnt(2)
	v_fmac_f32_e32 v39, v23, v13
	;; [unrolled: 2-line block ×3, first 2 shown]
	ds_read2_b64 v[12:15], v0 offset0:25 offset1:26
	buffer_load_dword v16, off, s[56:59], 0 offset:292 ; 4-byte Folded Reload
	buffer_load_dword v17, off, s[56:59], 0 offset:296 ; 4-byte Folded Reload
	s_waitcnt vmcnt(2)
	v_fmac_f32_e32 v39, v25, v11
	ds_read2_b64 v[22:25], v0 offset0:27 offset1:28
	s_waitcnt vmcnt(1)
	v_fmac_f32_e32 v35, v16, v10
	s_waitcnt vmcnt(0)
	v_fmac_f32_e32 v39, v17, v9
	s_waitcnt lgkmcnt(1)
	v_fmac_f32_e32 v35, v8, v12
	v_fmac_f32_e32 v39, v7, v13
	;; [unrolled: 1-line block ×4, first 2 shown]
	ds_read_b64 v[5:6], v0 offset:232
	s_waitcnt lgkmcnt(1)
	v_fmac_f32_e32 v35, v4, v22
	v_fmac_f32_e32 v39, v3, v23
	;; [unrolled: 1-line block ×4, first 2 shown]
	s_waitcnt lgkmcnt(0)
	v_fmac_f32_e32 v35, v21, v5
	v_fmac_f32_e32 v39, v18, v6
	v_add_f32_e32 v1, v35, v39
	ds_bpermute_b32 v2, v19, v1
	s_and_saveexec_b64 s[40:41], vcc
	s_cbranch_execz .LBB203_11
; %bb.379:                              ;   in Loop: Header=BB203_13 Depth=1
	buffer_load_dword v3, off, s[56:59], 0 offset:516 ; 4-byte Folded Reload
	buffer_load_dword v4, off, s[56:59], 0 offset:512 ; 4-byte Folded Reload
	s_waitcnt lgkmcnt(0)
	v_add_f32_e32 v1, v1, v2
	s_waitcnt vmcnt(1)
	v_add_u32_e32 v3, v3, v36
	v_cvt_f32_i32_e32 v3, v3
	v_mul_f32_e32 v2, s48, v3
	buffer_load_dword v3, off, s[56:59], 0 offset:496 ; 4-byte Folded Reload
	s_waitcnt vmcnt(1)
	v_add_u32_e32 v4, v4, v36
	v_cndmask_b32_e64 v2, 0, v2, s[2:3]
	v_fmac_f32_e32 v2, s37, v1
	v_cmp_gt_i32_e64 s[4:5], s33, v4
	v_cndmask_b32_e64 v1, 0, v2, s[4:5]
	ds_write_b32 v37, v1
	s_waitcnt vmcnt(0)
	v_max_f32_e32 v1, v3, v3
	v_max_f32_e32 v1, v1, v2
	v_cndmask_b32_e64 v3, v3, v1, s[4:5]
	buffer_store_dword v3, off, s[56:59], 0 offset:496 ; 4-byte Folded Spill
	s_branch .LBB203_11
.LBB203_380:
	s_or_b64 exec, exec, s[38:39]
	buffer_load_dword v11, off, s[56:59], 0 offset:520 ; 4-byte Folded Reload
	buffer_load_dword v12, off, s[56:59], 0 offset:524 ; 4-byte Folded Reload
	;; [unrolled: 1-line block ×3, first 2 shown]
	v_mbcnt_lo_u32_b32 v6, -1, 0
.LBB203_381:
	s_or_b64 exec, exec, s[18:19]
	v_mbcnt_hi_u32_b32 v0, -1, v6
	v_and_b32_e32 v6, 64, v0
	v_add_u32_e32 v7, 64, v6
	v_xor_b32_e32 v1, 32, v0
	v_cmp_lt_i32_e32 vcc, v1, v7
	v_cndmask_b32_e32 v1, v0, v1, vcc
	v_lshlrev_b32_e32 v1, 2, v1
	s_waitcnt vmcnt(0) lgkmcnt(0)
	ds_bpermute_b32 v2, v1, v3
	v_xor_b32_e32 v4, 16, v0
	v_max_f32_e32 v3, v3, v3
	v_cmp_lt_i32_e32 vcc, v4, v7
	v_xor_b32_e32 v5, 8, v0
	s_waitcnt lgkmcnt(0)
	v_max_f32_e32 v2, v2, v2
	v_max_f32_e32 v3, v3, v2
	v_cndmask_b32_e32 v2, v0, v4, vcc
	v_lshlrev_b32_e32 v2, 2, v2
	ds_bpermute_b32 v4, v2, v3
	v_cmp_lt_i32_e32 vcc, v5, v7
	v_xor_b32_e32 v8, 4, v0
	s_waitcnt lgkmcnt(0)
	v_max_f32_e32 v4, v4, v4
	v_max_f32_e32 v4, v3, v4
	v_cndmask_b32_e32 v3, v0, v5, vcc
	v_lshlrev_b32_e32 v3, 2, v3
	ds_bpermute_b32 v5, v3, v4
	v_cmp_lt_i32_e32 vcc, v8, v7
	s_waitcnt lgkmcnt(0)
	v_max_f32_e32 v5, v5, v5
	v_max_f32_e32 v4, v4, v5
	v_cndmask_b32_e32 v5, v0, v8, vcc
	v_lshlrev_b32_e32 v16, 2, v5
	ds_bpermute_b32 v5, v16, v4
	v_xor_b32_e32 v8, 2, v0
	v_cmp_lt_i32_e32 vcc, v8, v7
	s_waitcnt lgkmcnt(0)
	v_max_f32_e32 v5, v5, v5
	v_max_f32_e32 v5, v4, v5
	v_cndmask_b32_e32 v4, v0, v8, vcc
	v_lshlrev_b32_e32 v19, 2, v4
	buffer_load_dword v4, off, s[56:59], 0 offset:492 ; 4-byte Folded Reload
	ds_bpermute_b32 v8, v19, v5
	s_waitcnt vmcnt(0)
	v_and_b32_e32 v21, 63, v4
	buffer_load_dword v4, off, s[56:59], 0  ; 4-byte Folded Reload
	v_cmp_eq_u32_e32 vcc, 0, v21
	s_waitcnt vmcnt(0)
	v_lshlrev_b32_e32 v4, 2, v4
	s_and_saveexec_b64 s[2:3], vcc
	s_cbranch_execz .LBB203_383
; %bb.382:
	s_waitcnt lgkmcnt(0)
	v_max_f32_e32 v8, v8, v8
	v_max_f32_e32 v5, v5, v5
	v_max_f32_e32 v5, v5, v8
	ds_write_b32 v4, v5 offset:480
.LBB203_383:
	s_or_b64 exec, exec, s[2:3]
	v_cmp_gt_u32_e64 s[2:3], 2, v21
	s_waitcnt lgkmcnt(0)
	v_mov_b32_e32 v8, 0xff7fffff
	v_lshlrev_b32_e32 v5, 2, v21
	s_barrier
	s_and_saveexec_b64 s[4:5], s[2:3]
; %bb.384:
	ds_read_b32 v8, v5 offset:480
; %bb.385:
	s_or_b64 exec, exec, s[4:5]
	v_xor_b32_e32 v9, 1, v0
	v_cmp_lt_i32_e64 s[4:5], v9, v7
	v_cndmask_b32_e64 v7, v0, v9, s[4:5]
	v_lshlrev_b32_e32 v22, 2, v7
	s_waitcnt lgkmcnt(0)
	ds_bpermute_b32 v7, v22, v8
	v_max_f32_e32 v8, v8, v8
	v_lshlrev_b32_e32 v6, 2, v6
	s_lshl_b32 s4, s20, 5
	s_min_i32 s37, s4, s33
	s_waitcnt lgkmcnt(0)
	v_max_f32_e32 v7, v7, v7
	v_max_f32_e32 v7, v8, v7
	ds_bpermute_b32 v7, v6, v7
	buffer_load_dword v6, off, s[56:59], 0 offset:492 ; 4-byte Folded Reload
	s_waitcnt vmcnt(0)
	v_cmp_gt_i32_e64 s[4:5], s37, v6
	v_mov_b32_e32 v6, 0
	s_and_saveexec_b64 s[12:13], s[4:5]
	s_cbranch_execz .LBB203_389
; %bb.386:
	buffer_load_dword v9, off, s[56:59], 0 offset:492 ; 4-byte Folded Reload
	v_mov_b32_e32 v6, 0x1f0
	s_mov_b64 s[18:19], 0
	s_waitcnt vmcnt(0)
	v_lshl_add_u32 v8, v9, 2, v6
	v_mov_b32_e32 v6, 0
.LBB203_387:                            ; =>This Inner Loop Header: Depth=1
	ds_read_b32 v10, v8
	v_add_u32_e32 v9, 0x80, v9
	v_cmp_le_i32_e64 s[6:7], s37, v9
	s_or_b64 s[18:19], s[6:7], s[18:19]
	s_waitcnt lgkmcnt(0)
	v_sub_f32_e32 v10, v10, v7
	v_mul_f32_e32 v10, 0x3fb8aa3b, v10
	v_exp_f32_e32 v10, v10
	ds_write_b32 v8, v10
	v_add_f32_e32 v6, v6, v10
	v_add_u32_e32 v8, 0x200, v8
	s_andn2_b64 exec, exec, s[18:19]
	s_cbranch_execnz .LBB203_387
; %bb.388:
	s_or_b64 exec, exec, s[18:19]
.LBB203_389:
	s_or_b64 exec, exec, s[12:13]
	ds_bpermute_b32 v1, v1, v6
	s_waitcnt lgkmcnt(0)
	v_add_f32_e32 v1, v6, v1
	ds_bpermute_b32 v2, v2, v1
	s_waitcnt lgkmcnt(0)
	v_add_f32_e32 v1, v1, v2
	;; [unrolled: 3-line block ×6, first 2 shown]
	s_and_saveexec_b64 s[6:7], vcc
; %bb.390:
	ds_write_b32 v4, v1 offset:488
; %bb.391:
	s_or_b64 exec, exec, s[6:7]
	s_waitcnt lgkmcnt(0)
	s_barrier
	s_and_saveexec_b64 s[6:7], s[2:3]
; %bb.392:
	ds_read_b32 v1, v5 offset:488
; %bb.393:
	s_or_b64 exec, exec, s[6:7]
	s_waitcnt lgkmcnt(0)
	ds_bpermute_b32 v2, v22, v1
	v_lshlrev_b32_e32 v0, 2, v0
	v_and_b32_e32 v0, 0x100, v0
	s_waitcnt lgkmcnt(0)
	v_add_f32_e32 v1, v1, v2
	ds_bpermute_b32 v0, v0, v1
	s_and_saveexec_b64 s[2:3], s[4:5]
	s_cbranch_execz .LBB203_396
; %bb.394:
	s_waitcnt lgkmcnt(0)
	v_add_f32_e32 v1, 0x358637bd, v0
	v_div_scale_f32 v0, s[4:5], v1, v1, 1.0
	v_div_scale_f32 v2, vcc, 1.0, v1, 1.0
	s_mov_b64 s[4:5], 0
	v_rcp_f32_e32 v3, v0
	v_fma_f32 v4, -v0, v3, 1.0
	v_fmac_f32_e32 v3, v4, v3
	v_mul_f32_e32 v4, v2, v3
	v_fma_f32 v5, -v0, v4, v2
	v_fmac_f32_e32 v4, v5, v3
	v_fma_f32 v0, -v0, v4, v2
	v_div_fmas_f32 v2, v0, v3, v4
	buffer_load_dword v3, off, s[56:59], 0 offset:492 ; 4-byte Folded Reload
	v_mov_b32_e32 v0, 0x1f0
	v_div_fixup_f32 v1, v2, v1, 1.0
	s_waitcnt vmcnt(0)
	v_lshl_add_u32 v0, v3, 2, v0
	v_mov_b32_e32 v2, v3
.LBB203_395:                            ; =>This Inner Loop Header: Depth=1
	ds_read_b32 v3, v0
	v_add_u32_e32 v2, 0x80, v2
	v_cmp_le_i32_e32 vcc, s37, v2
	s_or_b64 s[4:5], vcc, s[4:5]
	s_waitcnt lgkmcnt(0)
	v_mul_f32_e32 v3, v1, v3
	ds_write_b32 v0, v3
	v_add_u32_e32 v0, 0x200, v0
	s_andn2_b64 exec, exec, s[4:5]
	s_cbranch_execnz .LBB203_395
.LBB203_396:
	s_or_b64 exec, exec, s[2:3]
	s_waitcnt lgkmcnt(0)
	s_barrier
	buffer_load_dword v0, off, s[56:59], 0 offset:492 ; 4-byte Folded Reload
	v_mov_b32_e32 v36, 0
	v_mov_b32_e32 v37, 0
	;; [unrolled: 1-line block ×15, first 2 shown]
	s_waitcnt vmcnt(0)
	v_and_b32_e32 v23, 7, v0
	s_and_saveexec_b64 s[2:3], s[0:1]
	s_cbranch_execz .LBB203_792
; %bb.397:
	s_sub_i32 s21, s16, s21
	s_ashr_i32 s0, s47, 31
	s_add_u32 s4, s34, s47
	s_addc_u32 s5, s35, s0
	s_abs_i32 s22, s22
	v_cvt_f32_u32_e32 v0, s22
	s_sub_i32 s0, 0, s22
	v_and_b32_e32 v1, 0xfc, v11
	v_mov_b32_e32 v4, s5
	v_rcp_iflag_f32_e32 v0, v0
	v_add_co_u32_e32 v6, vcc, s4, v1
	v_addc_co_u32_e32 v7, vcc, 0, v4, vcc
	v_mul_f32_e32 v0, 0x4f7ffffe, v0
	v_cvt_u32_f32_e32 v0, v0
	buffer_store_dword v22, off, s[56:59], 0 offset:348 ; 4-byte Folded Spill
	buffer_store_dword v19, off, s[56:59], 0 offset:332 ; 4-byte Folded Spill
	;; [unrolled: 1-line block ×5, first 2 shown]
	s_nop 0
	buffer_store_dword v7, off, s[56:59], 0 offset:284 ; 4-byte Folded Spill
	buffer_load_dword v1, off, s[56:59], 0  ; 4-byte Folded Reload
	v_mul_lo_u32 v3, s0, v0
	s_add_i32 s35, s20, -1
	s_lshl_b64 s[0:1], s[30:31], 2
	s_add_u32 s0, s28, s0
	v_mul_hi_u32 v3, v0, v3
	v_and_b32_e32 v2, 60, v12
	s_addc_u32 s1, s29, s1
	v_add_co_u32_e32 v9, vcc, s0, v2
	v_add_u32_e32 v24, v0, v3
	buffer_load_dword v3, off, s[56:59], 0 offset:4 ; 4-byte Folded Reload
	v_mov_b32_e32 v0, s1
	v_addc_co_u32_e32 v10, vcc, 0, v0, vcc
	v_lshlrev_b32_e32 v0, 4, v23
	v_mov_b32_e32 v5, 0
	v_and_b32_e32 v38, 28, v11
	s_mov_b32 s34, s17
	s_mov_b64 s[4:5], 0
	s_movk_i32 s28, 0x80
	s_movk_i32 s29, 0x7f
	s_brev_b32 s30, 1
	s_mov_b32 s31, 0xffffff
	v_bfrev_b32_e32 v6, 1
	v_mov_b32_e32 v12, 0x7f800001
	v_mov_b32_e32 v25, v5
	;; [unrolled: 1-line block ×16, first 2 shown]
	buffer_store_dword v23, off, s[56:59], 0 offset:364 ; 4-byte Folded Spill
	buffer_store_dword v38, off, s[56:59], 0 offset:292 ; 4-byte Folded Spill
	;; [unrolled: 1-line block ×3, first 2 shown]
	s_waitcnt vmcnt(4)
	v_lshl_or_b32 v0, v1, 7, v0
	v_add_u32_e32 v45, 0x1f0, v0
	s_branch .LBB203_400
.LBB203_398:                            ;   in Loop: Header=BB203_400 Depth=1
	s_or_b64 exec, exec, s[0:1]
	v_mul_f32_e32 v7, v1, v7
	v_fmac_f32_e32 v7, v2, v43
	v_fmac_f32_e32 v7, v3, v23
	;; [unrolled: 1-line block ×3, first 2 shown]
	v_add_f32_e32 v44, v44, v7
	v_mul_f32_e32 v7, v1, v48
	v_fmac_f32_e32 v7, v2, v63
	v_fmac_f32_e32 v7, v3, v0
	;; [unrolled: 1-line block ×3, first 2 shown]
	v_add_f32_e32 v26, v26, v7
	buffer_load_dword v7, off, s[56:59], 0 offset:264 ; 4-byte Folded Reload
	v_mul_f32_e32 v0, v1, v62
	v_fmac_f32_e32 v0, v2, v60
	v_fmac_f32_e32 v0, v3, v61
	v_fmac_f32_e32 v0, v4, v46
	v_add_f32_e32 v28, v28, v0
	v_mul_f32_e32 v0, v1, v59
	v_fmac_f32_e32 v0, v2, v52
	v_fmac_f32_e32 v0, v3, v58
	v_fmac_f32_e32 v0, v4, v57
	v_add_f32_e32 v29, v29, v0
	;; [unrolled: 5-line block ×3, first 2 shown]
	v_mul_f32_e32 v0, v1, v41
	s_waitcnt vmcnt(0)
	v_fmac_f32_e32 v0, v2, v7
	buffer_load_dword v7, off, s[56:59], 0 offset:272 ; 4-byte Folded Reload
	v_fmac_f32_e32 v0, v3, v40
	s_waitcnt vmcnt(0)
	v_fmac_f32_e32 v0, v4, v7
	v_add_f32_e32 v30, v30, v0
	buffer_load_dword v0, off, s[56:59], 0 offset:256 ; 4-byte Folded Reload
	buffer_load_dword v7, off, s[56:59], 0 offset:232 ; 4-byte Folded Reload
	s_waitcnt vmcnt(1)
	v_mul_f32_e32 v0, v1, v0
	s_waitcnt vmcnt(0)
	v_fmac_f32_e32 v0, v2, v7
	buffer_load_dword v7, off, s[56:59], 0 offset:248 ; 4-byte Folded Reload
	s_waitcnt vmcnt(0)
	v_fmac_f32_e32 v0, v3, v7
	buffer_load_dword v7, off, s[56:59], 0 offset:240 ; 4-byte Folded Reload
	s_waitcnt vmcnt(0)
	v_fmac_f32_e32 v0, v4, v7
	v_add_f32_e32 v31, v31, v0
	buffer_load_dword v0, off, s[56:59], 0 offset:224 ; 4-byte Folded Reload
	buffer_load_dword v7, off, s[56:59], 0 offset:200 ; 4-byte Folded Reload
	s_waitcnt vmcnt(1)
	v_mul_f32_e32 v0, v1, v0
	s_waitcnt vmcnt(0)
	v_fmac_f32_e32 v0, v2, v7
	buffer_load_dword v7, off, s[56:59], 0 offset:216 ; 4-byte Folded Reload
	s_waitcnt vmcnt(0)
	v_fmac_f32_e32 v0, v3, v7
	buffer_load_dword v7, off, s[56:59], 0 offset:208 ; 4-byte Folded Reload
	;; [unrolled: 13-line block ×8, first 2 shown]
	s_waitcnt vmcnt(0)
	v_fmac_f32_e32 v0, v4, v7
	v_add_f32_e32 v36, v36, v0
	v_mul_f32_e32 v0, v1, v15
	v_fmac_f32_e32 v0, v2, v11
	v_fmac_f32_e32 v0, v3, v14
	;; [unrolled: 1-line block ×3, first 2 shown]
	v_add_f32_e32 v25, v25, v0
.LBB203_399:                            ;   in Loop: Header=BB203_400 Depth=1
	s_or_b64 exec, exec, s[6:7]
	buffer_load_dword v0, off, s[56:59], 0  ; 4-byte Folded Reload
	buffer_load_dword v3, off, s[56:59], 0 offset:4 ; 4-byte Folded Reload
	v_add_co_u32_e32 v9, vcc, 8, v9
	v_addc_co_u32_e32 v10, vcc, 0, v10, vcc
	v_add_u32_e32 v45, 0x100, v45
	s_waitcnt vmcnt(1)
	v_add_u32_e32 v0, 2, v0
	v_cmp_le_i32_e32 vcc, s20, v0
	s_waitcnt vmcnt(0)
	v_add_u32_e32 v3, 64, v3
	s_or_b64 s[4:5], vcc, s[4:5]
	buffer_store_dword v0, off, s[56:59], 0 ; 4-byte Folded Spill
	s_andn2_b64 exec, exec, s[4:5]
	s_cbranch_execz .LBB203_791
.LBB203_400:                            ; =>This Inner Loop Header: Depth=1
	s_waitcnt vmcnt(3)
	v_mul_hi_u32 v0, v3, s46
	buffer_store_dword v3, off, s[56:59], 0 offset:4 ; 4-byte Folded Spill
	v_mul_lo_u32 v1, v0, s25
	v_add_u32_e32 v2, 1, v0
	v_sub_u32_e32 v1, v3, v1
	v_cmp_le_u32_e32 vcc, s25, v1
	v_cndmask_b32_e32 v0, v0, v2, vcc
	v_subrev_u32_e32 v2, s25, v1
	v_cndmask_b32_e32 v1, v1, v2, vcc
	v_add_u32_e32 v2, 1, v0
	v_cmp_le_u32_e32 vcc, s25, v1
	v_cndmask_b32_e32 v0, v0, v2, vcc
	v_xor_b32_e32 v0, s23, v0
	v_subrev_u32_e32 v0, s23, v0
	v_add_u32_e32 v1, s36, v0
	v_sub_u32_e32 v2, 0, v1
	v_max_i32_e32 v2, v1, v2
	v_mul_hi_u32 v3, v2, v24
	v_ashrrev_i32_e32 v1, 31, v1
	v_cmp_lt_i32_e64 s[0:1], s21, v0
	v_mul_lo_u32 v3, v3, s22
	v_sub_u32_e32 v2, v2, v3
	v_subrev_u32_e32 v3, s22, v2
	v_cmp_le_u32_e32 vcc, s22, v2
	v_cndmask_b32_e32 v2, v2, v3, vcc
	v_subrev_u32_e32 v3, s22, v2
	v_cmp_le_u32_e32 vcc, s22, v2
	v_cndmask_b32_e32 v2, v2, v3, vcc
	v_xor_b32_e32 v2, v2, v1
	v_sub_u32_e32 v1, v2, v1
	v_cmp_eq_u32_e32 vcc, 0, v1
	s_or_b64 s[0:1], vcc, s[0:1]
	s_and_saveexec_b64 s[6:7], s[0:1]
	s_cbranch_execz .LBB203_399
; %bb.401:                              ;   in Loop: Header=BB203_400 Depth=1
	global_load_dword v0, v[9:10], off
	buffer_load_dword v1, off, s[56:59], 0 offset:280 ; 4-byte Folded Reload
	buffer_load_dword v2, off, s[56:59], 0 offset:284 ; 4-byte Folded Reload
	s_load_dword s37, s[14:15], 0x0
	v_mov_b32_e32 v18, 0
	v_mov_b32_e32 v16, 0
	;; [unrolled: 1-line block ×4, first 2 shown]
	s_waitcnt vmcnt(0)
	v_mad_i64_i32 v[13:14], s[0:1], v0, s34, v[1:2]
	ds_read_b128 v[1:4], v45
	global_load_dword v15, v[13:14], off
	s_waitcnt vmcnt(0)
	v_cmp_ne_u16_sdwa s[12:13], v15, v5 src0_sel:BYTE_0 src1_sel:DWORD
	s_and_saveexec_b64 s[0:1], s[12:13]
	s_cbranch_execz .LBB203_407
; %bb.402:                              ;   in Loop: Header=BB203_400 Depth=1
	v_bfrev_b32_e32 v16, 1
	v_mov_b32_e32 v17, 0
	v_cmp_ne_u16_sdwa s[16:17], v15, s28 src0_sel:BYTE_0 src1_sel:DWORD
	s_and_saveexec_b64 s[12:13], s[16:17]
	s_cbranch_execz .LBB203_406
; %bb.403:                              ;   in Loop: Header=BB203_400 Depth=1
	v_and_b32_e32 v0, 0x7f, v15
	v_mov_b32_e32 v16, 0x7f800001
	v_mov_b32_e32 v17, 0
	v_cmp_ne_u32_e32 vcc, s29, v0
	s_and_saveexec_b64 s[16:17], vcc
	s_cbranch_execz .LBB203_405
; %bb.404:                              ;   in Loop: Header=BB203_400 Depth=1
	v_and_b32_e32 v11, 7, v15
	v_ffbh_u32_e32 v7, v11
	v_min_u32_e32 v17, 32, v7
	v_lshrrev_b32_e32 v16, 3, v0
	v_subrev_u32_e32 v7, 28, v17
	v_lshlrev_b64 v[7:8], v7, v[15:16]
	v_sub_u32_e32 v8, 29, v17
	v_and_b32_e32 v7, 7, v7
	v_cmp_gt_u32_e32 vcc, 8, v0
	v_cndmask_b32_e32 v0, v16, v8, vcc
	v_cndmask_b32_e32 v7, v11, v7, vcc
	v_bfrev_b32_e32 v11, 60
	v_lshlrev_b32_e32 v7, 20, v7
	v_and_b32_sdwa v8, sext(v15), s30 dst_sel:DWORD dst_unused:UNUSED_PAD src0_sel:BYTE_0 src1_sel:DWORD
	v_lshl_add_u32 v0, v0, 23, v11
	v_or3_b32 v16, v8, v0, v7
	v_mov_b32_e32 v17, v5
.LBB203_405:                            ;   in Loop: Header=BB203_400 Depth=1
	s_or_b64 exec, exec, s[16:17]
.LBB203_406:                            ;   in Loop: Header=BB203_400 Depth=1
	s_or_b64 exec, exec, s[12:13]
.LBB203_407:                            ;   in Loop: Header=BB203_400 Depth=1
	s_or_b64 exec, exec, s[0:1]
	v_cmp_ne_u16_sdwa s[12:13], v15, v5 src0_sel:BYTE_1 src1_sel:DWORD
	s_and_saveexec_b64 s[0:1], s[12:13]
	s_cbranch_execz .LBB203_413
; %bb.408:                              ;   in Loop: Header=BB203_400 Depth=1
	v_mov_b32_e32 v19, v6
	v_cmp_ne_u16_sdwa s[16:17], v15, s28 src0_sel:BYTE_1 src1_sel:DWORD
	v_mov_b32_e32 v18, v5
	s_and_saveexec_b64 s[12:13], s[16:17]
	s_cbranch_execz .LBB203_412
; %bb.409:                              ;   in Loop: Header=BB203_400 Depth=1
	v_and_b32_sdwa v0, v15, s29 dst_sel:DWORD dst_unused:UNUSED_PAD src0_sel:BYTE_1 src1_sel:DWORD
	v_mov_b32_e32 v11, v5
	v_mov_b32_e32 v19, v12
	v_cmp_ne_u32_e32 vcc, s29, v0
	v_mov_b32_e32 v18, v11
	s_and_saveexec_b64 s[16:17], vcc
	s_cbranch_execz .LBB203_411
; %bb.410:                              ;   in Loop: Header=BB203_400 Depth=1
	v_mov_b32_e32 v7, 7
	v_and_b32_sdwa v7, v15, v7 dst_sel:DWORD dst_unused:UNUSED_PAD src0_sel:BYTE_1 src1_sel:DWORD
	v_ffbh_u32_e32 v18, v7
	v_min_u32_e32 v20, 32, v18
	v_mov_b32_e32 v8, v5
	v_subrev_u32_e32 v18, 28, v20
	v_lshlrev_b64 v[18:19], v18, v[7:8]
	v_lshrrev_b32_e32 v11, 3, v0
	v_sub_u32_e32 v8, 29, v20
	v_cmp_gt_u32_e32 vcc, 8, v0
	v_and_b32_e32 v18, 7, v18
	v_cndmask_b32_e32 v0, v11, v8, vcc
	v_bfrev_b32_e32 v11, 60
	v_cndmask_b32_e32 v7, v7, v18, vcc
	v_lshlrev_b32_e32 v8, 16, v15
	v_lshl_add_u32 v0, v0, 23, v11
	v_and_or_b32 v0, v8, s30, v0
	v_lshlrev_b32_e32 v7, 20, v7
	v_or_b32_e32 v19, v0, v7
	v_mov_b32_e32 v18, v5
.LBB203_411:                            ;   in Loop: Header=BB203_400 Depth=1
	s_or_b64 exec, exec, s[16:17]
.LBB203_412:                            ;   in Loop: Header=BB203_400 Depth=1
	s_or_b64 exec, exec, s[12:13]
.LBB203_413:                            ;   in Loop: Header=BB203_400 Depth=1
	s_or_b64 exec, exec, s[0:1]
	v_lshrrev_b32_e32 v11, 16, v15
	v_mov_b32_e32 v22, 0
	v_mov_b32_e32 v20, 0
	;; [unrolled: 1-line block ×4, first 2 shown]
	v_cmp_ne_u16_sdwa s[12:13], v11, v5 src0_sel:BYTE_0 src1_sel:DWORD
	s_and_saveexec_b64 s[0:1], s[12:13]
	s_cbranch_execz .LBB203_419
; %bb.414:                              ;   in Loop: Header=BB203_400 Depth=1
	v_bfrev_b32_e32 v20, 1
	v_mov_b32_e32 v21, 0
	v_cmp_ne_u16_sdwa s[16:17], v11, s28 src0_sel:BYTE_0 src1_sel:DWORD
	s_and_saveexec_b64 s[12:13], s[16:17]
	s_cbranch_execz .LBB203_418
; %bb.415:                              ;   in Loop: Header=BB203_400 Depth=1
	v_bfe_u32 v0, v15, 16, 7
	v_mov_b32_e32 v20, 0x7f800001
	v_mov_b32_e32 v21, 0
	v_cmp_ne_u32_e32 vcc, s29, v0
	s_and_saveexec_b64 s[16:17], vcc
	s_cbranch_execz .LBB203_417
; %bb.416:                              ;   in Loop: Header=BB203_400 Depth=1
	v_and_b32_e32 v20, 7, v11
	v_ffbh_u32_e32 v7, v20
	v_min_u32_e32 v24, 32, v7
	v_subrev_u32_e32 v7, 28, v24
	v_lshlrev_b64 v[7:8], v7, v[11:12]
	v_sub_u32_e32 v8, 29, v24
	buffer_load_dword v24, off, s[56:59], 0 offset:288 ; 4-byte Folded Reload
	v_lshrrev_b32_e32 v21, 3, v0
	v_and_b32_e32 v7, 7, v7
	v_cmp_gt_u32_e32 vcc, 8, v0
	v_cndmask_b32_e32 v0, v21, v8, vcc
	v_cndmask_b32_e32 v7, v20, v7, vcc
	v_and_b32_sdwa v8, sext(v11), s30 dst_sel:DWORD dst_unused:UNUSED_PAD src0_sel:BYTE_0 src1_sel:DWORD
	v_bfrev_b32_e32 v11, 60
	v_lshlrev_b32_e32 v7, 20, v7
	v_lshl_add_u32 v0, v0, 23, v11
	v_or3_b32 v20, v8, v0, v7
	v_mov_b32_e32 v21, v5
.LBB203_417:                            ;   in Loop: Header=BB203_400 Depth=1
	s_or_b64 exec, exec, s[16:17]
.LBB203_418:                            ;   in Loop: Header=BB203_400 Depth=1
	s_or_b64 exec, exec, s[12:13]
.LBB203_419:                            ;   in Loop: Header=BB203_400 Depth=1
	s_or_b64 exec, exec, s[0:1]
	v_cmp_lt_u32_e32 vcc, s31, v15
	s_and_saveexec_b64 s[0:1], vcc
	s_cbranch_execz .LBB203_425
; %bb.420:                              ;   in Loop: Header=BB203_400 Depth=1
	v_mov_b32_e32 v23, v6
	v_cmp_ne_u32_sdwa s[16:17], v15, s28 src0_sel:BYTE_3 src1_sel:DWORD
	v_mov_b32_e32 v22, v5
	s_and_saveexec_b64 s[12:13], s[16:17]
	s_cbranch_execz .LBB203_424
; %bb.421:                              ;   in Loop: Header=BB203_400 Depth=1
	v_bfe_u32 v0, v15, 24, 7
	v_mov_b32_e32 v11, v5
	v_mov_b32_e32 v23, v12
	v_cmp_ne_u32_e32 vcc, s29, v0
	v_mov_b32_e32 v22, v11
	s_and_saveexec_b64 s[16:17], vcc
	s_cbranch_execz .LBB203_423
; %bb.422:                              ;   in Loop: Header=BB203_400 Depth=1
	v_mov_b32_e32 v7, 7
	v_and_b32_sdwa v7, v15, v7 dst_sel:DWORD dst_unused:UNUSED_PAD src0_sel:BYTE_3 src1_sel:DWORD
	v_ffbh_u32_e32 v22, v7
	s_waitcnt vmcnt(0)
	v_min_u32_e32 v24, 32, v22
	v_mov_b32_e32 v8, v5
	v_subrev_u32_e32 v22, 28, v24
	v_lshlrev_b64 v[22:23], v22, v[7:8]
	v_sub_u32_e32 v8, 29, v24
	buffer_load_dword v24, off, s[56:59], 0 offset:288 ; 4-byte Folded Reload
	v_lshrrev_b32_e32 v11, 3, v0
	v_cmp_gt_u32_e32 vcc, 8, v0
	v_and_b32_e32 v22, 7, v22
	v_cndmask_b32_e32 v0, v11, v8, vcc
	v_mov_b32_e32 v8, 24
	v_bfrev_b32_e32 v11, 60
	v_cndmask_b32_e32 v7, v7, v22, vcc
	v_lshlrev_b32_sdwa v8, v8, v15 dst_sel:DWORD dst_unused:UNUSED_PAD src0_sel:DWORD src1_sel:BYTE_3
	v_lshl_add_u32 v0, v0, 23, v11
	v_and_or_b32 v0, v8, s30, v0
	v_lshlrev_b32_e32 v7, 20, v7
	v_or_b32_e32 v23, v0, v7
	v_mov_b32_e32 v22, v5
.LBB203_423:                            ;   in Loop: Header=BB203_400 Depth=1
	s_or_b64 exec, exec, s[16:17]
.LBB203_424:                            ;   in Loop: Header=BB203_400 Depth=1
	s_or_b64 exec, exec, s[12:13]
.LBB203_425:                            ;   in Loop: Header=BB203_400 Depth=1
	s_or_b64 exec, exec, s[0:1]
	buffer_load_dword v0, off, s[56:59], 0 offset:4 ; 4-byte Folded Reload
	v_or_b32_e32 v7, v18, v16
	s_waitcnt vmcnt(0)
	v_add_u32_e32 v8, v38, v0
	buffer_load_dword v0, off, s[56:59], 0  ; 4-byte Folded Reload
	v_add_u32_e32 v56, 1, v8
	v_add_u32_e32 v55, 2, v8
	v_mov_b32_e32 v39, v8
	v_add_u32_e32 v54, 3, v8
	s_waitcnt vmcnt(0)
	v_cmp_eq_u32_e32 vcc, s35, v0
	v_or_b32_e32 v0, v19, v17
	s_waitcnt lgkmcnt(0)
	v_mul_f32_e32 v0, s37, v0
	buffer_store_dword v0, off, s[56:59], 0 offset:8 ; 4-byte Folded Spill
	v_mul_f32_e32 v0, s37, v7
	buffer_store_dword v0, off, s[56:59], 0 offset:32 ; 4-byte Folded Spill
	v_or_b32_e32 v0, v23, v21
	v_or_b32_e32 v7, v22, v20
	v_mul_f32_e32 v7, s37, v7
	v_mul_f32_e32 v0, s37, v0
	buffer_store_dword v7, off, s[56:59], 0 offset:24 ; 4-byte Folded Spill
	buffer_store_dword v0, off, s[56:59], 0 offset:16 ; 4-byte Folded Spill
	s_and_saveexec_b64 s[12:13], vcc
	s_cbranch_execz .LBB203_427
; %bb.426:                              ;   in Loop: Header=BB203_400 Depth=1
	buffer_load_dword v0, off, s[56:59], 0 offset:32 ; 4-byte Folded Reload
	v_cmp_gt_i32_e64 s[0:1], s33, v39
	s_waitcnt vmcnt(0)
	v_cndmask_b32_e64 v0, 0, v0, s[0:1]
	buffer_store_dword v0, off, s[56:59], 0 offset:32 ; 4-byte Folded Spill
	buffer_load_dword v0, off, s[56:59], 0 offset:8 ; 4-byte Folded Reload
	v_cmp_gt_i32_e64 s[0:1], s33, v56
	s_waitcnt vmcnt(0)
	v_cndmask_b32_e64 v0, 0, v0, s[0:1]
	buffer_store_dword v0, off, s[56:59], 0 offset:8 ; 4-byte Folded Spill
	;; [unrolled: 5-line block ×4, first 2 shown]
.LBB203_427:                            ;   in Loop: Header=BB203_400 Depth=1
	s_or_b64 exec, exec, s[12:13]
	global_load_dword v15, v[13:14], off offset:256
	v_mov_b32_e32 v18, 0
	v_mov_b32_e32 v16, 0
	;; [unrolled: 1-line block ×4, first 2 shown]
	s_waitcnt vmcnt(0)
	v_cmp_ne_u16_sdwa s[0:1], v15, v5 src0_sel:BYTE_0 src1_sel:DWORD
	s_and_saveexec_b64 s[12:13], s[0:1]
	s_cbranch_execz .LBB203_433
; %bb.428:                              ;   in Loop: Header=BB203_400 Depth=1
	v_bfrev_b32_e32 v16, 1
	v_mov_b32_e32 v17, 0
	v_cmp_ne_u16_sdwa s[0:1], v15, s28 src0_sel:BYTE_0 src1_sel:DWORD
	s_and_saveexec_b64 s[16:17], s[0:1]
	s_cbranch_execz .LBB203_432
; %bb.429:                              ;   in Loop: Header=BB203_400 Depth=1
	v_and_b32_e32 v0, 0x7f, v15
	v_mov_b32_e32 v16, 0x7f800001
	v_mov_b32_e32 v17, 0
	v_cmp_ne_u32_e64 s[0:1], s29, v0
	s_and_saveexec_b64 s[18:19], s[0:1]
	s_cbranch_execz .LBB203_431
; %bb.430:                              ;   in Loop: Header=BB203_400 Depth=1
	v_and_b32_e32 v11, 7, v15
	v_ffbh_u32_e32 v7, v11
	v_min_u32_e32 v17, 32, v7
	v_lshrrev_b32_e32 v16, 3, v0
	v_subrev_u32_e32 v7, 28, v17
	v_lshlrev_b64 v[7:8], v7, v[15:16]
	v_sub_u32_e32 v8, 29, v17
	v_and_b32_e32 v7, 7, v7
	v_cmp_gt_u32_e64 s[0:1], 8, v0
	v_cndmask_b32_e64 v0, v16, v8, s[0:1]
	v_cndmask_b32_e64 v7, v11, v7, s[0:1]
	v_bfrev_b32_e32 v11, 60
	v_lshlrev_b32_e32 v7, 20, v7
	v_and_b32_sdwa v8, sext(v15), s30 dst_sel:DWORD dst_unused:UNUSED_PAD src0_sel:BYTE_0 src1_sel:DWORD
	v_lshl_add_u32 v0, v0, 23, v11
	v_or3_b32 v16, v8, v0, v7
	v_mov_b32_e32 v17, v5
.LBB203_431:                            ;   in Loop: Header=BB203_400 Depth=1
	s_or_b64 exec, exec, s[18:19]
.LBB203_432:                            ;   in Loop: Header=BB203_400 Depth=1
	s_or_b64 exec, exec, s[16:17]
.LBB203_433:                            ;   in Loop: Header=BB203_400 Depth=1
	s_or_b64 exec, exec, s[12:13]
	v_cmp_ne_u16_sdwa s[0:1], v15, v5 src0_sel:BYTE_1 src1_sel:DWORD
	s_and_saveexec_b64 s[12:13], s[0:1]
	s_cbranch_execz .LBB203_439
; %bb.434:                              ;   in Loop: Header=BB203_400 Depth=1
	v_mov_b32_e32 v19, v6
	v_cmp_ne_u16_sdwa s[0:1], v15, s28 src0_sel:BYTE_1 src1_sel:DWORD
	v_mov_b32_e32 v18, v5
	s_and_saveexec_b64 s[16:17], s[0:1]
	s_cbranch_execz .LBB203_438
; %bb.435:                              ;   in Loop: Header=BB203_400 Depth=1
	v_and_b32_sdwa v0, v15, s29 dst_sel:DWORD dst_unused:UNUSED_PAD src0_sel:BYTE_1 src1_sel:DWORD
	v_mov_b32_e32 v11, v5
	v_mov_b32_e32 v19, v12
	v_cmp_ne_u32_e64 s[0:1], s29, v0
	v_mov_b32_e32 v18, v11
	s_and_saveexec_b64 s[18:19], s[0:1]
	s_cbranch_execz .LBB203_437
; %bb.436:                              ;   in Loop: Header=BB203_400 Depth=1
	v_mov_b32_e32 v7, 7
	v_and_b32_sdwa v7, v15, v7 dst_sel:DWORD dst_unused:UNUSED_PAD src0_sel:BYTE_1 src1_sel:DWORD
	v_ffbh_u32_e32 v18, v7
	v_min_u32_e32 v20, 32, v18
	v_mov_b32_e32 v8, v5
	v_subrev_u32_e32 v18, 28, v20
	v_lshlrev_b64 v[18:19], v18, v[7:8]
	v_lshrrev_b32_e32 v11, 3, v0
	v_sub_u32_e32 v8, 29, v20
	v_cmp_gt_u32_e64 s[0:1], 8, v0
	v_and_b32_e32 v18, 7, v18
	v_cndmask_b32_e64 v0, v11, v8, s[0:1]
	v_bfrev_b32_e32 v11, 60
	v_cndmask_b32_e64 v7, v7, v18, s[0:1]
	v_lshlrev_b32_e32 v8, 16, v15
	v_lshl_add_u32 v0, v0, 23, v11
	v_and_or_b32 v0, v8, s30, v0
	v_lshlrev_b32_e32 v7, 20, v7
	v_or_b32_e32 v19, v0, v7
	v_mov_b32_e32 v18, v5
.LBB203_437:                            ;   in Loop: Header=BB203_400 Depth=1
	s_or_b64 exec, exec, s[18:19]
.LBB203_438:                            ;   in Loop: Header=BB203_400 Depth=1
	s_or_b64 exec, exec, s[16:17]
.LBB203_439:                            ;   in Loop: Header=BB203_400 Depth=1
	s_or_b64 exec, exec, s[12:13]
	v_lshrrev_b32_e32 v11, 16, v15
	v_mov_b32_e32 v22, 0
	v_mov_b32_e32 v20, 0
	;; [unrolled: 1-line block ×4, first 2 shown]
	v_cmp_ne_u16_sdwa s[0:1], v11, v5 src0_sel:BYTE_0 src1_sel:DWORD
	s_and_saveexec_b64 s[12:13], s[0:1]
	s_cbranch_execz .LBB203_445
; %bb.440:                              ;   in Loop: Header=BB203_400 Depth=1
	v_bfrev_b32_e32 v20, 1
	v_mov_b32_e32 v21, 0
	v_cmp_ne_u16_sdwa s[0:1], v11, s28 src0_sel:BYTE_0 src1_sel:DWORD
	s_and_saveexec_b64 s[16:17], s[0:1]
	s_cbranch_execz .LBB203_444
; %bb.441:                              ;   in Loop: Header=BB203_400 Depth=1
	v_bfe_u32 v0, v15, 16, 7
	v_mov_b32_e32 v20, 0x7f800001
	v_mov_b32_e32 v21, 0
	v_cmp_ne_u32_e64 s[0:1], s29, v0
	s_and_saveexec_b64 s[18:19], s[0:1]
	s_cbranch_execz .LBB203_443
; %bb.442:                              ;   in Loop: Header=BB203_400 Depth=1
	v_and_b32_e32 v20, 7, v11
	v_lshrrev_b32_e32 v21, 3, v0
	v_cmp_gt_u32_e64 s[0:1], 8, v0
	v_ffbh_u32_e32 v0, v20
	v_min_u32_e32 v0, 32, v0
	v_subrev_u32_e32 v7, 28, v0
	v_lshlrev_b64 v[7:8], v7, v[11:12]
	v_sub_u32_e32 v0, 29, v0
	v_and_b32_e32 v7, 7, v7
	v_cndmask_b32_e64 v0, v21, v0, s[0:1]
	v_cndmask_b32_e64 v7, v20, v7, s[0:1]
	v_and_b32_sdwa v8, sext(v11), s30 dst_sel:DWORD dst_unused:UNUSED_PAD src0_sel:BYTE_0 src1_sel:DWORD
	v_bfrev_b32_e32 v11, 60
	v_lshlrev_b32_e32 v7, 20, v7
	v_lshl_add_u32 v0, v0, 23, v11
	v_or3_b32 v20, v8, v0, v7
	v_mov_b32_e32 v21, v5
.LBB203_443:                            ;   in Loop: Header=BB203_400 Depth=1
	s_or_b64 exec, exec, s[18:19]
.LBB203_444:                            ;   in Loop: Header=BB203_400 Depth=1
	s_or_b64 exec, exec, s[16:17]
.LBB203_445:                            ;   in Loop: Header=BB203_400 Depth=1
	s_or_b64 exec, exec, s[12:13]
	v_cmp_lt_u32_e64 s[0:1], s31, v15
	s_and_saveexec_b64 s[12:13], s[0:1]
	s_cbranch_execz .LBB203_451
; %bb.446:                              ;   in Loop: Header=BB203_400 Depth=1
	v_mov_b32_e32 v23, v6
	v_cmp_ne_u32_sdwa s[0:1], v15, s28 src0_sel:BYTE_3 src1_sel:DWORD
	v_mov_b32_e32 v22, v5
	s_and_saveexec_b64 s[16:17], s[0:1]
	s_cbranch_execz .LBB203_450
; %bb.447:                              ;   in Loop: Header=BB203_400 Depth=1
	v_bfe_u32 v0, v15, 24, 7
	v_mov_b32_e32 v11, v5
	v_mov_b32_e32 v23, v12
	v_cmp_ne_u32_e64 s[0:1], s29, v0
	v_mov_b32_e32 v22, v11
	s_and_saveexec_b64 s[18:19], s[0:1]
	s_cbranch_execz .LBB203_449
; %bb.448:                              ;   in Loop: Header=BB203_400 Depth=1
	v_mov_b32_e32 v7, 7
	v_and_b32_sdwa v7, v15, v7 dst_sel:DWORD dst_unused:UNUSED_PAD src0_sel:BYTE_3 src1_sel:DWORD
	v_lshrrev_b32_e32 v11, 3, v0
	v_cmp_gt_u32_e64 s[0:1], 8, v0
	v_ffbh_u32_e32 v0, v7
	v_min_u32_e32 v0, 32, v0
	v_mov_b32_e32 v8, v5
	v_subrev_u32_e32 v22, 28, v0
	v_lshlrev_b64 v[22:23], v22, v[7:8]
	v_sub_u32_e32 v0, 29, v0
	v_and_b32_e32 v8, 7, v22
	v_cndmask_b32_e64 v0, v11, v0, s[0:1]
	v_cndmask_b32_e64 v7, v7, v8, s[0:1]
	v_mov_b32_e32 v8, 24
	v_bfrev_b32_e32 v11, 60
	v_lshlrev_b32_sdwa v8, v8, v15 dst_sel:DWORD dst_unused:UNUSED_PAD src0_sel:DWORD src1_sel:BYTE_3
	v_lshl_add_u32 v0, v0, 23, v11
	v_and_or_b32 v0, v8, s30, v0
	v_lshlrev_b32_e32 v7, 20, v7
	v_or_b32_e32 v23, v0, v7
	v_mov_b32_e32 v22, v5
.LBB203_449:                            ;   in Loop: Header=BB203_400 Depth=1
	s_or_b64 exec, exec, s[18:19]
.LBB203_450:                            ;   in Loop: Header=BB203_400 Depth=1
	s_or_b64 exec, exec, s[16:17]
.LBB203_451:                            ;   in Loop: Header=BB203_400 Depth=1
	s_or_b64 exec, exec, s[12:13]
	s_mov_b32 s38, s37
	v_or_b32_e32 v0, v19, v17
	v_or_b32_e32 v7, v18, v16
	v_mul_f32_e32 v0, s38, v0
	buffer_store_dword v0, off, s[56:59], 0 offset:40 ; 4-byte Folded Spill
	v_mul_f32_e32 v0, s37, v7
	buffer_store_dword v0, off, s[56:59], 0 offset:64 ; 4-byte Folded Spill
	v_or_b32_e32 v0, v23, v21
	v_or_b32_e32 v7, v22, v20
	v_mul_f32_e32 v7, s37, v7
	v_mul_f32_e32 v0, s38, v0
	buffer_store_dword v7, off, s[56:59], 0 offset:56 ; 4-byte Folded Spill
	buffer_store_dword v0, off, s[56:59], 0 offset:48 ; 4-byte Folded Spill
	s_and_saveexec_b64 s[12:13], vcc
	s_cbranch_execz .LBB203_453
; %bb.452:                              ;   in Loop: Header=BB203_400 Depth=1
	buffer_load_dword v0, off, s[56:59], 0 offset:64 ; 4-byte Folded Reload
	v_cmp_gt_i32_e64 s[0:1], s33, v39
	s_waitcnt vmcnt(0)
	v_cndmask_b32_e64 v0, 0, v0, s[0:1]
	buffer_store_dword v0, off, s[56:59], 0 offset:64 ; 4-byte Folded Spill
	buffer_load_dword v0, off, s[56:59], 0 offset:40 ; 4-byte Folded Reload
	v_cmp_gt_i32_e64 s[0:1], s33, v56
	s_waitcnt vmcnt(0)
	v_cndmask_b32_e64 v0, 0, v0, s[0:1]
	buffer_store_dword v0, off, s[56:59], 0 offset:40 ; 4-byte Folded Spill
	;; [unrolled: 5-line block ×4, first 2 shown]
.LBB203_453:                            ;   in Loop: Header=BB203_400 Depth=1
	s_or_b64 exec, exec, s[12:13]
	global_load_dword v15, v[13:14], off offset:512
	v_mov_b32_e32 v18, 0
	v_mov_b32_e32 v16, 0
	;; [unrolled: 1-line block ×4, first 2 shown]
	s_waitcnt vmcnt(0)
	v_cmp_ne_u16_sdwa s[0:1], v15, v5 src0_sel:BYTE_0 src1_sel:DWORD
	s_and_saveexec_b64 s[12:13], s[0:1]
	s_cbranch_execz .LBB203_459
; %bb.454:                              ;   in Loop: Header=BB203_400 Depth=1
	v_bfrev_b32_e32 v16, 1
	v_mov_b32_e32 v17, 0
	v_cmp_ne_u16_sdwa s[0:1], v15, s28 src0_sel:BYTE_0 src1_sel:DWORD
	s_and_saveexec_b64 s[16:17], s[0:1]
	s_cbranch_execz .LBB203_458
; %bb.455:                              ;   in Loop: Header=BB203_400 Depth=1
	v_and_b32_e32 v0, 0x7f, v15
	v_mov_b32_e32 v16, 0x7f800001
	v_mov_b32_e32 v17, 0
	v_cmp_ne_u32_e64 s[0:1], s29, v0
	s_and_saveexec_b64 s[18:19], s[0:1]
	s_cbranch_execz .LBB203_457
; %bb.456:                              ;   in Loop: Header=BB203_400 Depth=1
	v_and_b32_e32 v11, 7, v15
	v_ffbh_u32_e32 v7, v11
	v_min_u32_e32 v17, 32, v7
	v_lshrrev_b32_e32 v16, 3, v0
	v_subrev_u32_e32 v7, 28, v17
	v_lshlrev_b64 v[7:8], v7, v[15:16]
	v_sub_u32_e32 v8, 29, v17
	v_and_b32_e32 v7, 7, v7
	v_cmp_gt_u32_e64 s[0:1], 8, v0
	v_cndmask_b32_e64 v0, v16, v8, s[0:1]
	v_cndmask_b32_e64 v7, v11, v7, s[0:1]
	v_bfrev_b32_e32 v11, 60
	v_lshlrev_b32_e32 v7, 20, v7
	v_and_b32_sdwa v8, sext(v15), s30 dst_sel:DWORD dst_unused:UNUSED_PAD src0_sel:BYTE_0 src1_sel:DWORD
	v_lshl_add_u32 v0, v0, 23, v11
	v_or3_b32 v16, v8, v0, v7
	v_mov_b32_e32 v17, v5
.LBB203_457:                            ;   in Loop: Header=BB203_400 Depth=1
	s_or_b64 exec, exec, s[18:19]
.LBB203_458:                            ;   in Loop: Header=BB203_400 Depth=1
	s_or_b64 exec, exec, s[16:17]
.LBB203_459:                            ;   in Loop: Header=BB203_400 Depth=1
	s_or_b64 exec, exec, s[12:13]
	v_cmp_ne_u16_sdwa s[0:1], v15, v5 src0_sel:BYTE_1 src1_sel:DWORD
	s_and_saveexec_b64 s[12:13], s[0:1]
	s_cbranch_execz .LBB203_465
; %bb.460:                              ;   in Loop: Header=BB203_400 Depth=1
	v_mov_b32_e32 v19, v6
	v_cmp_ne_u16_sdwa s[0:1], v15, s28 src0_sel:BYTE_1 src1_sel:DWORD
	v_mov_b32_e32 v18, v5
	s_and_saveexec_b64 s[16:17], s[0:1]
	s_cbranch_execz .LBB203_464
; %bb.461:                              ;   in Loop: Header=BB203_400 Depth=1
	v_and_b32_sdwa v0, v15, s29 dst_sel:DWORD dst_unused:UNUSED_PAD src0_sel:BYTE_1 src1_sel:DWORD
	v_mov_b32_e32 v11, v5
	v_mov_b32_e32 v19, v12
	v_cmp_ne_u32_e64 s[0:1], s29, v0
	v_mov_b32_e32 v18, v11
	s_and_saveexec_b64 s[18:19], s[0:1]
	s_cbranch_execz .LBB203_463
; %bb.462:                              ;   in Loop: Header=BB203_400 Depth=1
	v_mov_b32_e32 v7, 7
	v_and_b32_sdwa v7, v15, v7 dst_sel:DWORD dst_unused:UNUSED_PAD src0_sel:BYTE_1 src1_sel:DWORD
	v_lshrrev_b32_e32 v11, 3, v0
	v_cmp_gt_u32_e64 s[0:1], 8, v0
	v_ffbh_u32_e32 v0, v7
	v_min_u32_e32 v0, 32, v0
	v_mov_b32_e32 v8, v5
	v_subrev_u32_e32 v18, 28, v0
	v_lshlrev_b64 v[18:19], v18, v[7:8]
	v_sub_u32_e32 v0, 29, v0
	v_and_b32_e32 v8, 7, v18
	v_cndmask_b32_e64 v0, v11, v0, s[0:1]
	v_bfrev_b32_e32 v11, 60
	v_cndmask_b32_e64 v7, v7, v8, s[0:1]
	v_lshlrev_b32_e32 v8, 16, v15
	v_lshl_add_u32 v0, v0, 23, v11
	v_and_or_b32 v0, v8, s30, v0
	v_lshlrev_b32_e32 v7, 20, v7
	v_or_b32_e32 v19, v0, v7
	v_mov_b32_e32 v18, v5
.LBB203_463:                            ;   in Loop: Header=BB203_400 Depth=1
	s_or_b64 exec, exec, s[18:19]
.LBB203_464:                            ;   in Loop: Header=BB203_400 Depth=1
	s_or_b64 exec, exec, s[16:17]
.LBB203_465:                            ;   in Loop: Header=BB203_400 Depth=1
	s_or_b64 exec, exec, s[12:13]
	v_lshrrev_b32_e32 v11, 16, v15
	v_mov_b32_e32 v22, 0
	v_mov_b32_e32 v20, 0
	;; [unrolled: 1-line block ×4, first 2 shown]
	v_cmp_ne_u16_sdwa s[0:1], v11, v5 src0_sel:BYTE_0 src1_sel:DWORD
	s_and_saveexec_b64 s[12:13], s[0:1]
	s_cbranch_execz .LBB203_471
; %bb.466:                              ;   in Loop: Header=BB203_400 Depth=1
	v_bfrev_b32_e32 v20, 1
	v_mov_b32_e32 v21, 0
	v_cmp_ne_u16_sdwa s[0:1], v11, s28 src0_sel:BYTE_0 src1_sel:DWORD
	s_and_saveexec_b64 s[16:17], s[0:1]
	s_cbranch_execz .LBB203_470
; %bb.467:                              ;   in Loop: Header=BB203_400 Depth=1
	v_bfe_u32 v0, v15, 16, 7
	v_mov_b32_e32 v20, 0x7f800001
	v_mov_b32_e32 v21, 0
	v_cmp_ne_u32_e64 s[0:1], s29, v0
	s_and_saveexec_b64 s[18:19], s[0:1]
	s_cbranch_execz .LBB203_469
; %bb.468:                              ;   in Loop: Header=BB203_400 Depth=1
	v_and_b32_e32 v20, 7, v11
	v_lshrrev_b32_e32 v21, 3, v0
	v_cmp_gt_u32_e64 s[0:1], 8, v0
	v_ffbh_u32_e32 v0, v20
	v_min_u32_e32 v0, 32, v0
	v_subrev_u32_e32 v7, 28, v0
	v_lshlrev_b64 v[7:8], v7, v[11:12]
	v_sub_u32_e32 v0, 29, v0
	v_and_b32_e32 v7, 7, v7
	v_cndmask_b32_e64 v0, v21, v0, s[0:1]
	v_cndmask_b32_e64 v7, v20, v7, s[0:1]
	v_and_b32_sdwa v8, sext(v11), s30 dst_sel:DWORD dst_unused:UNUSED_PAD src0_sel:BYTE_0 src1_sel:DWORD
	v_bfrev_b32_e32 v11, 60
	v_lshlrev_b32_e32 v7, 20, v7
	v_lshl_add_u32 v0, v0, 23, v11
	v_or3_b32 v20, v8, v0, v7
	v_mov_b32_e32 v21, v5
.LBB203_469:                            ;   in Loop: Header=BB203_400 Depth=1
	s_or_b64 exec, exec, s[18:19]
.LBB203_470:                            ;   in Loop: Header=BB203_400 Depth=1
	s_or_b64 exec, exec, s[16:17]
.LBB203_471:                            ;   in Loop: Header=BB203_400 Depth=1
	s_or_b64 exec, exec, s[12:13]
	v_cmp_lt_u32_e64 s[0:1], s31, v15
	s_and_saveexec_b64 s[12:13], s[0:1]
	s_cbranch_execz .LBB203_477
; %bb.472:                              ;   in Loop: Header=BB203_400 Depth=1
	v_mov_b32_e32 v23, v6
	v_cmp_ne_u32_sdwa s[0:1], v15, s28 src0_sel:BYTE_3 src1_sel:DWORD
	v_mov_b32_e32 v22, v5
	s_and_saveexec_b64 s[16:17], s[0:1]
	s_cbranch_execz .LBB203_476
; %bb.473:                              ;   in Loop: Header=BB203_400 Depth=1
	v_bfe_u32 v0, v15, 24, 7
	v_mov_b32_e32 v11, v5
	v_mov_b32_e32 v23, v12
	v_cmp_ne_u32_e64 s[0:1], s29, v0
	v_mov_b32_e32 v22, v11
	s_and_saveexec_b64 s[18:19], s[0:1]
	s_cbranch_execz .LBB203_475
; %bb.474:                              ;   in Loop: Header=BB203_400 Depth=1
	v_mov_b32_e32 v7, 7
	v_and_b32_sdwa v7, v15, v7 dst_sel:DWORD dst_unused:UNUSED_PAD src0_sel:BYTE_3 src1_sel:DWORD
	v_lshrrev_b32_e32 v11, 3, v0
	v_cmp_gt_u32_e64 s[0:1], 8, v0
	v_ffbh_u32_e32 v0, v7
	v_min_u32_e32 v0, 32, v0
	v_mov_b32_e32 v8, v5
	v_subrev_u32_e32 v22, 28, v0
	v_lshlrev_b64 v[22:23], v22, v[7:8]
	v_sub_u32_e32 v0, 29, v0
	v_and_b32_e32 v8, 7, v22
	v_cndmask_b32_e64 v0, v11, v0, s[0:1]
	v_cndmask_b32_e64 v7, v7, v8, s[0:1]
	v_mov_b32_e32 v8, 24
	v_bfrev_b32_e32 v11, 60
	v_lshlrev_b32_sdwa v8, v8, v15 dst_sel:DWORD dst_unused:UNUSED_PAD src0_sel:DWORD src1_sel:BYTE_3
	v_lshl_add_u32 v0, v0, 23, v11
	v_and_or_b32 v0, v8, s30, v0
	v_lshlrev_b32_e32 v7, 20, v7
	v_or_b32_e32 v23, v0, v7
	v_mov_b32_e32 v22, v5
.LBB203_475:                            ;   in Loop: Header=BB203_400 Depth=1
	s_or_b64 exec, exec, s[18:19]
.LBB203_476:                            ;   in Loop: Header=BB203_400 Depth=1
	s_or_b64 exec, exec, s[16:17]
.LBB203_477:                            ;   in Loop: Header=BB203_400 Depth=1
	s_or_b64 exec, exec, s[12:13]
	v_or_b32_e32 v0, v19, v17
	v_or_b32_e32 v7, v18, v16
	v_mul_f32_e32 v0, s38, v0
	buffer_store_dword v0, off, s[56:59], 0 offset:72 ; 4-byte Folded Spill
	v_mul_f32_e32 v0, s37, v7
	buffer_store_dword v0, off, s[56:59], 0 offset:96 ; 4-byte Folded Spill
	v_or_b32_e32 v0, v23, v21
	v_or_b32_e32 v7, v22, v20
	v_mul_f32_e32 v7, s37, v7
	v_mul_f32_e32 v0, s38, v0
	buffer_store_dword v7, off, s[56:59], 0 offset:88 ; 4-byte Folded Spill
	buffer_store_dword v0, off, s[56:59], 0 offset:80 ; 4-byte Folded Spill
	s_and_saveexec_b64 s[12:13], vcc
	s_cbranch_execz .LBB203_479
; %bb.478:                              ;   in Loop: Header=BB203_400 Depth=1
	buffer_load_dword v0, off, s[56:59], 0 offset:96 ; 4-byte Folded Reload
	v_cmp_gt_i32_e64 s[0:1], s33, v39
	s_waitcnt vmcnt(0)
	v_cndmask_b32_e64 v0, 0, v0, s[0:1]
	buffer_store_dword v0, off, s[56:59], 0 offset:96 ; 4-byte Folded Spill
	buffer_load_dword v0, off, s[56:59], 0 offset:72 ; 4-byte Folded Reload
	v_cmp_gt_i32_e64 s[0:1], s33, v56
	s_waitcnt vmcnt(0)
	v_cndmask_b32_e64 v0, 0, v0, s[0:1]
	buffer_store_dword v0, off, s[56:59], 0 offset:72 ; 4-byte Folded Spill
	;; [unrolled: 5-line block ×4, first 2 shown]
.LBB203_479:                            ;   in Loop: Header=BB203_400 Depth=1
	s_or_b64 exec, exec, s[12:13]
	global_load_dword v15, v[13:14], off offset:768
	v_mov_b32_e32 v18, 0
	v_mov_b32_e32 v16, 0
	;; [unrolled: 1-line block ×4, first 2 shown]
	s_waitcnt vmcnt(0)
	v_cmp_ne_u16_sdwa s[0:1], v15, v5 src0_sel:BYTE_0 src1_sel:DWORD
	s_and_saveexec_b64 s[12:13], s[0:1]
	s_cbranch_execz .LBB203_485
; %bb.480:                              ;   in Loop: Header=BB203_400 Depth=1
	v_bfrev_b32_e32 v16, 1
	v_mov_b32_e32 v17, 0
	v_cmp_ne_u16_sdwa s[0:1], v15, s28 src0_sel:BYTE_0 src1_sel:DWORD
	s_and_saveexec_b64 s[16:17], s[0:1]
	s_cbranch_execz .LBB203_484
; %bb.481:                              ;   in Loop: Header=BB203_400 Depth=1
	v_and_b32_e32 v0, 0x7f, v15
	v_mov_b32_e32 v16, 0x7f800001
	v_mov_b32_e32 v17, 0
	v_cmp_ne_u32_e64 s[0:1], s29, v0
	s_and_saveexec_b64 s[18:19], s[0:1]
	s_cbranch_execz .LBB203_483
; %bb.482:                              ;   in Loop: Header=BB203_400 Depth=1
	v_and_b32_e32 v11, 7, v15
	v_lshrrev_b32_e32 v16, 3, v0
	v_cmp_gt_u32_e64 s[0:1], 8, v0
	v_ffbh_u32_e32 v0, v11
	v_min_u32_e32 v0, 32, v0
	v_subrev_u32_e32 v7, 28, v0
	v_lshlrev_b64 v[7:8], v7, v[15:16]
	v_sub_u32_e32 v0, 29, v0
	v_and_b32_e32 v7, 7, v7
	v_cndmask_b32_e64 v0, v16, v0, s[0:1]
	v_cndmask_b32_e64 v7, v11, v7, s[0:1]
	v_bfrev_b32_e32 v11, 60
	v_lshlrev_b32_e32 v7, 20, v7
	v_and_b32_sdwa v8, sext(v15), s30 dst_sel:DWORD dst_unused:UNUSED_PAD src0_sel:BYTE_0 src1_sel:DWORD
	v_lshl_add_u32 v0, v0, 23, v11
	v_or3_b32 v16, v8, v0, v7
	v_mov_b32_e32 v17, v5
.LBB203_483:                            ;   in Loop: Header=BB203_400 Depth=1
	s_or_b64 exec, exec, s[18:19]
.LBB203_484:                            ;   in Loop: Header=BB203_400 Depth=1
	s_or_b64 exec, exec, s[16:17]
.LBB203_485:                            ;   in Loop: Header=BB203_400 Depth=1
	s_or_b64 exec, exec, s[12:13]
	v_cmp_ne_u16_sdwa s[0:1], v15, v5 src0_sel:BYTE_1 src1_sel:DWORD
	s_and_saveexec_b64 s[12:13], s[0:1]
	s_cbranch_execz .LBB203_491
; %bb.486:                              ;   in Loop: Header=BB203_400 Depth=1
	v_mov_b32_e32 v19, v6
	v_cmp_ne_u16_sdwa s[0:1], v15, s28 src0_sel:BYTE_1 src1_sel:DWORD
	v_mov_b32_e32 v18, v5
	s_and_saveexec_b64 s[16:17], s[0:1]
	s_cbranch_execz .LBB203_490
; %bb.487:                              ;   in Loop: Header=BB203_400 Depth=1
	v_and_b32_sdwa v0, v15, s29 dst_sel:DWORD dst_unused:UNUSED_PAD src0_sel:BYTE_1 src1_sel:DWORD
	v_mov_b32_e32 v11, v5
	v_mov_b32_e32 v19, v12
	v_cmp_ne_u32_e64 s[0:1], s29, v0
	v_mov_b32_e32 v18, v11
	s_and_saveexec_b64 s[18:19], s[0:1]
	s_cbranch_execz .LBB203_489
; %bb.488:                              ;   in Loop: Header=BB203_400 Depth=1
	v_mov_b32_e32 v7, 7
	v_and_b32_sdwa v7, v15, v7 dst_sel:DWORD dst_unused:UNUSED_PAD src0_sel:BYTE_1 src1_sel:DWORD
	v_lshrrev_b32_e32 v11, 3, v0
	v_cmp_gt_u32_e64 s[0:1], 8, v0
	v_ffbh_u32_e32 v0, v7
	v_min_u32_e32 v0, 32, v0
	v_mov_b32_e32 v8, v5
	v_subrev_u32_e32 v18, 28, v0
	v_lshlrev_b64 v[18:19], v18, v[7:8]
	v_sub_u32_e32 v0, 29, v0
	v_and_b32_e32 v8, 7, v18
	v_cndmask_b32_e64 v0, v11, v0, s[0:1]
	v_bfrev_b32_e32 v11, 60
	v_cndmask_b32_e64 v7, v7, v8, s[0:1]
	v_lshlrev_b32_e32 v8, 16, v15
	v_lshl_add_u32 v0, v0, 23, v11
	v_and_or_b32 v0, v8, s30, v0
	v_lshlrev_b32_e32 v7, 20, v7
	v_or_b32_e32 v19, v0, v7
	v_mov_b32_e32 v18, v5
.LBB203_489:                            ;   in Loop: Header=BB203_400 Depth=1
	s_or_b64 exec, exec, s[18:19]
.LBB203_490:                            ;   in Loop: Header=BB203_400 Depth=1
	s_or_b64 exec, exec, s[16:17]
.LBB203_491:                            ;   in Loop: Header=BB203_400 Depth=1
	s_or_b64 exec, exec, s[12:13]
	v_lshrrev_b32_e32 v11, 16, v15
	v_mov_b32_e32 v22, 0
	v_mov_b32_e32 v20, 0
	;; [unrolled: 1-line block ×4, first 2 shown]
	v_cmp_ne_u16_sdwa s[0:1], v11, v5 src0_sel:BYTE_0 src1_sel:DWORD
	s_and_saveexec_b64 s[12:13], s[0:1]
	s_cbranch_execz .LBB203_497
; %bb.492:                              ;   in Loop: Header=BB203_400 Depth=1
	v_bfrev_b32_e32 v20, 1
	v_mov_b32_e32 v21, 0
	v_cmp_ne_u16_sdwa s[0:1], v11, s28 src0_sel:BYTE_0 src1_sel:DWORD
	s_and_saveexec_b64 s[16:17], s[0:1]
	s_cbranch_execz .LBB203_496
; %bb.493:                              ;   in Loop: Header=BB203_400 Depth=1
	v_bfe_u32 v0, v15, 16, 7
	v_mov_b32_e32 v20, 0x7f800001
	v_mov_b32_e32 v21, 0
	v_cmp_ne_u32_e64 s[0:1], s29, v0
	s_and_saveexec_b64 s[18:19], s[0:1]
	s_cbranch_execz .LBB203_495
; %bb.494:                              ;   in Loop: Header=BB203_400 Depth=1
	v_and_b32_e32 v20, 7, v11
	v_lshrrev_b32_e32 v21, 3, v0
	v_cmp_gt_u32_e64 s[0:1], 8, v0
	v_ffbh_u32_e32 v0, v20
	v_min_u32_e32 v0, 32, v0
	v_subrev_u32_e32 v7, 28, v0
	v_lshlrev_b64 v[7:8], v7, v[11:12]
	v_sub_u32_e32 v0, 29, v0
	v_and_b32_e32 v7, 7, v7
	v_cndmask_b32_e64 v0, v21, v0, s[0:1]
	v_cndmask_b32_e64 v7, v20, v7, s[0:1]
	v_and_b32_sdwa v8, sext(v11), s30 dst_sel:DWORD dst_unused:UNUSED_PAD src0_sel:BYTE_0 src1_sel:DWORD
	v_bfrev_b32_e32 v11, 60
	v_lshlrev_b32_e32 v7, 20, v7
	v_lshl_add_u32 v0, v0, 23, v11
	v_or3_b32 v20, v8, v0, v7
	v_mov_b32_e32 v21, v5
.LBB203_495:                            ;   in Loop: Header=BB203_400 Depth=1
	s_or_b64 exec, exec, s[18:19]
.LBB203_496:                            ;   in Loop: Header=BB203_400 Depth=1
	s_or_b64 exec, exec, s[16:17]
.LBB203_497:                            ;   in Loop: Header=BB203_400 Depth=1
	s_or_b64 exec, exec, s[12:13]
	v_cmp_lt_u32_e64 s[0:1], s31, v15
	s_and_saveexec_b64 s[12:13], s[0:1]
	s_cbranch_execz .LBB203_503
; %bb.498:                              ;   in Loop: Header=BB203_400 Depth=1
	v_mov_b32_e32 v23, v6
	v_cmp_ne_u32_sdwa s[0:1], v15, s28 src0_sel:BYTE_3 src1_sel:DWORD
	v_mov_b32_e32 v22, v5
	s_and_saveexec_b64 s[16:17], s[0:1]
	s_cbranch_execz .LBB203_502
; %bb.499:                              ;   in Loop: Header=BB203_400 Depth=1
	v_bfe_u32 v0, v15, 24, 7
	v_mov_b32_e32 v11, v5
	v_mov_b32_e32 v23, v12
	v_cmp_ne_u32_e64 s[0:1], s29, v0
	v_mov_b32_e32 v22, v11
	s_and_saveexec_b64 s[18:19], s[0:1]
	s_cbranch_execz .LBB203_501
; %bb.500:                              ;   in Loop: Header=BB203_400 Depth=1
	v_mov_b32_e32 v7, 7
	v_and_b32_sdwa v7, v15, v7 dst_sel:DWORD dst_unused:UNUSED_PAD src0_sel:BYTE_3 src1_sel:DWORD
	v_lshrrev_b32_e32 v11, 3, v0
	v_cmp_gt_u32_e64 s[0:1], 8, v0
	v_ffbh_u32_e32 v0, v7
	v_min_u32_e32 v0, 32, v0
	v_mov_b32_e32 v8, v5
	v_subrev_u32_e32 v22, 28, v0
	v_lshlrev_b64 v[22:23], v22, v[7:8]
	v_sub_u32_e32 v0, 29, v0
	v_and_b32_e32 v8, 7, v22
	v_cndmask_b32_e64 v0, v11, v0, s[0:1]
	v_cndmask_b32_e64 v7, v7, v8, s[0:1]
	v_mov_b32_e32 v8, 24
	v_bfrev_b32_e32 v11, 60
	v_lshlrev_b32_sdwa v8, v8, v15 dst_sel:DWORD dst_unused:UNUSED_PAD src0_sel:DWORD src1_sel:BYTE_3
	v_lshl_add_u32 v0, v0, 23, v11
	v_and_or_b32 v0, v8, s30, v0
	v_lshlrev_b32_e32 v7, 20, v7
	v_or_b32_e32 v23, v0, v7
	v_mov_b32_e32 v22, v5
.LBB203_501:                            ;   in Loop: Header=BB203_400 Depth=1
	s_or_b64 exec, exec, s[18:19]
.LBB203_502:                            ;   in Loop: Header=BB203_400 Depth=1
	s_or_b64 exec, exec, s[16:17]
.LBB203_503:                            ;   in Loop: Header=BB203_400 Depth=1
	s_or_b64 exec, exec, s[12:13]
	v_or_b32_e32 v0, v19, v17
	v_or_b32_e32 v7, v18, v16
	v_mul_f32_e32 v0, s38, v0
	buffer_store_dword v0, off, s[56:59], 0 offset:104 ; 4-byte Folded Spill
	v_mul_f32_e32 v0, s37, v7
	buffer_store_dword v0, off, s[56:59], 0 offset:128 ; 4-byte Folded Spill
	v_or_b32_e32 v0, v23, v21
	v_or_b32_e32 v7, v22, v20
	v_mul_f32_e32 v7, s37, v7
	v_mul_f32_e32 v0, s38, v0
	buffer_store_dword v7, off, s[56:59], 0 offset:120 ; 4-byte Folded Spill
	buffer_store_dword v0, off, s[56:59], 0 offset:112 ; 4-byte Folded Spill
	s_and_saveexec_b64 s[12:13], vcc
	s_cbranch_execz .LBB203_505
; %bb.504:                              ;   in Loop: Header=BB203_400 Depth=1
	buffer_load_dword v0, off, s[56:59], 0 offset:128 ; 4-byte Folded Reload
	v_cmp_gt_i32_e64 s[0:1], s33, v39
	s_waitcnt vmcnt(0)
	v_cndmask_b32_e64 v0, 0, v0, s[0:1]
	buffer_store_dword v0, off, s[56:59], 0 offset:128 ; 4-byte Folded Spill
	buffer_load_dword v0, off, s[56:59], 0 offset:104 ; 4-byte Folded Reload
	v_cmp_gt_i32_e64 s[0:1], s33, v56
	s_waitcnt vmcnt(0)
	v_cndmask_b32_e64 v0, 0, v0, s[0:1]
	buffer_store_dword v0, off, s[56:59], 0 offset:104 ; 4-byte Folded Spill
	;; [unrolled: 5-line block ×4, first 2 shown]
.LBB203_505:                            ;   in Loop: Header=BB203_400 Depth=1
	s_or_b64 exec, exec, s[12:13]
	global_load_dword v15, v[13:14], off offset:1024
	v_mov_b32_e32 v18, 0
	v_mov_b32_e32 v16, 0
	;; [unrolled: 1-line block ×4, first 2 shown]
	s_waitcnt vmcnt(0)
	v_cmp_ne_u16_sdwa s[0:1], v15, v5 src0_sel:BYTE_0 src1_sel:DWORD
	s_and_saveexec_b64 s[12:13], s[0:1]
	s_cbranch_execz .LBB203_511
; %bb.506:                              ;   in Loop: Header=BB203_400 Depth=1
	v_bfrev_b32_e32 v16, 1
	v_mov_b32_e32 v17, 0
	v_cmp_ne_u16_sdwa s[0:1], v15, s28 src0_sel:BYTE_0 src1_sel:DWORD
	s_and_saveexec_b64 s[16:17], s[0:1]
	s_cbranch_execz .LBB203_510
; %bb.507:                              ;   in Loop: Header=BB203_400 Depth=1
	v_and_b32_e32 v0, 0x7f, v15
	v_mov_b32_e32 v16, 0x7f800001
	v_mov_b32_e32 v17, 0
	v_cmp_ne_u32_e64 s[0:1], s29, v0
	s_and_saveexec_b64 s[18:19], s[0:1]
	s_cbranch_execz .LBB203_509
; %bb.508:                              ;   in Loop: Header=BB203_400 Depth=1
	v_and_b32_e32 v11, 7, v15
	v_lshrrev_b32_e32 v16, 3, v0
	v_cmp_gt_u32_e64 s[0:1], 8, v0
	v_ffbh_u32_e32 v0, v11
	v_min_u32_e32 v0, 32, v0
	v_subrev_u32_e32 v7, 28, v0
	v_lshlrev_b64 v[7:8], v7, v[15:16]
	v_sub_u32_e32 v0, 29, v0
	v_and_b32_e32 v7, 7, v7
	v_cndmask_b32_e64 v0, v16, v0, s[0:1]
	v_cndmask_b32_e64 v7, v11, v7, s[0:1]
	v_bfrev_b32_e32 v11, 60
	v_lshlrev_b32_e32 v7, 20, v7
	v_and_b32_sdwa v8, sext(v15), s30 dst_sel:DWORD dst_unused:UNUSED_PAD src0_sel:BYTE_0 src1_sel:DWORD
	v_lshl_add_u32 v0, v0, 23, v11
	v_or3_b32 v16, v8, v0, v7
	v_mov_b32_e32 v17, v5
.LBB203_509:                            ;   in Loop: Header=BB203_400 Depth=1
	s_or_b64 exec, exec, s[18:19]
.LBB203_510:                            ;   in Loop: Header=BB203_400 Depth=1
	s_or_b64 exec, exec, s[16:17]
.LBB203_511:                            ;   in Loop: Header=BB203_400 Depth=1
	s_or_b64 exec, exec, s[12:13]
	v_cmp_ne_u16_sdwa s[0:1], v15, v5 src0_sel:BYTE_1 src1_sel:DWORD
	s_and_saveexec_b64 s[12:13], s[0:1]
	s_cbranch_execz .LBB203_517
; %bb.512:                              ;   in Loop: Header=BB203_400 Depth=1
	v_mov_b32_e32 v19, v6
	v_cmp_ne_u16_sdwa s[0:1], v15, s28 src0_sel:BYTE_1 src1_sel:DWORD
	v_mov_b32_e32 v18, v5
	s_and_saveexec_b64 s[16:17], s[0:1]
	s_cbranch_execz .LBB203_516
; %bb.513:                              ;   in Loop: Header=BB203_400 Depth=1
	v_and_b32_sdwa v0, v15, s29 dst_sel:DWORD dst_unused:UNUSED_PAD src0_sel:BYTE_1 src1_sel:DWORD
	v_mov_b32_e32 v11, v5
	v_mov_b32_e32 v19, v12
	v_cmp_ne_u32_e64 s[0:1], s29, v0
	v_mov_b32_e32 v18, v11
	s_and_saveexec_b64 s[18:19], s[0:1]
	s_cbranch_execz .LBB203_515
; %bb.514:                              ;   in Loop: Header=BB203_400 Depth=1
	v_mov_b32_e32 v7, 7
	v_and_b32_sdwa v7, v15, v7 dst_sel:DWORD dst_unused:UNUSED_PAD src0_sel:BYTE_1 src1_sel:DWORD
	v_lshrrev_b32_e32 v11, 3, v0
	v_cmp_gt_u32_e64 s[0:1], 8, v0
	v_ffbh_u32_e32 v0, v7
	v_min_u32_e32 v0, 32, v0
	v_mov_b32_e32 v8, v5
	v_subrev_u32_e32 v18, 28, v0
	v_lshlrev_b64 v[18:19], v18, v[7:8]
	v_sub_u32_e32 v0, 29, v0
	v_and_b32_e32 v8, 7, v18
	v_cndmask_b32_e64 v0, v11, v0, s[0:1]
	v_bfrev_b32_e32 v11, 60
	v_cndmask_b32_e64 v7, v7, v8, s[0:1]
	v_lshlrev_b32_e32 v8, 16, v15
	v_lshl_add_u32 v0, v0, 23, v11
	v_and_or_b32 v0, v8, s30, v0
	v_lshlrev_b32_e32 v7, 20, v7
	v_or_b32_e32 v19, v0, v7
	v_mov_b32_e32 v18, v5
.LBB203_515:                            ;   in Loop: Header=BB203_400 Depth=1
	s_or_b64 exec, exec, s[18:19]
.LBB203_516:                            ;   in Loop: Header=BB203_400 Depth=1
	s_or_b64 exec, exec, s[16:17]
.LBB203_517:                            ;   in Loop: Header=BB203_400 Depth=1
	s_or_b64 exec, exec, s[12:13]
	v_lshrrev_b32_e32 v11, 16, v15
	v_mov_b32_e32 v22, 0
	v_mov_b32_e32 v20, 0
	;; [unrolled: 1-line block ×4, first 2 shown]
	v_cmp_ne_u16_sdwa s[0:1], v11, v5 src0_sel:BYTE_0 src1_sel:DWORD
	s_and_saveexec_b64 s[12:13], s[0:1]
	s_cbranch_execz .LBB203_523
; %bb.518:                              ;   in Loop: Header=BB203_400 Depth=1
	v_bfrev_b32_e32 v20, 1
	v_mov_b32_e32 v21, 0
	v_cmp_ne_u16_sdwa s[0:1], v11, s28 src0_sel:BYTE_0 src1_sel:DWORD
	s_and_saveexec_b64 s[16:17], s[0:1]
	s_cbranch_execz .LBB203_522
; %bb.519:                              ;   in Loop: Header=BB203_400 Depth=1
	v_bfe_u32 v0, v15, 16, 7
	v_mov_b32_e32 v20, 0x7f800001
	v_mov_b32_e32 v21, 0
	v_cmp_ne_u32_e64 s[0:1], s29, v0
	s_and_saveexec_b64 s[18:19], s[0:1]
	s_cbranch_execz .LBB203_521
; %bb.520:                              ;   in Loop: Header=BB203_400 Depth=1
	v_and_b32_e32 v20, 7, v11
	v_lshrrev_b32_e32 v21, 3, v0
	v_cmp_gt_u32_e64 s[0:1], 8, v0
	v_ffbh_u32_e32 v0, v20
	v_min_u32_e32 v0, 32, v0
	v_subrev_u32_e32 v7, 28, v0
	v_lshlrev_b64 v[7:8], v7, v[11:12]
	v_sub_u32_e32 v0, 29, v0
	v_and_b32_e32 v7, 7, v7
	v_cndmask_b32_e64 v0, v21, v0, s[0:1]
	v_cndmask_b32_e64 v7, v20, v7, s[0:1]
	v_and_b32_sdwa v8, sext(v11), s30 dst_sel:DWORD dst_unused:UNUSED_PAD src0_sel:BYTE_0 src1_sel:DWORD
	v_bfrev_b32_e32 v11, 60
	v_lshlrev_b32_e32 v7, 20, v7
	v_lshl_add_u32 v0, v0, 23, v11
	v_or3_b32 v20, v8, v0, v7
	v_mov_b32_e32 v21, v5
.LBB203_521:                            ;   in Loop: Header=BB203_400 Depth=1
	s_or_b64 exec, exec, s[18:19]
.LBB203_522:                            ;   in Loop: Header=BB203_400 Depth=1
	s_or_b64 exec, exec, s[16:17]
.LBB203_523:                            ;   in Loop: Header=BB203_400 Depth=1
	s_or_b64 exec, exec, s[12:13]
	v_cmp_lt_u32_e64 s[0:1], s31, v15
	s_and_saveexec_b64 s[12:13], s[0:1]
	s_cbranch_execz .LBB203_529
; %bb.524:                              ;   in Loop: Header=BB203_400 Depth=1
	v_mov_b32_e32 v23, v6
	v_cmp_ne_u32_sdwa s[0:1], v15, s28 src0_sel:BYTE_3 src1_sel:DWORD
	v_mov_b32_e32 v22, v5
	s_and_saveexec_b64 s[16:17], s[0:1]
	s_cbranch_execz .LBB203_528
; %bb.525:                              ;   in Loop: Header=BB203_400 Depth=1
	v_bfe_u32 v0, v15, 24, 7
	v_mov_b32_e32 v11, v5
	v_mov_b32_e32 v23, v12
	v_cmp_ne_u32_e64 s[0:1], s29, v0
	v_mov_b32_e32 v22, v11
	s_and_saveexec_b64 s[18:19], s[0:1]
	s_cbranch_execz .LBB203_527
; %bb.526:                              ;   in Loop: Header=BB203_400 Depth=1
	v_mov_b32_e32 v7, 7
	v_and_b32_sdwa v7, v15, v7 dst_sel:DWORD dst_unused:UNUSED_PAD src0_sel:BYTE_3 src1_sel:DWORD
	v_lshrrev_b32_e32 v11, 3, v0
	v_cmp_gt_u32_e64 s[0:1], 8, v0
	v_ffbh_u32_e32 v0, v7
	v_min_u32_e32 v0, 32, v0
	v_mov_b32_e32 v8, v5
	v_subrev_u32_e32 v22, 28, v0
	v_lshlrev_b64 v[22:23], v22, v[7:8]
	v_sub_u32_e32 v0, 29, v0
	v_and_b32_e32 v8, 7, v22
	v_cndmask_b32_e64 v0, v11, v0, s[0:1]
	v_cndmask_b32_e64 v7, v7, v8, s[0:1]
	v_mov_b32_e32 v8, 24
	v_bfrev_b32_e32 v11, 60
	v_lshlrev_b32_sdwa v8, v8, v15 dst_sel:DWORD dst_unused:UNUSED_PAD src0_sel:DWORD src1_sel:BYTE_3
	v_lshl_add_u32 v0, v0, 23, v11
	v_and_or_b32 v0, v8, s30, v0
	v_lshlrev_b32_e32 v7, 20, v7
	v_or_b32_e32 v23, v0, v7
	v_mov_b32_e32 v22, v5
.LBB203_527:                            ;   in Loop: Header=BB203_400 Depth=1
	s_or_b64 exec, exec, s[18:19]
.LBB203_528:                            ;   in Loop: Header=BB203_400 Depth=1
	s_or_b64 exec, exec, s[16:17]
.LBB203_529:                            ;   in Loop: Header=BB203_400 Depth=1
	s_or_b64 exec, exec, s[12:13]
	v_or_b32_e32 v0, v19, v17
	v_or_b32_e32 v7, v18, v16
	v_mul_f32_e32 v0, s38, v0
	buffer_store_dword v0, off, s[56:59], 0 offset:136 ; 4-byte Folded Spill
	v_mul_f32_e32 v0, s37, v7
	buffer_store_dword v0, off, s[56:59], 0 offset:160 ; 4-byte Folded Spill
	v_or_b32_e32 v0, v23, v21
	v_or_b32_e32 v7, v22, v20
	v_mul_f32_e32 v7, s37, v7
	v_mul_f32_e32 v0, s38, v0
	buffer_store_dword v7, off, s[56:59], 0 offset:152 ; 4-byte Folded Spill
	buffer_store_dword v0, off, s[56:59], 0 offset:144 ; 4-byte Folded Spill
	s_and_saveexec_b64 s[12:13], vcc
	s_cbranch_execz .LBB203_531
; %bb.530:                              ;   in Loop: Header=BB203_400 Depth=1
	buffer_load_dword v0, off, s[56:59], 0 offset:160 ; 4-byte Folded Reload
	v_cmp_gt_i32_e64 s[0:1], s33, v39
	s_waitcnt vmcnt(0)
	v_cndmask_b32_e64 v0, 0, v0, s[0:1]
	buffer_store_dword v0, off, s[56:59], 0 offset:160 ; 4-byte Folded Spill
	buffer_load_dword v0, off, s[56:59], 0 offset:136 ; 4-byte Folded Reload
	v_cmp_gt_i32_e64 s[0:1], s33, v56
	s_waitcnt vmcnt(0)
	v_cndmask_b32_e64 v0, 0, v0, s[0:1]
	buffer_store_dword v0, off, s[56:59], 0 offset:136 ; 4-byte Folded Spill
	;; [unrolled: 5-line block ×4, first 2 shown]
.LBB203_531:                            ;   in Loop: Header=BB203_400 Depth=1
	s_or_b64 exec, exec, s[12:13]
	global_load_dword v15, v[13:14], off offset:1280
	v_mov_b32_e32 v18, 0
	v_mov_b32_e32 v16, 0
	;; [unrolled: 1-line block ×4, first 2 shown]
	s_waitcnt vmcnt(0)
	v_cmp_ne_u16_sdwa s[0:1], v15, v5 src0_sel:BYTE_0 src1_sel:DWORD
	s_and_saveexec_b64 s[12:13], s[0:1]
	s_cbranch_execz .LBB203_537
; %bb.532:                              ;   in Loop: Header=BB203_400 Depth=1
	v_bfrev_b32_e32 v16, 1
	v_mov_b32_e32 v17, 0
	v_cmp_ne_u16_sdwa s[0:1], v15, s28 src0_sel:BYTE_0 src1_sel:DWORD
	s_and_saveexec_b64 s[16:17], s[0:1]
	s_cbranch_execz .LBB203_536
; %bb.533:                              ;   in Loop: Header=BB203_400 Depth=1
	v_and_b32_e32 v0, 0x7f, v15
	v_mov_b32_e32 v16, 0x7f800001
	v_mov_b32_e32 v17, 0
	v_cmp_ne_u32_e64 s[0:1], s29, v0
	s_and_saveexec_b64 s[18:19], s[0:1]
	s_cbranch_execz .LBB203_535
; %bb.534:                              ;   in Loop: Header=BB203_400 Depth=1
	v_and_b32_e32 v11, 7, v15
	v_lshrrev_b32_e32 v16, 3, v0
	v_cmp_gt_u32_e64 s[0:1], 8, v0
	v_ffbh_u32_e32 v0, v11
	v_min_u32_e32 v0, 32, v0
	v_subrev_u32_e32 v7, 28, v0
	v_lshlrev_b64 v[7:8], v7, v[15:16]
	v_sub_u32_e32 v0, 29, v0
	v_and_b32_e32 v7, 7, v7
	v_cndmask_b32_e64 v0, v16, v0, s[0:1]
	v_cndmask_b32_e64 v7, v11, v7, s[0:1]
	v_bfrev_b32_e32 v11, 60
	v_lshlrev_b32_e32 v7, 20, v7
	v_and_b32_sdwa v8, sext(v15), s30 dst_sel:DWORD dst_unused:UNUSED_PAD src0_sel:BYTE_0 src1_sel:DWORD
	v_lshl_add_u32 v0, v0, 23, v11
	v_or3_b32 v16, v8, v0, v7
	v_mov_b32_e32 v17, v5
.LBB203_535:                            ;   in Loop: Header=BB203_400 Depth=1
	s_or_b64 exec, exec, s[18:19]
.LBB203_536:                            ;   in Loop: Header=BB203_400 Depth=1
	s_or_b64 exec, exec, s[16:17]
.LBB203_537:                            ;   in Loop: Header=BB203_400 Depth=1
	s_or_b64 exec, exec, s[12:13]
	v_cmp_ne_u16_sdwa s[0:1], v15, v5 src0_sel:BYTE_1 src1_sel:DWORD
	s_and_saveexec_b64 s[12:13], s[0:1]
	s_cbranch_execz .LBB203_543
; %bb.538:                              ;   in Loop: Header=BB203_400 Depth=1
	v_mov_b32_e32 v19, v6
	v_cmp_ne_u16_sdwa s[0:1], v15, s28 src0_sel:BYTE_1 src1_sel:DWORD
	v_mov_b32_e32 v18, v5
	s_and_saveexec_b64 s[16:17], s[0:1]
	s_cbranch_execz .LBB203_542
; %bb.539:                              ;   in Loop: Header=BB203_400 Depth=1
	v_and_b32_sdwa v0, v15, s29 dst_sel:DWORD dst_unused:UNUSED_PAD src0_sel:BYTE_1 src1_sel:DWORD
	v_mov_b32_e32 v11, v5
	v_mov_b32_e32 v19, v12
	v_cmp_ne_u32_e64 s[0:1], s29, v0
	v_mov_b32_e32 v18, v11
	s_and_saveexec_b64 s[18:19], s[0:1]
	s_cbranch_execz .LBB203_541
; %bb.540:                              ;   in Loop: Header=BB203_400 Depth=1
	v_mov_b32_e32 v7, 7
	v_and_b32_sdwa v7, v15, v7 dst_sel:DWORD dst_unused:UNUSED_PAD src0_sel:BYTE_1 src1_sel:DWORD
	v_lshrrev_b32_e32 v11, 3, v0
	v_cmp_gt_u32_e64 s[0:1], 8, v0
	v_ffbh_u32_e32 v0, v7
	v_min_u32_e32 v0, 32, v0
	v_mov_b32_e32 v8, v5
	v_subrev_u32_e32 v18, 28, v0
	v_lshlrev_b64 v[18:19], v18, v[7:8]
	v_sub_u32_e32 v0, 29, v0
	v_and_b32_e32 v8, 7, v18
	v_cndmask_b32_e64 v0, v11, v0, s[0:1]
	v_bfrev_b32_e32 v11, 60
	v_cndmask_b32_e64 v7, v7, v8, s[0:1]
	v_lshlrev_b32_e32 v8, 16, v15
	v_lshl_add_u32 v0, v0, 23, v11
	v_and_or_b32 v0, v8, s30, v0
	v_lshlrev_b32_e32 v7, 20, v7
	v_or_b32_e32 v19, v0, v7
	v_mov_b32_e32 v18, v5
.LBB203_541:                            ;   in Loop: Header=BB203_400 Depth=1
	s_or_b64 exec, exec, s[18:19]
.LBB203_542:                            ;   in Loop: Header=BB203_400 Depth=1
	s_or_b64 exec, exec, s[16:17]
.LBB203_543:                            ;   in Loop: Header=BB203_400 Depth=1
	s_or_b64 exec, exec, s[12:13]
	v_lshrrev_b32_e32 v11, 16, v15
	v_mov_b32_e32 v22, 0
	v_mov_b32_e32 v20, 0
	;; [unrolled: 1-line block ×4, first 2 shown]
	v_cmp_ne_u16_sdwa s[0:1], v11, v5 src0_sel:BYTE_0 src1_sel:DWORD
	s_and_saveexec_b64 s[12:13], s[0:1]
	s_cbranch_execz .LBB203_549
; %bb.544:                              ;   in Loop: Header=BB203_400 Depth=1
	v_bfrev_b32_e32 v20, 1
	v_mov_b32_e32 v21, 0
	v_cmp_ne_u16_sdwa s[0:1], v11, s28 src0_sel:BYTE_0 src1_sel:DWORD
	s_and_saveexec_b64 s[16:17], s[0:1]
	s_cbranch_execz .LBB203_548
; %bb.545:                              ;   in Loop: Header=BB203_400 Depth=1
	v_bfe_u32 v0, v15, 16, 7
	v_mov_b32_e32 v20, 0x7f800001
	v_mov_b32_e32 v21, 0
	v_cmp_ne_u32_e64 s[0:1], s29, v0
	s_and_saveexec_b64 s[18:19], s[0:1]
	s_cbranch_execz .LBB203_547
; %bb.546:                              ;   in Loop: Header=BB203_400 Depth=1
	v_and_b32_e32 v20, 7, v11
	v_lshrrev_b32_e32 v21, 3, v0
	v_cmp_gt_u32_e64 s[0:1], 8, v0
	v_ffbh_u32_e32 v0, v20
	v_min_u32_e32 v0, 32, v0
	v_subrev_u32_e32 v7, 28, v0
	v_lshlrev_b64 v[7:8], v7, v[11:12]
	v_sub_u32_e32 v0, 29, v0
	v_and_b32_e32 v7, 7, v7
	v_cndmask_b32_e64 v0, v21, v0, s[0:1]
	v_cndmask_b32_e64 v7, v20, v7, s[0:1]
	v_and_b32_sdwa v8, sext(v11), s30 dst_sel:DWORD dst_unused:UNUSED_PAD src0_sel:BYTE_0 src1_sel:DWORD
	v_bfrev_b32_e32 v11, 60
	v_lshlrev_b32_e32 v7, 20, v7
	v_lshl_add_u32 v0, v0, 23, v11
	v_or3_b32 v20, v8, v0, v7
	v_mov_b32_e32 v21, v5
.LBB203_547:                            ;   in Loop: Header=BB203_400 Depth=1
	s_or_b64 exec, exec, s[18:19]
.LBB203_548:                            ;   in Loop: Header=BB203_400 Depth=1
	s_or_b64 exec, exec, s[16:17]
.LBB203_549:                            ;   in Loop: Header=BB203_400 Depth=1
	s_or_b64 exec, exec, s[12:13]
	v_cmp_lt_u32_e64 s[0:1], s31, v15
	s_and_saveexec_b64 s[12:13], s[0:1]
	s_cbranch_execz .LBB203_555
; %bb.550:                              ;   in Loop: Header=BB203_400 Depth=1
	v_mov_b32_e32 v23, v6
	v_cmp_ne_u32_sdwa s[0:1], v15, s28 src0_sel:BYTE_3 src1_sel:DWORD
	v_mov_b32_e32 v22, v5
	s_and_saveexec_b64 s[16:17], s[0:1]
	s_cbranch_execz .LBB203_554
; %bb.551:                              ;   in Loop: Header=BB203_400 Depth=1
	v_bfe_u32 v0, v15, 24, 7
	v_mov_b32_e32 v11, v5
	v_mov_b32_e32 v23, v12
	v_cmp_ne_u32_e64 s[0:1], s29, v0
	v_mov_b32_e32 v22, v11
	s_and_saveexec_b64 s[18:19], s[0:1]
	s_cbranch_execz .LBB203_553
; %bb.552:                              ;   in Loop: Header=BB203_400 Depth=1
	v_mov_b32_e32 v7, 7
	v_and_b32_sdwa v7, v15, v7 dst_sel:DWORD dst_unused:UNUSED_PAD src0_sel:BYTE_3 src1_sel:DWORD
	v_lshrrev_b32_e32 v11, 3, v0
	v_cmp_gt_u32_e64 s[0:1], 8, v0
	v_ffbh_u32_e32 v0, v7
	v_min_u32_e32 v0, 32, v0
	v_mov_b32_e32 v8, v5
	v_subrev_u32_e32 v22, 28, v0
	v_lshlrev_b64 v[22:23], v22, v[7:8]
	v_sub_u32_e32 v0, 29, v0
	v_and_b32_e32 v8, 7, v22
	v_cndmask_b32_e64 v0, v11, v0, s[0:1]
	v_cndmask_b32_e64 v7, v7, v8, s[0:1]
	v_mov_b32_e32 v8, 24
	v_bfrev_b32_e32 v11, 60
	v_lshlrev_b32_sdwa v8, v8, v15 dst_sel:DWORD dst_unused:UNUSED_PAD src0_sel:DWORD src1_sel:BYTE_3
	v_lshl_add_u32 v0, v0, 23, v11
	v_and_or_b32 v0, v8, s30, v0
	v_lshlrev_b32_e32 v7, 20, v7
	v_or_b32_e32 v23, v0, v7
	v_mov_b32_e32 v22, v5
.LBB203_553:                            ;   in Loop: Header=BB203_400 Depth=1
	s_or_b64 exec, exec, s[18:19]
.LBB203_554:                            ;   in Loop: Header=BB203_400 Depth=1
	s_or_b64 exec, exec, s[16:17]
.LBB203_555:                            ;   in Loop: Header=BB203_400 Depth=1
	s_or_b64 exec, exec, s[12:13]
	v_or_b32_e32 v0, v19, v17
	v_or_b32_e32 v7, v18, v16
	v_mul_f32_e32 v0, s38, v0
	buffer_store_dword v0, off, s[56:59], 0 offset:168 ; 4-byte Folded Spill
	v_mul_f32_e32 v0, s37, v7
	buffer_store_dword v0, off, s[56:59], 0 offset:192 ; 4-byte Folded Spill
	v_or_b32_e32 v0, v23, v21
	v_or_b32_e32 v7, v22, v20
	v_mul_f32_e32 v7, s37, v7
	v_mul_f32_e32 v0, s38, v0
	buffer_store_dword v7, off, s[56:59], 0 offset:184 ; 4-byte Folded Spill
	buffer_store_dword v0, off, s[56:59], 0 offset:176 ; 4-byte Folded Spill
	s_and_saveexec_b64 s[12:13], vcc
	s_cbranch_execz .LBB203_557
; %bb.556:                              ;   in Loop: Header=BB203_400 Depth=1
	buffer_load_dword v0, off, s[56:59], 0 offset:192 ; 4-byte Folded Reload
	v_cmp_gt_i32_e64 s[0:1], s33, v39
	s_waitcnt vmcnt(0)
	v_cndmask_b32_e64 v0, 0, v0, s[0:1]
	buffer_store_dword v0, off, s[56:59], 0 offset:192 ; 4-byte Folded Spill
	buffer_load_dword v0, off, s[56:59], 0 offset:168 ; 4-byte Folded Reload
	v_cmp_gt_i32_e64 s[0:1], s33, v56
	s_waitcnt vmcnt(0)
	v_cndmask_b32_e64 v0, 0, v0, s[0:1]
	buffer_store_dword v0, off, s[56:59], 0 offset:168 ; 4-byte Folded Spill
	;; [unrolled: 5-line block ×4, first 2 shown]
.LBB203_557:                            ;   in Loop: Header=BB203_400 Depth=1
	s_or_b64 exec, exec, s[12:13]
	global_load_dword v15, v[13:14], off offset:1536
	v_mov_b32_e32 v18, 0
	v_mov_b32_e32 v16, 0
	;; [unrolled: 1-line block ×4, first 2 shown]
	s_waitcnt vmcnt(0)
	v_cmp_ne_u16_sdwa s[0:1], v15, v5 src0_sel:BYTE_0 src1_sel:DWORD
	s_and_saveexec_b64 s[12:13], s[0:1]
	s_cbranch_execz .LBB203_563
; %bb.558:                              ;   in Loop: Header=BB203_400 Depth=1
	v_bfrev_b32_e32 v16, 1
	v_mov_b32_e32 v17, 0
	v_cmp_ne_u16_sdwa s[0:1], v15, s28 src0_sel:BYTE_0 src1_sel:DWORD
	s_and_saveexec_b64 s[16:17], s[0:1]
	s_cbranch_execz .LBB203_562
; %bb.559:                              ;   in Loop: Header=BB203_400 Depth=1
	v_and_b32_e32 v0, 0x7f, v15
	v_mov_b32_e32 v16, 0x7f800001
	v_mov_b32_e32 v17, 0
	v_cmp_ne_u32_e64 s[0:1], s29, v0
	s_and_saveexec_b64 s[18:19], s[0:1]
	s_cbranch_execz .LBB203_561
; %bb.560:                              ;   in Loop: Header=BB203_400 Depth=1
	v_and_b32_e32 v11, 7, v15
	v_lshrrev_b32_e32 v16, 3, v0
	v_cmp_gt_u32_e64 s[0:1], 8, v0
	v_ffbh_u32_e32 v0, v11
	v_min_u32_e32 v0, 32, v0
	v_subrev_u32_e32 v7, 28, v0
	v_lshlrev_b64 v[7:8], v7, v[15:16]
	v_sub_u32_e32 v0, 29, v0
	v_and_b32_e32 v7, 7, v7
	v_cndmask_b32_e64 v0, v16, v0, s[0:1]
	v_cndmask_b32_e64 v7, v11, v7, s[0:1]
	v_bfrev_b32_e32 v11, 60
	v_lshlrev_b32_e32 v7, 20, v7
	v_and_b32_sdwa v8, sext(v15), s30 dst_sel:DWORD dst_unused:UNUSED_PAD src0_sel:BYTE_0 src1_sel:DWORD
	v_lshl_add_u32 v0, v0, 23, v11
	v_or3_b32 v16, v8, v0, v7
	v_mov_b32_e32 v17, v5
.LBB203_561:                            ;   in Loop: Header=BB203_400 Depth=1
	s_or_b64 exec, exec, s[18:19]
.LBB203_562:                            ;   in Loop: Header=BB203_400 Depth=1
	s_or_b64 exec, exec, s[16:17]
.LBB203_563:                            ;   in Loop: Header=BB203_400 Depth=1
	s_or_b64 exec, exec, s[12:13]
	v_cmp_ne_u16_sdwa s[0:1], v15, v5 src0_sel:BYTE_1 src1_sel:DWORD
	s_and_saveexec_b64 s[12:13], s[0:1]
	s_cbranch_execz .LBB203_569
; %bb.564:                              ;   in Loop: Header=BB203_400 Depth=1
	v_mov_b32_e32 v19, v6
	v_cmp_ne_u16_sdwa s[0:1], v15, s28 src0_sel:BYTE_1 src1_sel:DWORD
	v_mov_b32_e32 v18, v5
	s_and_saveexec_b64 s[16:17], s[0:1]
	s_cbranch_execz .LBB203_568
; %bb.565:                              ;   in Loop: Header=BB203_400 Depth=1
	v_and_b32_sdwa v0, v15, s29 dst_sel:DWORD dst_unused:UNUSED_PAD src0_sel:BYTE_1 src1_sel:DWORD
	v_mov_b32_e32 v11, v5
	v_mov_b32_e32 v19, v12
	v_cmp_ne_u32_e64 s[0:1], s29, v0
	v_mov_b32_e32 v18, v11
	s_and_saveexec_b64 s[18:19], s[0:1]
	s_cbranch_execz .LBB203_567
; %bb.566:                              ;   in Loop: Header=BB203_400 Depth=1
	v_mov_b32_e32 v7, 7
	v_and_b32_sdwa v7, v15, v7 dst_sel:DWORD dst_unused:UNUSED_PAD src0_sel:BYTE_1 src1_sel:DWORD
	v_lshrrev_b32_e32 v11, 3, v0
	v_cmp_gt_u32_e64 s[0:1], 8, v0
	v_ffbh_u32_e32 v0, v7
	v_min_u32_e32 v0, 32, v0
	v_mov_b32_e32 v8, v5
	v_subrev_u32_e32 v18, 28, v0
	v_lshlrev_b64 v[18:19], v18, v[7:8]
	v_sub_u32_e32 v0, 29, v0
	v_and_b32_e32 v8, 7, v18
	v_cndmask_b32_e64 v0, v11, v0, s[0:1]
	v_bfrev_b32_e32 v11, 60
	v_cndmask_b32_e64 v7, v7, v8, s[0:1]
	v_lshlrev_b32_e32 v8, 16, v15
	v_lshl_add_u32 v0, v0, 23, v11
	v_and_or_b32 v0, v8, s30, v0
	v_lshlrev_b32_e32 v7, 20, v7
	v_or_b32_e32 v19, v0, v7
	v_mov_b32_e32 v18, v5
.LBB203_567:                            ;   in Loop: Header=BB203_400 Depth=1
	s_or_b64 exec, exec, s[18:19]
.LBB203_568:                            ;   in Loop: Header=BB203_400 Depth=1
	s_or_b64 exec, exec, s[16:17]
.LBB203_569:                            ;   in Loop: Header=BB203_400 Depth=1
	s_or_b64 exec, exec, s[12:13]
	v_lshrrev_b32_e32 v11, 16, v15
	v_mov_b32_e32 v22, 0
	v_mov_b32_e32 v20, 0
	;; [unrolled: 1-line block ×4, first 2 shown]
	v_cmp_ne_u16_sdwa s[0:1], v11, v5 src0_sel:BYTE_0 src1_sel:DWORD
	s_and_saveexec_b64 s[12:13], s[0:1]
	s_cbranch_execz .LBB203_575
; %bb.570:                              ;   in Loop: Header=BB203_400 Depth=1
	v_bfrev_b32_e32 v20, 1
	v_mov_b32_e32 v21, 0
	v_cmp_ne_u16_sdwa s[0:1], v11, s28 src0_sel:BYTE_0 src1_sel:DWORD
	s_and_saveexec_b64 s[16:17], s[0:1]
	s_cbranch_execz .LBB203_574
; %bb.571:                              ;   in Loop: Header=BB203_400 Depth=1
	v_bfe_u32 v0, v15, 16, 7
	v_mov_b32_e32 v20, 0x7f800001
	v_mov_b32_e32 v21, 0
	v_cmp_ne_u32_e64 s[0:1], s29, v0
	s_and_saveexec_b64 s[18:19], s[0:1]
	s_cbranch_execz .LBB203_573
; %bb.572:                              ;   in Loop: Header=BB203_400 Depth=1
	v_and_b32_e32 v20, 7, v11
	v_lshrrev_b32_e32 v21, 3, v0
	v_cmp_gt_u32_e64 s[0:1], 8, v0
	v_ffbh_u32_e32 v0, v20
	v_min_u32_e32 v0, 32, v0
	v_subrev_u32_e32 v7, 28, v0
	v_lshlrev_b64 v[7:8], v7, v[11:12]
	v_sub_u32_e32 v0, 29, v0
	v_and_b32_e32 v7, 7, v7
	v_cndmask_b32_e64 v0, v21, v0, s[0:1]
	v_cndmask_b32_e64 v7, v20, v7, s[0:1]
	v_and_b32_sdwa v8, sext(v11), s30 dst_sel:DWORD dst_unused:UNUSED_PAD src0_sel:BYTE_0 src1_sel:DWORD
	v_bfrev_b32_e32 v11, 60
	v_lshlrev_b32_e32 v7, 20, v7
	v_lshl_add_u32 v0, v0, 23, v11
	v_or3_b32 v20, v8, v0, v7
	v_mov_b32_e32 v21, v5
.LBB203_573:                            ;   in Loop: Header=BB203_400 Depth=1
	s_or_b64 exec, exec, s[18:19]
.LBB203_574:                            ;   in Loop: Header=BB203_400 Depth=1
	s_or_b64 exec, exec, s[16:17]
.LBB203_575:                            ;   in Loop: Header=BB203_400 Depth=1
	s_or_b64 exec, exec, s[12:13]
	v_cmp_lt_u32_e64 s[0:1], s31, v15
	s_and_saveexec_b64 s[12:13], s[0:1]
	s_cbranch_execz .LBB203_581
; %bb.576:                              ;   in Loop: Header=BB203_400 Depth=1
	v_mov_b32_e32 v23, v6
	v_cmp_ne_u32_sdwa s[0:1], v15, s28 src0_sel:BYTE_3 src1_sel:DWORD
	v_mov_b32_e32 v22, v5
	s_and_saveexec_b64 s[16:17], s[0:1]
	s_cbranch_execz .LBB203_580
; %bb.577:                              ;   in Loop: Header=BB203_400 Depth=1
	v_bfe_u32 v0, v15, 24, 7
	v_mov_b32_e32 v11, v5
	v_mov_b32_e32 v23, v12
	v_cmp_ne_u32_e64 s[0:1], s29, v0
	v_mov_b32_e32 v22, v11
	s_and_saveexec_b64 s[18:19], s[0:1]
	s_cbranch_execz .LBB203_579
; %bb.578:                              ;   in Loop: Header=BB203_400 Depth=1
	v_mov_b32_e32 v7, 7
	v_and_b32_sdwa v7, v15, v7 dst_sel:DWORD dst_unused:UNUSED_PAD src0_sel:BYTE_3 src1_sel:DWORD
	v_lshrrev_b32_e32 v11, 3, v0
	v_cmp_gt_u32_e64 s[0:1], 8, v0
	v_ffbh_u32_e32 v0, v7
	v_min_u32_e32 v0, 32, v0
	v_mov_b32_e32 v8, v5
	v_subrev_u32_e32 v22, 28, v0
	v_lshlrev_b64 v[22:23], v22, v[7:8]
	v_sub_u32_e32 v0, 29, v0
	v_and_b32_e32 v8, 7, v22
	v_cndmask_b32_e64 v0, v11, v0, s[0:1]
	v_cndmask_b32_e64 v7, v7, v8, s[0:1]
	v_mov_b32_e32 v8, 24
	v_bfrev_b32_e32 v11, 60
	v_lshlrev_b32_sdwa v8, v8, v15 dst_sel:DWORD dst_unused:UNUSED_PAD src0_sel:DWORD src1_sel:BYTE_3
	v_lshl_add_u32 v0, v0, 23, v11
	v_and_or_b32 v0, v8, s30, v0
	v_lshlrev_b32_e32 v7, 20, v7
	v_or_b32_e32 v23, v0, v7
	v_mov_b32_e32 v22, v5
.LBB203_579:                            ;   in Loop: Header=BB203_400 Depth=1
	s_or_b64 exec, exec, s[18:19]
.LBB203_580:                            ;   in Loop: Header=BB203_400 Depth=1
	s_or_b64 exec, exec, s[16:17]
.LBB203_581:                            ;   in Loop: Header=BB203_400 Depth=1
	s_or_b64 exec, exec, s[12:13]
	v_or_b32_e32 v0, v19, v17
	v_or_b32_e32 v7, v18, v16
	v_mul_f32_e32 v0, s38, v0
	buffer_store_dword v0, off, s[56:59], 0 offset:200 ; 4-byte Folded Spill
	v_mul_f32_e32 v0, s37, v7
	buffer_store_dword v0, off, s[56:59], 0 offset:224 ; 4-byte Folded Spill
	v_or_b32_e32 v0, v23, v21
	v_or_b32_e32 v7, v22, v20
	v_mul_f32_e32 v7, s37, v7
	v_mul_f32_e32 v0, s38, v0
	buffer_store_dword v7, off, s[56:59], 0 offset:216 ; 4-byte Folded Spill
	buffer_store_dword v0, off, s[56:59], 0 offset:208 ; 4-byte Folded Spill
	s_and_saveexec_b64 s[12:13], vcc
	s_cbranch_execz .LBB203_583
; %bb.582:                              ;   in Loop: Header=BB203_400 Depth=1
	buffer_load_dword v0, off, s[56:59], 0 offset:224 ; 4-byte Folded Reload
	v_cmp_gt_i32_e64 s[0:1], s33, v39
	s_waitcnt vmcnt(0)
	v_cndmask_b32_e64 v0, 0, v0, s[0:1]
	buffer_store_dword v0, off, s[56:59], 0 offset:224 ; 4-byte Folded Spill
	buffer_load_dword v0, off, s[56:59], 0 offset:200 ; 4-byte Folded Reload
	v_cmp_gt_i32_e64 s[0:1], s33, v56
	s_waitcnt vmcnt(0)
	v_cndmask_b32_e64 v0, 0, v0, s[0:1]
	buffer_store_dword v0, off, s[56:59], 0 offset:200 ; 4-byte Folded Spill
	;; [unrolled: 5-line block ×4, first 2 shown]
.LBB203_583:                            ;   in Loop: Header=BB203_400 Depth=1
	s_or_b64 exec, exec, s[12:13]
	global_load_dword v15, v[13:14], off offset:1792
	v_mov_b32_e32 v18, 0
	v_mov_b32_e32 v16, 0
	v_mov_b32_e32 v19, 0
	v_mov_b32_e32 v17, 0
	s_waitcnt vmcnt(0)
	v_cmp_ne_u16_sdwa s[0:1], v15, v5 src0_sel:BYTE_0 src1_sel:DWORD
	s_and_saveexec_b64 s[12:13], s[0:1]
	s_cbranch_execz .LBB203_589
; %bb.584:                              ;   in Loop: Header=BB203_400 Depth=1
	v_bfrev_b32_e32 v16, 1
	v_mov_b32_e32 v17, 0
	v_cmp_ne_u16_sdwa s[0:1], v15, s28 src0_sel:BYTE_0 src1_sel:DWORD
	s_and_saveexec_b64 s[16:17], s[0:1]
	s_cbranch_execz .LBB203_588
; %bb.585:                              ;   in Loop: Header=BB203_400 Depth=1
	v_and_b32_e32 v0, 0x7f, v15
	v_mov_b32_e32 v16, 0x7f800001
	v_mov_b32_e32 v17, 0
	v_cmp_ne_u32_e64 s[0:1], s29, v0
	s_and_saveexec_b64 s[18:19], s[0:1]
	s_cbranch_execz .LBB203_587
; %bb.586:                              ;   in Loop: Header=BB203_400 Depth=1
	v_and_b32_e32 v11, 7, v15
	v_lshrrev_b32_e32 v16, 3, v0
	v_cmp_gt_u32_e64 s[0:1], 8, v0
	v_ffbh_u32_e32 v0, v11
	v_min_u32_e32 v0, 32, v0
	v_subrev_u32_e32 v7, 28, v0
	v_lshlrev_b64 v[7:8], v7, v[15:16]
	v_sub_u32_e32 v0, 29, v0
	v_and_b32_e32 v7, 7, v7
	v_cndmask_b32_e64 v0, v16, v0, s[0:1]
	v_cndmask_b32_e64 v7, v11, v7, s[0:1]
	v_bfrev_b32_e32 v11, 60
	v_lshlrev_b32_e32 v7, 20, v7
	v_and_b32_sdwa v8, sext(v15), s30 dst_sel:DWORD dst_unused:UNUSED_PAD src0_sel:BYTE_0 src1_sel:DWORD
	v_lshl_add_u32 v0, v0, 23, v11
	v_or3_b32 v16, v8, v0, v7
	v_mov_b32_e32 v17, v5
.LBB203_587:                            ;   in Loop: Header=BB203_400 Depth=1
	s_or_b64 exec, exec, s[18:19]
.LBB203_588:                            ;   in Loop: Header=BB203_400 Depth=1
	s_or_b64 exec, exec, s[16:17]
.LBB203_589:                            ;   in Loop: Header=BB203_400 Depth=1
	s_or_b64 exec, exec, s[12:13]
	v_cmp_ne_u16_sdwa s[0:1], v15, v5 src0_sel:BYTE_1 src1_sel:DWORD
	s_and_saveexec_b64 s[12:13], s[0:1]
	s_cbranch_execz .LBB203_595
; %bb.590:                              ;   in Loop: Header=BB203_400 Depth=1
	v_mov_b32_e32 v19, v6
	v_cmp_ne_u16_sdwa s[0:1], v15, s28 src0_sel:BYTE_1 src1_sel:DWORD
	v_mov_b32_e32 v18, v5
	s_and_saveexec_b64 s[16:17], s[0:1]
	s_cbranch_execz .LBB203_594
; %bb.591:                              ;   in Loop: Header=BB203_400 Depth=1
	v_and_b32_sdwa v0, v15, s29 dst_sel:DWORD dst_unused:UNUSED_PAD src0_sel:BYTE_1 src1_sel:DWORD
	v_mov_b32_e32 v11, v5
	v_mov_b32_e32 v19, v12
	v_cmp_ne_u32_e64 s[0:1], s29, v0
	v_mov_b32_e32 v18, v11
	s_and_saveexec_b64 s[18:19], s[0:1]
	s_cbranch_execz .LBB203_593
; %bb.592:                              ;   in Loop: Header=BB203_400 Depth=1
	v_mov_b32_e32 v7, 7
	v_and_b32_sdwa v7, v15, v7 dst_sel:DWORD dst_unused:UNUSED_PAD src0_sel:BYTE_1 src1_sel:DWORD
	v_lshrrev_b32_e32 v11, 3, v0
	v_cmp_gt_u32_e64 s[0:1], 8, v0
	v_ffbh_u32_e32 v0, v7
	v_min_u32_e32 v0, 32, v0
	v_mov_b32_e32 v8, v5
	v_subrev_u32_e32 v18, 28, v0
	v_lshlrev_b64 v[18:19], v18, v[7:8]
	v_sub_u32_e32 v0, 29, v0
	v_and_b32_e32 v8, 7, v18
	v_cndmask_b32_e64 v0, v11, v0, s[0:1]
	v_bfrev_b32_e32 v11, 60
	v_cndmask_b32_e64 v7, v7, v8, s[0:1]
	v_lshlrev_b32_e32 v8, 16, v15
	v_lshl_add_u32 v0, v0, 23, v11
	v_and_or_b32 v0, v8, s30, v0
	v_lshlrev_b32_e32 v7, 20, v7
	v_or_b32_e32 v19, v0, v7
	v_mov_b32_e32 v18, v5
.LBB203_593:                            ;   in Loop: Header=BB203_400 Depth=1
	s_or_b64 exec, exec, s[18:19]
.LBB203_594:                            ;   in Loop: Header=BB203_400 Depth=1
	s_or_b64 exec, exec, s[16:17]
.LBB203_595:                            ;   in Loop: Header=BB203_400 Depth=1
	s_or_b64 exec, exec, s[12:13]
	v_lshrrev_b32_e32 v11, 16, v15
	v_mov_b32_e32 v22, 0
	v_mov_b32_e32 v20, 0
	;; [unrolled: 1-line block ×4, first 2 shown]
	v_cmp_ne_u16_sdwa s[0:1], v11, v5 src0_sel:BYTE_0 src1_sel:DWORD
	s_and_saveexec_b64 s[12:13], s[0:1]
	s_cbranch_execz .LBB203_601
; %bb.596:                              ;   in Loop: Header=BB203_400 Depth=1
	v_bfrev_b32_e32 v20, 1
	v_mov_b32_e32 v21, 0
	v_cmp_ne_u16_sdwa s[0:1], v11, s28 src0_sel:BYTE_0 src1_sel:DWORD
	s_and_saveexec_b64 s[16:17], s[0:1]
	s_cbranch_execz .LBB203_600
; %bb.597:                              ;   in Loop: Header=BB203_400 Depth=1
	v_bfe_u32 v0, v15, 16, 7
	v_mov_b32_e32 v20, 0x7f800001
	v_mov_b32_e32 v21, 0
	v_cmp_ne_u32_e64 s[0:1], s29, v0
	s_and_saveexec_b64 s[18:19], s[0:1]
	s_cbranch_execz .LBB203_599
; %bb.598:                              ;   in Loop: Header=BB203_400 Depth=1
	v_and_b32_e32 v20, 7, v11
	v_lshrrev_b32_e32 v21, 3, v0
	v_cmp_gt_u32_e64 s[0:1], 8, v0
	v_ffbh_u32_e32 v0, v20
	v_min_u32_e32 v0, 32, v0
	v_subrev_u32_e32 v7, 28, v0
	v_lshlrev_b64 v[7:8], v7, v[11:12]
	v_sub_u32_e32 v0, 29, v0
	v_and_b32_e32 v7, 7, v7
	v_cndmask_b32_e64 v0, v21, v0, s[0:1]
	v_cndmask_b32_e64 v7, v20, v7, s[0:1]
	v_and_b32_sdwa v8, sext(v11), s30 dst_sel:DWORD dst_unused:UNUSED_PAD src0_sel:BYTE_0 src1_sel:DWORD
	v_bfrev_b32_e32 v11, 60
	v_lshlrev_b32_e32 v7, 20, v7
	v_lshl_add_u32 v0, v0, 23, v11
	v_or3_b32 v20, v8, v0, v7
	v_mov_b32_e32 v21, v5
.LBB203_599:                            ;   in Loop: Header=BB203_400 Depth=1
	s_or_b64 exec, exec, s[18:19]
.LBB203_600:                            ;   in Loop: Header=BB203_400 Depth=1
	s_or_b64 exec, exec, s[16:17]
.LBB203_601:                            ;   in Loop: Header=BB203_400 Depth=1
	s_or_b64 exec, exec, s[12:13]
	v_cmp_lt_u32_e64 s[0:1], s31, v15
	s_and_saveexec_b64 s[12:13], s[0:1]
	s_cbranch_execz .LBB203_607
; %bb.602:                              ;   in Loop: Header=BB203_400 Depth=1
	v_mov_b32_e32 v23, v6
	v_cmp_ne_u32_sdwa s[0:1], v15, s28 src0_sel:BYTE_3 src1_sel:DWORD
	v_mov_b32_e32 v22, v5
	s_and_saveexec_b64 s[16:17], s[0:1]
	s_cbranch_execz .LBB203_606
; %bb.603:                              ;   in Loop: Header=BB203_400 Depth=1
	v_bfe_u32 v0, v15, 24, 7
	v_mov_b32_e32 v11, v5
	v_mov_b32_e32 v23, v12
	v_cmp_ne_u32_e64 s[0:1], s29, v0
	v_mov_b32_e32 v22, v11
	s_and_saveexec_b64 s[18:19], s[0:1]
	s_cbranch_execz .LBB203_605
; %bb.604:                              ;   in Loop: Header=BB203_400 Depth=1
	v_mov_b32_e32 v7, 7
	v_and_b32_sdwa v7, v15, v7 dst_sel:DWORD dst_unused:UNUSED_PAD src0_sel:BYTE_3 src1_sel:DWORD
	v_lshrrev_b32_e32 v11, 3, v0
	v_cmp_gt_u32_e64 s[0:1], 8, v0
	v_ffbh_u32_e32 v0, v7
	v_min_u32_e32 v0, 32, v0
	v_mov_b32_e32 v8, v5
	v_subrev_u32_e32 v22, 28, v0
	v_lshlrev_b64 v[22:23], v22, v[7:8]
	v_sub_u32_e32 v0, 29, v0
	v_and_b32_e32 v8, 7, v22
	v_cndmask_b32_e64 v0, v11, v0, s[0:1]
	v_cndmask_b32_e64 v7, v7, v8, s[0:1]
	v_mov_b32_e32 v8, 24
	v_bfrev_b32_e32 v11, 60
	v_lshlrev_b32_sdwa v8, v8, v15 dst_sel:DWORD dst_unused:UNUSED_PAD src0_sel:DWORD src1_sel:BYTE_3
	v_lshl_add_u32 v0, v0, 23, v11
	v_and_or_b32 v0, v8, s30, v0
	v_lshlrev_b32_e32 v7, 20, v7
	v_or_b32_e32 v23, v0, v7
	v_mov_b32_e32 v22, v5
.LBB203_605:                            ;   in Loop: Header=BB203_400 Depth=1
	s_or_b64 exec, exec, s[18:19]
.LBB203_606:                            ;   in Loop: Header=BB203_400 Depth=1
	s_or_b64 exec, exec, s[16:17]
.LBB203_607:                            ;   in Loop: Header=BB203_400 Depth=1
	s_or_b64 exec, exec, s[12:13]
	v_or_b32_e32 v0, v19, v17
	v_or_b32_e32 v7, v18, v16
	v_mul_f32_e32 v0, s38, v0
	buffer_store_dword v0, off, s[56:59], 0 offset:232 ; 4-byte Folded Spill
	v_mul_f32_e32 v0, s37, v7
	buffer_store_dword v0, off, s[56:59], 0 offset:256 ; 4-byte Folded Spill
	v_or_b32_e32 v0, v23, v21
	v_or_b32_e32 v7, v22, v20
	v_mul_f32_e32 v7, s37, v7
	v_mul_f32_e32 v0, s38, v0
	buffer_store_dword v7, off, s[56:59], 0 offset:248 ; 4-byte Folded Spill
	buffer_store_dword v0, off, s[56:59], 0 offset:240 ; 4-byte Folded Spill
	s_and_saveexec_b64 s[12:13], vcc
	s_cbranch_execz .LBB203_609
; %bb.608:                              ;   in Loop: Header=BB203_400 Depth=1
	buffer_load_dword v0, off, s[56:59], 0 offset:256 ; 4-byte Folded Reload
	v_cmp_gt_i32_e64 s[0:1], s33, v39
	s_waitcnt vmcnt(0)
	v_cndmask_b32_e64 v0, 0, v0, s[0:1]
	buffer_store_dword v0, off, s[56:59], 0 offset:256 ; 4-byte Folded Spill
	buffer_load_dword v0, off, s[56:59], 0 offset:232 ; 4-byte Folded Reload
	v_cmp_gt_i32_e64 s[0:1], s33, v56
	s_waitcnt vmcnt(0)
	v_cndmask_b32_e64 v0, 0, v0, s[0:1]
	buffer_store_dword v0, off, s[56:59], 0 offset:232 ; 4-byte Folded Spill
	;; [unrolled: 5-line block ×4, first 2 shown]
.LBB203_609:                            ;   in Loop: Header=BB203_400 Depth=1
	s_or_b64 exec, exec, s[12:13]
	global_load_dword v15, v[13:14], off offset:2048
	v_mov_b32_e32 v18, 0
	v_mov_b32_e32 v16, 0
	;; [unrolled: 1-line block ×4, first 2 shown]
	s_waitcnt vmcnt(0)
	v_cmp_ne_u16_sdwa s[0:1], v15, v5 src0_sel:BYTE_0 src1_sel:DWORD
	s_and_saveexec_b64 s[12:13], s[0:1]
	s_cbranch_execz .LBB203_615
; %bb.610:                              ;   in Loop: Header=BB203_400 Depth=1
	v_bfrev_b32_e32 v16, 1
	v_mov_b32_e32 v17, 0
	v_cmp_ne_u16_sdwa s[0:1], v15, s28 src0_sel:BYTE_0 src1_sel:DWORD
	s_and_saveexec_b64 s[16:17], s[0:1]
	s_cbranch_execz .LBB203_614
; %bb.611:                              ;   in Loop: Header=BB203_400 Depth=1
	v_and_b32_e32 v0, 0x7f, v15
	v_mov_b32_e32 v16, 0x7f800001
	v_mov_b32_e32 v17, 0
	v_cmp_ne_u32_e64 s[0:1], s29, v0
	s_and_saveexec_b64 s[18:19], s[0:1]
	s_cbranch_execz .LBB203_613
; %bb.612:                              ;   in Loop: Header=BB203_400 Depth=1
	v_and_b32_e32 v11, 7, v15
	v_lshrrev_b32_e32 v16, 3, v0
	v_cmp_gt_u32_e64 s[0:1], 8, v0
	v_ffbh_u32_e32 v0, v11
	v_min_u32_e32 v0, 32, v0
	v_subrev_u32_e32 v7, 28, v0
	v_lshlrev_b64 v[7:8], v7, v[15:16]
	v_sub_u32_e32 v0, 29, v0
	v_and_b32_e32 v7, 7, v7
	v_cndmask_b32_e64 v0, v16, v0, s[0:1]
	v_cndmask_b32_e64 v7, v11, v7, s[0:1]
	v_bfrev_b32_e32 v11, 60
	v_lshlrev_b32_e32 v7, 20, v7
	v_and_b32_sdwa v8, sext(v15), s30 dst_sel:DWORD dst_unused:UNUSED_PAD src0_sel:BYTE_0 src1_sel:DWORD
	v_lshl_add_u32 v0, v0, 23, v11
	v_or3_b32 v16, v8, v0, v7
	v_mov_b32_e32 v17, v5
.LBB203_613:                            ;   in Loop: Header=BB203_400 Depth=1
	s_or_b64 exec, exec, s[18:19]
.LBB203_614:                            ;   in Loop: Header=BB203_400 Depth=1
	s_or_b64 exec, exec, s[16:17]
.LBB203_615:                            ;   in Loop: Header=BB203_400 Depth=1
	s_or_b64 exec, exec, s[12:13]
	v_cmp_ne_u16_sdwa s[0:1], v15, v5 src0_sel:BYTE_1 src1_sel:DWORD
	s_and_saveexec_b64 s[12:13], s[0:1]
	s_cbranch_execz .LBB203_621
; %bb.616:                              ;   in Loop: Header=BB203_400 Depth=1
	v_mov_b32_e32 v19, v6
	v_cmp_ne_u16_sdwa s[0:1], v15, s28 src0_sel:BYTE_1 src1_sel:DWORD
	v_mov_b32_e32 v18, v5
	s_and_saveexec_b64 s[16:17], s[0:1]
	s_cbranch_execz .LBB203_620
; %bb.617:                              ;   in Loop: Header=BB203_400 Depth=1
	v_and_b32_sdwa v0, v15, s29 dst_sel:DWORD dst_unused:UNUSED_PAD src0_sel:BYTE_1 src1_sel:DWORD
	v_mov_b32_e32 v11, v5
	v_mov_b32_e32 v19, v12
	v_cmp_ne_u32_e64 s[0:1], s29, v0
	v_mov_b32_e32 v18, v11
	s_and_saveexec_b64 s[18:19], s[0:1]
	s_cbranch_execz .LBB203_619
; %bb.618:                              ;   in Loop: Header=BB203_400 Depth=1
	v_mov_b32_e32 v7, 7
	v_and_b32_sdwa v7, v15, v7 dst_sel:DWORD dst_unused:UNUSED_PAD src0_sel:BYTE_1 src1_sel:DWORD
	v_lshrrev_b32_e32 v11, 3, v0
	v_cmp_gt_u32_e64 s[0:1], 8, v0
	v_ffbh_u32_e32 v0, v7
	v_min_u32_e32 v0, 32, v0
	v_mov_b32_e32 v8, v5
	v_subrev_u32_e32 v18, 28, v0
	v_lshlrev_b64 v[18:19], v18, v[7:8]
	v_sub_u32_e32 v0, 29, v0
	v_and_b32_e32 v8, 7, v18
	v_cndmask_b32_e64 v0, v11, v0, s[0:1]
	v_bfrev_b32_e32 v11, 60
	v_cndmask_b32_e64 v7, v7, v8, s[0:1]
	v_lshlrev_b32_e32 v8, 16, v15
	v_lshl_add_u32 v0, v0, 23, v11
	v_and_or_b32 v0, v8, s30, v0
	v_lshlrev_b32_e32 v7, 20, v7
	v_or_b32_e32 v19, v0, v7
	v_mov_b32_e32 v18, v5
.LBB203_619:                            ;   in Loop: Header=BB203_400 Depth=1
	s_or_b64 exec, exec, s[18:19]
.LBB203_620:                            ;   in Loop: Header=BB203_400 Depth=1
	s_or_b64 exec, exec, s[16:17]
.LBB203_621:                            ;   in Loop: Header=BB203_400 Depth=1
	s_or_b64 exec, exec, s[12:13]
	v_lshrrev_b32_e32 v11, 16, v15
	v_mov_b32_e32 v22, 0
	v_mov_b32_e32 v20, 0
	;; [unrolled: 1-line block ×4, first 2 shown]
	v_cmp_ne_u16_sdwa s[0:1], v11, v5 src0_sel:BYTE_0 src1_sel:DWORD
	s_and_saveexec_b64 s[12:13], s[0:1]
	s_cbranch_execz .LBB203_627
; %bb.622:                              ;   in Loop: Header=BB203_400 Depth=1
	v_bfrev_b32_e32 v20, 1
	v_mov_b32_e32 v21, 0
	v_cmp_ne_u16_sdwa s[0:1], v11, s28 src0_sel:BYTE_0 src1_sel:DWORD
	s_and_saveexec_b64 s[16:17], s[0:1]
	s_cbranch_execz .LBB203_626
; %bb.623:                              ;   in Loop: Header=BB203_400 Depth=1
	v_bfe_u32 v0, v15, 16, 7
	v_mov_b32_e32 v20, 0x7f800001
	v_mov_b32_e32 v21, 0
	v_cmp_ne_u32_e64 s[0:1], s29, v0
	s_and_saveexec_b64 s[18:19], s[0:1]
	s_cbranch_execz .LBB203_625
; %bb.624:                              ;   in Loop: Header=BB203_400 Depth=1
	v_and_b32_e32 v20, 7, v11
	v_lshrrev_b32_e32 v21, 3, v0
	v_cmp_gt_u32_e64 s[0:1], 8, v0
	v_ffbh_u32_e32 v0, v20
	v_min_u32_e32 v0, 32, v0
	v_subrev_u32_e32 v7, 28, v0
	v_lshlrev_b64 v[7:8], v7, v[11:12]
	v_sub_u32_e32 v0, 29, v0
	v_and_b32_e32 v7, 7, v7
	v_cndmask_b32_e64 v0, v21, v0, s[0:1]
	v_cndmask_b32_e64 v7, v20, v7, s[0:1]
	v_and_b32_sdwa v8, sext(v11), s30 dst_sel:DWORD dst_unused:UNUSED_PAD src0_sel:BYTE_0 src1_sel:DWORD
	v_bfrev_b32_e32 v11, 60
	v_lshlrev_b32_e32 v7, 20, v7
	v_lshl_add_u32 v0, v0, 23, v11
	v_or3_b32 v20, v8, v0, v7
	v_mov_b32_e32 v21, v5
.LBB203_625:                            ;   in Loop: Header=BB203_400 Depth=1
	s_or_b64 exec, exec, s[18:19]
.LBB203_626:                            ;   in Loop: Header=BB203_400 Depth=1
	s_or_b64 exec, exec, s[16:17]
.LBB203_627:                            ;   in Loop: Header=BB203_400 Depth=1
	s_or_b64 exec, exec, s[12:13]
	v_cmp_lt_u32_e64 s[0:1], s31, v15
	s_and_saveexec_b64 s[12:13], s[0:1]
	s_cbranch_execz .LBB203_633
; %bb.628:                              ;   in Loop: Header=BB203_400 Depth=1
	v_mov_b32_e32 v23, v6
	v_cmp_ne_u32_sdwa s[0:1], v15, s28 src0_sel:BYTE_3 src1_sel:DWORD
	v_mov_b32_e32 v22, v5
	s_and_saveexec_b64 s[16:17], s[0:1]
	s_cbranch_execz .LBB203_632
; %bb.629:                              ;   in Loop: Header=BB203_400 Depth=1
	v_bfe_u32 v0, v15, 24, 7
	v_mov_b32_e32 v11, v5
	v_mov_b32_e32 v23, v12
	v_cmp_ne_u32_e64 s[0:1], s29, v0
	v_mov_b32_e32 v22, v11
	s_and_saveexec_b64 s[18:19], s[0:1]
	s_cbranch_execz .LBB203_631
; %bb.630:                              ;   in Loop: Header=BB203_400 Depth=1
	v_mov_b32_e32 v7, 7
	v_and_b32_sdwa v7, v15, v7 dst_sel:DWORD dst_unused:UNUSED_PAD src0_sel:BYTE_3 src1_sel:DWORD
	v_lshrrev_b32_e32 v11, 3, v0
	v_cmp_gt_u32_e64 s[0:1], 8, v0
	v_ffbh_u32_e32 v0, v7
	v_min_u32_e32 v0, 32, v0
	v_mov_b32_e32 v8, v5
	v_subrev_u32_e32 v22, 28, v0
	v_lshlrev_b64 v[22:23], v22, v[7:8]
	v_sub_u32_e32 v0, 29, v0
	v_and_b32_e32 v8, 7, v22
	v_cndmask_b32_e64 v0, v11, v0, s[0:1]
	v_cndmask_b32_e64 v7, v7, v8, s[0:1]
	v_mov_b32_e32 v8, 24
	v_bfrev_b32_e32 v11, 60
	v_lshlrev_b32_sdwa v8, v8, v15 dst_sel:DWORD dst_unused:UNUSED_PAD src0_sel:DWORD src1_sel:BYTE_3
	v_lshl_add_u32 v0, v0, 23, v11
	v_and_or_b32 v0, v8, s30, v0
	v_lshlrev_b32_e32 v7, 20, v7
	v_or_b32_e32 v23, v0, v7
	v_mov_b32_e32 v22, v5
.LBB203_631:                            ;   in Loop: Header=BB203_400 Depth=1
	s_or_b64 exec, exec, s[18:19]
.LBB203_632:                            ;   in Loop: Header=BB203_400 Depth=1
	s_or_b64 exec, exec, s[16:17]
.LBB203_633:                            ;   in Loop: Header=BB203_400 Depth=1
	s_or_b64 exec, exec, s[12:13]
	v_or_b32_e32 v0, v19, v17
	v_or_b32_e32 v7, v18, v16
	v_mul_f32_e32 v0, s38, v0
	buffer_store_dword v0, off, s[56:59], 0 offset:264 ; 4-byte Folded Spill
	v_mul_f32_e32 v41, s37, v7
	v_or_b32_e32 v0, v23, v21
	v_or_b32_e32 v7, v22, v20
	v_mul_f32_e32 v40, s37, v7
	v_mul_f32_e32 v0, s38, v0
	buffer_store_dword v0, off, s[56:59], 0 offset:272 ; 4-byte Folded Spill
	s_and_saveexec_b64 s[12:13], vcc
	s_cbranch_execz .LBB203_635
; %bb.634:                              ;   in Loop: Header=BB203_400 Depth=1
	buffer_load_dword v0, off, s[56:59], 0 offset:264 ; 4-byte Folded Reload
	v_cmp_gt_i32_e64 s[0:1], s33, v39
	v_cndmask_b32_e64 v41, 0, v41, s[0:1]
	v_cmp_gt_i32_e64 s[0:1], s33, v56
	s_waitcnt vmcnt(0)
	v_cndmask_b32_e64 v0, 0, v0, s[0:1]
	buffer_store_dword v0, off, s[56:59], 0 offset:264 ; 4-byte Folded Spill
	buffer_load_dword v0, off, s[56:59], 0 offset:272 ; 4-byte Folded Reload
	v_cmp_gt_i32_e64 s[0:1], s33, v55
	v_cndmask_b32_e64 v40, 0, v40, s[0:1]
	v_cmp_gt_i32_e64 s[0:1], s33, v54
	s_waitcnt vmcnt(0)
	v_cndmask_b32_e64 v0, 0, v0, s[0:1]
	buffer_store_dword v0, off, s[56:59], 0 offset:272 ; 4-byte Folded Spill
.LBB203_635:                            ;   in Loop: Header=BB203_400 Depth=1
	s_or_b64 exec, exec, s[12:13]
	global_load_dword v15, v[13:14], off offset:2304
	v_mov_b32_e32 v18, 0
	v_mov_b32_e32 v16, 0
	;; [unrolled: 1-line block ×4, first 2 shown]
	s_waitcnt vmcnt(0)
	v_cmp_ne_u16_sdwa s[0:1], v15, v5 src0_sel:BYTE_0 src1_sel:DWORD
	s_and_saveexec_b64 s[12:13], s[0:1]
	s_cbranch_execz .LBB203_641
; %bb.636:                              ;   in Loop: Header=BB203_400 Depth=1
	v_bfrev_b32_e32 v16, 1
	v_mov_b32_e32 v17, 0
	v_cmp_ne_u16_sdwa s[0:1], v15, s28 src0_sel:BYTE_0 src1_sel:DWORD
	s_and_saveexec_b64 s[16:17], s[0:1]
	s_cbranch_execz .LBB203_640
; %bb.637:                              ;   in Loop: Header=BB203_400 Depth=1
	v_and_b32_e32 v0, 0x7f, v15
	v_mov_b32_e32 v16, 0x7f800001
	v_mov_b32_e32 v17, 0
	v_cmp_ne_u32_e64 s[0:1], s29, v0
	s_and_saveexec_b64 s[18:19], s[0:1]
	s_cbranch_execz .LBB203_639
; %bb.638:                              ;   in Loop: Header=BB203_400 Depth=1
	v_and_b32_e32 v11, 7, v15
	v_lshrrev_b32_e32 v16, 3, v0
	v_cmp_gt_u32_e64 s[0:1], 8, v0
	v_ffbh_u32_e32 v0, v11
	v_min_u32_e32 v0, 32, v0
	v_subrev_u32_e32 v7, 28, v0
	v_lshlrev_b64 v[7:8], v7, v[15:16]
	v_sub_u32_e32 v0, 29, v0
	v_and_b32_e32 v7, 7, v7
	v_cndmask_b32_e64 v0, v16, v0, s[0:1]
	v_cndmask_b32_e64 v7, v11, v7, s[0:1]
	v_bfrev_b32_e32 v11, 60
	v_lshlrev_b32_e32 v7, 20, v7
	v_and_b32_sdwa v8, sext(v15), s30 dst_sel:DWORD dst_unused:UNUSED_PAD src0_sel:BYTE_0 src1_sel:DWORD
	v_lshl_add_u32 v0, v0, 23, v11
	v_or3_b32 v16, v8, v0, v7
	v_mov_b32_e32 v17, v5
.LBB203_639:                            ;   in Loop: Header=BB203_400 Depth=1
	s_or_b64 exec, exec, s[18:19]
.LBB203_640:                            ;   in Loop: Header=BB203_400 Depth=1
	s_or_b64 exec, exec, s[16:17]
.LBB203_641:                            ;   in Loop: Header=BB203_400 Depth=1
	s_or_b64 exec, exec, s[12:13]
	v_cmp_ne_u16_sdwa s[0:1], v15, v5 src0_sel:BYTE_1 src1_sel:DWORD
	s_and_saveexec_b64 s[12:13], s[0:1]
	s_cbranch_execz .LBB203_647
; %bb.642:                              ;   in Loop: Header=BB203_400 Depth=1
	v_mov_b32_e32 v19, v6
	v_cmp_ne_u16_sdwa s[0:1], v15, s28 src0_sel:BYTE_1 src1_sel:DWORD
	v_mov_b32_e32 v18, v5
	s_and_saveexec_b64 s[16:17], s[0:1]
	s_cbranch_execz .LBB203_646
; %bb.643:                              ;   in Loop: Header=BB203_400 Depth=1
	v_and_b32_sdwa v0, v15, s29 dst_sel:DWORD dst_unused:UNUSED_PAD src0_sel:BYTE_1 src1_sel:DWORD
	v_mov_b32_e32 v11, v5
	v_mov_b32_e32 v19, v12
	v_cmp_ne_u32_e64 s[0:1], s29, v0
	v_mov_b32_e32 v18, v11
	s_and_saveexec_b64 s[18:19], s[0:1]
	s_cbranch_execz .LBB203_645
; %bb.644:                              ;   in Loop: Header=BB203_400 Depth=1
	v_mov_b32_e32 v7, 7
	v_and_b32_sdwa v7, v15, v7 dst_sel:DWORD dst_unused:UNUSED_PAD src0_sel:BYTE_1 src1_sel:DWORD
	v_lshrrev_b32_e32 v11, 3, v0
	v_cmp_gt_u32_e64 s[0:1], 8, v0
	v_ffbh_u32_e32 v0, v7
	v_min_u32_e32 v0, 32, v0
	v_mov_b32_e32 v8, v5
	v_subrev_u32_e32 v18, 28, v0
	v_lshlrev_b64 v[18:19], v18, v[7:8]
	v_sub_u32_e32 v0, 29, v0
	v_and_b32_e32 v8, 7, v18
	v_cndmask_b32_e64 v0, v11, v0, s[0:1]
	v_bfrev_b32_e32 v11, 60
	v_cndmask_b32_e64 v7, v7, v8, s[0:1]
	v_lshlrev_b32_e32 v8, 16, v15
	v_lshl_add_u32 v0, v0, 23, v11
	v_and_or_b32 v0, v8, s30, v0
	v_lshlrev_b32_e32 v7, 20, v7
	v_or_b32_e32 v19, v0, v7
	v_mov_b32_e32 v18, v5
.LBB203_645:                            ;   in Loop: Header=BB203_400 Depth=1
	s_or_b64 exec, exec, s[18:19]
.LBB203_646:                            ;   in Loop: Header=BB203_400 Depth=1
	s_or_b64 exec, exec, s[16:17]
.LBB203_647:                            ;   in Loop: Header=BB203_400 Depth=1
	s_or_b64 exec, exec, s[12:13]
	v_lshrrev_b32_e32 v11, 16, v15
	v_mov_b32_e32 v22, 0
	v_mov_b32_e32 v20, 0
	;; [unrolled: 1-line block ×4, first 2 shown]
	v_cmp_ne_u16_sdwa s[0:1], v11, v5 src0_sel:BYTE_0 src1_sel:DWORD
	s_and_saveexec_b64 s[12:13], s[0:1]
	s_cbranch_execz .LBB203_653
; %bb.648:                              ;   in Loop: Header=BB203_400 Depth=1
	v_bfrev_b32_e32 v20, 1
	v_mov_b32_e32 v21, 0
	v_cmp_ne_u16_sdwa s[0:1], v11, s28 src0_sel:BYTE_0 src1_sel:DWORD
	s_and_saveexec_b64 s[16:17], s[0:1]
	s_cbranch_execz .LBB203_652
; %bb.649:                              ;   in Loop: Header=BB203_400 Depth=1
	v_bfe_u32 v0, v15, 16, 7
	v_mov_b32_e32 v20, 0x7f800001
	v_mov_b32_e32 v21, 0
	v_cmp_ne_u32_e64 s[0:1], s29, v0
	s_and_saveexec_b64 s[18:19], s[0:1]
	s_cbranch_execz .LBB203_651
; %bb.650:                              ;   in Loop: Header=BB203_400 Depth=1
	v_and_b32_e32 v20, 7, v11
	v_lshrrev_b32_e32 v21, 3, v0
	v_cmp_gt_u32_e64 s[0:1], 8, v0
	v_ffbh_u32_e32 v0, v20
	v_min_u32_e32 v0, 32, v0
	v_subrev_u32_e32 v7, 28, v0
	v_lshlrev_b64 v[7:8], v7, v[11:12]
	v_sub_u32_e32 v0, 29, v0
	v_and_b32_e32 v7, 7, v7
	v_cndmask_b32_e64 v0, v21, v0, s[0:1]
	v_cndmask_b32_e64 v7, v20, v7, s[0:1]
	v_and_b32_sdwa v8, sext(v11), s30 dst_sel:DWORD dst_unused:UNUSED_PAD src0_sel:BYTE_0 src1_sel:DWORD
	v_bfrev_b32_e32 v11, 60
	v_lshlrev_b32_e32 v7, 20, v7
	v_lshl_add_u32 v0, v0, 23, v11
	v_or3_b32 v20, v8, v0, v7
	v_mov_b32_e32 v21, v5
.LBB203_651:                            ;   in Loop: Header=BB203_400 Depth=1
	s_or_b64 exec, exec, s[18:19]
.LBB203_652:                            ;   in Loop: Header=BB203_400 Depth=1
	s_or_b64 exec, exec, s[16:17]
.LBB203_653:                            ;   in Loop: Header=BB203_400 Depth=1
	s_or_b64 exec, exec, s[12:13]
	v_cmp_lt_u32_e64 s[0:1], s31, v15
	s_and_saveexec_b64 s[12:13], s[0:1]
	s_cbranch_execz .LBB203_659
; %bb.654:                              ;   in Loop: Header=BB203_400 Depth=1
	v_mov_b32_e32 v23, v6
	v_cmp_ne_u32_sdwa s[0:1], v15, s28 src0_sel:BYTE_3 src1_sel:DWORD
	v_mov_b32_e32 v22, v5
	s_and_saveexec_b64 s[16:17], s[0:1]
	s_cbranch_execz .LBB203_658
; %bb.655:                              ;   in Loop: Header=BB203_400 Depth=1
	v_bfe_u32 v0, v15, 24, 7
	v_mov_b32_e32 v11, v5
	v_mov_b32_e32 v23, v12
	v_cmp_ne_u32_e64 s[0:1], s29, v0
	v_mov_b32_e32 v22, v11
	s_and_saveexec_b64 s[18:19], s[0:1]
	s_cbranch_execz .LBB203_657
; %bb.656:                              ;   in Loop: Header=BB203_400 Depth=1
	v_mov_b32_e32 v7, 7
	v_and_b32_sdwa v7, v15, v7 dst_sel:DWORD dst_unused:UNUSED_PAD src0_sel:BYTE_3 src1_sel:DWORD
	v_lshrrev_b32_e32 v11, 3, v0
	v_cmp_gt_u32_e64 s[0:1], 8, v0
	v_ffbh_u32_e32 v0, v7
	v_min_u32_e32 v0, 32, v0
	v_mov_b32_e32 v8, v5
	v_subrev_u32_e32 v22, 28, v0
	v_lshlrev_b64 v[22:23], v22, v[7:8]
	v_sub_u32_e32 v0, 29, v0
	v_and_b32_e32 v8, 7, v22
	v_cndmask_b32_e64 v0, v11, v0, s[0:1]
	v_cndmask_b32_e64 v7, v7, v8, s[0:1]
	v_mov_b32_e32 v8, 24
	v_bfrev_b32_e32 v11, 60
	v_lshlrev_b32_sdwa v8, v8, v15 dst_sel:DWORD dst_unused:UNUSED_PAD src0_sel:DWORD src1_sel:BYTE_3
	v_lshl_add_u32 v0, v0, 23, v11
	v_and_or_b32 v0, v8, s30, v0
	v_lshlrev_b32_e32 v7, 20, v7
	v_or_b32_e32 v23, v0, v7
	v_mov_b32_e32 v22, v5
.LBB203_657:                            ;   in Loop: Header=BB203_400 Depth=1
	s_or_b64 exec, exec, s[18:19]
.LBB203_658:                            ;   in Loop: Header=BB203_400 Depth=1
	s_or_b64 exec, exec, s[16:17]
.LBB203_659:                            ;   in Loop: Header=BB203_400 Depth=1
	s_or_b64 exec, exec, s[12:13]
	v_or_b32_e32 v0, v19, v17
	v_or_b32_e32 v7, v18, v16
	v_mul_f32_e32 v42, s38, v0
	v_mul_f32_e32 v51, s37, v7
	v_or_b32_e32 v0, v23, v21
	v_or_b32_e32 v7, v22, v20
	v_mul_f32_e32 v50, s37, v7
	v_mul_f32_e32 v49, s38, v0
	s_and_saveexec_b64 s[12:13], vcc
; %bb.660:                              ;   in Loop: Header=BB203_400 Depth=1
	v_cmp_gt_i32_e64 s[0:1], s33, v39
	v_cndmask_b32_e64 v51, 0, v51, s[0:1]
	v_cmp_gt_i32_e64 s[0:1], s33, v56
	v_cndmask_b32_e64 v42, 0, v42, s[0:1]
	;; [unrolled: 2-line block ×4, first 2 shown]
; %bb.661:                              ;   in Loop: Header=BB203_400 Depth=1
	s_or_b64 exec, exec, s[12:13]
	global_load_dword v15, v[13:14], off offset:2560
	v_mov_b32_e32 v18, 0
	v_mov_b32_e32 v16, 0
	;; [unrolled: 1-line block ×4, first 2 shown]
	s_waitcnt vmcnt(0)
	v_cmp_ne_u16_sdwa s[0:1], v15, v5 src0_sel:BYTE_0 src1_sel:DWORD
	s_and_saveexec_b64 s[12:13], s[0:1]
	s_cbranch_execz .LBB203_667
; %bb.662:                              ;   in Loop: Header=BB203_400 Depth=1
	v_bfrev_b32_e32 v16, 1
	v_mov_b32_e32 v17, 0
	v_cmp_ne_u16_sdwa s[0:1], v15, s28 src0_sel:BYTE_0 src1_sel:DWORD
	s_and_saveexec_b64 s[16:17], s[0:1]
	s_cbranch_execz .LBB203_666
; %bb.663:                              ;   in Loop: Header=BB203_400 Depth=1
	v_and_b32_e32 v0, 0x7f, v15
	v_mov_b32_e32 v16, 0x7f800001
	v_mov_b32_e32 v17, 0
	v_cmp_ne_u32_e64 s[0:1], s29, v0
	s_and_saveexec_b64 s[18:19], s[0:1]
	s_cbranch_execz .LBB203_665
; %bb.664:                              ;   in Loop: Header=BB203_400 Depth=1
	v_and_b32_e32 v11, 7, v15
	v_lshrrev_b32_e32 v16, 3, v0
	v_cmp_gt_u32_e64 s[0:1], 8, v0
	v_ffbh_u32_e32 v0, v11
	v_min_u32_e32 v0, 32, v0
	v_subrev_u32_e32 v7, 28, v0
	v_lshlrev_b64 v[7:8], v7, v[15:16]
	v_sub_u32_e32 v0, 29, v0
	v_and_b32_e32 v7, 7, v7
	v_cndmask_b32_e64 v0, v16, v0, s[0:1]
	v_cndmask_b32_e64 v7, v11, v7, s[0:1]
	v_bfrev_b32_e32 v11, 60
	v_lshlrev_b32_e32 v7, 20, v7
	v_and_b32_sdwa v8, sext(v15), s30 dst_sel:DWORD dst_unused:UNUSED_PAD src0_sel:BYTE_0 src1_sel:DWORD
	v_lshl_add_u32 v0, v0, 23, v11
	v_or3_b32 v16, v8, v0, v7
	v_mov_b32_e32 v17, v5
.LBB203_665:                            ;   in Loop: Header=BB203_400 Depth=1
	s_or_b64 exec, exec, s[18:19]
.LBB203_666:                            ;   in Loop: Header=BB203_400 Depth=1
	s_or_b64 exec, exec, s[16:17]
.LBB203_667:                            ;   in Loop: Header=BB203_400 Depth=1
	s_or_b64 exec, exec, s[12:13]
	v_cmp_ne_u16_sdwa s[0:1], v15, v5 src0_sel:BYTE_1 src1_sel:DWORD
	s_and_saveexec_b64 s[12:13], s[0:1]
	s_cbranch_execz .LBB203_673
; %bb.668:                              ;   in Loop: Header=BB203_400 Depth=1
	v_mov_b32_e32 v19, v6
	v_cmp_ne_u16_sdwa s[0:1], v15, s28 src0_sel:BYTE_1 src1_sel:DWORD
	v_mov_b32_e32 v18, v5
	s_and_saveexec_b64 s[16:17], s[0:1]
	s_cbranch_execz .LBB203_672
; %bb.669:                              ;   in Loop: Header=BB203_400 Depth=1
	v_and_b32_sdwa v0, v15, s29 dst_sel:DWORD dst_unused:UNUSED_PAD src0_sel:BYTE_1 src1_sel:DWORD
	v_mov_b32_e32 v11, v5
	v_mov_b32_e32 v19, v12
	v_cmp_ne_u32_e64 s[0:1], s29, v0
	v_mov_b32_e32 v18, v11
	s_and_saveexec_b64 s[18:19], s[0:1]
	s_cbranch_execz .LBB203_671
; %bb.670:                              ;   in Loop: Header=BB203_400 Depth=1
	v_mov_b32_e32 v7, 7
	v_and_b32_sdwa v7, v15, v7 dst_sel:DWORD dst_unused:UNUSED_PAD src0_sel:BYTE_1 src1_sel:DWORD
	v_lshrrev_b32_e32 v11, 3, v0
	v_cmp_gt_u32_e64 s[0:1], 8, v0
	v_ffbh_u32_e32 v0, v7
	v_min_u32_e32 v0, 32, v0
	v_mov_b32_e32 v8, v5
	v_subrev_u32_e32 v18, 28, v0
	v_lshlrev_b64 v[18:19], v18, v[7:8]
	v_sub_u32_e32 v0, 29, v0
	v_and_b32_e32 v8, 7, v18
	v_cndmask_b32_e64 v0, v11, v0, s[0:1]
	v_bfrev_b32_e32 v11, 60
	v_cndmask_b32_e64 v7, v7, v8, s[0:1]
	v_lshlrev_b32_e32 v8, 16, v15
	v_lshl_add_u32 v0, v0, 23, v11
	v_and_or_b32 v0, v8, s30, v0
	v_lshlrev_b32_e32 v7, 20, v7
	v_or_b32_e32 v19, v0, v7
	v_mov_b32_e32 v18, v5
.LBB203_671:                            ;   in Loop: Header=BB203_400 Depth=1
	s_or_b64 exec, exec, s[18:19]
.LBB203_672:                            ;   in Loop: Header=BB203_400 Depth=1
	s_or_b64 exec, exec, s[16:17]
.LBB203_673:                            ;   in Loop: Header=BB203_400 Depth=1
	s_or_b64 exec, exec, s[12:13]
	v_lshrrev_b32_e32 v11, 16, v15
	v_mov_b32_e32 v22, 0
	v_mov_b32_e32 v20, 0
	;; [unrolled: 1-line block ×4, first 2 shown]
	v_cmp_ne_u16_sdwa s[0:1], v11, v5 src0_sel:BYTE_0 src1_sel:DWORD
	s_and_saveexec_b64 s[12:13], s[0:1]
	s_cbranch_execz .LBB203_679
; %bb.674:                              ;   in Loop: Header=BB203_400 Depth=1
	v_bfrev_b32_e32 v20, 1
	v_mov_b32_e32 v21, 0
	v_cmp_ne_u16_sdwa s[0:1], v11, s28 src0_sel:BYTE_0 src1_sel:DWORD
	s_and_saveexec_b64 s[16:17], s[0:1]
	s_cbranch_execz .LBB203_678
; %bb.675:                              ;   in Loop: Header=BB203_400 Depth=1
	v_bfe_u32 v0, v15, 16, 7
	v_mov_b32_e32 v20, 0x7f800001
	v_mov_b32_e32 v21, 0
	v_cmp_ne_u32_e64 s[0:1], s29, v0
	s_and_saveexec_b64 s[18:19], s[0:1]
	s_cbranch_execz .LBB203_677
; %bb.676:                              ;   in Loop: Header=BB203_400 Depth=1
	v_and_b32_e32 v20, 7, v11
	v_lshrrev_b32_e32 v21, 3, v0
	v_cmp_gt_u32_e64 s[0:1], 8, v0
	v_ffbh_u32_e32 v0, v20
	v_min_u32_e32 v0, 32, v0
	v_subrev_u32_e32 v7, 28, v0
	v_lshlrev_b64 v[7:8], v7, v[11:12]
	v_sub_u32_e32 v0, 29, v0
	v_and_b32_e32 v7, 7, v7
	v_cndmask_b32_e64 v0, v21, v0, s[0:1]
	v_cndmask_b32_e64 v7, v20, v7, s[0:1]
	v_and_b32_sdwa v8, sext(v11), s30 dst_sel:DWORD dst_unused:UNUSED_PAD src0_sel:BYTE_0 src1_sel:DWORD
	v_bfrev_b32_e32 v11, 60
	v_lshlrev_b32_e32 v7, 20, v7
	v_lshl_add_u32 v0, v0, 23, v11
	v_or3_b32 v20, v8, v0, v7
	v_mov_b32_e32 v21, v5
.LBB203_677:                            ;   in Loop: Header=BB203_400 Depth=1
	s_or_b64 exec, exec, s[18:19]
.LBB203_678:                            ;   in Loop: Header=BB203_400 Depth=1
	s_or_b64 exec, exec, s[16:17]
.LBB203_679:                            ;   in Loop: Header=BB203_400 Depth=1
	s_or_b64 exec, exec, s[12:13]
	v_cmp_lt_u32_e64 s[0:1], s31, v15
	s_and_saveexec_b64 s[12:13], s[0:1]
	s_cbranch_execz .LBB203_685
; %bb.680:                              ;   in Loop: Header=BB203_400 Depth=1
	v_mov_b32_e32 v23, v6
	v_cmp_ne_u32_sdwa s[0:1], v15, s28 src0_sel:BYTE_3 src1_sel:DWORD
	v_mov_b32_e32 v22, v5
	s_and_saveexec_b64 s[16:17], s[0:1]
	s_cbranch_execz .LBB203_684
; %bb.681:                              ;   in Loop: Header=BB203_400 Depth=1
	v_bfe_u32 v0, v15, 24, 7
	v_mov_b32_e32 v11, v5
	v_mov_b32_e32 v23, v12
	v_cmp_ne_u32_e64 s[0:1], s29, v0
	v_mov_b32_e32 v22, v11
	s_and_saveexec_b64 s[18:19], s[0:1]
	s_cbranch_execz .LBB203_683
; %bb.682:                              ;   in Loop: Header=BB203_400 Depth=1
	v_mov_b32_e32 v7, 7
	v_and_b32_sdwa v7, v15, v7 dst_sel:DWORD dst_unused:UNUSED_PAD src0_sel:BYTE_3 src1_sel:DWORD
	v_lshrrev_b32_e32 v11, 3, v0
	v_cmp_gt_u32_e64 s[0:1], 8, v0
	v_ffbh_u32_e32 v0, v7
	v_min_u32_e32 v0, 32, v0
	v_mov_b32_e32 v8, v5
	v_subrev_u32_e32 v22, 28, v0
	v_lshlrev_b64 v[22:23], v22, v[7:8]
	v_sub_u32_e32 v0, 29, v0
	v_and_b32_e32 v8, 7, v22
	v_cndmask_b32_e64 v0, v11, v0, s[0:1]
	v_cndmask_b32_e64 v7, v7, v8, s[0:1]
	v_mov_b32_e32 v8, 24
	v_bfrev_b32_e32 v11, 60
	v_lshlrev_b32_sdwa v8, v8, v15 dst_sel:DWORD dst_unused:UNUSED_PAD src0_sel:DWORD src1_sel:BYTE_3
	v_lshl_add_u32 v0, v0, 23, v11
	v_and_or_b32 v0, v8, s30, v0
	v_lshlrev_b32_e32 v7, 20, v7
	v_or_b32_e32 v23, v0, v7
	v_mov_b32_e32 v22, v5
.LBB203_683:                            ;   in Loop: Header=BB203_400 Depth=1
	s_or_b64 exec, exec, s[18:19]
.LBB203_684:                            ;   in Loop: Header=BB203_400 Depth=1
	s_or_b64 exec, exec, s[16:17]
.LBB203_685:                            ;   in Loop: Header=BB203_400 Depth=1
	s_or_b64 exec, exec, s[12:13]
	v_or_b32_e32 v0, v19, v17
	v_or_b32_e32 v7, v18, v16
	v_mul_f32_e32 v52, s38, v0
	v_mul_f32_e32 v59, s37, v7
	v_or_b32_e32 v0, v23, v21
	v_or_b32_e32 v7, v22, v20
	v_mul_f32_e32 v58, s37, v7
	v_mul_f32_e32 v57, s38, v0
	s_and_saveexec_b64 s[12:13], vcc
; %bb.686:                              ;   in Loop: Header=BB203_400 Depth=1
	v_cmp_gt_i32_e64 s[0:1], s33, v39
	v_cndmask_b32_e64 v59, 0, v59, s[0:1]
	v_cmp_gt_i32_e64 s[0:1], s33, v56
	v_cndmask_b32_e64 v52, 0, v52, s[0:1]
	;; [unrolled: 2-line block ×4, first 2 shown]
; %bb.687:                              ;   in Loop: Header=BB203_400 Depth=1
	s_or_b64 exec, exec, s[12:13]
	global_load_dword v15, v[13:14], off offset:2816
	v_mov_b32_e32 v18, 0
	v_mov_b32_e32 v16, 0
	;; [unrolled: 1-line block ×4, first 2 shown]
	s_waitcnt vmcnt(0)
	v_cmp_ne_u16_sdwa s[0:1], v15, v5 src0_sel:BYTE_0 src1_sel:DWORD
	s_and_saveexec_b64 s[12:13], s[0:1]
	s_cbranch_execz .LBB203_693
; %bb.688:                              ;   in Loop: Header=BB203_400 Depth=1
	v_bfrev_b32_e32 v16, 1
	v_mov_b32_e32 v17, 0
	v_cmp_ne_u16_sdwa s[0:1], v15, s28 src0_sel:BYTE_0 src1_sel:DWORD
	s_and_saveexec_b64 s[16:17], s[0:1]
	s_cbranch_execz .LBB203_692
; %bb.689:                              ;   in Loop: Header=BB203_400 Depth=1
	v_and_b32_e32 v0, 0x7f, v15
	v_mov_b32_e32 v16, 0x7f800001
	v_mov_b32_e32 v17, 0
	v_cmp_ne_u32_e64 s[0:1], s29, v0
	s_and_saveexec_b64 s[18:19], s[0:1]
	s_cbranch_execz .LBB203_691
; %bb.690:                              ;   in Loop: Header=BB203_400 Depth=1
	v_and_b32_e32 v11, 7, v15
	v_lshrrev_b32_e32 v16, 3, v0
	v_cmp_gt_u32_e64 s[0:1], 8, v0
	v_ffbh_u32_e32 v0, v11
	v_min_u32_e32 v0, 32, v0
	v_subrev_u32_e32 v7, 28, v0
	v_lshlrev_b64 v[7:8], v7, v[15:16]
	v_sub_u32_e32 v0, 29, v0
	v_and_b32_e32 v7, 7, v7
	v_cndmask_b32_e64 v0, v16, v0, s[0:1]
	v_cndmask_b32_e64 v7, v11, v7, s[0:1]
	v_bfrev_b32_e32 v11, 60
	v_lshlrev_b32_e32 v7, 20, v7
	v_and_b32_sdwa v8, sext(v15), s30 dst_sel:DWORD dst_unused:UNUSED_PAD src0_sel:BYTE_0 src1_sel:DWORD
	v_lshl_add_u32 v0, v0, 23, v11
	v_or3_b32 v16, v8, v0, v7
	v_mov_b32_e32 v17, v5
.LBB203_691:                            ;   in Loop: Header=BB203_400 Depth=1
	s_or_b64 exec, exec, s[18:19]
.LBB203_692:                            ;   in Loop: Header=BB203_400 Depth=1
	s_or_b64 exec, exec, s[16:17]
.LBB203_693:                            ;   in Loop: Header=BB203_400 Depth=1
	s_or_b64 exec, exec, s[12:13]
	v_cmp_ne_u16_sdwa s[0:1], v15, v5 src0_sel:BYTE_1 src1_sel:DWORD
	s_and_saveexec_b64 s[12:13], s[0:1]
	s_cbranch_execz .LBB203_699
; %bb.694:                              ;   in Loop: Header=BB203_400 Depth=1
	v_mov_b32_e32 v19, v6
	v_cmp_ne_u16_sdwa s[0:1], v15, s28 src0_sel:BYTE_1 src1_sel:DWORD
	v_mov_b32_e32 v18, v5
	s_and_saveexec_b64 s[16:17], s[0:1]
	s_cbranch_execz .LBB203_698
; %bb.695:                              ;   in Loop: Header=BB203_400 Depth=1
	v_and_b32_sdwa v0, v15, s29 dst_sel:DWORD dst_unused:UNUSED_PAD src0_sel:BYTE_1 src1_sel:DWORD
	v_mov_b32_e32 v11, v5
	v_mov_b32_e32 v19, v12
	v_cmp_ne_u32_e64 s[0:1], s29, v0
	v_mov_b32_e32 v18, v11
	s_and_saveexec_b64 s[18:19], s[0:1]
	s_cbranch_execz .LBB203_697
; %bb.696:                              ;   in Loop: Header=BB203_400 Depth=1
	v_mov_b32_e32 v7, 7
	v_and_b32_sdwa v7, v15, v7 dst_sel:DWORD dst_unused:UNUSED_PAD src0_sel:BYTE_1 src1_sel:DWORD
	v_lshrrev_b32_e32 v11, 3, v0
	v_cmp_gt_u32_e64 s[0:1], 8, v0
	v_ffbh_u32_e32 v0, v7
	v_min_u32_e32 v0, 32, v0
	v_mov_b32_e32 v8, v5
	v_subrev_u32_e32 v18, 28, v0
	v_lshlrev_b64 v[18:19], v18, v[7:8]
	v_sub_u32_e32 v0, 29, v0
	v_and_b32_e32 v8, 7, v18
	v_cndmask_b32_e64 v0, v11, v0, s[0:1]
	v_bfrev_b32_e32 v11, 60
	v_cndmask_b32_e64 v7, v7, v8, s[0:1]
	v_lshlrev_b32_e32 v8, 16, v15
	v_lshl_add_u32 v0, v0, 23, v11
	v_and_or_b32 v0, v8, s30, v0
	v_lshlrev_b32_e32 v7, 20, v7
	v_or_b32_e32 v19, v0, v7
	v_mov_b32_e32 v18, v5
.LBB203_697:                            ;   in Loop: Header=BB203_400 Depth=1
	s_or_b64 exec, exec, s[18:19]
.LBB203_698:                            ;   in Loop: Header=BB203_400 Depth=1
	s_or_b64 exec, exec, s[16:17]
.LBB203_699:                            ;   in Loop: Header=BB203_400 Depth=1
	s_or_b64 exec, exec, s[12:13]
	v_lshrrev_b32_e32 v11, 16, v15
	v_mov_b32_e32 v22, 0
	v_mov_b32_e32 v20, 0
	;; [unrolled: 1-line block ×4, first 2 shown]
	v_cmp_ne_u16_sdwa s[0:1], v11, v5 src0_sel:BYTE_0 src1_sel:DWORD
	s_and_saveexec_b64 s[12:13], s[0:1]
	s_cbranch_execz .LBB203_705
; %bb.700:                              ;   in Loop: Header=BB203_400 Depth=1
	v_bfrev_b32_e32 v20, 1
	v_mov_b32_e32 v21, 0
	v_cmp_ne_u16_sdwa s[0:1], v11, s28 src0_sel:BYTE_0 src1_sel:DWORD
	s_and_saveexec_b64 s[16:17], s[0:1]
	s_cbranch_execz .LBB203_704
; %bb.701:                              ;   in Loop: Header=BB203_400 Depth=1
	v_bfe_u32 v0, v15, 16, 7
	v_mov_b32_e32 v20, 0x7f800001
	v_mov_b32_e32 v21, 0
	v_cmp_ne_u32_e64 s[0:1], s29, v0
	s_and_saveexec_b64 s[18:19], s[0:1]
	s_cbranch_execz .LBB203_703
; %bb.702:                              ;   in Loop: Header=BB203_400 Depth=1
	v_and_b32_e32 v20, 7, v11
	v_lshrrev_b32_e32 v21, 3, v0
	v_cmp_gt_u32_e64 s[0:1], 8, v0
	v_ffbh_u32_e32 v0, v20
	v_min_u32_e32 v0, 32, v0
	v_subrev_u32_e32 v7, 28, v0
	v_lshlrev_b64 v[7:8], v7, v[11:12]
	v_sub_u32_e32 v0, 29, v0
	v_and_b32_e32 v7, 7, v7
	v_cndmask_b32_e64 v0, v21, v0, s[0:1]
	v_cndmask_b32_e64 v7, v20, v7, s[0:1]
	v_and_b32_sdwa v8, sext(v11), s30 dst_sel:DWORD dst_unused:UNUSED_PAD src0_sel:BYTE_0 src1_sel:DWORD
	v_bfrev_b32_e32 v11, 60
	v_lshlrev_b32_e32 v7, 20, v7
	v_lshl_add_u32 v0, v0, 23, v11
	v_or3_b32 v20, v8, v0, v7
	v_mov_b32_e32 v21, v5
.LBB203_703:                            ;   in Loop: Header=BB203_400 Depth=1
	s_or_b64 exec, exec, s[18:19]
.LBB203_704:                            ;   in Loop: Header=BB203_400 Depth=1
	s_or_b64 exec, exec, s[16:17]
.LBB203_705:                            ;   in Loop: Header=BB203_400 Depth=1
	s_or_b64 exec, exec, s[12:13]
	v_cmp_lt_u32_e64 s[0:1], s31, v15
	s_and_saveexec_b64 s[12:13], s[0:1]
	s_cbranch_execz .LBB203_711
; %bb.706:                              ;   in Loop: Header=BB203_400 Depth=1
	v_mov_b32_e32 v23, v6
	v_cmp_ne_u32_sdwa s[0:1], v15, s28 src0_sel:BYTE_3 src1_sel:DWORD
	v_mov_b32_e32 v22, v5
	s_and_saveexec_b64 s[16:17], s[0:1]
	s_cbranch_execz .LBB203_710
; %bb.707:                              ;   in Loop: Header=BB203_400 Depth=1
	v_bfe_u32 v0, v15, 24, 7
	v_mov_b32_e32 v11, v5
	v_mov_b32_e32 v23, v12
	v_cmp_ne_u32_e64 s[0:1], s29, v0
	v_mov_b32_e32 v22, v11
	s_and_saveexec_b64 s[18:19], s[0:1]
	s_cbranch_execz .LBB203_709
; %bb.708:                              ;   in Loop: Header=BB203_400 Depth=1
	v_mov_b32_e32 v7, 7
	v_and_b32_sdwa v7, v15, v7 dst_sel:DWORD dst_unused:UNUSED_PAD src0_sel:BYTE_3 src1_sel:DWORD
	v_lshrrev_b32_e32 v11, 3, v0
	v_cmp_gt_u32_e64 s[0:1], 8, v0
	v_ffbh_u32_e32 v0, v7
	v_min_u32_e32 v0, 32, v0
	v_mov_b32_e32 v8, v5
	v_subrev_u32_e32 v22, 28, v0
	v_lshlrev_b64 v[22:23], v22, v[7:8]
	v_sub_u32_e32 v0, 29, v0
	v_and_b32_e32 v8, 7, v22
	v_cndmask_b32_e64 v0, v11, v0, s[0:1]
	v_cndmask_b32_e64 v7, v7, v8, s[0:1]
	v_mov_b32_e32 v8, 24
	v_bfrev_b32_e32 v11, 60
	v_lshlrev_b32_sdwa v8, v8, v15 dst_sel:DWORD dst_unused:UNUSED_PAD src0_sel:DWORD src1_sel:BYTE_3
	v_lshl_add_u32 v0, v0, 23, v11
	v_and_or_b32 v0, v8, s30, v0
	v_lshlrev_b32_e32 v7, 20, v7
	v_or_b32_e32 v23, v0, v7
	v_mov_b32_e32 v22, v5
.LBB203_709:                            ;   in Loop: Header=BB203_400 Depth=1
	s_or_b64 exec, exec, s[18:19]
.LBB203_710:                            ;   in Loop: Header=BB203_400 Depth=1
	s_or_b64 exec, exec, s[16:17]
.LBB203_711:                            ;   in Loop: Header=BB203_400 Depth=1
	s_or_b64 exec, exec, s[12:13]
	v_or_b32_e32 v0, v19, v17
	v_or_b32_e32 v7, v18, v16
	v_mul_f32_e32 v60, s38, v0
	v_mul_f32_e32 v62, s37, v7
	v_or_b32_e32 v0, v23, v21
	v_or_b32_e32 v7, v22, v20
	v_mul_f32_e32 v61, s37, v7
	v_mul_f32_e32 v46, s38, v0
	s_and_saveexec_b64 s[12:13], vcc
; %bb.712:                              ;   in Loop: Header=BB203_400 Depth=1
	v_cmp_gt_i32_e64 s[0:1], s33, v39
	v_cndmask_b32_e64 v62, 0, v62, s[0:1]
	v_cmp_gt_i32_e64 s[0:1], s33, v56
	v_cndmask_b32_e64 v60, 0, v60, s[0:1]
	;; [unrolled: 2-line block ×4, first 2 shown]
; %bb.713:                              ;   in Loop: Header=BB203_400 Depth=1
	s_or_b64 exec, exec, s[12:13]
	global_load_dword v15, v[13:14], off offset:3072
	v_mov_b32_e32 v18, 0
	v_mov_b32_e32 v16, 0
	;; [unrolled: 1-line block ×4, first 2 shown]
	s_waitcnt vmcnt(0)
	v_cmp_ne_u16_sdwa s[0:1], v15, v5 src0_sel:BYTE_0 src1_sel:DWORD
	s_and_saveexec_b64 s[12:13], s[0:1]
	s_cbranch_execz .LBB203_719
; %bb.714:                              ;   in Loop: Header=BB203_400 Depth=1
	v_bfrev_b32_e32 v16, 1
	v_mov_b32_e32 v17, 0
	v_cmp_ne_u16_sdwa s[0:1], v15, s28 src0_sel:BYTE_0 src1_sel:DWORD
	s_and_saveexec_b64 s[16:17], s[0:1]
	s_cbranch_execz .LBB203_718
; %bb.715:                              ;   in Loop: Header=BB203_400 Depth=1
	v_and_b32_e32 v0, 0x7f, v15
	v_mov_b32_e32 v16, 0x7f800001
	v_mov_b32_e32 v17, 0
	v_cmp_ne_u32_e64 s[0:1], s29, v0
	s_and_saveexec_b64 s[18:19], s[0:1]
	s_cbranch_execz .LBB203_717
; %bb.716:                              ;   in Loop: Header=BB203_400 Depth=1
	v_and_b32_e32 v11, 7, v15
	v_lshrrev_b32_e32 v16, 3, v0
	v_cmp_gt_u32_e64 s[0:1], 8, v0
	v_ffbh_u32_e32 v0, v11
	v_min_u32_e32 v0, 32, v0
	v_subrev_u32_e32 v7, 28, v0
	v_lshlrev_b64 v[7:8], v7, v[15:16]
	v_sub_u32_e32 v0, 29, v0
	v_and_b32_e32 v7, 7, v7
	v_cndmask_b32_e64 v0, v16, v0, s[0:1]
	v_cndmask_b32_e64 v7, v11, v7, s[0:1]
	v_bfrev_b32_e32 v11, 60
	v_lshlrev_b32_e32 v7, 20, v7
	v_and_b32_sdwa v8, sext(v15), s30 dst_sel:DWORD dst_unused:UNUSED_PAD src0_sel:BYTE_0 src1_sel:DWORD
	v_lshl_add_u32 v0, v0, 23, v11
	v_or3_b32 v16, v8, v0, v7
	v_mov_b32_e32 v17, v5
.LBB203_717:                            ;   in Loop: Header=BB203_400 Depth=1
	s_or_b64 exec, exec, s[18:19]
.LBB203_718:                            ;   in Loop: Header=BB203_400 Depth=1
	s_or_b64 exec, exec, s[16:17]
.LBB203_719:                            ;   in Loop: Header=BB203_400 Depth=1
	s_or_b64 exec, exec, s[12:13]
	v_cmp_ne_u16_sdwa s[0:1], v15, v5 src0_sel:BYTE_1 src1_sel:DWORD
	s_and_saveexec_b64 s[12:13], s[0:1]
	s_cbranch_execz .LBB203_725
; %bb.720:                              ;   in Loop: Header=BB203_400 Depth=1
	v_mov_b32_e32 v19, v6
	v_cmp_ne_u16_sdwa s[0:1], v15, s28 src0_sel:BYTE_1 src1_sel:DWORD
	v_mov_b32_e32 v18, v5
	s_and_saveexec_b64 s[16:17], s[0:1]
	s_cbranch_execz .LBB203_724
; %bb.721:                              ;   in Loop: Header=BB203_400 Depth=1
	v_and_b32_sdwa v0, v15, s29 dst_sel:DWORD dst_unused:UNUSED_PAD src0_sel:BYTE_1 src1_sel:DWORD
	v_mov_b32_e32 v11, v5
	v_mov_b32_e32 v19, v12
	v_cmp_ne_u32_e64 s[0:1], s29, v0
	v_mov_b32_e32 v18, v11
	s_and_saveexec_b64 s[18:19], s[0:1]
	s_cbranch_execz .LBB203_723
; %bb.722:                              ;   in Loop: Header=BB203_400 Depth=1
	v_mov_b32_e32 v7, 7
	v_and_b32_sdwa v7, v15, v7 dst_sel:DWORD dst_unused:UNUSED_PAD src0_sel:BYTE_1 src1_sel:DWORD
	v_lshrrev_b32_e32 v11, 3, v0
	v_cmp_gt_u32_e64 s[0:1], 8, v0
	v_ffbh_u32_e32 v0, v7
	v_min_u32_e32 v0, 32, v0
	v_mov_b32_e32 v8, v5
	v_subrev_u32_e32 v18, 28, v0
	v_lshlrev_b64 v[18:19], v18, v[7:8]
	v_sub_u32_e32 v0, 29, v0
	v_and_b32_e32 v8, 7, v18
	v_cndmask_b32_e64 v0, v11, v0, s[0:1]
	v_bfrev_b32_e32 v11, 60
	v_cndmask_b32_e64 v7, v7, v8, s[0:1]
	v_lshlrev_b32_e32 v8, 16, v15
	v_lshl_add_u32 v0, v0, 23, v11
	v_and_or_b32 v0, v8, s30, v0
	v_lshlrev_b32_e32 v7, 20, v7
	v_or_b32_e32 v19, v0, v7
	v_mov_b32_e32 v18, v5
.LBB203_723:                            ;   in Loop: Header=BB203_400 Depth=1
	s_or_b64 exec, exec, s[18:19]
.LBB203_724:                            ;   in Loop: Header=BB203_400 Depth=1
	s_or_b64 exec, exec, s[16:17]
.LBB203_725:                            ;   in Loop: Header=BB203_400 Depth=1
	s_or_b64 exec, exec, s[12:13]
	v_lshrrev_b32_e32 v11, 16, v15
	v_mov_b32_e32 v22, 0
	v_mov_b32_e32 v20, 0
	;; [unrolled: 1-line block ×4, first 2 shown]
	v_cmp_ne_u16_sdwa s[0:1], v11, v5 src0_sel:BYTE_0 src1_sel:DWORD
	s_and_saveexec_b64 s[12:13], s[0:1]
	s_cbranch_execz .LBB203_731
; %bb.726:                              ;   in Loop: Header=BB203_400 Depth=1
	v_bfrev_b32_e32 v20, 1
	v_mov_b32_e32 v21, 0
	v_cmp_ne_u16_sdwa s[0:1], v11, s28 src0_sel:BYTE_0 src1_sel:DWORD
	s_and_saveexec_b64 s[16:17], s[0:1]
	s_cbranch_execz .LBB203_730
; %bb.727:                              ;   in Loop: Header=BB203_400 Depth=1
	v_bfe_u32 v0, v15, 16, 7
	v_mov_b32_e32 v20, 0x7f800001
	v_mov_b32_e32 v21, 0
	v_cmp_ne_u32_e64 s[0:1], s29, v0
	s_and_saveexec_b64 s[18:19], s[0:1]
	s_cbranch_execz .LBB203_729
; %bb.728:                              ;   in Loop: Header=BB203_400 Depth=1
	v_and_b32_e32 v20, 7, v11
	v_lshrrev_b32_e32 v21, 3, v0
	v_cmp_gt_u32_e64 s[0:1], 8, v0
	v_ffbh_u32_e32 v0, v20
	v_min_u32_e32 v0, 32, v0
	v_subrev_u32_e32 v7, 28, v0
	v_lshlrev_b64 v[7:8], v7, v[11:12]
	v_sub_u32_e32 v0, 29, v0
	v_and_b32_e32 v7, 7, v7
	v_cndmask_b32_e64 v0, v21, v0, s[0:1]
	v_cndmask_b32_e64 v7, v20, v7, s[0:1]
	v_and_b32_sdwa v8, sext(v11), s30 dst_sel:DWORD dst_unused:UNUSED_PAD src0_sel:BYTE_0 src1_sel:DWORD
	v_bfrev_b32_e32 v11, 60
	v_lshlrev_b32_e32 v7, 20, v7
	v_lshl_add_u32 v0, v0, 23, v11
	v_or3_b32 v20, v8, v0, v7
	v_mov_b32_e32 v21, v5
.LBB203_729:                            ;   in Loop: Header=BB203_400 Depth=1
	s_or_b64 exec, exec, s[18:19]
.LBB203_730:                            ;   in Loop: Header=BB203_400 Depth=1
	s_or_b64 exec, exec, s[16:17]
.LBB203_731:                            ;   in Loop: Header=BB203_400 Depth=1
	s_or_b64 exec, exec, s[12:13]
	v_cmp_lt_u32_e64 s[0:1], s31, v15
	s_and_saveexec_b64 s[12:13], s[0:1]
	s_cbranch_execz .LBB203_737
; %bb.732:                              ;   in Loop: Header=BB203_400 Depth=1
	v_mov_b32_e32 v23, v6
	v_cmp_ne_u32_sdwa s[0:1], v15, s28 src0_sel:BYTE_3 src1_sel:DWORD
	v_mov_b32_e32 v22, v5
	s_and_saveexec_b64 s[16:17], s[0:1]
	s_cbranch_execz .LBB203_736
; %bb.733:                              ;   in Loop: Header=BB203_400 Depth=1
	v_bfe_u32 v0, v15, 24, 7
	v_mov_b32_e32 v11, v5
	v_mov_b32_e32 v23, v12
	v_cmp_ne_u32_e64 s[0:1], s29, v0
	v_mov_b32_e32 v22, v11
	s_and_saveexec_b64 s[18:19], s[0:1]
	s_cbranch_execz .LBB203_735
; %bb.734:                              ;   in Loop: Header=BB203_400 Depth=1
	v_mov_b32_e32 v7, 7
	v_and_b32_sdwa v7, v15, v7 dst_sel:DWORD dst_unused:UNUSED_PAD src0_sel:BYTE_3 src1_sel:DWORD
	v_lshrrev_b32_e32 v11, 3, v0
	v_cmp_gt_u32_e64 s[0:1], 8, v0
	v_ffbh_u32_e32 v0, v7
	v_min_u32_e32 v0, 32, v0
	v_mov_b32_e32 v8, v5
	v_subrev_u32_e32 v22, 28, v0
	v_lshlrev_b64 v[22:23], v22, v[7:8]
	v_sub_u32_e32 v0, 29, v0
	v_and_b32_e32 v8, 7, v22
	v_cndmask_b32_e64 v0, v11, v0, s[0:1]
	v_cndmask_b32_e64 v7, v7, v8, s[0:1]
	v_mov_b32_e32 v8, 24
	v_bfrev_b32_e32 v11, 60
	v_lshlrev_b32_sdwa v8, v8, v15 dst_sel:DWORD dst_unused:UNUSED_PAD src0_sel:DWORD src1_sel:BYTE_3
	v_lshl_add_u32 v0, v0, 23, v11
	v_and_or_b32 v0, v8, s30, v0
	v_lshlrev_b32_e32 v7, 20, v7
	v_or_b32_e32 v23, v0, v7
	v_mov_b32_e32 v22, v5
.LBB203_735:                            ;   in Loop: Header=BB203_400 Depth=1
	s_or_b64 exec, exec, s[18:19]
.LBB203_736:                            ;   in Loop: Header=BB203_400 Depth=1
	s_or_b64 exec, exec, s[16:17]
.LBB203_737:                            ;   in Loop: Header=BB203_400 Depth=1
	s_or_b64 exec, exec, s[12:13]
	v_or_b32_e32 v0, v19, v17
	v_or_b32_e32 v7, v18, v16
	v_mul_f32_e32 v63, s38, v0
	v_mul_f32_e32 v48, s37, v7
	v_or_b32_e32 v7, v23, v21
	v_or_b32_e32 v0, v22, v20
	v_mul_f32_e32 v0, s37, v0
	v_mul_f32_e32 v27, s38, v7
	s_and_saveexec_b64 s[12:13], vcc
; %bb.738:                              ;   in Loop: Header=BB203_400 Depth=1
	v_cmp_gt_i32_e64 s[0:1], s33, v39
	v_cndmask_b32_e64 v48, 0, v48, s[0:1]
	v_cmp_gt_i32_e64 s[0:1], s33, v56
	v_cndmask_b32_e64 v63, 0, v63, s[0:1]
	;; [unrolled: 2-line block ×4, first 2 shown]
; %bb.739:                              ;   in Loop: Header=BB203_400 Depth=1
	s_or_b64 exec, exec, s[12:13]
	global_load_dword v15, v[13:14], off offset:3328
	v_mov_b32_e32 v18, 0
	v_mov_b32_e32 v16, 0
	;; [unrolled: 1-line block ×4, first 2 shown]
	s_waitcnt vmcnt(0)
	v_cmp_ne_u16_sdwa s[0:1], v15, v5 src0_sel:BYTE_0 src1_sel:DWORD
	s_and_saveexec_b64 s[12:13], s[0:1]
	s_cbranch_execz .LBB203_745
; %bb.740:                              ;   in Loop: Header=BB203_400 Depth=1
	v_bfrev_b32_e32 v16, 1
	v_mov_b32_e32 v17, 0
	v_cmp_ne_u16_sdwa s[0:1], v15, s28 src0_sel:BYTE_0 src1_sel:DWORD
	s_and_saveexec_b64 s[16:17], s[0:1]
	s_cbranch_execz .LBB203_744
; %bb.741:                              ;   in Loop: Header=BB203_400 Depth=1
	v_and_b32_e32 v7, 0x7f, v15
	v_mov_b32_e32 v16, 0x7f800001
	v_mov_b32_e32 v17, 0
	v_cmp_ne_u32_e64 s[0:1], s29, v7
	s_and_saveexec_b64 s[18:19], s[0:1]
	s_cbranch_execz .LBB203_743
; %bb.742:                              ;   in Loop: Header=BB203_400 Depth=1
	v_and_b32_e32 v11, 7, v15
	v_lshrrev_b32_e32 v16, 3, v7
	v_cmp_gt_u32_e64 s[0:1], 8, v7
	v_ffbh_u32_e32 v7, v11
	v_min_u32_e32 v17, 32, v7
	v_subrev_u32_e32 v7, 28, v17
	v_lshlrev_b64 v[7:8], v7, v[15:16]
	v_sub_u32_e32 v8, 29, v17
	v_and_b32_e32 v7, 7, v7
	v_cndmask_b32_e64 v8, v16, v8, s[0:1]
	v_cndmask_b32_e64 v7, v11, v7, s[0:1]
	v_bfrev_b32_e32 v16, 60
	v_lshlrev_b32_e32 v7, 20, v7
	v_and_b32_sdwa v11, sext(v15), s30 dst_sel:DWORD dst_unused:UNUSED_PAD src0_sel:BYTE_0 src1_sel:DWORD
	v_lshl_add_u32 v8, v8, 23, v16
	v_or3_b32 v16, v11, v8, v7
	v_mov_b32_e32 v17, v5
.LBB203_743:                            ;   in Loop: Header=BB203_400 Depth=1
	s_or_b64 exec, exec, s[18:19]
.LBB203_744:                            ;   in Loop: Header=BB203_400 Depth=1
	s_or_b64 exec, exec, s[16:17]
.LBB203_745:                            ;   in Loop: Header=BB203_400 Depth=1
	s_or_b64 exec, exec, s[12:13]
	v_cmp_ne_u16_sdwa s[0:1], v15, v5 src0_sel:BYTE_1 src1_sel:DWORD
	s_and_saveexec_b64 s[12:13], s[0:1]
	s_cbranch_execz .LBB203_751
; %bb.746:                              ;   in Loop: Header=BB203_400 Depth=1
	v_mov_b32_e32 v19, v6
	v_cmp_ne_u16_sdwa s[0:1], v15, s28 src0_sel:BYTE_1 src1_sel:DWORD
	v_mov_b32_e32 v18, v5
	s_and_saveexec_b64 s[16:17], s[0:1]
	s_cbranch_execz .LBB203_750
; %bb.747:                              ;   in Loop: Header=BB203_400 Depth=1
	v_and_b32_sdwa v7, v15, s29 dst_sel:DWORD dst_unused:UNUSED_PAD src0_sel:BYTE_1 src1_sel:DWORD
	v_mov_b32_e32 v11, v5
	v_mov_b32_e32 v19, v12
	v_cmp_ne_u32_e64 s[0:1], s29, v7
	v_mov_b32_e32 v18, v11
	s_and_saveexec_b64 s[18:19], s[0:1]
	s_cbranch_execz .LBB203_749
; %bb.748:                              ;   in Loop: Header=BB203_400 Depth=1
	v_mov_b32_e32 v8, 7
	v_and_b32_sdwa v18, v15, v8 dst_sel:DWORD dst_unused:UNUSED_PAD src0_sel:BYTE_1 src1_sel:DWORD
	v_lshrrev_b32_e32 v11, 3, v7
	v_cmp_gt_u32_e64 s[0:1], 8, v7
	v_ffbh_u32_e32 v7, v18
	v_min_u32_e32 v20, 32, v7
	v_mov_b32_e32 v19, v5
	v_subrev_u32_e32 v7, 28, v20
	v_lshlrev_b64 v[7:8], v7, v[18:19]
	v_sub_u32_e32 v8, 29, v20
	v_and_b32_e32 v7, 7, v7
	v_cndmask_b32_e64 v8, v11, v8, s[0:1]
	v_cndmask_b32_e64 v7, v18, v7, s[0:1]
	v_bfrev_b32_e32 v18, 60
	v_lshlrev_b32_e32 v11, 16, v15
	v_lshl_add_u32 v8, v8, 23, v18
	v_and_or_b32 v8, v11, s30, v8
	v_lshlrev_b32_e32 v7, 20, v7
	v_or_b32_e32 v19, v8, v7
	v_mov_b32_e32 v18, v5
.LBB203_749:                            ;   in Loop: Header=BB203_400 Depth=1
	s_or_b64 exec, exec, s[18:19]
.LBB203_750:                            ;   in Loop: Header=BB203_400 Depth=1
	s_or_b64 exec, exec, s[16:17]
.LBB203_751:                            ;   in Loop: Header=BB203_400 Depth=1
	s_or_b64 exec, exec, s[12:13]
	v_lshrrev_b32_e32 v11, 16, v15
	v_mov_b32_e32 v22, 0
	v_mov_b32_e32 v20, 0
	;; [unrolled: 1-line block ×4, first 2 shown]
	v_cmp_ne_u16_sdwa s[0:1], v11, v5 src0_sel:BYTE_0 src1_sel:DWORD
	s_and_saveexec_b64 s[12:13], s[0:1]
	s_cbranch_execz .LBB203_757
; %bb.752:                              ;   in Loop: Header=BB203_400 Depth=1
	v_bfrev_b32_e32 v20, 1
	v_mov_b32_e32 v21, 0
	v_cmp_ne_u16_sdwa s[0:1], v11, s28 src0_sel:BYTE_0 src1_sel:DWORD
	s_and_saveexec_b64 s[16:17], s[0:1]
	s_cbranch_execz .LBB203_756
; %bb.753:                              ;   in Loop: Header=BB203_400 Depth=1
	v_bfe_u32 v7, v15, 16, 7
	v_mov_b32_e32 v20, 0x7f800001
	v_mov_b32_e32 v21, 0
	v_cmp_ne_u32_e64 s[0:1], s29, v7
	s_and_saveexec_b64 s[18:19], s[0:1]
	s_cbranch_execz .LBB203_755
; %bb.754:                              ;   in Loop: Header=BB203_400 Depth=1
	v_and_b32_e32 v20, 7, v11
	v_lshrrev_b32_e32 v21, 3, v7
	v_cmp_gt_u32_e64 s[0:1], 8, v7
	v_ffbh_u32_e32 v7, v20
	v_min_u32_e32 v24, 32, v7
	v_subrev_u32_e32 v7, 28, v24
	v_lshlrev_b64 v[7:8], v7, v[11:12]
	v_sub_u32_e32 v8, 29, v24
	buffer_load_dword v24, off, s[56:59], 0 offset:288 ; 4-byte Folded Reload
	v_and_b32_e32 v7, 7, v7
	v_cndmask_b32_e64 v8, v21, v8, s[0:1]
	v_cndmask_b32_e64 v7, v20, v7, s[0:1]
	v_bfrev_b32_e32 v20, 60
	v_lshlrev_b32_e32 v7, 20, v7
	v_and_b32_sdwa v11, sext(v11), s30 dst_sel:DWORD dst_unused:UNUSED_PAD src0_sel:BYTE_0 src1_sel:DWORD
	v_lshl_add_u32 v8, v8, 23, v20
	v_or3_b32 v20, v11, v8, v7
	v_mov_b32_e32 v21, v5
.LBB203_755:                            ;   in Loop: Header=BB203_400 Depth=1
	s_or_b64 exec, exec, s[18:19]
.LBB203_756:                            ;   in Loop: Header=BB203_400 Depth=1
	s_or_b64 exec, exec, s[16:17]
.LBB203_757:                            ;   in Loop: Header=BB203_400 Depth=1
	s_or_b64 exec, exec, s[12:13]
	v_cmp_lt_u32_e64 s[0:1], s31, v15
	s_and_saveexec_b64 s[12:13], s[0:1]
	s_cbranch_execz .LBB203_763
; %bb.758:                              ;   in Loop: Header=BB203_400 Depth=1
	v_mov_b32_e32 v23, v6
	v_cmp_ne_u32_sdwa s[0:1], v15, s28 src0_sel:BYTE_3 src1_sel:DWORD
	v_mov_b32_e32 v22, v5
	s_and_saveexec_b64 s[16:17], s[0:1]
	s_cbranch_execz .LBB203_762
; %bb.759:                              ;   in Loop: Header=BB203_400 Depth=1
	v_bfe_u32 v7, v15, 24, 7
	v_mov_b32_e32 v11, v5
	v_mov_b32_e32 v23, v12
	v_cmp_ne_u32_e64 s[0:1], s29, v7
	v_mov_b32_e32 v22, v11
	s_and_saveexec_b64 s[18:19], s[0:1]
	s_cbranch_execz .LBB203_761
; %bb.760:                              ;   in Loop: Header=BB203_400 Depth=1
	v_mov_b32_e32 v8, 7
	v_and_b32_sdwa v22, v15, v8 dst_sel:DWORD dst_unused:UNUSED_PAD src0_sel:BYTE_3 src1_sel:DWORD
	v_lshrrev_b32_e32 v11, 3, v7
	v_cmp_gt_u32_e64 s[0:1], 8, v7
	v_ffbh_u32_e32 v7, v22
	s_waitcnt vmcnt(0)
	v_min_u32_e32 v24, 32, v7
	v_mov_b32_e32 v23, v5
	v_subrev_u32_e32 v7, 28, v24
	v_lshlrev_b64 v[7:8], v7, v[22:23]
	v_sub_u32_e32 v8, 29, v24
	buffer_load_dword v24, off, s[56:59], 0 offset:288 ; 4-byte Folded Reload
	v_cndmask_b32_e64 v8, v11, v8, s[0:1]
	v_mov_b32_e32 v11, 24
	v_and_b32_e32 v7, 7, v7
	v_lshlrev_b32_sdwa v11, v11, v15 dst_sel:DWORD dst_unused:UNUSED_PAD src0_sel:DWORD src1_sel:BYTE_3
	v_bfrev_b32_e32 v15, 60
	v_cndmask_b32_e64 v7, v22, v7, s[0:1]
	v_lshl_add_u32 v8, v8, 23, v15
	v_and_or_b32 v8, v11, s30, v8
	v_lshlrev_b32_e32 v7, 20, v7
	v_or_b32_e32 v23, v8, v7
	v_mov_b32_e32 v22, v5
.LBB203_761:                            ;   in Loop: Header=BB203_400 Depth=1
	s_or_b64 exec, exec, s[18:19]
.LBB203_762:                            ;   in Loop: Header=BB203_400 Depth=1
	s_or_b64 exec, exec, s[16:17]
.LBB203_763:                            ;   in Loop: Header=BB203_400 Depth=1
	s_or_b64 exec, exec, s[12:13]
	v_or_b32_e32 v7, v19, v17
	v_or_b32_e32 v8, v18, v16
	v_mul_f32_e32 v43, s38, v7
	v_mul_f32_e32 v7, s37, v8
	v_or_b32_e32 v8, v23, v21
	v_or_b32_e32 v11, v22, v20
	v_mul_f32_e32 v23, s37, v11
	v_mul_f32_e32 v22, s38, v8
	s_and_saveexec_b64 s[12:13], vcc
; %bb.764:                              ;   in Loop: Header=BB203_400 Depth=1
	v_cmp_gt_i32_e64 s[0:1], s33, v39
	v_cndmask_b32_e64 v7, 0, v7, s[0:1]
	v_cmp_gt_i32_e64 s[0:1], s33, v56
	v_cndmask_b32_e64 v43, 0, v43, s[0:1]
	;; [unrolled: 2-line block ×4, first 2 shown]
; %bb.765:                              ;   in Loop: Header=BB203_400 Depth=1
	s_or_b64 exec, exec, s[12:13]
	global_load_dword v13, v[13:14], off offset:3584
	v_mov_b32_e32 v16, 0
	v_mov_b32_e32 v14, 0
	;; [unrolled: 1-line block ×4, first 2 shown]
	s_waitcnt vmcnt(0)
	v_cmp_ne_u16_sdwa s[0:1], v13, v5 src0_sel:BYTE_0 src1_sel:DWORD
	s_and_saveexec_b64 s[12:13], s[0:1]
	s_cbranch_execz .LBB203_771
; %bb.766:                              ;   in Loop: Header=BB203_400 Depth=1
	v_bfrev_b32_e32 v14, 1
	v_mov_b32_e32 v15, 0
	v_cmp_ne_u16_sdwa s[0:1], v13, s28 src0_sel:BYTE_0 src1_sel:DWORD
	s_and_saveexec_b64 s[16:17], s[0:1]
	s_cbranch_execz .LBB203_770
; %bb.767:                              ;   in Loop: Header=BB203_400 Depth=1
	v_and_b32_e32 v8, 0x7f, v13
	v_mov_b32_e32 v14, 0x7f800001
	v_mov_b32_e32 v15, 0
	v_cmp_ne_u32_e64 s[0:1], s29, v8
	s_and_saveexec_b64 s[18:19], s[0:1]
	s_cbranch_execz .LBB203_769
; %bb.768:                              ;   in Loop: Header=BB203_400 Depth=1
	v_and_b32_e32 v11, 7, v13
	v_lshrrev_b32_e32 v18, 3, v8
	v_cmp_gt_u32_e64 s[0:1], 8, v8
	v_ffbh_u32_e32 v8, v11
	v_min_u32_e32 v8, 32, v8
	v_subrev_u32_e32 v14, 28, v8
	v_lshlrev_b64 v[14:15], v14, v[13:14]
	v_sub_u32_e32 v8, 29, v8
	v_and_b32_e32 v14, 7, v14
	v_cndmask_b32_e64 v8, v18, v8, s[0:1]
	v_cndmask_b32_e64 v11, v11, v14, s[0:1]
	v_bfrev_b32_e32 v15, 60
	v_lshlrev_b32_e32 v11, 20, v11
	v_and_b32_sdwa v14, sext(v13), s30 dst_sel:DWORD dst_unused:UNUSED_PAD src0_sel:BYTE_0 src1_sel:DWORD
	v_lshl_add_u32 v8, v8, 23, v15
	v_or3_b32 v14, v14, v8, v11
	v_mov_b32_e32 v15, v5
.LBB203_769:                            ;   in Loop: Header=BB203_400 Depth=1
	s_or_b64 exec, exec, s[18:19]
.LBB203_770:                            ;   in Loop: Header=BB203_400 Depth=1
	s_or_b64 exec, exec, s[16:17]
.LBB203_771:                            ;   in Loop: Header=BB203_400 Depth=1
	s_or_b64 exec, exec, s[12:13]
	v_cmp_ne_u16_sdwa s[0:1], v13, v5 src0_sel:BYTE_1 src1_sel:DWORD
	s_and_saveexec_b64 s[12:13], s[0:1]
	s_cbranch_execz .LBB203_777
; %bb.772:                              ;   in Loop: Header=BB203_400 Depth=1
	v_mov_b32_e32 v17, v6
	v_cmp_ne_u16_sdwa s[0:1], v13, s28 src0_sel:BYTE_1 src1_sel:DWORD
	v_mov_b32_e32 v16, v5
	s_and_saveexec_b64 s[16:17], s[0:1]
	s_cbranch_execz .LBB203_776
; %bb.773:                              ;   in Loop: Header=BB203_400 Depth=1
	v_and_b32_sdwa v18, v13, s29 dst_sel:DWORD dst_unused:UNUSED_PAD src0_sel:BYTE_1 src1_sel:DWORD
	v_mov_b32_e32 v11, v5
	v_mov_b32_e32 v17, v12
	v_cmp_ne_u32_e64 s[0:1], s29, v18
	v_mov_b32_e32 v16, v11
	s_and_saveexec_b64 s[18:19], s[0:1]
	s_cbranch_execz .LBB203_775
; %bb.774:                              ;   in Loop: Header=BB203_400 Depth=1
	v_mov_b32_e32 v8, 7
	v_and_b32_sdwa v16, v13, v8 dst_sel:DWORD dst_unused:UNUSED_PAD src0_sel:BYTE_1 src1_sel:DWORD
	v_ffbh_u32_e32 v11, v16
	v_min_u32_e32 v11, 32, v11
	v_mov_b32_e32 v17, v5
	v_lshrrev_b32_e32 v8, 3, v18
	v_cmp_gt_u32_e64 s[0:1], 8, v18
	v_subrev_u32_e32 v18, 28, v11
	v_lshlrev_b64 v[17:18], v18, v[16:17]
	v_sub_u32_e32 v11, 29, v11
	v_and_b32_e32 v17, 7, v17
	v_cndmask_b32_e64 v8, v8, v11, s[0:1]
	v_cndmask_b32_e64 v11, v16, v17, s[0:1]
	v_bfrev_b32_e32 v17, 60
	v_lshlrev_b32_e32 v16, 16, v13
	v_lshl_add_u32 v8, v8, 23, v17
	v_and_or_b32 v8, v16, s30, v8
	v_lshlrev_b32_e32 v11, 20, v11
	v_or_b32_e32 v17, v8, v11
	v_mov_b32_e32 v16, v5
.LBB203_775:                            ;   in Loop: Header=BB203_400 Depth=1
	s_or_b64 exec, exec, s[18:19]
.LBB203_776:                            ;   in Loop: Header=BB203_400 Depth=1
	s_or_b64 exec, exec, s[16:17]
.LBB203_777:                            ;   in Loop: Header=BB203_400 Depth=1
	s_or_b64 exec, exec, s[12:13]
	v_lshrrev_b32_e32 v11, 16, v13
	v_mov_b32_e32 v20, 0
	v_mov_b32_e32 v18, 0
	;; [unrolled: 1-line block ×4, first 2 shown]
	v_cmp_ne_u16_sdwa s[0:1], v11, v5 src0_sel:BYTE_0 src1_sel:DWORD
	s_and_saveexec_b64 s[12:13], s[0:1]
	s_cbranch_execz .LBB203_783
; %bb.778:                              ;   in Loop: Header=BB203_400 Depth=1
	v_bfrev_b32_e32 v18, 1
	v_mov_b32_e32 v19, 0
	v_cmp_ne_u16_sdwa s[0:1], v11, s28 src0_sel:BYTE_0 src1_sel:DWORD
	s_and_saveexec_b64 s[16:17], s[0:1]
	s_cbranch_execz .LBB203_782
; %bb.779:                              ;   in Loop: Header=BB203_400 Depth=1
	v_bfe_u32 v8, v13, 16, 7
	v_mov_b32_e32 v18, 0x7f800001
	v_mov_b32_e32 v19, 0
	v_cmp_ne_u32_e64 s[0:1], s29, v8
	s_and_saveexec_b64 s[18:19], s[0:1]
	s_cbranch_execz .LBB203_781
; %bb.780:                              ;   in Loop: Header=BB203_400 Depth=1
	v_and_b32_e32 v24, 7, v11
	v_mov_b32_e32 v38, v37
	v_mov_b32_e32 v37, v36
	;; [unrolled: 1-line block ×15, first 2 shown]
	v_lshrrev_b32_e32 v25, 3, v8
	v_cmp_gt_u32_e64 s[0:1], 8, v8
	v_ffbh_u32_e32 v8, v24
	v_min_u32_e32 v8, 32, v8
	v_subrev_u32_e32 v18, 28, v8
	v_lshlrev_b64 v[18:19], v18, v[11:12]
	v_sub_u32_e32 v8, 29, v8
	v_and_b32_e32 v18, 7, v18
	v_cndmask_b32_e64 v8, v25, v8, s[0:1]
	v_mov_b32_e32 v25, v44
	v_mov_b32_e32 v44, v26
	;; [unrolled: 1-line block ×15, first 2 shown]
	buffer_load_dword v38, off, s[56:59], 0 offset:292 ; 4-byte Folded Reload
	v_cndmask_b32_e64 v18, v24, v18, s[0:1]
	buffer_load_dword v24, off, s[56:59], 0 offset:288 ; 4-byte Folded Reload
	v_bfrev_b32_e32 v19, 60
	v_lshlrev_b32_e32 v18, 20, v18
	v_and_b32_sdwa v11, sext(v11), s30 dst_sel:DWORD dst_unused:UNUSED_PAD src0_sel:BYTE_0 src1_sel:DWORD
	v_lshl_add_u32 v8, v8, 23, v19
	v_or3_b32 v18, v11, v8, v18
	v_mov_b32_e32 v19, v5
.LBB203_781:                            ;   in Loop: Header=BB203_400 Depth=1
	s_or_b64 exec, exec, s[18:19]
.LBB203_782:                            ;   in Loop: Header=BB203_400 Depth=1
	s_or_b64 exec, exec, s[16:17]
.LBB203_783:                            ;   in Loop: Header=BB203_400 Depth=1
	s_or_b64 exec, exec, s[12:13]
	v_cmp_lt_u32_e64 s[0:1], s31, v13
	s_and_saveexec_b64 s[12:13], s[0:1]
	s_cbranch_execz .LBB203_789
; %bb.784:                              ;   in Loop: Header=BB203_400 Depth=1
	v_mov_b32_e32 v21, v6
	v_cmp_ne_u32_sdwa s[0:1], v13, s28 src0_sel:BYTE_3 src1_sel:DWORD
	v_mov_b32_e32 v20, v5
	s_and_saveexec_b64 s[16:17], s[0:1]
	s_cbranch_execz .LBB203_788
; %bb.785:                              ;   in Loop: Header=BB203_400 Depth=1
	v_bfe_u32 v8, v13, 24, 7
	v_mov_b32_e32 v11, v5
	v_mov_b32_e32 v21, v12
	v_cmp_ne_u32_e64 s[0:1], s29, v8
	v_mov_b32_e32 v20, v11
	s_and_saveexec_b64 s[18:19], s[0:1]
	s_cbranch_execz .LBB203_787
; %bb.786:                              ;   in Loop: Header=BB203_400 Depth=1
	v_mov_b32_e32 v11, 7
	v_and_b32_sdwa v20, v13, v11 dst_sel:DWORD dst_unused:UNUSED_PAD src0_sel:BYTE_3 src1_sel:DWORD
	v_lshrrev_b32_e32 v11, 3, v8
	v_cmp_gt_u32_e64 s[0:1], 8, v8
	v_ffbh_u32_e32 v8, v20
	v_min_u32_e32 v8, 32, v8
	v_mov_b32_e32 v21, v5
	s_waitcnt vmcnt(0)
	v_subrev_u32_e32 v24, 28, v8
	v_mov_b32_e32 v38, v37
	v_mov_b32_e32 v37, v36
	;; [unrolled: 1-line block ×15, first 2 shown]
	v_lshlrev_b64 v[24:25], v24, v[20:21]
	v_mov_b32_e32 v25, v44
	v_mov_b32_e32 v44, v26
	;; [unrolled: 1-line block ×15, first 2 shown]
	buffer_load_dword v38, off, s[56:59], 0 offset:292 ; 4-byte Folded Reload
	v_and_b32_e32 v21, 7, v24
	buffer_load_dword v24, off, s[56:59], 0 offset:288 ; 4-byte Folded Reload
	v_sub_u32_e32 v8, 29, v8
	v_cndmask_b32_e64 v8, v11, v8, s[0:1]
	v_cndmask_b32_e64 v11, v20, v21, s[0:1]
	v_mov_b32_e32 v20, 24
	v_lshlrev_b32_sdwa v13, v20, v13 dst_sel:DWORD dst_unused:UNUSED_PAD src0_sel:DWORD src1_sel:BYTE_3
	v_bfrev_b32_e32 v20, 60
	v_lshl_add_u32 v8, v8, 23, v20
	v_and_or_b32 v8, v13, s30, v8
	v_lshlrev_b32_e32 v11, 20, v11
	v_or_b32_e32 v21, v8, v11
	v_mov_b32_e32 v20, v5
.LBB203_787:                            ;   in Loop: Header=BB203_400 Depth=1
	s_or_b64 exec, exec, s[18:19]
.LBB203_788:                            ;   in Loop: Header=BB203_400 Depth=1
	s_or_b64 exec, exec, s[16:17]
.LBB203_789:                            ;   in Loop: Header=BB203_400 Depth=1
	s_or_b64 exec, exec, s[12:13]
	v_or_b32_e32 v8, v17, v15
	v_or_b32_e32 v13, v16, v14
	v_mul_f32_e32 v11, s38, v8
	v_mul_f32_e32 v15, s37, v13
	v_or_b32_e32 v8, v21, v19
	v_or_b32_e32 v13, v20, v18
	v_mul_f32_e32 v14, s37, v13
	v_mul_f32_e32 v13, s38, v8
	s_and_saveexec_b64 s[0:1], vcc
	s_cbranch_execz .LBB203_398
; %bb.790:                              ;   in Loop: Header=BB203_400 Depth=1
	v_cmp_gt_i32_e32 vcc, s33, v39
	v_cndmask_b32_e32 v15, 0, v15, vcc
	v_cmp_gt_i32_e32 vcc, s33, v56
	v_cndmask_b32_e32 v11, 0, v11, vcc
	;; [unrolled: 2-line block ×4, first 2 shown]
	s_branch .LBB203_398
.LBB203_791:
	s_or_b64 exec, exec, s[4:5]
	buffer_load_dword v21, off, s[56:59], 0 offset:300 ; 4-byte Folded Reload
	buffer_load_dword v16, off, s[56:59], 0 offset:316 ; 4-byte Folded Reload
	;; [unrolled: 1-line block ×5, first 2 shown]
.LBB203_792:
	s_or_b64 exec, exec, s[2:3]
	s_waitcnt vmcnt(3)
	ds_bpermute_b32 v0, v16, v36
	ds_bpermute_b32 v1, v16, v37
	;; [unrolled: 1-line block ×4, first 2 shown]
	s_waitcnt lgkmcnt(0)
	v_add_f32_e32 v0, v36, v0
	s_waitcnt vmcnt(2)
	ds_bpermute_b32 v3, v19, v0
	v_add_f32_e32 v1, v37, v1
	ds_bpermute_b32 v4, v19, v1
	v_add_f32_e32 v2, v35, v2
	v_add_f32_e32 v5, v34, v5
	s_waitcnt lgkmcnt(1)
	v_add_f32_e32 v0, v0, v3
	s_waitcnt vmcnt(1)
	ds_bpermute_b32 v3, v22, v0
	s_waitcnt lgkmcnt(1)
	v_add_f32_e32 v1, v1, v4
	ds_bpermute_b32 v6, v19, v2
	ds_bpermute_b32 v7, v19, v5
	;; [unrolled: 1-line block ×3, first 2 shown]
	s_waitcnt lgkmcnt(3)
	v_add_f32_e32 v0, v0, v3
	ds_bpermute_b32 v3, v16, v53
	s_waitcnt lgkmcnt(3)
	v_add_f32_e32 v2, v2, v6
	s_waitcnt lgkmcnt(2)
	v_add_f32_e32 v5, v5, v7
	;; [unrolled: 2-line block ×3, first 2 shown]
	ds_bpermute_b32 v4, v22, v2
	s_waitcnt lgkmcnt(1)
	v_add_f32_e32 v8, v53, v3
	ds_bpermute_b32 v6, v16, v33
	ds_bpermute_b32 v7, v22, v5
	;; [unrolled: 1-line block ×3, first 2 shown]
	s_waitcnt lgkmcnt(3)
	v_add_f32_e32 v2, v2, v4
	s_waitcnt vmcnt(0) lgkmcnt(0)
	s_barrier
	v_add_f32_e32 v4, v33, v6
	v_add_f32_e32 v3, v5, v7
	;; [unrolled: 1-line block ×3, first 2 shown]
	ds_bpermute_b32 v6, v19, v4
	ds_bpermute_b32 v7, v16, v32
	;; [unrolled: 1-line block ×4, first 2 shown]
	s_waitcnt lgkmcnt(0)
	v_add_f32_e32 v6, v4, v6
	v_add_f32_e32 v7, v32, v7
	;; [unrolled: 1-line block ×4, first 2 shown]
	ds_bpermute_b32 v10, v22, v6
	ds_bpermute_b32 v11, v19, v7
	;; [unrolled: 1-line block ×3, first 2 shown]
	s_waitcnt lgkmcnt(2)
	v_add_f32_e32 v5, v6, v10
	s_waitcnt lgkmcnt(1)
	v_add_f32_e32 v6, v7, v11
	ds_bpermute_b32 v7, v16, v30
	s_waitcnt lgkmcnt(1)
	v_add_f32_e32 v8, v8, v9
	ds_bpermute_b32 v9, v16, v47
	ds_bpermute_b32 v10, v22, v6
	;; [unrolled: 1-line block ×3, first 2 shown]
	s_waitcnt lgkmcnt(3)
	v_add_f32_e32 v12, v30, v7
	ds_bpermute_b32 v13, v19, v12
	s_waitcnt lgkmcnt(3)
	v_add_f32_e32 v9, v47, v9
	s_waitcnt lgkmcnt(2)
	v_add_f32_e32 v6, v6, v10
	ds_bpermute_b32 v10, v19, v9
	s_waitcnt lgkmcnt(2)
	v_add_f32_e32 v7, v8, v11
	s_waitcnt lgkmcnt(1)
	v_add_f32_e32 v8, v12, v13
	ds_bpermute_b32 v12, v22, v8
	ds_bpermute_b32 v11, v16, v29
	s_waitcnt lgkmcnt(2)
	v_add_f32_e32 v9, v9, v10
	ds_bpermute_b32 v10, v16, v28
	ds_bpermute_b32 v13, v22, v9
	s_waitcnt lgkmcnt(3)
	v_add_f32_e32 v8, v8, v12
	s_waitcnt lgkmcnt(2)
	v_add_f32_e32 v11, v29, v11
	ds_bpermute_b32 v14, v19, v11
	s_waitcnt lgkmcnt(2)
	v_add_f32_e32 v10, v28, v10
	ds_bpermute_b32 v12, v19, v10
	s_waitcnt lgkmcnt(2)
	v_add_f32_e32 v9, v9, v13
	s_waitcnt lgkmcnt(1)
	v_add_f32_e32 v11, v11, v14
	ds_bpermute_b32 v13, v22, v11
	s_waitcnt lgkmcnt(1)
	v_add_f32_e32 v12, v10, v12
	ds_bpermute_b32 v10, v16, v44
	ds_bpermute_b32 v15, v22, v12
	;; [unrolled: 1-line block ×4, first 2 shown]
	s_waitcnt lgkmcnt(3)
	v_add_f32_e32 v10, v44, v10
	ds_bpermute_b32 v18, v19, v10
	s_waitcnt lgkmcnt(2)
	v_add_f32_e32 v14, v26, v14
	s_waitcnt lgkmcnt(1)
	v_add_f32_e32 v16, v25, v16
	ds_bpermute_b32 v17, v19, v14
	ds_bpermute_b32 v19, v19, v16
	s_waitcnt lgkmcnt(2)
	v_add_f32_e32 v18, v10, v18
	v_add_f32_e32 v10, v11, v13
	v_add_f32_e32 v11, v12, v15
	buffer_load_dword v15, off, s[56:59], 0 offset:492 ; 4-byte Folded Reload
	s_waitcnt lgkmcnt(1)
	v_add_f32_e32 v14, v14, v17
	s_waitcnt lgkmcnt(0)
	v_add_f32_e32 v16, v16, v19
	ds_bpermute_b32 v17, v22, v14
	ds_bpermute_b32 v19, v22, v16
	;; [unrolled: 1-line block ×3, first 2 shown]
	s_waitcnt lgkmcnt(2)
	v_add_f32_e32 v12, v14, v17
	s_waitcnt lgkmcnt(1)
	v_add_f32_e32 v14, v16, v19
	;; [unrolled: 2-line block ×3, first 2 shown]
	s_waitcnt vmcnt(0)
	v_and_b32_e32 v16, 0x3c7, v15
	v_cmp_eq_u32_e32 vcc, 64, v16
	s_and_saveexec_b64 s[0:1], vcc
	s_cbranch_execz .LBB203_794
; %bb.793:
	v_lshrrev_b32_e32 v15, 1, v21
	v_add_u32_e32 v15, 0x1f0, v15
	ds_write2_b32 v15, v0, v1 offset1:8
	ds_write2_b32 v15, v2, v3 offset0:16 offset1:24
	ds_write2_b32 v15, v4, v5 offset0:32 offset1:40
	;; [unrolled: 1-line block ×6, first 2 shown]
	ds_write_b32 v15, v14 offset:448
.LBB203_794:
	s_or_b64 exec, exec, s[0:1]
	buffer_load_dword v15, off, s[56:59], 0 offset:492 ; 4-byte Folded Reload
	s_waitcnt vmcnt(0) lgkmcnt(0)
	s_barrier
	v_cmp_gt_u32_e32 vcc, 64, v15
	v_lshrrev_b32_e32 v15, 3, v15
	s_and_saveexec_b64 s[0:1], vcc
	s_cbranch_execz .LBB203_812
; %bb.795:
	v_mov_b32_e32 v17, 0x1f0
	v_cmp_eq_u32_e32 vcc, 0, v23
	v_lshl_add_u32 v17, v15, 2, v17
	s_and_saveexec_b64 s[2:3], vcc
	s_cbranch_execnz .LBB203_815
; %bb.796:
	s_or_b64 exec, exec, s[2:3]
	s_and_saveexec_b64 s[2:3], vcc
	s_cbranch_execnz .LBB203_816
.LBB203_797:
	s_or_b64 exec, exec, s[2:3]
	s_and_saveexec_b64 s[2:3], vcc
	s_cbranch_execnz .LBB203_817
.LBB203_798:
	s_or_b64 exec, exec, s[2:3]
	s_and_saveexec_b64 s[2:3], vcc
	s_cbranch_execnz .LBB203_818
.LBB203_799:
	s_or_b64 exec, exec, s[2:3]
	s_and_saveexec_b64 s[2:3], vcc
	s_cbranch_execnz .LBB203_819
.LBB203_800:
	s_or_b64 exec, exec, s[2:3]
	s_and_saveexec_b64 s[2:3], vcc
	s_cbranch_execnz .LBB203_820
.LBB203_801:
	s_or_b64 exec, exec, s[2:3]
	s_and_saveexec_b64 s[2:3], vcc
	s_cbranch_execnz .LBB203_821
.LBB203_802:
	s_or_b64 exec, exec, s[2:3]
	s_and_saveexec_b64 s[2:3], vcc
	s_cbranch_execnz .LBB203_822
.LBB203_803:
	s_or_b64 exec, exec, s[2:3]
	s_and_saveexec_b64 s[2:3], vcc
	s_cbranch_execnz .LBB203_823
.LBB203_804:
	s_or_b64 exec, exec, s[2:3]
	s_and_saveexec_b64 s[2:3], vcc
	s_cbranch_execnz .LBB203_824
.LBB203_805:
	s_or_b64 exec, exec, s[2:3]
	s_and_saveexec_b64 s[2:3], vcc
	s_cbranch_execnz .LBB203_825
.LBB203_806:
	s_or_b64 exec, exec, s[2:3]
	s_and_saveexec_b64 s[2:3], vcc
	s_cbranch_execnz .LBB203_826
.LBB203_807:
	s_or_b64 exec, exec, s[2:3]
	s_and_saveexec_b64 s[2:3], vcc
	s_cbranch_execnz .LBB203_827
.LBB203_808:
	s_or_b64 exec, exec, s[2:3]
	s_and_saveexec_b64 s[2:3], vcc
	s_cbranch_execnz .LBB203_828
.LBB203_809:
	s_or_b64 exec, exec, s[2:3]
	s_and_saveexec_b64 s[2:3], vcc
	s_cbranch_execz .LBB203_811
.LBB203_810:
	ds_read_b32 v17, v17 offset:448
	s_waitcnt lgkmcnt(0)
	v_add_f32_e32 v14, v14, v17
.LBB203_811:
	s_or_b64 exec, exec, s[2:3]
.LBB203_812:
	s_or_b64 exec, exec, s[0:1]
	v_cmp_eq_u32_e32 vcc, 0, v16
	s_barrier
	s_and_saveexec_b64 s[0:1], vcc
	s_cbranch_execz .LBB203_814
; %bb.813:
	s_mul_i32 s0, s10, s11
	s_mul_i32 s0, s0, s9
	s_mulk_i32 s0, 0x78
	s_ashr_i32 s1, s0, 31
	s_lshl_b64 s[0:1], s[0:1], 2
	s_add_u32 s2, s26, s0
	s_mul_i32 s0, s11, s24
	s_addc_u32 s3, s27, s1
	s_ashr_i32 s1, s0, 31
	s_lshl_b64 s[0:1], s[0:1], 2
	s_add_u32 s2, s2, s0
	s_mul_i32 s0, s8, 0x78
	s_addc_u32 s3, s3, s1
	s_ashr_i32 s1, s0, 31
	s_lshl_b64 s[0:1], s[0:1], 2
	s_add_u32 s0, s2, s0
	s_addc_u32 s1, s3, s1
	v_lshlrev_b32_e32 v15, 2, v15
	global_store_dword v15, v0, s[0:1]
	global_store_dword v15, v1, s[0:1] offset:32
	global_store_dword v15, v2, s[0:1] offset:64
	;; [unrolled: 1-line block ×14, first 2 shown]
.LBB203_814:
	s_endpgm
.LBB203_815:
	ds_read_b32 v18, v17
	s_waitcnt lgkmcnt(0)
	v_add_f32_e32 v0, v0, v18
	s_or_b64 exec, exec, s[2:3]
	s_and_saveexec_b64 s[2:3], vcc
	s_cbranch_execz .LBB203_797
.LBB203_816:
	ds_read_b32 v18, v17 offset:32
	s_waitcnt lgkmcnt(0)
	v_add_f32_e32 v1, v1, v18
	s_or_b64 exec, exec, s[2:3]
	s_and_saveexec_b64 s[2:3], vcc
	s_cbranch_execz .LBB203_798
.LBB203_817:
	ds_read_b32 v18, v17 offset:64
	s_waitcnt lgkmcnt(0)
	v_add_f32_e32 v2, v2, v18
	s_or_b64 exec, exec, s[2:3]
	s_and_saveexec_b64 s[2:3], vcc
	s_cbranch_execz .LBB203_799
.LBB203_818:
	ds_read_b32 v18, v17 offset:96
	s_waitcnt lgkmcnt(0)
	v_add_f32_e32 v3, v3, v18
	s_or_b64 exec, exec, s[2:3]
	s_and_saveexec_b64 s[2:3], vcc
	s_cbranch_execz .LBB203_800
.LBB203_819:
	ds_read_b32 v18, v17 offset:128
	s_waitcnt lgkmcnt(0)
	v_add_f32_e32 v4, v4, v18
	s_or_b64 exec, exec, s[2:3]
	s_and_saveexec_b64 s[2:3], vcc
	s_cbranch_execz .LBB203_801
.LBB203_820:
	ds_read_b32 v18, v17 offset:160
	s_waitcnt lgkmcnt(0)
	v_add_f32_e32 v5, v5, v18
	s_or_b64 exec, exec, s[2:3]
	s_and_saveexec_b64 s[2:3], vcc
	s_cbranch_execz .LBB203_802
.LBB203_821:
	ds_read_b32 v18, v17 offset:192
	s_waitcnt lgkmcnt(0)
	v_add_f32_e32 v6, v6, v18
	s_or_b64 exec, exec, s[2:3]
	s_and_saveexec_b64 s[2:3], vcc
	s_cbranch_execz .LBB203_803
.LBB203_822:
	ds_read_b32 v18, v17 offset:224
	s_waitcnt lgkmcnt(0)
	v_add_f32_e32 v7, v7, v18
	s_or_b64 exec, exec, s[2:3]
	s_and_saveexec_b64 s[2:3], vcc
	s_cbranch_execz .LBB203_804
.LBB203_823:
	ds_read_b32 v18, v17 offset:256
	s_waitcnt lgkmcnt(0)
	v_add_f32_e32 v8, v8, v18
	s_or_b64 exec, exec, s[2:3]
	s_and_saveexec_b64 s[2:3], vcc
	s_cbranch_execz .LBB203_805
.LBB203_824:
	ds_read_b32 v18, v17 offset:288
	s_waitcnt lgkmcnt(0)
	v_add_f32_e32 v9, v9, v18
	s_or_b64 exec, exec, s[2:3]
	s_and_saveexec_b64 s[2:3], vcc
	s_cbranch_execz .LBB203_806
.LBB203_825:
	ds_read_b32 v18, v17 offset:320
	s_waitcnt lgkmcnt(0)
	v_add_f32_e32 v10, v10, v18
	s_or_b64 exec, exec, s[2:3]
	s_and_saveexec_b64 s[2:3], vcc
	s_cbranch_execz .LBB203_807
.LBB203_826:
	ds_read_b32 v18, v17 offset:352
	s_waitcnt lgkmcnt(0)
	v_add_f32_e32 v11, v11, v18
	s_or_b64 exec, exec, s[2:3]
	s_and_saveexec_b64 s[2:3], vcc
	s_cbranch_execz .LBB203_808
.LBB203_827:
	ds_read_b32 v18, v17 offset:384
	s_waitcnt lgkmcnt(0)
	v_add_f32_e32 v12, v12, v18
	s_or_b64 exec, exec, s[2:3]
	s_and_saveexec_b64 s[2:3], vcc
	s_cbranch_execz .LBB203_809
.LBB203_828:
	ds_read_b32 v18, v17 offset:416
	s_waitcnt lgkmcnt(0)
	v_add_f32_e32 v13, v13, v18
	s_or_b64 exec, exec, s[2:3]
	s_and_saveexec_b64 s[2:3], vcc
	s_cbranch_execnz .LBB203_810
	s_branch .LBB203_811
	.section	.rodata,"a",@progbits
	.p2align	6, 0x0
	.amdhsa_kernel _ZN4vllm25paged_attention_v1_kernelIfhLi120ELi32ELi128ELNS_18Fp8KVCacheDataTypeE1ELb1EEEvPT_PKS2_PKT0_S8_ifPKiSA_iPKfiiiSC_SC_iiiii
		.amdhsa_group_segment_fixed_size 496
		.amdhsa_private_segment_fixed_size 532
		.amdhsa_kernarg_size 384
		.amdhsa_user_sgpr_count 6
		.amdhsa_user_sgpr_private_segment_buffer 1
		.amdhsa_user_sgpr_dispatch_ptr 0
		.amdhsa_user_sgpr_queue_ptr 0
		.amdhsa_user_sgpr_kernarg_segment_ptr 1
		.amdhsa_user_sgpr_dispatch_id 0
		.amdhsa_user_sgpr_flat_scratch_init 0
		.amdhsa_user_sgpr_private_segment_size 0
		.amdhsa_uses_dynamic_stack 0
		.amdhsa_system_sgpr_private_segment_wavefront_offset 1
		.amdhsa_system_sgpr_workgroup_id_x 1
		.amdhsa_system_sgpr_workgroup_id_y 1
		.amdhsa_system_sgpr_workgroup_id_z 1
		.amdhsa_system_sgpr_workgroup_info 0
		.amdhsa_system_vgpr_workitem_id 0
		.amdhsa_next_free_vgpr 64
		.amdhsa_next_free_sgpr 60
		.amdhsa_reserve_vcc 1
		.amdhsa_reserve_flat_scratch 0
		.amdhsa_float_round_mode_32 0
		.amdhsa_float_round_mode_16_64 0
		.amdhsa_float_denorm_mode_32 3
		.amdhsa_float_denorm_mode_16_64 3
		.amdhsa_dx10_clamp 1
		.amdhsa_ieee_mode 1
		.amdhsa_fp16_overflow 0
		.amdhsa_exception_fp_ieee_invalid_op 0
		.amdhsa_exception_fp_denorm_src 0
		.amdhsa_exception_fp_ieee_div_zero 0
		.amdhsa_exception_fp_ieee_overflow 0
		.amdhsa_exception_fp_ieee_underflow 0
		.amdhsa_exception_fp_ieee_inexact 0
		.amdhsa_exception_int_div_zero 0
	.end_amdhsa_kernel
	.section	.text._ZN4vllm25paged_attention_v1_kernelIfhLi120ELi32ELi128ELNS_18Fp8KVCacheDataTypeE1ELb1EEEvPT_PKS2_PKT0_S8_ifPKiSA_iPKfiiiSC_SC_iiiii,"axG",@progbits,_ZN4vllm25paged_attention_v1_kernelIfhLi120ELi32ELi128ELNS_18Fp8KVCacheDataTypeE1ELb1EEEvPT_PKS2_PKT0_S8_ifPKiSA_iPKfiiiSC_SC_iiiii,comdat
.Lfunc_end203:
	.size	_ZN4vllm25paged_attention_v1_kernelIfhLi120ELi32ELi128ELNS_18Fp8KVCacheDataTypeE1ELb1EEEvPT_PKS2_PKT0_S8_ifPKiSA_iPKfiiiSC_SC_iiiii, .Lfunc_end203-_ZN4vllm25paged_attention_v1_kernelIfhLi120ELi32ELi128ELNS_18Fp8KVCacheDataTypeE1ELb1EEEvPT_PKS2_PKT0_S8_ifPKiSA_iPKfiiiSC_SC_iiiii
                                        ; -- End function
	.set _ZN4vllm25paged_attention_v1_kernelIfhLi120ELi32ELi128ELNS_18Fp8KVCacheDataTypeE1ELb1EEEvPT_PKS2_PKT0_S8_ifPKiSA_iPKfiiiSC_SC_iiiii.num_vgpr, 64
	.set _ZN4vllm25paged_attention_v1_kernelIfhLi120ELi32ELi128ELNS_18Fp8KVCacheDataTypeE1ELb1EEEvPT_PKS2_PKT0_S8_ifPKiSA_iPKfiiiSC_SC_iiiii.num_agpr, 0
	.set _ZN4vllm25paged_attention_v1_kernelIfhLi120ELi32ELi128ELNS_18Fp8KVCacheDataTypeE1ELb1EEEvPT_PKS2_PKT0_S8_ifPKiSA_iPKfiiiSC_SC_iiiii.numbered_sgpr, 60
	.set _ZN4vllm25paged_attention_v1_kernelIfhLi120ELi32ELi128ELNS_18Fp8KVCacheDataTypeE1ELb1EEEvPT_PKS2_PKT0_S8_ifPKiSA_iPKfiiiSC_SC_iiiii.num_named_barrier, 0
	.set _ZN4vllm25paged_attention_v1_kernelIfhLi120ELi32ELi128ELNS_18Fp8KVCacheDataTypeE1ELb1EEEvPT_PKS2_PKT0_S8_ifPKiSA_iPKfiiiSC_SC_iiiii.private_seg_size, 532
	.set _ZN4vllm25paged_attention_v1_kernelIfhLi120ELi32ELi128ELNS_18Fp8KVCacheDataTypeE1ELb1EEEvPT_PKS2_PKT0_S8_ifPKiSA_iPKfiiiSC_SC_iiiii.uses_vcc, 1
	.set _ZN4vllm25paged_attention_v1_kernelIfhLi120ELi32ELi128ELNS_18Fp8KVCacheDataTypeE1ELb1EEEvPT_PKS2_PKT0_S8_ifPKiSA_iPKfiiiSC_SC_iiiii.uses_flat_scratch, 0
	.set _ZN4vllm25paged_attention_v1_kernelIfhLi120ELi32ELi128ELNS_18Fp8KVCacheDataTypeE1ELb1EEEvPT_PKS2_PKT0_S8_ifPKiSA_iPKfiiiSC_SC_iiiii.has_dyn_sized_stack, 0
	.set _ZN4vllm25paged_attention_v1_kernelIfhLi120ELi32ELi128ELNS_18Fp8KVCacheDataTypeE1ELb1EEEvPT_PKS2_PKT0_S8_ifPKiSA_iPKfiiiSC_SC_iiiii.has_recursion, 0
	.set _ZN4vllm25paged_attention_v1_kernelIfhLi120ELi32ELi128ELNS_18Fp8KVCacheDataTypeE1ELb1EEEvPT_PKS2_PKT0_S8_ifPKiSA_iPKfiiiSC_SC_iiiii.has_indirect_call, 0
	.section	.AMDGPU.csdata,"",@progbits
; Kernel info:
; codeLenInByte = 38728
; TotalNumSgprs: 64
; NumVgprs: 64
; ScratchSize: 532
; MemoryBound: 0
; FloatMode: 240
; IeeeMode: 1
; LDSByteSize: 496 bytes/workgroup (compile time only)
; SGPRBlocks: 7
; VGPRBlocks: 15
; NumSGPRsForWavesPerEU: 64
; NumVGPRsForWavesPerEU: 64
; Occupancy: 4
; WaveLimiterHint : 1
; COMPUTE_PGM_RSRC2:SCRATCH_EN: 1
; COMPUTE_PGM_RSRC2:USER_SGPR: 6
; COMPUTE_PGM_RSRC2:TRAP_HANDLER: 0
; COMPUTE_PGM_RSRC2:TGID_X_EN: 1
; COMPUTE_PGM_RSRC2:TGID_Y_EN: 1
; COMPUTE_PGM_RSRC2:TGID_Z_EN: 1
; COMPUTE_PGM_RSRC2:TIDIG_COMP_CNT: 0
	.section	.text._ZN4vllm25paged_attention_v1_kernelIfhLi128ELi32ELi128ELNS_18Fp8KVCacheDataTypeE1ELb1EEEvPT_PKS2_PKT0_S8_ifPKiSA_iPKfiiiSC_SC_iiiii,"axG",@progbits,_ZN4vllm25paged_attention_v1_kernelIfhLi128ELi32ELi128ELNS_18Fp8KVCacheDataTypeE1ELb1EEEvPT_PKS2_PKT0_S8_ifPKiSA_iPKfiiiSC_SC_iiiii,comdat
	.protected	_ZN4vllm25paged_attention_v1_kernelIfhLi128ELi32ELi128ELNS_18Fp8KVCacheDataTypeE1ELb1EEEvPT_PKS2_PKT0_S8_ifPKiSA_iPKfiiiSC_SC_iiiii ; -- Begin function _ZN4vllm25paged_attention_v1_kernelIfhLi128ELi32ELi128ELNS_18Fp8KVCacheDataTypeE1ELb1EEEvPT_PKS2_PKT0_S8_ifPKiSA_iPKfiiiSC_SC_iiiii
	.globl	_ZN4vllm25paged_attention_v1_kernelIfhLi128ELi32ELi128ELNS_18Fp8KVCacheDataTypeE1ELb1EEEvPT_PKS2_PKT0_S8_ifPKiSA_iPKfiiiSC_SC_iiiii
	.p2align	8
	.type	_ZN4vllm25paged_attention_v1_kernelIfhLi128ELi32ELi128ELNS_18Fp8KVCacheDataTypeE1ELb1EEEvPT_PKS2_PKT0_S8_ifPKiSA_iPKfiiiSC_SC_iiiii,@function
_ZN4vllm25paged_attention_v1_kernelIfhLi128ELi32ELi128ELNS_18Fp8KVCacheDataTypeE1ELb1EEEvPT_PKS2_PKT0_S8_ifPKiSA_iPKfiiiSC_SC_iiiii: ; @_ZN4vllm25paged_attention_v1_kernelIfhLi128ELi32ELi128ELNS_18Fp8KVCacheDataTypeE1ELb1EEEvPT_PKS2_PKT0_S8_ifPKiSA_iPKfiiiSC_SC_iiiii
; %bb.0:
	s_mov_b64 s[62:63], s[2:3]
	s_mov_b64 s[60:61], s[0:1]
	s_add_u32 s60, s60, s9
	s_addc_u32 s61, s61, 0
	buffer_store_dword v0, off, s[60:63], 0 offset:532 ; 4-byte Folded Spill
	s_load_dword s9, s[4:5], 0x80
	s_load_dwordx2 s[0:1], s[4:5], 0x30
	s_load_dwordx2 s[38:39], s[4:5], 0x20
	s_mov_b32 s24, s7
	s_ashr_i32 s25, s7, 31
	s_lshl_b64 s[2:3], s[24:25], 2
	s_waitcnt lgkmcnt(0)
	s_add_u32 s0, s0, s2
	s_addc_u32 s1, s1, s3
	s_abs_i32 s2, s38
	v_cvt_f32_u32_e32 v0, s2
	s_sub_i32 s10, 0, s2
	s_abs_i32 s7, s9
	s_xor_b32 s3, s9, s38
	v_rcp_iflag_f32_e32 v0, v0
	s_ashr_i32 s3, s3, 31
	s_mov_b32 s50, 0
	v_mul_f32_e32 v0, 0x4f7ffffe, v0
	v_cvt_u32_f32_e32 v0, v0
	v_readfirstlane_b32 s11, v0
	s_mul_i32 s10, s10, s11
	s_mul_hi_u32 s10, s11, s10
	s_add_i32 s11, s11, s10
	s_mul_hi_u32 s10, s7, s11
	s_mul_i32 s11, s10, s2
	s_sub_i32 s7, s7, s11
	s_add_i32 s11, s10, 1
	s_sub_i32 s12, s7, s2
	s_cmp_ge_u32 s7, s2
	s_cselect_b32 s10, s11, s10
	s_cselect_b32 s7, s12, s7
	s_add_i32 s11, s10, 1
	s_cmp_ge_u32 s7, s2
	s_cselect_b32 s2, s11, s10
	s_xor_b32 s2, s2, s3
	s_sub_i32 s12, s2, s3
	s_abs_i32 s10, s12
	v_cvt_f32_u32_e32 v0, s10
	s_load_dwordx2 s[2:3], s[4:5], 0x40
	s_sub_i32 s7, 0, s10
	s_abs_i32 s11, s6
	v_rcp_iflag_f32_e32 v0, v0
	v_mul_f32_e32 v0, 0x4f7ffffe, v0
	v_cvt_u32_f32_e32 v0, v0
	v_readfirstlane_b32 s13, v0
	s_mul_i32 s7, s7, s13
	s_mul_hi_u32 s7, s13, s7
	s_add_i32 s13, s13, s7
	s_waitcnt lgkmcnt(0)
	s_cmp_eq_u64 s[2:3], 0
	s_mul_hi_u32 s13, s11, s13
	s_cbranch_scc1 .LBB204_2
; %bb.1:
	s_ashr_i32 s7, s6, 31
	s_lshl_b64 s[14:15], s[6:7], 2
	s_add_u32 s2, s2, s14
	s_addc_u32 s3, s3, s15
	s_load_dword s50, s[2:3], 0x0
.LBB204_2:
	buffer_load_dword v1, off, s[60:63], 0 offset:532 ; 4-byte Folded Reload
	s_load_dword s25, s[0:1], 0x0
	s_load_dwordx4 s[16:19], s[4:5], 0x48
	s_ashr_i32 s7, s6, 31
	s_ashr_i32 s14, s12, 31
	s_lshl_b32 s26, s6, 7
	s_waitcnt vmcnt(0)
	v_and_b32_e32 v0, 1, v1
	v_cmp_gt_u32_e64 s[0:1], 64, v1
	v_lshlrev_b32_e32 v11, 2, v1
	s_and_saveexec_b64 s[2:3], s[0:1]
	s_cbranch_execz .LBB204_4
; %bb.3:
	buffer_load_dword v1, off, s[60:63], 0 offset:532 ; 4-byte Folded Reload
	s_load_dwordx2 s[20:21], s[4:5], 0x8
	s_waitcnt lgkmcnt(0)
	s_mul_i32 s22, s16, s24
	s_ashr_i32 s23, s22, 31
	s_lshl_b64 s[22:23], s[22:23], 2
	v_and_b32_e32 v3, 0xff8, v11
	s_add_u32 s12, s20, s22
	s_addc_u32 s15, s21, s23
	s_ashr_i32 s27, s26, 31
	s_lshl_b64 s[20:21], s[26:27], 2
	s_add_u32 s20, s12, s20
	s_addc_u32 s21, s15, s21
	v_lshl_add_u32 v3, v0, 8, v3
	s_waitcnt vmcnt(0)
	v_lshlrev_b32_e32 v1, 3, v1
	global_load_dwordx2 v[1:2], v1, s[20:21]
	s_waitcnt vmcnt(0)
	ds_write_b64 v3, v[1:2]
.LBB204_4:
	s_or_b64 exec, exec, s[2:3]
	s_mul_i32 s3, s13, s10
	s_sub_i32 s3, s11, s3
	s_xor_b32 s2, s7, s14
	s_add_i32 s7, s13, 1
	s_sub_i32 s11, s3, s10
	s_load_dwordx4 s[20:23], s[4:5], 0x68
	s_load_dword s12, s[4:5], 0x78
	s_cmp_ge_u32 s3, s10
	s_cselect_b32 s7, s7, s13
	s_cselect_b32 s3, s11, s3
	s_add_i32 s11, s7, 1
	s_cmp_ge_u32 s3, s10
	s_cselect_b32 s3, s11, s7
	s_waitcnt lgkmcnt(0)
	s_abs_i32 s27, s23
	v_cvt_f32_u32_e32 v1, s27
	s_xor_b32 s3, s3, s2
	s_sub_i32 s7, s3, s2
	s_sub_i32 s2, 0, s27
	v_rcp_iflag_f32_e32 v1, v1
	s_add_i32 s13, s25, -1
	s_abs_i32 s10, s13
	v_mul_f32_e32 v1, 0x4f7ffffe, v1
	v_cvt_u32_f32_e32 v1, v1
	s_barrier
	v_readfirstlane_b32 s33, v1
	s_mul_i32 s2, s2, s33
	s_mul_hi_u32 s2, s33, s2
	s_add_i32 s33, s33, s2
	s_cmp_lt_i32 s12, 0
	s_mul_hi_u32 s11, s10, s33
	s_cbranch_scc0 .LBB204_6
; %bb.5:
	s_mul_i32 s2, s20, s38
	s_add_i32 s2, s7, s2
	s_mul_i32 s2, s2, s12
	s_sub_i32 s38, 1, s2
	s_mov_b64 s[2:3], 0
	s_branch .LBB204_7
.LBB204_6:
	s_mov_b64 s[2:3], -1
                                        ; implicit-def: $sgpr38
.LBB204_7:
	s_load_dwordx2 s[30:31], s[4:5], 0x28
	s_ashr_i32 s16, s13, 31
	s_andn2_b64 vcc, exec, s[2:3]
	s_ashr_i32 s48, s23, 31
	s_cbranch_vccnz .LBB204_9
; %bb.8:
	s_mul_i32 s2, s9, s20
	s_add_i32 s2, s2, s6
	s_mul_i32 s2, s2, s12
	s_add_i32 s38, s2, 1
.LBB204_9:
	s_load_dword s2, s[4:5], 0x38
	s_load_dwordx2 s[28:29], s[4:5], 0x0
	s_load_dwordx2 s[36:37], s[4:5], 0x18
	s_load_dword s23, s[4:5], 0x88
	s_load_dwordx4 s[12:15], s[4:5], 0x58
	buffer_load_dword v1, off, s[60:63], 0 offset:532 ; 4-byte Folded Reload
	s_mul_i32 s3, s11, s27
	s_waitcnt lgkmcnt(0)
	s_mul_i32 s34, s2, s24
	s_sub_i32 s3, s10, s3
	s_ashr_i32 s35, s34, 31
	s_xor_b32 s2, s16, s48
	s_add_i32 s6, s11, 1
	s_sub_i32 s10, s3, s27
	s_cmp_ge_u32 s3, s27
	s_cselect_b32 s6, s6, s11
	s_cselect_b32 s3, s10, s3
	s_add_i32 s10, s6, 1
	s_cmp_ge_u32 s3, s27
	s_cselect_b32 s3, s10, s6
	s_xor_b32 s3, s3, s2
	s_sub_i32 s16, s3, s2
	s_add_i32 s2, s25, 31
	s_ashr_i32 s3, s2, 31
	s_lshr_b32 s3, s3, 27
	s_add_i32 s2, s2, s3
	s_ashr_i32 s49, s2, 5
	v_mov_b32_e32 v3, 0xff7fffff
	s_mul_i32 s20, s7, s18
	v_mbcnt_lo_u32_b32 v5, -1, 0
	s_waitcnt vmcnt(0)
	v_lshrrev_b32_e32 v2, 6, v1
	v_cmp_gt_i32_e64 s[2:3], s49, v2
	v_lshrrev_b32_e32 v12, 4, v1
	v_lshlrev_b32_e32 v1, 5, v2
	buffer_store_dword v2, off, s[60:63], 0 ; 4-byte Folded Spill
	buffer_store_dword v1, off, s[60:63], 0 offset:4 ; 4-byte Folded Spill
	s_and_saveexec_b64 s[18:19], s[2:3]
	s_cbranch_execz .LBB204_405
; %bb.10:
	buffer_load_dword v2, off, s[60:63], 0 offset:532 ; 4-byte Folded Reload
	s_load_dwordx2 s[4:5], s[4:5], 0x10
	s_sub_i32 s51, s16, s21
	s_ashr_i32 s6, s20, 31
	v_cmp_eq_u32_e32 vcc, 0, v0
	v_lshlrev_b32_e32 v44, 8, v0
	s_waitcnt lgkmcnt(0)
	s_add_u32 s7, s4, s20
	s_addc_u32 s6, s5, s6
	s_abs_i32 s52, s22
	v_cvt_f32_u32_e32 v1, s52
	s_sub_i32 s4, 0, s52
	v_mov_b32_e32 v4, s6
	buffer_store_dword v11, off, s[60:63], 0 offset:560 ; 4-byte Folded Spill
	v_rcp_iflag_f32_e32 v1, v1
	s_mov_b32 s53, s17
	v_mov_b32_e32 v49, 0
	s_mov_b64 s[40:41], 0
	v_mul_f32_e32 v1, 0x4f7ffffe, v1
	v_cvt_u32_f32_e32 v1, v1
	s_movk_i32 s54, 0x80
	s_movk_i32 s55, 0x7f
	s_brev_b32 s56, 1
	v_bfrev_b32_e32 v50, 1
	v_mov_b32_e32 v40, 0x7f800001
	s_waitcnt vmcnt(1)
	v_bfe_u32 v6, v2, 1, 5
	v_lshlrev_b32_e32 v2, 1, v0
	v_mul_lo_u32 v0, s4, v1
	v_lshlrev_b32_e32 v3, 4, v6
	v_add_co_u32_e64 v3, s[6:7], s7, v3
	v_mul_hi_u32 v0, v1, v0
	v_addc_co_u32_e64 v4, s[6:7], 0, v4, s[6:7]
	v_cmp_neq_f32_e64 s[4:5], s50, 0
	v_add_u32_e32 v0, v1, v0
	buffer_store_dword v0, off, s[60:63], 0 offset:320 ; 4-byte Folded Spill
	v_add_co_u32_e64 v0, s[6:7], v3, v2
	v_addc_co_u32_e64 v1, s[6:7], 0, v4, s[6:7]
	buffer_store_dword v0, off, s[60:63], 0 offset:540 ; 4-byte Folded Spill
	s_nop 0
	buffer_store_dword v1, off, s[60:63], 0 offset:544 ; 4-byte Folded Spill
	buffer_store_dword v12, off, s[60:63], 0 offset:564 ; 4-byte Folded Spill
	buffer_load_dword v45, off, s[60:63], 0 ; 4-byte Folded Reload
	s_lshl_b64 s[6:7], s[34:35], 2
	s_add_u32 s6, s30, s6
	v_and_b32_e32 v0, 60, v12
	s_addc_u32 s7, s31, s7
	v_mov_b32_e32 v1, s7
	v_add_co_u32_e64 v53, s[6:7], s6, v0
	v_addc_co_u32_e64 v54, s[6:7], 0, v1, s[6:7]
	v_subrev_u32_e32 v1, s25, v6
	v_add_u32_e32 v1, 1, v1
	buffer_store_dword v1, off, s[60:63], 0 offset:556 ; 4-byte Folded Spill
	buffer_store_dword v6, off, s[60:63], 0 offset:552 ; 4-byte Folded Spill
	v_lshlrev_b32_e32 v1, 2, v6
	s_waitcnt vmcnt(2)
	v_lshl_or_b32 v1, v45, 7, v1
	v_add_u32_e32 v63, 0x210, v1
	v_mbcnt_hi_u32_b32 v1, -1, v5
	v_lshlrev_b32_e32 v0, 5, v45
	buffer_store_dword v1, off, s[60:63], 0 offset:548 ; 4-byte Folded Spill
	v_mov_b32_e32 v1, 0xff7fffff
	buffer_store_dword v1, off, s[60:63], 0 offset:536 ; 4-byte Folded Spill
	s_branch .LBB204_13
.LBB204_11:                             ;   in Loop: Header=BB204_13 Depth=1
	s_or_b64 exec, exec, s[42:43]
.LBB204_12:                             ;   in Loop: Header=BB204_13 Depth=1
	s_or_b64 exec, exec, s[10:11]
	v_add_co_u32_e64 v53, s[6:7], 8, v53
	v_add_u32_e32 v45, 2, v45
	v_addc_co_u32_e64 v54, s[6:7], 0, v54, s[6:7]
	v_cmp_le_i32_e64 s[6:7], s49, v45
	v_add_u32_e32 v0, 64, v0
	s_or_b64 s[40:41], s[6:7], s[40:41]
	v_add_u32_e32 v63, 0x100, v63
	s_andn2_b64 exec, exec, s[40:41]
	s_cbranch_execz .LBB204_404
.LBB204_13:                             ; =>This Inner Loop Header: Depth=1
	buffer_load_dword v4, off, s[60:63], 0 offset:320 ; 4-byte Folded Reload
	v_mul_hi_u32 v1, v0, s33
	s_waitcnt lgkmcnt(0)
	v_mul_lo_u32 v2, v1, s27
	v_add_u32_e32 v3, 1, v1
	v_sub_u32_e32 v2, v0, v2
	v_cmp_le_u32_e64 s[6:7], s27, v2
	v_cndmask_b32_e64 v1, v1, v3, s[6:7]
	v_subrev_u32_e32 v3, s27, v2
	v_cndmask_b32_e64 v2, v2, v3, s[6:7]
	v_add_u32_e32 v3, 1, v1
	v_cmp_le_u32_e64 s[6:7], s27, v2
	v_cndmask_b32_e64 v1, v1, v3, s[6:7]
	v_xor_b32_e32 v1, s48, v1
	v_subrev_u32_e32 v1, s48, v1
	v_add_u32_e32 v2, s38, v1
	v_sub_u32_e32 v3, 0, v2
	v_max_i32_e32 v3, v2, v3
	v_ashrrev_i32_e32 v2, 31, v2
	v_cmp_ge_i32_e64 s[10:11], s51, v1
	s_waitcnt vmcnt(0)
	v_mul_hi_u32 v4, v3, v4
	v_mul_lo_u32 v4, v4, s52
	v_sub_u32_e32 v3, v3, v4
	v_subrev_u32_e32 v4, s52, v3
	v_cmp_le_u32_e64 s[6:7], s52, v3
	v_cndmask_b32_e64 v3, v3, v4, s[6:7]
	v_subrev_u32_e32 v4, s52, v3
	v_cmp_le_u32_e64 s[6:7], s52, v3
	v_cndmask_b32_e64 v3, v3, v4, s[6:7]
	v_xor_b32_e32 v3, v3, v2
	v_sub_u32_e32 v2, v3, v2
	v_cmp_ne_u32_e64 s[6:7], 0, v2
	s_and_b64 s[6:7], s[6:7], s[10:11]
	s_and_saveexec_b64 s[10:11], s[6:7]
	s_xor_b64 s[6:7], exec, s[10:11]
	s_cbranch_execz .LBB204_17
; %bb.14:                               ;   in Loop: Header=BB204_13 Depth=1
	s_and_saveexec_b64 s[10:11], vcc
; %bb.15:                               ;   in Loop: Header=BB204_13 Depth=1
	v_mov_b32_e32 v1, 0xff7fffff
	ds_write_b32 v63, v1
; %bb.16:                               ;   in Loop: Header=BB204_13 Depth=1
	s_or_b64 exec, exec, s[10:11]
.LBB204_17:                             ;   in Loop: Header=BB204_13 Depth=1
	s_andn2_saveexec_b64 s[10:11], s[6:7]
	s_cbranch_execz .LBB204_12
; %bb.18:                               ;   in Loop: Header=BB204_13 Depth=1
	global_load_dword v1, v[53:54], off
	buffer_load_dword v2, off, s[60:63], 0 offset:540 ; 4-byte Folded Reload
	buffer_load_dword v3, off, s[60:63], 0 offset:544 ; 4-byte Folded Reload
	v_mov_b32_e32 v47, 0
	v_mov_b32_e32 v7, 0
	;; [unrolled: 1-line block ×4, first 2 shown]
	s_waitcnt vmcnt(0)
	v_mad_i64_i32 v[59:60], s[6:7], v1, s53, v[2:3]
	ds_read_b128 v[3:6], v44
	global_load_ushort v2, v[59:60], off
	s_waitcnt lgkmcnt(0)
	buffer_store_dword v3, off, s[60:63], 0 offset:508 ; 4-byte Folded Spill
	s_nop 0
	buffer_store_dword v4, off, s[60:63], 0 offset:512 ; 4-byte Folded Spill
	buffer_store_dword v5, off, s[60:63], 0 offset:516 ; 4-byte Folded Spill
	;; [unrolled: 1-line block ×3, first 2 shown]
	ds_read_b128 v[3:6], v44 offset:16
	s_waitcnt lgkmcnt(0)
	buffer_store_dword v3, off, s[60:63], 0 offset:492 ; 4-byte Folded Spill
	s_nop 0
	buffer_store_dword v4, off, s[60:63], 0 offset:496 ; 4-byte Folded Spill
	buffer_store_dword v5, off, s[60:63], 0 offset:500 ; 4-byte Folded Spill
	;; [unrolled: 1-line block ×3, first 2 shown]
	ds_read_b64 v[3:4], v44 offset:192
	s_waitcnt lgkmcnt(0)
	buffer_store_dword v3, off, s[60:63], 0 offset:324 ; 4-byte Folded Spill
	s_nop 0
	buffer_store_dword v4, off, s[60:63], 0 offset:328 ; 4-byte Folded Spill
	ds_read_b128 v[3:6], v44 offset:32
	s_load_dword s57, s[12:13], 0x0
	s_waitcnt lgkmcnt(0)
	buffer_store_dword v3, off, s[60:63], 0 offset:476 ; 4-byte Folded Spill
	s_nop 0
	buffer_store_dword v4, off, s[60:63], 0 offset:480 ; 4-byte Folded Spill
	buffer_store_dword v5, off, s[60:63], 0 offset:484 ; 4-byte Folded Spill
	buffer_store_dword v6, off, s[60:63], 0 offset:488 ; 4-byte Folded Spill
	ds_read_b128 v[3:6], v44 offset:48
	s_waitcnt lgkmcnt(0)
	buffer_store_dword v3, off, s[60:63], 0 offset:460 ; 4-byte Folded Spill
	s_nop 0
	buffer_store_dword v4, off, s[60:63], 0 offset:464 ; 4-byte Folded Spill
	buffer_store_dword v5, off, s[60:63], 0 offset:468 ; 4-byte Folded Spill
	buffer_store_dword v6, off, s[60:63], 0 offset:472 ; 4-byte Folded Spill
	ds_read_b128 v[3:6], v44 offset:64
	;; [unrolled: 7-line block ×7, first 2 shown]
	s_waitcnt lgkmcnt(0)
	buffer_store_dword v3, off, s[60:63], 0 offset:332 ; 4-byte Folded Spill
	s_nop 0
	buffer_store_dword v4, off, s[60:63], 0 offset:336 ; 4-byte Folded Spill
	buffer_store_dword v5, off, s[60:63], 0 offset:340 ; 4-byte Folded Spill
	;; [unrolled: 1-line block ×3, first 2 shown]
	s_waitcnt vmcnt(42)
	v_and_b32_e32 v1, 0xffff, v2
	v_cmp_ne_u16_sdwa s[6:7], v2, v49 src0_sel:BYTE_0 src1_sel:DWORD
	ds_read_b128 v[2:5], v44 offset:160
	s_waitcnt lgkmcnt(0)
	buffer_store_dword v2, off, s[60:63], 0 offset:380 ; 4-byte Folded Spill
	s_nop 0
	buffer_store_dword v3, off, s[60:63], 0 offset:384 ; 4-byte Folded Spill
	buffer_store_dword v4, off, s[60:63], 0 offset:388 ; 4-byte Folded Spill
	;; [unrolled: 1-line block ×3, first 2 shown]
	ds_read_b128 v[2:5], v44 offset:176
	s_waitcnt lgkmcnt(0)
	buffer_store_dword v2, off, s[60:63], 0 offset:348 ; 4-byte Folded Spill
	s_nop 0
	buffer_store_dword v3, off, s[60:63], 0 offset:352 ; 4-byte Folded Spill
	buffer_store_dword v4, off, s[60:63], 0 offset:356 ; 4-byte Folded Spill
	;; [unrolled: 1-line block ×3, first 2 shown]
	s_and_saveexec_b64 s[42:43], s[6:7]
	s_cbranch_execz .LBB204_24
; %bb.19:                               ;   in Loop: Header=BB204_13 Depth=1
	v_bfrev_b32_e32 v7, 1
	v_mov_b32_e32 v8, 0
	v_cmp_ne_u16_sdwa s[6:7], v1, s54 src0_sel:BYTE_0 src1_sel:DWORD
	s_and_saveexec_b64 s[44:45], s[6:7]
	s_cbranch_execz .LBB204_23
; %bb.20:                               ;   in Loop: Header=BB204_13 Depth=1
	v_and_b32_e32 v2, 0x7f, v1
	v_mov_b32_e32 v7, 0x7f800001
	v_mov_b32_e32 v8, 0
	v_cmp_ne_u32_e64 s[6:7], s55, v2
	s_and_saveexec_b64 s[46:47], s[6:7]
	s_cbranch_execz .LBB204_22
; %bb.21:                               ;   in Loop: Header=BB204_13 Depth=1
	v_and_b32_e32 v4, 7, v1
	v_lshrrev_b32_e32 v5, 3, v2
	v_cmp_gt_u32_e64 s[6:7], 8, v2
	v_ffbh_u32_e32 v2, v4
	v_min_u32_e32 v6, 32, v2
	v_subrev_u32_e32 v2, 28, v6
	v_lshlrev_b64 v[2:3], v2, v[1:2]
	v_sub_u32_e32 v3, 29, v6
	v_and_b32_e32 v2, 7, v2
	v_cndmask_b32_e64 v3, v5, v3, s[6:7]
	v_cndmask_b32_e64 v2, v4, v2, s[6:7]
	v_bfrev_b32_e32 v5, 60
	v_lshlrev_b32_e32 v2, 20, v2
	v_and_b32_sdwa v4, sext(v1), s56 dst_sel:DWORD dst_unused:UNUSED_PAD src0_sel:BYTE_0 src1_sel:DWORD
	v_lshl_add_u32 v3, v3, 23, v5
	v_or3_b32 v7, v4, v3, v2
	v_mov_b32_e32 v8, v49
.LBB204_22:                             ;   in Loop: Header=BB204_13 Depth=1
	s_or_b64 exec, exec, s[46:47]
.LBB204_23:                             ;   in Loop: Header=BB204_13 Depth=1
	s_or_b64 exec, exec, s[44:45]
.LBB204_24:                             ;   in Loop: Header=BB204_13 Depth=1
	s_or_b64 exec, exec, s[42:43]
	v_cmp_ne_u16_sdwa s[6:7], v1, v49 src0_sel:BYTE_1 src1_sel:DWORD
	s_and_saveexec_b64 s[42:43], s[6:7]
	s_cbranch_execz .LBB204_30
; %bb.25:                               ;   in Loop: Header=BB204_13 Depth=1
	v_mov_b32_e32 v47, v49
	v_cmp_ne_u16_sdwa s[6:7], v1, s54 src0_sel:BYTE_1 src1_sel:DWORD
	v_mov_b32_e32 v48, v50
	s_and_saveexec_b64 s[44:45], s[6:7]
	s_cbranch_execz .LBB204_29
; %bb.26:                               ;   in Loop: Header=BB204_13 Depth=1
	v_and_b32_sdwa v2, v1, s55 dst_sel:DWORD dst_unused:UNUSED_PAD src0_sel:BYTE_1 src1_sel:DWORD
	v_mov_b32_e32 v39, v49
	v_mov_b32_e32 v48, v40
	v_cmp_ne_u32_e64 s[6:7], s55, v2
	v_mov_b32_e32 v47, v39
	s_and_saveexec_b64 s[46:47], s[6:7]
	s_cbranch_execz .LBB204_28
; %bb.27:                               ;   in Loop: Header=BB204_13 Depth=1
	v_mov_b32_e32 v3, 7
	v_and_b32_sdwa v3, v1, v3 dst_sel:DWORD dst_unused:UNUSED_PAD src0_sel:BYTE_1 src1_sel:DWORD
	v_lshrrev_b32_e32 v6, 3, v2
	v_cmp_gt_u32_e64 s[6:7], 8, v2
	v_ffbh_u32_e32 v2, v3
	v_min_u32_e32 v2, 32, v2
	v_mov_b32_e32 v4, v49
	v_subrev_u32_e32 v5, 28, v2
	v_lshlrev_b64 v[4:5], v5, v[3:4]
	v_sub_u32_e32 v2, 29, v2
	v_and_b32_e32 v4, 7, v4
	v_cndmask_b32_e64 v2, v6, v2, s[6:7]
	v_cndmask_b32_e64 v3, v3, v4, s[6:7]
	v_bfrev_b32_e32 v4, 60
	v_lshlrev_b32_e32 v1, 16, v1
	v_lshl_add_u32 v2, v2, 23, v4
	v_and_or_b32 v1, v1, s56, v2
	v_lshlrev_b32_e32 v2, 20, v3
	v_or_b32_e32 v48, v1, v2
	v_mov_b32_e32 v47, v49
.LBB204_28:                             ;   in Loop: Header=BB204_13 Depth=1
	s_or_b64 exec, exec, s[46:47]
.LBB204_29:                             ;   in Loop: Header=BB204_13 Depth=1
	s_or_b64 exec, exec, s[44:45]
.LBB204_30:                             ;   in Loop: Header=BB204_13 Depth=1
	s_or_b64 exec, exec, s[42:43]
	global_load_ushort v2, v[59:60], off offset:4
	s_waitcnt vmcnt(0)
	v_and_b32_e32 v1, 0xffff, v2
	v_cmp_ne_u16_sdwa s[6:7], v2, v49 src0_sel:BYTE_0 src1_sel:DWORD
	v_mov_b32_e32 v2, 0
	v_mov_b32_e32 v3, 0
	buffer_store_dword v2, off, s[60:63], 0 offset:16 ; 4-byte Folded Spill
	s_nop 0
	buffer_store_dword v3, off, s[60:63], 0 offset:20 ; 4-byte Folded Spill
	v_mov_b32_e32 v2, 0
	v_mov_b32_e32 v3, 0
	buffer_store_dword v2, off, s[60:63], 0 offset:8 ; 4-byte Folded Spill
	s_nop 0
	buffer_store_dword v3, off, s[60:63], 0 offset:12 ; 4-byte Folded Spill
	s_and_saveexec_b64 s[42:43], s[6:7]
	s_cbranch_execz .LBB204_36
; %bb.31:                               ;   in Loop: Header=BB204_13 Depth=1
	v_bfrev_b32_e32 v2, 1
	v_mov_b32_e32 v3, 0
	v_cmp_ne_u16_sdwa s[6:7], v1, s54 src0_sel:BYTE_0 src1_sel:DWORD
	buffer_store_dword v2, off, s[60:63], 0 offset:8 ; 4-byte Folded Spill
	s_nop 0
	buffer_store_dword v3, off, s[60:63], 0 offset:12 ; 4-byte Folded Spill
	s_and_saveexec_b64 s[44:45], s[6:7]
	s_cbranch_execz .LBB204_35
; %bb.32:                               ;   in Loop: Header=BB204_13 Depth=1
	v_and_b32_e32 v2, 0x7f, v1
	v_mov_b32_e32 v3, 0x7f800001
	v_mov_b32_e32 v4, 0
	v_cmp_ne_u32_e64 s[6:7], s55, v2
	buffer_store_dword v3, off, s[60:63], 0 offset:8 ; 4-byte Folded Spill
	s_nop 0
	buffer_store_dword v4, off, s[60:63], 0 offset:12 ; 4-byte Folded Spill
	s_and_saveexec_b64 s[46:47], s[6:7]
	s_cbranch_execz .LBB204_34
; %bb.33:                               ;   in Loop: Header=BB204_13 Depth=1
	v_and_b32_e32 v4, 7, v1
	v_lshrrev_b32_e32 v5, 3, v2
	v_cmp_gt_u32_e64 s[6:7], 8, v2
	v_ffbh_u32_e32 v2, v4
	v_min_u32_e32 v6, 32, v2
	v_subrev_u32_e32 v2, 28, v6
	v_lshlrev_b64 v[2:3], v2, v[1:2]
	v_sub_u32_e32 v3, 29, v6
	v_and_b32_e32 v2, 7, v2
	v_cndmask_b32_e64 v3, v5, v3, s[6:7]
	v_cndmask_b32_e64 v2, v4, v2, s[6:7]
	v_bfrev_b32_e32 v5, 60
	v_lshlrev_b32_e32 v2, 20, v2
	v_and_b32_sdwa v4, sext(v1), s56 dst_sel:DWORD dst_unused:UNUSED_PAD src0_sel:BYTE_0 src1_sel:DWORD
	v_lshl_add_u32 v3, v3, 23, v5
	v_or3_b32 v2, v4, v3, v2
	v_mov_b32_e32 v3, v49
	buffer_store_dword v2, off, s[60:63], 0 offset:8 ; 4-byte Folded Spill
	s_nop 0
	buffer_store_dword v3, off, s[60:63], 0 offset:12 ; 4-byte Folded Spill
.LBB204_34:                             ;   in Loop: Header=BB204_13 Depth=1
	s_or_b64 exec, exec, s[46:47]
.LBB204_35:                             ;   in Loop: Header=BB204_13 Depth=1
	s_or_b64 exec, exec, s[44:45]
.LBB204_36:                             ;   in Loop: Header=BB204_13 Depth=1
	s_or_b64 exec, exec, s[42:43]
	v_cmp_ne_u16_sdwa s[6:7], v1, v49 src0_sel:BYTE_1 src1_sel:DWORD
	s_and_saveexec_b64 s[42:43], s[6:7]
	s_cbranch_execz .LBB204_42
; %bb.37:                               ;   in Loop: Header=BB204_13 Depth=1
	v_cmp_ne_u16_sdwa s[6:7], v1, s54 src0_sel:BYTE_1 src1_sel:DWORD
	buffer_store_dword v49, off, s[60:63], 0 offset:16 ; 4-byte Folded Spill
	s_nop 0
	buffer_store_dword v50, off, s[60:63], 0 offset:20 ; 4-byte Folded Spill
	s_and_saveexec_b64 s[44:45], s[6:7]
	s_cbranch_execz .LBB204_41
; %bb.38:                               ;   in Loop: Header=BB204_13 Depth=1
	v_and_b32_sdwa v2, v1, s55 dst_sel:DWORD dst_unused:UNUSED_PAD src0_sel:BYTE_1 src1_sel:DWORD
	v_cmp_ne_u32_e64 s[6:7], s55, v2
	v_mov_b32_e32 v39, v49
	buffer_store_dword v39, off, s[60:63], 0 offset:16 ; 4-byte Folded Spill
	s_nop 0
	buffer_store_dword v40, off, s[60:63], 0 offset:20 ; 4-byte Folded Spill
	s_and_saveexec_b64 s[46:47], s[6:7]
	s_cbranch_execz .LBB204_40
; %bb.39:                               ;   in Loop: Header=BB204_13 Depth=1
	v_mov_b32_e32 v3, 7
	v_and_b32_sdwa v3, v1, v3 dst_sel:DWORD dst_unused:UNUSED_PAD src0_sel:BYTE_1 src1_sel:DWORD
	v_lshrrev_b32_e32 v6, 3, v2
	v_cmp_gt_u32_e64 s[6:7], 8, v2
	v_ffbh_u32_e32 v2, v3
	v_min_u32_e32 v2, 32, v2
	v_mov_b32_e32 v4, v49
	v_subrev_u32_e32 v5, 28, v2
	v_lshlrev_b64 v[4:5], v5, v[3:4]
	v_sub_u32_e32 v2, 29, v2
	v_and_b32_e32 v4, 7, v4
	v_cndmask_b32_e64 v2, v6, v2, s[6:7]
	v_cndmask_b32_e64 v3, v3, v4, s[6:7]
	v_bfrev_b32_e32 v4, 60
	v_lshlrev_b32_e32 v1, 16, v1
	v_lshl_add_u32 v2, v2, 23, v4
	v_and_or_b32 v1, v1, s56, v2
	v_lshlrev_b32_e32 v2, 20, v3
	v_or_b32_e32 v2, v1, v2
	v_mov_b32_e32 v1, v49
	buffer_store_dword v1, off, s[60:63], 0 offset:16 ; 4-byte Folded Spill
	s_nop 0
	buffer_store_dword v2, off, s[60:63], 0 offset:20 ; 4-byte Folded Spill
.LBB204_40:                             ;   in Loop: Header=BB204_13 Depth=1
	s_or_b64 exec, exec, s[46:47]
.LBB204_41:                             ;   in Loop: Header=BB204_13 Depth=1
	s_or_b64 exec, exec, s[44:45]
.LBB204_42:                             ;   in Loop: Header=BB204_13 Depth=1
	s_or_b64 exec, exec, s[42:43]
	global_load_ushort v2, v[59:60], off offset:8
	s_waitcnt vmcnt(0)
	v_and_b32_e32 v1, 0xffff, v2
	v_cmp_ne_u16_sdwa s[6:7], v2, v49 src0_sel:BYTE_0 src1_sel:DWORD
	v_mov_b32_e32 v2, 0
	v_mov_b32_e32 v3, 0
	buffer_store_dword v2, off, s[60:63], 0 offset:32 ; 4-byte Folded Spill
	s_nop 0
	buffer_store_dword v3, off, s[60:63], 0 offset:36 ; 4-byte Folded Spill
	v_mov_b32_e32 v2, 0
	v_mov_b32_e32 v3, 0
	buffer_store_dword v2, off, s[60:63], 0 offset:24 ; 4-byte Folded Spill
	s_nop 0
	buffer_store_dword v3, off, s[60:63], 0 offset:28 ; 4-byte Folded Spill
	s_and_saveexec_b64 s[42:43], s[6:7]
	s_cbranch_execz .LBB204_48
; %bb.43:                               ;   in Loop: Header=BB204_13 Depth=1
	v_bfrev_b32_e32 v2, 1
	v_mov_b32_e32 v3, 0
	v_cmp_ne_u16_sdwa s[6:7], v1, s54 src0_sel:BYTE_0 src1_sel:DWORD
	buffer_store_dword v2, off, s[60:63], 0 offset:24 ; 4-byte Folded Spill
	s_nop 0
	buffer_store_dword v3, off, s[60:63], 0 offset:28 ; 4-byte Folded Spill
	s_and_saveexec_b64 s[44:45], s[6:7]
	s_cbranch_execz .LBB204_47
; %bb.44:                               ;   in Loop: Header=BB204_13 Depth=1
	v_and_b32_e32 v2, 0x7f, v1
	v_mov_b32_e32 v3, 0x7f800001
	v_mov_b32_e32 v4, 0
	v_cmp_ne_u32_e64 s[6:7], s55, v2
	buffer_store_dword v3, off, s[60:63], 0 offset:24 ; 4-byte Folded Spill
	s_nop 0
	buffer_store_dword v4, off, s[60:63], 0 offset:28 ; 4-byte Folded Spill
	s_and_saveexec_b64 s[46:47], s[6:7]
	s_cbranch_execz .LBB204_46
; %bb.45:                               ;   in Loop: Header=BB204_13 Depth=1
	v_and_b32_e32 v4, 7, v1
	v_lshrrev_b32_e32 v5, 3, v2
	v_cmp_gt_u32_e64 s[6:7], 8, v2
	v_ffbh_u32_e32 v2, v4
	v_min_u32_e32 v6, 32, v2
	v_subrev_u32_e32 v2, 28, v6
	v_lshlrev_b64 v[2:3], v2, v[1:2]
	v_sub_u32_e32 v3, 29, v6
	v_and_b32_e32 v2, 7, v2
	v_cndmask_b32_e64 v3, v5, v3, s[6:7]
	v_cndmask_b32_e64 v2, v4, v2, s[6:7]
	v_bfrev_b32_e32 v5, 60
	v_lshlrev_b32_e32 v2, 20, v2
	v_and_b32_sdwa v4, sext(v1), s56 dst_sel:DWORD dst_unused:UNUSED_PAD src0_sel:BYTE_0 src1_sel:DWORD
	v_lshl_add_u32 v3, v3, 23, v5
	v_or3_b32 v2, v4, v3, v2
	v_mov_b32_e32 v3, v49
	buffer_store_dword v2, off, s[60:63], 0 offset:24 ; 4-byte Folded Spill
	s_nop 0
	buffer_store_dword v3, off, s[60:63], 0 offset:28 ; 4-byte Folded Spill
.LBB204_46:                             ;   in Loop: Header=BB204_13 Depth=1
	s_or_b64 exec, exec, s[46:47]
.LBB204_47:                             ;   in Loop: Header=BB204_13 Depth=1
	s_or_b64 exec, exec, s[44:45]
.LBB204_48:                             ;   in Loop: Header=BB204_13 Depth=1
	s_or_b64 exec, exec, s[42:43]
	v_cmp_ne_u16_sdwa s[6:7], v1, v49 src0_sel:BYTE_1 src1_sel:DWORD
	s_and_saveexec_b64 s[42:43], s[6:7]
	s_cbranch_execz .LBB204_54
; %bb.49:                               ;   in Loop: Header=BB204_13 Depth=1
	v_cmp_ne_u16_sdwa s[6:7], v1, s54 src0_sel:BYTE_1 src1_sel:DWORD
	buffer_store_dword v49, off, s[60:63], 0 offset:32 ; 4-byte Folded Spill
	s_nop 0
	buffer_store_dword v50, off, s[60:63], 0 offset:36 ; 4-byte Folded Spill
	s_and_saveexec_b64 s[44:45], s[6:7]
	s_cbranch_execz .LBB204_53
; %bb.50:                               ;   in Loop: Header=BB204_13 Depth=1
	v_and_b32_sdwa v2, v1, s55 dst_sel:DWORD dst_unused:UNUSED_PAD src0_sel:BYTE_1 src1_sel:DWORD
	v_cmp_ne_u32_e64 s[6:7], s55, v2
	v_mov_b32_e32 v39, v49
	buffer_store_dword v39, off, s[60:63], 0 offset:32 ; 4-byte Folded Spill
	s_nop 0
	buffer_store_dword v40, off, s[60:63], 0 offset:36 ; 4-byte Folded Spill
	s_and_saveexec_b64 s[46:47], s[6:7]
	s_cbranch_execz .LBB204_52
; %bb.51:                               ;   in Loop: Header=BB204_13 Depth=1
	v_mov_b32_e32 v3, 7
	v_and_b32_sdwa v3, v1, v3 dst_sel:DWORD dst_unused:UNUSED_PAD src0_sel:BYTE_1 src1_sel:DWORD
	v_lshrrev_b32_e32 v6, 3, v2
	v_cmp_gt_u32_e64 s[6:7], 8, v2
	v_ffbh_u32_e32 v2, v3
	v_min_u32_e32 v2, 32, v2
	v_mov_b32_e32 v4, v49
	v_subrev_u32_e32 v5, 28, v2
	v_lshlrev_b64 v[4:5], v5, v[3:4]
	v_sub_u32_e32 v2, 29, v2
	v_and_b32_e32 v4, 7, v4
	v_cndmask_b32_e64 v2, v6, v2, s[6:7]
	v_cndmask_b32_e64 v3, v3, v4, s[6:7]
	v_bfrev_b32_e32 v4, 60
	v_lshlrev_b32_e32 v1, 16, v1
	v_lshl_add_u32 v2, v2, 23, v4
	v_and_or_b32 v1, v1, s56, v2
	v_lshlrev_b32_e32 v2, 20, v3
	v_or_b32_e32 v2, v1, v2
	v_mov_b32_e32 v1, v49
	buffer_store_dword v1, off, s[60:63], 0 offset:32 ; 4-byte Folded Spill
	s_nop 0
	buffer_store_dword v2, off, s[60:63], 0 offset:36 ; 4-byte Folded Spill
.LBB204_52:                             ;   in Loop: Header=BB204_13 Depth=1
	s_or_b64 exec, exec, s[46:47]
.LBB204_53:                             ;   in Loop: Header=BB204_13 Depth=1
	s_or_b64 exec, exec, s[44:45]
.LBB204_54:                             ;   in Loop: Header=BB204_13 Depth=1
	s_or_b64 exec, exec, s[42:43]
	global_load_ushort v2, v[59:60], off offset:12
	s_waitcnt vmcnt(0)
	v_and_b32_e32 v1, 0xffff, v2
	v_cmp_ne_u16_sdwa s[6:7], v2, v49 src0_sel:BYTE_0 src1_sel:DWORD
	v_mov_b32_e32 v2, 0
	v_mov_b32_e32 v3, 0
	buffer_store_dword v2, off, s[60:63], 0 offset:48 ; 4-byte Folded Spill
	s_nop 0
	buffer_store_dword v3, off, s[60:63], 0 offset:52 ; 4-byte Folded Spill
	v_mov_b32_e32 v2, 0
	v_mov_b32_e32 v3, 0
	buffer_store_dword v2, off, s[60:63], 0 offset:40 ; 4-byte Folded Spill
	s_nop 0
	buffer_store_dword v3, off, s[60:63], 0 offset:44 ; 4-byte Folded Spill
	s_and_saveexec_b64 s[42:43], s[6:7]
	s_cbranch_execz .LBB204_60
; %bb.55:                               ;   in Loop: Header=BB204_13 Depth=1
	v_bfrev_b32_e32 v2, 1
	v_mov_b32_e32 v3, 0
	v_cmp_ne_u16_sdwa s[6:7], v1, s54 src0_sel:BYTE_0 src1_sel:DWORD
	buffer_store_dword v2, off, s[60:63], 0 offset:40 ; 4-byte Folded Spill
	s_nop 0
	buffer_store_dword v3, off, s[60:63], 0 offset:44 ; 4-byte Folded Spill
	s_and_saveexec_b64 s[44:45], s[6:7]
	s_cbranch_execz .LBB204_59
; %bb.56:                               ;   in Loop: Header=BB204_13 Depth=1
	v_and_b32_e32 v2, 0x7f, v1
	v_mov_b32_e32 v3, 0x7f800001
	v_mov_b32_e32 v4, 0
	v_cmp_ne_u32_e64 s[6:7], s55, v2
	buffer_store_dword v3, off, s[60:63], 0 offset:40 ; 4-byte Folded Spill
	s_nop 0
	buffer_store_dword v4, off, s[60:63], 0 offset:44 ; 4-byte Folded Spill
	s_and_saveexec_b64 s[46:47], s[6:7]
	s_cbranch_execz .LBB204_58
; %bb.57:                               ;   in Loop: Header=BB204_13 Depth=1
	v_and_b32_e32 v4, 7, v1
	v_lshrrev_b32_e32 v5, 3, v2
	v_cmp_gt_u32_e64 s[6:7], 8, v2
	v_ffbh_u32_e32 v2, v4
	v_min_u32_e32 v6, 32, v2
	v_subrev_u32_e32 v2, 28, v6
	v_lshlrev_b64 v[2:3], v2, v[1:2]
	v_sub_u32_e32 v3, 29, v6
	v_and_b32_e32 v2, 7, v2
	v_cndmask_b32_e64 v3, v5, v3, s[6:7]
	v_cndmask_b32_e64 v2, v4, v2, s[6:7]
	v_bfrev_b32_e32 v5, 60
	v_lshlrev_b32_e32 v2, 20, v2
	v_and_b32_sdwa v4, sext(v1), s56 dst_sel:DWORD dst_unused:UNUSED_PAD src0_sel:BYTE_0 src1_sel:DWORD
	v_lshl_add_u32 v3, v3, 23, v5
	v_or3_b32 v2, v4, v3, v2
	v_mov_b32_e32 v3, v49
	buffer_store_dword v2, off, s[60:63], 0 offset:40 ; 4-byte Folded Spill
	s_nop 0
	buffer_store_dword v3, off, s[60:63], 0 offset:44 ; 4-byte Folded Spill
.LBB204_58:                             ;   in Loop: Header=BB204_13 Depth=1
	s_or_b64 exec, exec, s[46:47]
.LBB204_59:                             ;   in Loop: Header=BB204_13 Depth=1
	s_or_b64 exec, exec, s[44:45]
.LBB204_60:                             ;   in Loop: Header=BB204_13 Depth=1
	s_or_b64 exec, exec, s[42:43]
	v_cmp_ne_u16_sdwa s[6:7], v1, v49 src0_sel:BYTE_1 src1_sel:DWORD
	s_and_saveexec_b64 s[42:43], s[6:7]
	s_cbranch_execz .LBB204_66
; %bb.61:                               ;   in Loop: Header=BB204_13 Depth=1
	v_cmp_ne_u16_sdwa s[6:7], v1, s54 src0_sel:BYTE_1 src1_sel:DWORD
	buffer_store_dword v49, off, s[60:63], 0 offset:48 ; 4-byte Folded Spill
	s_nop 0
	buffer_store_dword v50, off, s[60:63], 0 offset:52 ; 4-byte Folded Spill
	s_and_saveexec_b64 s[44:45], s[6:7]
	s_cbranch_execz .LBB204_65
; %bb.62:                               ;   in Loop: Header=BB204_13 Depth=1
	v_and_b32_sdwa v2, v1, s55 dst_sel:DWORD dst_unused:UNUSED_PAD src0_sel:BYTE_1 src1_sel:DWORD
	v_cmp_ne_u32_e64 s[6:7], s55, v2
	v_mov_b32_e32 v39, v49
	buffer_store_dword v39, off, s[60:63], 0 offset:48 ; 4-byte Folded Spill
	s_nop 0
	buffer_store_dword v40, off, s[60:63], 0 offset:52 ; 4-byte Folded Spill
	s_and_saveexec_b64 s[46:47], s[6:7]
	s_cbranch_execz .LBB204_64
; %bb.63:                               ;   in Loop: Header=BB204_13 Depth=1
	v_mov_b32_e32 v3, 7
	v_and_b32_sdwa v3, v1, v3 dst_sel:DWORD dst_unused:UNUSED_PAD src0_sel:BYTE_1 src1_sel:DWORD
	v_lshrrev_b32_e32 v6, 3, v2
	v_cmp_gt_u32_e64 s[6:7], 8, v2
	v_ffbh_u32_e32 v2, v3
	v_min_u32_e32 v2, 32, v2
	v_mov_b32_e32 v4, v49
	v_subrev_u32_e32 v5, 28, v2
	v_lshlrev_b64 v[4:5], v5, v[3:4]
	v_sub_u32_e32 v2, 29, v2
	v_and_b32_e32 v4, 7, v4
	v_cndmask_b32_e64 v2, v6, v2, s[6:7]
	v_cndmask_b32_e64 v3, v3, v4, s[6:7]
	v_bfrev_b32_e32 v4, 60
	v_lshlrev_b32_e32 v1, 16, v1
	v_lshl_add_u32 v2, v2, 23, v4
	v_and_or_b32 v1, v1, s56, v2
	v_lshlrev_b32_e32 v2, 20, v3
	v_or_b32_e32 v2, v1, v2
	v_mov_b32_e32 v1, v49
	buffer_store_dword v1, off, s[60:63], 0 offset:48 ; 4-byte Folded Spill
	s_nop 0
	buffer_store_dword v2, off, s[60:63], 0 offset:52 ; 4-byte Folded Spill
.LBB204_64:                             ;   in Loop: Header=BB204_13 Depth=1
	s_or_b64 exec, exec, s[46:47]
.LBB204_65:                             ;   in Loop: Header=BB204_13 Depth=1
	s_or_b64 exec, exec, s[44:45]
.LBB204_66:                             ;   in Loop: Header=BB204_13 Depth=1
	s_or_b64 exec, exec, s[42:43]
	global_load_ushort v2, v[59:60], off offset:512
	s_waitcnt vmcnt(0)
	v_and_b32_e32 v1, 0xffff, v2
	v_cmp_ne_u16_sdwa s[6:7], v2, v49 src0_sel:BYTE_0 src1_sel:DWORD
	v_mov_b32_e32 v2, 0
	v_mov_b32_e32 v3, 0
	buffer_store_dword v2, off, s[60:63], 0 offset:64 ; 4-byte Folded Spill
	s_nop 0
	buffer_store_dword v3, off, s[60:63], 0 offset:68 ; 4-byte Folded Spill
	v_mov_b32_e32 v2, 0
	v_mov_b32_e32 v3, 0
	buffer_store_dword v2, off, s[60:63], 0 offset:56 ; 4-byte Folded Spill
	s_nop 0
	buffer_store_dword v3, off, s[60:63], 0 offset:60 ; 4-byte Folded Spill
	s_and_saveexec_b64 s[42:43], s[6:7]
	s_cbranch_execz .LBB204_72
; %bb.67:                               ;   in Loop: Header=BB204_13 Depth=1
	v_bfrev_b32_e32 v2, 1
	v_mov_b32_e32 v3, 0
	v_cmp_ne_u16_sdwa s[6:7], v1, s54 src0_sel:BYTE_0 src1_sel:DWORD
	buffer_store_dword v2, off, s[60:63], 0 offset:56 ; 4-byte Folded Spill
	s_nop 0
	buffer_store_dword v3, off, s[60:63], 0 offset:60 ; 4-byte Folded Spill
	s_and_saveexec_b64 s[44:45], s[6:7]
	s_cbranch_execz .LBB204_71
; %bb.68:                               ;   in Loop: Header=BB204_13 Depth=1
	v_and_b32_e32 v2, 0x7f, v1
	v_mov_b32_e32 v3, 0x7f800001
	v_mov_b32_e32 v4, 0
	v_cmp_ne_u32_e64 s[6:7], s55, v2
	buffer_store_dword v3, off, s[60:63], 0 offset:56 ; 4-byte Folded Spill
	s_nop 0
	buffer_store_dword v4, off, s[60:63], 0 offset:60 ; 4-byte Folded Spill
	s_and_saveexec_b64 s[46:47], s[6:7]
	s_cbranch_execz .LBB204_70
; %bb.69:                               ;   in Loop: Header=BB204_13 Depth=1
	v_and_b32_e32 v4, 7, v1
	v_lshrrev_b32_e32 v5, 3, v2
	v_cmp_gt_u32_e64 s[6:7], 8, v2
	v_ffbh_u32_e32 v2, v4
	v_min_u32_e32 v6, 32, v2
	v_subrev_u32_e32 v2, 28, v6
	v_lshlrev_b64 v[2:3], v2, v[1:2]
	v_sub_u32_e32 v3, 29, v6
	v_and_b32_e32 v2, 7, v2
	v_cndmask_b32_e64 v3, v5, v3, s[6:7]
	v_cndmask_b32_e64 v2, v4, v2, s[6:7]
	v_bfrev_b32_e32 v5, 60
	v_lshlrev_b32_e32 v2, 20, v2
	v_and_b32_sdwa v4, sext(v1), s56 dst_sel:DWORD dst_unused:UNUSED_PAD src0_sel:BYTE_0 src1_sel:DWORD
	v_lshl_add_u32 v3, v3, 23, v5
	v_or3_b32 v2, v4, v3, v2
	v_mov_b32_e32 v3, v49
	buffer_store_dword v2, off, s[60:63], 0 offset:56 ; 4-byte Folded Spill
	s_nop 0
	buffer_store_dword v3, off, s[60:63], 0 offset:60 ; 4-byte Folded Spill
.LBB204_70:                             ;   in Loop: Header=BB204_13 Depth=1
	s_or_b64 exec, exec, s[46:47]
.LBB204_71:                             ;   in Loop: Header=BB204_13 Depth=1
	s_or_b64 exec, exec, s[44:45]
.LBB204_72:                             ;   in Loop: Header=BB204_13 Depth=1
	s_or_b64 exec, exec, s[42:43]
	v_cmp_ne_u16_sdwa s[6:7], v1, v49 src0_sel:BYTE_1 src1_sel:DWORD
	s_and_saveexec_b64 s[42:43], s[6:7]
	s_cbranch_execz .LBB204_78
; %bb.73:                               ;   in Loop: Header=BB204_13 Depth=1
	v_cmp_ne_u16_sdwa s[6:7], v1, s54 src0_sel:BYTE_1 src1_sel:DWORD
	buffer_store_dword v49, off, s[60:63], 0 offset:64 ; 4-byte Folded Spill
	s_nop 0
	buffer_store_dword v50, off, s[60:63], 0 offset:68 ; 4-byte Folded Spill
	s_and_saveexec_b64 s[44:45], s[6:7]
	s_cbranch_execz .LBB204_77
; %bb.74:                               ;   in Loop: Header=BB204_13 Depth=1
	v_and_b32_sdwa v2, v1, s55 dst_sel:DWORD dst_unused:UNUSED_PAD src0_sel:BYTE_1 src1_sel:DWORD
	v_cmp_ne_u32_e64 s[6:7], s55, v2
	v_mov_b32_e32 v39, v49
	buffer_store_dword v39, off, s[60:63], 0 offset:64 ; 4-byte Folded Spill
	s_nop 0
	buffer_store_dword v40, off, s[60:63], 0 offset:68 ; 4-byte Folded Spill
	s_and_saveexec_b64 s[46:47], s[6:7]
	s_cbranch_execz .LBB204_76
; %bb.75:                               ;   in Loop: Header=BB204_13 Depth=1
	v_mov_b32_e32 v3, 7
	v_and_b32_sdwa v3, v1, v3 dst_sel:DWORD dst_unused:UNUSED_PAD src0_sel:BYTE_1 src1_sel:DWORD
	v_lshrrev_b32_e32 v6, 3, v2
	v_cmp_gt_u32_e64 s[6:7], 8, v2
	v_ffbh_u32_e32 v2, v3
	v_min_u32_e32 v2, 32, v2
	v_mov_b32_e32 v4, v49
	v_subrev_u32_e32 v5, 28, v2
	v_lshlrev_b64 v[4:5], v5, v[3:4]
	v_sub_u32_e32 v2, 29, v2
	v_and_b32_e32 v4, 7, v4
	v_cndmask_b32_e64 v2, v6, v2, s[6:7]
	v_cndmask_b32_e64 v3, v3, v4, s[6:7]
	v_bfrev_b32_e32 v4, 60
	v_lshlrev_b32_e32 v1, 16, v1
	v_lshl_add_u32 v2, v2, 23, v4
	v_and_or_b32 v1, v1, s56, v2
	v_lshlrev_b32_e32 v2, 20, v3
	v_or_b32_e32 v2, v1, v2
	v_mov_b32_e32 v1, v49
	buffer_store_dword v1, off, s[60:63], 0 offset:64 ; 4-byte Folded Spill
	s_nop 0
	buffer_store_dword v2, off, s[60:63], 0 offset:68 ; 4-byte Folded Spill
.LBB204_76:                             ;   in Loop: Header=BB204_13 Depth=1
	s_or_b64 exec, exec, s[46:47]
.LBB204_77:                             ;   in Loop: Header=BB204_13 Depth=1
	s_or_b64 exec, exec, s[44:45]
.LBB204_78:                             ;   in Loop: Header=BB204_13 Depth=1
	s_or_b64 exec, exec, s[42:43]
	global_load_ushort v2, v[59:60], off offset:516
	s_waitcnt vmcnt(0)
	v_and_b32_e32 v1, 0xffff, v2
	v_cmp_ne_u16_sdwa s[6:7], v2, v49 src0_sel:BYTE_0 src1_sel:DWORD
	v_mov_b32_e32 v2, 0
	v_mov_b32_e32 v3, 0
	buffer_store_dword v2, off, s[60:63], 0 offset:80 ; 4-byte Folded Spill
	s_nop 0
	buffer_store_dword v3, off, s[60:63], 0 offset:84 ; 4-byte Folded Spill
	v_mov_b32_e32 v2, 0
	v_mov_b32_e32 v3, 0
	buffer_store_dword v2, off, s[60:63], 0 offset:72 ; 4-byte Folded Spill
	s_nop 0
	buffer_store_dword v3, off, s[60:63], 0 offset:76 ; 4-byte Folded Spill
	s_and_saveexec_b64 s[42:43], s[6:7]
	s_cbranch_execz .LBB204_84
; %bb.79:                               ;   in Loop: Header=BB204_13 Depth=1
	v_bfrev_b32_e32 v2, 1
	v_mov_b32_e32 v3, 0
	v_cmp_ne_u16_sdwa s[6:7], v1, s54 src0_sel:BYTE_0 src1_sel:DWORD
	buffer_store_dword v2, off, s[60:63], 0 offset:72 ; 4-byte Folded Spill
	s_nop 0
	buffer_store_dword v3, off, s[60:63], 0 offset:76 ; 4-byte Folded Spill
	s_and_saveexec_b64 s[44:45], s[6:7]
	s_cbranch_execz .LBB204_83
; %bb.80:                               ;   in Loop: Header=BB204_13 Depth=1
	v_and_b32_e32 v2, 0x7f, v1
	v_mov_b32_e32 v3, 0x7f800001
	v_mov_b32_e32 v4, 0
	v_cmp_ne_u32_e64 s[6:7], s55, v2
	buffer_store_dword v3, off, s[60:63], 0 offset:72 ; 4-byte Folded Spill
	s_nop 0
	buffer_store_dword v4, off, s[60:63], 0 offset:76 ; 4-byte Folded Spill
	s_and_saveexec_b64 s[46:47], s[6:7]
	s_cbranch_execz .LBB204_82
; %bb.81:                               ;   in Loop: Header=BB204_13 Depth=1
	v_and_b32_e32 v4, 7, v1
	v_lshrrev_b32_e32 v5, 3, v2
	v_cmp_gt_u32_e64 s[6:7], 8, v2
	v_ffbh_u32_e32 v2, v4
	v_min_u32_e32 v6, 32, v2
	v_subrev_u32_e32 v2, 28, v6
	v_lshlrev_b64 v[2:3], v2, v[1:2]
	v_sub_u32_e32 v3, 29, v6
	v_and_b32_e32 v2, 7, v2
	v_cndmask_b32_e64 v3, v5, v3, s[6:7]
	v_cndmask_b32_e64 v2, v4, v2, s[6:7]
	v_bfrev_b32_e32 v5, 60
	v_lshlrev_b32_e32 v2, 20, v2
	v_and_b32_sdwa v4, sext(v1), s56 dst_sel:DWORD dst_unused:UNUSED_PAD src0_sel:BYTE_0 src1_sel:DWORD
	v_lshl_add_u32 v3, v3, 23, v5
	v_or3_b32 v2, v4, v3, v2
	v_mov_b32_e32 v3, v49
	buffer_store_dword v2, off, s[60:63], 0 offset:72 ; 4-byte Folded Spill
	s_nop 0
	buffer_store_dword v3, off, s[60:63], 0 offset:76 ; 4-byte Folded Spill
.LBB204_82:                             ;   in Loop: Header=BB204_13 Depth=1
	s_or_b64 exec, exec, s[46:47]
.LBB204_83:                             ;   in Loop: Header=BB204_13 Depth=1
	s_or_b64 exec, exec, s[44:45]
.LBB204_84:                             ;   in Loop: Header=BB204_13 Depth=1
	s_or_b64 exec, exec, s[42:43]
	v_cmp_ne_u16_sdwa s[6:7], v1, v49 src0_sel:BYTE_1 src1_sel:DWORD
	s_and_saveexec_b64 s[42:43], s[6:7]
	s_cbranch_execz .LBB204_90
; %bb.85:                               ;   in Loop: Header=BB204_13 Depth=1
	v_cmp_ne_u16_sdwa s[6:7], v1, s54 src0_sel:BYTE_1 src1_sel:DWORD
	buffer_store_dword v49, off, s[60:63], 0 offset:80 ; 4-byte Folded Spill
	s_nop 0
	buffer_store_dword v50, off, s[60:63], 0 offset:84 ; 4-byte Folded Spill
	s_and_saveexec_b64 s[44:45], s[6:7]
	s_cbranch_execz .LBB204_89
; %bb.86:                               ;   in Loop: Header=BB204_13 Depth=1
	v_and_b32_sdwa v2, v1, s55 dst_sel:DWORD dst_unused:UNUSED_PAD src0_sel:BYTE_1 src1_sel:DWORD
	v_cmp_ne_u32_e64 s[6:7], s55, v2
	v_mov_b32_e32 v39, v49
	buffer_store_dword v39, off, s[60:63], 0 offset:80 ; 4-byte Folded Spill
	s_nop 0
	buffer_store_dword v40, off, s[60:63], 0 offset:84 ; 4-byte Folded Spill
	s_and_saveexec_b64 s[46:47], s[6:7]
	s_cbranch_execz .LBB204_88
; %bb.87:                               ;   in Loop: Header=BB204_13 Depth=1
	v_mov_b32_e32 v3, 7
	v_and_b32_sdwa v3, v1, v3 dst_sel:DWORD dst_unused:UNUSED_PAD src0_sel:BYTE_1 src1_sel:DWORD
	v_lshrrev_b32_e32 v6, 3, v2
	v_cmp_gt_u32_e64 s[6:7], 8, v2
	v_ffbh_u32_e32 v2, v3
	v_min_u32_e32 v2, 32, v2
	v_mov_b32_e32 v4, v49
	v_subrev_u32_e32 v5, 28, v2
	v_lshlrev_b64 v[4:5], v5, v[3:4]
	v_sub_u32_e32 v2, 29, v2
	v_and_b32_e32 v4, 7, v4
	v_cndmask_b32_e64 v2, v6, v2, s[6:7]
	v_cndmask_b32_e64 v3, v3, v4, s[6:7]
	v_bfrev_b32_e32 v4, 60
	v_lshlrev_b32_e32 v1, 16, v1
	v_lshl_add_u32 v2, v2, 23, v4
	v_and_or_b32 v1, v1, s56, v2
	v_lshlrev_b32_e32 v2, 20, v3
	v_or_b32_e32 v2, v1, v2
	v_mov_b32_e32 v1, v49
	buffer_store_dword v1, off, s[60:63], 0 offset:80 ; 4-byte Folded Spill
	s_nop 0
	buffer_store_dword v2, off, s[60:63], 0 offset:84 ; 4-byte Folded Spill
.LBB204_88:                             ;   in Loop: Header=BB204_13 Depth=1
	s_or_b64 exec, exec, s[46:47]
.LBB204_89:                             ;   in Loop: Header=BB204_13 Depth=1
	s_or_b64 exec, exec, s[44:45]
.LBB204_90:                             ;   in Loop: Header=BB204_13 Depth=1
	s_or_b64 exec, exec, s[42:43]
	global_load_ushort v2, v[59:60], off offset:520
	s_waitcnt vmcnt(0)
	v_and_b32_e32 v1, 0xffff, v2
	v_cmp_ne_u16_sdwa s[6:7], v2, v49 src0_sel:BYTE_0 src1_sel:DWORD
	v_mov_b32_e32 v2, 0
	v_mov_b32_e32 v3, 0
	buffer_store_dword v2, off, s[60:63], 0 offset:96 ; 4-byte Folded Spill
	s_nop 0
	buffer_store_dword v3, off, s[60:63], 0 offset:100 ; 4-byte Folded Spill
	v_mov_b32_e32 v2, 0
	v_mov_b32_e32 v3, 0
	buffer_store_dword v2, off, s[60:63], 0 offset:88 ; 4-byte Folded Spill
	s_nop 0
	buffer_store_dword v3, off, s[60:63], 0 offset:92 ; 4-byte Folded Spill
	s_and_saveexec_b64 s[42:43], s[6:7]
	s_cbranch_execz .LBB204_96
; %bb.91:                               ;   in Loop: Header=BB204_13 Depth=1
	v_bfrev_b32_e32 v2, 1
	v_mov_b32_e32 v3, 0
	v_cmp_ne_u16_sdwa s[6:7], v1, s54 src0_sel:BYTE_0 src1_sel:DWORD
	buffer_store_dword v2, off, s[60:63], 0 offset:88 ; 4-byte Folded Spill
	s_nop 0
	buffer_store_dword v3, off, s[60:63], 0 offset:92 ; 4-byte Folded Spill
	s_and_saveexec_b64 s[44:45], s[6:7]
	s_cbranch_execz .LBB204_95
; %bb.92:                               ;   in Loop: Header=BB204_13 Depth=1
	v_and_b32_e32 v2, 0x7f, v1
	v_mov_b32_e32 v3, 0x7f800001
	v_mov_b32_e32 v4, 0
	v_cmp_ne_u32_e64 s[6:7], s55, v2
	buffer_store_dword v3, off, s[60:63], 0 offset:88 ; 4-byte Folded Spill
	s_nop 0
	buffer_store_dword v4, off, s[60:63], 0 offset:92 ; 4-byte Folded Spill
	s_and_saveexec_b64 s[46:47], s[6:7]
	s_cbranch_execz .LBB204_94
; %bb.93:                               ;   in Loop: Header=BB204_13 Depth=1
	v_and_b32_e32 v4, 7, v1
	v_lshrrev_b32_e32 v5, 3, v2
	v_cmp_gt_u32_e64 s[6:7], 8, v2
	v_ffbh_u32_e32 v2, v4
	v_min_u32_e32 v6, 32, v2
	v_subrev_u32_e32 v2, 28, v6
	v_lshlrev_b64 v[2:3], v2, v[1:2]
	v_sub_u32_e32 v3, 29, v6
	v_and_b32_e32 v2, 7, v2
	v_cndmask_b32_e64 v3, v5, v3, s[6:7]
	v_cndmask_b32_e64 v2, v4, v2, s[6:7]
	v_bfrev_b32_e32 v5, 60
	v_lshlrev_b32_e32 v2, 20, v2
	v_and_b32_sdwa v4, sext(v1), s56 dst_sel:DWORD dst_unused:UNUSED_PAD src0_sel:BYTE_0 src1_sel:DWORD
	v_lshl_add_u32 v3, v3, 23, v5
	v_or3_b32 v2, v4, v3, v2
	v_mov_b32_e32 v3, v49
	buffer_store_dword v2, off, s[60:63], 0 offset:88 ; 4-byte Folded Spill
	s_nop 0
	buffer_store_dword v3, off, s[60:63], 0 offset:92 ; 4-byte Folded Spill
.LBB204_94:                             ;   in Loop: Header=BB204_13 Depth=1
	s_or_b64 exec, exec, s[46:47]
.LBB204_95:                             ;   in Loop: Header=BB204_13 Depth=1
	s_or_b64 exec, exec, s[44:45]
.LBB204_96:                             ;   in Loop: Header=BB204_13 Depth=1
	s_or_b64 exec, exec, s[42:43]
	v_cmp_ne_u16_sdwa s[6:7], v1, v49 src0_sel:BYTE_1 src1_sel:DWORD
	s_and_saveexec_b64 s[42:43], s[6:7]
	s_cbranch_execz .LBB204_102
; %bb.97:                               ;   in Loop: Header=BB204_13 Depth=1
	v_cmp_ne_u16_sdwa s[6:7], v1, s54 src0_sel:BYTE_1 src1_sel:DWORD
	buffer_store_dword v49, off, s[60:63], 0 offset:96 ; 4-byte Folded Spill
	s_nop 0
	buffer_store_dword v50, off, s[60:63], 0 offset:100 ; 4-byte Folded Spill
	s_and_saveexec_b64 s[44:45], s[6:7]
	s_cbranch_execz .LBB204_101
; %bb.98:                               ;   in Loop: Header=BB204_13 Depth=1
	v_and_b32_sdwa v2, v1, s55 dst_sel:DWORD dst_unused:UNUSED_PAD src0_sel:BYTE_1 src1_sel:DWORD
	v_cmp_ne_u32_e64 s[6:7], s55, v2
	v_mov_b32_e32 v39, v49
	buffer_store_dword v39, off, s[60:63], 0 offset:96 ; 4-byte Folded Spill
	s_nop 0
	buffer_store_dword v40, off, s[60:63], 0 offset:100 ; 4-byte Folded Spill
	s_and_saveexec_b64 s[46:47], s[6:7]
	s_cbranch_execz .LBB204_100
; %bb.99:                               ;   in Loop: Header=BB204_13 Depth=1
	v_mov_b32_e32 v3, 7
	v_and_b32_sdwa v3, v1, v3 dst_sel:DWORD dst_unused:UNUSED_PAD src0_sel:BYTE_1 src1_sel:DWORD
	v_lshrrev_b32_e32 v6, 3, v2
	v_cmp_gt_u32_e64 s[6:7], 8, v2
	v_ffbh_u32_e32 v2, v3
	v_min_u32_e32 v2, 32, v2
	v_mov_b32_e32 v4, v49
	v_subrev_u32_e32 v5, 28, v2
	v_lshlrev_b64 v[4:5], v5, v[3:4]
	v_sub_u32_e32 v2, 29, v2
	v_and_b32_e32 v4, 7, v4
	v_cndmask_b32_e64 v2, v6, v2, s[6:7]
	v_cndmask_b32_e64 v3, v3, v4, s[6:7]
	v_bfrev_b32_e32 v4, 60
	v_lshlrev_b32_e32 v1, 16, v1
	v_lshl_add_u32 v2, v2, 23, v4
	v_and_or_b32 v1, v1, s56, v2
	v_lshlrev_b32_e32 v2, 20, v3
	v_or_b32_e32 v2, v1, v2
	v_mov_b32_e32 v1, v49
	buffer_store_dword v1, off, s[60:63], 0 offset:96 ; 4-byte Folded Spill
	s_nop 0
	buffer_store_dword v2, off, s[60:63], 0 offset:100 ; 4-byte Folded Spill
.LBB204_100:                            ;   in Loop: Header=BB204_13 Depth=1
	s_or_b64 exec, exec, s[46:47]
.LBB204_101:                            ;   in Loop: Header=BB204_13 Depth=1
	s_or_b64 exec, exec, s[44:45]
.LBB204_102:                            ;   in Loop: Header=BB204_13 Depth=1
	s_or_b64 exec, exec, s[42:43]
	global_load_ushort v2, v[59:60], off offset:524
	s_waitcnt vmcnt(0)
	v_and_b32_e32 v1, 0xffff, v2
	v_cmp_ne_u16_sdwa s[6:7], v2, v49 src0_sel:BYTE_0 src1_sel:DWORD
	v_mov_b32_e32 v2, 0
	v_mov_b32_e32 v3, 0
	buffer_store_dword v2, off, s[60:63], 0 offset:112 ; 4-byte Folded Spill
	s_nop 0
	buffer_store_dword v3, off, s[60:63], 0 offset:116 ; 4-byte Folded Spill
	v_mov_b32_e32 v2, 0
	v_mov_b32_e32 v3, 0
	buffer_store_dword v2, off, s[60:63], 0 offset:104 ; 4-byte Folded Spill
	s_nop 0
	buffer_store_dword v3, off, s[60:63], 0 offset:108 ; 4-byte Folded Spill
	s_and_saveexec_b64 s[42:43], s[6:7]
	s_cbranch_execz .LBB204_108
; %bb.103:                              ;   in Loop: Header=BB204_13 Depth=1
	v_bfrev_b32_e32 v2, 1
	v_mov_b32_e32 v3, 0
	v_cmp_ne_u16_sdwa s[6:7], v1, s54 src0_sel:BYTE_0 src1_sel:DWORD
	buffer_store_dword v2, off, s[60:63], 0 offset:104 ; 4-byte Folded Spill
	s_nop 0
	buffer_store_dword v3, off, s[60:63], 0 offset:108 ; 4-byte Folded Spill
	s_and_saveexec_b64 s[44:45], s[6:7]
	s_cbranch_execz .LBB204_107
; %bb.104:                              ;   in Loop: Header=BB204_13 Depth=1
	v_and_b32_e32 v2, 0x7f, v1
	v_mov_b32_e32 v3, 0x7f800001
	v_mov_b32_e32 v4, 0
	v_cmp_ne_u32_e64 s[6:7], s55, v2
	buffer_store_dword v3, off, s[60:63], 0 offset:104 ; 4-byte Folded Spill
	s_nop 0
	buffer_store_dword v4, off, s[60:63], 0 offset:108 ; 4-byte Folded Spill
	s_and_saveexec_b64 s[46:47], s[6:7]
	s_cbranch_execz .LBB204_106
; %bb.105:                              ;   in Loop: Header=BB204_13 Depth=1
	v_and_b32_e32 v4, 7, v1
	v_lshrrev_b32_e32 v5, 3, v2
	v_cmp_gt_u32_e64 s[6:7], 8, v2
	v_ffbh_u32_e32 v2, v4
	v_min_u32_e32 v6, 32, v2
	v_subrev_u32_e32 v2, 28, v6
	v_lshlrev_b64 v[2:3], v2, v[1:2]
	v_sub_u32_e32 v3, 29, v6
	v_and_b32_e32 v2, 7, v2
	v_cndmask_b32_e64 v3, v5, v3, s[6:7]
	v_cndmask_b32_e64 v2, v4, v2, s[6:7]
	v_bfrev_b32_e32 v5, 60
	v_lshlrev_b32_e32 v2, 20, v2
	v_and_b32_sdwa v4, sext(v1), s56 dst_sel:DWORD dst_unused:UNUSED_PAD src0_sel:BYTE_0 src1_sel:DWORD
	v_lshl_add_u32 v3, v3, 23, v5
	v_or3_b32 v2, v4, v3, v2
	v_mov_b32_e32 v3, v49
	buffer_store_dword v2, off, s[60:63], 0 offset:104 ; 4-byte Folded Spill
	s_nop 0
	buffer_store_dword v3, off, s[60:63], 0 offset:108 ; 4-byte Folded Spill
.LBB204_106:                            ;   in Loop: Header=BB204_13 Depth=1
	s_or_b64 exec, exec, s[46:47]
.LBB204_107:                            ;   in Loop: Header=BB204_13 Depth=1
	s_or_b64 exec, exec, s[44:45]
.LBB204_108:                            ;   in Loop: Header=BB204_13 Depth=1
	s_or_b64 exec, exec, s[42:43]
	v_cmp_ne_u16_sdwa s[6:7], v1, v49 src0_sel:BYTE_1 src1_sel:DWORD
	s_and_saveexec_b64 s[42:43], s[6:7]
	s_cbranch_execz .LBB204_114
; %bb.109:                              ;   in Loop: Header=BB204_13 Depth=1
	v_cmp_ne_u16_sdwa s[6:7], v1, s54 src0_sel:BYTE_1 src1_sel:DWORD
	buffer_store_dword v49, off, s[60:63], 0 offset:112 ; 4-byte Folded Spill
	s_nop 0
	buffer_store_dword v50, off, s[60:63], 0 offset:116 ; 4-byte Folded Spill
	s_and_saveexec_b64 s[44:45], s[6:7]
	s_cbranch_execz .LBB204_113
; %bb.110:                              ;   in Loop: Header=BB204_13 Depth=1
	v_and_b32_sdwa v2, v1, s55 dst_sel:DWORD dst_unused:UNUSED_PAD src0_sel:BYTE_1 src1_sel:DWORD
	v_cmp_ne_u32_e64 s[6:7], s55, v2
	v_mov_b32_e32 v39, v49
	buffer_store_dword v39, off, s[60:63], 0 offset:112 ; 4-byte Folded Spill
	s_nop 0
	buffer_store_dword v40, off, s[60:63], 0 offset:116 ; 4-byte Folded Spill
	s_and_saveexec_b64 s[46:47], s[6:7]
	s_cbranch_execz .LBB204_112
; %bb.111:                              ;   in Loop: Header=BB204_13 Depth=1
	v_mov_b32_e32 v3, 7
	v_and_b32_sdwa v3, v1, v3 dst_sel:DWORD dst_unused:UNUSED_PAD src0_sel:BYTE_1 src1_sel:DWORD
	v_lshrrev_b32_e32 v6, 3, v2
	v_cmp_gt_u32_e64 s[6:7], 8, v2
	v_ffbh_u32_e32 v2, v3
	v_min_u32_e32 v2, 32, v2
	v_mov_b32_e32 v4, v49
	v_subrev_u32_e32 v5, 28, v2
	v_lshlrev_b64 v[4:5], v5, v[3:4]
	v_sub_u32_e32 v2, 29, v2
	v_and_b32_e32 v4, 7, v4
	v_cndmask_b32_e64 v2, v6, v2, s[6:7]
	v_cndmask_b32_e64 v3, v3, v4, s[6:7]
	v_bfrev_b32_e32 v4, 60
	v_lshlrev_b32_e32 v1, 16, v1
	v_lshl_add_u32 v2, v2, 23, v4
	v_and_or_b32 v1, v1, s56, v2
	v_lshlrev_b32_e32 v2, 20, v3
	v_or_b32_e32 v2, v1, v2
	v_mov_b32_e32 v1, v49
	buffer_store_dword v1, off, s[60:63], 0 offset:112 ; 4-byte Folded Spill
	s_nop 0
	buffer_store_dword v2, off, s[60:63], 0 offset:116 ; 4-byte Folded Spill
.LBB204_112:                            ;   in Loop: Header=BB204_13 Depth=1
	s_or_b64 exec, exec, s[46:47]
.LBB204_113:                            ;   in Loop: Header=BB204_13 Depth=1
	s_or_b64 exec, exec, s[44:45]
.LBB204_114:                            ;   in Loop: Header=BB204_13 Depth=1
	s_or_b64 exec, exec, s[42:43]
	global_load_ushort v2, v[59:60], off offset:1024
	s_waitcnt vmcnt(0)
	v_and_b32_e32 v1, 0xffff, v2
	v_cmp_ne_u16_sdwa s[6:7], v2, v49 src0_sel:BYTE_0 src1_sel:DWORD
	v_mov_b32_e32 v2, 0
	v_mov_b32_e32 v3, 0
	buffer_store_dword v2, off, s[60:63], 0 offset:128 ; 4-byte Folded Spill
	s_nop 0
	buffer_store_dword v3, off, s[60:63], 0 offset:132 ; 4-byte Folded Spill
	v_mov_b32_e32 v2, 0
	v_mov_b32_e32 v3, 0
	buffer_store_dword v2, off, s[60:63], 0 offset:120 ; 4-byte Folded Spill
	s_nop 0
	buffer_store_dword v3, off, s[60:63], 0 offset:124 ; 4-byte Folded Spill
	s_and_saveexec_b64 s[42:43], s[6:7]
	s_cbranch_execz .LBB204_120
; %bb.115:                              ;   in Loop: Header=BB204_13 Depth=1
	v_bfrev_b32_e32 v2, 1
	v_mov_b32_e32 v3, 0
	v_cmp_ne_u16_sdwa s[6:7], v1, s54 src0_sel:BYTE_0 src1_sel:DWORD
	buffer_store_dword v2, off, s[60:63], 0 offset:120 ; 4-byte Folded Spill
	s_nop 0
	buffer_store_dword v3, off, s[60:63], 0 offset:124 ; 4-byte Folded Spill
	s_and_saveexec_b64 s[44:45], s[6:7]
	s_cbranch_execz .LBB204_119
; %bb.116:                              ;   in Loop: Header=BB204_13 Depth=1
	v_and_b32_e32 v2, 0x7f, v1
	v_mov_b32_e32 v3, 0x7f800001
	v_mov_b32_e32 v4, 0
	v_cmp_ne_u32_e64 s[6:7], s55, v2
	buffer_store_dword v3, off, s[60:63], 0 offset:120 ; 4-byte Folded Spill
	s_nop 0
	buffer_store_dword v4, off, s[60:63], 0 offset:124 ; 4-byte Folded Spill
	s_and_saveexec_b64 s[46:47], s[6:7]
	s_cbranch_execz .LBB204_118
; %bb.117:                              ;   in Loop: Header=BB204_13 Depth=1
	v_and_b32_e32 v4, 7, v1
	v_lshrrev_b32_e32 v5, 3, v2
	v_cmp_gt_u32_e64 s[6:7], 8, v2
	v_ffbh_u32_e32 v2, v4
	v_min_u32_e32 v6, 32, v2
	v_subrev_u32_e32 v2, 28, v6
	v_lshlrev_b64 v[2:3], v2, v[1:2]
	v_sub_u32_e32 v3, 29, v6
	v_and_b32_e32 v2, 7, v2
	v_cndmask_b32_e64 v3, v5, v3, s[6:7]
	v_cndmask_b32_e64 v2, v4, v2, s[6:7]
	v_bfrev_b32_e32 v5, 60
	v_lshlrev_b32_e32 v2, 20, v2
	v_and_b32_sdwa v4, sext(v1), s56 dst_sel:DWORD dst_unused:UNUSED_PAD src0_sel:BYTE_0 src1_sel:DWORD
	v_lshl_add_u32 v3, v3, 23, v5
	v_or3_b32 v2, v4, v3, v2
	v_mov_b32_e32 v3, v49
	buffer_store_dword v2, off, s[60:63], 0 offset:120 ; 4-byte Folded Spill
	s_nop 0
	buffer_store_dword v3, off, s[60:63], 0 offset:124 ; 4-byte Folded Spill
.LBB204_118:                            ;   in Loop: Header=BB204_13 Depth=1
	s_or_b64 exec, exec, s[46:47]
.LBB204_119:                            ;   in Loop: Header=BB204_13 Depth=1
	s_or_b64 exec, exec, s[44:45]
.LBB204_120:                            ;   in Loop: Header=BB204_13 Depth=1
	s_or_b64 exec, exec, s[42:43]
	v_cmp_ne_u16_sdwa s[6:7], v1, v49 src0_sel:BYTE_1 src1_sel:DWORD
	s_and_saveexec_b64 s[42:43], s[6:7]
	s_cbranch_execz .LBB204_126
; %bb.121:                              ;   in Loop: Header=BB204_13 Depth=1
	v_cmp_ne_u16_sdwa s[6:7], v1, s54 src0_sel:BYTE_1 src1_sel:DWORD
	buffer_store_dword v49, off, s[60:63], 0 offset:128 ; 4-byte Folded Spill
	s_nop 0
	buffer_store_dword v50, off, s[60:63], 0 offset:132 ; 4-byte Folded Spill
	s_and_saveexec_b64 s[44:45], s[6:7]
	s_cbranch_execz .LBB204_125
; %bb.122:                              ;   in Loop: Header=BB204_13 Depth=1
	v_and_b32_sdwa v2, v1, s55 dst_sel:DWORD dst_unused:UNUSED_PAD src0_sel:BYTE_1 src1_sel:DWORD
	v_cmp_ne_u32_e64 s[6:7], s55, v2
	v_mov_b32_e32 v39, v49
	buffer_store_dword v39, off, s[60:63], 0 offset:128 ; 4-byte Folded Spill
	s_nop 0
	buffer_store_dword v40, off, s[60:63], 0 offset:132 ; 4-byte Folded Spill
	s_and_saveexec_b64 s[46:47], s[6:7]
	s_cbranch_execz .LBB204_124
; %bb.123:                              ;   in Loop: Header=BB204_13 Depth=1
	v_mov_b32_e32 v3, 7
	v_and_b32_sdwa v3, v1, v3 dst_sel:DWORD dst_unused:UNUSED_PAD src0_sel:BYTE_1 src1_sel:DWORD
	v_lshrrev_b32_e32 v6, 3, v2
	v_cmp_gt_u32_e64 s[6:7], 8, v2
	v_ffbh_u32_e32 v2, v3
	v_min_u32_e32 v2, 32, v2
	v_mov_b32_e32 v4, v49
	v_subrev_u32_e32 v5, 28, v2
	v_lshlrev_b64 v[4:5], v5, v[3:4]
	v_sub_u32_e32 v2, 29, v2
	v_and_b32_e32 v4, 7, v4
	v_cndmask_b32_e64 v2, v6, v2, s[6:7]
	v_cndmask_b32_e64 v3, v3, v4, s[6:7]
	v_bfrev_b32_e32 v4, 60
	v_lshlrev_b32_e32 v1, 16, v1
	v_lshl_add_u32 v2, v2, 23, v4
	v_and_or_b32 v1, v1, s56, v2
	v_lshlrev_b32_e32 v2, 20, v3
	v_or_b32_e32 v2, v1, v2
	v_mov_b32_e32 v1, v49
	buffer_store_dword v1, off, s[60:63], 0 offset:128 ; 4-byte Folded Spill
	s_nop 0
	buffer_store_dword v2, off, s[60:63], 0 offset:132 ; 4-byte Folded Spill
.LBB204_124:                            ;   in Loop: Header=BB204_13 Depth=1
	s_or_b64 exec, exec, s[46:47]
.LBB204_125:                            ;   in Loop: Header=BB204_13 Depth=1
	s_or_b64 exec, exec, s[44:45]
.LBB204_126:                            ;   in Loop: Header=BB204_13 Depth=1
	s_or_b64 exec, exec, s[42:43]
	global_load_ushort v2, v[59:60], off offset:1028
	s_waitcnt vmcnt(0)
	v_and_b32_e32 v1, 0xffff, v2
	v_cmp_ne_u16_sdwa s[6:7], v2, v49 src0_sel:BYTE_0 src1_sel:DWORD
	v_mov_b32_e32 v2, 0
	v_mov_b32_e32 v3, 0
	buffer_store_dword v2, off, s[60:63], 0 offset:144 ; 4-byte Folded Spill
	s_nop 0
	buffer_store_dword v3, off, s[60:63], 0 offset:148 ; 4-byte Folded Spill
	v_mov_b32_e32 v2, 0
	v_mov_b32_e32 v3, 0
	buffer_store_dword v2, off, s[60:63], 0 offset:136 ; 4-byte Folded Spill
	s_nop 0
	buffer_store_dword v3, off, s[60:63], 0 offset:140 ; 4-byte Folded Spill
	s_and_saveexec_b64 s[42:43], s[6:7]
	s_cbranch_execz .LBB204_132
; %bb.127:                              ;   in Loop: Header=BB204_13 Depth=1
	v_bfrev_b32_e32 v2, 1
	v_mov_b32_e32 v3, 0
	v_cmp_ne_u16_sdwa s[6:7], v1, s54 src0_sel:BYTE_0 src1_sel:DWORD
	buffer_store_dword v2, off, s[60:63], 0 offset:136 ; 4-byte Folded Spill
	s_nop 0
	buffer_store_dword v3, off, s[60:63], 0 offset:140 ; 4-byte Folded Spill
	s_and_saveexec_b64 s[44:45], s[6:7]
	s_cbranch_execz .LBB204_131
; %bb.128:                              ;   in Loop: Header=BB204_13 Depth=1
	v_and_b32_e32 v2, 0x7f, v1
	v_mov_b32_e32 v3, 0x7f800001
	v_mov_b32_e32 v4, 0
	v_cmp_ne_u32_e64 s[6:7], s55, v2
	buffer_store_dword v3, off, s[60:63], 0 offset:136 ; 4-byte Folded Spill
	s_nop 0
	buffer_store_dword v4, off, s[60:63], 0 offset:140 ; 4-byte Folded Spill
	s_and_saveexec_b64 s[46:47], s[6:7]
	s_cbranch_execz .LBB204_130
; %bb.129:                              ;   in Loop: Header=BB204_13 Depth=1
	v_and_b32_e32 v4, 7, v1
	v_lshrrev_b32_e32 v5, 3, v2
	v_cmp_gt_u32_e64 s[6:7], 8, v2
	v_ffbh_u32_e32 v2, v4
	v_min_u32_e32 v6, 32, v2
	v_subrev_u32_e32 v2, 28, v6
	v_lshlrev_b64 v[2:3], v2, v[1:2]
	v_sub_u32_e32 v3, 29, v6
	v_and_b32_e32 v2, 7, v2
	v_cndmask_b32_e64 v3, v5, v3, s[6:7]
	v_cndmask_b32_e64 v2, v4, v2, s[6:7]
	v_bfrev_b32_e32 v5, 60
	v_lshlrev_b32_e32 v2, 20, v2
	v_and_b32_sdwa v4, sext(v1), s56 dst_sel:DWORD dst_unused:UNUSED_PAD src0_sel:BYTE_0 src1_sel:DWORD
	v_lshl_add_u32 v3, v3, 23, v5
	v_or3_b32 v2, v4, v3, v2
	v_mov_b32_e32 v3, v49
	buffer_store_dword v2, off, s[60:63], 0 offset:136 ; 4-byte Folded Spill
	s_nop 0
	buffer_store_dword v3, off, s[60:63], 0 offset:140 ; 4-byte Folded Spill
.LBB204_130:                            ;   in Loop: Header=BB204_13 Depth=1
	s_or_b64 exec, exec, s[46:47]
.LBB204_131:                            ;   in Loop: Header=BB204_13 Depth=1
	s_or_b64 exec, exec, s[44:45]
.LBB204_132:                            ;   in Loop: Header=BB204_13 Depth=1
	s_or_b64 exec, exec, s[42:43]
	v_cmp_ne_u16_sdwa s[6:7], v1, v49 src0_sel:BYTE_1 src1_sel:DWORD
	s_and_saveexec_b64 s[42:43], s[6:7]
	s_cbranch_execz .LBB204_138
; %bb.133:                              ;   in Loop: Header=BB204_13 Depth=1
	v_cmp_ne_u16_sdwa s[6:7], v1, s54 src0_sel:BYTE_1 src1_sel:DWORD
	buffer_store_dword v49, off, s[60:63], 0 offset:144 ; 4-byte Folded Spill
	s_nop 0
	buffer_store_dword v50, off, s[60:63], 0 offset:148 ; 4-byte Folded Spill
	s_and_saveexec_b64 s[44:45], s[6:7]
	s_cbranch_execz .LBB204_137
; %bb.134:                              ;   in Loop: Header=BB204_13 Depth=1
	v_and_b32_sdwa v2, v1, s55 dst_sel:DWORD dst_unused:UNUSED_PAD src0_sel:BYTE_1 src1_sel:DWORD
	v_cmp_ne_u32_e64 s[6:7], s55, v2
	v_mov_b32_e32 v39, v49
	buffer_store_dword v39, off, s[60:63], 0 offset:144 ; 4-byte Folded Spill
	s_nop 0
	buffer_store_dword v40, off, s[60:63], 0 offset:148 ; 4-byte Folded Spill
	s_and_saveexec_b64 s[46:47], s[6:7]
	s_cbranch_execz .LBB204_136
; %bb.135:                              ;   in Loop: Header=BB204_13 Depth=1
	v_mov_b32_e32 v3, 7
	v_and_b32_sdwa v3, v1, v3 dst_sel:DWORD dst_unused:UNUSED_PAD src0_sel:BYTE_1 src1_sel:DWORD
	v_lshrrev_b32_e32 v6, 3, v2
	v_cmp_gt_u32_e64 s[6:7], 8, v2
	v_ffbh_u32_e32 v2, v3
	v_min_u32_e32 v2, 32, v2
	v_mov_b32_e32 v4, v49
	v_subrev_u32_e32 v5, 28, v2
	v_lshlrev_b64 v[4:5], v5, v[3:4]
	v_sub_u32_e32 v2, 29, v2
	v_and_b32_e32 v4, 7, v4
	v_cndmask_b32_e64 v2, v6, v2, s[6:7]
	v_cndmask_b32_e64 v3, v3, v4, s[6:7]
	v_bfrev_b32_e32 v4, 60
	v_lshlrev_b32_e32 v1, 16, v1
	v_lshl_add_u32 v2, v2, 23, v4
	v_and_or_b32 v1, v1, s56, v2
	v_lshlrev_b32_e32 v2, 20, v3
	v_or_b32_e32 v2, v1, v2
	v_mov_b32_e32 v1, v49
	buffer_store_dword v1, off, s[60:63], 0 offset:144 ; 4-byte Folded Spill
	s_nop 0
	buffer_store_dword v2, off, s[60:63], 0 offset:148 ; 4-byte Folded Spill
.LBB204_136:                            ;   in Loop: Header=BB204_13 Depth=1
	s_or_b64 exec, exec, s[46:47]
.LBB204_137:                            ;   in Loop: Header=BB204_13 Depth=1
	s_or_b64 exec, exec, s[44:45]
.LBB204_138:                            ;   in Loop: Header=BB204_13 Depth=1
	s_or_b64 exec, exec, s[42:43]
	global_load_ushort v2, v[59:60], off offset:1032
	s_waitcnt vmcnt(0)
	v_and_b32_e32 v1, 0xffff, v2
	v_cmp_ne_u16_sdwa s[6:7], v2, v49 src0_sel:BYTE_0 src1_sel:DWORD
	v_mov_b32_e32 v2, 0
	v_mov_b32_e32 v3, 0
	buffer_store_dword v2, off, s[60:63], 0 offset:160 ; 4-byte Folded Spill
	s_nop 0
	buffer_store_dword v3, off, s[60:63], 0 offset:164 ; 4-byte Folded Spill
	v_mov_b32_e32 v2, 0
	v_mov_b32_e32 v3, 0
	buffer_store_dword v2, off, s[60:63], 0 offset:152 ; 4-byte Folded Spill
	s_nop 0
	buffer_store_dword v3, off, s[60:63], 0 offset:156 ; 4-byte Folded Spill
	s_and_saveexec_b64 s[42:43], s[6:7]
	s_cbranch_execz .LBB204_144
; %bb.139:                              ;   in Loop: Header=BB204_13 Depth=1
	v_bfrev_b32_e32 v2, 1
	v_mov_b32_e32 v3, 0
	v_cmp_ne_u16_sdwa s[6:7], v1, s54 src0_sel:BYTE_0 src1_sel:DWORD
	buffer_store_dword v2, off, s[60:63], 0 offset:152 ; 4-byte Folded Spill
	s_nop 0
	buffer_store_dword v3, off, s[60:63], 0 offset:156 ; 4-byte Folded Spill
	s_and_saveexec_b64 s[44:45], s[6:7]
	s_cbranch_execz .LBB204_143
; %bb.140:                              ;   in Loop: Header=BB204_13 Depth=1
	v_and_b32_e32 v2, 0x7f, v1
	v_mov_b32_e32 v3, 0x7f800001
	v_mov_b32_e32 v4, 0
	v_cmp_ne_u32_e64 s[6:7], s55, v2
	buffer_store_dword v3, off, s[60:63], 0 offset:152 ; 4-byte Folded Spill
	s_nop 0
	buffer_store_dword v4, off, s[60:63], 0 offset:156 ; 4-byte Folded Spill
	s_and_saveexec_b64 s[46:47], s[6:7]
	s_cbranch_execz .LBB204_142
; %bb.141:                              ;   in Loop: Header=BB204_13 Depth=1
	v_and_b32_e32 v4, 7, v1
	v_lshrrev_b32_e32 v5, 3, v2
	v_cmp_gt_u32_e64 s[6:7], 8, v2
	v_ffbh_u32_e32 v2, v4
	v_min_u32_e32 v6, 32, v2
	v_subrev_u32_e32 v2, 28, v6
	v_lshlrev_b64 v[2:3], v2, v[1:2]
	v_sub_u32_e32 v3, 29, v6
	v_and_b32_e32 v2, 7, v2
	v_cndmask_b32_e64 v3, v5, v3, s[6:7]
	v_cndmask_b32_e64 v2, v4, v2, s[6:7]
	v_bfrev_b32_e32 v5, 60
	v_lshlrev_b32_e32 v2, 20, v2
	v_and_b32_sdwa v4, sext(v1), s56 dst_sel:DWORD dst_unused:UNUSED_PAD src0_sel:BYTE_0 src1_sel:DWORD
	v_lshl_add_u32 v3, v3, 23, v5
	v_or3_b32 v2, v4, v3, v2
	v_mov_b32_e32 v3, v49
	buffer_store_dword v2, off, s[60:63], 0 offset:152 ; 4-byte Folded Spill
	s_nop 0
	buffer_store_dword v3, off, s[60:63], 0 offset:156 ; 4-byte Folded Spill
.LBB204_142:                            ;   in Loop: Header=BB204_13 Depth=1
	s_or_b64 exec, exec, s[46:47]
.LBB204_143:                            ;   in Loop: Header=BB204_13 Depth=1
	s_or_b64 exec, exec, s[44:45]
.LBB204_144:                            ;   in Loop: Header=BB204_13 Depth=1
	s_or_b64 exec, exec, s[42:43]
	v_cmp_ne_u16_sdwa s[6:7], v1, v49 src0_sel:BYTE_1 src1_sel:DWORD
	s_and_saveexec_b64 s[42:43], s[6:7]
	s_cbranch_execz .LBB204_150
; %bb.145:                              ;   in Loop: Header=BB204_13 Depth=1
	v_cmp_ne_u16_sdwa s[6:7], v1, s54 src0_sel:BYTE_1 src1_sel:DWORD
	buffer_store_dword v49, off, s[60:63], 0 offset:160 ; 4-byte Folded Spill
	s_nop 0
	buffer_store_dword v50, off, s[60:63], 0 offset:164 ; 4-byte Folded Spill
	s_and_saveexec_b64 s[44:45], s[6:7]
	s_cbranch_execz .LBB204_149
; %bb.146:                              ;   in Loop: Header=BB204_13 Depth=1
	v_and_b32_sdwa v2, v1, s55 dst_sel:DWORD dst_unused:UNUSED_PAD src0_sel:BYTE_1 src1_sel:DWORD
	v_cmp_ne_u32_e64 s[6:7], s55, v2
	v_mov_b32_e32 v39, v49
	buffer_store_dword v39, off, s[60:63], 0 offset:160 ; 4-byte Folded Spill
	s_nop 0
	buffer_store_dword v40, off, s[60:63], 0 offset:164 ; 4-byte Folded Spill
	s_and_saveexec_b64 s[46:47], s[6:7]
	s_cbranch_execz .LBB204_148
; %bb.147:                              ;   in Loop: Header=BB204_13 Depth=1
	v_mov_b32_e32 v3, 7
	v_and_b32_sdwa v3, v1, v3 dst_sel:DWORD dst_unused:UNUSED_PAD src0_sel:BYTE_1 src1_sel:DWORD
	v_lshrrev_b32_e32 v6, 3, v2
	v_cmp_gt_u32_e64 s[6:7], 8, v2
	v_ffbh_u32_e32 v2, v3
	v_min_u32_e32 v2, 32, v2
	v_mov_b32_e32 v4, v49
	v_subrev_u32_e32 v5, 28, v2
	v_lshlrev_b64 v[4:5], v5, v[3:4]
	v_sub_u32_e32 v2, 29, v2
	v_and_b32_e32 v4, 7, v4
	v_cndmask_b32_e64 v2, v6, v2, s[6:7]
	v_cndmask_b32_e64 v3, v3, v4, s[6:7]
	v_bfrev_b32_e32 v4, 60
	v_lshlrev_b32_e32 v1, 16, v1
	v_lshl_add_u32 v2, v2, 23, v4
	v_and_or_b32 v1, v1, s56, v2
	v_lshlrev_b32_e32 v2, 20, v3
	v_or_b32_e32 v2, v1, v2
	v_mov_b32_e32 v1, v49
	buffer_store_dword v1, off, s[60:63], 0 offset:160 ; 4-byte Folded Spill
	s_nop 0
	buffer_store_dword v2, off, s[60:63], 0 offset:164 ; 4-byte Folded Spill
.LBB204_148:                            ;   in Loop: Header=BB204_13 Depth=1
	s_or_b64 exec, exec, s[46:47]
.LBB204_149:                            ;   in Loop: Header=BB204_13 Depth=1
	s_or_b64 exec, exec, s[44:45]
.LBB204_150:                            ;   in Loop: Header=BB204_13 Depth=1
	s_or_b64 exec, exec, s[42:43]
	global_load_ushort v2, v[59:60], off offset:1036
	s_waitcnt vmcnt(0)
	v_and_b32_e32 v1, 0xffff, v2
	v_cmp_ne_u16_sdwa s[6:7], v2, v49 src0_sel:BYTE_0 src1_sel:DWORD
	v_mov_b32_e32 v2, 0
	v_mov_b32_e32 v3, 0
	buffer_store_dword v2, off, s[60:63], 0 offset:176 ; 4-byte Folded Spill
	s_nop 0
	buffer_store_dword v3, off, s[60:63], 0 offset:180 ; 4-byte Folded Spill
	v_mov_b32_e32 v2, 0
	v_mov_b32_e32 v3, 0
	buffer_store_dword v2, off, s[60:63], 0 offset:168 ; 4-byte Folded Spill
	s_nop 0
	buffer_store_dword v3, off, s[60:63], 0 offset:172 ; 4-byte Folded Spill
	s_and_saveexec_b64 s[42:43], s[6:7]
	s_cbranch_execz .LBB204_156
; %bb.151:                              ;   in Loop: Header=BB204_13 Depth=1
	v_bfrev_b32_e32 v2, 1
	v_mov_b32_e32 v3, 0
	v_cmp_ne_u16_sdwa s[6:7], v1, s54 src0_sel:BYTE_0 src1_sel:DWORD
	buffer_store_dword v2, off, s[60:63], 0 offset:168 ; 4-byte Folded Spill
	s_nop 0
	buffer_store_dword v3, off, s[60:63], 0 offset:172 ; 4-byte Folded Spill
	s_and_saveexec_b64 s[44:45], s[6:7]
	s_cbranch_execz .LBB204_155
; %bb.152:                              ;   in Loop: Header=BB204_13 Depth=1
	v_and_b32_e32 v2, 0x7f, v1
	v_mov_b32_e32 v3, 0x7f800001
	v_mov_b32_e32 v4, 0
	v_cmp_ne_u32_e64 s[6:7], s55, v2
	buffer_store_dword v3, off, s[60:63], 0 offset:168 ; 4-byte Folded Spill
	s_nop 0
	buffer_store_dword v4, off, s[60:63], 0 offset:172 ; 4-byte Folded Spill
	s_and_saveexec_b64 s[46:47], s[6:7]
	s_cbranch_execz .LBB204_154
; %bb.153:                              ;   in Loop: Header=BB204_13 Depth=1
	v_and_b32_e32 v4, 7, v1
	v_lshrrev_b32_e32 v5, 3, v2
	v_cmp_gt_u32_e64 s[6:7], 8, v2
	v_ffbh_u32_e32 v2, v4
	v_min_u32_e32 v6, 32, v2
	v_subrev_u32_e32 v2, 28, v6
	v_lshlrev_b64 v[2:3], v2, v[1:2]
	v_sub_u32_e32 v3, 29, v6
	v_and_b32_e32 v2, 7, v2
	v_cndmask_b32_e64 v3, v5, v3, s[6:7]
	v_cndmask_b32_e64 v2, v4, v2, s[6:7]
	v_bfrev_b32_e32 v5, 60
	v_lshlrev_b32_e32 v2, 20, v2
	v_and_b32_sdwa v4, sext(v1), s56 dst_sel:DWORD dst_unused:UNUSED_PAD src0_sel:BYTE_0 src1_sel:DWORD
	v_lshl_add_u32 v3, v3, 23, v5
	v_or3_b32 v2, v4, v3, v2
	v_mov_b32_e32 v3, v49
	buffer_store_dword v2, off, s[60:63], 0 offset:168 ; 4-byte Folded Spill
	s_nop 0
	buffer_store_dword v3, off, s[60:63], 0 offset:172 ; 4-byte Folded Spill
.LBB204_154:                            ;   in Loop: Header=BB204_13 Depth=1
	s_or_b64 exec, exec, s[46:47]
.LBB204_155:                            ;   in Loop: Header=BB204_13 Depth=1
	s_or_b64 exec, exec, s[44:45]
.LBB204_156:                            ;   in Loop: Header=BB204_13 Depth=1
	s_or_b64 exec, exec, s[42:43]
	v_cmp_ne_u16_sdwa s[6:7], v1, v49 src0_sel:BYTE_1 src1_sel:DWORD
	s_and_saveexec_b64 s[42:43], s[6:7]
	s_cbranch_execz .LBB204_162
; %bb.157:                              ;   in Loop: Header=BB204_13 Depth=1
	v_cmp_ne_u16_sdwa s[6:7], v1, s54 src0_sel:BYTE_1 src1_sel:DWORD
	buffer_store_dword v49, off, s[60:63], 0 offset:176 ; 4-byte Folded Spill
	s_nop 0
	buffer_store_dword v50, off, s[60:63], 0 offset:180 ; 4-byte Folded Spill
	s_and_saveexec_b64 s[44:45], s[6:7]
	s_cbranch_execz .LBB204_161
; %bb.158:                              ;   in Loop: Header=BB204_13 Depth=1
	v_and_b32_sdwa v2, v1, s55 dst_sel:DWORD dst_unused:UNUSED_PAD src0_sel:BYTE_1 src1_sel:DWORD
	v_cmp_ne_u32_e64 s[6:7], s55, v2
	v_mov_b32_e32 v39, v49
	buffer_store_dword v39, off, s[60:63], 0 offset:176 ; 4-byte Folded Spill
	s_nop 0
	buffer_store_dword v40, off, s[60:63], 0 offset:180 ; 4-byte Folded Spill
	s_and_saveexec_b64 s[46:47], s[6:7]
	s_cbranch_execz .LBB204_160
; %bb.159:                              ;   in Loop: Header=BB204_13 Depth=1
	v_mov_b32_e32 v3, 7
	v_and_b32_sdwa v3, v1, v3 dst_sel:DWORD dst_unused:UNUSED_PAD src0_sel:BYTE_1 src1_sel:DWORD
	v_lshrrev_b32_e32 v6, 3, v2
	v_cmp_gt_u32_e64 s[6:7], 8, v2
	v_ffbh_u32_e32 v2, v3
	v_min_u32_e32 v2, 32, v2
	v_mov_b32_e32 v4, v49
	v_subrev_u32_e32 v5, 28, v2
	v_lshlrev_b64 v[4:5], v5, v[3:4]
	v_sub_u32_e32 v2, 29, v2
	v_and_b32_e32 v4, 7, v4
	v_cndmask_b32_e64 v2, v6, v2, s[6:7]
	v_cndmask_b32_e64 v3, v3, v4, s[6:7]
	v_bfrev_b32_e32 v4, 60
	v_lshlrev_b32_e32 v1, 16, v1
	v_lshl_add_u32 v2, v2, 23, v4
	v_and_or_b32 v1, v1, s56, v2
	v_lshlrev_b32_e32 v2, 20, v3
	v_or_b32_e32 v2, v1, v2
	v_mov_b32_e32 v1, v49
	buffer_store_dword v1, off, s[60:63], 0 offset:176 ; 4-byte Folded Spill
	s_nop 0
	buffer_store_dword v2, off, s[60:63], 0 offset:180 ; 4-byte Folded Spill
.LBB204_160:                            ;   in Loop: Header=BB204_13 Depth=1
	s_or_b64 exec, exec, s[46:47]
.LBB204_161:                            ;   in Loop: Header=BB204_13 Depth=1
	s_or_b64 exec, exec, s[44:45]
.LBB204_162:                            ;   in Loop: Header=BB204_13 Depth=1
	s_or_b64 exec, exec, s[42:43]
	global_load_ushort v2, v[59:60], off offset:1536
	s_waitcnt vmcnt(0)
	v_and_b32_e32 v1, 0xffff, v2
	v_cmp_ne_u16_sdwa s[6:7], v2, v49 src0_sel:BYTE_0 src1_sel:DWORD
	v_mov_b32_e32 v2, 0
	v_mov_b32_e32 v3, 0
	buffer_store_dword v2, off, s[60:63], 0 offset:192 ; 4-byte Folded Spill
	s_nop 0
	buffer_store_dword v3, off, s[60:63], 0 offset:196 ; 4-byte Folded Spill
	v_mov_b32_e32 v2, 0
	v_mov_b32_e32 v3, 0
	buffer_store_dword v2, off, s[60:63], 0 offset:184 ; 4-byte Folded Spill
	s_nop 0
	buffer_store_dword v3, off, s[60:63], 0 offset:188 ; 4-byte Folded Spill
	s_and_saveexec_b64 s[42:43], s[6:7]
	s_cbranch_execz .LBB204_168
; %bb.163:                              ;   in Loop: Header=BB204_13 Depth=1
	v_bfrev_b32_e32 v2, 1
	v_mov_b32_e32 v3, 0
	v_cmp_ne_u16_sdwa s[6:7], v1, s54 src0_sel:BYTE_0 src1_sel:DWORD
	buffer_store_dword v2, off, s[60:63], 0 offset:184 ; 4-byte Folded Spill
	s_nop 0
	buffer_store_dword v3, off, s[60:63], 0 offset:188 ; 4-byte Folded Spill
	s_and_saveexec_b64 s[44:45], s[6:7]
	s_cbranch_execz .LBB204_167
; %bb.164:                              ;   in Loop: Header=BB204_13 Depth=1
	v_and_b32_e32 v2, 0x7f, v1
	v_mov_b32_e32 v3, 0x7f800001
	v_mov_b32_e32 v4, 0
	v_cmp_ne_u32_e64 s[6:7], s55, v2
	buffer_store_dword v3, off, s[60:63], 0 offset:184 ; 4-byte Folded Spill
	s_nop 0
	buffer_store_dword v4, off, s[60:63], 0 offset:188 ; 4-byte Folded Spill
	s_and_saveexec_b64 s[46:47], s[6:7]
	s_cbranch_execz .LBB204_166
; %bb.165:                              ;   in Loop: Header=BB204_13 Depth=1
	v_and_b32_e32 v4, 7, v1
	v_lshrrev_b32_e32 v5, 3, v2
	v_cmp_gt_u32_e64 s[6:7], 8, v2
	v_ffbh_u32_e32 v2, v4
	v_min_u32_e32 v6, 32, v2
	v_subrev_u32_e32 v2, 28, v6
	v_lshlrev_b64 v[2:3], v2, v[1:2]
	v_sub_u32_e32 v3, 29, v6
	v_and_b32_e32 v2, 7, v2
	v_cndmask_b32_e64 v3, v5, v3, s[6:7]
	v_cndmask_b32_e64 v2, v4, v2, s[6:7]
	v_bfrev_b32_e32 v5, 60
	v_lshlrev_b32_e32 v2, 20, v2
	v_and_b32_sdwa v4, sext(v1), s56 dst_sel:DWORD dst_unused:UNUSED_PAD src0_sel:BYTE_0 src1_sel:DWORD
	v_lshl_add_u32 v3, v3, 23, v5
	v_or3_b32 v2, v4, v3, v2
	v_mov_b32_e32 v3, v49
	buffer_store_dword v2, off, s[60:63], 0 offset:184 ; 4-byte Folded Spill
	s_nop 0
	buffer_store_dword v3, off, s[60:63], 0 offset:188 ; 4-byte Folded Spill
.LBB204_166:                            ;   in Loop: Header=BB204_13 Depth=1
	s_or_b64 exec, exec, s[46:47]
.LBB204_167:                            ;   in Loop: Header=BB204_13 Depth=1
	s_or_b64 exec, exec, s[44:45]
.LBB204_168:                            ;   in Loop: Header=BB204_13 Depth=1
	s_or_b64 exec, exec, s[42:43]
	v_cmp_ne_u16_sdwa s[6:7], v1, v49 src0_sel:BYTE_1 src1_sel:DWORD
	s_and_saveexec_b64 s[42:43], s[6:7]
	s_cbranch_execz .LBB204_174
; %bb.169:                              ;   in Loop: Header=BB204_13 Depth=1
	v_cmp_ne_u16_sdwa s[6:7], v1, s54 src0_sel:BYTE_1 src1_sel:DWORD
	buffer_store_dword v49, off, s[60:63], 0 offset:192 ; 4-byte Folded Spill
	s_nop 0
	buffer_store_dword v50, off, s[60:63], 0 offset:196 ; 4-byte Folded Spill
	s_and_saveexec_b64 s[44:45], s[6:7]
	s_cbranch_execz .LBB204_173
; %bb.170:                              ;   in Loop: Header=BB204_13 Depth=1
	v_and_b32_sdwa v2, v1, s55 dst_sel:DWORD dst_unused:UNUSED_PAD src0_sel:BYTE_1 src1_sel:DWORD
	v_cmp_ne_u32_e64 s[6:7], s55, v2
	v_mov_b32_e32 v39, v49
	buffer_store_dword v39, off, s[60:63], 0 offset:192 ; 4-byte Folded Spill
	s_nop 0
	buffer_store_dword v40, off, s[60:63], 0 offset:196 ; 4-byte Folded Spill
	s_and_saveexec_b64 s[46:47], s[6:7]
	s_cbranch_execz .LBB204_172
; %bb.171:                              ;   in Loop: Header=BB204_13 Depth=1
	v_mov_b32_e32 v3, 7
	v_and_b32_sdwa v3, v1, v3 dst_sel:DWORD dst_unused:UNUSED_PAD src0_sel:BYTE_1 src1_sel:DWORD
	v_lshrrev_b32_e32 v6, 3, v2
	v_cmp_gt_u32_e64 s[6:7], 8, v2
	v_ffbh_u32_e32 v2, v3
	v_min_u32_e32 v2, 32, v2
	v_mov_b32_e32 v4, v49
	v_subrev_u32_e32 v5, 28, v2
	v_lshlrev_b64 v[4:5], v5, v[3:4]
	v_sub_u32_e32 v2, 29, v2
	v_and_b32_e32 v4, 7, v4
	v_cndmask_b32_e64 v2, v6, v2, s[6:7]
	v_cndmask_b32_e64 v3, v3, v4, s[6:7]
	v_bfrev_b32_e32 v4, 60
	v_lshlrev_b32_e32 v1, 16, v1
	v_lshl_add_u32 v2, v2, 23, v4
	v_and_or_b32 v1, v1, s56, v2
	v_lshlrev_b32_e32 v2, 20, v3
	v_or_b32_e32 v2, v1, v2
	v_mov_b32_e32 v1, v49
	buffer_store_dword v1, off, s[60:63], 0 offset:192 ; 4-byte Folded Spill
	s_nop 0
	buffer_store_dword v2, off, s[60:63], 0 offset:196 ; 4-byte Folded Spill
.LBB204_172:                            ;   in Loop: Header=BB204_13 Depth=1
	s_or_b64 exec, exec, s[46:47]
.LBB204_173:                            ;   in Loop: Header=BB204_13 Depth=1
	s_or_b64 exec, exec, s[44:45]
.LBB204_174:                            ;   in Loop: Header=BB204_13 Depth=1
	s_or_b64 exec, exec, s[42:43]
	global_load_ushort v2, v[59:60], off offset:1540
	s_waitcnt vmcnt(0)
	v_and_b32_e32 v1, 0xffff, v2
	v_cmp_ne_u16_sdwa s[6:7], v2, v49 src0_sel:BYTE_0 src1_sel:DWORD
	v_mov_b32_e32 v2, 0
	v_mov_b32_e32 v3, 0
	buffer_store_dword v2, off, s[60:63], 0 offset:208 ; 4-byte Folded Spill
	s_nop 0
	buffer_store_dword v3, off, s[60:63], 0 offset:212 ; 4-byte Folded Spill
	v_mov_b32_e32 v2, 0
	v_mov_b32_e32 v3, 0
	buffer_store_dword v2, off, s[60:63], 0 offset:200 ; 4-byte Folded Spill
	s_nop 0
	buffer_store_dword v3, off, s[60:63], 0 offset:204 ; 4-byte Folded Spill
	s_and_saveexec_b64 s[42:43], s[6:7]
	s_cbranch_execz .LBB204_180
; %bb.175:                              ;   in Loop: Header=BB204_13 Depth=1
	v_bfrev_b32_e32 v2, 1
	v_mov_b32_e32 v3, 0
	v_cmp_ne_u16_sdwa s[6:7], v1, s54 src0_sel:BYTE_0 src1_sel:DWORD
	buffer_store_dword v2, off, s[60:63], 0 offset:200 ; 4-byte Folded Spill
	s_nop 0
	buffer_store_dword v3, off, s[60:63], 0 offset:204 ; 4-byte Folded Spill
	s_and_saveexec_b64 s[44:45], s[6:7]
	s_cbranch_execz .LBB204_179
; %bb.176:                              ;   in Loop: Header=BB204_13 Depth=1
	v_and_b32_e32 v2, 0x7f, v1
	v_mov_b32_e32 v3, 0x7f800001
	v_mov_b32_e32 v4, 0
	v_cmp_ne_u32_e64 s[6:7], s55, v2
	buffer_store_dword v3, off, s[60:63], 0 offset:200 ; 4-byte Folded Spill
	s_nop 0
	buffer_store_dword v4, off, s[60:63], 0 offset:204 ; 4-byte Folded Spill
	s_and_saveexec_b64 s[46:47], s[6:7]
	s_cbranch_execz .LBB204_178
; %bb.177:                              ;   in Loop: Header=BB204_13 Depth=1
	v_and_b32_e32 v4, 7, v1
	v_lshrrev_b32_e32 v5, 3, v2
	v_cmp_gt_u32_e64 s[6:7], 8, v2
	v_ffbh_u32_e32 v2, v4
	v_min_u32_e32 v6, 32, v2
	v_subrev_u32_e32 v2, 28, v6
	v_lshlrev_b64 v[2:3], v2, v[1:2]
	v_sub_u32_e32 v3, 29, v6
	v_and_b32_e32 v2, 7, v2
	v_cndmask_b32_e64 v3, v5, v3, s[6:7]
	v_cndmask_b32_e64 v2, v4, v2, s[6:7]
	v_bfrev_b32_e32 v5, 60
	v_lshlrev_b32_e32 v2, 20, v2
	v_and_b32_sdwa v4, sext(v1), s56 dst_sel:DWORD dst_unused:UNUSED_PAD src0_sel:BYTE_0 src1_sel:DWORD
	v_lshl_add_u32 v3, v3, 23, v5
	v_or3_b32 v2, v4, v3, v2
	v_mov_b32_e32 v3, v49
	buffer_store_dword v2, off, s[60:63], 0 offset:200 ; 4-byte Folded Spill
	s_nop 0
	buffer_store_dword v3, off, s[60:63], 0 offset:204 ; 4-byte Folded Spill
.LBB204_178:                            ;   in Loop: Header=BB204_13 Depth=1
	s_or_b64 exec, exec, s[46:47]
.LBB204_179:                            ;   in Loop: Header=BB204_13 Depth=1
	s_or_b64 exec, exec, s[44:45]
.LBB204_180:                            ;   in Loop: Header=BB204_13 Depth=1
	s_or_b64 exec, exec, s[42:43]
	v_cmp_ne_u16_sdwa s[6:7], v1, v49 src0_sel:BYTE_1 src1_sel:DWORD
	s_and_saveexec_b64 s[42:43], s[6:7]
	s_cbranch_execz .LBB204_186
; %bb.181:                              ;   in Loop: Header=BB204_13 Depth=1
	v_cmp_ne_u16_sdwa s[6:7], v1, s54 src0_sel:BYTE_1 src1_sel:DWORD
	buffer_store_dword v49, off, s[60:63], 0 offset:208 ; 4-byte Folded Spill
	s_nop 0
	buffer_store_dword v50, off, s[60:63], 0 offset:212 ; 4-byte Folded Spill
	s_and_saveexec_b64 s[44:45], s[6:7]
	s_cbranch_execz .LBB204_185
; %bb.182:                              ;   in Loop: Header=BB204_13 Depth=1
	v_and_b32_sdwa v2, v1, s55 dst_sel:DWORD dst_unused:UNUSED_PAD src0_sel:BYTE_1 src1_sel:DWORD
	v_cmp_ne_u32_e64 s[6:7], s55, v2
	v_mov_b32_e32 v39, v49
	buffer_store_dword v39, off, s[60:63], 0 offset:208 ; 4-byte Folded Spill
	s_nop 0
	buffer_store_dword v40, off, s[60:63], 0 offset:212 ; 4-byte Folded Spill
	s_and_saveexec_b64 s[46:47], s[6:7]
	s_cbranch_execz .LBB204_184
; %bb.183:                              ;   in Loop: Header=BB204_13 Depth=1
	v_mov_b32_e32 v3, 7
	v_and_b32_sdwa v3, v1, v3 dst_sel:DWORD dst_unused:UNUSED_PAD src0_sel:BYTE_1 src1_sel:DWORD
	v_lshrrev_b32_e32 v6, 3, v2
	v_cmp_gt_u32_e64 s[6:7], 8, v2
	v_ffbh_u32_e32 v2, v3
	v_min_u32_e32 v2, 32, v2
	v_mov_b32_e32 v4, v49
	v_subrev_u32_e32 v5, 28, v2
	v_lshlrev_b64 v[4:5], v5, v[3:4]
	v_sub_u32_e32 v2, 29, v2
	v_and_b32_e32 v4, 7, v4
	v_cndmask_b32_e64 v2, v6, v2, s[6:7]
	v_cndmask_b32_e64 v3, v3, v4, s[6:7]
	v_bfrev_b32_e32 v4, 60
	v_lshlrev_b32_e32 v1, 16, v1
	v_lshl_add_u32 v2, v2, 23, v4
	v_and_or_b32 v1, v1, s56, v2
	v_lshlrev_b32_e32 v2, 20, v3
	v_or_b32_e32 v2, v1, v2
	v_mov_b32_e32 v1, v49
	buffer_store_dword v1, off, s[60:63], 0 offset:208 ; 4-byte Folded Spill
	s_nop 0
	buffer_store_dword v2, off, s[60:63], 0 offset:212 ; 4-byte Folded Spill
.LBB204_184:                            ;   in Loop: Header=BB204_13 Depth=1
	s_or_b64 exec, exec, s[46:47]
.LBB204_185:                            ;   in Loop: Header=BB204_13 Depth=1
	s_or_b64 exec, exec, s[44:45]
.LBB204_186:                            ;   in Loop: Header=BB204_13 Depth=1
	s_or_b64 exec, exec, s[42:43]
	global_load_ushort v2, v[59:60], off offset:1544
	s_waitcnt vmcnt(0)
	v_and_b32_e32 v1, 0xffff, v2
	v_cmp_ne_u16_sdwa s[6:7], v2, v49 src0_sel:BYTE_0 src1_sel:DWORD
	v_mov_b32_e32 v2, 0
	v_mov_b32_e32 v3, 0
	buffer_store_dword v2, off, s[60:63], 0 offset:224 ; 4-byte Folded Spill
	s_nop 0
	buffer_store_dword v3, off, s[60:63], 0 offset:228 ; 4-byte Folded Spill
	v_mov_b32_e32 v2, 0
	v_mov_b32_e32 v3, 0
	buffer_store_dword v2, off, s[60:63], 0 offset:216 ; 4-byte Folded Spill
	s_nop 0
	buffer_store_dword v3, off, s[60:63], 0 offset:220 ; 4-byte Folded Spill
	s_and_saveexec_b64 s[42:43], s[6:7]
	s_cbranch_execz .LBB204_192
; %bb.187:                              ;   in Loop: Header=BB204_13 Depth=1
	v_bfrev_b32_e32 v2, 1
	v_mov_b32_e32 v3, 0
	v_cmp_ne_u16_sdwa s[6:7], v1, s54 src0_sel:BYTE_0 src1_sel:DWORD
	buffer_store_dword v2, off, s[60:63], 0 offset:216 ; 4-byte Folded Spill
	s_nop 0
	buffer_store_dword v3, off, s[60:63], 0 offset:220 ; 4-byte Folded Spill
	s_and_saveexec_b64 s[44:45], s[6:7]
	s_cbranch_execz .LBB204_191
; %bb.188:                              ;   in Loop: Header=BB204_13 Depth=1
	v_and_b32_e32 v2, 0x7f, v1
	v_mov_b32_e32 v3, 0x7f800001
	v_mov_b32_e32 v4, 0
	v_cmp_ne_u32_e64 s[6:7], s55, v2
	buffer_store_dword v3, off, s[60:63], 0 offset:216 ; 4-byte Folded Spill
	s_nop 0
	buffer_store_dword v4, off, s[60:63], 0 offset:220 ; 4-byte Folded Spill
	s_and_saveexec_b64 s[46:47], s[6:7]
	s_cbranch_execz .LBB204_190
; %bb.189:                              ;   in Loop: Header=BB204_13 Depth=1
	v_and_b32_e32 v4, 7, v1
	v_lshrrev_b32_e32 v5, 3, v2
	v_cmp_gt_u32_e64 s[6:7], 8, v2
	v_ffbh_u32_e32 v2, v4
	v_min_u32_e32 v6, 32, v2
	v_subrev_u32_e32 v2, 28, v6
	v_lshlrev_b64 v[2:3], v2, v[1:2]
	v_sub_u32_e32 v3, 29, v6
	v_and_b32_e32 v2, 7, v2
	v_cndmask_b32_e64 v3, v5, v3, s[6:7]
	v_cndmask_b32_e64 v2, v4, v2, s[6:7]
	v_bfrev_b32_e32 v5, 60
	v_lshlrev_b32_e32 v2, 20, v2
	v_and_b32_sdwa v4, sext(v1), s56 dst_sel:DWORD dst_unused:UNUSED_PAD src0_sel:BYTE_0 src1_sel:DWORD
	v_lshl_add_u32 v3, v3, 23, v5
	v_or3_b32 v2, v4, v3, v2
	v_mov_b32_e32 v3, v49
	buffer_store_dword v2, off, s[60:63], 0 offset:216 ; 4-byte Folded Spill
	s_nop 0
	buffer_store_dword v3, off, s[60:63], 0 offset:220 ; 4-byte Folded Spill
.LBB204_190:                            ;   in Loop: Header=BB204_13 Depth=1
	s_or_b64 exec, exec, s[46:47]
.LBB204_191:                            ;   in Loop: Header=BB204_13 Depth=1
	s_or_b64 exec, exec, s[44:45]
.LBB204_192:                            ;   in Loop: Header=BB204_13 Depth=1
	s_or_b64 exec, exec, s[42:43]
	v_cmp_ne_u16_sdwa s[6:7], v1, v49 src0_sel:BYTE_1 src1_sel:DWORD
	s_and_saveexec_b64 s[42:43], s[6:7]
	s_cbranch_execz .LBB204_198
; %bb.193:                              ;   in Loop: Header=BB204_13 Depth=1
	v_cmp_ne_u16_sdwa s[6:7], v1, s54 src0_sel:BYTE_1 src1_sel:DWORD
	buffer_store_dword v49, off, s[60:63], 0 offset:224 ; 4-byte Folded Spill
	s_nop 0
	buffer_store_dword v50, off, s[60:63], 0 offset:228 ; 4-byte Folded Spill
	s_and_saveexec_b64 s[44:45], s[6:7]
	s_cbranch_execz .LBB204_197
; %bb.194:                              ;   in Loop: Header=BB204_13 Depth=1
	v_and_b32_sdwa v2, v1, s55 dst_sel:DWORD dst_unused:UNUSED_PAD src0_sel:BYTE_1 src1_sel:DWORD
	v_cmp_ne_u32_e64 s[6:7], s55, v2
	v_mov_b32_e32 v39, v49
	buffer_store_dword v39, off, s[60:63], 0 offset:224 ; 4-byte Folded Spill
	s_nop 0
	buffer_store_dword v40, off, s[60:63], 0 offset:228 ; 4-byte Folded Spill
	s_and_saveexec_b64 s[46:47], s[6:7]
	s_cbranch_execz .LBB204_196
; %bb.195:                              ;   in Loop: Header=BB204_13 Depth=1
	v_mov_b32_e32 v3, 7
	v_and_b32_sdwa v3, v1, v3 dst_sel:DWORD dst_unused:UNUSED_PAD src0_sel:BYTE_1 src1_sel:DWORD
	v_lshrrev_b32_e32 v6, 3, v2
	v_cmp_gt_u32_e64 s[6:7], 8, v2
	v_ffbh_u32_e32 v2, v3
	v_min_u32_e32 v2, 32, v2
	v_mov_b32_e32 v4, v49
	v_subrev_u32_e32 v5, 28, v2
	v_lshlrev_b64 v[4:5], v5, v[3:4]
	v_sub_u32_e32 v2, 29, v2
	v_and_b32_e32 v4, 7, v4
	v_cndmask_b32_e64 v2, v6, v2, s[6:7]
	v_cndmask_b32_e64 v3, v3, v4, s[6:7]
	v_bfrev_b32_e32 v4, 60
	v_lshlrev_b32_e32 v1, 16, v1
	v_lshl_add_u32 v2, v2, 23, v4
	v_and_or_b32 v1, v1, s56, v2
	v_lshlrev_b32_e32 v2, 20, v3
	v_or_b32_e32 v2, v1, v2
	v_mov_b32_e32 v1, v49
	buffer_store_dword v1, off, s[60:63], 0 offset:224 ; 4-byte Folded Spill
	s_nop 0
	buffer_store_dword v2, off, s[60:63], 0 offset:228 ; 4-byte Folded Spill
.LBB204_196:                            ;   in Loop: Header=BB204_13 Depth=1
	s_or_b64 exec, exec, s[46:47]
.LBB204_197:                            ;   in Loop: Header=BB204_13 Depth=1
	s_or_b64 exec, exec, s[44:45]
.LBB204_198:                            ;   in Loop: Header=BB204_13 Depth=1
	s_or_b64 exec, exec, s[42:43]
	global_load_ushort v2, v[59:60], off offset:1548
	s_waitcnt vmcnt(0)
	v_and_b32_e32 v1, 0xffff, v2
	v_cmp_ne_u16_sdwa s[6:7], v2, v49 src0_sel:BYTE_0 src1_sel:DWORD
	v_mov_b32_e32 v2, 0
	v_mov_b32_e32 v3, 0
	buffer_store_dword v2, off, s[60:63], 0 offset:240 ; 4-byte Folded Spill
	s_nop 0
	buffer_store_dword v3, off, s[60:63], 0 offset:244 ; 4-byte Folded Spill
	v_mov_b32_e32 v2, 0
	v_mov_b32_e32 v3, 0
	buffer_store_dword v2, off, s[60:63], 0 offset:232 ; 4-byte Folded Spill
	s_nop 0
	buffer_store_dword v3, off, s[60:63], 0 offset:236 ; 4-byte Folded Spill
	s_and_saveexec_b64 s[42:43], s[6:7]
	s_cbranch_execz .LBB204_204
; %bb.199:                              ;   in Loop: Header=BB204_13 Depth=1
	v_bfrev_b32_e32 v2, 1
	v_mov_b32_e32 v3, 0
	v_cmp_ne_u16_sdwa s[6:7], v1, s54 src0_sel:BYTE_0 src1_sel:DWORD
	buffer_store_dword v2, off, s[60:63], 0 offset:232 ; 4-byte Folded Spill
	s_nop 0
	buffer_store_dword v3, off, s[60:63], 0 offset:236 ; 4-byte Folded Spill
	s_and_saveexec_b64 s[44:45], s[6:7]
	s_cbranch_execz .LBB204_203
; %bb.200:                              ;   in Loop: Header=BB204_13 Depth=1
	v_and_b32_e32 v2, 0x7f, v1
	v_mov_b32_e32 v3, 0x7f800001
	v_mov_b32_e32 v4, 0
	v_cmp_ne_u32_e64 s[6:7], s55, v2
	buffer_store_dword v3, off, s[60:63], 0 offset:232 ; 4-byte Folded Spill
	s_nop 0
	buffer_store_dword v4, off, s[60:63], 0 offset:236 ; 4-byte Folded Spill
	s_and_saveexec_b64 s[46:47], s[6:7]
	s_cbranch_execz .LBB204_202
; %bb.201:                              ;   in Loop: Header=BB204_13 Depth=1
	v_and_b32_e32 v4, 7, v1
	v_lshrrev_b32_e32 v5, 3, v2
	v_cmp_gt_u32_e64 s[6:7], 8, v2
	v_ffbh_u32_e32 v2, v4
	v_min_u32_e32 v6, 32, v2
	v_subrev_u32_e32 v2, 28, v6
	v_lshlrev_b64 v[2:3], v2, v[1:2]
	v_sub_u32_e32 v3, 29, v6
	v_and_b32_e32 v2, 7, v2
	v_cndmask_b32_e64 v3, v5, v3, s[6:7]
	v_cndmask_b32_e64 v2, v4, v2, s[6:7]
	v_bfrev_b32_e32 v5, 60
	v_lshlrev_b32_e32 v2, 20, v2
	v_and_b32_sdwa v4, sext(v1), s56 dst_sel:DWORD dst_unused:UNUSED_PAD src0_sel:BYTE_0 src1_sel:DWORD
	v_lshl_add_u32 v3, v3, 23, v5
	v_or3_b32 v2, v4, v3, v2
	v_mov_b32_e32 v3, v49
	buffer_store_dword v2, off, s[60:63], 0 offset:232 ; 4-byte Folded Spill
	s_nop 0
	buffer_store_dword v3, off, s[60:63], 0 offset:236 ; 4-byte Folded Spill
.LBB204_202:                            ;   in Loop: Header=BB204_13 Depth=1
	s_or_b64 exec, exec, s[46:47]
.LBB204_203:                            ;   in Loop: Header=BB204_13 Depth=1
	s_or_b64 exec, exec, s[44:45]
.LBB204_204:                            ;   in Loop: Header=BB204_13 Depth=1
	s_or_b64 exec, exec, s[42:43]
	v_cmp_ne_u16_sdwa s[6:7], v1, v49 src0_sel:BYTE_1 src1_sel:DWORD
	s_and_saveexec_b64 s[42:43], s[6:7]
	s_cbranch_execz .LBB204_210
; %bb.205:                              ;   in Loop: Header=BB204_13 Depth=1
	v_cmp_ne_u16_sdwa s[6:7], v1, s54 src0_sel:BYTE_1 src1_sel:DWORD
	buffer_store_dword v49, off, s[60:63], 0 offset:240 ; 4-byte Folded Spill
	s_nop 0
	buffer_store_dword v50, off, s[60:63], 0 offset:244 ; 4-byte Folded Spill
	s_and_saveexec_b64 s[44:45], s[6:7]
	s_cbranch_execz .LBB204_209
; %bb.206:                              ;   in Loop: Header=BB204_13 Depth=1
	v_and_b32_sdwa v2, v1, s55 dst_sel:DWORD dst_unused:UNUSED_PAD src0_sel:BYTE_1 src1_sel:DWORD
	v_cmp_ne_u32_e64 s[6:7], s55, v2
	v_mov_b32_e32 v39, v49
	buffer_store_dword v39, off, s[60:63], 0 offset:240 ; 4-byte Folded Spill
	s_nop 0
	buffer_store_dword v40, off, s[60:63], 0 offset:244 ; 4-byte Folded Spill
	s_and_saveexec_b64 s[46:47], s[6:7]
	s_cbranch_execz .LBB204_208
; %bb.207:                              ;   in Loop: Header=BB204_13 Depth=1
	v_mov_b32_e32 v3, 7
	v_and_b32_sdwa v3, v1, v3 dst_sel:DWORD dst_unused:UNUSED_PAD src0_sel:BYTE_1 src1_sel:DWORD
	v_lshrrev_b32_e32 v6, 3, v2
	v_cmp_gt_u32_e64 s[6:7], 8, v2
	v_ffbh_u32_e32 v2, v3
	v_min_u32_e32 v2, 32, v2
	v_mov_b32_e32 v4, v49
	v_subrev_u32_e32 v5, 28, v2
	v_lshlrev_b64 v[4:5], v5, v[3:4]
	v_sub_u32_e32 v2, 29, v2
	v_and_b32_e32 v4, 7, v4
	v_cndmask_b32_e64 v2, v6, v2, s[6:7]
	v_cndmask_b32_e64 v3, v3, v4, s[6:7]
	v_bfrev_b32_e32 v4, 60
	v_lshlrev_b32_e32 v1, 16, v1
	v_lshl_add_u32 v2, v2, 23, v4
	v_and_or_b32 v1, v1, s56, v2
	v_lshlrev_b32_e32 v2, 20, v3
	v_or_b32_e32 v2, v1, v2
	v_mov_b32_e32 v1, v49
	buffer_store_dword v1, off, s[60:63], 0 offset:240 ; 4-byte Folded Spill
	s_nop 0
	buffer_store_dword v2, off, s[60:63], 0 offset:244 ; 4-byte Folded Spill
.LBB204_208:                            ;   in Loop: Header=BB204_13 Depth=1
	s_or_b64 exec, exec, s[46:47]
.LBB204_209:                            ;   in Loop: Header=BB204_13 Depth=1
	s_or_b64 exec, exec, s[44:45]
.LBB204_210:                            ;   in Loop: Header=BB204_13 Depth=1
	s_or_b64 exec, exec, s[42:43]
	global_load_ushort v2, v[59:60], off offset:2048
	s_waitcnt vmcnt(0)
	v_and_b32_e32 v1, 0xffff, v2
	v_cmp_ne_u16_sdwa s[6:7], v2, v49 src0_sel:BYTE_0 src1_sel:DWORD
	v_mov_b32_e32 v2, 0
	v_mov_b32_e32 v3, 0
	buffer_store_dword v2, off, s[60:63], 0 offset:256 ; 4-byte Folded Spill
	s_nop 0
	buffer_store_dword v3, off, s[60:63], 0 offset:260 ; 4-byte Folded Spill
	v_mov_b32_e32 v2, 0
	v_mov_b32_e32 v3, 0
	buffer_store_dword v2, off, s[60:63], 0 offset:248 ; 4-byte Folded Spill
	s_nop 0
	buffer_store_dword v3, off, s[60:63], 0 offset:252 ; 4-byte Folded Spill
	s_and_saveexec_b64 s[42:43], s[6:7]
	s_cbranch_execz .LBB204_216
; %bb.211:                              ;   in Loop: Header=BB204_13 Depth=1
	v_bfrev_b32_e32 v2, 1
	v_mov_b32_e32 v3, 0
	v_cmp_ne_u16_sdwa s[6:7], v1, s54 src0_sel:BYTE_0 src1_sel:DWORD
	buffer_store_dword v2, off, s[60:63], 0 offset:248 ; 4-byte Folded Spill
	s_nop 0
	buffer_store_dword v3, off, s[60:63], 0 offset:252 ; 4-byte Folded Spill
	s_and_saveexec_b64 s[44:45], s[6:7]
	s_cbranch_execz .LBB204_215
; %bb.212:                              ;   in Loop: Header=BB204_13 Depth=1
	v_and_b32_e32 v2, 0x7f, v1
	v_mov_b32_e32 v3, 0x7f800001
	v_mov_b32_e32 v4, 0
	v_cmp_ne_u32_e64 s[6:7], s55, v2
	buffer_store_dword v3, off, s[60:63], 0 offset:248 ; 4-byte Folded Spill
	s_nop 0
	buffer_store_dword v4, off, s[60:63], 0 offset:252 ; 4-byte Folded Spill
	s_and_saveexec_b64 s[46:47], s[6:7]
	s_cbranch_execz .LBB204_214
; %bb.213:                              ;   in Loop: Header=BB204_13 Depth=1
	v_and_b32_e32 v4, 7, v1
	v_lshrrev_b32_e32 v5, 3, v2
	v_cmp_gt_u32_e64 s[6:7], 8, v2
	v_ffbh_u32_e32 v2, v4
	v_min_u32_e32 v6, 32, v2
	v_subrev_u32_e32 v2, 28, v6
	v_lshlrev_b64 v[2:3], v2, v[1:2]
	v_sub_u32_e32 v3, 29, v6
	v_and_b32_e32 v2, 7, v2
	v_cndmask_b32_e64 v3, v5, v3, s[6:7]
	v_cndmask_b32_e64 v2, v4, v2, s[6:7]
	v_bfrev_b32_e32 v5, 60
	v_lshlrev_b32_e32 v2, 20, v2
	v_and_b32_sdwa v4, sext(v1), s56 dst_sel:DWORD dst_unused:UNUSED_PAD src0_sel:BYTE_0 src1_sel:DWORD
	v_lshl_add_u32 v3, v3, 23, v5
	v_or3_b32 v2, v4, v3, v2
	v_mov_b32_e32 v3, v49
	buffer_store_dword v2, off, s[60:63], 0 offset:248 ; 4-byte Folded Spill
	s_nop 0
	buffer_store_dword v3, off, s[60:63], 0 offset:252 ; 4-byte Folded Spill
.LBB204_214:                            ;   in Loop: Header=BB204_13 Depth=1
	s_or_b64 exec, exec, s[46:47]
.LBB204_215:                            ;   in Loop: Header=BB204_13 Depth=1
	s_or_b64 exec, exec, s[44:45]
.LBB204_216:                            ;   in Loop: Header=BB204_13 Depth=1
	s_or_b64 exec, exec, s[42:43]
	v_cmp_ne_u16_sdwa s[6:7], v1, v49 src0_sel:BYTE_1 src1_sel:DWORD
	s_and_saveexec_b64 s[42:43], s[6:7]
	s_cbranch_execz .LBB204_222
; %bb.217:                              ;   in Loop: Header=BB204_13 Depth=1
	v_cmp_ne_u16_sdwa s[6:7], v1, s54 src0_sel:BYTE_1 src1_sel:DWORD
	buffer_store_dword v49, off, s[60:63], 0 offset:256 ; 4-byte Folded Spill
	s_nop 0
	buffer_store_dword v50, off, s[60:63], 0 offset:260 ; 4-byte Folded Spill
	s_and_saveexec_b64 s[44:45], s[6:7]
	s_cbranch_execz .LBB204_221
; %bb.218:                              ;   in Loop: Header=BB204_13 Depth=1
	v_and_b32_sdwa v2, v1, s55 dst_sel:DWORD dst_unused:UNUSED_PAD src0_sel:BYTE_1 src1_sel:DWORD
	v_cmp_ne_u32_e64 s[6:7], s55, v2
	v_mov_b32_e32 v39, v49
	buffer_store_dword v39, off, s[60:63], 0 offset:256 ; 4-byte Folded Spill
	s_nop 0
	buffer_store_dword v40, off, s[60:63], 0 offset:260 ; 4-byte Folded Spill
	s_and_saveexec_b64 s[46:47], s[6:7]
	s_cbranch_execz .LBB204_220
; %bb.219:                              ;   in Loop: Header=BB204_13 Depth=1
	v_mov_b32_e32 v3, 7
	v_and_b32_sdwa v3, v1, v3 dst_sel:DWORD dst_unused:UNUSED_PAD src0_sel:BYTE_1 src1_sel:DWORD
	v_lshrrev_b32_e32 v6, 3, v2
	v_cmp_gt_u32_e64 s[6:7], 8, v2
	v_ffbh_u32_e32 v2, v3
	v_min_u32_e32 v2, 32, v2
	v_mov_b32_e32 v4, v49
	v_subrev_u32_e32 v5, 28, v2
	v_lshlrev_b64 v[4:5], v5, v[3:4]
	v_sub_u32_e32 v2, 29, v2
	v_and_b32_e32 v4, 7, v4
	v_cndmask_b32_e64 v2, v6, v2, s[6:7]
	v_cndmask_b32_e64 v3, v3, v4, s[6:7]
	v_bfrev_b32_e32 v4, 60
	v_lshlrev_b32_e32 v1, 16, v1
	v_lshl_add_u32 v2, v2, 23, v4
	v_and_or_b32 v1, v1, s56, v2
	v_lshlrev_b32_e32 v2, 20, v3
	v_or_b32_e32 v2, v1, v2
	v_mov_b32_e32 v1, v49
	buffer_store_dword v1, off, s[60:63], 0 offset:256 ; 4-byte Folded Spill
	s_nop 0
	buffer_store_dword v2, off, s[60:63], 0 offset:260 ; 4-byte Folded Spill
.LBB204_220:                            ;   in Loop: Header=BB204_13 Depth=1
	s_or_b64 exec, exec, s[46:47]
.LBB204_221:                            ;   in Loop: Header=BB204_13 Depth=1
	s_or_b64 exec, exec, s[44:45]
.LBB204_222:                            ;   in Loop: Header=BB204_13 Depth=1
	s_or_b64 exec, exec, s[42:43]
	global_load_ushort v2, v[59:60], off offset:2052
	s_waitcnt vmcnt(0)
	v_and_b32_e32 v1, 0xffff, v2
	v_cmp_ne_u16_sdwa s[6:7], v2, v49 src0_sel:BYTE_0 src1_sel:DWORD
	v_mov_b32_e32 v2, 0
	v_mov_b32_e32 v3, 0
	buffer_store_dword v2, off, s[60:63], 0 offset:272 ; 4-byte Folded Spill
	s_nop 0
	buffer_store_dword v3, off, s[60:63], 0 offset:276 ; 4-byte Folded Spill
	v_mov_b32_e32 v2, 0
	v_mov_b32_e32 v3, 0
	buffer_store_dword v2, off, s[60:63], 0 offset:264 ; 4-byte Folded Spill
	s_nop 0
	buffer_store_dword v3, off, s[60:63], 0 offset:268 ; 4-byte Folded Spill
	s_and_saveexec_b64 s[42:43], s[6:7]
	s_cbranch_execz .LBB204_228
; %bb.223:                              ;   in Loop: Header=BB204_13 Depth=1
	v_bfrev_b32_e32 v2, 1
	v_mov_b32_e32 v3, 0
	v_cmp_ne_u16_sdwa s[6:7], v1, s54 src0_sel:BYTE_0 src1_sel:DWORD
	buffer_store_dword v2, off, s[60:63], 0 offset:264 ; 4-byte Folded Spill
	s_nop 0
	buffer_store_dword v3, off, s[60:63], 0 offset:268 ; 4-byte Folded Spill
	s_and_saveexec_b64 s[44:45], s[6:7]
	s_cbranch_execz .LBB204_227
; %bb.224:                              ;   in Loop: Header=BB204_13 Depth=1
	v_and_b32_e32 v2, 0x7f, v1
	v_mov_b32_e32 v3, 0x7f800001
	v_mov_b32_e32 v4, 0
	v_cmp_ne_u32_e64 s[6:7], s55, v2
	buffer_store_dword v3, off, s[60:63], 0 offset:264 ; 4-byte Folded Spill
	s_nop 0
	buffer_store_dword v4, off, s[60:63], 0 offset:268 ; 4-byte Folded Spill
	s_and_saveexec_b64 s[46:47], s[6:7]
	s_cbranch_execz .LBB204_226
; %bb.225:                              ;   in Loop: Header=BB204_13 Depth=1
	v_and_b32_e32 v4, 7, v1
	v_lshrrev_b32_e32 v5, 3, v2
	v_cmp_gt_u32_e64 s[6:7], 8, v2
	v_ffbh_u32_e32 v2, v4
	v_min_u32_e32 v6, 32, v2
	v_subrev_u32_e32 v2, 28, v6
	v_lshlrev_b64 v[2:3], v2, v[1:2]
	v_sub_u32_e32 v3, 29, v6
	v_and_b32_e32 v2, 7, v2
	v_cndmask_b32_e64 v3, v5, v3, s[6:7]
	v_cndmask_b32_e64 v2, v4, v2, s[6:7]
	v_bfrev_b32_e32 v5, 60
	v_lshlrev_b32_e32 v2, 20, v2
	v_and_b32_sdwa v4, sext(v1), s56 dst_sel:DWORD dst_unused:UNUSED_PAD src0_sel:BYTE_0 src1_sel:DWORD
	v_lshl_add_u32 v3, v3, 23, v5
	v_or3_b32 v2, v4, v3, v2
	v_mov_b32_e32 v3, v49
	buffer_store_dword v2, off, s[60:63], 0 offset:264 ; 4-byte Folded Spill
	s_nop 0
	buffer_store_dword v3, off, s[60:63], 0 offset:268 ; 4-byte Folded Spill
.LBB204_226:                            ;   in Loop: Header=BB204_13 Depth=1
	s_or_b64 exec, exec, s[46:47]
.LBB204_227:                            ;   in Loop: Header=BB204_13 Depth=1
	s_or_b64 exec, exec, s[44:45]
.LBB204_228:                            ;   in Loop: Header=BB204_13 Depth=1
	s_or_b64 exec, exec, s[42:43]
	v_cmp_ne_u16_sdwa s[6:7], v1, v49 src0_sel:BYTE_1 src1_sel:DWORD
	s_and_saveexec_b64 s[42:43], s[6:7]
	s_cbranch_execz .LBB204_234
; %bb.229:                              ;   in Loop: Header=BB204_13 Depth=1
	v_cmp_ne_u16_sdwa s[6:7], v1, s54 src0_sel:BYTE_1 src1_sel:DWORD
	buffer_store_dword v49, off, s[60:63], 0 offset:272 ; 4-byte Folded Spill
	s_nop 0
	buffer_store_dword v50, off, s[60:63], 0 offset:276 ; 4-byte Folded Spill
	s_and_saveexec_b64 s[44:45], s[6:7]
	s_cbranch_execz .LBB204_233
; %bb.230:                              ;   in Loop: Header=BB204_13 Depth=1
	v_and_b32_sdwa v2, v1, s55 dst_sel:DWORD dst_unused:UNUSED_PAD src0_sel:BYTE_1 src1_sel:DWORD
	v_cmp_ne_u32_e64 s[6:7], s55, v2
	v_mov_b32_e32 v39, v49
	buffer_store_dword v39, off, s[60:63], 0 offset:272 ; 4-byte Folded Spill
	s_nop 0
	buffer_store_dword v40, off, s[60:63], 0 offset:276 ; 4-byte Folded Spill
	s_and_saveexec_b64 s[46:47], s[6:7]
	s_cbranch_execz .LBB204_232
; %bb.231:                              ;   in Loop: Header=BB204_13 Depth=1
	v_mov_b32_e32 v3, 7
	v_and_b32_sdwa v3, v1, v3 dst_sel:DWORD dst_unused:UNUSED_PAD src0_sel:BYTE_1 src1_sel:DWORD
	v_lshrrev_b32_e32 v6, 3, v2
	v_cmp_gt_u32_e64 s[6:7], 8, v2
	v_ffbh_u32_e32 v2, v3
	v_min_u32_e32 v2, 32, v2
	v_mov_b32_e32 v4, v49
	v_subrev_u32_e32 v5, 28, v2
	v_lshlrev_b64 v[4:5], v5, v[3:4]
	v_sub_u32_e32 v2, 29, v2
	v_and_b32_e32 v4, 7, v4
	v_cndmask_b32_e64 v2, v6, v2, s[6:7]
	v_cndmask_b32_e64 v3, v3, v4, s[6:7]
	v_bfrev_b32_e32 v4, 60
	v_lshlrev_b32_e32 v1, 16, v1
	v_lshl_add_u32 v2, v2, 23, v4
	v_and_or_b32 v1, v1, s56, v2
	v_lshlrev_b32_e32 v2, 20, v3
	v_or_b32_e32 v2, v1, v2
	v_mov_b32_e32 v1, v49
	buffer_store_dword v1, off, s[60:63], 0 offset:272 ; 4-byte Folded Spill
	s_nop 0
	buffer_store_dword v2, off, s[60:63], 0 offset:276 ; 4-byte Folded Spill
.LBB204_232:                            ;   in Loop: Header=BB204_13 Depth=1
	s_or_b64 exec, exec, s[46:47]
.LBB204_233:                            ;   in Loop: Header=BB204_13 Depth=1
	s_or_b64 exec, exec, s[44:45]
.LBB204_234:                            ;   in Loop: Header=BB204_13 Depth=1
	s_or_b64 exec, exec, s[42:43]
	global_load_ushort v2, v[59:60], off offset:2056
	s_waitcnt vmcnt(0)
	v_and_b32_e32 v1, 0xffff, v2
	v_cmp_ne_u16_sdwa s[6:7], v2, v49 src0_sel:BYTE_0 src1_sel:DWORD
	v_mov_b32_e32 v2, 0
	v_mov_b32_e32 v3, 0
	buffer_store_dword v2, off, s[60:63], 0 offset:288 ; 4-byte Folded Spill
	s_nop 0
	buffer_store_dword v3, off, s[60:63], 0 offset:292 ; 4-byte Folded Spill
	v_mov_b32_e32 v2, 0
	v_mov_b32_e32 v3, 0
	buffer_store_dword v2, off, s[60:63], 0 offset:280 ; 4-byte Folded Spill
	s_nop 0
	buffer_store_dword v3, off, s[60:63], 0 offset:284 ; 4-byte Folded Spill
	s_and_saveexec_b64 s[42:43], s[6:7]
	s_cbranch_execz .LBB204_240
; %bb.235:                              ;   in Loop: Header=BB204_13 Depth=1
	v_bfrev_b32_e32 v2, 1
	v_mov_b32_e32 v3, 0
	v_cmp_ne_u16_sdwa s[6:7], v1, s54 src0_sel:BYTE_0 src1_sel:DWORD
	buffer_store_dword v2, off, s[60:63], 0 offset:280 ; 4-byte Folded Spill
	s_nop 0
	buffer_store_dword v3, off, s[60:63], 0 offset:284 ; 4-byte Folded Spill
	s_and_saveexec_b64 s[44:45], s[6:7]
	s_cbranch_execz .LBB204_239
; %bb.236:                              ;   in Loop: Header=BB204_13 Depth=1
	v_and_b32_e32 v2, 0x7f, v1
	v_mov_b32_e32 v3, 0x7f800001
	v_mov_b32_e32 v4, 0
	v_cmp_ne_u32_e64 s[6:7], s55, v2
	buffer_store_dword v3, off, s[60:63], 0 offset:280 ; 4-byte Folded Spill
	s_nop 0
	buffer_store_dword v4, off, s[60:63], 0 offset:284 ; 4-byte Folded Spill
	s_and_saveexec_b64 s[46:47], s[6:7]
	s_cbranch_execz .LBB204_238
; %bb.237:                              ;   in Loop: Header=BB204_13 Depth=1
	v_and_b32_e32 v4, 7, v1
	v_lshrrev_b32_e32 v5, 3, v2
	v_cmp_gt_u32_e64 s[6:7], 8, v2
	v_ffbh_u32_e32 v2, v4
	v_min_u32_e32 v6, 32, v2
	v_subrev_u32_e32 v2, 28, v6
	v_lshlrev_b64 v[2:3], v2, v[1:2]
	v_sub_u32_e32 v3, 29, v6
	v_and_b32_e32 v2, 7, v2
	v_cndmask_b32_e64 v3, v5, v3, s[6:7]
	v_cndmask_b32_e64 v2, v4, v2, s[6:7]
	v_bfrev_b32_e32 v5, 60
	v_lshlrev_b32_e32 v2, 20, v2
	v_and_b32_sdwa v4, sext(v1), s56 dst_sel:DWORD dst_unused:UNUSED_PAD src0_sel:BYTE_0 src1_sel:DWORD
	v_lshl_add_u32 v3, v3, 23, v5
	v_or3_b32 v2, v4, v3, v2
	v_mov_b32_e32 v3, v49
	buffer_store_dword v2, off, s[60:63], 0 offset:280 ; 4-byte Folded Spill
	s_nop 0
	buffer_store_dword v3, off, s[60:63], 0 offset:284 ; 4-byte Folded Spill
.LBB204_238:                            ;   in Loop: Header=BB204_13 Depth=1
	s_or_b64 exec, exec, s[46:47]
.LBB204_239:                            ;   in Loop: Header=BB204_13 Depth=1
	s_or_b64 exec, exec, s[44:45]
.LBB204_240:                            ;   in Loop: Header=BB204_13 Depth=1
	s_or_b64 exec, exec, s[42:43]
	v_cmp_ne_u16_sdwa s[6:7], v1, v49 src0_sel:BYTE_1 src1_sel:DWORD
	s_and_saveexec_b64 s[42:43], s[6:7]
	s_cbranch_execz .LBB204_246
; %bb.241:                              ;   in Loop: Header=BB204_13 Depth=1
	v_cmp_ne_u16_sdwa s[6:7], v1, s54 src0_sel:BYTE_1 src1_sel:DWORD
	buffer_store_dword v49, off, s[60:63], 0 offset:288 ; 4-byte Folded Spill
	s_nop 0
	buffer_store_dword v50, off, s[60:63], 0 offset:292 ; 4-byte Folded Spill
	s_and_saveexec_b64 s[44:45], s[6:7]
	s_cbranch_execz .LBB204_245
; %bb.242:                              ;   in Loop: Header=BB204_13 Depth=1
	v_and_b32_sdwa v2, v1, s55 dst_sel:DWORD dst_unused:UNUSED_PAD src0_sel:BYTE_1 src1_sel:DWORD
	v_cmp_ne_u32_e64 s[6:7], s55, v2
	v_mov_b32_e32 v39, v49
	buffer_store_dword v39, off, s[60:63], 0 offset:288 ; 4-byte Folded Spill
	s_nop 0
	buffer_store_dword v40, off, s[60:63], 0 offset:292 ; 4-byte Folded Spill
	s_and_saveexec_b64 s[46:47], s[6:7]
	s_cbranch_execz .LBB204_244
; %bb.243:                              ;   in Loop: Header=BB204_13 Depth=1
	v_mov_b32_e32 v3, 7
	v_and_b32_sdwa v3, v1, v3 dst_sel:DWORD dst_unused:UNUSED_PAD src0_sel:BYTE_1 src1_sel:DWORD
	v_lshrrev_b32_e32 v6, 3, v2
	v_cmp_gt_u32_e64 s[6:7], 8, v2
	v_ffbh_u32_e32 v2, v3
	v_min_u32_e32 v2, 32, v2
	v_mov_b32_e32 v4, v49
	v_subrev_u32_e32 v5, 28, v2
	v_lshlrev_b64 v[4:5], v5, v[3:4]
	v_sub_u32_e32 v2, 29, v2
	v_and_b32_e32 v4, 7, v4
	v_cndmask_b32_e64 v2, v6, v2, s[6:7]
	v_cndmask_b32_e64 v3, v3, v4, s[6:7]
	v_bfrev_b32_e32 v4, 60
	v_lshlrev_b32_e32 v1, 16, v1
	v_lshl_add_u32 v2, v2, 23, v4
	v_and_or_b32 v1, v1, s56, v2
	v_lshlrev_b32_e32 v2, 20, v3
	v_or_b32_e32 v2, v1, v2
	v_mov_b32_e32 v1, v49
	buffer_store_dword v1, off, s[60:63], 0 offset:288 ; 4-byte Folded Spill
	s_nop 0
	buffer_store_dword v2, off, s[60:63], 0 offset:292 ; 4-byte Folded Spill
.LBB204_244:                            ;   in Loop: Header=BB204_13 Depth=1
	s_or_b64 exec, exec, s[46:47]
.LBB204_245:                            ;   in Loop: Header=BB204_13 Depth=1
	s_or_b64 exec, exec, s[44:45]
.LBB204_246:                            ;   in Loop: Header=BB204_13 Depth=1
	s_or_b64 exec, exec, s[42:43]
	global_load_ushort v2, v[59:60], off offset:2060
	s_waitcnt vmcnt(0)
	v_and_b32_e32 v1, 0xffff, v2
	v_cmp_ne_u16_sdwa s[6:7], v2, v49 src0_sel:BYTE_0 src1_sel:DWORD
	v_mov_b32_e32 v2, 0
	v_mov_b32_e32 v3, 0
	buffer_store_dword v2, off, s[60:63], 0 offset:304 ; 4-byte Folded Spill
	s_nop 0
	buffer_store_dword v3, off, s[60:63], 0 offset:308 ; 4-byte Folded Spill
	v_mov_b32_e32 v2, 0
	v_mov_b32_e32 v3, 0
	buffer_store_dword v2, off, s[60:63], 0 offset:296 ; 4-byte Folded Spill
	s_nop 0
	buffer_store_dword v3, off, s[60:63], 0 offset:300 ; 4-byte Folded Spill
	s_and_saveexec_b64 s[42:43], s[6:7]
	s_cbranch_execz .LBB204_252
; %bb.247:                              ;   in Loop: Header=BB204_13 Depth=1
	v_bfrev_b32_e32 v2, 1
	v_mov_b32_e32 v3, 0
	v_cmp_ne_u16_sdwa s[6:7], v1, s54 src0_sel:BYTE_0 src1_sel:DWORD
	buffer_store_dword v2, off, s[60:63], 0 offset:296 ; 4-byte Folded Spill
	s_nop 0
	buffer_store_dword v3, off, s[60:63], 0 offset:300 ; 4-byte Folded Spill
	s_and_saveexec_b64 s[44:45], s[6:7]
	s_cbranch_execz .LBB204_251
; %bb.248:                              ;   in Loop: Header=BB204_13 Depth=1
	v_and_b32_e32 v2, 0x7f, v1
	v_mov_b32_e32 v3, 0x7f800001
	v_mov_b32_e32 v4, 0
	v_cmp_ne_u32_e64 s[6:7], s55, v2
	buffer_store_dword v3, off, s[60:63], 0 offset:296 ; 4-byte Folded Spill
	s_nop 0
	buffer_store_dword v4, off, s[60:63], 0 offset:300 ; 4-byte Folded Spill
	s_and_saveexec_b64 s[46:47], s[6:7]
	s_cbranch_execz .LBB204_250
; %bb.249:                              ;   in Loop: Header=BB204_13 Depth=1
	v_mov_b32_e32 v3, v7
	v_mov_b32_e32 v4, v8
	v_and_b32_e32 v7, 7, v1
	v_lshrrev_b32_e32 v8, 3, v2
	v_cmp_gt_u32_e64 s[6:7], 8, v2
	v_ffbh_u32_e32 v2, v7
	v_min_u32_e32 v2, 32, v2
	v_subrev_u32_e32 v5, 28, v2
	v_lshlrev_b64 v[5:6], v5, v[1:2]
	v_sub_u32_e32 v2, 29, v2
	v_and_b32_e32 v5, 7, v5
	v_cndmask_b32_e64 v2, v8, v2, s[6:7]
	v_cndmask_b32_e64 v5, v7, v5, s[6:7]
	v_mov_b32_e32 v8, v4
	v_mov_b32_e32 v7, v3
	v_bfrev_b32_e32 v3, 60
	v_lshlrev_b32_e32 v5, 20, v5
	v_and_b32_sdwa v6, sext(v1), s56 dst_sel:DWORD dst_unused:UNUSED_PAD src0_sel:BYTE_0 src1_sel:DWORD
	v_lshl_add_u32 v2, v2, 23, v3
	v_or3_b32 v2, v6, v2, v5
	v_mov_b32_e32 v3, v49
	buffer_store_dword v2, off, s[60:63], 0 offset:296 ; 4-byte Folded Spill
	s_nop 0
	buffer_store_dword v3, off, s[60:63], 0 offset:300 ; 4-byte Folded Spill
.LBB204_250:                            ;   in Loop: Header=BB204_13 Depth=1
	s_or_b64 exec, exec, s[46:47]
.LBB204_251:                            ;   in Loop: Header=BB204_13 Depth=1
	s_or_b64 exec, exec, s[44:45]
.LBB204_252:                            ;   in Loop: Header=BB204_13 Depth=1
	s_or_b64 exec, exec, s[42:43]
	v_cmp_ne_u16_sdwa s[6:7], v1, v49 src0_sel:BYTE_1 src1_sel:DWORD
	s_and_saveexec_b64 s[42:43], s[6:7]
	s_cbranch_execz .LBB204_258
; %bb.253:                              ;   in Loop: Header=BB204_13 Depth=1
	v_cmp_ne_u16_sdwa s[6:7], v1, s54 src0_sel:BYTE_1 src1_sel:DWORD
	buffer_store_dword v49, off, s[60:63], 0 offset:304 ; 4-byte Folded Spill
	s_nop 0
	buffer_store_dword v50, off, s[60:63], 0 offset:308 ; 4-byte Folded Spill
	s_and_saveexec_b64 s[44:45], s[6:7]
	s_cbranch_execz .LBB204_257
; %bb.254:                              ;   in Loop: Header=BB204_13 Depth=1
	v_and_b32_sdwa v2, v1, s55 dst_sel:DWORD dst_unused:UNUSED_PAD src0_sel:BYTE_1 src1_sel:DWORD
	v_cmp_ne_u32_e64 s[6:7], s55, v2
	v_mov_b32_e32 v39, v49
	buffer_store_dword v39, off, s[60:63], 0 offset:304 ; 4-byte Folded Spill
	s_nop 0
	buffer_store_dword v40, off, s[60:63], 0 offset:308 ; 4-byte Folded Spill
	s_and_saveexec_b64 s[46:47], s[6:7]
	s_cbranch_execz .LBB204_256
; %bb.255:                              ;   in Loop: Header=BB204_13 Depth=1
	v_mov_b32_e32 v3, 7
	v_and_b32_sdwa v3, v1, v3 dst_sel:DWORD dst_unused:UNUSED_PAD src0_sel:BYTE_1 src1_sel:DWORD
	v_lshrrev_b32_e32 v6, 3, v2
	v_cmp_gt_u32_e64 s[6:7], 8, v2
	v_ffbh_u32_e32 v2, v3
	v_min_u32_e32 v2, 32, v2
	v_mov_b32_e32 v4, v49
	v_subrev_u32_e32 v5, 28, v2
	v_lshlrev_b64 v[4:5], v5, v[3:4]
	v_sub_u32_e32 v2, 29, v2
	v_and_b32_e32 v4, 7, v4
	v_cndmask_b32_e64 v2, v6, v2, s[6:7]
	v_cndmask_b32_e64 v3, v3, v4, s[6:7]
	v_bfrev_b32_e32 v4, 60
	v_lshlrev_b32_e32 v1, 16, v1
	v_lshl_add_u32 v2, v2, 23, v4
	v_and_or_b32 v1, v1, s56, v2
	v_lshlrev_b32_e32 v2, 20, v3
	v_or_b32_e32 v2, v1, v2
	v_mov_b32_e32 v1, v49
	buffer_store_dword v1, off, s[60:63], 0 offset:304 ; 4-byte Folded Spill
	s_nop 0
	buffer_store_dword v2, off, s[60:63], 0 offset:308 ; 4-byte Folded Spill
.LBB204_256:                            ;   in Loop: Header=BB204_13 Depth=1
	s_or_b64 exec, exec, s[46:47]
.LBB204_257:                            ;   in Loop: Header=BB204_13 Depth=1
	s_or_b64 exec, exec, s[44:45]
.LBB204_258:                            ;   in Loop: Header=BB204_13 Depth=1
	s_or_b64 exec, exec, s[42:43]
	global_load_ushort v2, v[59:60], off offset:2560
	v_mov_b32_e32 v5, 0
	v_mov_b32_e32 v3, 0
	;; [unrolled: 1-line block ×4, first 2 shown]
	s_waitcnt vmcnt(0)
	v_and_b32_e32 v1, 0xffff, v2
	v_cmp_ne_u16_sdwa s[6:7], v2, v49 src0_sel:BYTE_0 src1_sel:DWORD
	s_and_saveexec_b64 s[42:43], s[6:7]
	s_cbranch_execz .LBB204_264
; %bb.259:                              ;   in Loop: Header=BB204_13 Depth=1
	v_bfrev_b32_e32 v3, 1
	v_mov_b32_e32 v4, 0
	v_cmp_ne_u16_sdwa s[6:7], v1, s54 src0_sel:BYTE_0 src1_sel:DWORD
	s_and_saveexec_b64 s[44:45], s[6:7]
	s_cbranch_execz .LBB204_263
; %bb.260:                              ;   in Loop: Header=BB204_13 Depth=1
	v_and_b32_e32 v2, 0x7f, v1
	v_mov_b32_e32 v3, 0x7f800001
	v_mov_b32_e32 v4, 0
	v_cmp_ne_u32_e64 s[6:7], s55, v2
	s_and_saveexec_b64 s[46:47], s[6:7]
	s_cbranch_execz .LBB204_262
; %bb.261:                              ;   in Loop: Header=BB204_13 Depth=1
	v_and_b32_e32 v9, 7, v1
	v_lshrrev_b32_e32 v10, 3, v2
	v_cmp_gt_u32_e64 s[6:7], 8, v2
	v_ffbh_u32_e32 v2, v9
	v_min_u32_e32 v2, 32, v2
	v_subrev_u32_e32 v5, 28, v2
	v_lshlrev_b64 v[5:6], v5, v[1:2]
	v_sub_u32_e32 v2, 29, v2
	v_and_b32_e32 v5, 7, v5
	v_cndmask_b32_e64 v2, v10, v2, s[6:7]
	v_cndmask_b32_e64 v5, v9, v5, s[6:7]
	v_bfrev_b32_e32 v3, 60
	v_lshlrev_b32_e32 v5, 20, v5
	v_and_b32_sdwa v6, sext(v1), s56 dst_sel:DWORD dst_unused:UNUSED_PAD src0_sel:BYTE_0 src1_sel:DWORD
	v_lshl_add_u32 v2, v2, 23, v3
	v_or3_b32 v3, v6, v2, v5
	v_mov_b32_e32 v5, 0
	v_mov_b32_e32 v6, 0
	;; [unrolled: 1-line block ×3, first 2 shown]
.LBB204_262:                            ;   in Loop: Header=BB204_13 Depth=1
	s_or_b64 exec, exec, s[46:47]
.LBB204_263:                            ;   in Loop: Header=BB204_13 Depth=1
	s_or_b64 exec, exec, s[44:45]
.LBB204_264:                            ;   in Loop: Header=BB204_13 Depth=1
	s_or_b64 exec, exec, s[42:43]
	v_cmp_ne_u16_sdwa s[6:7], v1, v49 src0_sel:BYTE_1 src1_sel:DWORD
	buffer_store_dword v3, off, s[60:63], 0 offset:524 ; 4-byte Folded Spill
	s_nop 0
	buffer_store_dword v4, off, s[60:63], 0 offset:528 ; 4-byte Folded Spill
	s_and_saveexec_b64 s[42:43], s[6:7]
	s_cbranch_execz .LBB204_270
; %bb.265:                              ;   in Loop: Header=BB204_13 Depth=1
	v_mov_b32_e32 v5, v49
	v_cmp_ne_u16_sdwa s[6:7], v1, s54 src0_sel:BYTE_1 src1_sel:DWORD
	v_mov_b32_e32 v6, v50
	s_and_saveexec_b64 s[44:45], s[6:7]
	s_cbranch_execz .LBB204_269
; %bb.266:                              ;   in Loop: Header=BB204_13 Depth=1
	v_mov_b32_e32 v39, v49
	v_and_b32_sdwa v2, v1, s55 dst_sel:DWORD dst_unused:UNUSED_PAD src0_sel:BYTE_1 src1_sel:DWORD
	v_mov_b32_e32 v5, v39
	v_cmp_ne_u32_e64 s[6:7], s55, v2
	v_mov_b32_e32 v6, v40
	s_and_saveexec_b64 s[46:47], s[6:7]
	s_cbranch_execz .LBB204_268
; %bb.267:                              ;   in Loop: Header=BB204_13 Depth=1
	v_mov_b32_e32 v3, 7
	v_mov_b32_e32 v4, v7
	;; [unrolled: 1-line block ×3, first 2 shown]
	v_and_b32_sdwa v7, v1, v3 dst_sel:DWORD dst_unused:UNUSED_PAD src0_sel:BYTE_1 src1_sel:DWORD
	v_lshrrev_b32_e32 v10, 3, v2
	v_cmp_gt_u32_e64 s[6:7], 8, v2
	v_ffbh_u32_e32 v2, v7
	v_min_u32_e32 v2, 32, v2
	v_mov_b32_e32 v8, v49
	v_subrev_u32_e32 v9, 28, v2
	v_lshlrev_b64 v[8:9], v9, v[7:8]
	v_sub_u32_e32 v2, 29, v2
	v_and_b32_e32 v8, 7, v8
	v_cndmask_b32_e64 v2, v10, v2, s[6:7]
	v_bfrev_b32_e32 v3, 60
	v_cndmask_b32_e64 v7, v7, v8, s[6:7]
	v_lshlrev_b32_e32 v1, 16, v1
	v_lshl_add_u32 v2, v2, 23, v3
	v_and_or_b32 v1, v1, s56, v2
	v_lshlrev_b32_e32 v2, 20, v7
	v_mov_b32_e32 v8, v5
	v_mov_b32_e32 v7, v4
	v_or_b32_e32 v6, v1, v2
	v_mov_b32_e32 v5, v49
.LBB204_268:                            ;   in Loop: Header=BB204_13 Depth=1
	s_or_b64 exec, exec, s[46:47]
.LBB204_269:                            ;   in Loop: Header=BB204_13 Depth=1
	s_or_b64 exec, exec, s[44:45]
.LBB204_270:                            ;   in Loop: Header=BB204_13 Depth=1
	s_or_b64 exec, exec, s[42:43]
	global_load_ushort v2, v[59:60], off offset:2564
	v_mov_b32_e32 v11, 0
	v_mov_b32_e32 v12, 0
	s_waitcnt vmcnt(0)
	v_and_b32_e32 v1, 0xffff, v2
	v_cmp_ne_u16_sdwa s[6:7], v2, v49 src0_sel:BYTE_0 src1_sel:DWORD
	v_mov_b32_e32 v2, 0
	v_mov_b32_e32 v3, 0
	buffer_store_dword v2, off, s[60:63], 0 offset:312 ; 4-byte Folded Spill
	s_nop 0
	buffer_store_dword v3, off, s[60:63], 0 offset:316 ; 4-byte Folded Spill
	s_and_saveexec_b64 s[42:43], s[6:7]
	s_cbranch_execz .LBB204_276
; %bb.271:                              ;   in Loop: Header=BB204_13 Depth=1
	v_bfrev_b32_e32 v2, 1
	v_mov_b32_e32 v3, 0
	v_cmp_ne_u16_sdwa s[6:7], v1, s54 src0_sel:BYTE_0 src1_sel:DWORD
	buffer_store_dword v2, off, s[60:63], 0 offset:312 ; 4-byte Folded Spill
	s_nop 0
	buffer_store_dword v3, off, s[60:63], 0 offset:316 ; 4-byte Folded Spill
	s_and_saveexec_b64 s[44:45], s[6:7]
	s_cbranch_execz .LBB204_275
; %bb.272:                              ;   in Loop: Header=BB204_13 Depth=1
	v_and_b32_e32 v2, 0x7f, v1
	v_mov_b32_e32 v3, 0x7f800001
	v_mov_b32_e32 v4, 0
	v_cmp_ne_u32_e64 s[6:7], s55, v2
	buffer_store_dword v3, off, s[60:63], 0 offset:312 ; 4-byte Folded Spill
	s_nop 0
	buffer_store_dword v4, off, s[60:63], 0 offset:316 ; 4-byte Folded Spill
	s_and_saveexec_b64 s[46:47], s[6:7]
	s_cbranch_execz .LBB204_274
; %bb.273:                              ;   in Loop: Header=BB204_13 Depth=1
	v_and_b32_e32 v13, 7, v1
	v_lshrrev_b32_e32 v14, 3, v2
	v_cmp_gt_u32_e64 s[6:7], 8, v2
	v_ffbh_u32_e32 v2, v13
	v_min_u32_e32 v2, 32, v2
	v_subrev_u32_e32 v9, 28, v2
	v_lshlrev_b64 v[9:10], v9, v[1:2]
	v_sub_u32_e32 v2, 29, v2
	v_and_b32_e32 v9, 7, v9
	v_cndmask_b32_e64 v2, v14, v2, s[6:7]
	v_cndmask_b32_e64 v9, v13, v9, s[6:7]
	v_bfrev_b32_e32 v3, 60
	v_lshlrev_b32_e32 v9, 20, v9
	v_and_b32_sdwa v10, sext(v1), s56 dst_sel:DWORD dst_unused:UNUSED_PAD src0_sel:BYTE_0 src1_sel:DWORD
	v_lshl_add_u32 v2, v2, 23, v3
	v_or3_b32 v2, v10, v2, v9
	v_mov_b32_e32 v3, v49
	buffer_store_dword v2, off, s[60:63], 0 offset:312 ; 4-byte Folded Spill
	s_nop 0
	buffer_store_dword v3, off, s[60:63], 0 offset:316 ; 4-byte Folded Spill
.LBB204_274:                            ;   in Loop: Header=BB204_13 Depth=1
	s_or_b64 exec, exec, s[46:47]
.LBB204_275:                            ;   in Loop: Header=BB204_13 Depth=1
	s_or_b64 exec, exec, s[44:45]
.LBB204_276:                            ;   in Loop: Header=BB204_13 Depth=1
	s_or_b64 exec, exec, s[42:43]
	v_cmp_ne_u16_sdwa s[6:7], v1, v49 src0_sel:BYTE_1 src1_sel:DWORD
	s_and_saveexec_b64 s[42:43], s[6:7]
	s_cbranch_execz .LBB204_282
; %bb.277:                              ;   in Loop: Header=BB204_13 Depth=1
	v_mov_b32_e32 v11, v49
	v_cmp_ne_u16_sdwa s[6:7], v1, s54 src0_sel:BYTE_1 src1_sel:DWORD
	v_mov_b32_e32 v12, v50
	s_and_saveexec_b64 s[44:45], s[6:7]
	s_cbranch_execz .LBB204_281
; %bb.278:                              ;   in Loop: Header=BB204_13 Depth=1
	v_mov_b32_e32 v39, v49
	v_and_b32_sdwa v2, v1, s55 dst_sel:DWORD dst_unused:UNUSED_PAD src0_sel:BYTE_1 src1_sel:DWORD
	v_mov_b32_e32 v11, v39
	v_cmp_ne_u32_e64 s[6:7], s55, v2
	v_mov_b32_e32 v12, v40
	s_and_saveexec_b64 s[46:47], s[6:7]
	s_cbranch_execz .LBB204_280
; %bb.279:                              ;   in Loop: Header=BB204_13 Depth=1
	v_mov_b32_e32 v3, 7
	v_and_b32_sdwa v11, v1, v3 dst_sel:DWORD dst_unused:UNUSED_PAD src0_sel:BYTE_1 src1_sel:DWORD
	v_lshrrev_b32_e32 v14, 3, v2
	v_cmp_gt_u32_e64 s[6:7], 8, v2
	v_ffbh_u32_e32 v2, v11
	v_min_u32_e32 v2, 32, v2
	v_mov_b32_e32 v12, v49
	v_subrev_u32_e32 v13, 28, v2
	v_lshlrev_b64 v[12:13], v13, v[11:12]
	v_sub_u32_e32 v2, 29, v2
	v_and_b32_e32 v12, 7, v12
	v_cndmask_b32_e64 v2, v14, v2, s[6:7]
	v_bfrev_b32_e32 v3, 60
	v_cndmask_b32_e64 v11, v11, v12, s[6:7]
	v_lshlrev_b32_e32 v1, 16, v1
	v_lshl_add_u32 v2, v2, 23, v3
	v_and_or_b32 v1, v1, s56, v2
	v_lshlrev_b32_e32 v2, 20, v11
	v_or_b32_e32 v12, v1, v2
	v_mov_b32_e32 v11, v49
.LBB204_280:                            ;   in Loop: Header=BB204_13 Depth=1
	s_or_b64 exec, exec, s[46:47]
.LBB204_281:                            ;   in Loop: Header=BB204_13 Depth=1
	s_or_b64 exec, exec, s[44:45]
.LBB204_282:                            ;   in Loop: Header=BB204_13 Depth=1
	s_or_b64 exec, exec, s[42:43]
	global_load_ushort v2, v[59:60], off offset:2568
	v_mov_b32_e32 v15, 0
	v_mov_b32_e32 v13, 0
	;; [unrolled: 1-line block ×4, first 2 shown]
	s_waitcnt vmcnt(0)
	v_and_b32_e32 v1, 0xffff, v2
	v_cmp_ne_u16_sdwa s[6:7], v2, v49 src0_sel:BYTE_0 src1_sel:DWORD
	s_and_saveexec_b64 s[42:43], s[6:7]
	s_cbranch_execz .LBB204_288
; %bb.283:                              ;   in Loop: Header=BB204_13 Depth=1
	v_bfrev_b32_e32 v13, 1
	v_mov_b32_e32 v14, 0
	v_cmp_ne_u16_sdwa s[6:7], v1, s54 src0_sel:BYTE_0 src1_sel:DWORD
	s_and_saveexec_b64 s[44:45], s[6:7]
	s_cbranch_execz .LBB204_287
; %bb.284:                              ;   in Loop: Header=BB204_13 Depth=1
	v_and_b32_e32 v2, 0x7f, v1
	v_mov_b32_e32 v13, 0x7f800001
	v_mov_b32_e32 v14, 0
	v_cmp_ne_u32_e64 s[6:7], s55, v2
	s_and_saveexec_b64 s[46:47], s[6:7]
	s_cbranch_execz .LBB204_286
; %bb.285:                              ;   in Loop: Header=BB204_13 Depth=1
	v_and_b32_e32 v17, 7, v1
	v_lshrrev_b32_e32 v18, 3, v2
	v_cmp_gt_u32_e64 s[6:7], 8, v2
	v_ffbh_u32_e32 v2, v17
	v_min_u32_e32 v2, 32, v2
	v_subrev_u32_e32 v13, 28, v2
	v_lshlrev_b64 v[13:14], v13, v[1:2]
	v_sub_u32_e32 v2, 29, v2
	v_and_b32_e32 v13, 7, v13
	v_cndmask_b32_e64 v2, v18, v2, s[6:7]
	v_cndmask_b32_e64 v13, v17, v13, s[6:7]
	v_bfrev_b32_e32 v3, 60
	v_lshlrev_b32_e32 v13, 20, v13
	v_and_b32_sdwa v14, sext(v1), s56 dst_sel:DWORD dst_unused:UNUSED_PAD src0_sel:BYTE_0 src1_sel:DWORD
	v_lshl_add_u32 v2, v2, 23, v3
	v_or3_b32 v13, v14, v2, v13
	v_mov_b32_e32 v14, v49
.LBB204_286:                            ;   in Loop: Header=BB204_13 Depth=1
	s_or_b64 exec, exec, s[46:47]
.LBB204_287:                            ;   in Loop: Header=BB204_13 Depth=1
	s_or_b64 exec, exec, s[44:45]
.LBB204_288:                            ;   in Loop: Header=BB204_13 Depth=1
	s_or_b64 exec, exec, s[42:43]
	v_cmp_ne_u16_sdwa s[6:7], v1, v49 src0_sel:BYTE_1 src1_sel:DWORD
	s_and_saveexec_b64 s[42:43], s[6:7]
	s_cbranch_execz .LBB204_294
; %bb.289:                              ;   in Loop: Header=BB204_13 Depth=1
	v_mov_b32_e32 v15, v49
	v_cmp_ne_u16_sdwa s[6:7], v1, s54 src0_sel:BYTE_1 src1_sel:DWORD
	v_mov_b32_e32 v16, v50
	s_and_saveexec_b64 s[44:45], s[6:7]
	s_cbranch_execz .LBB204_293
; %bb.290:                              ;   in Loop: Header=BB204_13 Depth=1
	v_mov_b32_e32 v39, v49
	v_and_b32_sdwa v2, v1, s55 dst_sel:DWORD dst_unused:UNUSED_PAD src0_sel:BYTE_1 src1_sel:DWORD
	v_mov_b32_e32 v15, v39
	v_cmp_ne_u32_e64 s[6:7], s55, v2
	v_mov_b32_e32 v16, v40
	s_and_saveexec_b64 s[46:47], s[6:7]
	s_cbranch_execz .LBB204_292
; %bb.291:                              ;   in Loop: Header=BB204_13 Depth=1
	v_mov_b32_e32 v3, 7
	v_and_b32_sdwa v15, v1, v3 dst_sel:DWORD dst_unused:UNUSED_PAD src0_sel:BYTE_1 src1_sel:DWORD
	v_lshrrev_b32_e32 v18, 3, v2
	v_cmp_gt_u32_e64 s[6:7], 8, v2
	v_ffbh_u32_e32 v2, v15
	v_min_u32_e32 v2, 32, v2
	v_mov_b32_e32 v16, v49
	v_subrev_u32_e32 v17, 28, v2
	v_lshlrev_b64 v[16:17], v17, v[15:16]
	v_sub_u32_e32 v2, 29, v2
	v_and_b32_e32 v16, 7, v16
	v_cndmask_b32_e64 v2, v18, v2, s[6:7]
	v_bfrev_b32_e32 v3, 60
	v_cndmask_b32_e64 v15, v15, v16, s[6:7]
	v_lshlrev_b32_e32 v1, 16, v1
	v_lshl_add_u32 v2, v2, 23, v3
	v_and_or_b32 v1, v1, s56, v2
	v_lshlrev_b32_e32 v2, 20, v15
	v_or_b32_e32 v16, v1, v2
	v_mov_b32_e32 v15, v49
.LBB204_292:                            ;   in Loop: Header=BB204_13 Depth=1
	s_or_b64 exec, exec, s[46:47]
.LBB204_293:                            ;   in Loop: Header=BB204_13 Depth=1
	s_or_b64 exec, exec, s[44:45]
.LBB204_294:                            ;   in Loop: Header=BB204_13 Depth=1
	s_or_b64 exec, exec, s[42:43]
	global_load_ushort v2, v[59:60], off offset:2572
	v_mov_b32_e32 v17, 0
	v_mov_b32_e32 v51, 0
	;; [unrolled: 1-line block ×4, first 2 shown]
	s_waitcnt vmcnt(0)
	v_and_b32_e32 v1, 0xffff, v2
	v_cmp_ne_u16_sdwa s[6:7], v2, v49 src0_sel:BYTE_0 src1_sel:DWORD
	s_and_saveexec_b64 s[42:43], s[6:7]
	s_cbranch_execz .LBB204_300
; %bb.295:                              ;   in Loop: Header=BB204_13 Depth=1
	v_bfrev_b32_e32 v51, 1
	v_mov_b32_e32 v52, 0
	v_cmp_ne_u16_sdwa s[6:7], v1, s54 src0_sel:BYTE_0 src1_sel:DWORD
	s_and_saveexec_b64 s[44:45], s[6:7]
	s_cbranch_execz .LBB204_299
; %bb.296:                              ;   in Loop: Header=BB204_13 Depth=1
	v_and_b32_e32 v2, 0x7f, v1
	v_mov_b32_e32 v51, 0x7f800001
	v_mov_b32_e32 v52, 0
	v_cmp_ne_u32_e64 s[6:7], s55, v2
	s_and_saveexec_b64 s[46:47], s[6:7]
	s_cbranch_execz .LBB204_298
; %bb.297:                              ;   in Loop: Header=BB204_13 Depth=1
	v_and_b32_e32 v21, 7, v1
	v_lshrrev_b32_e32 v22, 3, v2
	v_cmp_gt_u32_e64 s[6:7], 8, v2
	v_ffbh_u32_e32 v2, v21
	v_min_u32_e32 v2, 32, v2
	v_subrev_u32_e32 v19, 28, v2
	v_lshlrev_b64 v[19:20], v19, v[1:2]
	v_sub_u32_e32 v2, 29, v2
	v_and_b32_e32 v19, 7, v19
	v_cndmask_b32_e64 v2, v22, v2, s[6:7]
	v_cndmask_b32_e64 v19, v21, v19, s[6:7]
	v_bfrev_b32_e32 v3, 60
	v_lshlrev_b32_e32 v19, 20, v19
	v_and_b32_sdwa v20, sext(v1), s56 dst_sel:DWORD dst_unused:UNUSED_PAD src0_sel:BYTE_0 src1_sel:DWORD
	v_lshl_add_u32 v2, v2, 23, v3
	v_or3_b32 v51, v20, v2, v19
	v_mov_b32_e32 v52, v49
.LBB204_298:                            ;   in Loop: Header=BB204_13 Depth=1
	s_or_b64 exec, exec, s[46:47]
.LBB204_299:                            ;   in Loop: Header=BB204_13 Depth=1
	s_or_b64 exec, exec, s[44:45]
.LBB204_300:                            ;   in Loop: Header=BB204_13 Depth=1
	s_or_b64 exec, exec, s[42:43]
	v_cmp_ne_u16_sdwa s[6:7], v1, v49 src0_sel:BYTE_1 src1_sel:DWORD
	s_and_saveexec_b64 s[42:43], s[6:7]
	s_cbranch_execz .LBB204_306
; %bb.301:                              ;   in Loop: Header=BB204_13 Depth=1
	v_mov_b32_e32 v17, v49
	v_cmp_ne_u16_sdwa s[6:7], v1, s54 src0_sel:BYTE_1 src1_sel:DWORD
	v_mov_b32_e32 v18, v50
	s_and_saveexec_b64 s[44:45], s[6:7]
	s_cbranch_execz .LBB204_305
; %bb.302:                              ;   in Loop: Header=BB204_13 Depth=1
	v_mov_b32_e32 v39, v49
	v_and_b32_sdwa v2, v1, s55 dst_sel:DWORD dst_unused:UNUSED_PAD src0_sel:BYTE_1 src1_sel:DWORD
	v_mov_b32_e32 v17, v39
	v_cmp_ne_u32_e64 s[6:7], s55, v2
	v_mov_b32_e32 v18, v40
	s_and_saveexec_b64 s[46:47], s[6:7]
	s_cbranch_execz .LBB204_304
; %bb.303:                              ;   in Loop: Header=BB204_13 Depth=1
	v_mov_b32_e32 v3, 7
	v_and_b32_sdwa v17, v1, v3 dst_sel:DWORD dst_unused:UNUSED_PAD src0_sel:BYTE_1 src1_sel:DWORD
	v_lshrrev_b32_e32 v20, 3, v2
	v_cmp_gt_u32_e64 s[6:7], 8, v2
	v_ffbh_u32_e32 v2, v17
	v_min_u32_e32 v2, 32, v2
	v_mov_b32_e32 v18, v49
	v_subrev_u32_e32 v19, 28, v2
	v_lshlrev_b64 v[18:19], v19, v[17:18]
	v_sub_u32_e32 v2, 29, v2
	v_and_b32_e32 v18, 7, v18
	v_cndmask_b32_e64 v2, v20, v2, s[6:7]
	v_bfrev_b32_e32 v3, 60
	v_cndmask_b32_e64 v17, v17, v18, s[6:7]
	v_lshlrev_b32_e32 v1, 16, v1
	v_lshl_add_u32 v2, v2, 23, v3
	v_and_or_b32 v1, v1, s56, v2
	v_lshlrev_b32_e32 v2, 20, v17
	v_or_b32_e32 v18, v1, v2
	v_mov_b32_e32 v17, v49
.LBB204_304:                            ;   in Loop: Header=BB204_13 Depth=1
	s_or_b64 exec, exec, s[46:47]
.LBB204_305:                            ;   in Loop: Header=BB204_13 Depth=1
	s_or_b64 exec, exec, s[44:45]
.LBB204_306:                            ;   in Loop: Header=BB204_13 Depth=1
	s_or_b64 exec, exec, s[42:43]
	global_load_ushort v2, v[59:60], off offset:3072
	v_mov_b32_e32 v57, 0
	v_mov_b32_e32 v19, 0
	v_mov_b32_e32 v58, 0
	v_mov_b32_e32 v20, 0
	s_waitcnt vmcnt(0)
	v_and_b32_e32 v1, 0xffff, v2
	v_cmp_ne_u16_sdwa s[6:7], v2, v49 src0_sel:BYTE_0 src1_sel:DWORD
	s_and_saveexec_b64 s[42:43], s[6:7]
	s_cbranch_execz .LBB204_312
; %bb.307:                              ;   in Loop: Header=BB204_13 Depth=1
	v_bfrev_b32_e32 v19, 1
	v_mov_b32_e32 v20, 0
	v_cmp_ne_u16_sdwa s[6:7], v1, s54 src0_sel:BYTE_0 src1_sel:DWORD
	s_and_saveexec_b64 s[44:45], s[6:7]
	s_cbranch_execz .LBB204_311
; %bb.308:                              ;   in Loop: Header=BB204_13 Depth=1
	v_and_b32_e32 v2, 0x7f, v1
	v_mov_b32_e32 v19, 0x7f800001
	v_mov_b32_e32 v20, 0
	v_cmp_ne_u32_e64 s[6:7], s55, v2
	s_and_saveexec_b64 s[46:47], s[6:7]
	s_cbranch_execz .LBB204_310
; %bb.309:                              ;   in Loop: Header=BB204_13 Depth=1
	v_and_b32_e32 v21, 7, v1
	v_lshrrev_b32_e32 v22, 3, v2
	v_cmp_gt_u32_e64 s[6:7], 8, v2
	v_ffbh_u32_e32 v2, v21
	v_min_u32_e32 v2, 32, v2
	v_subrev_u32_e32 v19, 28, v2
	v_lshlrev_b64 v[19:20], v19, v[1:2]
	v_sub_u32_e32 v2, 29, v2
	v_and_b32_e32 v19, 7, v19
	v_cndmask_b32_e64 v2, v22, v2, s[6:7]
	v_cndmask_b32_e64 v19, v21, v19, s[6:7]
	v_bfrev_b32_e32 v3, 60
	v_lshlrev_b32_e32 v19, 20, v19
	v_and_b32_sdwa v20, sext(v1), s56 dst_sel:DWORD dst_unused:UNUSED_PAD src0_sel:BYTE_0 src1_sel:DWORD
	v_lshl_add_u32 v2, v2, 23, v3
	v_or3_b32 v19, v20, v2, v19
	v_mov_b32_e32 v20, v49
.LBB204_310:                            ;   in Loop: Header=BB204_13 Depth=1
	s_or_b64 exec, exec, s[46:47]
.LBB204_311:                            ;   in Loop: Header=BB204_13 Depth=1
	s_or_b64 exec, exec, s[44:45]
.LBB204_312:                            ;   in Loop: Header=BB204_13 Depth=1
	s_or_b64 exec, exec, s[42:43]
	v_cmp_ne_u16_sdwa s[6:7], v1, v49 src0_sel:BYTE_1 src1_sel:DWORD
	s_and_saveexec_b64 s[42:43], s[6:7]
	s_cbranch_execz .LBB204_318
; %bb.313:                              ;   in Loop: Header=BB204_13 Depth=1
	v_mov_b32_e32 v58, v50
	v_cmp_ne_u16_sdwa s[6:7], v1, s54 src0_sel:BYTE_1 src1_sel:DWORD
	v_mov_b32_e32 v57, v49
	s_and_saveexec_b64 s[44:45], s[6:7]
	s_cbranch_execz .LBB204_317
; %bb.314:                              ;   in Loop: Header=BB204_13 Depth=1
	v_and_b32_sdwa v2, v1, s55 dst_sel:DWORD dst_unused:UNUSED_PAD src0_sel:BYTE_1 src1_sel:DWORD
	v_mov_b32_e32 v39, v49
	v_mov_b32_e32 v58, v40
	v_cmp_ne_u32_e64 s[6:7], s55, v2
	v_mov_b32_e32 v57, v39
	s_and_saveexec_b64 s[46:47], s[6:7]
	s_cbranch_execz .LBB204_316
; %bb.315:                              ;   in Loop: Header=BB204_13 Depth=1
	v_mov_b32_e32 v3, 7
	v_and_b32_sdwa v21, v1, v3 dst_sel:DWORD dst_unused:UNUSED_PAD src0_sel:BYTE_1 src1_sel:DWORD
	v_lshrrev_b32_e32 v24, 3, v2
	v_cmp_gt_u32_e64 s[6:7], 8, v2
	v_ffbh_u32_e32 v2, v21
	v_min_u32_e32 v2, 32, v2
	v_mov_b32_e32 v22, v49
	v_subrev_u32_e32 v23, 28, v2
	v_lshlrev_b64 v[22:23], v23, v[21:22]
	v_sub_u32_e32 v2, 29, v2
	v_and_b32_e32 v22, 7, v22
	v_cndmask_b32_e64 v2, v24, v2, s[6:7]
	v_bfrev_b32_e32 v3, 60
	v_cndmask_b32_e64 v21, v21, v22, s[6:7]
	v_lshlrev_b32_e32 v1, 16, v1
	v_lshl_add_u32 v2, v2, 23, v3
	v_and_or_b32 v1, v1, s56, v2
	v_lshlrev_b32_e32 v2, 20, v21
	v_or_b32_e32 v58, v1, v2
	v_mov_b32_e32 v57, v49
.LBB204_316:                            ;   in Loop: Header=BB204_13 Depth=1
	s_or_b64 exec, exec, s[46:47]
.LBB204_317:                            ;   in Loop: Header=BB204_13 Depth=1
	s_or_b64 exec, exec, s[44:45]
.LBB204_318:                            ;   in Loop: Header=BB204_13 Depth=1
	s_or_b64 exec, exec, s[42:43]
	global_load_ushort v2, v[59:60], off offset:3076
	v_mov_b32_e32 v21, 0
	v_mov_b32_e32 v61, 0
	;; [unrolled: 1-line block ×4, first 2 shown]
	s_waitcnt vmcnt(0)
	v_and_b32_e32 v1, 0xffff, v2
	v_cmp_ne_u16_sdwa s[6:7], v2, v49 src0_sel:BYTE_0 src1_sel:DWORD
	s_and_saveexec_b64 s[42:43], s[6:7]
	s_cbranch_execz .LBB204_324
; %bb.319:                              ;   in Loop: Header=BB204_13 Depth=1
	v_bfrev_b32_e32 v61, 1
	v_mov_b32_e32 v62, 0
	v_cmp_ne_u16_sdwa s[6:7], v1, s54 src0_sel:BYTE_0 src1_sel:DWORD
	s_and_saveexec_b64 s[44:45], s[6:7]
	s_cbranch_execz .LBB204_323
; %bb.320:                              ;   in Loop: Header=BB204_13 Depth=1
	v_and_b32_e32 v2, 0x7f, v1
	v_mov_b32_e32 v61, 0x7f800001
	v_mov_b32_e32 v62, 0
	v_cmp_ne_u32_e64 s[6:7], s55, v2
	s_and_saveexec_b64 s[46:47], s[6:7]
	s_cbranch_execz .LBB204_322
; %bb.321:                              ;   in Loop: Header=BB204_13 Depth=1
	v_and_b32_e32 v25, 7, v1
	v_lshrrev_b32_e32 v26, 3, v2
	v_cmp_gt_u32_e64 s[6:7], 8, v2
	v_ffbh_u32_e32 v2, v25
	v_min_u32_e32 v2, 32, v2
	v_subrev_u32_e32 v23, 28, v2
	v_lshlrev_b64 v[23:24], v23, v[1:2]
	v_sub_u32_e32 v2, 29, v2
	v_and_b32_e32 v23, 7, v23
	v_cndmask_b32_e64 v2, v26, v2, s[6:7]
	v_cndmask_b32_e64 v23, v25, v23, s[6:7]
	v_bfrev_b32_e32 v3, 60
	v_lshlrev_b32_e32 v23, 20, v23
	v_and_b32_sdwa v24, sext(v1), s56 dst_sel:DWORD dst_unused:UNUSED_PAD src0_sel:BYTE_0 src1_sel:DWORD
	v_lshl_add_u32 v2, v2, 23, v3
	v_or3_b32 v61, v24, v2, v23
	v_mov_b32_e32 v62, v49
.LBB204_322:                            ;   in Loop: Header=BB204_13 Depth=1
	s_or_b64 exec, exec, s[46:47]
.LBB204_323:                            ;   in Loop: Header=BB204_13 Depth=1
	s_or_b64 exec, exec, s[44:45]
.LBB204_324:                            ;   in Loop: Header=BB204_13 Depth=1
	s_or_b64 exec, exec, s[42:43]
	v_cmp_ne_u16_sdwa s[6:7], v1, v49 src0_sel:BYTE_1 src1_sel:DWORD
	s_and_saveexec_b64 s[42:43], s[6:7]
	s_cbranch_execz .LBB204_330
; %bb.325:                              ;   in Loop: Header=BB204_13 Depth=1
	v_mov_b32_e32 v21, v49
	v_cmp_ne_u16_sdwa s[6:7], v1, s54 src0_sel:BYTE_1 src1_sel:DWORD
	v_mov_b32_e32 v22, v50
	s_and_saveexec_b64 s[44:45], s[6:7]
	s_cbranch_execz .LBB204_329
; %bb.326:                              ;   in Loop: Header=BB204_13 Depth=1
	v_mov_b32_e32 v39, v49
	v_and_b32_sdwa v2, v1, s55 dst_sel:DWORD dst_unused:UNUSED_PAD src0_sel:BYTE_1 src1_sel:DWORD
	v_mov_b32_e32 v21, v39
	v_cmp_ne_u32_e64 s[6:7], s55, v2
	v_mov_b32_e32 v22, v40
	s_and_saveexec_b64 s[46:47], s[6:7]
	s_cbranch_execz .LBB204_328
; %bb.327:                              ;   in Loop: Header=BB204_13 Depth=1
	v_mov_b32_e32 v3, 7
	v_and_b32_sdwa v21, v1, v3 dst_sel:DWORD dst_unused:UNUSED_PAD src0_sel:BYTE_1 src1_sel:DWORD
	v_lshrrev_b32_e32 v24, 3, v2
	v_cmp_gt_u32_e64 s[6:7], 8, v2
	v_ffbh_u32_e32 v2, v21
	v_min_u32_e32 v2, 32, v2
	v_mov_b32_e32 v22, v49
	v_subrev_u32_e32 v23, 28, v2
	v_lshlrev_b64 v[22:23], v23, v[21:22]
	v_sub_u32_e32 v2, 29, v2
	v_and_b32_e32 v22, 7, v22
	v_cndmask_b32_e64 v2, v24, v2, s[6:7]
	v_bfrev_b32_e32 v3, 60
	v_cndmask_b32_e64 v21, v21, v22, s[6:7]
	v_lshlrev_b32_e32 v1, 16, v1
	v_lshl_add_u32 v2, v2, 23, v3
	v_and_or_b32 v1, v1, s56, v2
	v_lshlrev_b32_e32 v2, 20, v21
	v_or_b32_e32 v22, v1, v2
	v_mov_b32_e32 v21, v49
.LBB204_328:                            ;   in Loop: Header=BB204_13 Depth=1
	s_or_b64 exec, exec, s[46:47]
.LBB204_329:                            ;   in Loop: Header=BB204_13 Depth=1
	s_or_b64 exec, exec, s[44:45]
.LBB204_330:                            ;   in Loop: Header=BB204_13 Depth=1
	s_or_b64 exec, exec, s[42:43]
	global_load_ushort v2, v[59:60], off offset:3080
	v_mov_b32_e32 v25, 0
	v_mov_b32_e32 v23, 0
	v_mov_b32_e32 v26, 0
	v_mov_b32_e32 v24, 0
	s_waitcnt vmcnt(0)
	v_and_b32_e32 v1, 0xffff, v2
	v_cmp_ne_u16_sdwa s[6:7], v2, v49 src0_sel:BYTE_0 src1_sel:DWORD
	s_and_saveexec_b64 s[42:43], s[6:7]
	s_cbranch_execz .LBB204_336
; %bb.331:                              ;   in Loop: Header=BB204_13 Depth=1
	v_bfrev_b32_e32 v23, 1
	v_mov_b32_e32 v24, 0
	v_cmp_ne_u16_sdwa s[6:7], v1, s54 src0_sel:BYTE_0 src1_sel:DWORD
	s_and_saveexec_b64 s[44:45], s[6:7]
	s_cbranch_execz .LBB204_335
; %bb.332:                              ;   in Loop: Header=BB204_13 Depth=1
	v_and_b32_e32 v2, 0x7f, v1
	v_mov_b32_e32 v23, 0x7f800001
	v_mov_b32_e32 v24, 0
	v_cmp_ne_u32_e64 s[6:7], s55, v2
	s_and_saveexec_b64 s[46:47], s[6:7]
	s_cbranch_execz .LBB204_334
; %bb.333:                              ;   in Loop: Header=BB204_13 Depth=1
	v_and_b32_e32 v27, 7, v1
	v_lshrrev_b32_e32 v28, 3, v2
	v_cmp_gt_u32_e64 s[6:7], 8, v2
	v_ffbh_u32_e32 v2, v27
	v_min_u32_e32 v2, 32, v2
	v_subrev_u32_e32 v23, 28, v2
	v_lshlrev_b64 v[23:24], v23, v[1:2]
	v_sub_u32_e32 v2, 29, v2
	v_and_b32_e32 v23, 7, v23
	v_cndmask_b32_e64 v2, v28, v2, s[6:7]
	v_cndmask_b32_e64 v23, v27, v23, s[6:7]
	v_bfrev_b32_e32 v3, 60
	v_lshlrev_b32_e32 v23, 20, v23
	v_and_b32_sdwa v24, sext(v1), s56 dst_sel:DWORD dst_unused:UNUSED_PAD src0_sel:BYTE_0 src1_sel:DWORD
	v_lshl_add_u32 v2, v2, 23, v3
	v_or3_b32 v23, v24, v2, v23
	v_mov_b32_e32 v24, v49
.LBB204_334:                            ;   in Loop: Header=BB204_13 Depth=1
	s_or_b64 exec, exec, s[46:47]
.LBB204_335:                            ;   in Loop: Header=BB204_13 Depth=1
	s_or_b64 exec, exec, s[44:45]
.LBB204_336:                            ;   in Loop: Header=BB204_13 Depth=1
	s_or_b64 exec, exec, s[42:43]
	v_cmp_ne_u16_sdwa s[6:7], v1, v49 src0_sel:BYTE_1 src1_sel:DWORD
	s_and_saveexec_b64 s[42:43], s[6:7]
	s_cbranch_execz .LBB204_342
; %bb.337:                              ;   in Loop: Header=BB204_13 Depth=1
	v_mov_b32_e32 v25, v49
	v_cmp_ne_u16_sdwa s[6:7], v1, s54 src0_sel:BYTE_1 src1_sel:DWORD
	v_mov_b32_e32 v26, v50
	s_and_saveexec_b64 s[44:45], s[6:7]
	s_cbranch_execz .LBB204_341
; %bb.338:                              ;   in Loop: Header=BB204_13 Depth=1
	v_mov_b32_e32 v39, v49
	v_and_b32_sdwa v2, v1, s55 dst_sel:DWORD dst_unused:UNUSED_PAD src0_sel:BYTE_1 src1_sel:DWORD
	v_mov_b32_e32 v25, v39
	v_cmp_ne_u32_e64 s[6:7], s55, v2
	v_mov_b32_e32 v26, v40
	s_and_saveexec_b64 s[46:47], s[6:7]
	s_cbranch_execz .LBB204_340
; %bb.339:                              ;   in Loop: Header=BB204_13 Depth=1
	v_mov_b32_e32 v3, 7
	v_and_b32_sdwa v25, v1, v3 dst_sel:DWORD dst_unused:UNUSED_PAD src0_sel:BYTE_1 src1_sel:DWORD
	v_lshrrev_b32_e32 v28, 3, v2
	v_cmp_gt_u32_e64 s[6:7], 8, v2
	v_ffbh_u32_e32 v2, v25
	v_min_u32_e32 v2, 32, v2
	v_mov_b32_e32 v26, v49
	v_subrev_u32_e32 v27, 28, v2
	v_lshlrev_b64 v[26:27], v27, v[25:26]
	v_sub_u32_e32 v2, 29, v2
	v_and_b32_e32 v26, 7, v26
	v_cndmask_b32_e64 v2, v28, v2, s[6:7]
	v_bfrev_b32_e32 v3, 60
	v_cndmask_b32_e64 v25, v25, v26, s[6:7]
	v_lshlrev_b32_e32 v1, 16, v1
	v_lshl_add_u32 v2, v2, 23, v3
	v_and_or_b32 v1, v1, s56, v2
	v_lshlrev_b32_e32 v2, 20, v25
	v_or_b32_e32 v26, v1, v2
	v_mov_b32_e32 v25, v49
.LBB204_340:                            ;   in Loop: Header=BB204_13 Depth=1
	s_or_b64 exec, exec, s[46:47]
.LBB204_341:                            ;   in Loop: Header=BB204_13 Depth=1
	s_or_b64 exec, exec, s[44:45]
.LBB204_342:                            ;   in Loop: Header=BB204_13 Depth=1
	s_or_b64 exec, exec, s[42:43]
	global_load_ushort v2, v[59:60], off offset:3084
	v_mov_b32_e32 v29, 0
	v_mov_b32_e32 v27, 0
	;; [unrolled: 1-line block ×4, first 2 shown]
	s_waitcnt vmcnt(0)
	v_and_b32_e32 v1, 0xffff, v2
	v_cmp_ne_u16_sdwa s[6:7], v2, v49 src0_sel:BYTE_0 src1_sel:DWORD
	s_and_saveexec_b64 s[42:43], s[6:7]
	s_cbranch_execz .LBB204_348
; %bb.343:                              ;   in Loop: Header=BB204_13 Depth=1
	v_bfrev_b32_e32 v27, 1
	v_mov_b32_e32 v28, 0
	v_cmp_ne_u16_sdwa s[6:7], v1, s54 src0_sel:BYTE_0 src1_sel:DWORD
	s_and_saveexec_b64 s[44:45], s[6:7]
	s_cbranch_execz .LBB204_347
; %bb.344:                              ;   in Loop: Header=BB204_13 Depth=1
	v_and_b32_e32 v2, 0x7f, v1
	v_mov_b32_e32 v27, 0x7f800001
	v_mov_b32_e32 v28, 0
	v_cmp_ne_u32_e64 s[6:7], s55, v2
	s_and_saveexec_b64 s[46:47], s[6:7]
	s_cbranch_execz .LBB204_346
; %bb.345:                              ;   in Loop: Header=BB204_13 Depth=1
	v_and_b32_e32 v31, 7, v1
	v_lshrrev_b32_e32 v32, 3, v2
	v_cmp_gt_u32_e64 s[6:7], 8, v2
	v_ffbh_u32_e32 v2, v31
	v_min_u32_e32 v2, 32, v2
	v_subrev_u32_e32 v27, 28, v2
	v_lshlrev_b64 v[27:28], v27, v[1:2]
	v_sub_u32_e32 v2, 29, v2
	v_and_b32_e32 v27, 7, v27
	v_cndmask_b32_e64 v2, v32, v2, s[6:7]
	v_cndmask_b32_e64 v27, v31, v27, s[6:7]
	v_bfrev_b32_e32 v3, 60
	v_lshlrev_b32_e32 v27, 20, v27
	v_and_b32_sdwa v28, sext(v1), s56 dst_sel:DWORD dst_unused:UNUSED_PAD src0_sel:BYTE_0 src1_sel:DWORD
	v_lshl_add_u32 v2, v2, 23, v3
	v_or3_b32 v27, v28, v2, v27
	v_mov_b32_e32 v28, v49
.LBB204_346:                            ;   in Loop: Header=BB204_13 Depth=1
	s_or_b64 exec, exec, s[46:47]
.LBB204_347:                            ;   in Loop: Header=BB204_13 Depth=1
	s_or_b64 exec, exec, s[44:45]
.LBB204_348:                            ;   in Loop: Header=BB204_13 Depth=1
	s_or_b64 exec, exec, s[42:43]
	v_cmp_ne_u16_sdwa s[6:7], v1, v49 src0_sel:BYTE_1 src1_sel:DWORD
	s_and_saveexec_b64 s[42:43], s[6:7]
	s_cbranch_execz .LBB204_354
; %bb.349:                              ;   in Loop: Header=BB204_13 Depth=1
	v_mov_b32_e32 v29, v49
	v_cmp_ne_u16_sdwa s[6:7], v1, s54 src0_sel:BYTE_1 src1_sel:DWORD
	v_mov_b32_e32 v30, v50
	s_and_saveexec_b64 s[44:45], s[6:7]
	s_cbranch_execz .LBB204_353
; %bb.350:                              ;   in Loop: Header=BB204_13 Depth=1
	v_mov_b32_e32 v39, v49
	v_and_b32_sdwa v2, v1, s55 dst_sel:DWORD dst_unused:UNUSED_PAD src0_sel:BYTE_1 src1_sel:DWORD
	v_mov_b32_e32 v29, v39
	v_cmp_ne_u32_e64 s[6:7], s55, v2
	v_mov_b32_e32 v30, v40
	s_and_saveexec_b64 s[46:47], s[6:7]
	s_cbranch_execz .LBB204_352
; %bb.351:                              ;   in Loop: Header=BB204_13 Depth=1
	v_mov_b32_e32 v3, 7
	v_and_b32_sdwa v29, v1, v3 dst_sel:DWORD dst_unused:UNUSED_PAD src0_sel:BYTE_1 src1_sel:DWORD
	v_lshrrev_b32_e32 v32, 3, v2
	v_cmp_gt_u32_e64 s[6:7], 8, v2
	v_ffbh_u32_e32 v2, v29
	v_min_u32_e32 v2, 32, v2
	v_mov_b32_e32 v30, v49
	v_subrev_u32_e32 v31, 28, v2
	v_lshlrev_b64 v[30:31], v31, v[29:30]
	v_sub_u32_e32 v2, 29, v2
	v_and_b32_e32 v30, 7, v30
	v_cndmask_b32_e64 v2, v32, v2, s[6:7]
	v_bfrev_b32_e32 v3, 60
	v_cndmask_b32_e64 v29, v29, v30, s[6:7]
	v_lshlrev_b32_e32 v1, 16, v1
	v_lshl_add_u32 v2, v2, 23, v3
	v_and_or_b32 v1, v1, s56, v2
	v_lshlrev_b32_e32 v2, 20, v29
	v_or_b32_e32 v30, v1, v2
	v_mov_b32_e32 v29, v49
.LBB204_352:                            ;   in Loop: Header=BB204_13 Depth=1
	s_or_b64 exec, exec, s[46:47]
.LBB204_353:                            ;   in Loop: Header=BB204_13 Depth=1
	s_or_b64 exec, exec, s[44:45]
.LBB204_354:                            ;   in Loop: Header=BB204_13 Depth=1
	s_or_b64 exec, exec, s[42:43]
	global_load_ushort v2, v[59:60], off offset:3584
	v_mov_b32_e32 v55, 0
	v_mov_b32_e32 v31, 0
	;; [unrolled: 1-line block ×4, first 2 shown]
	s_waitcnt vmcnt(0)
	v_and_b32_e32 v1, 0xffff, v2
	v_cmp_ne_u16_sdwa s[6:7], v2, v49 src0_sel:BYTE_0 src1_sel:DWORD
	s_and_saveexec_b64 s[42:43], s[6:7]
	s_cbranch_execz .LBB204_360
; %bb.355:                              ;   in Loop: Header=BB204_13 Depth=1
	v_bfrev_b32_e32 v31, 1
	v_mov_b32_e32 v32, 0
	v_cmp_ne_u16_sdwa s[6:7], v1, s54 src0_sel:BYTE_0 src1_sel:DWORD
	s_and_saveexec_b64 s[44:45], s[6:7]
	s_cbranch_execz .LBB204_359
; %bb.356:                              ;   in Loop: Header=BB204_13 Depth=1
	v_and_b32_e32 v2, 0x7f, v1
	v_mov_b32_e32 v31, 0x7f800001
	v_mov_b32_e32 v32, 0
	v_cmp_ne_u32_e64 s[6:7], s55, v2
	s_and_saveexec_b64 s[46:47], s[6:7]
	s_cbranch_execz .LBB204_358
; %bb.357:                              ;   in Loop: Header=BB204_13 Depth=1
	v_and_b32_e32 v33, 7, v1
	v_lshrrev_b32_e32 v34, 3, v2
	v_cmp_gt_u32_e64 s[6:7], 8, v2
	v_ffbh_u32_e32 v2, v33
	v_min_u32_e32 v2, 32, v2
	v_subrev_u32_e32 v31, 28, v2
	v_lshlrev_b64 v[31:32], v31, v[1:2]
	v_sub_u32_e32 v2, 29, v2
	v_and_b32_e32 v31, 7, v31
	v_cndmask_b32_e64 v2, v34, v2, s[6:7]
	v_cndmask_b32_e64 v31, v33, v31, s[6:7]
	v_bfrev_b32_e32 v3, 60
	v_lshlrev_b32_e32 v31, 20, v31
	v_and_b32_sdwa v32, sext(v1), s56 dst_sel:DWORD dst_unused:UNUSED_PAD src0_sel:BYTE_0 src1_sel:DWORD
	v_lshl_add_u32 v2, v2, 23, v3
	v_or3_b32 v31, v32, v2, v31
	v_mov_b32_e32 v32, v49
.LBB204_358:                            ;   in Loop: Header=BB204_13 Depth=1
	s_or_b64 exec, exec, s[46:47]
.LBB204_359:                            ;   in Loop: Header=BB204_13 Depth=1
	s_or_b64 exec, exec, s[44:45]
.LBB204_360:                            ;   in Loop: Header=BB204_13 Depth=1
	s_or_b64 exec, exec, s[42:43]
	v_cmp_ne_u16_sdwa s[6:7], v1, v49 src0_sel:BYTE_1 src1_sel:DWORD
	s_and_saveexec_b64 s[42:43], s[6:7]
	s_cbranch_execz .LBB204_366
; %bb.361:                              ;   in Loop: Header=BB204_13 Depth=1
	v_mov_b32_e32 v56, v50
	v_cmp_ne_u16_sdwa s[6:7], v1, s54 src0_sel:BYTE_1 src1_sel:DWORD
	v_mov_b32_e32 v55, v49
	s_and_saveexec_b64 s[44:45], s[6:7]
	s_cbranch_execz .LBB204_365
; %bb.362:                              ;   in Loop: Header=BB204_13 Depth=1
	v_and_b32_sdwa v2, v1, s55 dst_sel:DWORD dst_unused:UNUSED_PAD src0_sel:BYTE_1 src1_sel:DWORD
	v_mov_b32_e32 v39, v49
	v_mov_b32_e32 v56, v40
	v_cmp_ne_u32_e64 s[6:7], s55, v2
	v_mov_b32_e32 v55, v39
	s_and_saveexec_b64 s[46:47], s[6:7]
	s_cbranch_execz .LBB204_364
; %bb.363:                              ;   in Loop: Header=BB204_13 Depth=1
	v_mov_b32_e32 v3, 7
	v_and_b32_sdwa v33, v1, v3 dst_sel:DWORD dst_unused:UNUSED_PAD src0_sel:BYTE_1 src1_sel:DWORD
	v_lshrrev_b32_e32 v36, 3, v2
	v_cmp_gt_u32_e64 s[6:7], 8, v2
	v_ffbh_u32_e32 v2, v33
	v_min_u32_e32 v2, 32, v2
	v_mov_b32_e32 v34, v49
	v_subrev_u32_e32 v35, 28, v2
	v_lshlrev_b64 v[34:35], v35, v[33:34]
	v_sub_u32_e32 v2, 29, v2
	v_and_b32_e32 v34, 7, v34
	v_cndmask_b32_e64 v2, v36, v2, s[6:7]
	v_bfrev_b32_e32 v3, 60
	v_cndmask_b32_e64 v33, v33, v34, s[6:7]
	v_lshlrev_b32_e32 v1, 16, v1
	v_lshl_add_u32 v2, v2, 23, v3
	v_and_or_b32 v1, v1, s56, v2
	v_lshlrev_b32_e32 v2, 20, v33
	v_or_b32_e32 v56, v1, v2
	v_mov_b32_e32 v55, v49
.LBB204_364:                            ;   in Loop: Header=BB204_13 Depth=1
	s_or_b64 exec, exec, s[46:47]
.LBB204_365:                            ;   in Loop: Header=BB204_13 Depth=1
	s_or_b64 exec, exec, s[44:45]
.LBB204_366:                            ;   in Loop: Header=BB204_13 Depth=1
	s_or_b64 exec, exec, s[42:43]
	global_load_ushort v1, v[59:60], off offset:3588
	v_mov_b32_e32 v33, 0
	v_mov_b32_e32 v34, 0
	s_waitcnt vmcnt(0)
	v_and_b32_e32 v35, 0xffff, v1
	v_cmp_ne_u16_sdwa s[6:7], v1, v49 src0_sel:BYTE_0 src1_sel:DWORD
	v_mov_b32_e32 v1, 0
	v_mov_b32_e32 v2, 0
	s_and_saveexec_b64 s[42:43], s[6:7]
	s_cbranch_execz .LBB204_372
; %bb.367:                              ;   in Loop: Header=BB204_13 Depth=1
	v_bfrev_b32_e32 v1, 1
	v_mov_b32_e32 v2, 0
	v_cmp_ne_u16_sdwa s[6:7], v35, s54 src0_sel:BYTE_0 src1_sel:DWORD
	s_and_saveexec_b64 s[44:45], s[6:7]
	s_cbranch_execz .LBB204_371
; %bb.368:                              ;   in Loop: Header=BB204_13 Depth=1
	v_and_b32_e32 v36, 0x7f, v35
	v_mov_b32_e32 v1, 0x7f800001
	v_mov_b32_e32 v2, 0
	v_cmp_ne_u32_e64 s[6:7], s55, v36
	s_and_saveexec_b64 s[46:47], s[6:7]
	s_cbranch_execz .LBB204_370
; %bb.369:                              ;   in Loop: Header=BB204_13 Depth=1
	v_and_b32_e32 v37, 7, v35
	v_ffbh_u32_e32 v1, v37
	v_lshrrev_b32_e32 v38, 3, v36
	v_cmp_gt_u32_e64 s[6:7], 8, v36
	v_min_u32_e32 v36, 32, v1
	v_subrev_u32_e32 v1, 28, v36
	v_lshlrev_b64 v[1:2], v1, v[35:36]
	v_sub_u32_e32 v2, 29, v36
	v_and_b32_e32 v1, 7, v1
	v_cndmask_b32_e64 v2, v38, v2, s[6:7]
	v_cndmask_b32_e64 v1, v37, v1, s[6:7]
	v_bfrev_b32_e32 v3, 60
	v_lshlrev_b32_e32 v1, 20, v1
	v_and_b32_sdwa v36, sext(v35), s56 dst_sel:DWORD dst_unused:UNUSED_PAD src0_sel:BYTE_0 src1_sel:DWORD
	v_lshl_add_u32 v2, v2, 23, v3
	v_or3_b32 v1, v36, v2, v1
	v_mov_b32_e32 v2, v49
.LBB204_370:                            ;   in Loop: Header=BB204_13 Depth=1
	s_or_b64 exec, exec, s[46:47]
.LBB204_371:                            ;   in Loop: Header=BB204_13 Depth=1
	s_or_b64 exec, exec, s[44:45]
.LBB204_372:                            ;   in Loop: Header=BB204_13 Depth=1
	s_or_b64 exec, exec, s[42:43]
	v_cmp_ne_u16_sdwa s[6:7], v35, v49 src0_sel:BYTE_1 src1_sel:DWORD
	s_and_saveexec_b64 s[42:43], s[6:7]
	s_cbranch_execz .LBB204_378
; %bb.373:                              ;   in Loop: Header=BB204_13 Depth=1
	v_mov_b32_e32 v33, v49
	v_cmp_ne_u16_sdwa s[6:7], v35, s54 src0_sel:BYTE_1 src1_sel:DWORD
	v_mov_b32_e32 v34, v50
	s_and_saveexec_b64 s[44:45], s[6:7]
	s_cbranch_execz .LBB204_377
; %bb.374:                              ;   in Loop: Header=BB204_13 Depth=1
	v_mov_b32_e32 v39, v49
	v_and_b32_sdwa v36, v35, s55 dst_sel:DWORD dst_unused:UNUSED_PAD src0_sel:BYTE_1 src1_sel:DWORD
	v_mov_b32_e32 v33, v39
	v_cmp_ne_u32_e64 s[6:7], s55, v36
	v_mov_b32_e32 v34, v40
	s_and_saveexec_b64 s[46:47], s[6:7]
	s_cbranch_execz .LBB204_376
; %bb.375:                              ;   in Loop: Header=BB204_13 Depth=1
	v_mov_b32_e32 v3, 7
	v_and_b32_sdwa v33, v35, v3 dst_sel:DWORD dst_unused:UNUSED_PAD src0_sel:BYTE_1 src1_sel:DWORD
	v_lshrrev_b32_e32 v38, 3, v36
	v_cmp_gt_u32_e64 s[6:7], 8, v36
	v_ffbh_u32_e32 v36, v33
	v_min_u32_e32 v39, 32, v36
	v_mov_b32_e32 v34, v49
	v_subrev_u32_e32 v36, 28, v39
	v_lshlrev_b64 v[36:37], v36, v[33:34]
	v_sub_u32_e32 v34, 29, v39
	v_and_b32_e32 v36, 7, v36
	v_cndmask_b32_e64 v34, v38, v34, s[6:7]
	v_bfrev_b32_e32 v3, 60
	v_cndmask_b32_e64 v33, v33, v36, s[6:7]
	v_lshlrev_b32_e32 v35, 16, v35
	v_lshl_add_u32 v34, v34, 23, v3
	v_and_or_b32 v34, v35, s56, v34
	v_lshlrev_b32_e32 v33, 20, v33
	v_or_b32_e32 v34, v34, v33
	v_mov_b32_e32 v33, v49
.LBB204_376:                            ;   in Loop: Header=BB204_13 Depth=1
	s_or_b64 exec, exec, s[46:47]
.LBB204_377:                            ;   in Loop: Header=BB204_13 Depth=1
	s_or_b64 exec, exec, s[44:45]
.LBB204_378:                            ;   in Loop: Header=BB204_13 Depth=1
	s_or_b64 exec, exec, s[42:43]
	global_load_ushort v35, v[59:60], off offset:3592
	v_mov_b32_e32 v37, 0
	v_mov_b32_e32 v38, 0
	s_waitcnt vmcnt(0)
	v_and_b32_e32 v41, 0xffff, v35
	v_cmp_ne_u16_sdwa s[6:7], v35, v49 src0_sel:BYTE_0 src1_sel:DWORD
	v_mov_b32_e32 v35, 0
	v_mov_b32_e32 v36, 0
	s_and_saveexec_b64 s[42:43], s[6:7]
	s_cbranch_execz .LBB204_384
; %bb.379:                              ;   in Loop: Header=BB204_13 Depth=1
	v_bfrev_b32_e32 v35, 1
	v_mov_b32_e32 v36, 0
	v_cmp_ne_u16_sdwa s[6:7], v41, s54 src0_sel:BYTE_0 src1_sel:DWORD
	s_and_saveexec_b64 s[44:45], s[6:7]
	s_cbranch_execz .LBB204_383
; %bb.380:                              ;   in Loop: Header=BB204_13 Depth=1
	v_and_b32_e32 v39, 0x7f, v41
	v_mov_b32_e32 v35, 0x7f800001
	v_mov_b32_e32 v36, 0
	v_cmp_ne_u32_e64 s[6:7], s55, v39
	s_and_saveexec_b64 s[46:47], s[6:7]
	s_cbranch_execz .LBB204_382
; %bb.381:                              ;   in Loop: Header=BB204_13 Depth=1
	v_and_b32_e32 v42, 7, v41
	v_ffbh_u32_e32 v35, v42
	v_lshrrev_b32_e32 v43, 3, v39
	v_cmp_gt_u32_e64 s[6:7], 8, v39
	v_min_u32_e32 v39, 32, v35
	v_subrev_u32_e32 v35, 28, v39
	v_lshlrev_b64 v[35:36], v35, v[41:42]
	v_sub_u32_e32 v36, 29, v39
	v_and_b32_e32 v35, 7, v35
	v_cndmask_b32_e64 v36, v43, v36, s[6:7]
	v_cndmask_b32_e64 v35, v42, v35, s[6:7]
	v_bfrev_b32_e32 v3, 60
	v_lshlrev_b32_e32 v35, 20, v35
	v_and_b32_sdwa v39, sext(v41), s56 dst_sel:DWORD dst_unused:UNUSED_PAD src0_sel:BYTE_0 src1_sel:DWORD
	v_lshl_add_u32 v36, v36, 23, v3
	v_or3_b32 v35, v39, v36, v35
	v_mov_b32_e32 v36, v49
.LBB204_382:                            ;   in Loop: Header=BB204_13 Depth=1
	s_or_b64 exec, exec, s[46:47]
.LBB204_383:                            ;   in Loop: Header=BB204_13 Depth=1
	s_or_b64 exec, exec, s[44:45]
.LBB204_384:                            ;   in Loop: Header=BB204_13 Depth=1
	s_or_b64 exec, exec, s[42:43]
	v_cmp_ne_u16_sdwa s[6:7], v41, v49 src0_sel:BYTE_1 src1_sel:DWORD
	s_and_saveexec_b64 s[42:43], s[6:7]
	s_cbranch_execz .LBB204_390
; %bb.385:                              ;   in Loop: Header=BB204_13 Depth=1
	v_mov_b32_e32 v37, v49
	v_cmp_ne_u16_sdwa s[6:7], v41, s54 src0_sel:BYTE_1 src1_sel:DWORD
	v_mov_b32_e32 v38, v50
	s_and_saveexec_b64 s[44:45], s[6:7]
	s_cbranch_execz .LBB204_389
; %bb.386:                              ;   in Loop: Header=BB204_13 Depth=1
	v_mov_b32_e32 v39, v49
	v_and_b32_sdwa v42, v41, s55 dst_sel:DWORD dst_unused:UNUSED_PAD src0_sel:BYTE_1 src1_sel:DWORD
	v_mov_b32_e32 v37, v39
	v_cmp_ne_u32_e64 s[6:7], s55, v42
	v_mov_b32_e32 v38, v40
	s_and_saveexec_b64 s[46:47], s[6:7]
	s_cbranch_execz .LBB204_388
; %bb.387:                              ;   in Loop: Header=BB204_13 Depth=1
	v_mov_b32_e32 v3, 7
	v_and_b32_sdwa v37, v41, v3 dst_sel:DWORD dst_unused:UNUSED_PAD src0_sel:BYTE_1 src1_sel:DWORD
	v_ffbh_u32_e32 v39, v37
	v_lshrrev_b32_e32 v43, 3, v42
	v_cmp_gt_u32_e64 s[6:7], 8, v42
	v_min_u32_e32 v42, 32, v39
	v_mov_b32_e32 v38, v49
	v_subrev_u32_e32 v39, 28, v42
	v_lshlrev_b64 v[38:39], v39, v[37:38]
	v_sub_u32_e32 v39, 29, v42
	v_and_b32_e32 v38, 7, v38
	v_cndmask_b32_e64 v39, v43, v39, s[6:7]
	v_bfrev_b32_e32 v3, 60
	v_cndmask_b32_e64 v37, v37, v38, s[6:7]
	v_lshlrev_b32_e32 v38, 16, v41
	v_lshl_add_u32 v39, v39, 23, v3
	v_and_or_b32 v38, v38, s56, v39
	v_lshlrev_b32_e32 v37, 20, v37
	v_or_b32_e32 v38, v38, v37
	v_mov_b32_e32 v37, v49
.LBB204_388:                            ;   in Loop: Header=BB204_13 Depth=1
	s_or_b64 exec, exec, s[46:47]
.LBB204_389:                            ;   in Loop: Header=BB204_13 Depth=1
	s_or_b64 exec, exec, s[44:45]
.LBB204_390:                            ;   in Loop: Header=BB204_13 Depth=1
	s_or_b64 exec, exec, s[42:43]
	global_load_ushort v39, v[59:60], off offset:3596
	v_mov_b32_e32 v41, 0
	v_mov_b32_e32 v59, 0
	;; [unrolled: 1-line block ×4, first 2 shown]
	s_waitcnt vmcnt(0)
	v_and_b32_e32 v43, 0xffff, v39
	v_cmp_ne_u16_sdwa s[6:7], v39, v49 src0_sel:BYTE_0 src1_sel:DWORD
	s_and_saveexec_b64 s[42:43], s[6:7]
	s_cbranch_execz .LBB204_396
; %bb.391:                              ;   in Loop: Header=BB204_13 Depth=1
	v_bfrev_b32_e32 v59, 1
	v_mov_b32_e32 v60, 0
	v_cmp_ne_u16_sdwa s[6:7], v43, s54 src0_sel:BYTE_0 src1_sel:DWORD
	s_and_saveexec_b64 s[44:45], s[6:7]
	s_cbranch_execz .LBB204_395
; %bb.392:                              ;   in Loop: Header=BB204_13 Depth=1
	v_and_b32_e32 v39, 0x7f, v43
	v_mov_b32_e32 v59, 0x7f800001
	v_mov_b32_e32 v60, 0
	v_cmp_ne_u32_e64 s[6:7], s55, v39
	s_and_saveexec_b64 s[46:47], s[6:7]
	s_cbranch_execz .LBB204_394
; %bb.393:                              ;   in Loop: Header=BB204_13 Depth=1
	v_mov_b32_e32 v10, v6
	v_and_b32_e32 v46, 7, v43
	v_mov_b32_e32 v9, v5
	v_mov_b32_e32 v4, v47
	;; [unrolled: 1-line block ×3, first 2 shown]
	v_lshrrev_b32_e32 v47, 3, v39
	v_cmp_gt_u32_e64 s[6:7], 8, v39
	v_ffbh_u32_e32 v39, v46
	v_min_u32_e32 v39, 32, v39
	v_subrev_u32_e32 v48, 28, v39
	v_lshlrev_b64 v[59:60], v48, v[43:44]
	v_sub_u32_e32 v39, 29, v39
	v_and_b32_e32 v48, 7, v59
	v_cndmask_b32_e64 v39, v47, v39, s[6:7]
	v_cndmask_b32_e64 v46, v46, v48, s[6:7]
	v_bfrev_b32_e32 v3, 60
	v_lshlrev_b32_e32 v46, 20, v46
	v_and_b32_sdwa v47, sext(v43), s56 dst_sel:DWORD dst_unused:UNUSED_PAD src0_sel:BYTE_0 src1_sel:DWORD
	v_lshl_add_u32 v39, v39, 23, v3
	v_or3_b32 v59, v47, v39, v46
	v_mov_b32_e32 v48, v5
	v_mov_b32_e32 v47, v4
	;; [unrolled: 1-line block ×5, first 2 shown]
.LBB204_394:                            ;   in Loop: Header=BB204_13 Depth=1
	s_or_b64 exec, exec, s[46:47]
.LBB204_395:                            ;   in Loop: Header=BB204_13 Depth=1
	s_or_b64 exec, exec, s[44:45]
.LBB204_396:                            ;   in Loop: Header=BB204_13 Depth=1
	s_or_b64 exec, exec, s[42:43]
	v_mov_b32_e32 v10, v6
	v_mov_b32_e32 v9, v5
	v_cmp_ne_u16_sdwa s[6:7], v43, v49 src0_sel:BYTE_1 src1_sel:DWORD
	s_and_saveexec_b64 s[42:43], s[6:7]
	s_cbranch_execz .LBB204_402
; %bb.397:                              ;   in Loop: Header=BB204_13 Depth=1
	v_mov_b32_e32 v41, v49
	v_cmp_ne_u16_sdwa s[6:7], v43, s54 src0_sel:BYTE_1 src1_sel:DWORD
	v_mov_b32_e32 v42, v50
	s_and_saveexec_b64 s[44:45], s[6:7]
	s_cbranch_execz .LBB204_401
; %bb.398:                              ;   in Loop: Header=BB204_13 Depth=1
	v_and_b32_sdwa v46, v43, s55 dst_sel:DWORD dst_unused:UNUSED_PAD src0_sel:BYTE_1 src1_sel:DWORD
	v_mov_b32_e32 v39, v49
	v_mov_b32_e32 v42, v40
	v_cmp_ne_u32_e64 s[6:7], s55, v46
	v_mov_b32_e32 v41, v39
	s_and_saveexec_b64 s[46:47], s[6:7]
	s_cbranch_execz .LBB204_400
; %bb.399:                              ;   in Loop: Header=BB204_13 Depth=1
	v_mov_b32_e32 v3, 7
	v_and_b32_sdwa v41, v43, v3 dst_sel:DWORD dst_unused:UNUSED_PAD src0_sel:BYTE_1 src1_sel:DWORD
	v_lshrrev_b32_e32 v39, 3, v46
	v_cmp_gt_u32_e64 s[6:7], 8, v46
	v_ffbh_u32_e32 v46, v41
	v_mov_b32_e32 v3, v47
	v_mov_b32_e32 v4, v48
	v_min_u32_e32 v48, 32, v46
	v_mov_b32_e32 v42, v49
	v_subrev_u32_e32 v46, 28, v48
	v_lshlrev_b64 v[46:47], v46, v[41:42]
	v_sub_u32_e32 v42, 29, v48
	v_mov_b32_e32 v48, v4
	v_mov_b32_e32 v47, v3
	v_and_b32_e32 v46, 7, v46
	v_cndmask_b32_e64 v39, v39, v42, s[6:7]
	v_bfrev_b32_e32 v3, 60
	v_cndmask_b32_e64 v41, v41, v46, s[6:7]
	v_lshlrev_b32_e32 v42, 16, v43
	v_lshl_add_u32 v39, v39, 23, v3
	v_and_or_b32 v39, v42, s56, v39
	v_lshlrev_b32_e32 v41, 20, v41
	v_or_b32_e32 v42, v39, v41
	v_mov_b32_e32 v41, v49
.LBB204_400:                            ;   in Loop: Header=BB204_13 Depth=1
	s_or_b64 exec, exec, s[46:47]
.LBB204_401:                            ;   in Loop: Header=BB204_13 Depth=1
	s_or_b64 exec, exec, s[44:45]
.LBB204_402:                            ;   in Loop: Header=BB204_13 Depth=1
	s_or_b64 exec, exec, s[42:43]
	buffer_load_dword v3, off, s[60:63], 0 offset:8 ; 4-byte Folded Reload
	buffer_load_dword v4, off, s[60:63], 0 offset:12 ; 4-byte Folded Reload
	;; [unrolled: 1-line block ×4, first 2 shown]
	v_or_b32_e32 v46, v48, v8
	v_or_b32_e32 v47, v47, v7
	v_mul_f32_e32 v47, s57, v47
	v_mul_f32_e32 v46, s57, v46
	v_or_b32_e32 v34, v34, v2
	v_or_b32_e32 v33, v33, v1
	v_or_b32_e32 v27, v29, v27
	v_or_b32_e32 v24, v26, v24
	v_or_b32_e32 v28, v30, v28
	v_or_b32_e32 v18, v18, v52
	v_or_b32_e32 v17, v17, v51
	v_or_b32_e32 v31, v55, v31
	v_or_b32_e32 v21, v21, v61
	v_or_b32_e32 v20, v58, v20
	v_or_b32_e32 v19, v57, v19
	v_or_b32_e32 v42, v42, v60
	v_or_b32_e32 v41, v41, v59
	v_or_b32_e32 v23, v25, v23
	v_or_b32_e32 v22, v22, v62
	v_or_b32_e32 v25, v15, v13
	v_or_b32_e32 v32, v56, v32
	v_or_b32_e32 v16, v16, v14
	v_mul_f32_e32 v13, s57, v20
	v_mul_f32_e32 v14, s57, v19
	;; [unrolled: 1-line block ×7, first 2 shown]
	s_waitcnt vmcnt(1)
	v_or_b32_e32 v39, v5, v3
	s_waitcnt vmcnt(0)
	v_or_b32_e32 v43, v6, v4
	buffer_load_dword v3, off, s[60:63], 0 offset:508 ; 4-byte Folded Reload
	buffer_load_dword v4, off, s[60:63], 0 offset:512 ; 4-byte Folded Reload
	;; [unrolled: 1-line block ×4, first 2 shown]
	v_mul_f32_e32 v39, s57, v39
	v_mul_f32_e32 v43, s57, v43
	s_waitcnt vmcnt(1)
	v_mul_f32_e32 v39, v5, v39
	s_waitcnt vmcnt(0)
	v_mul_f32_e32 v43, v6, v43
	v_fmac_f32_e32 v39, v3, v47
	v_fmac_f32_e32 v43, v4, v46
	buffer_load_dword v3, off, s[60:63], 0 offset:40 ; 4-byte Folded Reload
	buffer_load_dword v4, off, s[60:63], 0 offset:44 ; 4-byte Folded Reload
	;; [unrolled: 1-line block ×4, first 2 shown]
	s_waitcnt vmcnt(1)
	v_or_b32_e32 v47, v5, v3
	s_waitcnt vmcnt(0)
	v_or_b32_e32 v46, v6, v4
	buffer_load_dword v3, off, s[60:63], 0 offset:24 ; 4-byte Folded Reload
	buffer_load_dword v4, off, s[60:63], 0 offset:28 ; 4-byte Folded Reload
	;; [unrolled: 1-line block ×4, first 2 shown]
	s_waitcnt vmcnt(1)
	v_or_b32_e32 v3, v5, v3
	s_waitcnt vmcnt(0)
	v_or_b32_e32 v48, v6, v4
	buffer_load_dword v4, off, s[60:63], 0 offset:492 ; 4-byte Folded Reload
	buffer_load_dword v5, off, s[60:63], 0 offset:496 ; 4-byte Folded Reload
	;; [unrolled: 1-line block ×4, first 2 shown]
	v_mul_f32_e32 v3, s57, v3
	s_waitcnt vmcnt(3)
	v_fmac_f32_e32 v39, v4, v3
	v_mul_f32_e32 v3, s57, v48
	s_waitcnt vmcnt(2)
	v_fmac_f32_e32 v43, v5, v3
	;; [unrolled: 3-line block ×4, first 2 shown]
	buffer_load_dword v4, off, s[60:63], 0 offset:72 ; 4-byte Folded Reload
	buffer_load_dword v5, off, s[60:63], 0 offset:76 ; 4-byte Folded Reload
	;; [unrolled: 1-line block ×4, first 2 shown]
	s_waitcnt vmcnt(1)
	v_or_b32_e32 v4, v6, v4
	s_waitcnt vmcnt(0)
	v_or_b32_e32 v3, v7, v5
	buffer_load_dword v5, off, s[60:63], 0 offset:56 ; 4-byte Folded Reload
	buffer_load_dword v6, off, s[60:63], 0 offset:60 ; 4-byte Folded Reload
	buffer_load_dword v7, off, s[60:63], 0 offset:64 ; 4-byte Folded Reload
	buffer_load_dword v8, off, s[60:63], 0 offset:68 ; 4-byte Folded Reload
	v_mul_f32_e32 v4, s57, v4
	v_mul_f32_e32 v3, s57, v3
	s_waitcnt vmcnt(1)
	v_or_b32_e32 v47, v7, v5
	s_waitcnt vmcnt(0)
	v_or_b32_e32 v46, v8, v6
	buffer_load_dword v5, off, s[60:63], 0 offset:476 ; 4-byte Folded Reload
	buffer_load_dword v6, off, s[60:63], 0 offset:480 ; 4-byte Folded Reload
	buffer_load_dword v7, off, s[60:63], 0 offset:484 ; 4-byte Folded Reload
	buffer_load_dword v8, off, s[60:63], 0 offset:488 ; 4-byte Folded Reload
	v_mul_f32_e32 v47, s57, v47
	v_mul_f32_e32 v46, s57, v46
	s_waitcnt vmcnt(3)
	v_fmac_f32_e32 v39, v5, v47
	s_waitcnt vmcnt(2)
	v_fmac_f32_e32 v43, v6, v46
	s_waitcnt vmcnt(1)
	v_fmac_f32_e32 v39, v7, v4
	buffer_load_dword v4, off, s[60:63], 0 offset:104 ; 4-byte Folded Reload
	buffer_load_dword v5, off, s[60:63], 0 offset:108 ; 4-byte Folded Reload
	buffer_load_dword v6, off, s[60:63], 0 offset:112 ; 4-byte Folded Reload
	buffer_load_dword v7, off, s[60:63], 0 offset:116 ; 4-byte Folded Reload
	s_waitcnt vmcnt(4)
	v_fmac_f32_e32 v43, v8, v3
	s_waitcnt vmcnt(1)
	v_or_b32_e32 v4, v6, v4
	s_waitcnt vmcnt(0)
	v_or_b32_e32 v3, v7, v5
	buffer_load_dword v5, off, s[60:63], 0 offset:88 ; 4-byte Folded Reload
	buffer_load_dword v6, off, s[60:63], 0 offset:92 ; 4-byte Folded Reload
	buffer_load_dword v7, off, s[60:63], 0 offset:96 ; 4-byte Folded Reload
	buffer_load_dword v8, off, s[60:63], 0 offset:100 ; 4-byte Folded Reload
	v_mul_f32_e32 v4, s57, v4
	v_mul_f32_e32 v3, s57, v3
	s_waitcnt vmcnt(1)
	v_or_b32_e32 v47, v7, v5
	s_waitcnt vmcnt(0)
	v_or_b32_e32 v46, v8, v6
	buffer_load_dword v5, off, s[60:63], 0 offset:460 ; 4-byte Folded Reload
	buffer_load_dword v6, off, s[60:63], 0 offset:464 ; 4-byte Folded Reload
	buffer_load_dword v7, off, s[60:63], 0 offset:468 ; 4-byte Folded Reload
	buffer_load_dword v8, off, s[60:63], 0 offset:472 ; 4-byte Folded Reload
	v_mul_f32_e32 v47, s57, v47
	v_mul_f32_e32 v46, s57, v46
	s_waitcnt vmcnt(3)
	v_fmac_f32_e32 v39, v5, v47
	s_waitcnt vmcnt(2)
	v_fmac_f32_e32 v43, v6, v46
	s_waitcnt vmcnt(1)
	v_fmac_f32_e32 v39, v7, v4
	buffer_load_dword v4, off, s[60:63], 0 offset:136 ; 4-byte Folded Reload
	buffer_load_dword v5, off, s[60:63], 0 offset:140 ; 4-byte Folded Reload
	buffer_load_dword v6, off, s[60:63], 0 offset:144 ; 4-byte Folded Reload
	buffer_load_dword v7, off, s[60:63], 0 offset:148 ; 4-byte Folded Reload
	s_waitcnt vmcnt(4)
	v_fmac_f32_e32 v43, v8, v3
	;; [unrolled: 32-line block ×4, first 2 shown]
	s_waitcnt vmcnt(1)
	v_or_b32_e32 v4, v6, v4
	s_waitcnt vmcnt(0)
	v_or_b32_e32 v3, v7, v5
	buffer_load_dword v5, off, s[60:63], 0 offset:184 ; 4-byte Folded Reload
	buffer_load_dword v6, off, s[60:63], 0 offset:188 ; 4-byte Folded Reload
	;; [unrolled: 1-line block ×4, first 2 shown]
	v_mul_f32_e32 v4, s57, v4
	v_mul_f32_e32 v3, s57, v3
	s_waitcnt vmcnt(1)
	v_or_b32_e32 v47, v7, v5
	s_waitcnt vmcnt(0)
	v_or_b32_e32 v46, v8, v6
	buffer_load_dword v5, off, s[60:63], 0 offset:412 ; 4-byte Folded Reload
	buffer_load_dword v6, off, s[60:63], 0 offset:416 ; 4-byte Folded Reload
	;; [unrolled: 1-line block ×6, first 2 shown]
	v_mul_f32_e32 v47, s57, v47
	v_mul_f32_e32 v46, s57, v46
	s_waitcnt vmcnt(5)
	v_fmac_f32_e32 v39, v5, v47
	s_waitcnt vmcnt(4)
	v_fmac_f32_e32 v43, v6, v46
	;; [unrolled: 2-line block ×3, first 2 shown]
	s_waitcnt vmcnt(1)
	v_or_b32_e32 v29, v11, v1
	s_waitcnt vmcnt(0)
	v_or_b32_e32 v26, v12, v2
	buffer_load_dword v1, off, s[60:63], 0 offset:524 ; 4-byte Folded Reload
	buffer_load_dword v2, off, s[60:63], 0 offset:528 ; 4-byte Folded Reload
	v_or_b32_e32 v4, v37, v35
	v_fmac_f32_e32 v43, v8, v3
	v_or_b32_e32 v3, v38, v36
	v_mul_f32_e32 v11, s57, v22
	v_mul_f32_e32 v12, s57, v21
	v_mul_f32_e32 v21, s57, v25
	v_mul_f32_e32 v22, s57, v26
	s_waitcnt vmcnt(1)
	v_or_b32_e32 v35, v9, v1
	s_waitcnt vmcnt(0)
	v_or_b32_e32 v30, v10, v2
	buffer_load_dword v1, off, s[60:63], 0 offset:296 ; 4-byte Folded Reload
	buffer_load_dword v2, off, s[60:63], 0 offset:300 ; 4-byte Folded Reload
	;; [unrolled: 1-line block ×4, first 2 shown]
	v_mul_f32_e32 v25, s57, v35
	v_mul_f32_e32 v9, s57, v24
	;; [unrolled: 1-line block ×5, first 2 shown]
	s_waitcnt vmcnt(1)
	v_or_b32_e32 v37, v5, v1
	s_waitcnt vmcnt(0)
	v_or_b32_e32 v36, v6, v2
	buffer_load_dword v1, off, s[60:63], 0 offset:280 ; 4-byte Folded Reload
	buffer_load_dword v2, off, s[60:63], 0 offset:284 ; 4-byte Folded Reload
	buffer_load_dword v5, off, s[60:63], 0 offset:288 ; 4-byte Folded Reload
	buffer_load_dword v6, off, s[60:63], 0 offset:292 ; 4-byte Folded Reload
	v_mul_f32_e32 v26, s57, v36
	s_waitcnt vmcnt(1)
	v_or_b32_e32 v46, v5, v1
	s_waitcnt vmcnt(0)
	v_or_b32_e32 v38, v6, v2
	buffer_load_dword v1, off, s[60:63], 0 offset:264 ; 4-byte Folded Reload
	buffer_load_dword v2, off, s[60:63], 0 offset:268 ; 4-byte Folded Reload
	buffer_load_dword v5, off, s[60:63], 0 offset:272 ; 4-byte Folded Reload
	buffer_load_dword v6, off, s[60:63], 0 offset:276 ; 4-byte Folded Reload
	v_mul_f32_e32 v29, s57, v46
	;; [unrolled: 9-line block ×3, first 2 shown]
	s_waitcnt vmcnt(1)
	v_or_b32_e32 v52, v5, v1
	s_waitcnt vmcnt(0)
	v_or_b32_e32 v51, v6, v2
	buffer_load_dword v1, off, s[60:63], 0 offset:232 ; 4-byte Folded Reload
	buffer_load_dword v2, off, s[60:63], 0 offset:236 ; 4-byte Folded Reload
	;; [unrolled: 1-line block ×4, first 2 shown]
	s_waitcnt vmcnt(1)
	v_or_b32_e32 v1, v5, v1
	s_waitcnt vmcnt(0)
	v_or_b32_e32 v55, v6, v2
	buffer_load_dword v5, off, s[60:63], 0 offset:216 ; 4-byte Folded Reload
	buffer_load_dword v6, off, s[60:63], 0 offset:220 ; 4-byte Folded Reload
	;; [unrolled: 1-line block ×9, first 2 shown]
	v_mul_f32_e32 v1, s57, v1
	s_waitcnt vmcnt(6)
	v_or_b32_e32 v5, v7, v5
	s_waitcnt vmcnt(5)
	v_or_b32_e32 v2, v8, v6
	v_mul_f32_e32 v5, s57, v5
	s_waitcnt vmcnt(3)
	v_fmac_f32_e32 v39, v58, v5
	v_mul_f32_e32 v2, s57, v2
	s_waitcnt vmcnt(2)
	v_fmac_f32_e32 v43, v59, v2
	s_waitcnt vmcnt(1)
	v_fmac_f32_e32 v39, v60, v1
	v_mul_f32_e32 v1, s57, v3
	v_mul_f32_e32 v3, s57, v34
	;; [unrolled: 1-line block ×5, first 2 shown]
	s_waitcnt vmcnt(0)
	v_fmac_f32_e32 v43, v61, v34
	buffer_load_dword v34, off, s[60:63], 0 offset:364 ; 4-byte Folded Reload
	buffer_load_dword v35, off, s[60:63], 0 offset:368 ; 4-byte Folded Reload
	;; [unrolled: 1-line block ×4, first 2 shown]
	v_and_b32_e32 v6, 64, v57
	v_add_u32_e32 v6, 64, v6
	v_xor_b32_e32 v56, 1, v57
	v_mul_f32_e32 v2, s57, v4
	v_mul_f32_e32 v4, s57, v33
	;; [unrolled: 1-line block ×5, first 2 shown]
	v_cmp_lt_i32_e64 s[6:7], v56, v6
	v_mul_f32_e32 v6, s57, v31
	v_mul_f32_e32 v31, s57, v48
	;; [unrolled: 1-line block ×4, first 2 shown]
	v_cndmask_b32_e64 v17, v57, v56, s[6:7]
	v_lshlrev_b32_e32 v17, 2, v17
	s_waitcnt vmcnt(3)
	v_fmac_f32_e32 v39, v34, v33
	s_waitcnt vmcnt(2)
	v_fmac_f32_e32 v43, v35, v32
	s_waitcnt vmcnt(1)
	v_fmac_f32_e32 v39, v36, v31
	s_waitcnt vmcnt(0)
	v_fmac_f32_e32 v43, v37, v30
	buffer_load_dword v30, off, s[60:63], 0 offset:332 ; 4-byte Folded Reload
	buffer_load_dword v31, off, s[60:63], 0 offset:336 ; 4-byte Folded Reload
	buffer_load_dword v32, off, s[60:63], 0 offset:340 ; 4-byte Folded Reload
	buffer_load_dword v33, off, s[60:63], 0 offset:344 ; 4-byte Folded Reload
	s_waitcnt vmcnt(3)
	v_fmac_f32_e32 v39, v30, v29
	s_waitcnt vmcnt(2)
	v_fmac_f32_e32 v43, v31, v28
	s_waitcnt vmcnt(1)
	v_fmac_f32_e32 v39, v32, v27
	s_waitcnt vmcnt(0)
	v_fmac_f32_e32 v43, v33, v26
	buffer_load_dword v26, off, s[60:63], 0 offset:380 ; 4-byte Folded Reload
	buffer_load_dword v27, off, s[60:63], 0 offset:384 ; 4-byte Folded Reload
	buffer_load_dword v28, off, s[60:63], 0 offset:388 ; 4-byte Folded Reload
	buffer_load_dword v29, off, s[60:63], 0 offset:392 ; 4-byte Folded Reload
	;; [unrolled: 12-line block ×3, first 2 shown]
	s_waitcnt vmcnt(3)
	v_fmac_f32_e32 v39, v22, v21
	s_waitcnt vmcnt(2)
	v_fmac_f32_e32 v43, v23, v20
	;; [unrolled: 2-line block ×3, first 2 shown]
	ds_read2_b64 v[19:22], v44 offset0:25 offset1:26
	buffer_load_dword v23, off, s[60:63], 0 offset:324 ; 4-byte Folded Reload
	buffer_load_dword v24, off, s[60:63], 0 offset:328 ; 4-byte Folded Reload
	s_waitcnt vmcnt(2)
	v_fmac_f32_e32 v43, v25, v15
	s_waitcnt vmcnt(1)
	v_fmac_f32_e32 v39, v23, v14
	;; [unrolled: 2-line block ×3, first 2 shown]
	ds_read2_b64 v[23:26], v44 offset0:27 offset1:28
	s_waitcnt lgkmcnt(1)
	v_fmac_f32_e32 v39, v12, v19
	v_fmac_f32_e32 v43, v11, v20
	;; [unrolled: 1-line block ×4, first 2 shown]
	s_waitcnt lgkmcnt(0)
	v_fmac_f32_e32 v39, v8, v23
	ds_read2_b64 v[8:11], v44 offset0:29 offset1:30
	v_fmac_f32_e32 v43, v7, v24
	v_fmac_f32_e32 v39, v6, v25
	;; [unrolled: 1-line block ×3, first 2 shown]
	ds_read_b64 v[5:6], v44 offset:248
	s_waitcnt lgkmcnt(1)
	v_fmac_f32_e32 v39, v4, v8
	v_fmac_f32_e32 v43, v3, v9
	;; [unrolled: 1-line block ×4, first 2 shown]
	s_waitcnt lgkmcnt(0)
	v_fmac_f32_e32 v39, v18, v5
	v_fmac_f32_e32 v43, v16, v6
	v_add_f32_e32 v1, v39, v43
	ds_bpermute_b32 v2, v17, v1
	s_and_saveexec_b64 s[42:43], vcc
	s_cbranch_execz .LBB204_11
; %bb.403:                              ;   in Loop: Header=BB204_13 Depth=1
	buffer_load_dword v3, off, s[60:63], 0 offset:556 ; 4-byte Folded Reload
	buffer_load_dword v4, off, s[60:63], 0 offset:552 ; 4-byte Folded Reload
	s_waitcnt lgkmcnt(0)
	v_add_f32_e32 v1, v1, v2
	s_waitcnt vmcnt(1)
	v_add_u32_e32 v3, v3, v0
	v_cvt_f32_i32_e32 v3, v3
	v_mul_f32_e32 v2, s50, v3
	buffer_load_dword v3, off, s[60:63], 0 offset:536 ; 4-byte Folded Reload
	s_waitcnt vmcnt(1)
	v_add_u32_e32 v4, v4, v0
	v_cndmask_b32_e64 v2, 0, v2, s[4:5]
	v_fmac_f32_e32 v2, s39, v1
	v_cmp_gt_i32_e64 s[6:7], s25, v4
	v_cndmask_b32_e64 v1, 0, v2, s[6:7]
	ds_write_b32 v63, v1
	s_waitcnt vmcnt(0)
	v_max_f32_e32 v1, v3, v3
	v_max_f32_e32 v1, v1, v2
	v_cndmask_b32_e64 v3, v3, v1, s[6:7]
	buffer_store_dword v3, off, s[60:63], 0 offset:536 ; 4-byte Folded Spill
	s_branch .LBB204_11
.LBB204_404:
	s_or_b64 exec, exec, s[40:41]
	buffer_load_dword v11, off, s[60:63], 0 offset:560 ; 4-byte Folded Reload
	buffer_load_dword v12, off, s[60:63], 0 offset:564 ; 4-byte Folded Reload
	buffer_load_dword v3, off, s[60:63], 0 offset:536 ; 4-byte Folded Reload
	v_mbcnt_lo_u32_b32 v5, -1, 0
.LBB204_405:
	s_or_b64 exec, exec, s[18:19]
	v_mbcnt_hi_u32_b32 v0, -1, v5
	v_and_b32_e32 v6, 64, v0
	v_add_u32_e32 v7, 64, v6
	v_xor_b32_e32 v1, 32, v0
	v_cmp_lt_i32_e32 vcc, v1, v7
	v_cndmask_b32_e32 v1, v0, v1, vcc
	v_lshlrev_b32_e32 v1, 2, v1
	s_waitcnt vmcnt(0) lgkmcnt(0)
	ds_bpermute_b32 v2, v1, v3
	v_xor_b32_e32 v4, 16, v0
	v_max_f32_e32 v3, v3, v3
	v_cmp_lt_i32_e32 vcc, v4, v7
	v_xor_b32_e32 v5, 8, v0
	s_waitcnt lgkmcnt(0)
	v_max_f32_e32 v2, v2, v2
	v_max_f32_e32 v3, v3, v2
	v_cndmask_b32_e32 v2, v0, v4, vcc
	v_lshlrev_b32_e32 v2, 2, v2
	ds_bpermute_b32 v4, v2, v3
	v_cmp_lt_i32_e32 vcc, v5, v7
	v_xor_b32_e32 v8, 4, v0
	s_waitcnt lgkmcnt(0)
	v_max_f32_e32 v4, v4, v4
	v_max_f32_e32 v4, v3, v4
	v_cndmask_b32_e32 v3, v0, v5, vcc
	v_lshlrev_b32_e32 v3, 2, v3
	ds_bpermute_b32 v5, v3, v4
	v_cmp_lt_i32_e32 vcc, v8, v7
	s_waitcnt lgkmcnt(0)
	v_max_f32_e32 v5, v5, v5
	v_max_f32_e32 v4, v4, v5
	v_cndmask_b32_e32 v5, v0, v8, vcc
	v_lshlrev_b32_e32 v17, 2, v5
	ds_bpermute_b32 v5, v17, v4
	v_xor_b32_e32 v8, 2, v0
	v_cmp_lt_i32_e32 vcc, v8, v7
	s_waitcnt lgkmcnt(0)
	v_max_f32_e32 v5, v5, v5
	v_max_f32_e32 v5, v4, v5
	v_cndmask_b32_e32 v4, v0, v8, vcc
	v_lshlrev_b32_e32 v20, 2, v4
	buffer_load_dword v4, off, s[60:63], 0 offset:532 ; 4-byte Folded Reload
	ds_bpermute_b32 v8, v20, v5
	s_waitcnt vmcnt(0)
	v_and_b32_e32 v22, 63, v4
	buffer_load_dword v4, off, s[60:63], 0  ; 4-byte Folded Reload
	v_cmp_eq_u32_e32 vcc, 0, v22
	s_waitcnt vmcnt(0)
	v_lshlrev_b32_e32 v4, 2, v4
	s_and_saveexec_b64 s[4:5], vcc
	s_cbranch_execz .LBB204_407
; %bb.406:
	s_waitcnt lgkmcnt(0)
	v_max_f32_e32 v8, v8, v8
	v_max_f32_e32 v5, v5, v5
	v_max_f32_e32 v5, v5, v8
	ds_write_b32 v4, v5 offset:512
.LBB204_407:
	s_or_b64 exec, exec, s[4:5]
	v_cmp_gt_u32_e64 s[4:5], 2, v22
	s_waitcnt lgkmcnt(0)
	v_mov_b32_e32 v8, 0xff7fffff
	v_lshlrev_b32_e32 v5, 2, v22
	s_barrier
	s_and_saveexec_b64 s[6:7], s[4:5]
; %bb.408:
	ds_read_b32 v8, v5 offset:512
; %bb.409:
	s_or_b64 exec, exec, s[6:7]
	v_xor_b32_e32 v9, 1, v0
	v_cmp_lt_i32_e64 s[6:7], v9, v7
	v_cndmask_b32_e64 v7, v0, v9, s[6:7]
	v_lshlrev_b32_e32 v23, 2, v7
	s_waitcnt lgkmcnt(0)
	ds_bpermute_b32 v7, v23, v8
	v_max_f32_e32 v8, v8, v8
	v_lshlrev_b32_e32 v6, 2, v6
	s_lshl_b32 s6, s49, 5
	s_min_i32 s39, s6, s25
	s_waitcnt lgkmcnt(0)
	v_max_f32_e32 v7, v7, v7
	v_max_f32_e32 v7, v8, v7
	ds_bpermute_b32 v7, v6, v7
	buffer_load_dword v6, off, s[60:63], 0 offset:532 ; 4-byte Folded Reload
	s_waitcnt vmcnt(0)
	v_cmp_gt_i32_e64 s[6:7], s39, v6
	v_mov_b32_e32 v6, 0
	s_and_saveexec_b64 s[12:13], s[6:7]
	s_cbranch_execz .LBB204_413
; %bb.410:
	buffer_load_dword v9, off, s[60:63], 0 offset:532 ; 4-byte Folded Reload
	v_mov_b32_e32 v6, 0x210
	s_mov_b64 s[18:19], 0
	s_waitcnt vmcnt(0)
	v_lshl_add_u32 v8, v9, 2, v6
	v_mov_b32_e32 v6, 0
.LBB204_411:                            ; =>This Inner Loop Header: Depth=1
	ds_read_b32 v10, v8
	v_add_u32_e32 v9, 0x80, v9
	v_cmp_le_i32_e64 s[10:11], s39, v9
	s_or_b64 s[18:19], s[10:11], s[18:19]
	s_waitcnt lgkmcnt(0)
	v_sub_f32_e32 v10, v10, v7
	v_mul_f32_e32 v10, 0x3fb8aa3b, v10
	v_exp_f32_e32 v10, v10
	ds_write_b32 v8, v10
	v_add_f32_e32 v6, v6, v10
	v_add_u32_e32 v8, 0x200, v8
	s_andn2_b64 exec, exec, s[18:19]
	s_cbranch_execnz .LBB204_411
; %bb.412:
	s_or_b64 exec, exec, s[18:19]
.LBB204_413:
	s_or_b64 exec, exec, s[12:13]
	ds_bpermute_b32 v1, v1, v6
	s_waitcnt lgkmcnt(0)
	v_add_f32_e32 v1, v6, v1
	ds_bpermute_b32 v2, v2, v1
	s_waitcnt lgkmcnt(0)
	v_add_f32_e32 v1, v1, v2
	;; [unrolled: 3-line block ×6, first 2 shown]
	s_and_saveexec_b64 s[10:11], vcc
; %bb.414:
	ds_write_b32 v4, v1 offset:520
; %bb.415:
	s_or_b64 exec, exec, s[10:11]
	s_waitcnt lgkmcnt(0)
	s_barrier
	s_and_saveexec_b64 s[10:11], s[4:5]
; %bb.416:
	ds_read_b32 v1, v5 offset:520
; %bb.417:
	s_or_b64 exec, exec, s[10:11]
	s_waitcnt lgkmcnt(0)
	ds_bpermute_b32 v2, v23, v1
	v_lshlrev_b32_e32 v0, 2, v0
	v_and_b32_e32 v0, 0x100, v0
	s_waitcnt lgkmcnt(0)
	v_add_f32_e32 v1, v1, v2
	ds_bpermute_b32 v0, v0, v1
	s_and_saveexec_b64 s[4:5], s[6:7]
	s_cbranch_execz .LBB204_420
; %bb.418:
	s_waitcnt lgkmcnt(0)
	v_add_f32_e32 v1, 0x358637bd, v0
	v_div_scale_f32 v0, s[6:7], v1, v1, 1.0
	v_div_scale_f32 v2, vcc, 1.0, v1, 1.0
	s_mov_b64 s[6:7], 0
	v_rcp_f32_e32 v3, v0
	v_fma_f32 v4, -v0, v3, 1.0
	v_fmac_f32_e32 v3, v4, v3
	v_mul_f32_e32 v4, v2, v3
	v_fma_f32 v5, -v0, v4, v2
	v_fmac_f32_e32 v4, v5, v3
	v_fma_f32 v0, -v0, v4, v2
	v_div_fmas_f32 v2, v0, v3, v4
	buffer_load_dword v3, off, s[60:63], 0 offset:532 ; 4-byte Folded Reload
	v_mov_b32_e32 v0, 0x210
	v_div_fixup_f32 v1, v2, v1, 1.0
	s_waitcnt vmcnt(0)
	v_lshl_add_u32 v0, v3, 2, v0
	v_mov_b32_e32 v2, v3
.LBB204_419:                            ; =>This Inner Loop Header: Depth=1
	ds_read_b32 v3, v0
	v_add_u32_e32 v2, 0x80, v2
	v_cmp_le_i32_e32 vcc, s39, v2
	s_or_b64 s[6:7], vcc, s[6:7]
	s_waitcnt lgkmcnt(0)
	v_mul_f32_e32 v3, v1, v3
	ds_write_b32 v0, v3
	v_add_u32_e32 v0, 0x200, v0
	s_andn2_b64 exec, exec, s[6:7]
	s_cbranch_execnz .LBB204_419
.LBB204_420:
	s_or_b64 exec, exec, s[4:5]
	s_waitcnt lgkmcnt(0)
	v_mov_b32_e32 v0, 0
	s_barrier
	buffer_store_dword v0, off, s[60:63], 0 offset:248 ; 4-byte Folded Spill
	buffer_load_dword v0, off, s[60:63], 0 offset:532 ; 4-byte Folded Reload
	v_mov_b32_e32 v30, 0
	s_waitcnt vmcnt(0)
	v_and_b32_e32 v24, 7, v0
	v_mov_b32_e32 v0, 0
	buffer_store_dword v0, off, s[60:63], 0 offset:312 ; 4-byte Folded Spill
	v_mov_b32_e32 v0, 0
	buffer_store_dword v0, off, s[60:63], 0 offset:304 ; 4-byte Folded Spill
	;; [unrolled: 2-line block ×14, first 2 shown]
	s_and_saveexec_b64 s[4:5], s[2:3]
	s_cbranch_execz .LBB204_842
; %bb.421:
	s_sub_i32 s39, s16, s21
	s_ashr_i32 s2, s20, 31
	s_add_u32 s6, s36, s20
	s_addc_u32 s7, s37, s2
	s_abs_i32 s22, s22
	v_cvt_f32_u32_e32 v0, s22
	v_and_b32_e32 v1, 28, v11
	buffer_store_dword v23, off, s[60:63], 0 offset:428 ; 4-byte Folded Spill
	buffer_store_dword v20, off, s[60:63], 0 offset:412 ; 4-byte Folded Spill
	;; [unrolled: 1-line block ×5, first 2 shown]
	v_rcp_iflag_f32_e32 v0, v0
	v_and_b32_e32 v1, 0xfc, v11
	buffer_store_dword v1, off, s[60:63], 0 offset:364 ; 4-byte Folded Spill
	v_or_b32_e32 v1, 0xf00, v11
	v_mul_f32_e32 v0, 0x4f7ffffe, v0
	v_cvt_u32_f32_e32 v0, v0
	s_sub_i32 s2, 0, s22
	buffer_store_dword v1, off, s[60:63], 0 offset:348 ; 4-byte Folded Spill
	s_add_i32 s37, s49, -1
	v_mul_lo_u32 v1, s2, v0
	s_lshl_b64 s[2:3], s[34:35], 2
	v_mov_b32_e32 v5, 0
	s_add_u32 s2, s30, s2
	v_mul_hi_u32 v1, v0, v1
	v_and_b32_e32 v2, 60, v12
	s_addc_u32 s3, s31, s3
	v_mov_b32_e32 v3, s3
	v_add_u32_e32 v0, v0, v1
	buffer_load_dword v1, off, s[60:63], 0  ; 4-byte Folded Reload
	v_add_co_u32_e32 v7, vcc, s2, v2
	buffer_store_dword v0, off, s[60:63], 0 offset:324 ; 4-byte Folded Spill
	v_lshlrev_b32_e32 v0, 4, v24
	buffer_store_dword v24, off, s[60:63], 0 offset:444 ; 4-byte Folded Spill
	v_addc_co_u32_e32 v8, vcc, 0, v3, vcc
	s_mov_b32 s36, s17
	s_mov_b64 s[10:11], 0
	s_movk_i32 s30, 0x80
	s_movk_i32 s31, 0x7f
	s_brev_b32 s34, 1
	s_mov_b32 s35, 0xffffff
	v_bfrev_b32_e32 v6, 1
	v_mov_b32_e32 v10, 0x7f800001
	v_mov_b32_e32 v30, v5
	s_waitcnt vmcnt(2)
	v_lshl_or_b32 v0, v1, 7, v0
	v_add_u32_e32 v48, 0x210, v0
	v_mov_b32_e32 v0, v5
	buffer_store_dword v0, off, s[60:63], 0 offset:256 ; 4-byte Folded Spill
	buffer_store_dword v0, off, s[60:63], 0 offset:200 ; 4-byte Folded Spill
	;; [unrolled: 1-line block ×15, first 2 shown]
	buffer_load_dword v3, off, s[60:63], 0 offset:4 ; 4-byte Folded Reload
	s_branch .LBB204_424
.LBB204_422:                            ;   in Loop: Header=BB204_424 Depth=1
	s_or_b64 exec, exec, s[2:3]
	buffer_load_dword v0, off, s[60:63], 0 offset:256 ; 4-byte Folded Reload
	buffer_load_dword v15, off, s[60:63], 0 offset:200 ; 4-byte Folded Reload
	v_mul_f32_e32 v14, v1, v28
	v_fmac_f32_e32 v14, v2, v26
	v_fmac_f32_e32 v14, v3, v21
	;; [unrolled: 1-line block ×3, first 2 shown]
	s_waitcnt vmcnt(1)
	v_add_f32_e32 v0, v0, v14
	buffer_store_dword v0, off, s[60:63], 0 offset:256 ; 4-byte Folded Spill
	buffer_load_dword v0, off, s[60:63], 0 offset:192 ; 4-byte Folded Reload
	v_mul_f32_e32 v14, v1, v25
	s_waitcnt vmcnt(0)
	v_fmac_f32_e32 v14, v2, v0
	buffer_load_dword v0, off, s[60:63], 0 offset:184 ; 4-byte Folded Reload
	s_waitcnt vmcnt(0)
	v_fmac_f32_e32 v14, v3, v0
	buffer_load_dword v0, off, s[60:63], 0 offset:176 ; 4-byte Folded Reload
	;; [unrolled: 3-line block ×3, first 2 shown]
	v_add_f32_e32 v15, v15, v14
	buffer_store_dword v15, off, s[60:63], 0 offset:200 ; 4-byte Folded Spill
	s_waitcnt vmcnt(1)
	v_mul_f32_e32 v14, v1, v0
	buffer_load_dword v0, off, s[60:63], 0 offset:152 ; 4-byte Folded Reload
	s_waitcnt vmcnt(0)
	v_fmac_f32_e32 v14, v2, v0
	buffer_load_dword v0, off, s[60:63], 0 offset:168 ; 4-byte Folded Reload
	s_waitcnt vmcnt(0)
	v_fmac_f32_e32 v14, v3, v0
	;; [unrolled: 3-line block ×3, first 2 shown]
	buffer_load_dword v0, off, s[60:63], 0 offset:264 ; 4-byte Folded Reload
	s_waitcnt vmcnt(0)
	v_add_f32_e32 v0, v0, v14
	buffer_store_dword v0, off, s[60:63], 0 offset:264 ; 4-byte Folded Spill
	buffer_load_dword v0, off, s[60:63], 0 offset:136 ; 4-byte Folded Reload
	s_waitcnt vmcnt(0)
	v_mul_f32_e32 v14, v1, v0
	buffer_load_dword v0, off, s[60:63], 0 offset:128 ; 4-byte Folded Reload
	v_fmac_f32_e32 v14, v2, v24
	s_waitcnt vmcnt(0)
	v_fmac_f32_e32 v14, v3, v0
	buffer_load_dword v0, off, s[60:63], 0 offset:120 ; 4-byte Folded Reload
	s_waitcnt vmcnt(0)
	v_fmac_f32_e32 v14, v4, v0
	buffer_load_dword v0, off, s[60:63], 0 offset:208 ; 4-byte Folded Reload
	s_waitcnt vmcnt(0)
	v_add_f32_e32 v0, v0, v14
	buffer_store_dword v0, off, s[60:63], 0 offset:208 ; 4-byte Folded Spill
	buffer_load_dword v0, off, s[60:63], 0 offset:112 ; 4-byte Folded Reload
	s_nop 0
	buffer_load_dword v14, off, s[60:63], 0 offset:88 ; 4-byte Folded Reload
	s_waitcnt vmcnt(1)
	v_mul_f32_e32 v0, v1, v0
	s_waitcnt vmcnt(0)
	v_fmac_f32_e32 v0, v2, v14
	buffer_load_dword v14, off, s[60:63], 0 offset:104 ; 4-byte Folded Reload
	s_waitcnt vmcnt(0)
	v_fmac_f32_e32 v0, v3, v14
	buffer_load_dword v14, off, s[60:63], 0 offset:96 ; 4-byte Folded Reload
	s_waitcnt vmcnt(0)
	v_fmac_f32_e32 v0, v4, v14
	buffer_load_dword v14, off, s[60:63], 0 offset:272 ; 4-byte Folded Reload
	s_waitcnt vmcnt(0)
	v_add_f32_e32 v14, v14, v0
	buffer_load_dword v0, off, s[60:63], 0 offset:80 ; 4-byte Folded Reload
	s_nop 0
	buffer_store_dword v14, off, s[60:63], 0 offset:272 ; 4-byte Folded Spill
	buffer_load_dword v14, off, s[60:63], 0 offset:56 ; 4-byte Folded Reload
	s_waitcnt vmcnt(2)
	v_mul_f32_e32 v0, v1, v0
	s_waitcnt vmcnt(0)
	v_fmac_f32_e32 v0, v2, v14
	buffer_load_dword v14, off, s[60:63], 0 offset:72 ; 4-byte Folded Reload
	s_waitcnt vmcnt(0)
	v_fmac_f32_e32 v0, v3, v14
	buffer_load_dword v14, off, s[60:63], 0 offset:64 ; 4-byte Folded Reload
	s_waitcnt vmcnt(0)
	v_fmac_f32_e32 v0, v4, v14
	buffer_load_dword v14, off, s[60:63], 0 offset:216 ; 4-byte Folded Reload
	s_waitcnt vmcnt(0)
	v_add_f32_e32 v14, v14, v0
	buffer_load_dword v0, off, s[60:63], 0 offset:48 ; 4-byte Folded Reload
	s_nop 0
	buffer_store_dword v14, off, s[60:63], 0 offset:216 ; 4-byte Folded Spill
	buffer_load_dword v14, off, s[60:63], 0 offset:24 ; 4-byte Folded Reload
	s_waitcnt vmcnt(2)
	v_mul_f32_e32 v0, v1, v0
	s_waitcnt vmcnt(0)
	v_fmac_f32_e32 v0, v2, v14
	buffer_load_dword v14, off, s[60:63], 0 offset:40 ; 4-byte Folded Reload
	s_waitcnt vmcnt(0)
	v_fmac_f32_e32 v0, v3, v14
	buffer_load_dword v14, off, s[60:63], 0 offset:32 ; 4-byte Folded Reload
	s_waitcnt vmcnt(0)
	v_fmac_f32_e32 v0, v4, v14
	buffer_load_dword v14, off, s[60:63], 0 offset:280 ; 4-byte Folded Reload
	s_waitcnt vmcnt(0)
	v_add_f32_e32 v14, v14, v0
	buffer_load_dword v0, off, s[60:63], 0 offset:16 ; 4-byte Folded Reload
	s_nop 0
	buffer_store_dword v14, off, s[60:63], 0 offset:280 ; 4-byte Folded Spill
	buffer_load_dword v14, off, s[60:63], 0 offset:224 ; 4-byte Folded Reload
	s_waitcnt vmcnt(2)
	v_mul_f32_e32 v0, v1, v0
	v_fmac_f32_e32 v0, v2, v47
	v_fmac_f32_e32 v0, v3, v29
	v_fmac_f32_e32 v0, v4, v55
	s_waitcnt vmcnt(0)
	v_add_f32_e32 v14, v14, v0
	buffer_store_dword v14, off, s[60:63], 0 offset:224 ; 4-byte Folded Spill
	buffer_load_dword v14, off, s[60:63], 0 offset:288 ; 4-byte Folded Reload
	v_mul_f32_e32 v0, v1, v50
	v_fmac_f32_e32 v0, v2, v49
	v_fmac_f32_e32 v0, v3, v46
	v_fmac_f32_e32 v0, v4, v45
	s_waitcnt vmcnt(0)
	v_add_f32_e32 v14, v14, v0
	buffer_store_dword v14, off, s[60:63], 0 offset:288 ; 4-byte Folded Spill
	buffer_load_dword v14, off, s[60:63], 0 offset:232 ; 4-byte Folded Reload
	;; [unrolled: 8-line block ×6, first 2 shown]
	v_mul_f32_e32 v0, v1, v40
	v_fmac_f32_e32 v0, v2, v34
	v_fmac_f32_e32 v0, v3, v38
	;; [unrolled: 1-line block ×3, first 2 shown]
	s_waitcnt vmcnt(0)
	v_add_f32_e32 v14, v14, v0
	buffer_load_dword v0, off, s[60:63], 0 offset:8 ; 4-byte Folded Reload
	s_nop 0
	buffer_store_dword v14, off, s[60:63], 0 offset:312 ; 4-byte Folded Spill
	buffer_load_dword v14, off, s[60:63], 0 offset:248 ; 4-byte Folded Reload
	s_waitcnt vmcnt(2)
	v_mul_f32_e32 v0, v1, v0
	v_fmac_f32_e32 v0, v2, v31
	v_fmac_f32_e32 v0, v3, v57
	v_fmac_f32_e32 v0, v4, v54
	s_waitcnt vmcnt(0)
	v_add_f32_e32 v14, v14, v0
	v_mul_f32_e32 v0, v1, v13
	v_fmac_f32_e32 v0, v2, v9
	v_fmac_f32_e32 v0, v3, v12
	;; [unrolled: 1-line block ×3, first 2 shown]
	v_add_f32_e32 v30, v30, v0
	buffer_store_dword v14, off, s[60:63], 0 offset:248 ; 4-byte Folded Spill
.LBB204_423:                            ;   in Loop: Header=BB204_424 Depth=1
	s_or_b64 exec, exec, s[12:13]
	buffer_load_dword v0, off, s[60:63], 0  ; 4-byte Folded Reload
	buffer_load_dword v3, off, s[60:63], 0 offset:4 ; 4-byte Folded Reload
	v_add_co_u32_e32 v7, vcc, 8, v7
	v_addc_co_u32_e32 v8, vcc, 0, v8, vcc
	v_add_u32_e32 v48, 0x100, v48
	s_waitcnt vmcnt(1)
	v_add_u32_e32 v0, 2, v0
	v_cmp_le_i32_e32 vcc, s49, v0
	s_waitcnt vmcnt(0)
	v_add_u32_e32 v3, 64, v3
	s_or_b64 s[10:11], vcc, s[10:11]
	buffer_store_dword v0, off, s[60:63], 0 ; 4-byte Folded Spill
	s_andn2_b64 exec, exec, s[10:11]
	s_cbranch_execz .LBB204_841
.LBB204_424:                            ; =>This Inner Loop Header: Depth=1
	s_waitcnt vmcnt(0)
	v_mul_hi_u32 v0, v3, s33
	buffer_store_dword v3, off, s[60:63], 0 offset:4 ; 4-byte Folded Spill
	v_mul_lo_u32 v1, v0, s27
	v_add_u32_e32 v2, 1, v0
	v_sub_u32_e32 v1, v3, v1
	buffer_load_dword v3, off, s[60:63], 0 offset:324 ; 4-byte Folded Reload
	v_cmp_le_u32_e32 vcc, s27, v1
	v_cndmask_b32_e32 v0, v0, v2, vcc
	v_subrev_u32_e32 v2, s27, v1
	v_cndmask_b32_e32 v1, v1, v2, vcc
	v_add_u32_e32 v2, 1, v0
	v_cmp_le_u32_e32 vcc, s27, v1
	v_cndmask_b32_e32 v0, v0, v2, vcc
	v_xor_b32_e32 v0, s48, v0
	v_subrev_u32_e32 v0, s48, v0
	v_add_u32_e32 v1, s38, v0
	v_sub_u32_e32 v2, 0, v1
	v_max_i32_e32 v2, v1, v2
	v_ashrrev_i32_e32 v1, 31, v1
	v_cmp_lt_i32_e64 s[2:3], s39, v0
	s_waitcnt vmcnt(0)
	v_mul_hi_u32 v3, v2, v3
	v_mul_lo_u32 v3, v3, s22
	v_sub_u32_e32 v2, v2, v3
	v_subrev_u32_e32 v3, s22, v2
	v_cmp_le_u32_e32 vcc, s22, v2
	v_cndmask_b32_e32 v2, v2, v3, vcc
	v_subrev_u32_e32 v3, s22, v2
	v_cmp_le_u32_e32 vcc, s22, v2
	v_cndmask_b32_e32 v2, v2, v3, vcc
	v_xor_b32_e32 v2, v2, v1
	v_sub_u32_e32 v1, v2, v1
	v_cmp_eq_u32_e32 vcc, 0, v1
	s_or_b64 s[2:3], vcc, s[2:3]
	s_and_saveexec_b64 s[12:13], s[2:3]
	s_cbranch_execz .LBB204_423
; %bb.425:                              ;   in Loop: Header=BB204_424 Depth=1
	global_load_dword v2, v[7:8], off
	v_mov_b32_e32 v0, s6
	v_mov_b32_e32 v1, s7
	s_load_dword s40, s[14:15], 0x0
	v_mov_b32_e32 v18, 0
	v_mov_b32_e32 v16, 0
	;; [unrolled: 1-line block ×4, first 2 shown]
	s_waitcnt vmcnt(0)
	v_mad_i64_i32 v[11:12], s[2:3], v2, s36, v[0:1]
	buffer_load_dword v0, off, s[60:63], 0 offset:364 ; 4-byte Folded Reload
	ds_read_b128 v[1:4], v48
	s_waitcnt vmcnt(0)
	v_add_co_u32_e32 v13, vcc, v11, v0
	v_addc_co_u32_e32 v14, vcc, 0, v12, vcc
	global_load_dword v15, v[13:14], off
	s_waitcnt vmcnt(0)
	v_cmp_ne_u16_sdwa s[16:17], v15, v5 src0_sel:BYTE_0 src1_sel:DWORD
	s_and_saveexec_b64 s[2:3], s[16:17]
	s_cbranch_execz .LBB204_431
; %bb.426:                              ;   in Loop: Header=BB204_424 Depth=1
	v_bfrev_b32_e32 v16, 1
	v_mov_b32_e32 v17, 0
	v_cmp_ne_u16_sdwa s[18:19], v15, s30 src0_sel:BYTE_0 src1_sel:DWORD
	s_and_saveexec_b64 s[16:17], s[18:19]
	s_cbranch_execz .LBB204_430
; %bb.427:                              ;   in Loop: Header=BB204_424 Depth=1
	v_and_b32_e32 v0, 0x7f, v15
	v_mov_b32_e32 v16, 0x7f800001
	v_mov_b32_e32 v17, 0
	v_cmp_ne_u32_e32 vcc, s31, v0
	s_and_saveexec_b64 s[18:19], vcc
	s_cbranch_execz .LBB204_429
; %bb.428:                              ;   in Loop: Header=BB204_424 Depth=1
	v_and_b32_e32 v9, 7, v15
	v_ffbh_u32_e32 v16, v9
	v_min_u32_e32 v21, 32, v16
	v_subrev_u32_e32 v16, 28, v21
	v_lshlrev_b64 v[16:17], v16, v[15:16]
	v_lshrrev_b32_e32 v20, 3, v0
	v_sub_u32_e32 v17, 29, v21
	v_and_b32_e32 v16, 7, v16
	v_cmp_gt_u32_e32 vcc, 8, v0
	v_cndmask_b32_e32 v0, v20, v17, vcc
	v_cndmask_b32_e32 v9, v9, v16, vcc
	v_bfrev_b32_e32 v17, 60
	v_lshlrev_b32_e32 v9, 20, v9
	v_and_b32_sdwa v16, sext(v15), s34 dst_sel:DWORD dst_unused:UNUSED_PAD src0_sel:BYTE_0 src1_sel:DWORD
	v_lshl_add_u32 v0, v0, 23, v17
	v_or3_b32 v16, v16, v0, v9
	v_mov_b32_e32 v17, v5
.LBB204_429:                            ;   in Loop: Header=BB204_424 Depth=1
	s_or_b64 exec, exec, s[18:19]
.LBB204_430:                            ;   in Loop: Header=BB204_424 Depth=1
	s_or_b64 exec, exec, s[16:17]
.LBB204_431:                            ;   in Loop: Header=BB204_424 Depth=1
	s_or_b64 exec, exec, s[2:3]
	v_cmp_ne_u16_sdwa s[16:17], v15, v5 src0_sel:BYTE_1 src1_sel:DWORD
	s_and_saveexec_b64 s[2:3], s[16:17]
	s_cbranch_execz .LBB204_437
; %bb.432:                              ;   in Loop: Header=BB204_424 Depth=1
	v_mov_b32_e32 v19, v6
	v_cmp_ne_u16_sdwa s[18:19], v15, s30 src0_sel:BYTE_1 src1_sel:DWORD
	v_mov_b32_e32 v18, v5
	s_and_saveexec_b64 s[16:17], s[18:19]
	s_cbranch_execz .LBB204_436
; %bb.433:                              ;   in Loop: Header=BB204_424 Depth=1
	v_and_b32_sdwa v0, v15, s31 dst_sel:DWORD dst_unused:UNUSED_PAD src0_sel:BYTE_1 src1_sel:DWORD
	v_mov_b32_e32 v9, v5
	v_mov_b32_e32 v19, v10
	v_cmp_ne_u32_e32 vcc, s31, v0
	v_mov_b32_e32 v18, v9
	s_and_saveexec_b64 s[18:19], vcc
	s_cbranch_execz .LBB204_435
; %bb.434:                              ;   in Loop: Header=BB204_424 Depth=1
	v_mov_b32_e32 v9, 7
	v_and_b32_sdwa v18, v15, v9 dst_sel:DWORD dst_unused:UNUSED_PAD src0_sel:BYTE_1 src1_sel:DWORD
	v_ffbh_u32_e32 v20, v18
	v_min_u32_e32 v21, 32, v20
	v_mov_b32_e32 v19, v5
	v_subrev_u32_e32 v20, 28, v21
	v_lshlrev_b64 v[19:20], v20, v[18:19]
	v_lshrrev_b32_e32 v9, 3, v0
	v_sub_u32_e32 v20, 29, v21
	v_and_b32_e32 v19, 7, v19
	v_cmp_gt_u32_e32 vcc, 8, v0
	v_cndmask_b32_e32 v0, v9, v20, vcc
	v_cndmask_b32_e32 v9, v18, v19, vcc
	v_bfrev_b32_e32 v19, 60
	v_lshlrev_b32_e32 v18, 16, v15
	v_lshl_add_u32 v0, v0, 23, v19
	v_and_or_b32 v0, v18, s34, v0
	v_lshlrev_b32_e32 v9, 20, v9
	v_or_b32_e32 v19, v0, v9
	v_mov_b32_e32 v18, v5
.LBB204_435:                            ;   in Loop: Header=BB204_424 Depth=1
	s_or_b64 exec, exec, s[18:19]
.LBB204_436:                            ;   in Loop: Header=BB204_424 Depth=1
	s_or_b64 exec, exec, s[16:17]
.LBB204_437:                            ;   in Loop: Header=BB204_424 Depth=1
	s_or_b64 exec, exec, s[2:3]
	v_lshrrev_b32_e32 v9, 16, v15
	v_mov_b32_e32 v22, 0
	v_mov_b32_e32 v20, 0
	;; [unrolled: 1-line block ×4, first 2 shown]
	v_cmp_ne_u16_sdwa s[16:17], v9, v5 src0_sel:BYTE_0 src1_sel:DWORD
	s_and_saveexec_b64 s[2:3], s[16:17]
	s_cbranch_execz .LBB204_443
; %bb.438:                              ;   in Loop: Header=BB204_424 Depth=1
	v_bfrev_b32_e32 v20, 1
	v_mov_b32_e32 v21, 0
	v_cmp_ne_u16_sdwa s[18:19], v9, s30 src0_sel:BYTE_0 src1_sel:DWORD
	s_and_saveexec_b64 s[16:17], s[18:19]
	s_cbranch_execz .LBB204_442
; %bb.439:                              ;   in Loop: Header=BB204_424 Depth=1
	v_bfe_u32 v0, v15, 16, 7
	v_mov_b32_e32 v20, 0x7f800001
	v_mov_b32_e32 v21, 0
	v_cmp_ne_u32_e32 vcc, s31, v0
	s_and_saveexec_b64 s[18:19], vcc
	s_cbranch_execz .LBB204_441
; %bb.440:                              ;   in Loop: Header=BB204_424 Depth=1
	v_and_b32_e32 v24, 7, v9
	v_ffbh_u32_e32 v20, v24
	v_min_u32_e32 v26, 32, v20
	v_subrev_u32_e32 v20, 28, v26
	v_lshlrev_b64 v[20:21], v20, v[9:10]
	v_lshrrev_b32_e32 v25, 3, v0
	v_sub_u32_e32 v21, 29, v26
	v_and_b32_e32 v20, 7, v20
	v_cmp_gt_u32_e32 vcc, 8, v0
	v_cndmask_b32_e32 v0, v25, v21, vcc
	v_cndmask_b32_e32 v20, v24, v20, vcc
	v_bfrev_b32_e32 v21, 60
	v_lshlrev_b32_e32 v20, 20, v20
	v_and_b32_sdwa v9, sext(v9), s34 dst_sel:DWORD dst_unused:UNUSED_PAD src0_sel:BYTE_0 src1_sel:DWORD
	v_lshl_add_u32 v0, v0, 23, v21
	v_or3_b32 v20, v9, v0, v20
	v_mov_b32_e32 v21, v5
.LBB204_441:                            ;   in Loop: Header=BB204_424 Depth=1
	s_or_b64 exec, exec, s[18:19]
.LBB204_442:                            ;   in Loop: Header=BB204_424 Depth=1
	s_or_b64 exec, exec, s[16:17]
.LBB204_443:                            ;   in Loop: Header=BB204_424 Depth=1
	s_or_b64 exec, exec, s[2:3]
	v_cmp_lt_u32_e32 vcc, s35, v15
	s_and_saveexec_b64 s[2:3], vcc
	s_cbranch_execz .LBB204_449
; %bb.444:                              ;   in Loop: Header=BB204_424 Depth=1
	v_mov_b32_e32 v23, v6
	v_cmp_ne_u32_sdwa s[18:19], v15, s30 src0_sel:BYTE_3 src1_sel:DWORD
	v_mov_b32_e32 v22, v5
	s_and_saveexec_b64 s[16:17], s[18:19]
	s_cbranch_execz .LBB204_448
; %bb.445:                              ;   in Loop: Header=BB204_424 Depth=1
	v_bfe_u32 v0, v15, 24, 7
	v_mov_b32_e32 v9, v5
	v_mov_b32_e32 v23, v10
	v_cmp_ne_u32_e32 vcc, s31, v0
	v_mov_b32_e32 v22, v9
	s_and_saveexec_b64 s[18:19], vcc
	s_cbranch_execz .LBB204_447
; %bb.446:                              ;   in Loop: Header=BB204_424 Depth=1
	v_mov_b32_e32 v9, 7
	v_and_b32_sdwa v22, v15, v9 dst_sel:DWORD dst_unused:UNUSED_PAD src0_sel:BYTE_3 src1_sel:DWORD
	v_ffbh_u32_e32 v24, v22
	v_min_u32_e32 v25, 32, v24
	v_mov_b32_e32 v23, v5
	v_subrev_u32_e32 v24, 28, v25
	v_lshlrev_b64 v[23:24], v24, v[22:23]
	v_lshrrev_b32_e32 v9, 3, v0
	v_sub_u32_e32 v24, 29, v25
	v_and_b32_e32 v23, 7, v23
	v_cmp_gt_u32_e32 vcc, 8, v0
	v_cndmask_b32_e32 v0, v9, v24, vcc
	v_cndmask_b32_e32 v9, v22, v23, vcc
	v_mov_b32_e32 v22, 24
	v_lshlrev_b32_sdwa v15, v22, v15 dst_sel:DWORD dst_unused:UNUSED_PAD src0_sel:DWORD src1_sel:BYTE_3
	v_bfrev_b32_e32 v22, 60
	v_lshl_add_u32 v0, v0, 23, v22
	v_and_or_b32 v0, v15, s34, v0
	v_lshlrev_b32_e32 v9, 20, v9
	v_or_b32_e32 v23, v0, v9
	v_mov_b32_e32 v22, v5
.LBB204_447:                            ;   in Loop: Header=BB204_424 Depth=1
	s_or_b64 exec, exec, s[18:19]
.LBB204_448:                            ;   in Loop: Header=BB204_424 Depth=1
	s_or_b64 exec, exec, s[16:17]
.LBB204_449:                            ;   in Loop: Header=BB204_424 Depth=1
	s_or_b64 exec, exec, s[2:3]
	buffer_load_dword v0, off, s[60:63], 0 offset:4 ; 4-byte Folded Reload
	buffer_load_dword v9, off, s[60:63], 0 offset:332 ; 4-byte Folded Reload
	s_waitcnt vmcnt(0)
	v_add_u32_e32 v60, v9, v0
	buffer_load_dword v0, off, s[60:63], 0  ; 4-byte Folded Reload
	v_or_b32_e32 v9, v18, v16
	v_add_u32_e32 v27, 1, v60
	v_add_u32_e32 v56, 2, v60
	;; [unrolled: 1-line block ×3, first 2 shown]
	s_waitcnt vmcnt(0)
	v_cmp_eq_u32_e32 vcc, s37, v0
	v_or_b32_e32 v0, v19, v17
	s_waitcnt lgkmcnt(0)
	v_mul_f32_e32 v31, s40, v0
	v_mul_f32_e32 v0, s40, v9
	buffer_store_dword v0, off, s[60:63], 0 offset:8 ; 4-byte Folded Spill
	v_or_b32_e32 v0, v23, v21
	v_or_b32_e32 v9, v22, v20
	v_mul_f32_e32 v57, s40, v9
	v_mul_f32_e32 v54, s40, v0
	s_and_saveexec_b64 s[16:17], vcc
	s_cbranch_execz .LBB204_451
; %bb.450:                              ;   in Loop: Header=BB204_424 Depth=1
	buffer_load_dword v0, off, s[60:63], 0 offset:8 ; 4-byte Folded Reload
	v_cmp_gt_i32_e64 s[2:3], s25, v60
	s_waitcnt vmcnt(0)
	v_cndmask_b32_e64 v0, 0, v0, s[2:3]
	v_cmp_gt_i32_e64 s[2:3], s25, v27
	v_cndmask_b32_e64 v31, 0, v31, s[2:3]
	v_cmp_gt_i32_e64 s[2:3], s25, v56
	;; [unrolled: 2-line block ×3, first 2 shown]
	v_cndmask_b32_e64 v54, 0, v54, s[2:3]
	buffer_store_dword v0, off, s[60:63], 0 offset:8 ; 4-byte Folded Spill
.LBB204_451:                            ;   in Loop: Header=BB204_424 Depth=1
	s_or_b64 exec, exec, s[16:17]
	global_load_dword v15, v[13:14], off offset:256
	v_mov_b32_e32 v18, 0
	v_mov_b32_e32 v16, 0
	;; [unrolled: 1-line block ×4, first 2 shown]
	s_waitcnt vmcnt(0)
	v_cmp_ne_u16_sdwa s[2:3], v15, v5 src0_sel:BYTE_0 src1_sel:DWORD
	s_and_saveexec_b64 s[16:17], s[2:3]
	s_cbranch_execz .LBB204_457
; %bb.452:                              ;   in Loop: Header=BB204_424 Depth=1
	v_bfrev_b32_e32 v16, 1
	v_mov_b32_e32 v17, 0
	v_cmp_ne_u16_sdwa s[2:3], v15, s30 src0_sel:BYTE_0 src1_sel:DWORD
	s_and_saveexec_b64 s[18:19], s[2:3]
	s_cbranch_execz .LBB204_456
; %bb.453:                              ;   in Loop: Header=BB204_424 Depth=1
	v_and_b32_e32 v0, 0x7f, v15
	v_mov_b32_e32 v16, 0x7f800001
	v_mov_b32_e32 v17, 0
	v_cmp_ne_u32_e64 s[2:3], s31, v0
	s_and_saveexec_b64 s[20:21], s[2:3]
	s_cbranch_execz .LBB204_455
; %bb.454:                              ;   in Loop: Header=BB204_424 Depth=1
	v_and_b32_e32 v9, 7, v15
	v_ffbh_u32_e32 v16, v9
	v_min_u32_e32 v21, 32, v16
	v_subrev_u32_e32 v16, 28, v21
	v_lshlrev_b64 v[16:17], v16, v[15:16]
	v_lshrrev_b32_e32 v20, 3, v0
	v_sub_u32_e32 v17, 29, v21
	v_and_b32_e32 v16, 7, v16
	v_cmp_gt_u32_e64 s[2:3], 8, v0
	v_cndmask_b32_e64 v0, v20, v17, s[2:3]
	v_cndmask_b32_e64 v9, v9, v16, s[2:3]
	v_bfrev_b32_e32 v17, 60
	v_lshlrev_b32_e32 v9, 20, v9
	v_and_b32_sdwa v16, sext(v15), s34 dst_sel:DWORD dst_unused:UNUSED_PAD src0_sel:BYTE_0 src1_sel:DWORD
	v_lshl_add_u32 v0, v0, 23, v17
	v_or3_b32 v16, v16, v0, v9
	v_mov_b32_e32 v17, v5
.LBB204_455:                            ;   in Loop: Header=BB204_424 Depth=1
	s_or_b64 exec, exec, s[20:21]
.LBB204_456:                            ;   in Loop: Header=BB204_424 Depth=1
	s_or_b64 exec, exec, s[18:19]
.LBB204_457:                            ;   in Loop: Header=BB204_424 Depth=1
	s_or_b64 exec, exec, s[16:17]
	v_cmp_ne_u16_sdwa s[2:3], v15, v5 src0_sel:BYTE_1 src1_sel:DWORD
	s_and_saveexec_b64 s[16:17], s[2:3]
	s_cbranch_execz .LBB204_463
; %bb.458:                              ;   in Loop: Header=BB204_424 Depth=1
	v_mov_b32_e32 v19, v6
	v_cmp_ne_u16_sdwa s[2:3], v15, s30 src0_sel:BYTE_1 src1_sel:DWORD
	v_mov_b32_e32 v18, v5
	s_and_saveexec_b64 s[18:19], s[2:3]
	s_cbranch_execz .LBB204_462
; %bb.459:                              ;   in Loop: Header=BB204_424 Depth=1
	v_and_b32_sdwa v0, v15, s31 dst_sel:DWORD dst_unused:UNUSED_PAD src0_sel:BYTE_1 src1_sel:DWORD
	v_mov_b32_e32 v9, v5
	v_mov_b32_e32 v19, v10
	v_cmp_ne_u32_e64 s[2:3], s31, v0
	v_mov_b32_e32 v18, v9
	s_and_saveexec_b64 s[20:21], s[2:3]
	s_cbranch_execz .LBB204_461
; %bb.460:                              ;   in Loop: Header=BB204_424 Depth=1
	v_mov_b32_e32 v9, 7
	v_and_b32_sdwa v18, v15, v9 dst_sel:DWORD dst_unused:UNUSED_PAD src0_sel:BYTE_1 src1_sel:DWORD
	v_ffbh_u32_e32 v20, v18
	v_min_u32_e32 v21, 32, v20
	v_mov_b32_e32 v19, v5
	v_subrev_u32_e32 v20, 28, v21
	v_lshlrev_b64 v[19:20], v20, v[18:19]
	v_lshrrev_b32_e32 v9, 3, v0
	v_sub_u32_e32 v20, 29, v21
	v_and_b32_e32 v19, 7, v19
	v_cmp_gt_u32_e64 s[2:3], 8, v0
	v_cndmask_b32_e64 v0, v9, v20, s[2:3]
	v_cndmask_b32_e64 v9, v18, v19, s[2:3]
	v_bfrev_b32_e32 v19, 60
	v_lshlrev_b32_e32 v18, 16, v15
	v_lshl_add_u32 v0, v0, 23, v19
	v_and_or_b32 v0, v18, s34, v0
	v_lshlrev_b32_e32 v9, 20, v9
	v_or_b32_e32 v19, v0, v9
	v_mov_b32_e32 v18, v5
.LBB204_461:                            ;   in Loop: Header=BB204_424 Depth=1
	s_or_b64 exec, exec, s[20:21]
.LBB204_462:                            ;   in Loop: Header=BB204_424 Depth=1
	s_or_b64 exec, exec, s[18:19]
.LBB204_463:                            ;   in Loop: Header=BB204_424 Depth=1
	s_or_b64 exec, exec, s[16:17]
	v_lshrrev_b32_e32 v9, 16, v15
	v_mov_b32_e32 v22, 0
	v_mov_b32_e32 v20, 0
	;; [unrolled: 1-line block ×4, first 2 shown]
	v_cmp_ne_u16_sdwa s[2:3], v9, v5 src0_sel:BYTE_0 src1_sel:DWORD
	s_and_saveexec_b64 s[16:17], s[2:3]
	s_cbranch_execz .LBB204_469
; %bb.464:                              ;   in Loop: Header=BB204_424 Depth=1
	v_bfrev_b32_e32 v20, 1
	v_mov_b32_e32 v21, 0
	v_cmp_ne_u16_sdwa s[2:3], v9, s30 src0_sel:BYTE_0 src1_sel:DWORD
	s_and_saveexec_b64 s[18:19], s[2:3]
	s_cbranch_execz .LBB204_468
; %bb.465:                              ;   in Loop: Header=BB204_424 Depth=1
	v_bfe_u32 v0, v15, 16, 7
	v_mov_b32_e32 v20, 0x7f800001
	v_mov_b32_e32 v21, 0
	v_cmp_ne_u32_e64 s[2:3], s31, v0
	s_and_saveexec_b64 s[20:21], s[2:3]
	s_cbranch_execz .LBB204_467
; %bb.466:                              ;   in Loop: Header=BB204_424 Depth=1
	v_and_b32_e32 v24, 7, v9
	v_lshrrev_b32_e32 v25, 3, v0
	v_cmp_gt_u32_e64 s[2:3], 8, v0
	v_ffbh_u32_e32 v0, v24
	v_min_u32_e32 v0, 32, v0
	v_subrev_u32_e32 v20, 28, v0
	v_lshlrev_b64 v[20:21], v20, v[9:10]
	v_sub_u32_e32 v0, 29, v0
	v_and_b32_e32 v20, 7, v20
	v_cndmask_b32_e64 v0, v25, v0, s[2:3]
	v_cndmask_b32_e64 v20, v24, v20, s[2:3]
	v_bfrev_b32_e32 v21, 60
	v_lshlrev_b32_e32 v20, 20, v20
	v_and_b32_sdwa v9, sext(v9), s34 dst_sel:DWORD dst_unused:UNUSED_PAD src0_sel:BYTE_0 src1_sel:DWORD
	v_lshl_add_u32 v0, v0, 23, v21
	v_or3_b32 v20, v9, v0, v20
	v_mov_b32_e32 v21, v5
.LBB204_467:                            ;   in Loop: Header=BB204_424 Depth=1
	s_or_b64 exec, exec, s[20:21]
.LBB204_468:                            ;   in Loop: Header=BB204_424 Depth=1
	s_or_b64 exec, exec, s[18:19]
.LBB204_469:                            ;   in Loop: Header=BB204_424 Depth=1
	s_or_b64 exec, exec, s[16:17]
	v_cmp_lt_u32_e64 s[2:3], s35, v15
	s_and_saveexec_b64 s[16:17], s[2:3]
	s_cbranch_execz .LBB204_475
; %bb.470:                              ;   in Loop: Header=BB204_424 Depth=1
	v_mov_b32_e32 v23, v6
	v_cmp_ne_u32_sdwa s[2:3], v15, s30 src0_sel:BYTE_3 src1_sel:DWORD
	v_mov_b32_e32 v22, v5
	s_and_saveexec_b64 s[18:19], s[2:3]
	s_cbranch_execz .LBB204_474
; %bb.471:                              ;   in Loop: Header=BB204_424 Depth=1
	v_bfe_u32 v0, v15, 24, 7
	v_mov_b32_e32 v9, v5
	v_mov_b32_e32 v23, v10
	v_cmp_ne_u32_e64 s[2:3], s31, v0
	v_mov_b32_e32 v22, v9
	s_and_saveexec_b64 s[20:21], s[2:3]
	s_cbranch_execz .LBB204_473
; %bb.472:                              ;   in Loop: Header=BB204_424 Depth=1
	v_mov_b32_e32 v9, 7
	v_and_b32_sdwa v22, v15, v9 dst_sel:DWORD dst_unused:UNUSED_PAD src0_sel:BYTE_3 src1_sel:DWORD
	v_lshrrev_b32_e32 v9, 3, v0
	v_cmp_gt_u32_e64 s[2:3], 8, v0
	v_ffbh_u32_e32 v0, v22
	v_min_u32_e32 v0, 32, v0
	v_mov_b32_e32 v23, v5
	v_subrev_u32_e32 v24, 28, v0
	v_lshlrev_b64 v[23:24], v24, v[22:23]
	v_sub_u32_e32 v0, 29, v0
	v_and_b32_e32 v23, 7, v23
	v_cndmask_b32_e64 v0, v9, v0, s[2:3]
	v_cndmask_b32_e64 v9, v22, v23, s[2:3]
	v_mov_b32_e32 v22, 24
	v_lshlrev_b32_sdwa v15, v22, v15 dst_sel:DWORD dst_unused:UNUSED_PAD src0_sel:DWORD src1_sel:BYTE_3
	v_bfrev_b32_e32 v22, 60
	v_lshl_add_u32 v0, v0, 23, v22
	v_and_or_b32 v0, v15, s34, v0
	v_lshlrev_b32_e32 v9, 20, v9
	v_or_b32_e32 v23, v0, v9
	v_mov_b32_e32 v22, v5
.LBB204_473:                            ;   in Loop: Header=BB204_424 Depth=1
	s_or_b64 exec, exec, s[20:21]
.LBB204_474:                            ;   in Loop: Header=BB204_424 Depth=1
	s_or_b64 exec, exec, s[18:19]
.LBB204_475:                            ;   in Loop: Header=BB204_424 Depth=1
	s_or_b64 exec, exec, s[16:17]
	s_mov_b32 s41, s40
	v_or_b32_e32 v0, v19, v17
	v_or_b32_e32 v9, v18, v16
	v_mul_f32_e32 v34, s41, v0
	v_mul_f32_e32 v40, s40, v9
	v_or_b32_e32 v0, v23, v21
	v_or_b32_e32 v9, v22, v20
	v_mul_f32_e32 v38, s40, v9
	v_mul_f32_e32 v36, s41, v0
	s_and_saveexec_b64 s[16:17], vcc
; %bb.476:                              ;   in Loop: Header=BB204_424 Depth=1
	v_cmp_gt_i32_e64 s[2:3], s25, v60
	v_cndmask_b32_e64 v40, 0, v40, s[2:3]
	v_cmp_gt_i32_e64 s[2:3], s25, v27
	v_cndmask_b32_e64 v34, 0, v34, s[2:3]
	;; [unrolled: 2-line block ×4, first 2 shown]
; %bb.477:                              ;   in Loop: Header=BB204_424 Depth=1
	s_or_b64 exec, exec, s[16:17]
	global_load_dword v15, v[13:14], off offset:512
	v_mov_b32_e32 v18, 0
	v_mov_b32_e32 v16, 0
	;; [unrolled: 1-line block ×4, first 2 shown]
	s_waitcnt vmcnt(0)
	v_cmp_ne_u16_sdwa s[2:3], v15, v5 src0_sel:BYTE_0 src1_sel:DWORD
	s_and_saveexec_b64 s[16:17], s[2:3]
	s_cbranch_execz .LBB204_483
; %bb.478:                              ;   in Loop: Header=BB204_424 Depth=1
	v_bfrev_b32_e32 v16, 1
	v_mov_b32_e32 v17, 0
	v_cmp_ne_u16_sdwa s[2:3], v15, s30 src0_sel:BYTE_0 src1_sel:DWORD
	s_and_saveexec_b64 s[18:19], s[2:3]
	s_cbranch_execz .LBB204_482
; %bb.479:                              ;   in Loop: Header=BB204_424 Depth=1
	v_and_b32_e32 v0, 0x7f, v15
	v_mov_b32_e32 v16, 0x7f800001
	v_mov_b32_e32 v17, 0
	v_cmp_ne_u32_e64 s[2:3], s31, v0
	s_and_saveexec_b64 s[20:21], s[2:3]
	s_cbranch_execz .LBB204_481
; %bb.480:                              ;   in Loop: Header=BB204_424 Depth=1
	v_and_b32_e32 v9, 7, v15
	v_lshrrev_b32_e32 v20, 3, v0
	v_cmp_gt_u32_e64 s[2:3], 8, v0
	v_ffbh_u32_e32 v0, v9
	v_min_u32_e32 v0, 32, v0
	v_subrev_u32_e32 v16, 28, v0
	v_lshlrev_b64 v[16:17], v16, v[15:16]
	v_sub_u32_e32 v0, 29, v0
	v_and_b32_e32 v16, 7, v16
	v_cndmask_b32_e64 v0, v20, v0, s[2:3]
	v_cndmask_b32_e64 v9, v9, v16, s[2:3]
	v_bfrev_b32_e32 v17, 60
	v_lshlrev_b32_e32 v9, 20, v9
	v_and_b32_sdwa v16, sext(v15), s34 dst_sel:DWORD dst_unused:UNUSED_PAD src0_sel:BYTE_0 src1_sel:DWORD
	v_lshl_add_u32 v0, v0, 23, v17
	v_or3_b32 v16, v16, v0, v9
	v_mov_b32_e32 v17, v5
.LBB204_481:                            ;   in Loop: Header=BB204_424 Depth=1
	s_or_b64 exec, exec, s[20:21]
.LBB204_482:                            ;   in Loop: Header=BB204_424 Depth=1
	s_or_b64 exec, exec, s[18:19]
.LBB204_483:                            ;   in Loop: Header=BB204_424 Depth=1
	s_or_b64 exec, exec, s[16:17]
	v_cmp_ne_u16_sdwa s[2:3], v15, v5 src0_sel:BYTE_1 src1_sel:DWORD
	s_and_saveexec_b64 s[16:17], s[2:3]
	s_cbranch_execz .LBB204_489
; %bb.484:                              ;   in Loop: Header=BB204_424 Depth=1
	v_mov_b32_e32 v19, v6
	v_cmp_ne_u16_sdwa s[2:3], v15, s30 src0_sel:BYTE_1 src1_sel:DWORD
	v_mov_b32_e32 v18, v5
	s_and_saveexec_b64 s[18:19], s[2:3]
	s_cbranch_execz .LBB204_488
; %bb.485:                              ;   in Loop: Header=BB204_424 Depth=1
	v_and_b32_sdwa v0, v15, s31 dst_sel:DWORD dst_unused:UNUSED_PAD src0_sel:BYTE_1 src1_sel:DWORD
	v_mov_b32_e32 v9, v5
	v_mov_b32_e32 v19, v10
	v_cmp_ne_u32_e64 s[2:3], s31, v0
	v_mov_b32_e32 v18, v9
	s_and_saveexec_b64 s[20:21], s[2:3]
	s_cbranch_execz .LBB204_487
; %bb.486:                              ;   in Loop: Header=BB204_424 Depth=1
	v_mov_b32_e32 v9, 7
	v_and_b32_sdwa v18, v15, v9 dst_sel:DWORD dst_unused:UNUSED_PAD src0_sel:BYTE_1 src1_sel:DWORD
	v_lshrrev_b32_e32 v9, 3, v0
	v_cmp_gt_u32_e64 s[2:3], 8, v0
	v_ffbh_u32_e32 v0, v18
	v_min_u32_e32 v0, 32, v0
	v_mov_b32_e32 v19, v5
	v_subrev_u32_e32 v20, 28, v0
	v_lshlrev_b64 v[19:20], v20, v[18:19]
	v_sub_u32_e32 v0, 29, v0
	v_and_b32_e32 v19, 7, v19
	v_cndmask_b32_e64 v0, v9, v0, s[2:3]
	v_cndmask_b32_e64 v9, v18, v19, s[2:3]
	v_bfrev_b32_e32 v19, 60
	v_lshlrev_b32_e32 v18, 16, v15
	v_lshl_add_u32 v0, v0, 23, v19
	v_and_or_b32 v0, v18, s34, v0
	v_lshlrev_b32_e32 v9, 20, v9
	v_or_b32_e32 v19, v0, v9
	v_mov_b32_e32 v18, v5
.LBB204_487:                            ;   in Loop: Header=BB204_424 Depth=1
	s_or_b64 exec, exec, s[20:21]
.LBB204_488:                            ;   in Loop: Header=BB204_424 Depth=1
	s_or_b64 exec, exec, s[18:19]
.LBB204_489:                            ;   in Loop: Header=BB204_424 Depth=1
	s_or_b64 exec, exec, s[16:17]
	v_lshrrev_b32_e32 v9, 16, v15
	v_mov_b32_e32 v22, 0
	v_mov_b32_e32 v20, 0
	;; [unrolled: 1-line block ×4, first 2 shown]
	v_cmp_ne_u16_sdwa s[2:3], v9, v5 src0_sel:BYTE_0 src1_sel:DWORD
	s_and_saveexec_b64 s[16:17], s[2:3]
	s_cbranch_execz .LBB204_495
; %bb.490:                              ;   in Loop: Header=BB204_424 Depth=1
	v_bfrev_b32_e32 v20, 1
	v_mov_b32_e32 v21, 0
	v_cmp_ne_u16_sdwa s[2:3], v9, s30 src0_sel:BYTE_0 src1_sel:DWORD
	s_and_saveexec_b64 s[18:19], s[2:3]
	s_cbranch_execz .LBB204_494
; %bb.491:                              ;   in Loop: Header=BB204_424 Depth=1
	v_bfe_u32 v0, v15, 16, 7
	v_mov_b32_e32 v20, 0x7f800001
	v_mov_b32_e32 v21, 0
	v_cmp_ne_u32_e64 s[2:3], s31, v0
	s_and_saveexec_b64 s[20:21], s[2:3]
	s_cbranch_execz .LBB204_493
; %bb.492:                              ;   in Loop: Header=BB204_424 Depth=1
	v_and_b32_e32 v24, 7, v9
	v_lshrrev_b32_e32 v25, 3, v0
	v_cmp_gt_u32_e64 s[2:3], 8, v0
	v_ffbh_u32_e32 v0, v24
	v_min_u32_e32 v0, 32, v0
	v_subrev_u32_e32 v20, 28, v0
	v_lshlrev_b64 v[20:21], v20, v[9:10]
	v_sub_u32_e32 v0, 29, v0
	v_and_b32_e32 v20, 7, v20
	v_cndmask_b32_e64 v0, v25, v0, s[2:3]
	v_cndmask_b32_e64 v20, v24, v20, s[2:3]
	v_bfrev_b32_e32 v21, 60
	v_lshlrev_b32_e32 v20, 20, v20
	v_and_b32_sdwa v9, sext(v9), s34 dst_sel:DWORD dst_unused:UNUSED_PAD src0_sel:BYTE_0 src1_sel:DWORD
	v_lshl_add_u32 v0, v0, 23, v21
	v_or3_b32 v20, v9, v0, v20
	v_mov_b32_e32 v21, v5
.LBB204_493:                            ;   in Loop: Header=BB204_424 Depth=1
	s_or_b64 exec, exec, s[20:21]
.LBB204_494:                            ;   in Loop: Header=BB204_424 Depth=1
	s_or_b64 exec, exec, s[18:19]
.LBB204_495:                            ;   in Loop: Header=BB204_424 Depth=1
	s_or_b64 exec, exec, s[16:17]
	v_cmp_lt_u32_e64 s[2:3], s35, v15
	s_and_saveexec_b64 s[16:17], s[2:3]
	s_cbranch_execz .LBB204_501
; %bb.496:                              ;   in Loop: Header=BB204_424 Depth=1
	v_mov_b32_e32 v23, v6
	v_cmp_ne_u32_sdwa s[2:3], v15, s30 src0_sel:BYTE_3 src1_sel:DWORD
	v_mov_b32_e32 v22, v5
	s_and_saveexec_b64 s[18:19], s[2:3]
	s_cbranch_execz .LBB204_500
; %bb.497:                              ;   in Loop: Header=BB204_424 Depth=1
	v_bfe_u32 v0, v15, 24, 7
	v_mov_b32_e32 v9, v5
	v_mov_b32_e32 v23, v10
	v_cmp_ne_u32_e64 s[2:3], s31, v0
	v_mov_b32_e32 v22, v9
	s_and_saveexec_b64 s[20:21], s[2:3]
	s_cbranch_execz .LBB204_499
; %bb.498:                              ;   in Loop: Header=BB204_424 Depth=1
	v_mov_b32_e32 v9, 7
	v_and_b32_sdwa v22, v15, v9 dst_sel:DWORD dst_unused:UNUSED_PAD src0_sel:BYTE_3 src1_sel:DWORD
	v_lshrrev_b32_e32 v9, 3, v0
	v_cmp_gt_u32_e64 s[2:3], 8, v0
	v_ffbh_u32_e32 v0, v22
	v_min_u32_e32 v0, 32, v0
	v_mov_b32_e32 v23, v5
	v_subrev_u32_e32 v24, 28, v0
	v_lshlrev_b64 v[23:24], v24, v[22:23]
	v_sub_u32_e32 v0, 29, v0
	v_and_b32_e32 v23, 7, v23
	v_cndmask_b32_e64 v0, v9, v0, s[2:3]
	v_cndmask_b32_e64 v9, v22, v23, s[2:3]
	v_mov_b32_e32 v22, 24
	v_lshlrev_b32_sdwa v15, v22, v15 dst_sel:DWORD dst_unused:UNUSED_PAD src0_sel:DWORD src1_sel:BYTE_3
	v_bfrev_b32_e32 v22, 60
	v_lshl_add_u32 v0, v0, 23, v22
	v_and_or_b32 v0, v15, s34, v0
	v_lshlrev_b32_e32 v9, 20, v9
	v_or_b32_e32 v23, v0, v9
	v_mov_b32_e32 v22, v5
.LBB204_499:                            ;   in Loop: Header=BB204_424 Depth=1
	s_or_b64 exec, exec, s[20:21]
.LBB204_500:                            ;   in Loop: Header=BB204_424 Depth=1
	s_or_b64 exec, exec, s[18:19]
.LBB204_501:                            ;   in Loop: Header=BB204_424 Depth=1
	s_or_b64 exec, exec, s[16:17]
	v_or_b32_e32 v0, v19, v17
	v_or_b32_e32 v9, v18, v16
	v_mul_f32_e32 v42, s41, v0
	v_mul_f32_e32 v59, s40, v9
	v_or_b32_e32 v0, v23, v21
	v_or_b32_e32 v9, v22, v20
	v_mul_f32_e32 v62, s40, v9
	v_mul_f32_e32 v52, s41, v0
	s_and_saveexec_b64 s[16:17], vcc
; %bb.502:                              ;   in Loop: Header=BB204_424 Depth=1
	v_cmp_gt_i32_e64 s[2:3], s25, v60
	v_cndmask_b32_e64 v59, 0, v59, s[2:3]
	v_cmp_gt_i32_e64 s[2:3], s25, v27
	v_cndmask_b32_e64 v42, 0, v42, s[2:3]
	;; [unrolled: 2-line block ×4, first 2 shown]
; %bb.503:                              ;   in Loop: Header=BB204_424 Depth=1
	s_or_b64 exec, exec, s[16:17]
	global_load_dword v15, v[13:14], off offset:768
	v_mov_b32_e32 v18, 0
	v_mov_b32_e32 v16, 0
	;; [unrolled: 1-line block ×4, first 2 shown]
	s_waitcnt vmcnt(0)
	v_cmp_ne_u16_sdwa s[2:3], v15, v5 src0_sel:BYTE_0 src1_sel:DWORD
	s_and_saveexec_b64 s[16:17], s[2:3]
	s_cbranch_execz .LBB204_509
; %bb.504:                              ;   in Loop: Header=BB204_424 Depth=1
	v_bfrev_b32_e32 v16, 1
	v_mov_b32_e32 v17, 0
	v_cmp_ne_u16_sdwa s[2:3], v15, s30 src0_sel:BYTE_0 src1_sel:DWORD
	s_and_saveexec_b64 s[18:19], s[2:3]
	s_cbranch_execz .LBB204_508
; %bb.505:                              ;   in Loop: Header=BB204_424 Depth=1
	v_and_b32_e32 v0, 0x7f, v15
	v_mov_b32_e32 v16, 0x7f800001
	v_mov_b32_e32 v17, 0
	v_cmp_ne_u32_e64 s[2:3], s31, v0
	s_and_saveexec_b64 s[20:21], s[2:3]
	s_cbranch_execz .LBB204_507
; %bb.506:                              ;   in Loop: Header=BB204_424 Depth=1
	v_and_b32_e32 v9, 7, v15
	v_lshrrev_b32_e32 v20, 3, v0
	v_cmp_gt_u32_e64 s[2:3], 8, v0
	v_ffbh_u32_e32 v0, v9
	v_min_u32_e32 v0, 32, v0
	v_subrev_u32_e32 v16, 28, v0
	v_lshlrev_b64 v[16:17], v16, v[15:16]
	v_sub_u32_e32 v0, 29, v0
	v_and_b32_e32 v16, 7, v16
	v_cndmask_b32_e64 v0, v20, v0, s[2:3]
	v_cndmask_b32_e64 v9, v9, v16, s[2:3]
	v_bfrev_b32_e32 v17, 60
	v_lshlrev_b32_e32 v9, 20, v9
	v_and_b32_sdwa v16, sext(v15), s34 dst_sel:DWORD dst_unused:UNUSED_PAD src0_sel:BYTE_0 src1_sel:DWORD
	v_lshl_add_u32 v0, v0, 23, v17
	v_or3_b32 v16, v16, v0, v9
	v_mov_b32_e32 v17, v5
.LBB204_507:                            ;   in Loop: Header=BB204_424 Depth=1
	s_or_b64 exec, exec, s[20:21]
.LBB204_508:                            ;   in Loop: Header=BB204_424 Depth=1
	s_or_b64 exec, exec, s[18:19]
.LBB204_509:                            ;   in Loop: Header=BB204_424 Depth=1
	s_or_b64 exec, exec, s[16:17]
	v_cmp_ne_u16_sdwa s[2:3], v15, v5 src0_sel:BYTE_1 src1_sel:DWORD
	s_and_saveexec_b64 s[16:17], s[2:3]
	s_cbranch_execz .LBB204_515
; %bb.510:                              ;   in Loop: Header=BB204_424 Depth=1
	v_mov_b32_e32 v19, v6
	v_cmp_ne_u16_sdwa s[2:3], v15, s30 src0_sel:BYTE_1 src1_sel:DWORD
	v_mov_b32_e32 v18, v5
	s_and_saveexec_b64 s[18:19], s[2:3]
	s_cbranch_execz .LBB204_514
; %bb.511:                              ;   in Loop: Header=BB204_424 Depth=1
	v_and_b32_sdwa v0, v15, s31 dst_sel:DWORD dst_unused:UNUSED_PAD src0_sel:BYTE_1 src1_sel:DWORD
	v_mov_b32_e32 v9, v5
	v_mov_b32_e32 v19, v10
	v_cmp_ne_u32_e64 s[2:3], s31, v0
	v_mov_b32_e32 v18, v9
	s_and_saveexec_b64 s[20:21], s[2:3]
	s_cbranch_execz .LBB204_513
; %bb.512:                              ;   in Loop: Header=BB204_424 Depth=1
	v_mov_b32_e32 v9, 7
	v_and_b32_sdwa v18, v15, v9 dst_sel:DWORD dst_unused:UNUSED_PAD src0_sel:BYTE_1 src1_sel:DWORD
	v_lshrrev_b32_e32 v9, 3, v0
	v_cmp_gt_u32_e64 s[2:3], 8, v0
	v_ffbh_u32_e32 v0, v18
	v_min_u32_e32 v0, 32, v0
	v_mov_b32_e32 v19, v5
	v_subrev_u32_e32 v20, 28, v0
	v_lshlrev_b64 v[19:20], v20, v[18:19]
	v_sub_u32_e32 v0, 29, v0
	v_and_b32_e32 v19, 7, v19
	v_cndmask_b32_e64 v0, v9, v0, s[2:3]
	v_cndmask_b32_e64 v9, v18, v19, s[2:3]
	v_bfrev_b32_e32 v19, 60
	v_lshlrev_b32_e32 v18, 16, v15
	v_lshl_add_u32 v0, v0, 23, v19
	v_and_or_b32 v0, v18, s34, v0
	v_lshlrev_b32_e32 v9, 20, v9
	v_or_b32_e32 v19, v0, v9
	v_mov_b32_e32 v18, v5
.LBB204_513:                            ;   in Loop: Header=BB204_424 Depth=1
	s_or_b64 exec, exec, s[20:21]
.LBB204_514:                            ;   in Loop: Header=BB204_424 Depth=1
	s_or_b64 exec, exec, s[18:19]
.LBB204_515:                            ;   in Loop: Header=BB204_424 Depth=1
	s_or_b64 exec, exec, s[16:17]
	v_lshrrev_b32_e32 v9, 16, v15
	v_mov_b32_e32 v22, 0
	v_mov_b32_e32 v20, 0
	;; [unrolled: 1-line block ×4, first 2 shown]
	v_cmp_ne_u16_sdwa s[2:3], v9, v5 src0_sel:BYTE_0 src1_sel:DWORD
	s_and_saveexec_b64 s[16:17], s[2:3]
	s_cbranch_execz .LBB204_521
; %bb.516:                              ;   in Loop: Header=BB204_424 Depth=1
	v_bfrev_b32_e32 v20, 1
	v_mov_b32_e32 v21, 0
	v_cmp_ne_u16_sdwa s[2:3], v9, s30 src0_sel:BYTE_0 src1_sel:DWORD
	s_and_saveexec_b64 s[18:19], s[2:3]
	s_cbranch_execz .LBB204_520
; %bb.517:                              ;   in Loop: Header=BB204_424 Depth=1
	v_bfe_u32 v0, v15, 16, 7
	v_mov_b32_e32 v20, 0x7f800001
	v_mov_b32_e32 v21, 0
	v_cmp_ne_u32_e64 s[2:3], s31, v0
	s_and_saveexec_b64 s[20:21], s[2:3]
	s_cbranch_execz .LBB204_519
; %bb.518:                              ;   in Loop: Header=BB204_424 Depth=1
	v_and_b32_e32 v24, 7, v9
	v_lshrrev_b32_e32 v25, 3, v0
	v_cmp_gt_u32_e64 s[2:3], 8, v0
	v_ffbh_u32_e32 v0, v24
	v_min_u32_e32 v0, 32, v0
	v_subrev_u32_e32 v20, 28, v0
	v_lshlrev_b64 v[20:21], v20, v[9:10]
	v_sub_u32_e32 v0, 29, v0
	v_and_b32_e32 v20, 7, v20
	v_cndmask_b32_e64 v0, v25, v0, s[2:3]
	v_cndmask_b32_e64 v20, v24, v20, s[2:3]
	v_bfrev_b32_e32 v21, 60
	v_lshlrev_b32_e32 v20, 20, v20
	v_and_b32_sdwa v9, sext(v9), s34 dst_sel:DWORD dst_unused:UNUSED_PAD src0_sel:BYTE_0 src1_sel:DWORD
	v_lshl_add_u32 v0, v0, 23, v21
	v_or3_b32 v20, v9, v0, v20
	v_mov_b32_e32 v21, v5
.LBB204_519:                            ;   in Loop: Header=BB204_424 Depth=1
	s_or_b64 exec, exec, s[20:21]
.LBB204_520:                            ;   in Loop: Header=BB204_424 Depth=1
	s_or_b64 exec, exec, s[18:19]
.LBB204_521:                            ;   in Loop: Header=BB204_424 Depth=1
	s_or_b64 exec, exec, s[16:17]
	v_cmp_lt_u32_e64 s[2:3], s35, v15
	s_and_saveexec_b64 s[16:17], s[2:3]
	s_cbranch_execz .LBB204_527
; %bb.522:                              ;   in Loop: Header=BB204_424 Depth=1
	v_mov_b32_e32 v23, v6
	v_cmp_ne_u32_sdwa s[2:3], v15, s30 src0_sel:BYTE_3 src1_sel:DWORD
	v_mov_b32_e32 v22, v5
	s_and_saveexec_b64 s[18:19], s[2:3]
	s_cbranch_execz .LBB204_526
; %bb.523:                              ;   in Loop: Header=BB204_424 Depth=1
	v_bfe_u32 v0, v15, 24, 7
	v_mov_b32_e32 v9, v5
	v_mov_b32_e32 v23, v10
	v_cmp_ne_u32_e64 s[2:3], s31, v0
	v_mov_b32_e32 v22, v9
	s_and_saveexec_b64 s[20:21], s[2:3]
	s_cbranch_execz .LBB204_525
; %bb.524:                              ;   in Loop: Header=BB204_424 Depth=1
	v_mov_b32_e32 v9, 7
	v_and_b32_sdwa v22, v15, v9 dst_sel:DWORD dst_unused:UNUSED_PAD src0_sel:BYTE_3 src1_sel:DWORD
	v_lshrrev_b32_e32 v9, 3, v0
	v_cmp_gt_u32_e64 s[2:3], 8, v0
	v_ffbh_u32_e32 v0, v22
	v_min_u32_e32 v0, 32, v0
	v_mov_b32_e32 v23, v5
	v_subrev_u32_e32 v24, 28, v0
	v_lshlrev_b64 v[23:24], v24, v[22:23]
	v_sub_u32_e32 v0, 29, v0
	v_and_b32_e32 v23, 7, v23
	v_cndmask_b32_e64 v0, v9, v0, s[2:3]
	v_cndmask_b32_e64 v9, v22, v23, s[2:3]
	v_mov_b32_e32 v22, 24
	v_lshlrev_b32_sdwa v15, v22, v15 dst_sel:DWORD dst_unused:UNUSED_PAD src0_sel:DWORD src1_sel:BYTE_3
	v_bfrev_b32_e32 v22, 60
	v_lshl_add_u32 v0, v0, 23, v22
	v_and_or_b32 v0, v15, s34, v0
	v_lshlrev_b32_e32 v9, 20, v9
	v_or_b32_e32 v23, v0, v9
	v_mov_b32_e32 v22, v5
.LBB204_525:                            ;   in Loop: Header=BB204_424 Depth=1
	s_or_b64 exec, exec, s[20:21]
.LBB204_526:                            ;   in Loop: Header=BB204_424 Depth=1
	s_or_b64 exec, exec, s[18:19]
.LBB204_527:                            ;   in Loop: Header=BB204_424 Depth=1
	s_or_b64 exec, exec, s[16:17]
	v_or_b32_e32 v0, v19, v17
	v_or_b32_e32 v9, v18, v16
	v_mul_f32_e32 v58, s41, v0
	v_mul_f32_e32 v33, s40, v9
	v_or_b32_e32 v0, v23, v21
	v_or_b32_e32 v9, v22, v20
	v_mul_f32_e32 v63, s40, v9
	v_mul_f32_e32 v61, s41, v0
	s_and_saveexec_b64 s[16:17], vcc
; %bb.528:                              ;   in Loop: Header=BB204_424 Depth=1
	v_cmp_gt_i32_e64 s[2:3], s25, v60
	v_cndmask_b32_e64 v33, 0, v33, s[2:3]
	v_cmp_gt_i32_e64 s[2:3], s25, v27
	v_cndmask_b32_e64 v58, 0, v58, s[2:3]
	;; [unrolled: 2-line block ×4, first 2 shown]
; %bb.529:                              ;   in Loop: Header=BB204_424 Depth=1
	s_or_b64 exec, exec, s[16:17]
	global_load_dword v15, v[13:14], off offset:1024
	v_mov_b32_e32 v18, 0
	v_mov_b32_e32 v16, 0
	;; [unrolled: 1-line block ×4, first 2 shown]
	s_waitcnt vmcnt(0)
	v_cmp_ne_u16_sdwa s[2:3], v15, v5 src0_sel:BYTE_0 src1_sel:DWORD
	s_and_saveexec_b64 s[16:17], s[2:3]
	s_cbranch_execz .LBB204_535
; %bb.530:                              ;   in Loop: Header=BB204_424 Depth=1
	v_bfrev_b32_e32 v16, 1
	v_mov_b32_e32 v17, 0
	v_cmp_ne_u16_sdwa s[2:3], v15, s30 src0_sel:BYTE_0 src1_sel:DWORD
	s_and_saveexec_b64 s[18:19], s[2:3]
	s_cbranch_execz .LBB204_534
; %bb.531:                              ;   in Loop: Header=BB204_424 Depth=1
	v_and_b32_e32 v0, 0x7f, v15
	v_mov_b32_e32 v16, 0x7f800001
	v_mov_b32_e32 v17, 0
	v_cmp_ne_u32_e64 s[2:3], s31, v0
	s_and_saveexec_b64 s[20:21], s[2:3]
	s_cbranch_execz .LBB204_533
; %bb.532:                              ;   in Loop: Header=BB204_424 Depth=1
	v_and_b32_e32 v9, 7, v15
	v_lshrrev_b32_e32 v20, 3, v0
	v_cmp_gt_u32_e64 s[2:3], 8, v0
	v_ffbh_u32_e32 v0, v9
	v_min_u32_e32 v0, 32, v0
	v_subrev_u32_e32 v16, 28, v0
	v_lshlrev_b64 v[16:17], v16, v[15:16]
	v_sub_u32_e32 v0, 29, v0
	v_and_b32_e32 v16, 7, v16
	v_cndmask_b32_e64 v0, v20, v0, s[2:3]
	v_cndmask_b32_e64 v9, v9, v16, s[2:3]
	v_bfrev_b32_e32 v17, 60
	v_lshlrev_b32_e32 v9, 20, v9
	v_and_b32_sdwa v16, sext(v15), s34 dst_sel:DWORD dst_unused:UNUSED_PAD src0_sel:BYTE_0 src1_sel:DWORD
	v_lshl_add_u32 v0, v0, 23, v17
	v_or3_b32 v16, v16, v0, v9
	v_mov_b32_e32 v17, v5
.LBB204_533:                            ;   in Loop: Header=BB204_424 Depth=1
	s_or_b64 exec, exec, s[20:21]
.LBB204_534:                            ;   in Loop: Header=BB204_424 Depth=1
	s_or_b64 exec, exec, s[18:19]
.LBB204_535:                            ;   in Loop: Header=BB204_424 Depth=1
	s_or_b64 exec, exec, s[16:17]
	v_cmp_ne_u16_sdwa s[2:3], v15, v5 src0_sel:BYTE_1 src1_sel:DWORD
	s_and_saveexec_b64 s[16:17], s[2:3]
	s_cbranch_execz .LBB204_541
; %bb.536:                              ;   in Loop: Header=BB204_424 Depth=1
	v_mov_b32_e32 v19, v6
	v_cmp_ne_u16_sdwa s[2:3], v15, s30 src0_sel:BYTE_1 src1_sel:DWORD
	v_mov_b32_e32 v18, v5
	s_and_saveexec_b64 s[18:19], s[2:3]
	s_cbranch_execz .LBB204_540
; %bb.537:                              ;   in Loop: Header=BB204_424 Depth=1
	v_and_b32_sdwa v0, v15, s31 dst_sel:DWORD dst_unused:UNUSED_PAD src0_sel:BYTE_1 src1_sel:DWORD
	v_mov_b32_e32 v9, v5
	v_mov_b32_e32 v19, v10
	v_cmp_ne_u32_e64 s[2:3], s31, v0
	v_mov_b32_e32 v18, v9
	s_and_saveexec_b64 s[20:21], s[2:3]
	s_cbranch_execz .LBB204_539
; %bb.538:                              ;   in Loop: Header=BB204_424 Depth=1
	v_mov_b32_e32 v9, 7
	v_and_b32_sdwa v18, v15, v9 dst_sel:DWORD dst_unused:UNUSED_PAD src0_sel:BYTE_1 src1_sel:DWORD
	v_lshrrev_b32_e32 v9, 3, v0
	v_cmp_gt_u32_e64 s[2:3], 8, v0
	v_ffbh_u32_e32 v0, v18
	v_min_u32_e32 v0, 32, v0
	v_mov_b32_e32 v19, v5
	v_subrev_u32_e32 v20, 28, v0
	v_lshlrev_b64 v[19:20], v20, v[18:19]
	v_sub_u32_e32 v0, 29, v0
	v_and_b32_e32 v19, 7, v19
	v_cndmask_b32_e64 v0, v9, v0, s[2:3]
	v_cndmask_b32_e64 v9, v18, v19, s[2:3]
	v_bfrev_b32_e32 v19, 60
	v_lshlrev_b32_e32 v18, 16, v15
	v_lshl_add_u32 v0, v0, 23, v19
	v_and_or_b32 v0, v18, s34, v0
	v_lshlrev_b32_e32 v9, 20, v9
	v_or_b32_e32 v19, v0, v9
	v_mov_b32_e32 v18, v5
.LBB204_539:                            ;   in Loop: Header=BB204_424 Depth=1
	s_or_b64 exec, exec, s[20:21]
.LBB204_540:                            ;   in Loop: Header=BB204_424 Depth=1
	s_or_b64 exec, exec, s[18:19]
.LBB204_541:                            ;   in Loop: Header=BB204_424 Depth=1
	s_or_b64 exec, exec, s[16:17]
	v_lshrrev_b32_e32 v9, 16, v15
	v_mov_b32_e32 v22, 0
	v_mov_b32_e32 v20, 0
	;; [unrolled: 1-line block ×4, first 2 shown]
	v_cmp_ne_u16_sdwa s[2:3], v9, v5 src0_sel:BYTE_0 src1_sel:DWORD
	s_and_saveexec_b64 s[16:17], s[2:3]
	s_cbranch_execz .LBB204_547
; %bb.542:                              ;   in Loop: Header=BB204_424 Depth=1
	v_bfrev_b32_e32 v20, 1
	v_mov_b32_e32 v21, 0
	v_cmp_ne_u16_sdwa s[2:3], v9, s30 src0_sel:BYTE_0 src1_sel:DWORD
	s_and_saveexec_b64 s[18:19], s[2:3]
	s_cbranch_execz .LBB204_546
; %bb.543:                              ;   in Loop: Header=BB204_424 Depth=1
	v_bfe_u32 v0, v15, 16, 7
	v_mov_b32_e32 v20, 0x7f800001
	v_mov_b32_e32 v21, 0
	v_cmp_ne_u32_e64 s[2:3], s31, v0
	s_and_saveexec_b64 s[20:21], s[2:3]
	s_cbranch_execz .LBB204_545
; %bb.544:                              ;   in Loop: Header=BB204_424 Depth=1
	v_and_b32_e32 v24, 7, v9
	v_lshrrev_b32_e32 v25, 3, v0
	v_cmp_gt_u32_e64 s[2:3], 8, v0
	v_ffbh_u32_e32 v0, v24
	v_min_u32_e32 v0, 32, v0
	v_subrev_u32_e32 v20, 28, v0
	v_lshlrev_b64 v[20:21], v20, v[9:10]
	v_sub_u32_e32 v0, 29, v0
	v_and_b32_e32 v20, 7, v20
	v_cndmask_b32_e64 v0, v25, v0, s[2:3]
	v_cndmask_b32_e64 v20, v24, v20, s[2:3]
	v_bfrev_b32_e32 v21, 60
	v_lshlrev_b32_e32 v20, 20, v20
	v_and_b32_sdwa v9, sext(v9), s34 dst_sel:DWORD dst_unused:UNUSED_PAD src0_sel:BYTE_0 src1_sel:DWORD
	v_lshl_add_u32 v0, v0, 23, v21
	v_or3_b32 v20, v9, v0, v20
	v_mov_b32_e32 v21, v5
.LBB204_545:                            ;   in Loop: Header=BB204_424 Depth=1
	s_or_b64 exec, exec, s[20:21]
.LBB204_546:                            ;   in Loop: Header=BB204_424 Depth=1
	s_or_b64 exec, exec, s[18:19]
.LBB204_547:                            ;   in Loop: Header=BB204_424 Depth=1
	s_or_b64 exec, exec, s[16:17]
	v_cmp_lt_u32_e64 s[2:3], s35, v15
	s_and_saveexec_b64 s[16:17], s[2:3]
	s_cbranch_execz .LBB204_553
; %bb.548:                              ;   in Loop: Header=BB204_424 Depth=1
	v_mov_b32_e32 v23, v6
	v_cmp_ne_u32_sdwa s[2:3], v15, s30 src0_sel:BYTE_3 src1_sel:DWORD
	v_mov_b32_e32 v22, v5
	s_and_saveexec_b64 s[18:19], s[2:3]
	s_cbranch_execz .LBB204_552
; %bb.549:                              ;   in Loop: Header=BB204_424 Depth=1
	v_bfe_u32 v0, v15, 24, 7
	v_mov_b32_e32 v9, v5
	v_mov_b32_e32 v23, v10
	v_cmp_ne_u32_e64 s[2:3], s31, v0
	v_mov_b32_e32 v22, v9
	s_and_saveexec_b64 s[20:21], s[2:3]
	s_cbranch_execz .LBB204_551
; %bb.550:                              ;   in Loop: Header=BB204_424 Depth=1
	v_mov_b32_e32 v9, 7
	v_and_b32_sdwa v22, v15, v9 dst_sel:DWORD dst_unused:UNUSED_PAD src0_sel:BYTE_3 src1_sel:DWORD
	v_lshrrev_b32_e32 v9, 3, v0
	v_cmp_gt_u32_e64 s[2:3], 8, v0
	v_ffbh_u32_e32 v0, v22
	v_min_u32_e32 v0, 32, v0
	v_mov_b32_e32 v23, v5
	v_subrev_u32_e32 v24, 28, v0
	v_lshlrev_b64 v[23:24], v24, v[22:23]
	v_sub_u32_e32 v0, 29, v0
	v_and_b32_e32 v23, 7, v23
	v_cndmask_b32_e64 v0, v9, v0, s[2:3]
	v_cndmask_b32_e64 v9, v22, v23, s[2:3]
	v_mov_b32_e32 v22, 24
	v_lshlrev_b32_sdwa v15, v22, v15 dst_sel:DWORD dst_unused:UNUSED_PAD src0_sel:DWORD src1_sel:BYTE_3
	v_bfrev_b32_e32 v22, 60
	v_lshl_add_u32 v0, v0, 23, v22
	v_and_or_b32 v0, v15, s34, v0
	v_lshlrev_b32_e32 v9, 20, v9
	v_or_b32_e32 v23, v0, v9
	v_mov_b32_e32 v22, v5
.LBB204_551:                            ;   in Loop: Header=BB204_424 Depth=1
	s_or_b64 exec, exec, s[20:21]
.LBB204_552:                            ;   in Loop: Header=BB204_424 Depth=1
	s_or_b64 exec, exec, s[18:19]
.LBB204_553:                            ;   in Loop: Header=BB204_424 Depth=1
	s_or_b64 exec, exec, s[16:17]
	v_or_b32_e32 v0, v19, v17
	v_or_b32_e32 v9, v18, v16
	v_mul_f32_e32 v35, s41, v0
	v_mul_f32_e32 v41, s40, v9
	v_or_b32_e32 v0, v23, v21
	v_or_b32_e32 v9, v22, v20
	v_mul_f32_e32 v39, s40, v9
	v_mul_f32_e32 v37, s41, v0
	s_and_saveexec_b64 s[16:17], vcc
; %bb.554:                              ;   in Loop: Header=BB204_424 Depth=1
	v_cmp_gt_i32_e64 s[2:3], s25, v60
	v_cndmask_b32_e64 v41, 0, v41, s[2:3]
	v_cmp_gt_i32_e64 s[2:3], s25, v27
	v_cndmask_b32_e64 v35, 0, v35, s[2:3]
	;; [unrolled: 2-line block ×4, first 2 shown]
; %bb.555:                              ;   in Loop: Header=BB204_424 Depth=1
	s_or_b64 exec, exec, s[16:17]
	global_load_dword v15, v[13:14], off offset:1280
	v_mov_b32_e32 v18, 0
	v_mov_b32_e32 v16, 0
	;; [unrolled: 1-line block ×4, first 2 shown]
	s_waitcnt vmcnt(0)
	v_cmp_ne_u16_sdwa s[2:3], v15, v5 src0_sel:BYTE_0 src1_sel:DWORD
	s_and_saveexec_b64 s[16:17], s[2:3]
	s_cbranch_execz .LBB204_561
; %bb.556:                              ;   in Loop: Header=BB204_424 Depth=1
	v_bfrev_b32_e32 v16, 1
	v_mov_b32_e32 v17, 0
	v_cmp_ne_u16_sdwa s[2:3], v15, s30 src0_sel:BYTE_0 src1_sel:DWORD
	s_and_saveexec_b64 s[18:19], s[2:3]
	s_cbranch_execz .LBB204_560
; %bb.557:                              ;   in Loop: Header=BB204_424 Depth=1
	v_and_b32_e32 v0, 0x7f, v15
	v_mov_b32_e32 v16, 0x7f800001
	v_mov_b32_e32 v17, 0
	v_cmp_ne_u32_e64 s[2:3], s31, v0
	s_and_saveexec_b64 s[20:21], s[2:3]
	s_cbranch_execz .LBB204_559
; %bb.558:                              ;   in Loop: Header=BB204_424 Depth=1
	v_and_b32_e32 v9, 7, v15
	v_lshrrev_b32_e32 v20, 3, v0
	v_cmp_gt_u32_e64 s[2:3], 8, v0
	v_ffbh_u32_e32 v0, v9
	v_min_u32_e32 v0, 32, v0
	v_subrev_u32_e32 v16, 28, v0
	v_lshlrev_b64 v[16:17], v16, v[15:16]
	v_sub_u32_e32 v0, 29, v0
	v_and_b32_e32 v16, 7, v16
	v_cndmask_b32_e64 v0, v20, v0, s[2:3]
	v_cndmask_b32_e64 v9, v9, v16, s[2:3]
	v_bfrev_b32_e32 v17, 60
	v_lshlrev_b32_e32 v9, 20, v9
	v_and_b32_sdwa v16, sext(v15), s34 dst_sel:DWORD dst_unused:UNUSED_PAD src0_sel:BYTE_0 src1_sel:DWORD
	v_lshl_add_u32 v0, v0, 23, v17
	v_or3_b32 v16, v16, v0, v9
	v_mov_b32_e32 v17, v5
.LBB204_559:                            ;   in Loop: Header=BB204_424 Depth=1
	s_or_b64 exec, exec, s[20:21]
.LBB204_560:                            ;   in Loop: Header=BB204_424 Depth=1
	s_or_b64 exec, exec, s[18:19]
.LBB204_561:                            ;   in Loop: Header=BB204_424 Depth=1
	s_or_b64 exec, exec, s[16:17]
	v_cmp_ne_u16_sdwa s[2:3], v15, v5 src0_sel:BYTE_1 src1_sel:DWORD
	s_and_saveexec_b64 s[16:17], s[2:3]
	s_cbranch_execz .LBB204_567
; %bb.562:                              ;   in Loop: Header=BB204_424 Depth=1
	v_mov_b32_e32 v19, v6
	v_cmp_ne_u16_sdwa s[2:3], v15, s30 src0_sel:BYTE_1 src1_sel:DWORD
	v_mov_b32_e32 v18, v5
	s_and_saveexec_b64 s[18:19], s[2:3]
	s_cbranch_execz .LBB204_566
; %bb.563:                              ;   in Loop: Header=BB204_424 Depth=1
	v_and_b32_sdwa v0, v15, s31 dst_sel:DWORD dst_unused:UNUSED_PAD src0_sel:BYTE_1 src1_sel:DWORD
	v_mov_b32_e32 v9, v5
	v_mov_b32_e32 v19, v10
	v_cmp_ne_u32_e64 s[2:3], s31, v0
	v_mov_b32_e32 v18, v9
	s_and_saveexec_b64 s[20:21], s[2:3]
	s_cbranch_execz .LBB204_565
; %bb.564:                              ;   in Loop: Header=BB204_424 Depth=1
	v_mov_b32_e32 v9, 7
	v_and_b32_sdwa v18, v15, v9 dst_sel:DWORD dst_unused:UNUSED_PAD src0_sel:BYTE_1 src1_sel:DWORD
	v_lshrrev_b32_e32 v9, 3, v0
	v_cmp_gt_u32_e64 s[2:3], 8, v0
	v_ffbh_u32_e32 v0, v18
	v_min_u32_e32 v0, 32, v0
	v_mov_b32_e32 v19, v5
	v_subrev_u32_e32 v20, 28, v0
	v_lshlrev_b64 v[19:20], v20, v[18:19]
	v_sub_u32_e32 v0, 29, v0
	v_and_b32_e32 v19, 7, v19
	v_cndmask_b32_e64 v0, v9, v0, s[2:3]
	v_cndmask_b32_e64 v9, v18, v19, s[2:3]
	v_bfrev_b32_e32 v19, 60
	v_lshlrev_b32_e32 v18, 16, v15
	v_lshl_add_u32 v0, v0, 23, v19
	v_and_or_b32 v0, v18, s34, v0
	v_lshlrev_b32_e32 v9, 20, v9
	v_or_b32_e32 v19, v0, v9
	v_mov_b32_e32 v18, v5
.LBB204_565:                            ;   in Loop: Header=BB204_424 Depth=1
	s_or_b64 exec, exec, s[20:21]
.LBB204_566:                            ;   in Loop: Header=BB204_424 Depth=1
	s_or_b64 exec, exec, s[18:19]
.LBB204_567:                            ;   in Loop: Header=BB204_424 Depth=1
	s_or_b64 exec, exec, s[16:17]
	v_lshrrev_b32_e32 v9, 16, v15
	v_mov_b32_e32 v22, 0
	v_mov_b32_e32 v20, 0
	;; [unrolled: 1-line block ×4, first 2 shown]
	v_cmp_ne_u16_sdwa s[2:3], v9, v5 src0_sel:BYTE_0 src1_sel:DWORD
	s_and_saveexec_b64 s[16:17], s[2:3]
	s_cbranch_execz .LBB204_573
; %bb.568:                              ;   in Loop: Header=BB204_424 Depth=1
	v_bfrev_b32_e32 v20, 1
	v_mov_b32_e32 v21, 0
	v_cmp_ne_u16_sdwa s[2:3], v9, s30 src0_sel:BYTE_0 src1_sel:DWORD
	s_and_saveexec_b64 s[18:19], s[2:3]
	s_cbranch_execz .LBB204_572
; %bb.569:                              ;   in Loop: Header=BB204_424 Depth=1
	v_bfe_u32 v0, v15, 16, 7
	v_mov_b32_e32 v20, 0x7f800001
	v_mov_b32_e32 v21, 0
	v_cmp_ne_u32_e64 s[2:3], s31, v0
	s_and_saveexec_b64 s[20:21], s[2:3]
	s_cbranch_execz .LBB204_571
; %bb.570:                              ;   in Loop: Header=BB204_424 Depth=1
	v_and_b32_e32 v24, 7, v9
	v_lshrrev_b32_e32 v25, 3, v0
	v_cmp_gt_u32_e64 s[2:3], 8, v0
	v_ffbh_u32_e32 v0, v24
	v_min_u32_e32 v0, 32, v0
	v_subrev_u32_e32 v20, 28, v0
	v_lshlrev_b64 v[20:21], v20, v[9:10]
	v_sub_u32_e32 v0, 29, v0
	v_and_b32_e32 v20, 7, v20
	v_cndmask_b32_e64 v0, v25, v0, s[2:3]
	v_cndmask_b32_e64 v20, v24, v20, s[2:3]
	v_bfrev_b32_e32 v21, 60
	v_lshlrev_b32_e32 v20, 20, v20
	v_and_b32_sdwa v9, sext(v9), s34 dst_sel:DWORD dst_unused:UNUSED_PAD src0_sel:BYTE_0 src1_sel:DWORD
	v_lshl_add_u32 v0, v0, 23, v21
	v_or3_b32 v20, v9, v0, v20
	v_mov_b32_e32 v21, v5
.LBB204_571:                            ;   in Loop: Header=BB204_424 Depth=1
	s_or_b64 exec, exec, s[20:21]
.LBB204_572:                            ;   in Loop: Header=BB204_424 Depth=1
	s_or_b64 exec, exec, s[18:19]
.LBB204_573:                            ;   in Loop: Header=BB204_424 Depth=1
	s_or_b64 exec, exec, s[16:17]
	v_cmp_lt_u32_e64 s[2:3], s35, v15
	s_and_saveexec_b64 s[16:17], s[2:3]
	s_cbranch_execz .LBB204_579
; %bb.574:                              ;   in Loop: Header=BB204_424 Depth=1
	v_mov_b32_e32 v23, v6
	v_cmp_ne_u32_sdwa s[2:3], v15, s30 src0_sel:BYTE_3 src1_sel:DWORD
	v_mov_b32_e32 v22, v5
	s_and_saveexec_b64 s[18:19], s[2:3]
	s_cbranch_execz .LBB204_578
; %bb.575:                              ;   in Loop: Header=BB204_424 Depth=1
	v_bfe_u32 v0, v15, 24, 7
	v_mov_b32_e32 v9, v5
	v_mov_b32_e32 v23, v10
	v_cmp_ne_u32_e64 s[2:3], s31, v0
	v_mov_b32_e32 v22, v9
	s_and_saveexec_b64 s[20:21], s[2:3]
	s_cbranch_execz .LBB204_577
; %bb.576:                              ;   in Loop: Header=BB204_424 Depth=1
	v_mov_b32_e32 v9, 7
	v_and_b32_sdwa v22, v15, v9 dst_sel:DWORD dst_unused:UNUSED_PAD src0_sel:BYTE_3 src1_sel:DWORD
	v_lshrrev_b32_e32 v9, 3, v0
	v_cmp_gt_u32_e64 s[2:3], 8, v0
	v_ffbh_u32_e32 v0, v22
	v_min_u32_e32 v0, 32, v0
	v_mov_b32_e32 v23, v5
	v_subrev_u32_e32 v24, 28, v0
	v_lshlrev_b64 v[23:24], v24, v[22:23]
	v_sub_u32_e32 v0, 29, v0
	v_and_b32_e32 v23, 7, v23
	v_cndmask_b32_e64 v0, v9, v0, s[2:3]
	v_cndmask_b32_e64 v9, v22, v23, s[2:3]
	v_mov_b32_e32 v22, 24
	v_lshlrev_b32_sdwa v15, v22, v15 dst_sel:DWORD dst_unused:UNUSED_PAD src0_sel:DWORD src1_sel:BYTE_3
	v_bfrev_b32_e32 v22, 60
	v_lshl_add_u32 v0, v0, 23, v22
	v_and_or_b32 v0, v15, s34, v0
	v_lshlrev_b32_e32 v9, 20, v9
	v_or_b32_e32 v23, v0, v9
	v_mov_b32_e32 v22, v5
.LBB204_577:                            ;   in Loop: Header=BB204_424 Depth=1
	s_or_b64 exec, exec, s[20:21]
.LBB204_578:                            ;   in Loop: Header=BB204_424 Depth=1
	s_or_b64 exec, exec, s[18:19]
.LBB204_579:                            ;   in Loop: Header=BB204_424 Depth=1
	s_or_b64 exec, exec, s[16:17]
	v_or_b32_e32 v0, v19, v17
	v_or_b32_e32 v9, v18, v16
	v_mul_f32_e32 v43, s41, v0
	v_mul_f32_e32 v44, s40, v9
	v_or_b32_e32 v0, v23, v21
	v_or_b32_e32 v9, v22, v20
	v_mul_f32_e32 v51, s40, v9
	v_mul_f32_e32 v53, s41, v0
	s_and_saveexec_b64 s[16:17], vcc
; %bb.580:                              ;   in Loop: Header=BB204_424 Depth=1
	v_cmp_gt_i32_e64 s[2:3], s25, v60
	v_cndmask_b32_e64 v44, 0, v44, s[2:3]
	v_cmp_gt_i32_e64 s[2:3], s25, v27
	v_cndmask_b32_e64 v43, 0, v43, s[2:3]
	;; [unrolled: 2-line block ×4, first 2 shown]
; %bb.581:                              ;   in Loop: Header=BB204_424 Depth=1
	s_or_b64 exec, exec, s[16:17]
	global_load_dword v15, v[13:14], off offset:1536
	v_mov_b32_e32 v18, 0
	v_mov_b32_e32 v16, 0
	v_mov_b32_e32 v19, 0
	v_mov_b32_e32 v17, 0
	s_waitcnt vmcnt(0)
	v_cmp_ne_u16_sdwa s[2:3], v15, v5 src0_sel:BYTE_0 src1_sel:DWORD
	s_and_saveexec_b64 s[16:17], s[2:3]
	s_cbranch_execz .LBB204_587
; %bb.582:                              ;   in Loop: Header=BB204_424 Depth=1
	v_bfrev_b32_e32 v16, 1
	v_mov_b32_e32 v17, 0
	v_cmp_ne_u16_sdwa s[2:3], v15, s30 src0_sel:BYTE_0 src1_sel:DWORD
	s_and_saveexec_b64 s[18:19], s[2:3]
	s_cbranch_execz .LBB204_586
; %bb.583:                              ;   in Loop: Header=BB204_424 Depth=1
	v_and_b32_e32 v0, 0x7f, v15
	v_mov_b32_e32 v16, 0x7f800001
	v_mov_b32_e32 v17, 0
	v_cmp_ne_u32_e64 s[2:3], s31, v0
	s_and_saveexec_b64 s[20:21], s[2:3]
	s_cbranch_execz .LBB204_585
; %bb.584:                              ;   in Loop: Header=BB204_424 Depth=1
	v_and_b32_e32 v9, 7, v15
	v_lshrrev_b32_e32 v20, 3, v0
	v_cmp_gt_u32_e64 s[2:3], 8, v0
	v_ffbh_u32_e32 v0, v9
	v_min_u32_e32 v0, 32, v0
	v_subrev_u32_e32 v16, 28, v0
	v_lshlrev_b64 v[16:17], v16, v[15:16]
	v_sub_u32_e32 v0, 29, v0
	v_and_b32_e32 v16, 7, v16
	v_cndmask_b32_e64 v0, v20, v0, s[2:3]
	v_cndmask_b32_e64 v9, v9, v16, s[2:3]
	v_bfrev_b32_e32 v17, 60
	v_lshlrev_b32_e32 v9, 20, v9
	v_and_b32_sdwa v16, sext(v15), s34 dst_sel:DWORD dst_unused:UNUSED_PAD src0_sel:BYTE_0 src1_sel:DWORD
	v_lshl_add_u32 v0, v0, 23, v17
	v_or3_b32 v16, v16, v0, v9
	v_mov_b32_e32 v17, v5
.LBB204_585:                            ;   in Loop: Header=BB204_424 Depth=1
	s_or_b64 exec, exec, s[20:21]
.LBB204_586:                            ;   in Loop: Header=BB204_424 Depth=1
	s_or_b64 exec, exec, s[18:19]
.LBB204_587:                            ;   in Loop: Header=BB204_424 Depth=1
	s_or_b64 exec, exec, s[16:17]
	v_cmp_ne_u16_sdwa s[2:3], v15, v5 src0_sel:BYTE_1 src1_sel:DWORD
	s_and_saveexec_b64 s[16:17], s[2:3]
	s_cbranch_execz .LBB204_593
; %bb.588:                              ;   in Loop: Header=BB204_424 Depth=1
	v_mov_b32_e32 v19, v6
	v_cmp_ne_u16_sdwa s[2:3], v15, s30 src0_sel:BYTE_1 src1_sel:DWORD
	v_mov_b32_e32 v18, v5
	s_and_saveexec_b64 s[18:19], s[2:3]
	s_cbranch_execz .LBB204_592
; %bb.589:                              ;   in Loop: Header=BB204_424 Depth=1
	v_and_b32_sdwa v0, v15, s31 dst_sel:DWORD dst_unused:UNUSED_PAD src0_sel:BYTE_1 src1_sel:DWORD
	v_mov_b32_e32 v9, v5
	v_mov_b32_e32 v19, v10
	v_cmp_ne_u32_e64 s[2:3], s31, v0
	v_mov_b32_e32 v18, v9
	s_and_saveexec_b64 s[20:21], s[2:3]
	s_cbranch_execz .LBB204_591
; %bb.590:                              ;   in Loop: Header=BB204_424 Depth=1
	v_mov_b32_e32 v9, 7
	v_and_b32_sdwa v18, v15, v9 dst_sel:DWORD dst_unused:UNUSED_PAD src0_sel:BYTE_1 src1_sel:DWORD
	v_lshrrev_b32_e32 v9, 3, v0
	v_cmp_gt_u32_e64 s[2:3], 8, v0
	v_ffbh_u32_e32 v0, v18
	v_min_u32_e32 v0, 32, v0
	v_mov_b32_e32 v19, v5
	v_subrev_u32_e32 v20, 28, v0
	v_lshlrev_b64 v[19:20], v20, v[18:19]
	v_sub_u32_e32 v0, 29, v0
	v_and_b32_e32 v19, 7, v19
	v_cndmask_b32_e64 v0, v9, v0, s[2:3]
	v_cndmask_b32_e64 v9, v18, v19, s[2:3]
	v_bfrev_b32_e32 v19, 60
	v_lshlrev_b32_e32 v18, 16, v15
	v_lshl_add_u32 v0, v0, 23, v19
	v_and_or_b32 v0, v18, s34, v0
	v_lshlrev_b32_e32 v9, 20, v9
	v_or_b32_e32 v19, v0, v9
	v_mov_b32_e32 v18, v5
.LBB204_591:                            ;   in Loop: Header=BB204_424 Depth=1
	s_or_b64 exec, exec, s[20:21]
.LBB204_592:                            ;   in Loop: Header=BB204_424 Depth=1
	s_or_b64 exec, exec, s[18:19]
.LBB204_593:                            ;   in Loop: Header=BB204_424 Depth=1
	s_or_b64 exec, exec, s[16:17]
	v_lshrrev_b32_e32 v9, 16, v15
	v_mov_b32_e32 v22, 0
	v_mov_b32_e32 v20, 0
	;; [unrolled: 1-line block ×4, first 2 shown]
	v_cmp_ne_u16_sdwa s[2:3], v9, v5 src0_sel:BYTE_0 src1_sel:DWORD
	s_and_saveexec_b64 s[16:17], s[2:3]
	s_cbranch_execz .LBB204_599
; %bb.594:                              ;   in Loop: Header=BB204_424 Depth=1
	v_bfrev_b32_e32 v20, 1
	v_mov_b32_e32 v21, 0
	v_cmp_ne_u16_sdwa s[2:3], v9, s30 src0_sel:BYTE_0 src1_sel:DWORD
	s_and_saveexec_b64 s[18:19], s[2:3]
	s_cbranch_execz .LBB204_598
; %bb.595:                              ;   in Loop: Header=BB204_424 Depth=1
	v_bfe_u32 v0, v15, 16, 7
	v_mov_b32_e32 v20, 0x7f800001
	v_mov_b32_e32 v21, 0
	v_cmp_ne_u32_e64 s[2:3], s31, v0
	s_and_saveexec_b64 s[20:21], s[2:3]
	s_cbranch_execz .LBB204_597
; %bb.596:                              ;   in Loop: Header=BB204_424 Depth=1
	v_and_b32_e32 v24, 7, v9
	v_lshrrev_b32_e32 v25, 3, v0
	v_cmp_gt_u32_e64 s[2:3], 8, v0
	v_ffbh_u32_e32 v0, v24
	v_min_u32_e32 v0, 32, v0
	v_subrev_u32_e32 v20, 28, v0
	v_lshlrev_b64 v[20:21], v20, v[9:10]
	v_sub_u32_e32 v0, 29, v0
	v_and_b32_e32 v20, 7, v20
	v_cndmask_b32_e64 v0, v25, v0, s[2:3]
	v_cndmask_b32_e64 v20, v24, v20, s[2:3]
	v_bfrev_b32_e32 v21, 60
	v_lshlrev_b32_e32 v20, 20, v20
	v_and_b32_sdwa v9, sext(v9), s34 dst_sel:DWORD dst_unused:UNUSED_PAD src0_sel:BYTE_0 src1_sel:DWORD
	v_lshl_add_u32 v0, v0, 23, v21
	v_or3_b32 v20, v9, v0, v20
	v_mov_b32_e32 v21, v5
.LBB204_597:                            ;   in Loop: Header=BB204_424 Depth=1
	s_or_b64 exec, exec, s[20:21]
.LBB204_598:                            ;   in Loop: Header=BB204_424 Depth=1
	s_or_b64 exec, exec, s[18:19]
.LBB204_599:                            ;   in Loop: Header=BB204_424 Depth=1
	s_or_b64 exec, exec, s[16:17]
	v_cmp_lt_u32_e64 s[2:3], s35, v15
	s_and_saveexec_b64 s[16:17], s[2:3]
	s_cbranch_execz .LBB204_605
; %bb.600:                              ;   in Loop: Header=BB204_424 Depth=1
	v_mov_b32_e32 v23, v6
	v_cmp_ne_u32_sdwa s[2:3], v15, s30 src0_sel:BYTE_3 src1_sel:DWORD
	v_mov_b32_e32 v22, v5
	s_and_saveexec_b64 s[18:19], s[2:3]
	s_cbranch_execz .LBB204_604
; %bb.601:                              ;   in Loop: Header=BB204_424 Depth=1
	v_bfe_u32 v0, v15, 24, 7
	v_mov_b32_e32 v9, v5
	v_mov_b32_e32 v23, v10
	v_cmp_ne_u32_e64 s[2:3], s31, v0
	v_mov_b32_e32 v22, v9
	s_and_saveexec_b64 s[20:21], s[2:3]
	s_cbranch_execz .LBB204_603
; %bb.602:                              ;   in Loop: Header=BB204_424 Depth=1
	v_mov_b32_e32 v9, 7
	v_and_b32_sdwa v22, v15, v9 dst_sel:DWORD dst_unused:UNUSED_PAD src0_sel:BYTE_3 src1_sel:DWORD
	v_lshrrev_b32_e32 v9, 3, v0
	v_cmp_gt_u32_e64 s[2:3], 8, v0
	v_ffbh_u32_e32 v0, v22
	v_min_u32_e32 v0, 32, v0
	v_mov_b32_e32 v23, v5
	v_subrev_u32_e32 v24, 28, v0
	v_lshlrev_b64 v[23:24], v24, v[22:23]
	v_sub_u32_e32 v0, 29, v0
	v_and_b32_e32 v23, 7, v23
	v_cndmask_b32_e64 v0, v9, v0, s[2:3]
	v_cndmask_b32_e64 v9, v22, v23, s[2:3]
	v_mov_b32_e32 v22, 24
	v_lshlrev_b32_sdwa v15, v22, v15 dst_sel:DWORD dst_unused:UNUSED_PAD src0_sel:DWORD src1_sel:BYTE_3
	v_bfrev_b32_e32 v22, 60
	v_lshl_add_u32 v0, v0, 23, v22
	v_and_or_b32 v0, v15, s34, v0
	v_lshlrev_b32_e32 v9, 20, v9
	v_or_b32_e32 v23, v0, v9
	v_mov_b32_e32 v22, v5
.LBB204_603:                            ;   in Loop: Header=BB204_424 Depth=1
	s_or_b64 exec, exec, s[20:21]
.LBB204_604:                            ;   in Loop: Header=BB204_424 Depth=1
	s_or_b64 exec, exec, s[18:19]
.LBB204_605:                            ;   in Loop: Header=BB204_424 Depth=1
	s_or_b64 exec, exec, s[16:17]
	v_or_b32_e32 v0, v19, v17
	v_or_b32_e32 v9, v18, v16
	v_mul_f32_e32 v49, s41, v0
	v_mul_f32_e32 v50, s40, v9
	v_or_b32_e32 v0, v23, v21
	v_or_b32_e32 v9, v22, v20
	v_mul_f32_e32 v46, s40, v9
	v_mul_f32_e32 v45, s41, v0
	s_and_saveexec_b64 s[16:17], vcc
; %bb.606:                              ;   in Loop: Header=BB204_424 Depth=1
	v_cmp_gt_i32_e64 s[2:3], s25, v60
	v_cndmask_b32_e64 v50, 0, v50, s[2:3]
	v_cmp_gt_i32_e64 s[2:3], s25, v27
	v_cndmask_b32_e64 v49, 0, v49, s[2:3]
	;; [unrolled: 2-line block ×4, first 2 shown]
; %bb.607:                              ;   in Loop: Header=BB204_424 Depth=1
	s_or_b64 exec, exec, s[16:17]
	global_load_dword v15, v[13:14], off offset:1792
	v_mov_b32_e32 v18, 0
	v_mov_b32_e32 v16, 0
	;; [unrolled: 1-line block ×4, first 2 shown]
	s_waitcnt vmcnt(0)
	v_cmp_ne_u16_sdwa s[2:3], v15, v5 src0_sel:BYTE_0 src1_sel:DWORD
	s_and_saveexec_b64 s[16:17], s[2:3]
	s_cbranch_execz .LBB204_613
; %bb.608:                              ;   in Loop: Header=BB204_424 Depth=1
	v_bfrev_b32_e32 v16, 1
	v_mov_b32_e32 v17, 0
	v_cmp_ne_u16_sdwa s[2:3], v15, s30 src0_sel:BYTE_0 src1_sel:DWORD
	s_and_saveexec_b64 s[18:19], s[2:3]
	s_cbranch_execz .LBB204_612
; %bb.609:                              ;   in Loop: Header=BB204_424 Depth=1
	v_and_b32_e32 v0, 0x7f, v15
	v_mov_b32_e32 v16, 0x7f800001
	v_mov_b32_e32 v17, 0
	v_cmp_ne_u32_e64 s[2:3], s31, v0
	s_and_saveexec_b64 s[20:21], s[2:3]
	s_cbranch_execz .LBB204_611
; %bb.610:                              ;   in Loop: Header=BB204_424 Depth=1
	v_and_b32_e32 v9, 7, v15
	v_lshrrev_b32_e32 v20, 3, v0
	v_cmp_gt_u32_e64 s[2:3], 8, v0
	v_ffbh_u32_e32 v0, v9
	v_min_u32_e32 v0, 32, v0
	v_subrev_u32_e32 v16, 28, v0
	v_lshlrev_b64 v[16:17], v16, v[15:16]
	v_sub_u32_e32 v0, 29, v0
	v_and_b32_e32 v16, 7, v16
	v_cndmask_b32_e64 v0, v20, v0, s[2:3]
	v_cndmask_b32_e64 v9, v9, v16, s[2:3]
	v_bfrev_b32_e32 v17, 60
	v_lshlrev_b32_e32 v9, 20, v9
	v_and_b32_sdwa v16, sext(v15), s34 dst_sel:DWORD dst_unused:UNUSED_PAD src0_sel:BYTE_0 src1_sel:DWORD
	v_lshl_add_u32 v0, v0, 23, v17
	v_or3_b32 v16, v16, v0, v9
	v_mov_b32_e32 v17, v5
.LBB204_611:                            ;   in Loop: Header=BB204_424 Depth=1
	s_or_b64 exec, exec, s[20:21]
.LBB204_612:                            ;   in Loop: Header=BB204_424 Depth=1
	s_or_b64 exec, exec, s[18:19]
.LBB204_613:                            ;   in Loop: Header=BB204_424 Depth=1
	s_or_b64 exec, exec, s[16:17]
	v_cmp_ne_u16_sdwa s[2:3], v15, v5 src0_sel:BYTE_1 src1_sel:DWORD
	s_and_saveexec_b64 s[16:17], s[2:3]
	s_cbranch_execz .LBB204_619
; %bb.614:                              ;   in Loop: Header=BB204_424 Depth=1
	v_mov_b32_e32 v19, v6
	v_cmp_ne_u16_sdwa s[2:3], v15, s30 src0_sel:BYTE_1 src1_sel:DWORD
	v_mov_b32_e32 v18, v5
	s_and_saveexec_b64 s[18:19], s[2:3]
	s_cbranch_execz .LBB204_618
; %bb.615:                              ;   in Loop: Header=BB204_424 Depth=1
	v_and_b32_sdwa v0, v15, s31 dst_sel:DWORD dst_unused:UNUSED_PAD src0_sel:BYTE_1 src1_sel:DWORD
	v_mov_b32_e32 v9, v5
	v_mov_b32_e32 v19, v10
	v_cmp_ne_u32_e64 s[2:3], s31, v0
	v_mov_b32_e32 v18, v9
	s_and_saveexec_b64 s[20:21], s[2:3]
	s_cbranch_execz .LBB204_617
; %bb.616:                              ;   in Loop: Header=BB204_424 Depth=1
	v_mov_b32_e32 v9, 7
	v_and_b32_sdwa v18, v15, v9 dst_sel:DWORD dst_unused:UNUSED_PAD src0_sel:BYTE_1 src1_sel:DWORD
	v_lshrrev_b32_e32 v9, 3, v0
	v_cmp_gt_u32_e64 s[2:3], 8, v0
	v_ffbh_u32_e32 v0, v18
	v_min_u32_e32 v0, 32, v0
	v_mov_b32_e32 v19, v5
	v_subrev_u32_e32 v20, 28, v0
	v_lshlrev_b64 v[19:20], v20, v[18:19]
	v_sub_u32_e32 v0, 29, v0
	v_and_b32_e32 v19, 7, v19
	v_cndmask_b32_e64 v0, v9, v0, s[2:3]
	v_cndmask_b32_e64 v9, v18, v19, s[2:3]
	v_bfrev_b32_e32 v19, 60
	v_lshlrev_b32_e32 v18, 16, v15
	v_lshl_add_u32 v0, v0, 23, v19
	v_and_or_b32 v0, v18, s34, v0
	v_lshlrev_b32_e32 v9, 20, v9
	v_or_b32_e32 v19, v0, v9
	v_mov_b32_e32 v18, v5
.LBB204_617:                            ;   in Loop: Header=BB204_424 Depth=1
	s_or_b64 exec, exec, s[20:21]
.LBB204_618:                            ;   in Loop: Header=BB204_424 Depth=1
	s_or_b64 exec, exec, s[18:19]
.LBB204_619:                            ;   in Loop: Header=BB204_424 Depth=1
	s_or_b64 exec, exec, s[16:17]
	v_lshrrev_b32_e32 v9, 16, v15
	v_mov_b32_e32 v22, 0
	v_mov_b32_e32 v20, 0
	;; [unrolled: 1-line block ×4, first 2 shown]
	v_cmp_ne_u16_sdwa s[2:3], v9, v5 src0_sel:BYTE_0 src1_sel:DWORD
	s_and_saveexec_b64 s[16:17], s[2:3]
	s_cbranch_execz .LBB204_625
; %bb.620:                              ;   in Loop: Header=BB204_424 Depth=1
	v_bfrev_b32_e32 v20, 1
	v_mov_b32_e32 v21, 0
	v_cmp_ne_u16_sdwa s[2:3], v9, s30 src0_sel:BYTE_0 src1_sel:DWORD
	s_and_saveexec_b64 s[18:19], s[2:3]
	s_cbranch_execz .LBB204_624
; %bb.621:                              ;   in Loop: Header=BB204_424 Depth=1
	v_bfe_u32 v0, v15, 16, 7
	v_mov_b32_e32 v20, 0x7f800001
	v_mov_b32_e32 v21, 0
	v_cmp_ne_u32_e64 s[2:3], s31, v0
	s_and_saveexec_b64 s[20:21], s[2:3]
	s_cbranch_execz .LBB204_623
; %bb.622:                              ;   in Loop: Header=BB204_424 Depth=1
	v_and_b32_e32 v24, 7, v9
	v_lshrrev_b32_e32 v25, 3, v0
	v_cmp_gt_u32_e64 s[2:3], 8, v0
	v_ffbh_u32_e32 v0, v24
	v_min_u32_e32 v0, 32, v0
	v_subrev_u32_e32 v20, 28, v0
	v_lshlrev_b64 v[20:21], v20, v[9:10]
	v_sub_u32_e32 v0, 29, v0
	v_and_b32_e32 v20, 7, v20
	v_cndmask_b32_e64 v0, v25, v0, s[2:3]
	v_cndmask_b32_e64 v20, v24, v20, s[2:3]
	v_bfrev_b32_e32 v21, 60
	v_lshlrev_b32_e32 v20, 20, v20
	v_and_b32_sdwa v9, sext(v9), s34 dst_sel:DWORD dst_unused:UNUSED_PAD src0_sel:BYTE_0 src1_sel:DWORD
	v_lshl_add_u32 v0, v0, 23, v21
	v_or3_b32 v20, v9, v0, v20
	v_mov_b32_e32 v21, v5
.LBB204_623:                            ;   in Loop: Header=BB204_424 Depth=1
	s_or_b64 exec, exec, s[20:21]
.LBB204_624:                            ;   in Loop: Header=BB204_424 Depth=1
	s_or_b64 exec, exec, s[18:19]
.LBB204_625:                            ;   in Loop: Header=BB204_424 Depth=1
	s_or_b64 exec, exec, s[16:17]
	v_cmp_lt_u32_e64 s[2:3], s35, v15
	s_and_saveexec_b64 s[16:17], s[2:3]
	s_cbranch_execz .LBB204_631
; %bb.626:                              ;   in Loop: Header=BB204_424 Depth=1
	v_mov_b32_e32 v23, v6
	v_cmp_ne_u32_sdwa s[2:3], v15, s30 src0_sel:BYTE_3 src1_sel:DWORD
	v_mov_b32_e32 v22, v5
	s_and_saveexec_b64 s[18:19], s[2:3]
	s_cbranch_execz .LBB204_630
; %bb.627:                              ;   in Loop: Header=BB204_424 Depth=1
	v_bfe_u32 v0, v15, 24, 7
	v_mov_b32_e32 v9, v5
	v_mov_b32_e32 v23, v10
	v_cmp_ne_u32_e64 s[2:3], s31, v0
	v_mov_b32_e32 v22, v9
	s_and_saveexec_b64 s[20:21], s[2:3]
	s_cbranch_execz .LBB204_629
; %bb.628:                              ;   in Loop: Header=BB204_424 Depth=1
	v_mov_b32_e32 v9, 7
	v_and_b32_sdwa v22, v15, v9 dst_sel:DWORD dst_unused:UNUSED_PAD src0_sel:BYTE_3 src1_sel:DWORD
	v_lshrrev_b32_e32 v9, 3, v0
	v_cmp_gt_u32_e64 s[2:3], 8, v0
	v_ffbh_u32_e32 v0, v22
	v_min_u32_e32 v0, 32, v0
	v_mov_b32_e32 v23, v5
	v_subrev_u32_e32 v24, 28, v0
	v_lshlrev_b64 v[23:24], v24, v[22:23]
	v_sub_u32_e32 v0, 29, v0
	v_and_b32_e32 v23, 7, v23
	v_cndmask_b32_e64 v0, v9, v0, s[2:3]
	v_cndmask_b32_e64 v9, v22, v23, s[2:3]
	v_mov_b32_e32 v22, 24
	v_lshlrev_b32_sdwa v15, v22, v15 dst_sel:DWORD dst_unused:UNUSED_PAD src0_sel:DWORD src1_sel:BYTE_3
	v_bfrev_b32_e32 v22, 60
	v_lshl_add_u32 v0, v0, 23, v22
	v_and_or_b32 v0, v15, s34, v0
	v_lshlrev_b32_e32 v9, 20, v9
	v_or_b32_e32 v23, v0, v9
	v_mov_b32_e32 v22, v5
.LBB204_629:                            ;   in Loop: Header=BB204_424 Depth=1
	s_or_b64 exec, exec, s[20:21]
.LBB204_630:                            ;   in Loop: Header=BB204_424 Depth=1
	s_or_b64 exec, exec, s[18:19]
.LBB204_631:                            ;   in Loop: Header=BB204_424 Depth=1
	s_or_b64 exec, exec, s[16:17]
	v_or_b32_e32 v0, v19, v17
	v_or_b32_e32 v9, v18, v16
	v_mul_f32_e32 v47, s41, v0
	v_mul_f32_e32 v0, s40, v9
	buffer_store_dword v0, off, s[60:63], 0 offset:16 ; 4-byte Folded Spill
	v_or_b32_e32 v0, v23, v21
	v_or_b32_e32 v9, v22, v20
	v_mul_f32_e32 v29, s40, v9
	v_mul_f32_e32 v55, s41, v0
	s_and_saveexec_b64 s[16:17], vcc
	s_cbranch_execz .LBB204_633
; %bb.632:                              ;   in Loop: Header=BB204_424 Depth=1
	buffer_load_dword v0, off, s[60:63], 0 offset:16 ; 4-byte Folded Reload
	v_cmp_gt_i32_e64 s[2:3], s25, v60
	s_waitcnt vmcnt(0)
	v_cndmask_b32_e64 v0, 0, v0, s[2:3]
	v_cmp_gt_i32_e64 s[2:3], s25, v27
	v_cndmask_b32_e64 v47, 0, v47, s[2:3]
	v_cmp_gt_i32_e64 s[2:3], s25, v56
	;; [unrolled: 2-line block ×3, first 2 shown]
	v_cndmask_b32_e64 v55, 0, v55, s[2:3]
	buffer_store_dword v0, off, s[60:63], 0 offset:16 ; 4-byte Folded Spill
.LBB204_633:                            ;   in Loop: Header=BB204_424 Depth=1
	s_or_b64 exec, exec, s[16:17]
	global_load_dword v15, v[13:14], off offset:2048
	v_mov_b32_e32 v18, 0
	v_mov_b32_e32 v16, 0
	;; [unrolled: 1-line block ×4, first 2 shown]
	s_waitcnt vmcnt(0)
	v_cmp_ne_u16_sdwa s[2:3], v15, v5 src0_sel:BYTE_0 src1_sel:DWORD
	s_and_saveexec_b64 s[16:17], s[2:3]
	s_cbranch_execz .LBB204_639
; %bb.634:                              ;   in Loop: Header=BB204_424 Depth=1
	v_bfrev_b32_e32 v16, 1
	v_mov_b32_e32 v17, 0
	v_cmp_ne_u16_sdwa s[2:3], v15, s30 src0_sel:BYTE_0 src1_sel:DWORD
	s_and_saveexec_b64 s[18:19], s[2:3]
	s_cbranch_execz .LBB204_638
; %bb.635:                              ;   in Loop: Header=BB204_424 Depth=1
	v_and_b32_e32 v0, 0x7f, v15
	v_mov_b32_e32 v16, 0x7f800001
	v_mov_b32_e32 v17, 0
	v_cmp_ne_u32_e64 s[2:3], s31, v0
	s_and_saveexec_b64 s[20:21], s[2:3]
	s_cbranch_execz .LBB204_637
; %bb.636:                              ;   in Loop: Header=BB204_424 Depth=1
	v_and_b32_e32 v9, 7, v15
	v_lshrrev_b32_e32 v20, 3, v0
	v_cmp_gt_u32_e64 s[2:3], 8, v0
	v_ffbh_u32_e32 v0, v9
	v_min_u32_e32 v0, 32, v0
	v_subrev_u32_e32 v16, 28, v0
	v_lshlrev_b64 v[16:17], v16, v[15:16]
	v_sub_u32_e32 v0, 29, v0
	v_and_b32_e32 v16, 7, v16
	v_cndmask_b32_e64 v0, v20, v0, s[2:3]
	v_cndmask_b32_e64 v9, v9, v16, s[2:3]
	v_bfrev_b32_e32 v17, 60
	v_lshlrev_b32_e32 v9, 20, v9
	v_and_b32_sdwa v16, sext(v15), s34 dst_sel:DWORD dst_unused:UNUSED_PAD src0_sel:BYTE_0 src1_sel:DWORD
	v_lshl_add_u32 v0, v0, 23, v17
	v_or3_b32 v16, v16, v0, v9
	v_mov_b32_e32 v17, v5
.LBB204_637:                            ;   in Loop: Header=BB204_424 Depth=1
	s_or_b64 exec, exec, s[20:21]
.LBB204_638:                            ;   in Loop: Header=BB204_424 Depth=1
	s_or_b64 exec, exec, s[18:19]
.LBB204_639:                            ;   in Loop: Header=BB204_424 Depth=1
	s_or_b64 exec, exec, s[16:17]
	v_cmp_ne_u16_sdwa s[2:3], v15, v5 src0_sel:BYTE_1 src1_sel:DWORD
	s_and_saveexec_b64 s[16:17], s[2:3]
	s_cbranch_execz .LBB204_645
; %bb.640:                              ;   in Loop: Header=BB204_424 Depth=1
	v_mov_b32_e32 v19, v6
	v_cmp_ne_u16_sdwa s[2:3], v15, s30 src0_sel:BYTE_1 src1_sel:DWORD
	v_mov_b32_e32 v18, v5
	s_and_saveexec_b64 s[18:19], s[2:3]
	s_cbranch_execz .LBB204_644
; %bb.641:                              ;   in Loop: Header=BB204_424 Depth=1
	v_and_b32_sdwa v0, v15, s31 dst_sel:DWORD dst_unused:UNUSED_PAD src0_sel:BYTE_1 src1_sel:DWORD
	v_mov_b32_e32 v9, v5
	v_mov_b32_e32 v19, v10
	v_cmp_ne_u32_e64 s[2:3], s31, v0
	v_mov_b32_e32 v18, v9
	s_and_saveexec_b64 s[20:21], s[2:3]
	s_cbranch_execz .LBB204_643
; %bb.642:                              ;   in Loop: Header=BB204_424 Depth=1
	v_mov_b32_e32 v9, 7
	v_and_b32_sdwa v18, v15, v9 dst_sel:DWORD dst_unused:UNUSED_PAD src0_sel:BYTE_1 src1_sel:DWORD
	v_lshrrev_b32_e32 v9, 3, v0
	v_cmp_gt_u32_e64 s[2:3], 8, v0
	v_ffbh_u32_e32 v0, v18
	v_min_u32_e32 v0, 32, v0
	v_mov_b32_e32 v19, v5
	v_subrev_u32_e32 v20, 28, v0
	v_lshlrev_b64 v[19:20], v20, v[18:19]
	v_sub_u32_e32 v0, 29, v0
	v_and_b32_e32 v19, 7, v19
	v_cndmask_b32_e64 v0, v9, v0, s[2:3]
	v_cndmask_b32_e64 v9, v18, v19, s[2:3]
	v_bfrev_b32_e32 v19, 60
	v_lshlrev_b32_e32 v18, 16, v15
	v_lshl_add_u32 v0, v0, 23, v19
	v_and_or_b32 v0, v18, s34, v0
	v_lshlrev_b32_e32 v9, 20, v9
	v_or_b32_e32 v19, v0, v9
	v_mov_b32_e32 v18, v5
.LBB204_643:                            ;   in Loop: Header=BB204_424 Depth=1
	s_or_b64 exec, exec, s[20:21]
.LBB204_644:                            ;   in Loop: Header=BB204_424 Depth=1
	s_or_b64 exec, exec, s[18:19]
.LBB204_645:                            ;   in Loop: Header=BB204_424 Depth=1
	s_or_b64 exec, exec, s[16:17]
	v_lshrrev_b32_e32 v9, 16, v15
	v_mov_b32_e32 v22, 0
	v_mov_b32_e32 v20, 0
	;; [unrolled: 1-line block ×4, first 2 shown]
	v_cmp_ne_u16_sdwa s[2:3], v9, v5 src0_sel:BYTE_0 src1_sel:DWORD
	s_and_saveexec_b64 s[16:17], s[2:3]
	s_cbranch_execz .LBB204_651
; %bb.646:                              ;   in Loop: Header=BB204_424 Depth=1
	v_bfrev_b32_e32 v20, 1
	v_mov_b32_e32 v21, 0
	v_cmp_ne_u16_sdwa s[2:3], v9, s30 src0_sel:BYTE_0 src1_sel:DWORD
	s_and_saveexec_b64 s[18:19], s[2:3]
	s_cbranch_execz .LBB204_650
; %bb.647:                              ;   in Loop: Header=BB204_424 Depth=1
	v_bfe_u32 v0, v15, 16, 7
	v_mov_b32_e32 v20, 0x7f800001
	v_mov_b32_e32 v21, 0
	v_cmp_ne_u32_e64 s[2:3], s31, v0
	s_and_saveexec_b64 s[20:21], s[2:3]
	s_cbranch_execz .LBB204_649
; %bb.648:                              ;   in Loop: Header=BB204_424 Depth=1
	v_and_b32_e32 v24, 7, v9
	v_lshrrev_b32_e32 v25, 3, v0
	v_cmp_gt_u32_e64 s[2:3], 8, v0
	v_ffbh_u32_e32 v0, v24
	v_min_u32_e32 v0, 32, v0
	v_subrev_u32_e32 v20, 28, v0
	v_lshlrev_b64 v[20:21], v20, v[9:10]
	v_sub_u32_e32 v0, 29, v0
	v_and_b32_e32 v20, 7, v20
	v_cndmask_b32_e64 v0, v25, v0, s[2:3]
	v_cndmask_b32_e64 v20, v24, v20, s[2:3]
	v_bfrev_b32_e32 v21, 60
	v_lshlrev_b32_e32 v20, 20, v20
	v_and_b32_sdwa v9, sext(v9), s34 dst_sel:DWORD dst_unused:UNUSED_PAD src0_sel:BYTE_0 src1_sel:DWORD
	v_lshl_add_u32 v0, v0, 23, v21
	v_or3_b32 v20, v9, v0, v20
	v_mov_b32_e32 v21, v5
.LBB204_649:                            ;   in Loop: Header=BB204_424 Depth=1
	s_or_b64 exec, exec, s[20:21]
.LBB204_650:                            ;   in Loop: Header=BB204_424 Depth=1
	s_or_b64 exec, exec, s[18:19]
.LBB204_651:                            ;   in Loop: Header=BB204_424 Depth=1
	s_or_b64 exec, exec, s[16:17]
	v_cmp_lt_u32_e64 s[2:3], s35, v15
	s_and_saveexec_b64 s[16:17], s[2:3]
	s_cbranch_execz .LBB204_657
; %bb.652:                              ;   in Loop: Header=BB204_424 Depth=1
	v_mov_b32_e32 v23, v6
	v_cmp_ne_u32_sdwa s[2:3], v15, s30 src0_sel:BYTE_3 src1_sel:DWORD
	v_mov_b32_e32 v22, v5
	s_and_saveexec_b64 s[18:19], s[2:3]
	s_cbranch_execz .LBB204_656
; %bb.653:                              ;   in Loop: Header=BB204_424 Depth=1
	v_bfe_u32 v0, v15, 24, 7
	v_mov_b32_e32 v9, v5
	v_mov_b32_e32 v23, v10
	v_cmp_ne_u32_e64 s[2:3], s31, v0
	v_mov_b32_e32 v22, v9
	s_and_saveexec_b64 s[20:21], s[2:3]
	s_cbranch_execz .LBB204_655
; %bb.654:                              ;   in Loop: Header=BB204_424 Depth=1
	v_mov_b32_e32 v9, 7
	v_and_b32_sdwa v22, v15, v9 dst_sel:DWORD dst_unused:UNUSED_PAD src0_sel:BYTE_3 src1_sel:DWORD
	v_lshrrev_b32_e32 v9, 3, v0
	v_cmp_gt_u32_e64 s[2:3], 8, v0
	v_ffbh_u32_e32 v0, v22
	v_min_u32_e32 v0, 32, v0
	v_mov_b32_e32 v23, v5
	v_subrev_u32_e32 v24, 28, v0
	v_lshlrev_b64 v[23:24], v24, v[22:23]
	v_sub_u32_e32 v0, 29, v0
	v_and_b32_e32 v23, 7, v23
	v_cndmask_b32_e64 v0, v9, v0, s[2:3]
	v_cndmask_b32_e64 v9, v22, v23, s[2:3]
	v_mov_b32_e32 v22, 24
	v_lshlrev_b32_sdwa v15, v22, v15 dst_sel:DWORD dst_unused:UNUSED_PAD src0_sel:DWORD src1_sel:BYTE_3
	v_bfrev_b32_e32 v22, 60
	v_lshl_add_u32 v0, v0, 23, v22
	v_and_or_b32 v0, v15, s34, v0
	v_lshlrev_b32_e32 v9, 20, v9
	v_or_b32_e32 v23, v0, v9
	v_mov_b32_e32 v22, v5
.LBB204_655:                            ;   in Loop: Header=BB204_424 Depth=1
	s_or_b64 exec, exec, s[20:21]
.LBB204_656:                            ;   in Loop: Header=BB204_424 Depth=1
	s_or_b64 exec, exec, s[18:19]
.LBB204_657:                            ;   in Loop: Header=BB204_424 Depth=1
	s_or_b64 exec, exec, s[16:17]
	v_or_b32_e32 v0, v19, v17
	v_or_b32_e32 v9, v18, v16
	v_mul_f32_e32 v0, s41, v0
	buffer_store_dword v0, off, s[60:63], 0 offset:24 ; 4-byte Folded Spill
	v_mul_f32_e32 v0, s40, v9
	buffer_store_dword v0, off, s[60:63], 0 offset:48 ; 4-byte Folded Spill
	v_or_b32_e32 v0, v23, v21
	v_or_b32_e32 v9, v22, v20
	v_mul_f32_e32 v9, s40, v9
	v_mul_f32_e32 v0, s41, v0
	buffer_store_dword v9, off, s[60:63], 0 offset:40 ; 4-byte Folded Spill
	buffer_store_dword v0, off, s[60:63], 0 offset:32 ; 4-byte Folded Spill
	s_and_saveexec_b64 s[16:17], vcc
	s_cbranch_execz .LBB204_659
; %bb.658:                              ;   in Loop: Header=BB204_424 Depth=1
	buffer_load_dword v0, off, s[60:63], 0 offset:48 ; 4-byte Folded Reload
	v_cmp_gt_i32_e64 s[2:3], s25, v60
	s_waitcnt vmcnt(0)
	v_cndmask_b32_e64 v0, 0, v0, s[2:3]
	buffer_store_dword v0, off, s[60:63], 0 offset:48 ; 4-byte Folded Spill
	buffer_load_dword v0, off, s[60:63], 0 offset:24 ; 4-byte Folded Reload
	v_cmp_gt_i32_e64 s[2:3], s25, v27
	s_waitcnt vmcnt(0)
	v_cndmask_b32_e64 v0, 0, v0, s[2:3]
	buffer_store_dword v0, off, s[60:63], 0 offset:24 ; 4-byte Folded Spill
	;; [unrolled: 5-line block ×4, first 2 shown]
.LBB204_659:                            ;   in Loop: Header=BB204_424 Depth=1
	s_or_b64 exec, exec, s[16:17]
	global_load_dword v15, v[13:14], off offset:2304
	v_mov_b32_e32 v18, 0
	v_mov_b32_e32 v16, 0
	;; [unrolled: 1-line block ×4, first 2 shown]
	s_waitcnt vmcnt(0)
	v_cmp_ne_u16_sdwa s[2:3], v15, v5 src0_sel:BYTE_0 src1_sel:DWORD
	s_and_saveexec_b64 s[16:17], s[2:3]
	s_cbranch_execz .LBB204_665
; %bb.660:                              ;   in Loop: Header=BB204_424 Depth=1
	v_bfrev_b32_e32 v16, 1
	v_mov_b32_e32 v17, 0
	v_cmp_ne_u16_sdwa s[2:3], v15, s30 src0_sel:BYTE_0 src1_sel:DWORD
	s_and_saveexec_b64 s[18:19], s[2:3]
	s_cbranch_execz .LBB204_664
; %bb.661:                              ;   in Loop: Header=BB204_424 Depth=1
	v_and_b32_e32 v0, 0x7f, v15
	v_mov_b32_e32 v16, 0x7f800001
	v_mov_b32_e32 v17, 0
	v_cmp_ne_u32_e64 s[2:3], s31, v0
	s_and_saveexec_b64 s[20:21], s[2:3]
	s_cbranch_execz .LBB204_663
; %bb.662:                              ;   in Loop: Header=BB204_424 Depth=1
	v_and_b32_e32 v9, 7, v15
	v_lshrrev_b32_e32 v20, 3, v0
	v_cmp_gt_u32_e64 s[2:3], 8, v0
	v_ffbh_u32_e32 v0, v9
	v_min_u32_e32 v0, 32, v0
	v_subrev_u32_e32 v16, 28, v0
	v_lshlrev_b64 v[16:17], v16, v[15:16]
	v_sub_u32_e32 v0, 29, v0
	v_and_b32_e32 v16, 7, v16
	v_cndmask_b32_e64 v0, v20, v0, s[2:3]
	v_cndmask_b32_e64 v9, v9, v16, s[2:3]
	v_bfrev_b32_e32 v17, 60
	v_lshlrev_b32_e32 v9, 20, v9
	v_and_b32_sdwa v16, sext(v15), s34 dst_sel:DWORD dst_unused:UNUSED_PAD src0_sel:BYTE_0 src1_sel:DWORD
	v_lshl_add_u32 v0, v0, 23, v17
	v_or3_b32 v16, v16, v0, v9
	v_mov_b32_e32 v17, v5
.LBB204_663:                            ;   in Loop: Header=BB204_424 Depth=1
	s_or_b64 exec, exec, s[20:21]
.LBB204_664:                            ;   in Loop: Header=BB204_424 Depth=1
	s_or_b64 exec, exec, s[18:19]
.LBB204_665:                            ;   in Loop: Header=BB204_424 Depth=1
	s_or_b64 exec, exec, s[16:17]
	v_cmp_ne_u16_sdwa s[2:3], v15, v5 src0_sel:BYTE_1 src1_sel:DWORD
	s_and_saveexec_b64 s[16:17], s[2:3]
	s_cbranch_execz .LBB204_671
; %bb.666:                              ;   in Loop: Header=BB204_424 Depth=1
	v_mov_b32_e32 v19, v6
	v_cmp_ne_u16_sdwa s[2:3], v15, s30 src0_sel:BYTE_1 src1_sel:DWORD
	v_mov_b32_e32 v18, v5
	s_and_saveexec_b64 s[18:19], s[2:3]
	s_cbranch_execz .LBB204_670
; %bb.667:                              ;   in Loop: Header=BB204_424 Depth=1
	v_and_b32_sdwa v0, v15, s31 dst_sel:DWORD dst_unused:UNUSED_PAD src0_sel:BYTE_1 src1_sel:DWORD
	v_mov_b32_e32 v9, v5
	v_mov_b32_e32 v19, v10
	v_cmp_ne_u32_e64 s[2:3], s31, v0
	v_mov_b32_e32 v18, v9
	s_and_saveexec_b64 s[20:21], s[2:3]
	s_cbranch_execz .LBB204_669
; %bb.668:                              ;   in Loop: Header=BB204_424 Depth=1
	v_mov_b32_e32 v9, 7
	v_and_b32_sdwa v18, v15, v9 dst_sel:DWORD dst_unused:UNUSED_PAD src0_sel:BYTE_1 src1_sel:DWORD
	v_lshrrev_b32_e32 v9, 3, v0
	v_cmp_gt_u32_e64 s[2:3], 8, v0
	v_ffbh_u32_e32 v0, v18
	v_min_u32_e32 v0, 32, v0
	v_mov_b32_e32 v19, v5
	v_subrev_u32_e32 v20, 28, v0
	v_lshlrev_b64 v[19:20], v20, v[18:19]
	v_sub_u32_e32 v0, 29, v0
	v_and_b32_e32 v19, 7, v19
	v_cndmask_b32_e64 v0, v9, v0, s[2:3]
	v_cndmask_b32_e64 v9, v18, v19, s[2:3]
	v_bfrev_b32_e32 v19, 60
	v_lshlrev_b32_e32 v18, 16, v15
	v_lshl_add_u32 v0, v0, 23, v19
	v_and_or_b32 v0, v18, s34, v0
	v_lshlrev_b32_e32 v9, 20, v9
	v_or_b32_e32 v19, v0, v9
	v_mov_b32_e32 v18, v5
.LBB204_669:                            ;   in Loop: Header=BB204_424 Depth=1
	s_or_b64 exec, exec, s[20:21]
.LBB204_670:                            ;   in Loop: Header=BB204_424 Depth=1
	s_or_b64 exec, exec, s[18:19]
.LBB204_671:                            ;   in Loop: Header=BB204_424 Depth=1
	s_or_b64 exec, exec, s[16:17]
	v_lshrrev_b32_e32 v9, 16, v15
	v_mov_b32_e32 v22, 0
	v_mov_b32_e32 v20, 0
	v_mov_b32_e32 v23, 0
	v_mov_b32_e32 v21, 0
	v_cmp_ne_u16_sdwa s[2:3], v9, v5 src0_sel:BYTE_0 src1_sel:DWORD
	s_and_saveexec_b64 s[16:17], s[2:3]
	s_cbranch_execz .LBB204_677
; %bb.672:                              ;   in Loop: Header=BB204_424 Depth=1
	v_bfrev_b32_e32 v20, 1
	v_mov_b32_e32 v21, 0
	v_cmp_ne_u16_sdwa s[2:3], v9, s30 src0_sel:BYTE_0 src1_sel:DWORD
	s_and_saveexec_b64 s[18:19], s[2:3]
	s_cbranch_execz .LBB204_676
; %bb.673:                              ;   in Loop: Header=BB204_424 Depth=1
	v_bfe_u32 v0, v15, 16, 7
	v_mov_b32_e32 v20, 0x7f800001
	v_mov_b32_e32 v21, 0
	v_cmp_ne_u32_e64 s[2:3], s31, v0
	s_and_saveexec_b64 s[20:21], s[2:3]
	s_cbranch_execz .LBB204_675
; %bb.674:                              ;   in Loop: Header=BB204_424 Depth=1
	v_and_b32_e32 v24, 7, v9
	v_lshrrev_b32_e32 v25, 3, v0
	v_cmp_gt_u32_e64 s[2:3], 8, v0
	v_ffbh_u32_e32 v0, v24
	v_min_u32_e32 v0, 32, v0
	v_subrev_u32_e32 v20, 28, v0
	v_lshlrev_b64 v[20:21], v20, v[9:10]
	v_sub_u32_e32 v0, 29, v0
	v_and_b32_e32 v20, 7, v20
	v_cndmask_b32_e64 v0, v25, v0, s[2:3]
	v_cndmask_b32_e64 v20, v24, v20, s[2:3]
	v_bfrev_b32_e32 v21, 60
	v_lshlrev_b32_e32 v20, 20, v20
	v_and_b32_sdwa v9, sext(v9), s34 dst_sel:DWORD dst_unused:UNUSED_PAD src0_sel:BYTE_0 src1_sel:DWORD
	v_lshl_add_u32 v0, v0, 23, v21
	v_or3_b32 v20, v9, v0, v20
	v_mov_b32_e32 v21, v5
.LBB204_675:                            ;   in Loop: Header=BB204_424 Depth=1
	s_or_b64 exec, exec, s[20:21]
.LBB204_676:                            ;   in Loop: Header=BB204_424 Depth=1
	s_or_b64 exec, exec, s[18:19]
.LBB204_677:                            ;   in Loop: Header=BB204_424 Depth=1
	s_or_b64 exec, exec, s[16:17]
	v_cmp_lt_u32_e64 s[2:3], s35, v15
	s_and_saveexec_b64 s[16:17], s[2:3]
	s_cbranch_execz .LBB204_683
; %bb.678:                              ;   in Loop: Header=BB204_424 Depth=1
	v_mov_b32_e32 v23, v6
	v_cmp_ne_u32_sdwa s[2:3], v15, s30 src0_sel:BYTE_3 src1_sel:DWORD
	v_mov_b32_e32 v22, v5
	s_and_saveexec_b64 s[18:19], s[2:3]
	s_cbranch_execz .LBB204_682
; %bb.679:                              ;   in Loop: Header=BB204_424 Depth=1
	v_bfe_u32 v0, v15, 24, 7
	v_mov_b32_e32 v9, v5
	v_mov_b32_e32 v23, v10
	v_cmp_ne_u32_e64 s[2:3], s31, v0
	v_mov_b32_e32 v22, v9
	s_and_saveexec_b64 s[20:21], s[2:3]
	s_cbranch_execz .LBB204_681
; %bb.680:                              ;   in Loop: Header=BB204_424 Depth=1
	v_mov_b32_e32 v9, 7
	v_and_b32_sdwa v22, v15, v9 dst_sel:DWORD dst_unused:UNUSED_PAD src0_sel:BYTE_3 src1_sel:DWORD
	v_lshrrev_b32_e32 v9, 3, v0
	v_cmp_gt_u32_e64 s[2:3], 8, v0
	v_ffbh_u32_e32 v0, v22
	v_min_u32_e32 v0, 32, v0
	v_mov_b32_e32 v23, v5
	v_subrev_u32_e32 v24, 28, v0
	v_lshlrev_b64 v[23:24], v24, v[22:23]
	v_sub_u32_e32 v0, 29, v0
	v_and_b32_e32 v23, 7, v23
	v_cndmask_b32_e64 v0, v9, v0, s[2:3]
	v_cndmask_b32_e64 v9, v22, v23, s[2:3]
	v_mov_b32_e32 v22, 24
	v_lshlrev_b32_sdwa v15, v22, v15 dst_sel:DWORD dst_unused:UNUSED_PAD src0_sel:DWORD src1_sel:BYTE_3
	v_bfrev_b32_e32 v22, 60
	v_lshl_add_u32 v0, v0, 23, v22
	v_and_or_b32 v0, v15, s34, v0
	v_lshlrev_b32_e32 v9, 20, v9
	v_or_b32_e32 v23, v0, v9
	v_mov_b32_e32 v22, v5
.LBB204_681:                            ;   in Loop: Header=BB204_424 Depth=1
	s_or_b64 exec, exec, s[20:21]
.LBB204_682:                            ;   in Loop: Header=BB204_424 Depth=1
	s_or_b64 exec, exec, s[18:19]
.LBB204_683:                            ;   in Loop: Header=BB204_424 Depth=1
	s_or_b64 exec, exec, s[16:17]
	v_or_b32_e32 v0, v19, v17
	v_or_b32_e32 v9, v18, v16
	v_mul_f32_e32 v0, s41, v0
	buffer_store_dword v0, off, s[60:63], 0 offset:56 ; 4-byte Folded Spill
	v_mul_f32_e32 v0, s40, v9
	buffer_store_dword v0, off, s[60:63], 0 offset:80 ; 4-byte Folded Spill
	v_or_b32_e32 v0, v23, v21
	v_or_b32_e32 v9, v22, v20
	v_mul_f32_e32 v9, s40, v9
	v_mul_f32_e32 v0, s41, v0
	buffer_store_dword v9, off, s[60:63], 0 offset:72 ; 4-byte Folded Spill
	buffer_store_dword v0, off, s[60:63], 0 offset:64 ; 4-byte Folded Spill
	s_and_saveexec_b64 s[16:17], vcc
	s_cbranch_execz .LBB204_685
; %bb.684:                              ;   in Loop: Header=BB204_424 Depth=1
	buffer_load_dword v0, off, s[60:63], 0 offset:80 ; 4-byte Folded Reload
	v_cmp_gt_i32_e64 s[2:3], s25, v60
	s_waitcnt vmcnt(0)
	v_cndmask_b32_e64 v0, 0, v0, s[2:3]
	buffer_store_dword v0, off, s[60:63], 0 offset:80 ; 4-byte Folded Spill
	buffer_load_dword v0, off, s[60:63], 0 offset:56 ; 4-byte Folded Reload
	v_cmp_gt_i32_e64 s[2:3], s25, v27
	s_waitcnt vmcnt(0)
	v_cndmask_b32_e64 v0, 0, v0, s[2:3]
	buffer_store_dword v0, off, s[60:63], 0 offset:56 ; 4-byte Folded Spill
	;; [unrolled: 5-line block ×4, first 2 shown]
.LBB204_685:                            ;   in Loop: Header=BB204_424 Depth=1
	s_or_b64 exec, exec, s[16:17]
	global_load_dword v15, v[13:14], off offset:2560
	v_mov_b32_e32 v18, 0
	v_mov_b32_e32 v16, 0
	;; [unrolled: 1-line block ×4, first 2 shown]
	s_waitcnt vmcnt(0)
	v_cmp_ne_u16_sdwa s[2:3], v15, v5 src0_sel:BYTE_0 src1_sel:DWORD
	s_and_saveexec_b64 s[16:17], s[2:3]
	s_cbranch_execz .LBB204_691
; %bb.686:                              ;   in Loop: Header=BB204_424 Depth=1
	v_bfrev_b32_e32 v16, 1
	v_mov_b32_e32 v17, 0
	v_cmp_ne_u16_sdwa s[2:3], v15, s30 src0_sel:BYTE_0 src1_sel:DWORD
	s_and_saveexec_b64 s[18:19], s[2:3]
	s_cbranch_execz .LBB204_690
; %bb.687:                              ;   in Loop: Header=BB204_424 Depth=1
	v_and_b32_e32 v0, 0x7f, v15
	v_mov_b32_e32 v16, 0x7f800001
	v_mov_b32_e32 v17, 0
	v_cmp_ne_u32_e64 s[2:3], s31, v0
	s_and_saveexec_b64 s[20:21], s[2:3]
	s_cbranch_execz .LBB204_689
; %bb.688:                              ;   in Loop: Header=BB204_424 Depth=1
	v_and_b32_e32 v9, 7, v15
	v_lshrrev_b32_e32 v20, 3, v0
	v_cmp_gt_u32_e64 s[2:3], 8, v0
	v_ffbh_u32_e32 v0, v9
	v_min_u32_e32 v0, 32, v0
	v_subrev_u32_e32 v16, 28, v0
	v_lshlrev_b64 v[16:17], v16, v[15:16]
	v_sub_u32_e32 v0, 29, v0
	v_and_b32_e32 v16, 7, v16
	v_cndmask_b32_e64 v0, v20, v0, s[2:3]
	v_cndmask_b32_e64 v9, v9, v16, s[2:3]
	v_bfrev_b32_e32 v17, 60
	v_lshlrev_b32_e32 v9, 20, v9
	v_and_b32_sdwa v16, sext(v15), s34 dst_sel:DWORD dst_unused:UNUSED_PAD src0_sel:BYTE_0 src1_sel:DWORD
	v_lshl_add_u32 v0, v0, 23, v17
	v_or3_b32 v16, v16, v0, v9
	v_mov_b32_e32 v17, v5
.LBB204_689:                            ;   in Loop: Header=BB204_424 Depth=1
	s_or_b64 exec, exec, s[20:21]
.LBB204_690:                            ;   in Loop: Header=BB204_424 Depth=1
	s_or_b64 exec, exec, s[18:19]
.LBB204_691:                            ;   in Loop: Header=BB204_424 Depth=1
	s_or_b64 exec, exec, s[16:17]
	v_cmp_ne_u16_sdwa s[2:3], v15, v5 src0_sel:BYTE_1 src1_sel:DWORD
	s_and_saveexec_b64 s[16:17], s[2:3]
	s_cbranch_execz .LBB204_697
; %bb.692:                              ;   in Loop: Header=BB204_424 Depth=1
	v_mov_b32_e32 v19, v6
	v_cmp_ne_u16_sdwa s[2:3], v15, s30 src0_sel:BYTE_1 src1_sel:DWORD
	v_mov_b32_e32 v18, v5
	s_and_saveexec_b64 s[18:19], s[2:3]
	s_cbranch_execz .LBB204_696
; %bb.693:                              ;   in Loop: Header=BB204_424 Depth=1
	v_and_b32_sdwa v0, v15, s31 dst_sel:DWORD dst_unused:UNUSED_PAD src0_sel:BYTE_1 src1_sel:DWORD
	v_mov_b32_e32 v9, v5
	v_mov_b32_e32 v19, v10
	v_cmp_ne_u32_e64 s[2:3], s31, v0
	v_mov_b32_e32 v18, v9
	s_and_saveexec_b64 s[20:21], s[2:3]
	s_cbranch_execz .LBB204_695
; %bb.694:                              ;   in Loop: Header=BB204_424 Depth=1
	v_mov_b32_e32 v9, 7
	v_and_b32_sdwa v18, v15, v9 dst_sel:DWORD dst_unused:UNUSED_PAD src0_sel:BYTE_1 src1_sel:DWORD
	v_lshrrev_b32_e32 v9, 3, v0
	v_cmp_gt_u32_e64 s[2:3], 8, v0
	v_ffbh_u32_e32 v0, v18
	v_min_u32_e32 v0, 32, v0
	v_mov_b32_e32 v19, v5
	v_subrev_u32_e32 v20, 28, v0
	v_lshlrev_b64 v[19:20], v20, v[18:19]
	v_sub_u32_e32 v0, 29, v0
	v_and_b32_e32 v19, 7, v19
	v_cndmask_b32_e64 v0, v9, v0, s[2:3]
	v_cndmask_b32_e64 v9, v18, v19, s[2:3]
	v_bfrev_b32_e32 v19, 60
	v_lshlrev_b32_e32 v18, 16, v15
	v_lshl_add_u32 v0, v0, 23, v19
	v_and_or_b32 v0, v18, s34, v0
	v_lshlrev_b32_e32 v9, 20, v9
	v_or_b32_e32 v19, v0, v9
	v_mov_b32_e32 v18, v5
.LBB204_695:                            ;   in Loop: Header=BB204_424 Depth=1
	s_or_b64 exec, exec, s[20:21]
.LBB204_696:                            ;   in Loop: Header=BB204_424 Depth=1
	s_or_b64 exec, exec, s[18:19]
.LBB204_697:                            ;   in Loop: Header=BB204_424 Depth=1
	s_or_b64 exec, exec, s[16:17]
	v_lshrrev_b32_e32 v9, 16, v15
	v_mov_b32_e32 v22, 0
	v_mov_b32_e32 v20, 0
	;; [unrolled: 1-line block ×4, first 2 shown]
	v_cmp_ne_u16_sdwa s[2:3], v9, v5 src0_sel:BYTE_0 src1_sel:DWORD
	s_and_saveexec_b64 s[16:17], s[2:3]
	s_cbranch_execz .LBB204_703
; %bb.698:                              ;   in Loop: Header=BB204_424 Depth=1
	v_bfrev_b32_e32 v20, 1
	v_mov_b32_e32 v21, 0
	v_cmp_ne_u16_sdwa s[2:3], v9, s30 src0_sel:BYTE_0 src1_sel:DWORD
	s_and_saveexec_b64 s[18:19], s[2:3]
	s_cbranch_execz .LBB204_702
; %bb.699:                              ;   in Loop: Header=BB204_424 Depth=1
	v_bfe_u32 v0, v15, 16, 7
	v_mov_b32_e32 v20, 0x7f800001
	v_mov_b32_e32 v21, 0
	v_cmp_ne_u32_e64 s[2:3], s31, v0
	s_and_saveexec_b64 s[20:21], s[2:3]
	s_cbranch_execz .LBB204_701
; %bb.700:                              ;   in Loop: Header=BB204_424 Depth=1
	v_and_b32_e32 v24, 7, v9
	v_lshrrev_b32_e32 v25, 3, v0
	v_cmp_gt_u32_e64 s[2:3], 8, v0
	v_ffbh_u32_e32 v0, v24
	v_min_u32_e32 v0, 32, v0
	v_subrev_u32_e32 v20, 28, v0
	v_lshlrev_b64 v[20:21], v20, v[9:10]
	v_sub_u32_e32 v0, 29, v0
	v_and_b32_e32 v20, 7, v20
	v_cndmask_b32_e64 v0, v25, v0, s[2:3]
	v_cndmask_b32_e64 v20, v24, v20, s[2:3]
	v_bfrev_b32_e32 v21, 60
	v_lshlrev_b32_e32 v20, 20, v20
	v_and_b32_sdwa v9, sext(v9), s34 dst_sel:DWORD dst_unused:UNUSED_PAD src0_sel:BYTE_0 src1_sel:DWORD
	v_lshl_add_u32 v0, v0, 23, v21
	v_or3_b32 v20, v9, v0, v20
	v_mov_b32_e32 v21, v5
.LBB204_701:                            ;   in Loop: Header=BB204_424 Depth=1
	s_or_b64 exec, exec, s[20:21]
.LBB204_702:                            ;   in Loop: Header=BB204_424 Depth=1
	s_or_b64 exec, exec, s[18:19]
.LBB204_703:                            ;   in Loop: Header=BB204_424 Depth=1
	s_or_b64 exec, exec, s[16:17]
	v_cmp_lt_u32_e64 s[2:3], s35, v15
	s_and_saveexec_b64 s[16:17], s[2:3]
	s_cbranch_execz .LBB204_709
; %bb.704:                              ;   in Loop: Header=BB204_424 Depth=1
	v_mov_b32_e32 v23, v6
	v_cmp_ne_u32_sdwa s[2:3], v15, s30 src0_sel:BYTE_3 src1_sel:DWORD
	v_mov_b32_e32 v22, v5
	s_and_saveexec_b64 s[18:19], s[2:3]
	s_cbranch_execz .LBB204_708
; %bb.705:                              ;   in Loop: Header=BB204_424 Depth=1
	v_bfe_u32 v0, v15, 24, 7
	v_mov_b32_e32 v9, v5
	v_mov_b32_e32 v23, v10
	v_cmp_ne_u32_e64 s[2:3], s31, v0
	v_mov_b32_e32 v22, v9
	s_and_saveexec_b64 s[20:21], s[2:3]
	s_cbranch_execz .LBB204_707
; %bb.706:                              ;   in Loop: Header=BB204_424 Depth=1
	v_mov_b32_e32 v9, 7
	v_and_b32_sdwa v22, v15, v9 dst_sel:DWORD dst_unused:UNUSED_PAD src0_sel:BYTE_3 src1_sel:DWORD
	v_lshrrev_b32_e32 v9, 3, v0
	v_cmp_gt_u32_e64 s[2:3], 8, v0
	v_ffbh_u32_e32 v0, v22
	v_min_u32_e32 v0, 32, v0
	v_mov_b32_e32 v23, v5
	v_subrev_u32_e32 v24, 28, v0
	v_lshlrev_b64 v[23:24], v24, v[22:23]
	v_sub_u32_e32 v0, 29, v0
	v_and_b32_e32 v23, 7, v23
	v_cndmask_b32_e64 v0, v9, v0, s[2:3]
	v_cndmask_b32_e64 v9, v22, v23, s[2:3]
	v_mov_b32_e32 v22, 24
	v_lshlrev_b32_sdwa v15, v22, v15 dst_sel:DWORD dst_unused:UNUSED_PAD src0_sel:DWORD src1_sel:BYTE_3
	v_bfrev_b32_e32 v22, 60
	v_lshl_add_u32 v0, v0, 23, v22
	v_and_or_b32 v0, v15, s34, v0
	v_lshlrev_b32_e32 v9, 20, v9
	v_or_b32_e32 v23, v0, v9
	v_mov_b32_e32 v22, v5
.LBB204_707:                            ;   in Loop: Header=BB204_424 Depth=1
	s_or_b64 exec, exec, s[20:21]
.LBB204_708:                            ;   in Loop: Header=BB204_424 Depth=1
	s_or_b64 exec, exec, s[18:19]
.LBB204_709:                            ;   in Loop: Header=BB204_424 Depth=1
	s_or_b64 exec, exec, s[16:17]
	v_or_b32_e32 v0, v19, v17
	v_or_b32_e32 v9, v18, v16
	v_mul_f32_e32 v0, s41, v0
	buffer_store_dword v0, off, s[60:63], 0 offset:88 ; 4-byte Folded Spill
	v_mul_f32_e32 v0, s40, v9
	buffer_store_dword v0, off, s[60:63], 0 offset:112 ; 4-byte Folded Spill
	v_or_b32_e32 v0, v23, v21
	v_or_b32_e32 v9, v22, v20
	v_mul_f32_e32 v9, s40, v9
	v_mul_f32_e32 v0, s41, v0
	buffer_store_dword v9, off, s[60:63], 0 offset:104 ; 4-byte Folded Spill
	buffer_store_dword v0, off, s[60:63], 0 offset:96 ; 4-byte Folded Spill
	s_and_saveexec_b64 s[16:17], vcc
	s_cbranch_execz .LBB204_711
; %bb.710:                              ;   in Loop: Header=BB204_424 Depth=1
	buffer_load_dword v0, off, s[60:63], 0 offset:112 ; 4-byte Folded Reload
	v_cmp_gt_i32_e64 s[2:3], s25, v60
	s_waitcnt vmcnt(0)
	v_cndmask_b32_e64 v0, 0, v0, s[2:3]
	buffer_store_dword v0, off, s[60:63], 0 offset:112 ; 4-byte Folded Spill
	buffer_load_dword v0, off, s[60:63], 0 offset:88 ; 4-byte Folded Reload
	v_cmp_gt_i32_e64 s[2:3], s25, v27
	s_waitcnt vmcnt(0)
	v_cndmask_b32_e64 v0, 0, v0, s[2:3]
	buffer_store_dword v0, off, s[60:63], 0 offset:88 ; 4-byte Folded Spill
	;; [unrolled: 5-line block ×4, first 2 shown]
.LBB204_711:                            ;   in Loop: Header=BB204_424 Depth=1
	s_or_b64 exec, exec, s[16:17]
	global_load_dword v15, v[13:14], off offset:2816
	v_mov_b32_e32 v18, 0
	v_mov_b32_e32 v16, 0
	;; [unrolled: 1-line block ×4, first 2 shown]
	s_waitcnt vmcnt(0)
	v_cmp_ne_u16_sdwa s[2:3], v15, v5 src0_sel:BYTE_0 src1_sel:DWORD
	s_and_saveexec_b64 s[16:17], s[2:3]
	s_cbranch_execz .LBB204_717
; %bb.712:                              ;   in Loop: Header=BB204_424 Depth=1
	v_bfrev_b32_e32 v16, 1
	v_mov_b32_e32 v17, 0
	v_cmp_ne_u16_sdwa s[2:3], v15, s30 src0_sel:BYTE_0 src1_sel:DWORD
	s_and_saveexec_b64 s[18:19], s[2:3]
	s_cbranch_execz .LBB204_716
; %bb.713:                              ;   in Loop: Header=BB204_424 Depth=1
	v_and_b32_e32 v0, 0x7f, v15
	v_mov_b32_e32 v16, 0x7f800001
	v_mov_b32_e32 v17, 0
	v_cmp_ne_u32_e64 s[2:3], s31, v0
	s_and_saveexec_b64 s[20:21], s[2:3]
	s_cbranch_execz .LBB204_715
; %bb.714:                              ;   in Loop: Header=BB204_424 Depth=1
	v_and_b32_e32 v9, 7, v15
	v_lshrrev_b32_e32 v20, 3, v0
	v_cmp_gt_u32_e64 s[2:3], 8, v0
	v_ffbh_u32_e32 v0, v9
	v_min_u32_e32 v0, 32, v0
	v_subrev_u32_e32 v16, 28, v0
	v_lshlrev_b64 v[16:17], v16, v[15:16]
	v_sub_u32_e32 v0, 29, v0
	v_and_b32_e32 v16, 7, v16
	v_cndmask_b32_e64 v0, v20, v0, s[2:3]
	v_cndmask_b32_e64 v9, v9, v16, s[2:3]
	v_bfrev_b32_e32 v17, 60
	v_lshlrev_b32_e32 v9, 20, v9
	v_and_b32_sdwa v16, sext(v15), s34 dst_sel:DWORD dst_unused:UNUSED_PAD src0_sel:BYTE_0 src1_sel:DWORD
	v_lshl_add_u32 v0, v0, 23, v17
	v_or3_b32 v16, v16, v0, v9
	v_mov_b32_e32 v17, v5
.LBB204_715:                            ;   in Loop: Header=BB204_424 Depth=1
	s_or_b64 exec, exec, s[20:21]
.LBB204_716:                            ;   in Loop: Header=BB204_424 Depth=1
	s_or_b64 exec, exec, s[18:19]
.LBB204_717:                            ;   in Loop: Header=BB204_424 Depth=1
	s_or_b64 exec, exec, s[16:17]
	v_cmp_ne_u16_sdwa s[2:3], v15, v5 src0_sel:BYTE_1 src1_sel:DWORD
	s_and_saveexec_b64 s[16:17], s[2:3]
	s_cbranch_execz .LBB204_723
; %bb.718:                              ;   in Loop: Header=BB204_424 Depth=1
	v_mov_b32_e32 v19, v6
	v_cmp_ne_u16_sdwa s[2:3], v15, s30 src0_sel:BYTE_1 src1_sel:DWORD
	v_mov_b32_e32 v18, v5
	s_and_saveexec_b64 s[18:19], s[2:3]
	s_cbranch_execz .LBB204_722
; %bb.719:                              ;   in Loop: Header=BB204_424 Depth=1
	v_and_b32_sdwa v0, v15, s31 dst_sel:DWORD dst_unused:UNUSED_PAD src0_sel:BYTE_1 src1_sel:DWORD
	v_mov_b32_e32 v9, v5
	v_mov_b32_e32 v19, v10
	v_cmp_ne_u32_e64 s[2:3], s31, v0
	v_mov_b32_e32 v18, v9
	s_and_saveexec_b64 s[20:21], s[2:3]
	s_cbranch_execz .LBB204_721
; %bb.720:                              ;   in Loop: Header=BB204_424 Depth=1
	v_mov_b32_e32 v9, 7
	v_and_b32_sdwa v18, v15, v9 dst_sel:DWORD dst_unused:UNUSED_PAD src0_sel:BYTE_1 src1_sel:DWORD
	v_lshrrev_b32_e32 v9, 3, v0
	v_cmp_gt_u32_e64 s[2:3], 8, v0
	v_ffbh_u32_e32 v0, v18
	v_min_u32_e32 v0, 32, v0
	v_mov_b32_e32 v19, v5
	v_subrev_u32_e32 v20, 28, v0
	v_lshlrev_b64 v[19:20], v20, v[18:19]
	v_sub_u32_e32 v0, 29, v0
	v_and_b32_e32 v19, 7, v19
	v_cndmask_b32_e64 v0, v9, v0, s[2:3]
	v_cndmask_b32_e64 v9, v18, v19, s[2:3]
	v_bfrev_b32_e32 v19, 60
	v_lshlrev_b32_e32 v18, 16, v15
	v_lshl_add_u32 v0, v0, 23, v19
	v_and_or_b32 v0, v18, s34, v0
	v_lshlrev_b32_e32 v9, 20, v9
	v_or_b32_e32 v19, v0, v9
	v_mov_b32_e32 v18, v5
.LBB204_721:                            ;   in Loop: Header=BB204_424 Depth=1
	s_or_b64 exec, exec, s[20:21]
.LBB204_722:                            ;   in Loop: Header=BB204_424 Depth=1
	s_or_b64 exec, exec, s[18:19]
.LBB204_723:                            ;   in Loop: Header=BB204_424 Depth=1
	s_or_b64 exec, exec, s[16:17]
	v_lshrrev_b32_e32 v9, 16, v15
	v_mov_b32_e32 v22, 0
	v_mov_b32_e32 v20, 0
	;; [unrolled: 1-line block ×4, first 2 shown]
	v_cmp_ne_u16_sdwa s[2:3], v9, v5 src0_sel:BYTE_0 src1_sel:DWORD
	s_and_saveexec_b64 s[16:17], s[2:3]
	s_cbranch_execz .LBB204_729
; %bb.724:                              ;   in Loop: Header=BB204_424 Depth=1
	v_bfrev_b32_e32 v20, 1
	v_mov_b32_e32 v21, 0
	v_cmp_ne_u16_sdwa s[2:3], v9, s30 src0_sel:BYTE_0 src1_sel:DWORD
	s_and_saveexec_b64 s[18:19], s[2:3]
	s_cbranch_execz .LBB204_728
; %bb.725:                              ;   in Loop: Header=BB204_424 Depth=1
	v_bfe_u32 v0, v15, 16, 7
	v_mov_b32_e32 v20, 0x7f800001
	v_mov_b32_e32 v21, 0
	v_cmp_ne_u32_e64 s[2:3], s31, v0
	s_and_saveexec_b64 s[20:21], s[2:3]
	s_cbranch_execz .LBB204_727
; %bb.726:                              ;   in Loop: Header=BB204_424 Depth=1
	v_and_b32_e32 v24, 7, v9
	v_lshrrev_b32_e32 v25, 3, v0
	v_cmp_gt_u32_e64 s[2:3], 8, v0
	v_ffbh_u32_e32 v0, v24
	v_min_u32_e32 v0, 32, v0
	v_subrev_u32_e32 v20, 28, v0
	v_lshlrev_b64 v[20:21], v20, v[9:10]
	v_sub_u32_e32 v0, 29, v0
	v_and_b32_e32 v20, 7, v20
	v_cndmask_b32_e64 v0, v25, v0, s[2:3]
	v_cndmask_b32_e64 v20, v24, v20, s[2:3]
	v_bfrev_b32_e32 v21, 60
	v_lshlrev_b32_e32 v20, 20, v20
	v_and_b32_sdwa v9, sext(v9), s34 dst_sel:DWORD dst_unused:UNUSED_PAD src0_sel:BYTE_0 src1_sel:DWORD
	v_lshl_add_u32 v0, v0, 23, v21
	v_or3_b32 v20, v9, v0, v20
	v_mov_b32_e32 v21, v5
.LBB204_727:                            ;   in Loop: Header=BB204_424 Depth=1
	s_or_b64 exec, exec, s[20:21]
.LBB204_728:                            ;   in Loop: Header=BB204_424 Depth=1
	s_or_b64 exec, exec, s[18:19]
.LBB204_729:                            ;   in Loop: Header=BB204_424 Depth=1
	s_or_b64 exec, exec, s[16:17]
	v_cmp_lt_u32_e64 s[2:3], s35, v15
	s_and_saveexec_b64 s[16:17], s[2:3]
	s_cbranch_execz .LBB204_735
; %bb.730:                              ;   in Loop: Header=BB204_424 Depth=1
	v_mov_b32_e32 v23, v6
	v_cmp_ne_u32_sdwa s[2:3], v15, s30 src0_sel:BYTE_3 src1_sel:DWORD
	v_mov_b32_e32 v22, v5
	s_and_saveexec_b64 s[18:19], s[2:3]
	s_cbranch_execz .LBB204_734
; %bb.731:                              ;   in Loop: Header=BB204_424 Depth=1
	v_bfe_u32 v0, v15, 24, 7
	v_mov_b32_e32 v9, v5
	v_mov_b32_e32 v23, v10
	v_cmp_ne_u32_e64 s[2:3], s31, v0
	v_mov_b32_e32 v22, v9
	s_and_saveexec_b64 s[20:21], s[2:3]
	s_cbranch_execz .LBB204_733
; %bb.732:                              ;   in Loop: Header=BB204_424 Depth=1
	v_mov_b32_e32 v9, 7
	v_and_b32_sdwa v22, v15, v9 dst_sel:DWORD dst_unused:UNUSED_PAD src0_sel:BYTE_3 src1_sel:DWORD
	v_lshrrev_b32_e32 v9, 3, v0
	v_cmp_gt_u32_e64 s[2:3], 8, v0
	v_ffbh_u32_e32 v0, v22
	v_min_u32_e32 v0, 32, v0
	v_mov_b32_e32 v23, v5
	v_subrev_u32_e32 v24, 28, v0
	v_lshlrev_b64 v[23:24], v24, v[22:23]
	v_sub_u32_e32 v0, 29, v0
	v_and_b32_e32 v23, 7, v23
	v_cndmask_b32_e64 v0, v9, v0, s[2:3]
	v_cndmask_b32_e64 v9, v22, v23, s[2:3]
	v_mov_b32_e32 v22, 24
	v_lshlrev_b32_sdwa v15, v22, v15 dst_sel:DWORD dst_unused:UNUSED_PAD src0_sel:DWORD src1_sel:BYTE_3
	v_bfrev_b32_e32 v22, 60
	v_lshl_add_u32 v0, v0, 23, v22
	v_and_or_b32 v0, v15, s34, v0
	v_lshlrev_b32_e32 v9, 20, v9
	v_or_b32_e32 v23, v0, v9
	v_mov_b32_e32 v22, v5
.LBB204_733:                            ;   in Loop: Header=BB204_424 Depth=1
	s_or_b64 exec, exec, s[20:21]
.LBB204_734:                            ;   in Loop: Header=BB204_424 Depth=1
	s_or_b64 exec, exec, s[18:19]
.LBB204_735:                            ;   in Loop: Header=BB204_424 Depth=1
	s_or_b64 exec, exec, s[16:17]
	v_or_b32_e32 v0, v19, v17
	v_or_b32_e32 v9, v18, v16
	v_mul_f32_e32 v24, s41, v0
	v_mul_f32_e32 v0, s40, v9
	v_or_b32_e32 v15, v22, v20
	buffer_store_dword v0, off, s[60:63], 0 offset:136 ; 4-byte Folded Spill
	v_or_b32_e32 v9, v23, v21
	v_mul_f32_e32 v0, s40, v15
	buffer_store_dword v0, off, s[60:63], 0 offset:128 ; 4-byte Folded Spill
	v_mul_f32_e32 v0, s41, v9
	buffer_store_dword v0, off, s[60:63], 0 offset:120 ; 4-byte Folded Spill
	s_and_saveexec_b64 s[16:17], vcc
	s_cbranch_execz .LBB204_737
; %bb.736:                              ;   in Loop: Header=BB204_424 Depth=1
	buffer_load_dword v0, off, s[60:63], 0 offset:136 ; 4-byte Folded Reload
	v_cmp_gt_i32_e64 s[2:3], s25, v60
	s_waitcnt vmcnt(0)
	v_cndmask_b32_e64 v0, 0, v0, s[2:3]
	buffer_store_dword v0, off, s[60:63], 0 offset:136 ; 4-byte Folded Spill
	buffer_load_dword v0, off, s[60:63], 0 offset:128 ; 4-byte Folded Reload
	v_cmp_gt_i32_e64 s[2:3], s25, v27
	v_cndmask_b32_e64 v24, 0, v24, s[2:3]
	v_cmp_gt_i32_e64 s[2:3], s25, v56
	s_waitcnt vmcnt(0)
	v_cndmask_b32_e64 v0, 0, v0, s[2:3]
	buffer_store_dword v0, off, s[60:63], 0 offset:128 ; 4-byte Folded Spill
	buffer_load_dword v0, off, s[60:63], 0 offset:120 ; 4-byte Folded Reload
	v_cmp_gt_i32_e64 s[2:3], s25, v32
	s_waitcnt vmcnt(0)
	v_cndmask_b32_e64 v0, 0, v0, s[2:3]
	buffer_store_dword v0, off, s[60:63], 0 offset:120 ; 4-byte Folded Spill
.LBB204_737:                            ;   in Loop: Header=BB204_424 Depth=1
	s_or_b64 exec, exec, s[16:17]
	global_load_dword v15, v[13:14], off offset:3072
	v_mov_b32_e32 v18, 0
	v_mov_b32_e32 v16, 0
	;; [unrolled: 1-line block ×4, first 2 shown]
	s_waitcnt vmcnt(0)
	v_cmp_ne_u16_sdwa s[2:3], v15, v5 src0_sel:BYTE_0 src1_sel:DWORD
	s_and_saveexec_b64 s[16:17], s[2:3]
	s_cbranch_execz .LBB204_743
; %bb.738:                              ;   in Loop: Header=BB204_424 Depth=1
	v_bfrev_b32_e32 v16, 1
	v_mov_b32_e32 v17, 0
	v_cmp_ne_u16_sdwa s[2:3], v15, s30 src0_sel:BYTE_0 src1_sel:DWORD
	s_and_saveexec_b64 s[18:19], s[2:3]
	s_cbranch_execz .LBB204_742
; %bb.739:                              ;   in Loop: Header=BB204_424 Depth=1
	v_and_b32_e32 v9, 0x7f, v15
	v_mov_b32_e32 v16, 0x7f800001
	v_mov_b32_e32 v17, 0
	v_cmp_ne_u32_e64 s[2:3], s31, v9
	s_and_saveexec_b64 s[20:21], s[2:3]
	s_cbranch_execz .LBB204_741
; %bb.740:                              ;   in Loop: Header=BB204_424 Depth=1
	v_and_b32_e32 v20, 7, v15
	v_lshrrev_b32_e32 v21, 3, v9
	v_cmp_gt_u32_e64 s[2:3], 8, v9
	v_ffbh_u32_e32 v9, v20
	v_min_u32_e32 v9, 32, v9
	v_subrev_u32_e32 v16, 28, v9
	v_lshlrev_b64 v[16:17], v16, v[15:16]
	v_sub_u32_e32 v9, 29, v9
	v_and_b32_e32 v16, 7, v16
	v_cndmask_b32_e64 v9, v21, v9, s[2:3]
	v_cndmask_b32_e64 v16, v20, v16, s[2:3]
	v_bfrev_b32_e32 v0, 60
	v_lshlrev_b32_e32 v16, 20, v16
	v_and_b32_sdwa v17, sext(v15), s34 dst_sel:DWORD dst_unused:UNUSED_PAD src0_sel:BYTE_0 src1_sel:DWORD
	v_lshl_add_u32 v9, v9, 23, v0
	v_or3_b32 v16, v17, v9, v16
	v_mov_b32_e32 v17, v5
.LBB204_741:                            ;   in Loop: Header=BB204_424 Depth=1
	s_or_b64 exec, exec, s[20:21]
.LBB204_742:                            ;   in Loop: Header=BB204_424 Depth=1
	s_or_b64 exec, exec, s[18:19]
.LBB204_743:                            ;   in Loop: Header=BB204_424 Depth=1
	s_or_b64 exec, exec, s[16:17]
	v_cmp_ne_u16_sdwa s[2:3], v15, v5 src0_sel:BYTE_1 src1_sel:DWORD
	s_and_saveexec_b64 s[16:17], s[2:3]
	s_cbranch_execz .LBB204_749
; %bb.744:                              ;   in Loop: Header=BB204_424 Depth=1
	v_mov_b32_e32 v19, v6
	v_cmp_ne_u16_sdwa s[2:3], v15, s30 src0_sel:BYTE_1 src1_sel:DWORD
	v_mov_b32_e32 v18, v5
	s_and_saveexec_b64 s[18:19], s[2:3]
	s_cbranch_execz .LBB204_748
; %bb.745:                              ;   in Loop: Header=BB204_424 Depth=1
	v_and_b32_sdwa v20, v15, s31 dst_sel:DWORD dst_unused:UNUSED_PAD src0_sel:BYTE_1 src1_sel:DWORD
	v_mov_b32_e32 v9, v5
	v_mov_b32_e32 v19, v10
	v_cmp_ne_u32_e64 s[2:3], s31, v20
	v_mov_b32_e32 v18, v9
	s_and_saveexec_b64 s[20:21], s[2:3]
	s_cbranch_execz .LBB204_747
; %bb.746:                              ;   in Loop: Header=BB204_424 Depth=1
	v_mov_b32_e32 v9, 7
	v_and_b32_sdwa v18, v15, v9 dst_sel:DWORD dst_unused:UNUSED_PAD src0_sel:BYTE_1 src1_sel:DWORD
	v_lshrrev_b32_e32 v9, 3, v20
	v_cmp_gt_u32_e64 s[2:3], 8, v20
	v_ffbh_u32_e32 v20, v18
	v_min_u32_e32 v21, 32, v20
	v_mov_b32_e32 v19, v5
	v_subrev_u32_e32 v20, 28, v21
	v_lshlrev_b64 v[19:20], v20, v[18:19]
	v_sub_u32_e32 v20, 29, v21
	v_and_b32_e32 v19, 7, v19
	v_cndmask_b32_e64 v9, v9, v20, s[2:3]
	v_bfrev_b32_e32 v0, 60
	v_cndmask_b32_e64 v18, v18, v19, s[2:3]
	v_lshlrev_b32_e32 v19, 16, v15
	v_lshl_add_u32 v9, v9, 23, v0
	v_and_or_b32 v9, v19, s34, v9
	v_lshlrev_b32_e32 v18, 20, v18
	v_or_b32_e32 v19, v9, v18
	v_mov_b32_e32 v18, v5
.LBB204_747:                            ;   in Loop: Header=BB204_424 Depth=1
	s_or_b64 exec, exec, s[20:21]
.LBB204_748:                            ;   in Loop: Header=BB204_424 Depth=1
	s_or_b64 exec, exec, s[18:19]
.LBB204_749:                            ;   in Loop: Header=BB204_424 Depth=1
	s_or_b64 exec, exec, s[16:17]
	v_mov_b32_e32 v22, 0
	v_mov_b32_e32 v20, 0
	v_lshrrev_b32_e32 v9, 16, v15
	v_mov_b32_e32 v23, 0
	v_mov_b32_e32 v21, 0
	v_cmp_ne_u16_sdwa s[2:3], v9, v5 src0_sel:BYTE_0 src1_sel:DWORD
	s_mov_b64 s[16:17], exec
	s_and_b64 s[2:3], s[16:17], s[2:3]
	buffer_store_dword v24, off, s[60:63], 0 offset:320 ; 4-byte Folded Spill
	s_mov_b64 exec, s[2:3]
	s_cbranch_execz .LBB204_755
; %bb.750:                              ;   in Loop: Header=BB204_424 Depth=1
	v_bfrev_b32_e32 v20, 1
	v_mov_b32_e32 v21, 0
	v_cmp_ne_u16_sdwa s[2:3], v9, s30 src0_sel:BYTE_0 src1_sel:DWORD
	s_and_saveexec_b64 s[18:19], s[2:3]
	s_cbranch_execz .LBB204_754
; %bb.751:                              ;   in Loop: Header=BB204_424 Depth=1
	v_bfe_u32 v24, v15, 16, 7
	v_mov_b32_e32 v20, 0x7f800001
	v_mov_b32_e32 v21, 0
	v_cmp_ne_u32_e64 s[2:3], s31, v24
	s_and_saveexec_b64 s[20:21], s[2:3]
	s_cbranch_execz .LBB204_753
; %bb.752:                              ;   in Loop: Header=BB204_424 Depth=1
	v_and_b32_e32 v25, 7, v9
	v_ffbh_u32_e32 v20, v25
	v_lshrrev_b32_e32 v26, 3, v24
	v_cmp_gt_u32_e64 s[2:3], 8, v24
	v_min_u32_e32 v24, 32, v20
	v_subrev_u32_e32 v20, 28, v24
	v_lshlrev_b64 v[20:21], v20, v[9:10]
	v_sub_u32_e32 v21, 29, v24
	v_and_b32_e32 v20, 7, v20
	v_cndmask_b32_e64 v21, v26, v21, s[2:3]
	v_cndmask_b32_e64 v20, v25, v20, s[2:3]
	v_bfrev_b32_e32 v0, 60
	v_lshlrev_b32_e32 v20, 20, v20
	v_and_b32_sdwa v9, sext(v9), s34 dst_sel:DWORD dst_unused:UNUSED_PAD src0_sel:BYTE_0 src1_sel:DWORD
	v_lshl_add_u32 v21, v21, 23, v0
	v_or3_b32 v20, v9, v21, v20
	v_mov_b32_e32 v21, v5
.LBB204_753:                            ;   in Loop: Header=BB204_424 Depth=1
	s_or_b64 exec, exec, s[20:21]
	buffer_load_dword v24, off, s[60:63], 0 offset:320 ; 4-byte Folded Reload
.LBB204_754:                            ;   in Loop: Header=BB204_424 Depth=1
	s_or_b64 exec, exec, s[18:19]
.LBB204_755:                            ;   in Loop: Header=BB204_424 Depth=1
	s_or_b64 exec, exec, s[16:17]
	v_cmp_lt_u32_e64 s[2:3], s35, v15
	s_and_saveexec_b64 s[16:17], s[2:3]
	s_cbranch_execz .LBB204_761
; %bb.756:                              ;   in Loop: Header=BB204_424 Depth=1
	v_mov_b32_e32 v23, v6
	v_cmp_ne_u32_sdwa s[2:3], v15, s30 src0_sel:BYTE_3 src1_sel:DWORD
	v_mov_b32_e32 v22, v5
	s_and_saveexec_b64 s[18:19], s[2:3]
	s_cbranch_execz .LBB204_760
; %bb.757:                              ;   in Loop: Header=BB204_424 Depth=1
	s_waitcnt vmcnt(0)
	v_bfe_u32 v24, v15, 24, 7
	v_mov_b32_e32 v9, v5
	v_mov_b32_e32 v23, v10
	v_cmp_ne_u32_e64 s[2:3], s31, v24
	v_mov_b32_e32 v22, v9
	s_and_saveexec_b64 s[20:21], s[2:3]
	s_cbranch_execz .LBB204_759
; %bb.758:                              ;   in Loop: Header=BB204_424 Depth=1
	v_mov_b32_e32 v9, 7
	v_and_b32_sdwa v22, v15, v9 dst_sel:DWORD dst_unused:UNUSED_PAD src0_sel:BYTE_3 src1_sel:DWORD
	v_lshrrev_b32_e32 v9, 3, v24
	v_cmp_gt_u32_e64 s[2:3], 8, v24
	v_ffbh_u32_e32 v24, v22
	v_min_u32_e32 v25, 32, v24
	v_mov_b32_e32 v23, v5
	v_subrev_u32_e32 v24, 28, v25
	v_lshlrev_b64 v[23:24], v24, v[22:23]
	v_sub_u32_e32 v24, 29, v25
	v_and_b32_e32 v23, 7, v23
	v_cndmask_b32_e64 v9, v9, v24, s[2:3]
	v_cndmask_b32_e64 v22, v22, v23, s[2:3]
	v_mov_b32_e32 v23, 24
	v_bfrev_b32_e32 v0, 60
	v_lshlrev_b32_sdwa v15, v23, v15 dst_sel:DWORD dst_unused:UNUSED_PAD src0_sel:DWORD src1_sel:BYTE_3
	v_lshl_add_u32 v9, v9, 23, v0
	v_and_or_b32 v9, v15, s34, v9
	v_lshlrev_b32_e32 v15, 20, v22
	v_or_b32_e32 v23, v9, v15
	v_mov_b32_e32 v22, v5
.LBB204_759:                            ;   in Loop: Header=BB204_424 Depth=1
	s_or_b64 exec, exec, s[20:21]
	buffer_load_dword v24, off, s[60:63], 0 offset:320 ; 4-byte Folded Reload
.LBB204_760:                            ;   in Loop: Header=BB204_424 Depth=1
	s_or_b64 exec, exec, s[18:19]
.LBB204_761:                            ;   in Loop: Header=BB204_424 Depth=1
	s_or_b64 exec, exec, s[16:17]
	v_or_b32_e32 v9, v19, v17
	v_or_b32_e32 v15, v18, v16
	v_mul_f32_e32 v0, s41, v9
	buffer_store_dword v0, off, s[60:63], 0 offset:152 ; 4-byte Folded Spill
	v_mul_f32_e32 v0, s40, v15
	v_or_b32_e32 v15, v22, v20
	buffer_store_dword v0, off, s[60:63], 0 offset:144 ; 4-byte Folded Spill
	v_or_b32_e32 v9, v23, v21
	v_mul_f32_e32 v0, s40, v15
	buffer_store_dword v0, off, s[60:63], 0 offset:168 ; 4-byte Folded Spill
	v_mul_f32_e32 v0, s41, v9
	buffer_store_dword v0, off, s[60:63], 0 offset:160 ; 4-byte Folded Spill
	s_and_saveexec_b64 s[16:17], vcc
	s_cbranch_execz .LBB204_763
; %bb.762:                              ;   in Loop: Header=BB204_424 Depth=1
	buffer_load_dword v0, off, s[60:63], 0 offset:144 ; 4-byte Folded Reload
	v_cmp_gt_i32_e64 s[2:3], s25, v60
	s_waitcnt vmcnt(0)
	v_cndmask_b32_e64 v0, 0, v0, s[2:3]
	buffer_store_dword v0, off, s[60:63], 0 offset:144 ; 4-byte Folded Spill
	buffer_load_dword v0, off, s[60:63], 0 offset:152 ; 4-byte Folded Reload
	v_cmp_gt_i32_e64 s[2:3], s25, v27
	s_waitcnt vmcnt(0)
	v_cndmask_b32_e64 v0, 0, v0, s[2:3]
	buffer_store_dword v0, off, s[60:63], 0 offset:152 ; 4-byte Folded Spill
	;; [unrolled: 5-line block ×4, first 2 shown]
.LBB204_763:                            ;   in Loop: Header=BB204_424 Depth=1
	s_or_b64 exec, exec, s[16:17]
	global_load_dword v15, v[13:14], off offset:3328
	v_mov_b32_e32 v18, 0
	v_mov_b32_e32 v16, 0
	;; [unrolled: 1-line block ×4, first 2 shown]
	s_waitcnt vmcnt(0)
	v_cmp_ne_u16_sdwa s[2:3], v15, v5 src0_sel:BYTE_0 src1_sel:DWORD
	s_and_saveexec_b64 s[16:17], s[2:3]
	s_cbranch_execz .LBB204_769
; %bb.764:                              ;   in Loop: Header=BB204_424 Depth=1
	v_bfrev_b32_e32 v16, 1
	v_mov_b32_e32 v17, 0
	v_cmp_ne_u16_sdwa s[2:3], v15, s30 src0_sel:BYTE_0 src1_sel:DWORD
	s_and_saveexec_b64 s[18:19], s[2:3]
	s_cbranch_execz .LBB204_768
; %bb.765:                              ;   in Loop: Header=BB204_424 Depth=1
	v_and_b32_e32 v9, 0x7f, v15
	v_mov_b32_e32 v16, 0x7f800001
	v_mov_b32_e32 v17, 0
	v_cmp_ne_u32_e64 s[2:3], s31, v9
	s_and_saveexec_b64 s[20:21], s[2:3]
	s_cbranch_execz .LBB204_767
; %bb.766:                              ;   in Loop: Header=BB204_424 Depth=1
	v_and_b32_e32 v20, 7, v15
	v_lshrrev_b32_e32 v21, 3, v9
	v_cmp_gt_u32_e64 s[2:3], 8, v9
	v_ffbh_u32_e32 v9, v20
	v_min_u32_e32 v9, 32, v9
	v_subrev_u32_e32 v16, 28, v9
	v_lshlrev_b64 v[16:17], v16, v[15:16]
	v_sub_u32_e32 v9, 29, v9
	v_and_b32_e32 v16, 7, v16
	v_cndmask_b32_e64 v9, v21, v9, s[2:3]
	v_cndmask_b32_e64 v16, v20, v16, s[2:3]
	v_bfrev_b32_e32 v0, 60
	v_lshlrev_b32_e32 v16, 20, v16
	v_and_b32_sdwa v17, sext(v15), s34 dst_sel:DWORD dst_unused:UNUSED_PAD src0_sel:BYTE_0 src1_sel:DWORD
	v_lshl_add_u32 v9, v9, 23, v0
	v_or3_b32 v16, v17, v9, v16
	v_mov_b32_e32 v17, v5
.LBB204_767:                            ;   in Loop: Header=BB204_424 Depth=1
	s_or_b64 exec, exec, s[20:21]
.LBB204_768:                            ;   in Loop: Header=BB204_424 Depth=1
	s_or_b64 exec, exec, s[18:19]
.LBB204_769:                            ;   in Loop: Header=BB204_424 Depth=1
	s_or_b64 exec, exec, s[16:17]
	v_cmp_ne_u16_sdwa s[2:3], v15, v5 src0_sel:BYTE_1 src1_sel:DWORD
	s_and_saveexec_b64 s[16:17], s[2:3]
	s_cbranch_execz .LBB204_775
; %bb.770:                              ;   in Loop: Header=BB204_424 Depth=1
	v_mov_b32_e32 v19, v6
	v_cmp_ne_u16_sdwa s[2:3], v15, s30 src0_sel:BYTE_1 src1_sel:DWORD
	v_mov_b32_e32 v18, v5
	s_and_saveexec_b64 s[18:19], s[2:3]
	s_cbranch_execz .LBB204_774
; %bb.771:                              ;   in Loop: Header=BB204_424 Depth=1
	v_and_b32_sdwa v20, v15, s31 dst_sel:DWORD dst_unused:UNUSED_PAD src0_sel:BYTE_1 src1_sel:DWORD
	v_mov_b32_e32 v9, v5
	v_mov_b32_e32 v19, v10
	v_cmp_ne_u32_e64 s[2:3], s31, v20
	v_mov_b32_e32 v18, v9
	s_and_saveexec_b64 s[20:21], s[2:3]
	s_cbranch_execz .LBB204_773
; %bb.772:                              ;   in Loop: Header=BB204_424 Depth=1
	v_mov_b32_e32 v9, 7
	v_and_b32_sdwa v18, v15, v9 dst_sel:DWORD dst_unused:UNUSED_PAD src0_sel:BYTE_1 src1_sel:DWORD
	v_lshrrev_b32_e32 v9, 3, v20
	v_cmp_gt_u32_e64 s[2:3], 8, v20
	v_ffbh_u32_e32 v20, v18
	v_min_u32_e32 v21, 32, v20
	v_mov_b32_e32 v19, v5
	v_subrev_u32_e32 v20, 28, v21
	v_lshlrev_b64 v[19:20], v20, v[18:19]
	v_sub_u32_e32 v20, 29, v21
	v_and_b32_e32 v19, 7, v19
	v_cndmask_b32_e64 v9, v9, v20, s[2:3]
	v_bfrev_b32_e32 v0, 60
	v_cndmask_b32_e64 v18, v18, v19, s[2:3]
	v_lshlrev_b32_e32 v19, 16, v15
	v_lshl_add_u32 v9, v9, 23, v0
	v_and_or_b32 v9, v19, s34, v9
	v_lshlrev_b32_e32 v18, 20, v18
	v_or_b32_e32 v19, v9, v18
	v_mov_b32_e32 v18, v5
.LBB204_773:                            ;   in Loop: Header=BB204_424 Depth=1
	s_or_b64 exec, exec, s[20:21]
.LBB204_774:                            ;   in Loop: Header=BB204_424 Depth=1
	s_or_b64 exec, exec, s[18:19]
.LBB204_775:                            ;   in Loop: Header=BB204_424 Depth=1
	s_or_b64 exec, exec, s[16:17]
	v_lshrrev_b32_e32 v9, 16, v15
	v_mov_b32_e32 v22, 0
	v_mov_b32_e32 v20, 0
	;; [unrolled: 1-line block ×4, first 2 shown]
	v_cmp_ne_u16_sdwa s[2:3], v9, v5 src0_sel:BYTE_0 src1_sel:DWORD
	s_and_saveexec_b64 s[16:17], s[2:3]
	s_cbranch_execz .LBB204_781
; %bb.776:                              ;   in Loop: Header=BB204_424 Depth=1
	v_bfrev_b32_e32 v20, 1
	v_mov_b32_e32 v21, 0
	v_cmp_ne_u16_sdwa s[2:3], v9, s30 src0_sel:BYTE_0 src1_sel:DWORD
	s_and_saveexec_b64 s[18:19], s[2:3]
	s_cbranch_execz .LBB204_780
; %bb.777:                              ;   in Loop: Header=BB204_424 Depth=1
	v_bfe_u32 v24, v15, 16, 7
	v_mov_b32_e32 v20, 0x7f800001
	v_mov_b32_e32 v21, 0
	v_cmp_ne_u32_e64 s[2:3], s31, v24
	s_and_saveexec_b64 s[20:21], s[2:3]
	s_cbranch_execz .LBB204_779
; %bb.778:                              ;   in Loop: Header=BB204_424 Depth=1
	v_and_b32_e32 v25, 7, v9
	v_ffbh_u32_e32 v20, v25
	v_lshrrev_b32_e32 v26, 3, v24
	v_cmp_gt_u32_e64 s[2:3], 8, v24
	v_min_u32_e32 v24, 32, v20
	v_subrev_u32_e32 v20, 28, v24
	v_lshlrev_b64 v[20:21], v20, v[9:10]
	v_sub_u32_e32 v21, 29, v24
	v_and_b32_e32 v20, 7, v20
	v_cndmask_b32_e64 v21, v26, v21, s[2:3]
	v_cndmask_b32_e64 v20, v25, v20, s[2:3]
	v_bfrev_b32_e32 v0, 60
	v_lshlrev_b32_e32 v20, 20, v20
	v_and_b32_sdwa v9, sext(v9), s34 dst_sel:DWORD dst_unused:UNUSED_PAD src0_sel:BYTE_0 src1_sel:DWORD
	v_lshl_add_u32 v21, v21, 23, v0
	v_or3_b32 v20, v9, v21, v20
	v_mov_b32_e32 v21, v5
.LBB204_779:                            ;   in Loop: Header=BB204_424 Depth=1
	s_or_b64 exec, exec, s[20:21]
	buffer_load_dword v24, off, s[60:63], 0 offset:320 ; 4-byte Folded Reload
.LBB204_780:                            ;   in Loop: Header=BB204_424 Depth=1
	s_or_b64 exec, exec, s[18:19]
.LBB204_781:                            ;   in Loop: Header=BB204_424 Depth=1
	s_or_b64 exec, exec, s[16:17]
	v_cmp_lt_u32_e64 s[2:3], s35, v15
	s_and_saveexec_b64 s[16:17], s[2:3]
	s_cbranch_execz .LBB204_787
; %bb.782:                              ;   in Loop: Header=BB204_424 Depth=1
	v_mov_b32_e32 v23, v6
	v_cmp_ne_u32_sdwa s[2:3], v15, s30 src0_sel:BYTE_3 src1_sel:DWORD
	v_mov_b32_e32 v22, v5
	s_and_saveexec_b64 s[18:19], s[2:3]
	s_cbranch_execz .LBB204_786
; %bb.783:                              ;   in Loop: Header=BB204_424 Depth=1
	s_waitcnt vmcnt(0)
	v_bfe_u32 v24, v15, 24, 7
	v_mov_b32_e32 v9, v5
	v_mov_b32_e32 v23, v10
	v_cmp_ne_u32_e64 s[2:3], s31, v24
	v_mov_b32_e32 v22, v9
	s_and_saveexec_b64 s[20:21], s[2:3]
	s_cbranch_execz .LBB204_785
; %bb.784:                              ;   in Loop: Header=BB204_424 Depth=1
	v_mov_b32_e32 v9, 7
	v_and_b32_sdwa v22, v15, v9 dst_sel:DWORD dst_unused:UNUSED_PAD src0_sel:BYTE_3 src1_sel:DWORD
	v_lshrrev_b32_e32 v9, 3, v24
	v_cmp_gt_u32_e64 s[2:3], 8, v24
	v_ffbh_u32_e32 v24, v22
	v_min_u32_e32 v25, 32, v24
	v_mov_b32_e32 v23, v5
	v_subrev_u32_e32 v24, 28, v25
	v_lshlrev_b64 v[23:24], v24, v[22:23]
	v_sub_u32_e32 v24, 29, v25
	v_and_b32_e32 v23, 7, v23
	v_cndmask_b32_e64 v9, v9, v24, s[2:3]
	v_cndmask_b32_e64 v22, v22, v23, s[2:3]
	v_mov_b32_e32 v23, 24
	v_bfrev_b32_e32 v0, 60
	v_lshlrev_b32_sdwa v15, v23, v15 dst_sel:DWORD dst_unused:UNUSED_PAD src0_sel:DWORD src1_sel:BYTE_3
	v_lshl_add_u32 v9, v9, 23, v0
	v_and_or_b32 v9, v15, s34, v9
	v_lshlrev_b32_e32 v15, 20, v22
	v_or_b32_e32 v23, v9, v15
	v_mov_b32_e32 v22, v5
.LBB204_785:                            ;   in Loop: Header=BB204_424 Depth=1
	s_or_b64 exec, exec, s[20:21]
	buffer_load_dword v24, off, s[60:63], 0 offset:320 ; 4-byte Folded Reload
.LBB204_786:                            ;   in Loop: Header=BB204_424 Depth=1
	s_or_b64 exec, exec, s[18:19]
.LBB204_787:                            ;   in Loop: Header=BB204_424 Depth=1
	s_or_b64 exec, exec, s[16:17]
	v_or_b32_e32 v9, v19, v17
	v_or_b32_e32 v15, v18, v16
	v_mul_f32_e32 v0, s41, v9
	v_mul_f32_e32 v25, s40, v15
	v_or_b32_e32 v15, v22, v20
	buffer_store_dword v0, off, s[60:63], 0 offset:192 ; 4-byte Folded Spill
	v_or_b32_e32 v9, v23, v21
	v_mul_f32_e32 v0, s40, v15
	buffer_store_dword v0, off, s[60:63], 0 offset:184 ; 4-byte Folded Spill
	v_mul_f32_e32 v0, s41, v9
	buffer_store_dword v0, off, s[60:63], 0 offset:176 ; 4-byte Folded Spill
	s_and_saveexec_b64 s[16:17], vcc
	s_cbranch_execz .LBB204_789
; %bb.788:                              ;   in Loop: Header=BB204_424 Depth=1
	buffer_load_dword v0, off, s[60:63], 0 offset:192 ; 4-byte Folded Reload
	v_cmp_gt_i32_e64 s[2:3], s25, v60
	v_cndmask_b32_e64 v25, 0, v25, s[2:3]
	v_cmp_gt_i32_e64 s[2:3], s25, v27
	s_waitcnt vmcnt(0)
	v_cndmask_b32_e64 v0, 0, v0, s[2:3]
	buffer_store_dword v0, off, s[60:63], 0 offset:192 ; 4-byte Folded Spill
	buffer_load_dword v0, off, s[60:63], 0 offset:184 ; 4-byte Folded Reload
	v_cmp_gt_i32_e64 s[2:3], s25, v56
	s_waitcnt vmcnt(0)
	v_cndmask_b32_e64 v0, 0, v0, s[2:3]
	buffer_store_dword v0, off, s[60:63], 0 offset:184 ; 4-byte Folded Spill
	buffer_load_dword v0, off, s[60:63], 0 offset:176 ; 4-byte Folded Reload
	v_cmp_gt_i32_e64 s[2:3], s25, v32
	s_waitcnt vmcnt(0)
	v_cndmask_b32_e64 v0, 0, v0, s[2:3]
	buffer_store_dword v0, off, s[60:63], 0 offset:176 ; 4-byte Folded Spill
.LBB204_789:                            ;   in Loop: Header=BB204_424 Depth=1
	s_or_b64 exec, exec, s[16:17]
	global_load_dword v13, v[13:14], off offset:3584
	v_mov_b32_e32 v16, 0
	v_mov_b32_e32 v14, 0
	;; [unrolled: 1-line block ×4, first 2 shown]
	s_waitcnt vmcnt(0)
	v_cmp_ne_u16_sdwa s[2:3], v13, v5 src0_sel:BYTE_0 src1_sel:DWORD
	s_and_saveexec_b64 s[16:17], s[2:3]
	s_cbranch_execz .LBB204_795
; %bb.790:                              ;   in Loop: Header=BB204_424 Depth=1
	v_bfrev_b32_e32 v14, 1
	v_mov_b32_e32 v15, 0
	v_cmp_ne_u16_sdwa s[2:3], v13, s30 src0_sel:BYTE_0 src1_sel:DWORD
	s_and_saveexec_b64 s[18:19], s[2:3]
	s_cbranch_execz .LBB204_794
; %bb.791:                              ;   in Loop: Header=BB204_424 Depth=1
	v_and_b32_e32 v9, 0x7f, v13
	v_mov_b32_e32 v14, 0x7f800001
	v_mov_b32_e32 v15, 0
	v_cmp_ne_u32_e64 s[2:3], s31, v9
	s_and_saveexec_b64 s[20:21], s[2:3]
	s_cbranch_execz .LBB204_793
; %bb.792:                              ;   in Loop: Header=BB204_424 Depth=1
	v_and_b32_e32 v18, 7, v13
	v_lshrrev_b32_e32 v19, 3, v9
	v_cmp_gt_u32_e64 s[2:3], 8, v9
	v_ffbh_u32_e32 v9, v18
	v_min_u32_e32 v9, 32, v9
	v_subrev_u32_e32 v14, 28, v9
	v_lshlrev_b64 v[14:15], v14, v[13:14]
	v_sub_u32_e32 v9, 29, v9
	v_and_b32_e32 v14, 7, v14
	v_cndmask_b32_e64 v9, v19, v9, s[2:3]
	v_cndmask_b32_e64 v14, v18, v14, s[2:3]
	v_bfrev_b32_e32 v0, 60
	v_lshlrev_b32_e32 v14, 20, v14
	v_and_b32_sdwa v15, sext(v13), s34 dst_sel:DWORD dst_unused:UNUSED_PAD src0_sel:BYTE_0 src1_sel:DWORD
	v_lshl_add_u32 v9, v9, 23, v0
	v_or3_b32 v14, v15, v9, v14
	v_mov_b32_e32 v15, v5
.LBB204_793:                            ;   in Loop: Header=BB204_424 Depth=1
	s_or_b64 exec, exec, s[20:21]
.LBB204_794:                            ;   in Loop: Header=BB204_424 Depth=1
	s_or_b64 exec, exec, s[18:19]
.LBB204_795:                            ;   in Loop: Header=BB204_424 Depth=1
	s_or_b64 exec, exec, s[16:17]
	v_cmp_ne_u16_sdwa s[2:3], v13, v5 src0_sel:BYTE_1 src1_sel:DWORD
	s_and_saveexec_b64 s[16:17], s[2:3]
	s_cbranch_execz .LBB204_801
; %bb.796:                              ;   in Loop: Header=BB204_424 Depth=1
	v_mov_b32_e32 v17, v6
	v_cmp_ne_u16_sdwa s[2:3], v13, s30 src0_sel:BYTE_1 src1_sel:DWORD
	v_mov_b32_e32 v16, v5
	s_and_saveexec_b64 s[18:19], s[2:3]
	s_cbranch_execz .LBB204_800
; %bb.797:                              ;   in Loop: Header=BB204_424 Depth=1
	v_and_b32_sdwa v18, v13, s31 dst_sel:DWORD dst_unused:UNUSED_PAD src0_sel:BYTE_1 src1_sel:DWORD
	v_mov_b32_e32 v9, v5
	v_mov_b32_e32 v17, v10
	v_cmp_ne_u32_e64 s[2:3], s31, v18
	v_mov_b32_e32 v16, v9
	s_and_saveexec_b64 s[20:21], s[2:3]
	s_cbranch_execz .LBB204_799
; %bb.798:                              ;   in Loop: Header=BB204_424 Depth=1
	v_mov_b32_e32 v9, 7
	v_and_b32_sdwa v16, v13, v9 dst_sel:DWORD dst_unused:UNUSED_PAD src0_sel:BYTE_1 src1_sel:DWORD
	v_lshrrev_b32_e32 v9, 3, v18
	v_cmp_gt_u32_e64 s[2:3], 8, v18
	v_ffbh_u32_e32 v18, v16
	v_min_u32_e32 v19, 32, v18
	v_mov_b32_e32 v17, v5
	v_subrev_u32_e32 v18, 28, v19
	v_lshlrev_b64 v[17:18], v18, v[16:17]
	v_sub_u32_e32 v18, 29, v19
	v_and_b32_e32 v17, 7, v17
	v_cndmask_b32_e64 v9, v9, v18, s[2:3]
	v_bfrev_b32_e32 v0, 60
	v_cndmask_b32_e64 v16, v16, v17, s[2:3]
	v_lshlrev_b32_e32 v17, 16, v13
	v_lshl_add_u32 v9, v9, 23, v0
	v_and_or_b32 v9, v17, s34, v9
	v_lshlrev_b32_e32 v16, 20, v16
	v_or_b32_e32 v17, v9, v16
	v_mov_b32_e32 v16, v5
.LBB204_799:                            ;   in Loop: Header=BB204_424 Depth=1
	s_or_b64 exec, exec, s[20:21]
.LBB204_800:                            ;   in Loop: Header=BB204_424 Depth=1
	s_or_b64 exec, exec, s[18:19]
.LBB204_801:                            ;   in Loop: Header=BB204_424 Depth=1
	s_or_b64 exec, exec, s[16:17]
	v_lshrrev_b32_e32 v9, 16, v13
	v_mov_b32_e32 v20, 0
	v_mov_b32_e32 v18, 0
	;; [unrolled: 1-line block ×4, first 2 shown]
	v_cmp_ne_u16_sdwa s[2:3], v9, v5 src0_sel:BYTE_0 src1_sel:DWORD
	s_and_saveexec_b64 s[16:17], s[2:3]
	s_cbranch_execz .LBB204_807
; %bb.802:                              ;   in Loop: Header=BB204_424 Depth=1
	v_bfrev_b32_e32 v18, 1
	v_mov_b32_e32 v19, 0
	v_cmp_ne_u16_sdwa s[2:3], v9, s30 src0_sel:BYTE_0 src1_sel:DWORD
	s_and_saveexec_b64 s[18:19], s[2:3]
	s_cbranch_execz .LBB204_806
; %bb.803:                              ;   in Loop: Header=BB204_424 Depth=1
	v_bfe_u32 v26, v13, 16, 7
	v_mov_b32_e32 v18, 0x7f800001
	v_mov_b32_e32 v19, 0
	v_cmp_ne_u32_e64 s[2:3], s31, v26
	s_and_saveexec_b64 s[20:21], s[2:3]
	s_cbranch_execz .LBB204_805
; %bb.804:                              ;   in Loop: Header=BB204_424 Depth=1
	v_and_b32_e32 v28, 7, v9
	v_ffbh_u32_e32 v18, v28
	v_mov_b32_e32 v0, v29
	v_lshrrev_b32_e32 v29, 3, v26
	v_cmp_gt_u32_e64 s[2:3], 8, v26
	v_min_u32_e32 v26, 32, v18
	v_subrev_u32_e32 v18, 28, v26
	v_lshlrev_b64 v[18:19], v18, v[9:10]
	v_sub_u32_e32 v19, 29, v26
	v_and_b32_e32 v18, 7, v18
	v_cndmask_b32_e64 v19, v29, v19, s[2:3]
	v_mov_b32_e32 v29, v0
	v_cndmask_b32_e64 v18, v28, v18, s[2:3]
	v_bfrev_b32_e32 v0, 60
	v_lshlrev_b32_e32 v18, 20, v18
	v_and_b32_sdwa v9, sext(v9), s34 dst_sel:DWORD dst_unused:UNUSED_PAD src0_sel:BYTE_0 src1_sel:DWORD
	v_lshl_add_u32 v19, v19, 23, v0
	v_or3_b32 v18, v9, v19, v18
	v_mov_b32_e32 v19, v5
.LBB204_805:                            ;   in Loop: Header=BB204_424 Depth=1
	s_or_b64 exec, exec, s[20:21]
.LBB204_806:                            ;   in Loop: Header=BB204_424 Depth=1
	s_or_b64 exec, exec, s[18:19]
.LBB204_807:                            ;   in Loop: Header=BB204_424 Depth=1
	s_or_b64 exec, exec, s[16:17]
	v_cmp_lt_u32_e64 s[2:3], s35, v13
	s_and_saveexec_b64 s[16:17], s[2:3]
	s_cbranch_execz .LBB204_813
; %bb.808:                              ;   in Loop: Header=BB204_424 Depth=1
	v_mov_b32_e32 v21, v6
	v_cmp_ne_u32_sdwa s[2:3], v13, s30 src0_sel:BYTE_3 src1_sel:DWORD
	v_mov_b32_e32 v20, v5
	s_and_saveexec_b64 s[18:19], s[2:3]
	s_cbranch_execz .LBB204_812
; %bb.809:                              ;   in Loop: Header=BB204_424 Depth=1
	v_bfe_u32 v26, v13, 24, 7
	v_mov_b32_e32 v9, v5
	v_mov_b32_e32 v21, v10
	v_cmp_ne_u32_e64 s[2:3], s31, v26
	v_mov_b32_e32 v20, v9
	s_and_saveexec_b64 s[20:21], s[2:3]
	s_cbranch_execz .LBB204_811
; %bb.810:                              ;   in Loop: Header=BB204_424 Depth=1
	v_mov_b32_e32 v9, 7
	v_and_b32_sdwa v20, v13, v9 dst_sel:DWORD dst_unused:UNUSED_PAD src0_sel:BYTE_3 src1_sel:DWORD
	v_lshrrev_b32_e32 v9, 3, v26
	v_cmp_gt_u32_e64 s[2:3], 8, v26
	v_ffbh_u32_e32 v26, v20
	v_min_u32_e32 v26, 32, v26
	v_mov_b32_e32 v21, v5
	v_subrev_u32_e32 v28, 28, v26
	v_mov_b32_e32 v0, v29
	v_lshlrev_b64 v[28:29], v28, v[20:21]
	v_sub_u32_e32 v21, 29, v26
	v_mov_b32_e32 v29, v0
	v_and_b32_e32 v26, 7, v28
	v_cndmask_b32_e64 v9, v9, v21, s[2:3]
	v_mov_b32_e32 v21, 24
	v_bfrev_b32_e32 v0, 60
	v_cndmask_b32_e64 v20, v20, v26, s[2:3]
	v_lshlrev_b32_sdwa v13, v21, v13 dst_sel:DWORD dst_unused:UNUSED_PAD src0_sel:DWORD src1_sel:BYTE_3
	v_lshl_add_u32 v9, v9, 23, v0
	v_and_or_b32 v9, v13, s34, v9
	v_lshlrev_b32_e32 v13, 20, v20
	v_or_b32_e32 v21, v9, v13
	v_mov_b32_e32 v20, v5
.LBB204_811:                            ;   in Loop: Header=BB204_424 Depth=1
	s_or_b64 exec, exec, s[20:21]
.LBB204_812:                            ;   in Loop: Header=BB204_424 Depth=1
	s_or_b64 exec, exec, s[18:19]
.LBB204_813:                            ;   in Loop: Header=BB204_424 Depth=1
	s_or_b64 exec, exec, s[16:17]
	v_or_b32_e32 v9, v17, v15
	v_or_b32_e32 v13, v16, v14
	v_mul_f32_e32 v26, s41, v9
	v_mul_f32_e32 v28, s40, v13
	v_or_b32_e32 v9, v21, v19
	v_or_b32_e32 v13, v20, v18
	v_mul_f32_e32 v21, s40, v13
	v_mul_f32_e32 v20, s41, v9
	s_and_saveexec_b64 s[16:17], vcc
; %bb.814:                              ;   in Loop: Header=BB204_424 Depth=1
	v_cmp_gt_i32_e64 s[2:3], s25, v60
	v_cndmask_b32_e64 v28, 0, v28, s[2:3]
	v_cmp_gt_i32_e64 s[2:3], s25, v27
	v_cndmask_b32_e64 v26, 0, v26, s[2:3]
	;; [unrolled: 2-line block ×4, first 2 shown]
; %bb.815:                              ;   in Loop: Header=BB204_424 Depth=1
	s_or_b64 exec, exec, s[16:17]
	buffer_load_dword v9, off, s[60:63], 0 offset:348 ; 4-byte Folded Reload
	v_mov_b32_e32 v14, 0
	v_mov_b32_e32 v15, 0
	s_waitcnt vmcnt(0)
	v_add_co_u32_e64 v11, s[2:3], v11, v9
	v_addc_co_u32_e64 v12, s[2:3], 0, v12, s[2:3]
	global_load_dword v11, v[11:12], off
	v_mov_b32_e32 v12, 0
	v_mov_b32_e32 v13, 0
	s_waitcnt vmcnt(0)
	v_cmp_ne_u16_sdwa s[2:3], v11, v5 src0_sel:BYTE_0 src1_sel:DWORD
	s_and_saveexec_b64 s[16:17], s[2:3]
	s_cbranch_execz .LBB204_821
; %bb.816:                              ;   in Loop: Header=BB204_424 Depth=1
	v_bfrev_b32_e32 v12, 1
	v_mov_b32_e32 v13, 0
	v_cmp_ne_u16_sdwa s[2:3], v11, s30 src0_sel:BYTE_0 src1_sel:DWORD
	s_and_saveexec_b64 s[18:19], s[2:3]
	s_cbranch_execz .LBB204_820
; %bb.817:                              ;   in Loop: Header=BB204_424 Depth=1
	v_and_b32_e32 v9, 0x7f, v11
	v_mov_b32_e32 v12, 0x7f800001
	v_mov_b32_e32 v13, 0
	v_cmp_ne_u32_e64 s[2:3], s31, v9
	s_and_saveexec_b64 s[20:21], s[2:3]
	s_cbranch_execz .LBB204_819
; %bb.818:                              ;   in Loop: Header=BB204_424 Depth=1
	v_and_b32_e32 v16, 7, v11
	v_lshrrev_b32_e32 v17, 3, v9
	v_cmp_gt_u32_e64 s[2:3], 8, v9
	v_ffbh_u32_e32 v9, v16
	v_min_u32_e32 v9, 32, v9
	v_subrev_u32_e32 v12, 28, v9
	v_lshlrev_b64 v[12:13], v12, v[11:12]
	v_sub_u32_e32 v9, 29, v9
	v_and_b32_e32 v12, 7, v12
	v_cndmask_b32_e64 v9, v17, v9, s[2:3]
	v_cndmask_b32_e64 v12, v16, v12, s[2:3]
	v_bfrev_b32_e32 v0, 60
	v_lshlrev_b32_e32 v12, 20, v12
	v_and_b32_sdwa v13, sext(v11), s34 dst_sel:DWORD dst_unused:UNUSED_PAD src0_sel:BYTE_0 src1_sel:DWORD
	v_lshl_add_u32 v9, v9, 23, v0
	v_or3_b32 v12, v13, v9, v12
	v_mov_b32_e32 v13, v5
.LBB204_819:                            ;   in Loop: Header=BB204_424 Depth=1
	s_or_b64 exec, exec, s[20:21]
.LBB204_820:                            ;   in Loop: Header=BB204_424 Depth=1
	s_or_b64 exec, exec, s[18:19]
.LBB204_821:                            ;   in Loop: Header=BB204_424 Depth=1
	s_or_b64 exec, exec, s[16:17]
	v_cmp_ne_u16_sdwa s[2:3], v11, v5 src0_sel:BYTE_1 src1_sel:DWORD
	s_and_saveexec_b64 s[16:17], s[2:3]
	s_cbranch_execz .LBB204_827
; %bb.822:                              ;   in Loop: Header=BB204_424 Depth=1
	v_mov_b32_e32 v15, v6
	v_cmp_ne_u16_sdwa s[2:3], v11, s30 src0_sel:BYTE_1 src1_sel:DWORD
	v_mov_b32_e32 v14, v5
	s_and_saveexec_b64 s[18:19], s[2:3]
	s_cbranch_execz .LBB204_826
; %bb.823:                              ;   in Loop: Header=BB204_424 Depth=1
	v_and_b32_sdwa v16, v11, s31 dst_sel:DWORD dst_unused:UNUSED_PAD src0_sel:BYTE_1 src1_sel:DWORD
	v_mov_b32_e32 v9, v5
	v_mov_b32_e32 v15, v10
	v_cmp_ne_u32_e64 s[2:3], s31, v16
	v_mov_b32_e32 v14, v9
	s_and_saveexec_b64 s[20:21], s[2:3]
	s_cbranch_execz .LBB204_825
; %bb.824:                              ;   in Loop: Header=BB204_424 Depth=1
	v_mov_b32_e32 v9, 7
	v_and_b32_sdwa v14, v11, v9 dst_sel:DWORD dst_unused:UNUSED_PAD src0_sel:BYTE_1 src1_sel:DWORD
	v_lshrrev_b32_e32 v9, 3, v16
	v_cmp_gt_u32_e64 s[2:3], 8, v16
	v_ffbh_u32_e32 v16, v14
	v_min_u32_e32 v17, 32, v16
	v_mov_b32_e32 v15, v5
	v_subrev_u32_e32 v16, 28, v17
	v_lshlrev_b64 v[15:16], v16, v[14:15]
	v_sub_u32_e32 v16, 29, v17
	v_and_b32_e32 v15, 7, v15
	v_cndmask_b32_e64 v9, v9, v16, s[2:3]
	v_bfrev_b32_e32 v0, 60
	v_cndmask_b32_e64 v14, v14, v15, s[2:3]
	v_lshlrev_b32_e32 v15, 16, v11
	v_lshl_add_u32 v9, v9, 23, v0
	v_and_or_b32 v9, v15, s34, v9
	v_lshlrev_b32_e32 v14, 20, v14
	v_or_b32_e32 v15, v9, v14
	v_mov_b32_e32 v14, v5
.LBB204_825:                            ;   in Loop: Header=BB204_424 Depth=1
	s_or_b64 exec, exec, s[20:21]
.LBB204_826:                            ;   in Loop: Header=BB204_424 Depth=1
	s_or_b64 exec, exec, s[18:19]
.LBB204_827:                            ;   in Loop: Header=BB204_424 Depth=1
	s_or_b64 exec, exec, s[16:17]
	v_lshrrev_b32_e32 v9, 16, v11
	v_mov_b32_e32 v18, 0
	v_mov_b32_e32 v16, 0
	;; [unrolled: 1-line block ×4, first 2 shown]
	v_cmp_ne_u16_sdwa s[2:3], v9, v5 src0_sel:BYTE_0 src1_sel:DWORD
	s_and_saveexec_b64 s[16:17], s[2:3]
	s_cbranch_execz .LBB204_833
; %bb.828:                              ;   in Loop: Header=BB204_424 Depth=1
	v_bfrev_b32_e32 v16, 1
	v_mov_b32_e32 v17, 0
	v_cmp_ne_u16_sdwa s[2:3], v9, s30 src0_sel:BYTE_0 src1_sel:DWORD
	s_and_saveexec_b64 s[18:19], s[2:3]
	s_cbranch_execz .LBB204_832
; %bb.829:                              ;   in Loop: Header=BB204_424 Depth=1
	v_mov_b32_e32 v22, v29
	v_bfe_u32 v29, v11, 16, 7
	v_mov_b32_e32 v16, 0x7f800001
	v_mov_b32_e32 v17, 0
	v_cmp_ne_u32_e64 s[2:3], s31, v29
	s_and_saveexec_b64 s[20:21], s[2:3]
	s_cbranch_execz .LBB204_831
; %bb.830:                              ;   in Loop: Header=BB204_424 Depth=1
	v_mov_b32_e32 v0, v27
	v_mov_b32_e32 v27, v56
	;; [unrolled: 1-line block ×6, first 2 shown]
	v_and_b32_e32 v32, 7, v9
	v_ffbh_u32_e32 v16, v32
	v_mov_b32_e32 v24, v55
	v_mov_b32_e32 v55, v53
	;; [unrolled: 1-line block ×20, first 2 shown]
	v_lshrrev_b32_e32 v31, 3, v29
	v_cmp_gt_u32_e64 s[2:3], 8, v29
	v_min_u32_e32 v29, 32, v16
	v_subrev_u32_e32 v16, 28, v29
	v_lshlrev_b64 v[16:17], v16, v[9:10]
	v_sub_u32_e32 v17, 29, v29
	v_cndmask_b32_e64 v17, v31, v17, s[2:3]
	v_mov_b32_e32 v31, v60
	v_mov_b32_e32 v60, v34
	;; [unrolled: 1-line block ×20, first 2 shown]
	buffer_load_dword v24, off, s[60:63], 0 offset:320 ; 4-byte Folded Reload
	v_and_b32_e32 v16, 7, v16
	v_cndmask_b32_e64 v16, v32, v16, s[2:3]
	v_mov_b32_e32 v32, v36
	v_mov_b32_e32 v36, v40
	;; [unrolled: 1-line block ×6, first 2 shown]
	v_bfrev_b32_e32 v0, 60
	v_lshlrev_b32_e32 v16, 20, v16
	v_and_b32_sdwa v9, sext(v9), s34 dst_sel:DWORD dst_unused:UNUSED_PAD src0_sel:BYTE_0 src1_sel:DWORD
	v_lshl_add_u32 v17, v17, 23, v0
	v_or3_b32 v16, v9, v17, v16
	v_mov_b32_e32 v17, v5
.LBB204_831:                            ;   in Loop: Header=BB204_424 Depth=1
	s_or_b64 exec, exec, s[20:21]
	v_mov_b32_e32 v29, v22
.LBB204_832:                            ;   in Loop: Header=BB204_424 Depth=1
	s_or_b64 exec, exec, s[18:19]
.LBB204_833:                            ;   in Loop: Header=BB204_424 Depth=1
	s_or_b64 exec, exec, s[16:17]
	v_cmp_lt_u32_e64 s[2:3], s35, v11
	s_and_saveexec_b64 s[16:17], s[2:3]
	s_cbranch_execz .LBB204_839
; %bb.834:                              ;   in Loop: Header=BB204_424 Depth=1
	v_mov_b32_e32 v19, v6
	v_cmp_ne_u32_sdwa s[2:3], v11, s30 src0_sel:BYTE_3 src1_sel:DWORD
	v_mov_b32_e32 v18, v5
	s_and_saveexec_b64 s[18:19], s[2:3]
	s_cbranch_execz .LBB204_838
; %bb.835:                              ;   in Loop: Header=BB204_424 Depth=1
	v_mov_b32_e32 v23, v29
	v_bfe_u32 v29, v11, 24, 7
	v_mov_b32_e32 v9, v5
	v_mov_b32_e32 v19, v10
	v_cmp_ne_u32_e64 s[2:3], s31, v29
	v_mov_b32_e32 v18, v9
	s_and_saveexec_b64 s[20:21], s[2:3]
	s_cbranch_execz .LBB204_837
; %bb.836:                              ;   in Loop: Header=BB204_424 Depth=1
	v_mov_b32_e32 v9, 7
	v_and_b32_sdwa v18, v11, v9 dst_sel:DWORD dst_unused:UNUSED_PAD src0_sel:BYTE_3 src1_sel:DWORD
	v_lshrrev_b32_e32 v9, 3, v29
	v_cmp_gt_u32_e64 s[2:3], 8, v29
	v_ffbh_u32_e32 v29, v18
	v_mov_b32_e32 v0, v27
	v_mov_b32_e32 v27, v56
	;; [unrolled: 1-line block ×12, first 2 shown]
	v_min_u32_e32 v31, 32, v29
	v_mov_b32_e32 v19, v5
	v_subrev_u32_e32 v29, 28, v31
	s_waitcnt vmcnt(0)
	v_mov_b32_e32 v24, v47
	v_mov_b32_e32 v47, v50
	;; [unrolled: 1-line block ×20, first 2 shown]
	v_lshlrev_b64 v[58:59], v29, v[18:19]
	v_mov_b32_e32 v59, v61
	v_mov_b32_e32 v61, v33
	;; [unrolled: 1-line block ×14, first 2 shown]
	buffer_load_dword v24, off, s[60:63], 0 offset:320 ; 4-byte Folded Reload
	v_sub_u32_e32 v19, 29, v31
	v_mov_b32_e32 v31, v54
	v_mov_b32_e32 v54, v60
	;; [unrolled: 1-line block ×12, first 2 shown]
	v_and_b32_e32 v29, 7, v58
	v_bfrev_b32_e32 v0, 60
	v_cndmask_b32_e64 v9, v9, v19, s[2:3]
	v_mov_b32_e32 v19, 24
	v_cndmask_b32_e64 v18, v18, v29, s[2:3]
	v_lshlrev_b32_sdwa v11, v19, v11 dst_sel:DWORD dst_unused:UNUSED_PAD src0_sel:DWORD src1_sel:BYTE_3
	v_lshl_add_u32 v9, v9, 23, v0
	v_and_or_b32 v9, v11, s34, v9
	v_lshlrev_b32_e32 v11, 20, v18
	v_mov_b32_e32 v58, v63
	v_mov_b32_e32 v63, v35
	;; [unrolled: 1-line block ×6, first 2 shown]
	v_or_b32_e32 v19, v9, v11
	v_mov_b32_e32 v18, v5
.LBB204_837:                            ;   in Loop: Header=BB204_424 Depth=1
	s_or_b64 exec, exec, s[20:21]
	v_mov_b32_e32 v29, v23
.LBB204_838:                            ;   in Loop: Header=BB204_424 Depth=1
	s_or_b64 exec, exec, s[18:19]
.LBB204_839:                            ;   in Loop: Header=BB204_424 Depth=1
	s_or_b64 exec, exec, s[16:17]
	v_or_b32_e32 v11, v14, v12
	v_or_b32_e32 v9, v15, v13
	v_mul_f32_e32 v13, s40, v11
	v_or_b32_e32 v11, v19, v17
	v_or_b32_e32 v12, v18, v16
	v_mul_f32_e32 v9, s41, v9
	v_mul_f32_e32 v12, s40, v12
	;; [unrolled: 1-line block ×3, first 2 shown]
	s_and_saveexec_b64 s[2:3], vcc
	s_cbranch_execz .LBB204_422
; %bb.840:                              ;   in Loop: Header=BB204_424 Depth=1
	v_cmp_gt_i32_e32 vcc, s25, v60
	v_cndmask_b32_e32 v13, 0, v13, vcc
	v_cmp_gt_i32_e32 vcc, s25, v27
	v_cndmask_b32_e32 v9, 0, v9, vcc
	v_cmp_gt_i32_e32 vcc, s25, v56
	v_cndmask_b32_e32 v12, 0, v12, vcc
	v_cmp_gt_i32_e32 vcc, s25, v32
	v_cndmask_b32_e32 v11, 0, v11, vcc
	s_branch .LBB204_422
.LBB204_841:
	s_or_b64 exec, exec, s[10:11]
	buffer_load_dword v22, off, s[60:63], 0 offset:380 ; 4-byte Folded Reload
	buffer_load_dword v17, off, s[60:63], 0 offset:396 ; 4-byte Folded Reload
	;; [unrolled: 1-line block ×5, first 2 shown]
.LBB204_842:
	s_or_b64 exec, exec, s[4:5]
	buffer_load_dword v6, off, s[60:63], 0 offset:312 ; 4-byte Folded Reload
	buffer_load_dword v5, off, s[60:63], 0 offset:304 ; 4-byte Folded Reload
	;; [unrolled: 1-line block ×11, first 2 shown]
	s_waitcnt vmcnt(10)
	ds_bpermute_b32 v1, v17, v6
	s_waitcnt vmcnt(9)
	ds_bpermute_b32 v2, v17, v5
	s_waitcnt vmcnt(8)
	ds_bpermute_b32 v7, v17, v9
	s_waitcnt lgkmcnt(2)
	v_add_f32_e32 v1, v6, v1
	s_waitcnt lgkmcnt(1)
	v_add_f32_e32 v2, v5, v2
	s_waitcnt vmcnt(3)
	ds_bpermute_b32 v0, v17, v4
	ds_bpermute_b32 v5, v20, v1
	;; [unrolled: 1-line block ×3, first 2 shown]
	s_waitcnt lgkmcnt(2)
	v_add_f32_e32 v0, v4, v0
	s_waitcnt lgkmcnt(1)
	v_add_f32_e32 v1, v1, v5
	ds_bpermute_b32 v4, v20, v0
	ds_bpermute_b32 v5, v23, v1
	s_waitcnt lgkmcnt(2)
	v_add_f32_e32 v2, v2, v6
	ds_bpermute_b32 v6, v23, v2
	s_waitcnt lgkmcnt(2)
	v_add_f32_e32 v0, v0, v4
	s_waitcnt lgkmcnt(1)
	v_add_f32_e32 v1, v1, v5
	v_add_f32_e32 v5, v9, v7
	buffer_load_dword v9, off, s[60:63], 0 offset:232 ; 4-byte Folded Reload
	s_waitcnt vmcnt(2)
	ds_bpermute_b32 v3, v17, v8
	ds_bpermute_b32 v4, v23, v0
	;; [unrolled: 1-line block ×3, first 2 shown]
	s_waitcnt lgkmcnt(3)
	v_add_f32_e32 v2, v2, v6
	s_waitcnt lgkmcnt(2)
	v_add_f32_e32 v3, v8, v3
	;; [unrolled: 2-line block ×3, first 2 shown]
	ds_bpermute_b32 v4, v20, v3
	s_waitcnt lgkmcnt(1)
	v_add_f32_e32 v5, v5, v7
	ds_bpermute_b32 v7, v17, v11
	ds_bpermute_b32 v8, v23, v5
	s_waitcnt lgkmcnt(2)
	v_add_f32_e32 v3, v3, v4
	ds_bpermute_b32 v6, v23, v3
	s_waitcnt lgkmcnt(0)
	v_add_f32_e32 v3, v3, v6
	v_add_f32_e32 v6, v11, v7
	buffer_load_dword v11, off, s[60:63], 0 offset:224 ; 4-byte Folded Reload
	ds_bpermute_b32 v7, v20, v6
	s_waitcnt lgkmcnt(0)
	v_add_f32_e32 v6, v6, v7
	ds_bpermute_b32 v7, v17, v12
	s_waitcnt lgkmcnt(0)
	v_add_f32_e32 v7, v12, v7
	ds_bpermute_b32 v12, v17, v15
	s_waitcnt vmcnt(1)
	ds_bpermute_b32 v4, v17, v9
	s_waitcnt lgkmcnt(0)
	v_add_f32_e32 v9, v9, v4
	v_add_f32_e32 v4, v5, v8
	ds_bpermute_b32 v10, v20, v9
	s_waitcnt lgkmcnt(0)
	v_add_f32_e32 v5, v9, v10
	ds_bpermute_b32 v9, v23, v5
	ds_bpermute_b32 v10, v23, v6
	s_waitcnt lgkmcnt(1)
	v_add_f32_e32 v5, v5, v9
	ds_bpermute_b32 v9, v20, v7
	s_waitcnt lgkmcnt(1)
	v_add_f32_e32 v6, v6, v10
	s_waitcnt vmcnt(0)
	ds_bpermute_b32 v8, v17, v11
	s_waitcnt lgkmcnt(1)
	v_add_f32_e32 v9, v7, v9
	ds_bpermute_b32 v13, v23, v9
	s_waitcnt lgkmcnt(1)
	v_add_f32_e32 v8, v11, v8
	;; [unrolled: 3-line block ×4, first 2 shown]
	v_add_f32_e32 v11, v15, v12
	buffer_load_dword v15, off, s[60:63], 0 offset:208 ; 4-byte Folded Reload
	ds_bpermute_b32 v10, v17, v14
	ds_bpermute_b32 v12, v20, v11
	v_add_f32_e32 v8, v9, v13
	s_waitcnt lgkmcnt(1)
	v_add_f32_e32 v10, v14, v10
	ds_bpermute_b32 v14, v20, v10
	s_waitcnt lgkmcnt(1)
	v_add_f32_e32 v11, v11, v12
	ds_bpermute_b32 v12, v17, v18
	;; [unrolled: 3-line block ×3, first 2 shown]
	s_waitcnt lgkmcnt(1)
	v_add_f32_e32 v12, v18, v12
	buffer_load_dword v18, off, s[60:63], 0 offset:200 ; 4-byte Folded Reload
	ds_bpermute_b32 v14, v23, v11
	s_waitcnt lgkmcnt(0)
	v_add_f32_e32 v9, v9, v13
	ds_bpermute_b32 v13, v20, v12
	s_waitcnt vmcnt(0) lgkmcnt(0)
	s_barrier
	v_add_f32_e32 v12, v12, v13
	ds_bpermute_b32 v13, v17, v19
	s_waitcnt lgkmcnt(0)
	v_add_f32_e32 v13, v19, v13
	ds_bpermute_b32 v19, v20, v13
	s_waitcnt lgkmcnt(0)
	v_add_f32_e32 v19, v13, v19
	ds_bpermute_b32 v21, v23, v19
	ds_bpermute_b32 v10, v17, v15
	s_waitcnt lgkmcnt(0)
	v_add_f32_e32 v15, v15, v10
	ds_bpermute_b32 v16, v20, v15
	v_add_f32_e32 v10, v11, v14
	s_waitcnt lgkmcnt(0)
	v_add_f32_e32 v11, v15, v16
	ds_bpermute_b32 v16, v23, v12
	ds_bpermute_b32 v14, v23, v11
	;; [unrolled: 1-line block ×4, first 2 shown]
	s_waitcnt lgkmcnt(3)
	v_add_f32_e32 v12, v12, v16
	buffer_load_dword v16, off, s[60:63], 0 offset:532 ; 4-byte Folded Reload
	s_waitcnt lgkmcnt(2)
	v_add_f32_e32 v11, v11, v14
	s_waitcnt lgkmcnt(1)
	v_add_f32_e32 v15, v18, v15
	;; [unrolled: 2-line block ×3, first 2 shown]
	ds_bpermute_b32 v18, v20, v15
	ds_bpermute_b32 v20, v20, v17
	v_add_f32_e32 v14, v19, v21
	s_waitcnt lgkmcnt(1)
	v_add_f32_e32 v15, v15, v18
	s_waitcnt lgkmcnt(0)
	v_add_f32_e32 v17, v17, v20
	ds_bpermute_b32 v18, v23, v15
	ds_bpermute_b32 v20, v23, v17
	s_waitcnt lgkmcnt(1)
	v_add_f32_e32 v13, v15, v18
	s_waitcnt lgkmcnt(0)
	v_add_f32_e32 v15, v17, v20
	s_waitcnt vmcnt(0)
	v_and_b32_e32 v17, 0x3c7, v16
	v_cmp_eq_u32_e32 vcc, 64, v17
	s_and_saveexec_b64 s[2:3], vcc
	s_cbranch_execz .LBB204_844
; %bb.843:
	v_lshrrev_b32_e32 v16, 1, v22
	v_add_u32_e32 v16, 0x210, v16
	ds_write2_b32 v16, v0, v1 offset1:8
	ds_write2_b32 v16, v2, v3 offset0:16 offset1:24
	ds_write2_b32 v16, v4, v5 offset0:32 offset1:40
	ds_write2_b32 v16, v6, v7 offset0:48 offset1:56
	ds_write2_b32 v16, v8, v9 offset0:64 offset1:72
	ds_write2_b32 v16, v10, v11 offset0:80 offset1:88
	ds_write2_b32 v16, v12, v13 offset0:96 offset1:104
	ds_write2_b32 v16, v14, v15 offset0:112 offset1:120
.LBB204_844:
	s_or_b64 exec, exec, s[2:3]
	buffer_load_dword v16, off, s[60:63], 0 offset:532 ; 4-byte Folded Reload
	s_waitcnt vmcnt(0) lgkmcnt(0)
	s_barrier
	v_lshrrev_b32_e32 v16, 3, v16
	s_and_saveexec_b64 s[2:3], s[0:1]
	s_cbranch_execz .LBB204_863
; %bb.845:
	v_mov_b32_e32 v18, 0x210
	v_cmp_eq_u32_e32 vcc, 0, v24
	v_lshl_add_u32 v18, v16, 2, v18
	s_and_saveexec_b64 s[0:1], vcc
	s_cbranch_execnz .LBB204_866
; %bb.846:
	s_or_b64 exec, exec, s[0:1]
	s_and_saveexec_b64 s[0:1], vcc
	s_cbranch_execnz .LBB204_867
.LBB204_847:
	s_or_b64 exec, exec, s[0:1]
	s_and_saveexec_b64 s[0:1], vcc
	s_cbranch_execnz .LBB204_868
.LBB204_848:
	s_or_b64 exec, exec, s[0:1]
	s_and_saveexec_b64 s[0:1], vcc
	s_cbranch_execnz .LBB204_869
.LBB204_849:
	s_or_b64 exec, exec, s[0:1]
	s_and_saveexec_b64 s[0:1], vcc
	s_cbranch_execnz .LBB204_870
.LBB204_850:
	s_or_b64 exec, exec, s[0:1]
	s_and_saveexec_b64 s[0:1], vcc
	s_cbranch_execnz .LBB204_871
.LBB204_851:
	s_or_b64 exec, exec, s[0:1]
	s_and_saveexec_b64 s[0:1], vcc
	s_cbranch_execnz .LBB204_872
.LBB204_852:
	s_or_b64 exec, exec, s[0:1]
	s_and_saveexec_b64 s[0:1], vcc
	s_cbranch_execnz .LBB204_873
.LBB204_853:
	s_or_b64 exec, exec, s[0:1]
	s_and_saveexec_b64 s[0:1], vcc
	s_cbranch_execnz .LBB204_874
.LBB204_854:
	s_or_b64 exec, exec, s[0:1]
	s_and_saveexec_b64 s[0:1], vcc
	s_cbranch_execnz .LBB204_875
.LBB204_855:
	s_or_b64 exec, exec, s[0:1]
	s_and_saveexec_b64 s[0:1], vcc
	s_cbranch_execnz .LBB204_876
.LBB204_856:
	s_or_b64 exec, exec, s[0:1]
	s_and_saveexec_b64 s[0:1], vcc
	s_cbranch_execnz .LBB204_877
.LBB204_857:
	s_or_b64 exec, exec, s[0:1]
	s_and_saveexec_b64 s[0:1], vcc
	s_cbranch_execnz .LBB204_878
.LBB204_858:
	s_or_b64 exec, exec, s[0:1]
	s_and_saveexec_b64 s[0:1], vcc
	s_cbranch_execnz .LBB204_879
.LBB204_859:
	s_or_b64 exec, exec, s[0:1]
	s_and_saveexec_b64 s[0:1], vcc
	s_cbranch_execnz .LBB204_880
.LBB204_860:
	s_or_b64 exec, exec, s[0:1]
	s_and_saveexec_b64 s[0:1], vcc
	s_cbranch_execz .LBB204_862
.LBB204_861:
	ds_read_b32 v18, v18 offset:480
	s_waitcnt lgkmcnt(0)
	v_add_f32_e32 v15, v15, v18
.LBB204_862:
	s_or_b64 exec, exec, s[0:1]
.LBB204_863:
	s_or_b64 exec, exec, s[2:3]
	v_cmp_eq_u32_e32 vcc, 0, v17
	s_barrier
	s_and_saveexec_b64 s[0:1], vcc
	s_cbranch_execz .LBB204_865
; %bb.864:
	s_mul_i32 s0, s24, s23
	s_mul_i32 s0, s0, s9
	s_lshl_b32 s0, s0, 7
	s_ashr_i32 s1, s0, 31
	s_lshl_b64 s[0:1], s[0:1], 2
	s_add_u32 s2, s28, s0
	s_mul_i32 s0, s23, s26
	s_addc_u32 s3, s29, s1
	s_ashr_i32 s1, s0, 31
	s_lshl_b64 s[0:1], s[0:1], 2
	s_add_u32 s2, s2, s0
	s_addc_u32 s3, s3, s1
	s_lshl_b32 s0, s8, 7
	s_ashr_i32 s1, s0, 31
	s_lshl_b64 s[0:1], s[0:1], 2
	s_add_u32 s0, s2, s0
	s_addc_u32 s1, s3, s1
	v_lshlrev_b32_e32 v16, 2, v16
	global_store_dword v16, v0, s[0:1]
	global_store_dword v16, v1, s[0:1] offset:32
	global_store_dword v16, v2, s[0:1] offset:64
	;; [unrolled: 1-line block ×15, first 2 shown]
.LBB204_865:
	s_endpgm
.LBB204_866:
	ds_read_b32 v19, v18
	s_waitcnt lgkmcnt(0)
	v_add_f32_e32 v0, v0, v19
	s_or_b64 exec, exec, s[0:1]
	s_and_saveexec_b64 s[0:1], vcc
	s_cbranch_execz .LBB204_847
.LBB204_867:
	ds_read_b32 v19, v18 offset:32
	s_waitcnt lgkmcnt(0)
	v_add_f32_e32 v1, v1, v19
	s_or_b64 exec, exec, s[0:1]
	s_and_saveexec_b64 s[0:1], vcc
	s_cbranch_execz .LBB204_848
.LBB204_868:
	ds_read_b32 v19, v18 offset:64
	s_waitcnt lgkmcnt(0)
	v_add_f32_e32 v2, v2, v19
	s_or_b64 exec, exec, s[0:1]
	s_and_saveexec_b64 s[0:1], vcc
	s_cbranch_execz .LBB204_849
.LBB204_869:
	ds_read_b32 v19, v18 offset:96
	s_waitcnt lgkmcnt(0)
	v_add_f32_e32 v3, v3, v19
	s_or_b64 exec, exec, s[0:1]
	s_and_saveexec_b64 s[0:1], vcc
	s_cbranch_execz .LBB204_850
.LBB204_870:
	ds_read_b32 v19, v18 offset:128
	s_waitcnt lgkmcnt(0)
	v_add_f32_e32 v4, v4, v19
	s_or_b64 exec, exec, s[0:1]
	s_and_saveexec_b64 s[0:1], vcc
	s_cbranch_execz .LBB204_851
.LBB204_871:
	ds_read_b32 v19, v18 offset:160
	s_waitcnt lgkmcnt(0)
	v_add_f32_e32 v5, v5, v19
	s_or_b64 exec, exec, s[0:1]
	s_and_saveexec_b64 s[0:1], vcc
	s_cbranch_execz .LBB204_852
.LBB204_872:
	ds_read_b32 v19, v18 offset:192
	s_waitcnt lgkmcnt(0)
	v_add_f32_e32 v6, v6, v19
	s_or_b64 exec, exec, s[0:1]
	s_and_saveexec_b64 s[0:1], vcc
	s_cbranch_execz .LBB204_853
.LBB204_873:
	ds_read_b32 v19, v18 offset:224
	s_waitcnt lgkmcnt(0)
	v_add_f32_e32 v7, v7, v19
	s_or_b64 exec, exec, s[0:1]
	s_and_saveexec_b64 s[0:1], vcc
	s_cbranch_execz .LBB204_854
.LBB204_874:
	ds_read_b32 v19, v18 offset:256
	s_waitcnt lgkmcnt(0)
	v_add_f32_e32 v8, v8, v19
	s_or_b64 exec, exec, s[0:1]
	s_and_saveexec_b64 s[0:1], vcc
	s_cbranch_execz .LBB204_855
.LBB204_875:
	ds_read_b32 v19, v18 offset:288
	s_waitcnt lgkmcnt(0)
	v_add_f32_e32 v9, v9, v19
	s_or_b64 exec, exec, s[0:1]
	s_and_saveexec_b64 s[0:1], vcc
	s_cbranch_execz .LBB204_856
.LBB204_876:
	ds_read_b32 v19, v18 offset:320
	s_waitcnt lgkmcnt(0)
	v_add_f32_e32 v10, v10, v19
	s_or_b64 exec, exec, s[0:1]
	s_and_saveexec_b64 s[0:1], vcc
	s_cbranch_execz .LBB204_857
.LBB204_877:
	ds_read_b32 v19, v18 offset:352
	s_waitcnt lgkmcnt(0)
	v_add_f32_e32 v11, v11, v19
	s_or_b64 exec, exec, s[0:1]
	s_and_saveexec_b64 s[0:1], vcc
	s_cbranch_execz .LBB204_858
.LBB204_878:
	ds_read_b32 v19, v18 offset:384
	s_waitcnt lgkmcnt(0)
	v_add_f32_e32 v12, v12, v19
	s_or_b64 exec, exec, s[0:1]
	s_and_saveexec_b64 s[0:1], vcc
	s_cbranch_execz .LBB204_859
.LBB204_879:
	ds_read_b32 v19, v18 offset:416
	s_waitcnt lgkmcnt(0)
	v_add_f32_e32 v13, v13, v19
	s_or_b64 exec, exec, s[0:1]
	s_and_saveexec_b64 s[0:1], vcc
	s_cbranch_execz .LBB204_860
.LBB204_880:
	ds_read_b32 v19, v18 offset:448
	s_waitcnt lgkmcnt(0)
	v_add_f32_e32 v14, v14, v19
	s_or_b64 exec, exec, s[0:1]
	s_and_saveexec_b64 s[0:1], vcc
	s_cbranch_execnz .LBB204_861
	s_branch .LBB204_862
	.section	.rodata,"a",@progbits
	.p2align	6, 0x0
	.amdhsa_kernel _ZN4vllm25paged_attention_v1_kernelIfhLi128ELi32ELi128ELNS_18Fp8KVCacheDataTypeE1ELb1EEEvPT_PKS2_PKT0_S8_ifPKiSA_iPKfiiiSC_SC_iiiii
		.amdhsa_group_segment_fixed_size 528
		.amdhsa_private_segment_fixed_size 572
		.amdhsa_kernarg_size 384
		.amdhsa_user_sgpr_count 6
		.amdhsa_user_sgpr_private_segment_buffer 1
		.amdhsa_user_sgpr_dispatch_ptr 0
		.amdhsa_user_sgpr_queue_ptr 0
		.amdhsa_user_sgpr_kernarg_segment_ptr 1
		.amdhsa_user_sgpr_dispatch_id 0
		.amdhsa_user_sgpr_flat_scratch_init 0
		.amdhsa_user_sgpr_private_segment_size 0
		.amdhsa_uses_dynamic_stack 0
		.amdhsa_system_sgpr_private_segment_wavefront_offset 1
		.amdhsa_system_sgpr_workgroup_id_x 1
		.amdhsa_system_sgpr_workgroup_id_y 1
		.amdhsa_system_sgpr_workgroup_id_z 1
		.amdhsa_system_sgpr_workgroup_info 0
		.amdhsa_system_vgpr_workitem_id 0
		.amdhsa_next_free_vgpr 64
		.amdhsa_next_free_sgpr 64
		.amdhsa_reserve_vcc 1
		.amdhsa_reserve_flat_scratch 0
		.amdhsa_float_round_mode_32 0
		.amdhsa_float_round_mode_16_64 0
		.amdhsa_float_denorm_mode_32 3
		.amdhsa_float_denorm_mode_16_64 3
		.amdhsa_dx10_clamp 1
		.amdhsa_ieee_mode 1
		.amdhsa_fp16_overflow 0
		.amdhsa_exception_fp_ieee_invalid_op 0
		.amdhsa_exception_fp_denorm_src 0
		.amdhsa_exception_fp_ieee_div_zero 0
		.amdhsa_exception_fp_ieee_overflow 0
		.amdhsa_exception_fp_ieee_underflow 0
		.amdhsa_exception_fp_ieee_inexact 0
		.amdhsa_exception_int_div_zero 0
	.end_amdhsa_kernel
	.section	.text._ZN4vllm25paged_attention_v1_kernelIfhLi128ELi32ELi128ELNS_18Fp8KVCacheDataTypeE1ELb1EEEvPT_PKS2_PKT0_S8_ifPKiSA_iPKfiiiSC_SC_iiiii,"axG",@progbits,_ZN4vllm25paged_attention_v1_kernelIfhLi128ELi32ELi128ELNS_18Fp8KVCacheDataTypeE1ELb1EEEvPT_PKS2_PKT0_S8_ifPKiSA_iPKfiiiSC_SC_iiiii,comdat
.Lfunc_end204:
	.size	_ZN4vllm25paged_attention_v1_kernelIfhLi128ELi32ELi128ELNS_18Fp8KVCacheDataTypeE1ELb1EEEvPT_PKS2_PKT0_S8_ifPKiSA_iPKfiiiSC_SC_iiiii, .Lfunc_end204-_ZN4vllm25paged_attention_v1_kernelIfhLi128ELi32ELi128ELNS_18Fp8KVCacheDataTypeE1ELb1EEEvPT_PKS2_PKT0_S8_ifPKiSA_iPKfiiiSC_SC_iiiii
                                        ; -- End function
	.set _ZN4vllm25paged_attention_v1_kernelIfhLi128ELi32ELi128ELNS_18Fp8KVCacheDataTypeE1ELb1EEEvPT_PKS2_PKT0_S8_ifPKiSA_iPKfiiiSC_SC_iiiii.num_vgpr, 64
	.set _ZN4vllm25paged_attention_v1_kernelIfhLi128ELi32ELi128ELNS_18Fp8KVCacheDataTypeE1ELb1EEEvPT_PKS2_PKT0_S8_ifPKiSA_iPKfiiiSC_SC_iiiii.num_agpr, 0
	.set _ZN4vllm25paged_attention_v1_kernelIfhLi128ELi32ELi128ELNS_18Fp8KVCacheDataTypeE1ELb1EEEvPT_PKS2_PKT0_S8_ifPKiSA_iPKfiiiSC_SC_iiiii.numbered_sgpr, 64
	.set _ZN4vllm25paged_attention_v1_kernelIfhLi128ELi32ELi128ELNS_18Fp8KVCacheDataTypeE1ELb1EEEvPT_PKS2_PKT0_S8_ifPKiSA_iPKfiiiSC_SC_iiiii.num_named_barrier, 0
	.set _ZN4vllm25paged_attention_v1_kernelIfhLi128ELi32ELi128ELNS_18Fp8KVCacheDataTypeE1ELb1EEEvPT_PKS2_PKT0_S8_ifPKiSA_iPKfiiiSC_SC_iiiii.private_seg_size, 572
	.set _ZN4vllm25paged_attention_v1_kernelIfhLi128ELi32ELi128ELNS_18Fp8KVCacheDataTypeE1ELb1EEEvPT_PKS2_PKT0_S8_ifPKiSA_iPKfiiiSC_SC_iiiii.uses_vcc, 1
	.set _ZN4vllm25paged_attention_v1_kernelIfhLi128ELi32ELi128ELNS_18Fp8KVCacheDataTypeE1ELb1EEEvPT_PKS2_PKT0_S8_ifPKiSA_iPKfiiiSC_SC_iiiii.uses_flat_scratch, 0
	.set _ZN4vllm25paged_attention_v1_kernelIfhLi128ELi32ELi128ELNS_18Fp8KVCacheDataTypeE1ELb1EEEvPT_PKS2_PKT0_S8_ifPKiSA_iPKfiiiSC_SC_iiiii.has_dyn_sized_stack, 0
	.set _ZN4vllm25paged_attention_v1_kernelIfhLi128ELi32ELi128ELNS_18Fp8KVCacheDataTypeE1ELb1EEEvPT_PKS2_PKT0_S8_ifPKiSA_iPKfiiiSC_SC_iiiii.has_recursion, 0
	.set _ZN4vllm25paged_attention_v1_kernelIfhLi128ELi32ELi128ELNS_18Fp8KVCacheDataTypeE1ELb1EEEvPT_PKS2_PKT0_S8_ifPKiSA_iPKfiiiSC_SC_iiiii.has_indirect_call, 0
	.section	.AMDGPU.csdata,"",@progbits
; Kernel info:
; codeLenInByte = 41564
; TotalNumSgprs: 68
; NumVgprs: 64
; ScratchSize: 572
; MemoryBound: 0
; FloatMode: 240
; IeeeMode: 1
; LDSByteSize: 528 bytes/workgroup (compile time only)
; SGPRBlocks: 8
; VGPRBlocks: 15
; NumSGPRsForWavesPerEU: 68
; NumVGPRsForWavesPerEU: 64
; Occupancy: 4
; WaveLimiterHint : 1
; COMPUTE_PGM_RSRC2:SCRATCH_EN: 1
; COMPUTE_PGM_RSRC2:USER_SGPR: 6
; COMPUTE_PGM_RSRC2:TRAP_HANDLER: 0
; COMPUTE_PGM_RSRC2:TGID_X_EN: 1
; COMPUTE_PGM_RSRC2:TGID_Y_EN: 1
; COMPUTE_PGM_RSRC2:TGID_Z_EN: 1
; COMPUTE_PGM_RSRC2:TIDIG_COMP_CNT: 0
	.section	.text._ZN4vllm25paged_attention_v1_kernelIfhLi192ELi32ELi128ELNS_18Fp8KVCacheDataTypeE1ELb1EEEvPT_PKS2_PKT0_S8_ifPKiSA_iPKfiiiSC_SC_iiiii,"axG",@progbits,_ZN4vllm25paged_attention_v1_kernelIfhLi192ELi32ELi128ELNS_18Fp8KVCacheDataTypeE1ELb1EEEvPT_PKS2_PKT0_S8_ifPKiSA_iPKfiiiSC_SC_iiiii,comdat
	.protected	_ZN4vllm25paged_attention_v1_kernelIfhLi192ELi32ELi128ELNS_18Fp8KVCacheDataTypeE1ELb1EEEvPT_PKS2_PKT0_S8_ifPKiSA_iPKfiiiSC_SC_iiiii ; -- Begin function _ZN4vllm25paged_attention_v1_kernelIfhLi192ELi32ELi128ELNS_18Fp8KVCacheDataTypeE1ELb1EEEvPT_PKS2_PKT0_S8_ifPKiSA_iPKfiiiSC_SC_iiiii
	.globl	_ZN4vllm25paged_attention_v1_kernelIfhLi192ELi32ELi128ELNS_18Fp8KVCacheDataTypeE1ELb1EEEvPT_PKS2_PKT0_S8_ifPKiSA_iPKfiiiSC_SC_iiiii
	.p2align	8
	.type	_ZN4vllm25paged_attention_v1_kernelIfhLi192ELi32ELi128ELNS_18Fp8KVCacheDataTypeE1ELb1EEEvPT_PKS2_PKT0_S8_ifPKiSA_iPKfiiiSC_SC_iiiii,@function
_ZN4vllm25paged_attention_v1_kernelIfhLi192ELi32ELi128ELNS_18Fp8KVCacheDataTypeE1ELb1EEEvPT_PKS2_PKT0_S8_ifPKiSA_iPKfiiiSC_SC_iiiii: ; @_ZN4vllm25paged_attention_v1_kernelIfhLi192ELi32ELi128ELNS_18Fp8KVCacheDataTypeE1ELb1EEEvPT_PKS2_PKT0_S8_ifPKiSA_iPKfiiiSC_SC_iiiii
; %bb.0:
	s_mov_b64 s[58:59], s[2:3]
	s_mov_b64 s[56:57], s[0:1]
	s_add_u32 s56, s56, s9
	s_addc_u32 s57, s57, 0
	buffer_store_dword v0, off, s[56:59], 0 offset:832 ; 4-byte Folded Spill
	s_load_dword s9, s[4:5], 0x80
	s_load_dwordx2 s[0:1], s[4:5], 0x30
	s_load_dwordx2 s[36:37], s[4:5], 0x20
	s_mov_b32 s10, s7
	s_ashr_i32 s11, s7, 31
	s_lshl_b64 s[2:3], s[10:11], 2
	s_waitcnt lgkmcnt(0)
	s_add_u32 s0, s0, s2
	s_addc_u32 s1, s1, s3
	s_abs_i32 s2, s36
	v_cvt_f32_u32_e32 v0, s2
	s_sub_i32 s11, 0, s2
	s_abs_i32 s7, s9
	s_xor_b32 s3, s9, s36
	v_rcp_iflag_f32_e32 v0, v0
	s_ashr_i32 s3, s3, 31
	s_mov_b32 s48, 0
	v_mul_f32_e32 v0, 0x4f7ffffe, v0
	v_cvt_u32_f32_e32 v0, v0
	v_readfirstlane_b32 s12, v0
	s_mul_i32 s11, s11, s12
	s_mul_hi_u32 s11, s12, s11
	s_add_i32 s12, s12, s11
	s_mul_hi_u32 s11, s7, s12
	s_mul_i32 s12, s11, s2
	s_sub_i32 s7, s7, s12
	s_add_i32 s12, s11, 1
	s_sub_i32 s13, s7, s2
	s_cmp_ge_u32 s7, s2
	s_cselect_b32 s11, s12, s11
	s_cselect_b32 s7, s13, s7
	s_add_i32 s12, s11, 1
	s_cmp_ge_u32 s7, s2
	s_cselect_b32 s2, s12, s11
	s_xor_b32 s2, s2, s3
	s_sub_i32 s14, s2, s3
	s_abs_i32 s11, s14
	v_cvt_f32_u32_e32 v0, s11
	s_load_dwordx2 s[2:3], s[4:5], 0x40
	s_sub_i32 s7, 0, s11
	s_abs_i32 s12, s6
	v_rcp_iflag_f32_e32 v0, v0
	v_mul_f32_e32 v0, 0x4f7ffffe, v0
	v_cvt_u32_f32_e32 v0, v0
	v_readfirstlane_b32 s13, v0
	s_mul_i32 s7, s7, s13
	s_mul_hi_u32 s7, s13, s7
	s_add_i32 s13, s13, s7
	s_waitcnt lgkmcnt(0)
	s_cmp_eq_u64 s[2:3], 0
	s_mul_hi_u32 s13, s12, s13
	s_cbranch_scc1 .LBB205_2
; %bb.1:
	s_ashr_i32 s7, s6, 31
	s_lshl_b64 s[16:17], s[6:7], 2
	s_add_u32 s2, s2, s16
	s_addc_u32 s3, s3, s17
	s_load_dword s48, s[2:3], 0x0
.LBB205_2:
	buffer_load_dword v1, off, s[56:59], 0 offset:832 ; 4-byte Folded Reload
	s_load_dword s33, s[0:1], 0x0
	s_load_dwordx4 s[16:19], s[4:5], 0x48
	s_movk_i32 s0, 0x60
	s_ashr_i32 s2, s6, 31
	s_ashr_i32 s7, s14, 31
	s_mul_i32 s24, s6, 0xc0
	s_waitcnt vmcnt(0)
	v_and_b32_e32 v0, 1, v1
	v_cmp_gt_u32_e32 vcc, s0, v1
	v_lshlrev_b32_e32 v11, 2, v1
	s_and_saveexec_b64 s[0:1], vcc
	s_cbranch_execz .LBB205_4
; %bb.3:
	buffer_load_dword v1, off, s[56:59], 0 offset:832 ; 4-byte Folded Reload
	s_load_dwordx2 s[14:15], s[4:5], 0x8
	s_waitcnt lgkmcnt(0)
	s_mul_i32 s20, s16, s10
	s_ashr_i32 s21, s20, 31
	s_lshl_b64 s[20:21], s[20:21], 2
	v_and_b32_e32 v3, 0xff8, v11
	s_add_u32 s3, s14, s20
	s_addc_u32 s16, s15, s21
	s_ashr_i32 s25, s24, 31
	s_lshl_b64 s[14:15], s[24:25], 2
	s_add_u32 s14, s3, s14
	s_addc_u32 s15, s16, s15
	s_movk_i32 s3, 0x180
	v_mad_u32_u24 v3, v0, s3, v3
	s_waitcnt vmcnt(0)
	v_lshlrev_b32_e32 v1, 3, v1
	global_load_dwordx2 v[1:2], v1, s[14:15]
	s_waitcnt vmcnt(0)
	ds_write_b64 v3, v[1:2]
.LBB205_4:
	s_or_b64 exec, exec, s[0:1]
	s_mul_i32 s1, s13, s11
	s_sub_i32 s1, s12, s1
	s_xor_b32 s0, s2, s7
	s_add_i32 s2, s13, 1
	s_sub_i32 s7, s1, s11
	s_load_dwordx4 s[20:23], s[4:5], 0x68
	s_load_dword s3, s[4:5], 0x78
	s_cmp_ge_u32 s1, s11
	s_cselect_b32 s2, s2, s13
	s_cselect_b32 s1, s7, s1
	s_add_i32 s7, s2, 1
	s_cmp_ge_u32 s1, s11
	s_cselect_b32 s1, s7, s2
	s_waitcnt lgkmcnt(0)
	s_abs_i32 s25, s23
	v_cvt_f32_u32_e32 v1, s25
	s_xor_b32 s1, s1, s0
	s_sub_i32 s2, s1, s0
	s_sub_i32 s0, 0, s25
	v_rcp_iflag_f32_e32 v1, v1
	s_add_i32 s11, s33, -1
	s_abs_i32 s7, s11
	v_mul_f32_e32 v1, 0x4f7ffffe, v1
	v_cvt_u32_f32_e32 v1, v1
	s_barrier
	v_readfirstlane_b32 s46, v1
	s_mul_i32 s0, s0, s46
	s_mul_hi_u32 s0, s46, s0
	s_add_i32 s46, s46, s0
	s_cmp_lt_i32 s3, 0
	s_mul_hi_u32 s16, s7, s46
	s_cbranch_scc0 .LBB205_6
; %bb.5:
	s_mul_i32 s0, s20, s36
	s_add_i32 s0, s2, s0
	s_mul_i32 s0, s0, s3
	s_sub_i32 s36, 1, s0
	s_mov_b64 s[0:1], 0
	s_branch .LBB205_7
.LBB205_6:
	s_mov_b64 s[0:1], -1
                                        ; implicit-def: $sgpr36
.LBB205_7:
	s_load_dwordx2 s[28:29], s[4:5], 0x28
	s_ashr_i32 s19, s11, 31
	s_andn2_b64 vcc, exec, s[0:1]
	s_ashr_i32 s23, s23, 31
	s_cbranch_vccnz .LBB205_9
; %bb.8:
	s_mul_i32 s0, s9, s20
	s_add_i32 s0, s0, s6
	s_mul_i32 s0, s0, s3
	s_add_i32 s36, s0, 1
.LBB205_9:
	s_load_dword s0, s[4:5], 0x38
	s_load_dwordx2 s[26:27], s[4:5], 0x0
	s_load_dwordx2 s[34:35], s[4:5], 0x18
	s_load_dword s11, s[4:5], 0x88
	s_load_dwordx4 s[12:15], s[4:5], 0x58
	buffer_load_dword v1, off, s[56:59], 0 offset:832 ; 4-byte Folded Reload
	s_mul_i32 s1, s16, s25
	s_waitcnt lgkmcnt(0)
	s_mul_i32 s30, s0, s10
	s_sub_i32 s1, s7, s1
	s_ashr_i32 s31, s30, 31
	s_xor_b32 s0, s19, s23
	s_add_i32 s3, s16, 1
	s_sub_i32 s6, s1, s25
	s_cmp_ge_u32 s1, s25
	s_cselect_b32 s3, s3, s16
	s_cselect_b32 s1, s6, s1
	s_add_i32 s6, s3, 1
	s_cmp_ge_u32 s1, s25
	s_cselect_b32 s1, s6, s3
	s_xor_b32 s1, s1, s0
	s_sub_i32 s16, s1, s0
	s_add_i32 s0, s33, 31
	s_ashr_i32 s1, s0, 31
	s_lshr_b32 s1, s1, 27
	s_add_i32 s0, s0, s1
	s_ashr_i32 s47, s0, 5
	v_mov_b32_e32 v4, 0xff7fffff
	s_mul_i32 s20, s2, s18
	v_mbcnt_lo_u32_b32 v3, -1, 0
	s_waitcnt vmcnt(0)
	v_lshrrev_b32_e32 v2, 6, v1
	v_cmp_gt_i32_e64 s[0:1], s47, v2
	v_lshrrev_b32_e32 v12, 4, v1
	v_lshlrev_b32_e32 v1, 5, v2
	buffer_store_dword v2, off, s[56:59], 0 offset:8 ; 4-byte Folded Spill
	buffer_store_dword v1, off, s[56:59], 0 offset:12 ; 4-byte Folded Spill
	s_and_saveexec_b64 s[18:19], s[0:1]
	s_cbranch_execz .LBB205_597
; %bb.10:
	buffer_load_dword v2, off, s[56:59], 0 offset:832 ; 4-byte Folded Reload
	s_load_dwordx2 s[2:3], s[4:5], 0x10
	s_sub_i32 s49, s16, s21
	s_ashr_i32 s4, s20, 31
	v_mov_b32_e32 v4, v3
	buffer_store_dword v11, off, s[56:59], 0 offset:864 ; 4-byte Folded Spill
	s_waitcnt lgkmcnt(0)
	s_add_u32 s5, s2, s20
	s_addc_u32 s4, s3, s4
	s_abs_i32 s50, s22
	v_cvt_f32_u32_e32 v1, s50
	v_mov_b32_e32 v3, s4
	s_sub_i32 s4, 0, s50
	v_cmp_eq_u32_e64 s[2:3], 0, v0
	v_rcp_iflag_f32_e32 v1, v1
	v_mul_u32_u24_e32 v44, 0x180, v0
	s_lshl_b64 s[6:7], s[30:31], 2
	s_add_u32 s6, s28, s6
	v_mul_f32_e32 v1, 0x4f7ffffe, v1
	v_cvt_u32_f32_e32 v1, v1
	s_addc_u32 s7, s29, s7
	s_mov_b32 s51, s17
	v_mov_b32_e32 v49, 0
	s_mov_b64 s[38:39], 0
	s_movk_i32 s52, 0x80
	s_movk_i32 s53, 0x7f
	s_brev_b32 s54, 1
	v_bfrev_b32_e32 v50, 1
	s_waitcnt vmcnt(1)
	v_bfe_u32 v5, v2, 1, 5
	v_lshlrev_b32_e32 v2, 4, v5
	v_add_co_u32_e32 v2, vcc, s5, v2
	v_addc_co_u32_e32 v3, vcc, 0, v3, vcc
	buffer_store_dword v2, off, s[56:59], 0 offset:840 ; 4-byte Folded Spill
	s_nop 0
	buffer_store_dword v3, off, s[56:59], 0 offset:844 ; 4-byte Folded Spill
	v_mul_lo_u32 v2, s4, v1
	v_lshlrev_b32_e32 v3, 1, v0
	v_or_b32_e32 v0, 4, v3
	buffer_store_dword v0, off, s[56:59], 0 offset:36 ; 4-byte Folded Spill
	v_mul_hi_u32 v2, v1, v2
	v_or_b32_e32 v0, 8, v3
	buffer_store_dword v0, off, s[56:59], 0 offset:40 ; 4-byte Folded Spill
	buffer_store_dword v3, off, s[56:59], 0 offset:16 ; 4-byte Folded Spill
	v_or_b32_e32 v0, 12, v3
	buffer_store_dword v0, off, s[56:59], 0 offset:44 ; 4-byte Folded Spill
	v_add_u32_e32 v0, v1, v2
	v_and_b32_e32 v1, 60, v12
	buffer_store_dword v0, off, s[56:59], 0 offset:612 ; 4-byte Folded Spill
	buffer_store_dword v12, off, s[56:59], 0 offset:868 ; 4-byte Folded Spill
	v_mov_b32_e32 v2, s7
	v_add_co_u32_e32 v0, vcc, s6, v1
	v_addc_co_u32_e32 v1, vcc, 0, v2, vcc
	buffer_store_dword v0, off, s[56:59], 0 offset:20 ; 4-byte Folded Spill
	s_nop 0
	buffer_store_dword v1, off, s[56:59], 0 offset:24 ; 4-byte Folded Spill
	buffer_load_dword v0, off, s[56:59], 0 offset:8 ; 4-byte Folded Reload
	v_subrev_u32_e32 v1, s33, v5
	v_add_u32_e32 v1, 1, v1
	buffer_store_dword v1, off, s[56:59], 0 offset:860 ; 4-byte Folded Spill
	buffer_store_dword v5, off, s[56:59], 0 offset:856 ; 4-byte Folded Spill
	v_lshlrev_b32_e32 v1, 2, v5
	v_cmp_neq_f32_e64 s[4:5], s48, 0
	s_waitcnt vmcnt(2)
	v_lshl_or_b32 v1, v0, 7, v1
	v_add_u32_e32 v1, 0x310, v1
	buffer_store_dword v1, off, s[56:59], 0 offset:28 ; 4-byte Folded Spill
	v_mbcnt_hi_u32_b32 v1, -1, v4
	v_lshlrev_b32_e32 v2, 5, v0
	buffer_store_dword v1, off, s[56:59], 0 offset:852 ; 4-byte Folded Spill
	v_mov_b32_e32 v1, 0xff7fffff
	buffer_store_dword v1, off, s[56:59], 0 offset:836 ; 4-byte Folded Spill
	v_mov_b32_e32 v3, v0
	v_mov_b32_e32 v0, v2
	;; [unrolled: 1-line block ×3, first 2 shown]
	buffer_store_dword v0, off, s[56:59], 0 ; 4-byte Folded Spill
	s_nop 0
	buffer_store_dword v1, off, s[56:59], 0 offset:4 ; 4-byte Folded Spill
	buffer_store_dword v44, off, s[56:59], 0 offset:848 ; 4-byte Folded Spill
	s_branch .LBB205_13
.LBB205_11:                             ;   in Loop: Header=BB205_13 Depth=1
	s_or_b64 exec, exec, s[40:41]
.LBB205_12:                             ;   in Loop: Header=BB205_13 Depth=1
	s_or_b64 exec, exec, s[6:7]
	buffer_load_dword v3, off, s[56:59], 0 offset:48 ; 4-byte Folded Reload
	buffer_load_dword v0, off, s[56:59], 0 offset:20 ; 4-byte Folded Reload
	;; [unrolled: 1-line block ×3, first 2 shown]
	s_waitcnt vmcnt(1)
	v_add_co_u32_e32 v0, vcc, 8, v0
	s_waitcnt vmcnt(0)
	v_addc_co_u32_e32 v1, vcc, 0, v1, vcc
	buffer_store_dword v0, off, s[56:59], 0 offset:20 ; 4-byte Folded Spill
	s_nop 0
	buffer_store_dword v1, off, s[56:59], 0 offset:24 ; 4-byte Folded Spill
	buffer_load_dword v0, off, s[56:59], 0 offset:32 ; 4-byte Folded Reload
	v_add_u32_e32 v3, 2, v3
	buffer_load_dword v1, off, s[56:59], 0 offset:28 ; 4-byte Folded Reload
	v_cmp_le_i32_e32 vcc, s47, v3
	s_or_b64 s[38:39], vcc, s[38:39]
	s_waitcnt vmcnt(1)
	v_add_u32_e32 v0, 64, v0
	s_waitcnt vmcnt(0)
	v_add_u32_e32 v1, 0x100, v1
	buffer_store_dword v1, off, s[56:59], 0 offset:28 ; 4-byte Folded Spill
	s_andn2_b64 exec, exec, s[38:39]
	s_cbranch_execz .LBB205_596
.LBB205_13:                             ; =>This Inner Loop Header: Depth=1
	v_mul_hi_u32 v1, v0, s46
	buffer_store_dword v0, off, s[56:59], 0 offset:32 ; 4-byte Folded Spill
	buffer_store_dword v3, off, s[56:59], 0 offset:48 ; 4-byte Folded Spill
	s_waitcnt lgkmcnt(0)
	v_mul_lo_u32 v2, v1, s25
	v_add_u32_e32 v3, 1, v1
	v_sub_u32_e32 v2, v0, v2
	buffer_load_dword v0, off, s[56:59], 0 offset:612 ; 4-byte Folded Reload
	v_cmp_le_u32_e32 vcc, s25, v2
	v_cndmask_b32_e32 v1, v1, v3, vcc
	v_subrev_u32_e32 v3, s25, v2
	v_cndmask_b32_e32 v2, v2, v3, vcc
	v_add_u32_e32 v3, 1, v1
	v_cmp_le_u32_e32 vcc, s25, v2
	v_cndmask_b32_e32 v1, v1, v3, vcc
	v_xor_b32_e32 v1, s23, v1
	v_subrev_u32_e32 v1, s23, v1
	v_add_u32_e32 v2, s36, v1
	v_sub_u32_e32 v3, 0, v2
	v_max_i32_e32 v3, v2, v3
	v_ashrrev_i32_e32 v2, 31, v2
	v_cmp_ge_i32_e64 s[6:7], s49, v1
	s_waitcnt vmcnt(0)
	v_mul_hi_u32 v4, v3, v0
	v_mul_lo_u32 v4, v4, s50
	v_sub_u32_e32 v3, v3, v4
	v_subrev_u32_e32 v4, s50, v3
	v_cmp_le_u32_e32 vcc, s50, v3
	v_cndmask_b32_e32 v3, v3, v4, vcc
	v_subrev_u32_e32 v4, s50, v3
	v_cmp_le_u32_e32 vcc, s50, v3
	v_cndmask_b32_e32 v3, v3, v4, vcc
	v_xor_b32_e32 v3, v3, v2
	v_sub_u32_e32 v2, v3, v2
	v_cmp_ne_u32_e32 vcc, 0, v2
	s_and_b64 s[6:7], vcc, s[6:7]
	s_and_saveexec_b64 s[40:41], s[6:7]
	s_xor_b64 s[6:7], exec, s[40:41]
	s_cbranch_execz .LBB205_17
; %bb.14:                               ;   in Loop: Header=BB205_13 Depth=1
	s_and_saveexec_b64 s[40:41], s[2:3]
	s_cbranch_execz .LBB205_16
; %bb.15:                               ;   in Loop: Header=BB205_13 Depth=1
	buffer_load_dword v0, off, s[56:59], 0 offset:28 ; 4-byte Folded Reload
	v_mov_b32_e32 v1, 0xff7fffff
	s_waitcnt vmcnt(0)
	ds_write_b32 v0, v1
.LBB205_16:                             ;   in Loop: Header=BB205_13 Depth=1
	s_or_b64 exec, exec, s[40:41]
.LBB205_17:                             ;   in Loop: Header=BB205_13 Depth=1
	s_andn2_saveexec_b64 s[6:7], s[6:7]
	s_cbranch_execz .LBB205_12
; %bb.18:                               ;   in Loop: Header=BB205_13 Depth=1
	buffer_load_dword v0, off, s[56:59], 0 offset:20 ; 4-byte Folded Reload
	buffer_load_dword v1, off, s[56:59], 0 offset:24 ; 4-byte Folded Reload
	v_mov_b32_e32 v46, 0
	v_mov_b32_e32 v57, 0
	;; [unrolled: 1-line block ×4, first 2 shown]
	s_waitcnt vmcnt(0)
	global_load_dword v1, v[0:1], off
	s_nop 0
	buffer_load_dword v2, off, s[56:59], 0 offset:840 ; 4-byte Folded Reload
	buffer_load_dword v3, off, s[56:59], 0 offset:844 ; 4-byte Folded Reload
	s_waitcnt vmcnt(0)
	v_mad_i64_i32 v[51:52], s[40:41], v1, s51, v[2:3]
	ds_read_b128 v[0:3], v44
	s_waitcnt lgkmcnt(0)
	buffer_store_dword v0, off, s[56:59], 0 offset:800 ; 4-byte Folded Spill
	s_nop 0
	buffer_store_dword v1, off, s[56:59], 0 offset:804 ; 4-byte Folded Spill
	buffer_store_dword v2, off, s[56:59], 0 offset:808 ; 4-byte Folded Spill
	buffer_store_dword v3, off, s[56:59], 0 offset:812 ; 4-byte Folded Spill
	ds_read_b128 v[0:3], v44 offset:16
	s_waitcnt lgkmcnt(0)
	buffer_store_dword v0, off, s[56:59], 0 offset:784 ; 4-byte Folded Spill
	s_nop 0
	buffer_store_dword v1, off, s[56:59], 0 offset:788 ; 4-byte Folded Spill
	buffer_store_dword v2, off, s[56:59], 0 offset:792 ; 4-byte Folded Spill
	buffer_store_dword v3, off, s[56:59], 0 offset:796 ; 4-byte Folded Spill
	ds_read_b128 v[0:3], v44 offset:32
	s_waitcnt lgkmcnt(0)
	buffer_store_dword v0, off, s[56:59], 0 offset:768 ; 4-byte Folded Spill
	s_nop 0
	buffer_store_dword v1, off, s[56:59], 0 offset:772 ; 4-byte Folded Spill
	buffer_store_dword v2, off, s[56:59], 0 offset:776 ; 4-byte Folded Spill
	buffer_store_dword v3, off, s[56:59], 0 offset:780 ; 4-byte Folded Spill
	ds_read_b128 v[0:3], v44 offset:48
	s_waitcnt lgkmcnt(0)
	buffer_store_dword v0, off, s[56:59], 0 offset:752 ; 4-byte Folded Spill
	s_nop 0
	buffer_store_dword v1, off, s[56:59], 0 offset:756 ; 4-byte Folded Spill
	buffer_store_dword v2, off, s[56:59], 0 offset:760 ; 4-byte Folded Spill
	buffer_store_dword v3, off, s[56:59], 0 offset:764 ; 4-byte Folded Spill
	ds_read_b128 v[0:3], v44 offset:64
	s_waitcnt lgkmcnt(0)
	buffer_store_dword v0, off, s[56:59], 0 offset:736 ; 4-byte Folded Spill
	s_nop 0
	buffer_store_dword v1, off, s[56:59], 0 offset:740 ; 4-byte Folded Spill
	buffer_store_dword v2, off, s[56:59], 0 offset:744 ; 4-byte Folded Spill
	buffer_store_dword v3, off, s[56:59], 0 offset:748 ; 4-byte Folded Spill
	ds_read_b128 v[0:3], v44 offset:80
	s_waitcnt lgkmcnt(0)
	buffer_store_dword v0, off, s[56:59], 0 offset:720 ; 4-byte Folded Spill
	s_nop 0
	buffer_store_dword v1, off, s[56:59], 0 offset:724 ; 4-byte Folded Spill
	buffer_store_dword v2, off, s[56:59], 0 offset:728 ; 4-byte Folded Spill
	buffer_store_dword v3, off, s[56:59], 0 offset:732 ; 4-byte Folded Spill
	ds_read_b128 v[0:3], v44 offset:96
	s_waitcnt lgkmcnt(0)
	buffer_store_dword v0, off, s[56:59], 0 offset:704 ; 4-byte Folded Spill
	s_nop 0
	buffer_store_dword v1, off, s[56:59], 0 offset:708 ; 4-byte Folded Spill
	buffer_store_dword v2, off, s[56:59], 0 offset:712 ; 4-byte Folded Spill
	buffer_store_dword v3, off, s[56:59], 0 offset:716 ; 4-byte Folded Spill
	ds_read_b128 v[0:3], v44 offset:112
	s_waitcnt lgkmcnt(0)
	buffer_store_dword v0, off, s[56:59], 0 offset:688 ; 4-byte Folded Spill
	s_nop 0
	buffer_store_dword v1, off, s[56:59], 0 offset:692 ; 4-byte Folded Spill
	buffer_store_dword v2, off, s[56:59], 0 offset:696 ; 4-byte Folded Spill
	buffer_store_dword v3, off, s[56:59], 0 offset:700 ; 4-byte Folded Spill
	ds_read_b128 v[0:3], v44 offset:128
	s_waitcnt lgkmcnt(0)
	buffer_store_dword v0, off, s[56:59], 0 offset:672 ; 4-byte Folded Spill
	s_nop 0
	buffer_store_dword v1, off, s[56:59], 0 offset:676 ; 4-byte Folded Spill
	buffer_store_dword v2, off, s[56:59], 0 offset:680 ; 4-byte Folded Spill
	buffer_store_dword v3, off, s[56:59], 0 offset:684 ; 4-byte Folded Spill
	ds_read_b128 v[0:3], v44 offset:144
	s_waitcnt lgkmcnt(0)
	buffer_store_dword v0, off, s[56:59], 0 offset:656 ; 4-byte Folded Spill
	s_nop 0
	buffer_store_dword v1, off, s[56:59], 0 offset:660 ; 4-byte Folded Spill
	buffer_store_dword v2, off, s[56:59], 0 offset:664 ; 4-byte Folded Spill
	buffer_store_dword v3, off, s[56:59], 0 offset:668 ; 4-byte Folded Spill
	ds_read_b128 v[0:3], v44 offset:160
	s_waitcnt lgkmcnt(0)
	buffer_store_dword v0, off, s[56:59], 0 offset:640 ; 4-byte Folded Spill
	s_nop 0
	buffer_store_dword v1, off, s[56:59], 0 offset:644 ; 4-byte Folded Spill
	buffer_store_dword v2, off, s[56:59], 0 offset:648 ; 4-byte Folded Spill
	buffer_store_dword v3, off, s[56:59], 0 offset:652 ; 4-byte Folded Spill
	ds_read_b128 v[0:3], v44 offset:176
	s_waitcnt lgkmcnt(0)
	buffer_store_dword v0, off, s[56:59], 0 offset:624 ; 4-byte Folded Spill
	s_nop 0
	buffer_store_dword v1, off, s[56:59], 0 offset:628 ; 4-byte Folded Spill
	buffer_store_dword v2, off, s[56:59], 0 offset:632 ; 4-byte Folded Spill
	buffer_store_dword v3, off, s[56:59], 0 offset:636 ; 4-byte Folded Spill
	ds_read_b64 v[0:1], v44 offset:192
	s_waitcnt lgkmcnt(0)
	buffer_store_dword v0, off, s[56:59], 0 offset:616 ; 4-byte Folded Spill
	s_nop 0
	buffer_store_dword v1, off, s[56:59], 0 offset:620 ; 4-byte Folded Spill
	buffer_load_dword v0, off, s[56:59], 0 offset:16 ; 4-byte Folded Reload
	s_load_dword s55, s[12:13], 0x0
	s_waitcnt vmcnt(0)
	v_add_co_u32_e32 v41, vcc, v51, v0
	v_addc_co_u32_e32 v42, vcc, 0, v52, vcc
	global_load_ushort v2, v[41:42], off
	s_waitcnt vmcnt(0)
	v_and_b32_e32 v1, 0xffff, v2
	v_cmp_ne_u16_sdwa s[42:43], v2, v49 src0_sel:BYTE_0 src1_sel:DWORD
	s_and_saveexec_b64 s[40:41], s[42:43]
	s_cbranch_execz .LBB205_24
; %bb.19:                               ;   in Loop: Header=BB205_13 Depth=1
	v_bfrev_b32_e32 v57, 1
	v_mov_b32_e32 v58, 0
	v_cmp_ne_u16_sdwa s[44:45], v1, s52 src0_sel:BYTE_0 src1_sel:DWORD
	s_and_saveexec_b64 s[42:43], s[44:45]
	s_cbranch_execz .LBB205_23
; %bb.20:                               ;   in Loop: Header=BB205_13 Depth=1
	v_and_b32_e32 v2, 0x7f, v1
	v_mov_b32_e32 v57, 0x7f800001
	v_mov_b32_e32 v58, 0
	v_cmp_ne_u32_e32 vcc, s53, v2
	s_and_saveexec_b64 s[44:45], vcc
	s_cbranch_execz .LBB205_22
; %bb.21:                               ;   in Loop: Header=BB205_13 Depth=1
	v_and_b32_e32 v4, 7, v1
	v_lshrrev_b32_e32 v5, 3, v2
	v_cmp_gt_u32_e32 vcc, 8, v2
	v_ffbh_u32_e32 v2, v4
	v_min_u32_e32 v6, 32, v2
	v_subrev_u32_e32 v2, 28, v6
	v_lshlrev_b64 v[2:3], v2, v[1:2]
	v_sub_u32_e32 v3, 29, v6
	v_and_b32_e32 v2, 7, v2
	v_cndmask_b32_e32 v3, v5, v3, vcc
	v_cndmask_b32_e32 v2, v4, v2, vcc
	v_bfrev_b32_e32 v0, 60
	v_lshlrev_b32_e32 v2, 20, v2
	v_and_b32_sdwa v4, sext(v1), s54 dst_sel:DWORD dst_unused:UNUSED_PAD src0_sel:BYTE_0 src1_sel:DWORD
	v_lshl_add_u32 v3, v3, 23, v0
	v_or3_b32 v57, v4, v3, v2
	v_mov_b32_e32 v58, v49
.LBB205_22:                             ;   in Loop: Header=BB205_13 Depth=1
	s_or_b64 exec, exec, s[44:45]
.LBB205_23:                             ;   in Loop: Header=BB205_13 Depth=1
	s_or_b64 exec, exec, s[42:43]
.LBB205_24:                             ;   in Loop: Header=BB205_13 Depth=1
	s_or_b64 exec, exec, s[40:41]
	v_cmp_ne_u16_sdwa s[42:43], v1, v49 src0_sel:BYTE_1 src1_sel:DWORD
	s_and_saveexec_b64 s[40:41], s[42:43]
	s_cbranch_execz .LBB205_30
; %bb.25:                               ;   in Loop: Header=BB205_13 Depth=1
	v_mov_b32_e32 v46, v49
	v_cmp_ne_u16_sdwa s[44:45], v1, s52 src0_sel:BYTE_1 src1_sel:DWORD
	v_mov_b32_e32 v47, v50
	s_and_saveexec_b64 s[42:43], s[44:45]
	s_cbranch_execz .LBB205_29
; %bb.26:                               ;   in Loop: Header=BB205_13 Depth=1
	buffer_load_dword v3, off, s[56:59], 0  ; 4-byte Folded Reload
	buffer_load_dword v4, off, s[56:59], 0 offset:4 ; 4-byte Folded Reload
	v_and_b32_sdwa v2, v1, s53 dst_sel:DWORD dst_unused:UNUSED_PAD src0_sel:BYTE_1 src1_sel:DWORD
	s_waitcnt vmcnt(1)
	v_mov_b32_e32 v3, v49
	v_cmp_ne_u32_e32 vcc, s53, v2
	s_waitcnt vmcnt(0)
	v_mov_b32_e32 v5, v4
	buffer_store_dword v4, off, s[56:59], 0 ; 4-byte Folded Spill
	s_nop 0
	buffer_store_dword v5, off, s[56:59], 0 offset:4 ; 4-byte Folded Spill
	v_mov_b32_e32 v47, v4
	v_mov_b32_e32 v46, v3
	s_and_saveexec_b64 s[44:45], vcc
	s_cbranch_execz .LBB205_28
; %bb.27:                               ;   in Loop: Header=BB205_13 Depth=1
	v_mov_b32_e32 v0, 7
	v_and_b32_sdwa v3, v1, v0 dst_sel:DWORD dst_unused:UNUSED_PAD src0_sel:BYTE_1 src1_sel:DWORD
	v_lshrrev_b32_e32 v6, 3, v2
	v_cmp_gt_u32_e32 vcc, 8, v2
	v_ffbh_u32_e32 v2, v3
	v_min_u32_e32 v2, 32, v2
	v_mov_b32_e32 v4, v49
	v_subrev_u32_e32 v5, 28, v2
	v_lshlrev_b64 v[4:5], v5, v[3:4]
	v_sub_u32_e32 v2, 29, v2
	v_and_b32_e32 v4, 7, v4
	v_cndmask_b32_e32 v2, v6, v2, vcc
	v_bfrev_b32_e32 v0, 60
	v_cndmask_b32_e32 v3, v3, v4, vcc
	v_lshlrev_b32_e32 v1, 16, v1
	v_lshl_add_u32 v2, v2, 23, v0
	v_and_or_b32 v1, v1, s54, v2
	v_lshlrev_b32_e32 v2, 20, v3
	v_or_b32_e32 v47, v1, v2
	v_mov_b32_e32 v46, v49
.LBB205_28:                             ;   in Loop: Header=BB205_13 Depth=1
	s_or_b64 exec, exec, s[44:45]
.LBB205_29:                             ;   in Loop: Header=BB205_13 Depth=1
	s_or_b64 exec, exec, s[42:43]
.LBB205_30:                             ;   in Loop: Header=BB205_13 Depth=1
	s_or_b64 exec, exec, s[40:41]
	global_load_ushort v2, v[41:42], off offset:4
	s_waitcnt vmcnt(0)
	v_and_b32_e32 v1, 0xffff, v2
	v_cmp_ne_u16_sdwa s[42:43], v2, v49 src0_sel:BYTE_0 src1_sel:DWORD
	v_mov_b32_e32 v2, 0
	v_mov_b32_e32 v3, 0
	buffer_store_dword v2, off, s[56:59], 0 offset:60 ; 4-byte Folded Spill
	s_nop 0
	buffer_store_dword v3, off, s[56:59], 0 offset:64 ; 4-byte Folded Spill
	v_mov_b32_e32 v2, 0
	v_mov_b32_e32 v3, 0
	buffer_store_dword v2, off, s[56:59], 0 offset:52 ; 4-byte Folded Spill
	s_nop 0
	buffer_store_dword v3, off, s[56:59], 0 offset:56 ; 4-byte Folded Spill
	s_and_saveexec_b64 s[40:41], s[42:43]
	s_cbranch_execz .LBB205_36
; %bb.31:                               ;   in Loop: Header=BB205_13 Depth=1
	v_bfrev_b32_e32 v2, 1
	v_mov_b32_e32 v3, 0
	v_cmp_ne_u16_sdwa s[44:45], v1, s52 src0_sel:BYTE_0 src1_sel:DWORD
	buffer_store_dword v2, off, s[56:59], 0 offset:52 ; 4-byte Folded Spill
	s_nop 0
	buffer_store_dword v3, off, s[56:59], 0 offset:56 ; 4-byte Folded Spill
	s_and_saveexec_b64 s[42:43], s[44:45]
	s_cbranch_execz .LBB205_35
; %bb.32:                               ;   in Loop: Header=BB205_13 Depth=1
	v_and_b32_e32 v2, 0x7f, v1
	v_mov_b32_e32 v3, 0x7f800001
	v_mov_b32_e32 v4, 0
	v_cmp_ne_u32_e32 vcc, s53, v2
	buffer_store_dword v3, off, s[56:59], 0 offset:52 ; 4-byte Folded Spill
	s_nop 0
	buffer_store_dword v4, off, s[56:59], 0 offset:56 ; 4-byte Folded Spill
	s_and_saveexec_b64 s[44:45], vcc
	s_cbranch_execz .LBB205_34
; %bb.33:                               ;   in Loop: Header=BB205_13 Depth=1
	v_and_b32_e32 v4, 7, v1
	v_lshrrev_b32_e32 v5, 3, v2
	v_cmp_gt_u32_e32 vcc, 8, v2
	v_ffbh_u32_e32 v2, v4
	v_min_u32_e32 v6, 32, v2
	v_subrev_u32_e32 v2, 28, v6
	v_lshlrev_b64 v[2:3], v2, v[1:2]
	v_sub_u32_e32 v3, 29, v6
	v_and_b32_e32 v2, 7, v2
	v_cndmask_b32_e32 v3, v5, v3, vcc
	v_cndmask_b32_e32 v2, v4, v2, vcc
	v_bfrev_b32_e32 v0, 60
	v_lshlrev_b32_e32 v2, 20, v2
	v_and_b32_sdwa v4, sext(v1), s54 dst_sel:DWORD dst_unused:UNUSED_PAD src0_sel:BYTE_0 src1_sel:DWORD
	v_lshl_add_u32 v3, v3, 23, v0
	v_or3_b32 v2, v4, v3, v2
	v_mov_b32_e32 v3, v49
	buffer_store_dword v2, off, s[56:59], 0 offset:52 ; 4-byte Folded Spill
	s_nop 0
	buffer_store_dword v3, off, s[56:59], 0 offset:56 ; 4-byte Folded Spill
.LBB205_34:                             ;   in Loop: Header=BB205_13 Depth=1
	s_or_b64 exec, exec, s[44:45]
.LBB205_35:                             ;   in Loop: Header=BB205_13 Depth=1
	s_or_b64 exec, exec, s[42:43]
.LBB205_36:                             ;   in Loop: Header=BB205_13 Depth=1
	s_or_b64 exec, exec, s[40:41]
	v_cmp_ne_u16_sdwa s[42:43], v1, v49 src0_sel:BYTE_1 src1_sel:DWORD
	s_and_saveexec_b64 s[40:41], s[42:43]
	s_cbranch_execz .LBB205_42
; %bb.37:                               ;   in Loop: Header=BB205_13 Depth=1
	v_cmp_ne_u16_sdwa s[44:45], v1, s52 src0_sel:BYTE_1 src1_sel:DWORD
	buffer_store_dword v49, off, s[56:59], 0 offset:60 ; 4-byte Folded Spill
	s_nop 0
	buffer_store_dword v50, off, s[56:59], 0 offset:64 ; 4-byte Folded Spill
	s_and_saveexec_b64 s[42:43], s[44:45]
	s_cbranch_execz .LBB205_41
; %bb.38:                               ;   in Loop: Header=BB205_13 Depth=1
	buffer_load_dword v3, off, s[56:59], 0  ; 4-byte Folded Reload
	buffer_load_dword v4, off, s[56:59], 0 offset:4 ; 4-byte Folded Reload
	v_and_b32_sdwa v2, v1, s53 dst_sel:DWORD dst_unused:UNUSED_PAD src0_sel:BYTE_1 src1_sel:DWORD
	v_cmp_ne_u32_e32 vcc, s53, v2
	s_waitcnt vmcnt(1)
	v_mov_b32_e32 v3, v49
	s_waitcnt vmcnt(0)
	v_mov_b32_e32 v5, v4
	buffer_store_dword v4, off, s[56:59], 0 ; 4-byte Folded Spill
	s_nop 0
	buffer_store_dword v5, off, s[56:59], 0 offset:4 ; 4-byte Folded Spill
	buffer_store_dword v3, off, s[56:59], 0 offset:60 ; 4-byte Folded Spill
	s_nop 0
	buffer_store_dword v4, off, s[56:59], 0 offset:64 ; 4-byte Folded Spill
	s_and_saveexec_b64 s[44:45], vcc
	s_cbranch_execz .LBB205_40
; %bb.39:                               ;   in Loop: Header=BB205_13 Depth=1
	v_mov_b32_e32 v0, 7
	v_and_b32_sdwa v3, v1, v0 dst_sel:DWORD dst_unused:UNUSED_PAD src0_sel:BYTE_1 src1_sel:DWORD
	v_lshrrev_b32_e32 v6, 3, v2
	v_cmp_gt_u32_e32 vcc, 8, v2
	v_ffbh_u32_e32 v2, v3
	v_min_u32_e32 v2, 32, v2
	v_mov_b32_e32 v4, v49
	v_subrev_u32_e32 v5, 28, v2
	v_lshlrev_b64 v[4:5], v5, v[3:4]
	v_sub_u32_e32 v2, 29, v2
	v_and_b32_e32 v4, 7, v4
	v_cndmask_b32_e32 v2, v6, v2, vcc
	v_bfrev_b32_e32 v0, 60
	v_cndmask_b32_e32 v3, v3, v4, vcc
	v_lshlrev_b32_e32 v1, 16, v1
	v_lshl_add_u32 v2, v2, 23, v0
	v_and_or_b32 v1, v1, s54, v2
	v_lshlrev_b32_e32 v2, 20, v3
	v_or_b32_e32 v1, v1, v2
	v_mov_b32_e32 v0, v49
	buffer_store_dword v0, off, s[56:59], 0 offset:60 ; 4-byte Folded Spill
	s_nop 0
	buffer_store_dword v1, off, s[56:59], 0 offset:64 ; 4-byte Folded Spill
.LBB205_40:                             ;   in Loop: Header=BB205_13 Depth=1
	s_or_b64 exec, exec, s[44:45]
.LBB205_41:                             ;   in Loop: Header=BB205_13 Depth=1
	s_or_b64 exec, exec, s[42:43]
.LBB205_42:                             ;   in Loop: Header=BB205_13 Depth=1
	s_or_b64 exec, exec, s[40:41]
	global_load_ushort v2, v[41:42], off offset:8
	s_waitcnt vmcnt(0)
	v_and_b32_e32 v1, 0xffff, v2
	v_cmp_ne_u16_sdwa s[42:43], v2, v49 src0_sel:BYTE_0 src1_sel:DWORD
	v_mov_b32_e32 v2, 0
	v_mov_b32_e32 v3, 0
	buffer_store_dword v2, off, s[56:59], 0 offset:76 ; 4-byte Folded Spill
	s_nop 0
	buffer_store_dword v3, off, s[56:59], 0 offset:80 ; 4-byte Folded Spill
	v_mov_b32_e32 v2, 0
	v_mov_b32_e32 v3, 0
	buffer_store_dword v2, off, s[56:59], 0 offset:68 ; 4-byte Folded Spill
	s_nop 0
	buffer_store_dword v3, off, s[56:59], 0 offset:72 ; 4-byte Folded Spill
	s_and_saveexec_b64 s[40:41], s[42:43]
	s_cbranch_execz .LBB205_48
; %bb.43:                               ;   in Loop: Header=BB205_13 Depth=1
	v_bfrev_b32_e32 v2, 1
	v_mov_b32_e32 v3, 0
	v_cmp_ne_u16_sdwa s[44:45], v1, s52 src0_sel:BYTE_0 src1_sel:DWORD
	buffer_store_dword v2, off, s[56:59], 0 offset:68 ; 4-byte Folded Spill
	s_nop 0
	buffer_store_dword v3, off, s[56:59], 0 offset:72 ; 4-byte Folded Spill
	s_and_saveexec_b64 s[42:43], s[44:45]
	s_cbranch_execz .LBB205_47
; %bb.44:                               ;   in Loop: Header=BB205_13 Depth=1
	v_and_b32_e32 v2, 0x7f, v1
	v_mov_b32_e32 v3, 0x7f800001
	v_mov_b32_e32 v4, 0
	v_cmp_ne_u32_e32 vcc, s53, v2
	buffer_store_dword v3, off, s[56:59], 0 offset:68 ; 4-byte Folded Spill
	s_nop 0
	buffer_store_dword v4, off, s[56:59], 0 offset:72 ; 4-byte Folded Spill
	s_and_saveexec_b64 s[44:45], vcc
	s_cbranch_execz .LBB205_46
; %bb.45:                               ;   in Loop: Header=BB205_13 Depth=1
	v_and_b32_e32 v4, 7, v1
	v_lshrrev_b32_e32 v5, 3, v2
	v_cmp_gt_u32_e32 vcc, 8, v2
	v_ffbh_u32_e32 v2, v4
	v_min_u32_e32 v6, 32, v2
	v_subrev_u32_e32 v2, 28, v6
	v_lshlrev_b64 v[2:3], v2, v[1:2]
	v_sub_u32_e32 v3, 29, v6
	v_and_b32_e32 v2, 7, v2
	v_cndmask_b32_e32 v3, v5, v3, vcc
	v_cndmask_b32_e32 v2, v4, v2, vcc
	v_bfrev_b32_e32 v0, 60
	v_lshlrev_b32_e32 v2, 20, v2
	v_and_b32_sdwa v4, sext(v1), s54 dst_sel:DWORD dst_unused:UNUSED_PAD src0_sel:BYTE_0 src1_sel:DWORD
	v_lshl_add_u32 v3, v3, 23, v0
	v_or3_b32 v2, v4, v3, v2
	v_mov_b32_e32 v3, v49
	buffer_store_dword v2, off, s[56:59], 0 offset:68 ; 4-byte Folded Spill
	s_nop 0
	buffer_store_dword v3, off, s[56:59], 0 offset:72 ; 4-byte Folded Spill
.LBB205_46:                             ;   in Loop: Header=BB205_13 Depth=1
	s_or_b64 exec, exec, s[44:45]
.LBB205_47:                             ;   in Loop: Header=BB205_13 Depth=1
	s_or_b64 exec, exec, s[42:43]
.LBB205_48:                             ;   in Loop: Header=BB205_13 Depth=1
	s_or_b64 exec, exec, s[40:41]
	v_cmp_ne_u16_sdwa s[42:43], v1, v49 src0_sel:BYTE_1 src1_sel:DWORD
	s_and_saveexec_b64 s[40:41], s[42:43]
	s_cbranch_execz .LBB205_54
; %bb.49:                               ;   in Loop: Header=BB205_13 Depth=1
	v_cmp_ne_u16_sdwa s[44:45], v1, s52 src0_sel:BYTE_1 src1_sel:DWORD
	buffer_store_dword v49, off, s[56:59], 0 offset:76 ; 4-byte Folded Spill
	s_nop 0
	buffer_store_dword v50, off, s[56:59], 0 offset:80 ; 4-byte Folded Spill
	s_and_saveexec_b64 s[42:43], s[44:45]
	s_cbranch_execz .LBB205_53
; %bb.50:                               ;   in Loop: Header=BB205_13 Depth=1
	buffer_load_dword v3, off, s[56:59], 0  ; 4-byte Folded Reload
	buffer_load_dword v4, off, s[56:59], 0 offset:4 ; 4-byte Folded Reload
	v_and_b32_sdwa v2, v1, s53 dst_sel:DWORD dst_unused:UNUSED_PAD src0_sel:BYTE_1 src1_sel:DWORD
	v_cmp_ne_u32_e32 vcc, s53, v2
	s_waitcnt vmcnt(1)
	v_mov_b32_e32 v3, v49
	s_waitcnt vmcnt(0)
	v_mov_b32_e32 v5, v4
	buffer_store_dword v4, off, s[56:59], 0 ; 4-byte Folded Spill
	s_nop 0
	buffer_store_dword v5, off, s[56:59], 0 offset:4 ; 4-byte Folded Spill
	buffer_store_dword v3, off, s[56:59], 0 offset:76 ; 4-byte Folded Spill
	s_nop 0
	buffer_store_dword v4, off, s[56:59], 0 offset:80 ; 4-byte Folded Spill
	s_and_saveexec_b64 s[44:45], vcc
	s_cbranch_execz .LBB205_52
; %bb.51:                               ;   in Loop: Header=BB205_13 Depth=1
	v_mov_b32_e32 v0, 7
	v_and_b32_sdwa v3, v1, v0 dst_sel:DWORD dst_unused:UNUSED_PAD src0_sel:BYTE_1 src1_sel:DWORD
	v_lshrrev_b32_e32 v6, 3, v2
	v_cmp_gt_u32_e32 vcc, 8, v2
	v_ffbh_u32_e32 v2, v3
	v_min_u32_e32 v2, 32, v2
	v_mov_b32_e32 v4, v49
	v_subrev_u32_e32 v5, 28, v2
	v_lshlrev_b64 v[4:5], v5, v[3:4]
	v_sub_u32_e32 v2, 29, v2
	v_and_b32_e32 v4, 7, v4
	v_cndmask_b32_e32 v2, v6, v2, vcc
	v_bfrev_b32_e32 v0, 60
	v_cndmask_b32_e32 v3, v3, v4, vcc
	v_lshlrev_b32_e32 v1, 16, v1
	v_lshl_add_u32 v2, v2, 23, v0
	v_and_or_b32 v1, v1, s54, v2
	v_lshlrev_b32_e32 v2, 20, v3
	v_or_b32_e32 v1, v1, v2
	v_mov_b32_e32 v0, v49
	buffer_store_dword v0, off, s[56:59], 0 offset:76 ; 4-byte Folded Spill
	s_nop 0
	buffer_store_dword v1, off, s[56:59], 0 offset:80 ; 4-byte Folded Spill
.LBB205_52:                             ;   in Loop: Header=BB205_13 Depth=1
	s_or_b64 exec, exec, s[44:45]
.LBB205_53:                             ;   in Loop: Header=BB205_13 Depth=1
	s_or_b64 exec, exec, s[42:43]
.LBB205_54:                             ;   in Loop: Header=BB205_13 Depth=1
	s_or_b64 exec, exec, s[40:41]
	global_load_ushort v2, v[41:42], off offset:12
	s_waitcnt vmcnt(0)
	v_and_b32_e32 v1, 0xffff, v2
	v_cmp_ne_u16_sdwa s[42:43], v2, v49 src0_sel:BYTE_0 src1_sel:DWORD
	v_mov_b32_e32 v2, 0
	v_mov_b32_e32 v3, 0
	buffer_store_dword v2, off, s[56:59], 0 offset:92 ; 4-byte Folded Spill
	s_nop 0
	buffer_store_dword v3, off, s[56:59], 0 offset:96 ; 4-byte Folded Spill
	v_mov_b32_e32 v2, 0
	v_mov_b32_e32 v3, 0
	buffer_store_dword v2, off, s[56:59], 0 offset:84 ; 4-byte Folded Spill
	s_nop 0
	buffer_store_dword v3, off, s[56:59], 0 offset:88 ; 4-byte Folded Spill
	s_and_saveexec_b64 s[40:41], s[42:43]
	s_cbranch_execz .LBB205_60
; %bb.55:                               ;   in Loop: Header=BB205_13 Depth=1
	v_bfrev_b32_e32 v2, 1
	v_mov_b32_e32 v3, 0
	v_cmp_ne_u16_sdwa s[44:45], v1, s52 src0_sel:BYTE_0 src1_sel:DWORD
	buffer_store_dword v2, off, s[56:59], 0 offset:84 ; 4-byte Folded Spill
	s_nop 0
	buffer_store_dword v3, off, s[56:59], 0 offset:88 ; 4-byte Folded Spill
	s_and_saveexec_b64 s[42:43], s[44:45]
	s_cbranch_execz .LBB205_59
; %bb.56:                               ;   in Loop: Header=BB205_13 Depth=1
	v_and_b32_e32 v2, 0x7f, v1
	v_mov_b32_e32 v3, 0x7f800001
	v_mov_b32_e32 v4, 0
	v_cmp_ne_u32_e32 vcc, s53, v2
	buffer_store_dword v3, off, s[56:59], 0 offset:84 ; 4-byte Folded Spill
	s_nop 0
	buffer_store_dword v4, off, s[56:59], 0 offset:88 ; 4-byte Folded Spill
	s_and_saveexec_b64 s[44:45], vcc
	s_cbranch_execz .LBB205_58
; %bb.57:                               ;   in Loop: Header=BB205_13 Depth=1
	v_and_b32_e32 v4, 7, v1
	v_lshrrev_b32_e32 v5, 3, v2
	v_cmp_gt_u32_e32 vcc, 8, v2
	v_ffbh_u32_e32 v2, v4
	v_min_u32_e32 v6, 32, v2
	v_subrev_u32_e32 v2, 28, v6
	v_lshlrev_b64 v[2:3], v2, v[1:2]
	v_sub_u32_e32 v3, 29, v6
	v_and_b32_e32 v2, 7, v2
	v_cndmask_b32_e32 v3, v5, v3, vcc
	v_cndmask_b32_e32 v2, v4, v2, vcc
	v_bfrev_b32_e32 v0, 60
	v_lshlrev_b32_e32 v2, 20, v2
	v_and_b32_sdwa v4, sext(v1), s54 dst_sel:DWORD dst_unused:UNUSED_PAD src0_sel:BYTE_0 src1_sel:DWORD
	v_lshl_add_u32 v3, v3, 23, v0
	v_or3_b32 v2, v4, v3, v2
	v_mov_b32_e32 v3, v49
	buffer_store_dword v2, off, s[56:59], 0 offset:84 ; 4-byte Folded Spill
	s_nop 0
	buffer_store_dword v3, off, s[56:59], 0 offset:88 ; 4-byte Folded Spill
.LBB205_58:                             ;   in Loop: Header=BB205_13 Depth=1
	s_or_b64 exec, exec, s[44:45]
.LBB205_59:                             ;   in Loop: Header=BB205_13 Depth=1
	s_or_b64 exec, exec, s[42:43]
.LBB205_60:                             ;   in Loop: Header=BB205_13 Depth=1
	s_or_b64 exec, exec, s[40:41]
	v_cmp_ne_u16_sdwa s[42:43], v1, v49 src0_sel:BYTE_1 src1_sel:DWORD
	s_and_saveexec_b64 s[40:41], s[42:43]
	s_cbranch_execz .LBB205_66
; %bb.61:                               ;   in Loop: Header=BB205_13 Depth=1
	v_cmp_ne_u16_sdwa s[44:45], v1, s52 src0_sel:BYTE_1 src1_sel:DWORD
	buffer_store_dword v49, off, s[56:59], 0 offset:92 ; 4-byte Folded Spill
	s_nop 0
	buffer_store_dword v50, off, s[56:59], 0 offset:96 ; 4-byte Folded Spill
	s_and_saveexec_b64 s[42:43], s[44:45]
	s_cbranch_execz .LBB205_65
; %bb.62:                               ;   in Loop: Header=BB205_13 Depth=1
	buffer_load_dword v3, off, s[56:59], 0  ; 4-byte Folded Reload
	buffer_load_dword v4, off, s[56:59], 0 offset:4 ; 4-byte Folded Reload
	v_and_b32_sdwa v2, v1, s53 dst_sel:DWORD dst_unused:UNUSED_PAD src0_sel:BYTE_1 src1_sel:DWORD
	v_cmp_ne_u32_e32 vcc, s53, v2
	s_waitcnt vmcnt(1)
	v_mov_b32_e32 v3, v49
	s_waitcnt vmcnt(0)
	v_mov_b32_e32 v5, v4
	buffer_store_dword v4, off, s[56:59], 0 ; 4-byte Folded Spill
	s_nop 0
	buffer_store_dword v5, off, s[56:59], 0 offset:4 ; 4-byte Folded Spill
	buffer_store_dword v3, off, s[56:59], 0 offset:92 ; 4-byte Folded Spill
	s_nop 0
	buffer_store_dword v4, off, s[56:59], 0 offset:96 ; 4-byte Folded Spill
	s_and_saveexec_b64 s[44:45], vcc
	s_cbranch_execz .LBB205_64
; %bb.63:                               ;   in Loop: Header=BB205_13 Depth=1
	v_mov_b32_e32 v0, 7
	v_and_b32_sdwa v3, v1, v0 dst_sel:DWORD dst_unused:UNUSED_PAD src0_sel:BYTE_1 src1_sel:DWORD
	v_lshrrev_b32_e32 v6, 3, v2
	v_cmp_gt_u32_e32 vcc, 8, v2
	v_ffbh_u32_e32 v2, v3
	v_min_u32_e32 v2, 32, v2
	v_mov_b32_e32 v4, v49
	v_subrev_u32_e32 v5, 28, v2
	v_lshlrev_b64 v[4:5], v5, v[3:4]
	v_sub_u32_e32 v2, 29, v2
	v_and_b32_e32 v4, 7, v4
	v_cndmask_b32_e32 v2, v6, v2, vcc
	v_bfrev_b32_e32 v0, 60
	v_cndmask_b32_e32 v3, v3, v4, vcc
	v_lshlrev_b32_e32 v1, 16, v1
	v_lshl_add_u32 v2, v2, 23, v0
	v_and_or_b32 v1, v1, s54, v2
	v_lshlrev_b32_e32 v2, 20, v3
	v_or_b32_e32 v1, v1, v2
	v_mov_b32_e32 v0, v49
	buffer_store_dword v0, off, s[56:59], 0 offset:92 ; 4-byte Folded Spill
	s_nop 0
	buffer_store_dword v1, off, s[56:59], 0 offset:96 ; 4-byte Folded Spill
.LBB205_64:                             ;   in Loop: Header=BB205_13 Depth=1
	s_or_b64 exec, exec, s[44:45]
.LBB205_65:                             ;   in Loop: Header=BB205_13 Depth=1
	s_or_b64 exec, exec, s[42:43]
.LBB205_66:                             ;   in Loop: Header=BB205_13 Depth=1
	s_or_b64 exec, exec, s[40:41]
	global_load_ushort v2, v[41:42], off offset:512
	s_waitcnt vmcnt(0)
	v_and_b32_e32 v1, 0xffff, v2
	v_cmp_ne_u16_sdwa s[42:43], v2, v49 src0_sel:BYTE_0 src1_sel:DWORD
	v_mov_b32_e32 v2, 0
	v_mov_b32_e32 v3, 0
	buffer_store_dword v2, off, s[56:59], 0 offset:108 ; 4-byte Folded Spill
	s_nop 0
	buffer_store_dword v3, off, s[56:59], 0 offset:112 ; 4-byte Folded Spill
	v_mov_b32_e32 v2, 0
	v_mov_b32_e32 v3, 0
	buffer_store_dword v2, off, s[56:59], 0 offset:100 ; 4-byte Folded Spill
	s_nop 0
	buffer_store_dword v3, off, s[56:59], 0 offset:104 ; 4-byte Folded Spill
	s_and_saveexec_b64 s[40:41], s[42:43]
	s_cbranch_execz .LBB205_72
; %bb.67:                               ;   in Loop: Header=BB205_13 Depth=1
	v_bfrev_b32_e32 v2, 1
	v_mov_b32_e32 v3, 0
	v_cmp_ne_u16_sdwa s[44:45], v1, s52 src0_sel:BYTE_0 src1_sel:DWORD
	buffer_store_dword v2, off, s[56:59], 0 offset:100 ; 4-byte Folded Spill
	s_nop 0
	buffer_store_dword v3, off, s[56:59], 0 offset:104 ; 4-byte Folded Spill
	s_and_saveexec_b64 s[42:43], s[44:45]
	s_cbranch_execz .LBB205_71
; %bb.68:                               ;   in Loop: Header=BB205_13 Depth=1
	v_and_b32_e32 v2, 0x7f, v1
	v_mov_b32_e32 v3, 0x7f800001
	v_mov_b32_e32 v4, 0
	v_cmp_ne_u32_e32 vcc, s53, v2
	buffer_store_dword v3, off, s[56:59], 0 offset:100 ; 4-byte Folded Spill
	s_nop 0
	buffer_store_dword v4, off, s[56:59], 0 offset:104 ; 4-byte Folded Spill
	s_and_saveexec_b64 s[44:45], vcc
	s_cbranch_execz .LBB205_70
; %bb.69:                               ;   in Loop: Header=BB205_13 Depth=1
	v_and_b32_e32 v4, 7, v1
	v_lshrrev_b32_e32 v5, 3, v2
	v_cmp_gt_u32_e32 vcc, 8, v2
	v_ffbh_u32_e32 v2, v4
	v_min_u32_e32 v6, 32, v2
	v_subrev_u32_e32 v2, 28, v6
	v_lshlrev_b64 v[2:3], v2, v[1:2]
	v_sub_u32_e32 v3, 29, v6
	v_and_b32_e32 v2, 7, v2
	v_cndmask_b32_e32 v3, v5, v3, vcc
	v_cndmask_b32_e32 v2, v4, v2, vcc
	v_bfrev_b32_e32 v0, 60
	v_lshlrev_b32_e32 v2, 20, v2
	v_and_b32_sdwa v4, sext(v1), s54 dst_sel:DWORD dst_unused:UNUSED_PAD src0_sel:BYTE_0 src1_sel:DWORD
	v_lshl_add_u32 v3, v3, 23, v0
	v_or3_b32 v2, v4, v3, v2
	v_mov_b32_e32 v3, v49
	buffer_store_dword v2, off, s[56:59], 0 offset:100 ; 4-byte Folded Spill
	s_nop 0
	buffer_store_dword v3, off, s[56:59], 0 offset:104 ; 4-byte Folded Spill
.LBB205_70:                             ;   in Loop: Header=BB205_13 Depth=1
	s_or_b64 exec, exec, s[44:45]
.LBB205_71:                             ;   in Loop: Header=BB205_13 Depth=1
	s_or_b64 exec, exec, s[42:43]
.LBB205_72:                             ;   in Loop: Header=BB205_13 Depth=1
	s_or_b64 exec, exec, s[40:41]
	v_cmp_ne_u16_sdwa s[42:43], v1, v49 src0_sel:BYTE_1 src1_sel:DWORD
	s_and_saveexec_b64 s[40:41], s[42:43]
	s_cbranch_execz .LBB205_78
; %bb.73:                               ;   in Loop: Header=BB205_13 Depth=1
	v_cmp_ne_u16_sdwa s[44:45], v1, s52 src0_sel:BYTE_1 src1_sel:DWORD
	buffer_store_dword v49, off, s[56:59], 0 offset:108 ; 4-byte Folded Spill
	s_nop 0
	buffer_store_dword v50, off, s[56:59], 0 offset:112 ; 4-byte Folded Spill
	s_and_saveexec_b64 s[42:43], s[44:45]
	s_cbranch_execz .LBB205_77
; %bb.74:                               ;   in Loop: Header=BB205_13 Depth=1
	buffer_load_dword v3, off, s[56:59], 0  ; 4-byte Folded Reload
	buffer_load_dword v4, off, s[56:59], 0 offset:4 ; 4-byte Folded Reload
	v_and_b32_sdwa v2, v1, s53 dst_sel:DWORD dst_unused:UNUSED_PAD src0_sel:BYTE_1 src1_sel:DWORD
	v_cmp_ne_u32_e32 vcc, s53, v2
	s_waitcnt vmcnt(1)
	v_mov_b32_e32 v3, v49
	s_waitcnt vmcnt(0)
	v_mov_b32_e32 v5, v4
	buffer_store_dword v4, off, s[56:59], 0 ; 4-byte Folded Spill
	s_nop 0
	buffer_store_dword v5, off, s[56:59], 0 offset:4 ; 4-byte Folded Spill
	buffer_store_dword v3, off, s[56:59], 0 offset:108 ; 4-byte Folded Spill
	s_nop 0
	buffer_store_dword v4, off, s[56:59], 0 offset:112 ; 4-byte Folded Spill
	s_and_saveexec_b64 s[44:45], vcc
	s_cbranch_execz .LBB205_76
; %bb.75:                               ;   in Loop: Header=BB205_13 Depth=1
	v_mov_b32_e32 v0, 7
	v_and_b32_sdwa v3, v1, v0 dst_sel:DWORD dst_unused:UNUSED_PAD src0_sel:BYTE_1 src1_sel:DWORD
	v_lshrrev_b32_e32 v6, 3, v2
	v_cmp_gt_u32_e32 vcc, 8, v2
	v_ffbh_u32_e32 v2, v3
	v_min_u32_e32 v2, 32, v2
	v_mov_b32_e32 v4, v49
	v_subrev_u32_e32 v5, 28, v2
	v_lshlrev_b64 v[4:5], v5, v[3:4]
	v_sub_u32_e32 v2, 29, v2
	v_and_b32_e32 v4, 7, v4
	v_cndmask_b32_e32 v2, v6, v2, vcc
	v_bfrev_b32_e32 v0, 60
	v_cndmask_b32_e32 v3, v3, v4, vcc
	v_lshlrev_b32_e32 v1, 16, v1
	v_lshl_add_u32 v2, v2, 23, v0
	v_and_or_b32 v1, v1, s54, v2
	v_lshlrev_b32_e32 v2, 20, v3
	v_or_b32_e32 v1, v1, v2
	v_mov_b32_e32 v0, v49
	buffer_store_dword v0, off, s[56:59], 0 offset:108 ; 4-byte Folded Spill
	s_nop 0
	buffer_store_dword v1, off, s[56:59], 0 offset:112 ; 4-byte Folded Spill
.LBB205_76:                             ;   in Loop: Header=BB205_13 Depth=1
	s_or_b64 exec, exec, s[44:45]
.LBB205_77:                             ;   in Loop: Header=BB205_13 Depth=1
	s_or_b64 exec, exec, s[42:43]
.LBB205_78:                             ;   in Loop: Header=BB205_13 Depth=1
	s_or_b64 exec, exec, s[40:41]
	global_load_ushort v2, v[41:42], off offset:516
	s_waitcnt vmcnt(0)
	v_and_b32_e32 v1, 0xffff, v2
	v_cmp_ne_u16_sdwa s[42:43], v2, v49 src0_sel:BYTE_0 src1_sel:DWORD
	v_mov_b32_e32 v2, 0
	v_mov_b32_e32 v3, 0
	buffer_store_dword v2, off, s[56:59], 0 offset:124 ; 4-byte Folded Spill
	s_nop 0
	buffer_store_dword v3, off, s[56:59], 0 offset:128 ; 4-byte Folded Spill
	v_mov_b32_e32 v2, 0
	v_mov_b32_e32 v3, 0
	buffer_store_dword v2, off, s[56:59], 0 offset:116 ; 4-byte Folded Spill
	s_nop 0
	buffer_store_dword v3, off, s[56:59], 0 offset:120 ; 4-byte Folded Spill
	s_and_saveexec_b64 s[40:41], s[42:43]
	s_cbranch_execz .LBB205_84
; %bb.79:                               ;   in Loop: Header=BB205_13 Depth=1
	v_bfrev_b32_e32 v2, 1
	v_mov_b32_e32 v3, 0
	v_cmp_ne_u16_sdwa s[44:45], v1, s52 src0_sel:BYTE_0 src1_sel:DWORD
	buffer_store_dword v2, off, s[56:59], 0 offset:116 ; 4-byte Folded Spill
	s_nop 0
	buffer_store_dword v3, off, s[56:59], 0 offset:120 ; 4-byte Folded Spill
	s_and_saveexec_b64 s[42:43], s[44:45]
	s_cbranch_execz .LBB205_83
; %bb.80:                               ;   in Loop: Header=BB205_13 Depth=1
	v_and_b32_e32 v2, 0x7f, v1
	v_mov_b32_e32 v3, 0x7f800001
	v_mov_b32_e32 v4, 0
	v_cmp_ne_u32_e32 vcc, s53, v2
	buffer_store_dword v3, off, s[56:59], 0 offset:116 ; 4-byte Folded Spill
	s_nop 0
	buffer_store_dword v4, off, s[56:59], 0 offset:120 ; 4-byte Folded Spill
	s_and_saveexec_b64 s[44:45], vcc
	s_cbranch_execz .LBB205_82
; %bb.81:                               ;   in Loop: Header=BB205_13 Depth=1
	v_and_b32_e32 v4, 7, v1
	v_lshrrev_b32_e32 v5, 3, v2
	v_cmp_gt_u32_e32 vcc, 8, v2
	v_ffbh_u32_e32 v2, v4
	v_min_u32_e32 v6, 32, v2
	v_subrev_u32_e32 v2, 28, v6
	v_lshlrev_b64 v[2:3], v2, v[1:2]
	v_sub_u32_e32 v3, 29, v6
	v_and_b32_e32 v2, 7, v2
	v_cndmask_b32_e32 v3, v5, v3, vcc
	v_cndmask_b32_e32 v2, v4, v2, vcc
	v_bfrev_b32_e32 v0, 60
	v_lshlrev_b32_e32 v2, 20, v2
	v_and_b32_sdwa v4, sext(v1), s54 dst_sel:DWORD dst_unused:UNUSED_PAD src0_sel:BYTE_0 src1_sel:DWORD
	v_lshl_add_u32 v3, v3, 23, v0
	v_or3_b32 v2, v4, v3, v2
	v_mov_b32_e32 v3, v49
	buffer_store_dword v2, off, s[56:59], 0 offset:116 ; 4-byte Folded Spill
	s_nop 0
	buffer_store_dword v3, off, s[56:59], 0 offset:120 ; 4-byte Folded Spill
.LBB205_82:                             ;   in Loop: Header=BB205_13 Depth=1
	s_or_b64 exec, exec, s[44:45]
.LBB205_83:                             ;   in Loop: Header=BB205_13 Depth=1
	s_or_b64 exec, exec, s[42:43]
.LBB205_84:                             ;   in Loop: Header=BB205_13 Depth=1
	s_or_b64 exec, exec, s[40:41]
	v_cmp_ne_u16_sdwa s[42:43], v1, v49 src0_sel:BYTE_1 src1_sel:DWORD
	s_and_saveexec_b64 s[40:41], s[42:43]
	s_cbranch_execz .LBB205_90
; %bb.85:                               ;   in Loop: Header=BB205_13 Depth=1
	v_cmp_ne_u16_sdwa s[44:45], v1, s52 src0_sel:BYTE_1 src1_sel:DWORD
	buffer_store_dword v49, off, s[56:59], 0 offset:124 ; 4-byte Folded Spill
	s_nop 0
	buffer_store_dword v50, off, s[56:59], 0 offset:128 ; 4-byte Folded Spill
	s_and_saveexec_b64 s[42:43], s[44:45]
	s_cbranch_execz .LBB205_89
; %bb.86:                               ;   in Loop: Header=BB205_13 Depth=1
	buffer_load_dword v3, off, s[56:59], 0  ; 4-byte Folded Reload
	buffer_load_dword v4, off, s[56:59], 0 offset:4 ; 4-byte Folded Reload
	v_and_b32_sdwa v2, v1, s53 dst_sel:DWORD dst_unused:UNUSED_PAD src0_sel:BYTE_1 src1_sel:DWORD
	v_cmp_ne_u32_e32 vcc, s53, v2
	s_waitcnt vmcnt(1)
	v_mov_b32_e32 v3, v49
	s_waitcnt vmcnt(0)
	v_mov_b32_e32 v5, v4
	buffer_store_dword v4, off, s[56:59], 0 ; 4-byte Folded Spill
	s_nop 0
	buffer_store_dword v5, off, s[56:59], 0 offset:4 ; 4-byte Folded Spill
	buffer_store_dword v3, off, s[56:59], 0 offset:124 ; 4-byte Folded Spill
	s_nop 0
	buffer_store_dword v4, off, s[56:59], 0 offset:128 ; 4-byte Folded Spill
	s_and_saveexec_b64 s[44:45], vcc
	s_cbranch_execz .LBB205_88
; %bb.87:                               ;   in Loop: Header=BB205_13 Depth=1
	v_mov_b32_e32 v0, 7
	v_and_b32_sdwa v3, v1, v0 dst_sel:DWORD dst_unused:UNUSED_PAD src0_sel:BYTE_1 src1_sel:DWORD
	v_lshrrev_b32_e32 v6, 3, v2
	v_cmp_gt_u32_e32 vcc, 8, v2
	v_ffbh_u32_e32 v2, v3
	v_min_u32_e32 v2, 32, v2
	v_mov_b32_e32 v4, v49
	v_subrev_u32_e32 v5, 28, v2
	v_lshlrev_b64 v[4:5], v5, v[3:4]
	v_sub_u32_e32 v2, 29, v2
	v_and_b32_e32 v4, 7, v4
	v_cndmask_b32_e32 v2, v6, v2, vcc
	v_bfrev_b32_e32 v0, 60
	v_cndmask_b32_e32 v3, v3, v4, vcc
	v_lshlrev_b32_e32 v1, 16, v1
	v_lshl_add_u32 v2, v2, 23, v0
	v_and_or_b32 v1, v1, s54, v2
	v_lshlrev_b32_e32 v2, 20, v3
	v_or_b32_e32 v1, v1, v2
	v_mov_b32_e32 v0, v49
	buffer_store_dword v0, off, s[56:59], 0 offset:124 ; 4-byte Folded Spill
	s_nop 0
	buffer_store_dword v1, off, s[56:59], 0 offset:128 ; 4-byte Folded Spill
.LBB205_88:                             ;   in Loop: Header=BB205_13 Depth=1
	s_or_b64 exec, exec, s[44:45]
.LBB205_89:                             ;   in Loop: Header=BB205_13 Depth=1
	s_or_b64 exec, exec, s[42:43]
.LBB205_90:                             ;   in Loop: Header=BB205_13 Depth=1
	s_or_b64 exec, exec, s[40:41]
	global_load_ushort v2, v[41:42], off offset:520
	s_waitcnt vmcnt(0)
	v_and_b32_e32 v1, 0xffff, v2
	v_cmp_ne_u16_sdwa s[42:43], v2, v49 src0_sel:BYTE_0 src1_sel:DWORD
	v_mov_b32_e32 v2, 0
	v_mov_b32_e32 v3, 0
	buffer_store_dword v2, off, s[56:59], 0 offset:140 ; 4-byte Folded Spill
	s_nop 0
	buffer_store_dword v3, off, s[56:59], 0 offset:144 ; 4-byte Folded Spill
	v_mov_b32_e32 v2, 0
	v_mov_b32_e32 v3, 0
	buffer_store_dword v2, off, s[56:59], 0 offset:132 ; 4-byte Folded Spill
	s_nop 0
	buffer_store_dword v3, off, s[56:59], 0 offset:136 ; 4-byte Folded Spill
	s_and_saveexec_b64 s[40:41], s[42:43]
	s_cbranch_execz .LBB205_96
; %bb.91:                               ;   in Loop: Header=BB205_13 Depth=1
	v_bfrev_b32_e32 v2, 1
	v_mov_b32_e32 v3, 0
	v_cmp_ne_u16_sdwa s[44:45], v1, s52 src0_sel:BYTE_0 src1_sel:DWORD
	buffer_store_dword v2, off, s[56:59], 0 offset:132 ; 4-byte Folded Spill
	s_nop 0
	buffer_store_dword v3, off, s[56:59], 0 offset:136 ; 4-byte Folded Spill
	s_and_saveexec_b64 s[42:43], s[44:45]
	s_cbranch_execz .LBB205_95
; %bb.92:                               ;   in Loop: Header=BB205_13 Depth=1
	v_and_b32_e32 v2, 0x7f, v1
	v_mov_b32_e32 v3, 0x7f800001
	v_mov_b32_e32 v4, 0
	v_cmp_ne_u32_e32 vcc, s53, v2
	buffer_store_dword v3, off, s[56:59], 0 offset:132 ; 4-byte Folded Spill
	s_nop 0
	buffer_store_dword v4, off, s[56:59], 0 offset:136 ; 4-byte Folded Spill
	s_and_saveexec_b64 s[44:45], vcc
	s_cbranch_execz .LBB205_94
; %bb.93:                               ;   in Loop: Header=BB205_13 Depth=1
	v_and_b32_e32 v4, 7, v1
	v_lshrrev_b32_e32 v5, 3, v2
	v_cmp_gt_u32_e32 vcc, 8, v2
	v_ffbh_u32_e32 v2, v4
	v_min_u32_e32 v6, 32, v2
	v_subrev_u32_e32 v2, 28, v6
	v_lshlrev_b64 v[2:3], v2, v[1:2]
	v_sub_u32_e32 v3, 29, v6
	v_and_b32_e32 v2, 7, v2
	v_cndmask_b32_e32 v3, v5, v3, vcc
	v_cndmask_b32_e32 v2, v4, v2, vcc
	v_bfrev_b32_e32 v0, 60
	v_lshlrev_b32_e32 v2, 20, v2
	v_and_b32_sdwa v4, sext(v1), s54 dst_sel:DWORD dst_unused:UNUSED_PAD src0_sel:BYTE_0 src1_sel:DWORD
	v_lshl_add_u32 v3, v3, 23, v0
	v_or3_b32 v2, v4, v3, v2
	v_mov_b32_e32 v3, v49
	buffer_store_dword v2, off, s[56:59], 0 offset:132 ; 4-byte Folded Spill
	s_nop 0
	buffer_store_dword v3, off, s[56:59], 0 offset:136 ; 4-byte Folded Spill
.LBB205_94:                             ;   in Loop: Header=BB205_13 Depth=1
	s_or_b64 exec, exec, s[44:45]
.LBB205_95:                             ;   in Loop: Header=BB205_13 Depth=1
	s_or_b64 exec, exec, s[42:43]
.LBB205_96:                             ;   in Loop: Header=BB205_13 Depth=1
	s_or_b64 exec, exec, s[40:41]
	v_cmp_ne_u16_sdwa s[42:43], v1, v49 src0_sel:BYTE_1 src1_sel:DWORD
	s_and_saveexec_b64 s[40:41], s[42:43]
	s_cbranch_execz .LBB205_102
; %bb.97:                               ;   in Loop: Header=BB205_13 Depth=1
	v_cmp_ne_u16_sdwa s[44:45], v1, s52 src0_sel:BYTE_1 src1_sel:DWORD
	buffer_store_dword v49, off, s[56:59], 0 offset:140 ; 4-byte Folded Spill
	s_nop 0
	buffer_store_dword v50, off, s[56:59], 0 offset:144 ; 4-byte Folded Spill
	s_and_saveexec_b64 s[42:43], s[44:45]
	s_cbranch_execz .LBB205_101
; %bb.98:                               ;   in Loop: Header=BB205_13 Depth=1
	buffer_load_dword v3, off, s[56:59], 0  ; 4-byte Folded Reload
	buffer_load_dword v4, off, s[56:59], 0 offset:4 ; 4-byte Folded Reload
	v_and_b32_sdwa v2, v1, s53 dst_sel:DWORD dst_unused:UNUSED_PAD src0_sel:BYTE_1 src1_sel:DWORD
	v_cmp_ne_u32_e32 vcc, s53, v2
	s_waitcnt vmcnt(1)
	v_mov_b32_e32 v3, v49
	s_waitcnt vmcnt(0)
	v_mov_b32_e32 v5, v4
	buffer_store_dword v4, off, s[56:59], 0 ; 4-byte Folded Spill
	s_nop 0
	buffer_store_dword v5, off, s[56:59], 0 offset:4 ; 4-byte Folded Spill
	buffer_store_dword v3, off, s[56:59], 0 offset:140 ; 4-byte Folded Spill
	s_nop 0
	buffer_store_dword v4, off, s[56:59], 0 offset:144 ; 4-byte Folded Spill
	s_and_saveexec_b64 s[44:45], vcc
	s_cbranch_execz .LBB205_100
; %bb.99:                               ;   in Loop: Header=BB205_13 Depth=1
	v_mov_b32_e32 v0, 7
	v_and_b32_sdwa v3, v1, v0 dst_sel:DWORD dst_unused:UNUSED_PAD src0_sel:BYTE_1 src1_sel:DWORD
	v_lshrrev_b32_e32 v6, 3, v2
	v_cmp_gt_u32_e32 vcc, 8, v2
	v_ffbh_u32_e32 v2, v3
	v_min_u32_e32 v2, 32, v2
	v_mov_b32_e32 v4, v49
	v_subrev_u32_e32 v5, 28, v2
	v_lshlrev_b64 v[4:5], v5, v[3:4]
	v_sub_u32_e32 v2, 29, v2
	v_and_b32_e32 v4, 7, v4
	v_cndmask_b32_e32 v2, v6, v2, vcc
	v_bfrev_b32_e32 v0, 60
	v_cndmask_b32_e32 v3, v3, v4, vcc
	v_lshlrev_b32_e32 v1, 16, v1
	v_lshl_add_u32 v2, v2, 23, v0
	v_and_or_b32 v1, v1, s54, v2
	v_lshlrev_b32_e32 v2, 20, v3
	v_or_b32_e32 v1, v1, v2
	v_mov_b32_e32 v0, v49
	buffer_store_dword v0, off, s[56:59], 0 offset:140 ; 4-byte Folded Spill
	s_nop 0
	buffer_store_dword v1, off, s[56:59], 0 offset:144 ; 4-byte Folded Spill
.LBB205_100:                            ;   in Loop: Header=BB205_13 Depth=1
	s_or_b64 exec, exec, s[44:45]
.LBB205_101:                            ;   in Loop: Header=BB205_13 Depth=1
	s_or_b64 exec, exec, s[42:43]
.LBB205_102:                            ;   in Loop: Header=BB205_13 Depth=1
	s_or_b64 exec, exec, s[40:41]
	global_load_ushort v2, v[41:42], off offset:524
	s_waitcnt vmcnt(0)
	v_and_b32_e32 v1, 0xffff, v2
	v_cmp_ne_u16_sdwa s[42:43], v2, v49 src0_sel:BYTE_0 src1_sel:DWORD
	v_mov_b32_e32 v2, 0
	v_mov_b32_e32 v3, 0
	buffer_store_dword v2, off, s[56:59], 0 offset:156 ; 4-byte Folded Spill
	s_nop 0
	buffer_store_dword v3, off, s[56:59], 0 offset:160 ; 4-byte Folded Spill
	v_mov_b32_e32 v2, 0
	v_mov_b32_e32 v3, 0
	buffer_store_dword v2, off, s[56:59], 0 offset:148 ; 4-byte Folded Spill
	s_nop 0
	buffer_store_dword v3, off, s[56:59], 0 offset:152 ; 4-byte Folded Spill
	s_and_saveexec_b64 s[40:41], s[42:43]
	s_cbranch_execz .LBB205_108
; %bb.103:                              ;   in Loop: Header=BB205_13 Depth=1
	v_bfrev_b32_e32 v2, 1
	v_mov_b32_e32 v3, 0
	v_cmp_ne_u16_sdwa s[44:45], v1, s52 src0_sel:BYTE_0 src1_sel:DWORD
	buffer_store_dword v2, off, s[56:59], 0 offset:148 ; 4-byte Folded Spill
	s_nop 0
	buffer_store_dword v3, off, s[56:59], 0 offset:152 ; 4-byte Folded Spill
	s_and_saveexec_b64 s[42:43], s[44:45]
	s_cbranch_execz .LBB205_107
; %bb.104:                              ;   in Loop: Header=BB205_13 Depth=1
	v_and_b32_e32 v2, 0x7f, v1
	v_mov_b32_e32 v3, 0x7f800001
	v_mov_b32_e32 v4, 0
	v_cmp_ne_u32_e32 vcc, s53, v2
	buffer_store_dword v3, off, s[56:59], 0 offset:148 ; 4-byte Folded Spill
	s_nop 0
	buffer_store_dword v4, off, s[56:59], 0 offset:152 ; 4-byte Folded Spill
	s_and_saveexec_b64 s[44:45], vcc
	s_cbranch_execz .LBB205_106
; %bb.105:                              ;   in Loop: Header=BB205_13 Depth=1
	v_and_b32_e32 v4, 7, v1
	v_lshrrev_b32_e32 v5, 3, v2
	v_cmp_gt_u32_e32 vcc, 8, v2
	v_ffbh_u32_e32 v2, v4
	v_min_u32_e32 v6, 32, v2
	v_subrev_u32_e32 v2, 28, v6
	v_lshlrev_b64 v[2:3], v2, v[1:2]
	v_sub_u32_e32 v3, 29, v6
	v_and_b32_e32 v2, 7, v2
	v_cndmask_b32_e32 v3, v5, v3, vcc
	v_cndmask_b32_e32 v2, v4, v2, vcc
	v_bfrev_b32_e32 v0, 60
	v_lshlrev_b32_e32 v2, 20, v2
	v_and_b32_sdwa v4, sext(v1), s54 dst_sel:DWORD dst_unused:UNUSED_PAD src0_sel:BYTE_0 src1_sel:DWORD
	v_lshl_add_u32 v3, v3, 23, v0
	v_or3_b32 v2, v4, v3, v2
	v_mov_b32_e32 v3, v49
	buffer_store_dword v2, off, s[56:59], 0 offset:148 ; 4-byte Folded Spill
	s_nop 0
	buffer_store_dword v3, off, s[56:59], 0 offset:152 ; 4-byte Folded Spill
.LBB205_106:                            ;   in Loop: Header=BB205_13 Depth=1
	s_or_b64 exec, exec, s[44:45]
.LBB205_107:                            ;   in Loop: Header=BB205_13 Depth=1
	s_or_b64 exec, exec, s[42:43]
.LBB205_108:                            ;   in Loop: Header=BB205_13 Depth=1
	s_or_b64 exec, exec, s[40:41]
	v_cmp_ne_u16_sdwa s[42:43], v1, v49 src0_sel:BYTE_1 src1_sel:DWORD
	s_and_saveexec_b64 s[40:41], s[42:43]
	s_cbranch_execz .LBB205_114
; %bb.109:                              ;   in Loop: Header=BB205_13 Depth=1
	v_cmp_ne_u16_sdwa s[44:45], v1, s52 src0_sel:BYTE_1 src1_sel:DWORD
	buffer_store_dword v49, off, s[56:59], 0 offset:156 ; 4-byte Folded Spill
	s_nop 0
	buffer_store_dword v50, off, s[56:59], 0 offset:160 ; 4-byte Folded Spill
	s_and_saveexec_b64 s[42:43], s[44:45]
	s_cbranch_execz .LBB205_113
; %bb.110:                              ;   in Loop: Header=BB205_13 Depth=1
	buffer_load_dword v3, off, s[56:59], 0  ; 4-byte Folded Reload
	buffer_load_dword v4, off, s[56:59], 0 offset:4 ; 4-byte Folded Reload
	v_and_b32_sdwa v2, v1, s53 dst_sel:DWORD dst_unused:UNUSED_PAD src0_sel:BYTE_1 src1_sel:DWORD
	v_cmp_ne_u32_e32 vcc, s53, v2
	s_waitcnt vmcnt(1)
	v_mov_b32_e32 v3, v49
	s_waitcnt vmcnt(0)
	v_mov_b32_e32 v5, v4
	buffer_store_dword v4, off, s[56:59], 0 ; 4-byte Folded Spill
	s_nop 0
	buffer_store_dword v5, off, s[56:59], 0 offset:4 ; 4-byte Folded Spill
	buffer_store_dword v3, off, s[56:59], 0 offset:156 ; 4-byte Folded Spill
	s_nop 0
	buffer_store_dword v4, off, s[56:59], 0 offset:160 ; 4-byte Folded Spill
	s_and_saveexec_b64 s[44:45], vcc
	s_cbranch_execz .LBB205_112
; %bb.111:                              ;   in Loop: Header=BB205_13 Depth=1
	v_mov_b32_e32 v0, 7
	v_and_b32_sdwa v3, v1, v0 dst_sel:DWORD dst_unused:UNUSED_PAD src0_sel:BYTE_1 src1_sel:DWORD
	v_lshrrev_b32_e32 v6, 3, v2
	v_cmp_gt_u32_e32 vcc, 8, v2
	v_ffbh_u32_e32 v2, v3
	v_min_u32_e32 v2, 32, v2
	v_mov_b32_e32 v4, v49
	v_subrev_u32_e32 v5, 28, v2
	v_lshlrev_b64 v[4:5], v5, v[3:4]
	v_sub_u32_e32 v2, 29, v2
	v_and_b32_e32 v4, 7, v4
	v_cndmask_b32_e32 v2, v6, v2, vcc
	v_bfrev_b32_e32 v0, 60
	v_cndmask_b32_e32 v3, v3, v4, vcc
	v_lshlrev_b32_e32 v1, 16, v1
	v_lshl_add_u32 v2, v2, 23, v0
	v_and_or_b32 v1, v1, s54, v2
	v_lshlrev_b32_e32 v2, 20, v3
	v_or_b32_e32 v1, v1, v2
	v_mov_b32_e32 v0, v49
	buffer_store_dword v0, off, s[56:59], 0 offset:156 ; 4-byte Folded Spill
	s_nop 0
	buffer_store_dword v1, off, s[56:59], 0 offset:160 ; 4-byte Folded Spill
.LBB205_112:                            ;   in Loop: Header=BB205_13 Depth=1
	s_or_b64 exec, exec, s[44:45]
.LBB205_113:                            ;   in Loop: Header=BB205_13 Depth=1
	s_or_b64 exec, exec, s[42:43]
.LBB205_114:                            ;   in Loop: Header=BB205_13 Depth=1
	s_or_b64 exec, exec, s[40:41]
	global_load_ushort v2, v[41:42], off offset:1024
	s_waitcnt vmcnt(0)
	v_and_b32_e32 v1, 0xffff, v2
	v_cmp_ne_u16_sdwa s[42:43], v2, v49 src0_sel:BYTE_0 src1_sel:DWORD
	v_mov_b32_e32 v2, 0
	v_mov_b32_e32 v3, 0
	buffer_store_dword v2, off, s[56:59], 0 offset:172 ; 4-byte Folded Spill
	s_nop 0
	buffer_store_dword v3, off, s[56:59], 0 offset:176 ; 4-byte Folded Spill
	v_mov_b32_e32 v2, 0
	v_mov_b32_e32 v3, 0
	buffer_store_dword v2, off, s[56:59], 0 offset:164 ; 4-byte Folded Spill
	s_nop 0
	buffer_store_dword v3, off, s[56:59], 0 offset:168 ; 4-byte Folded Spill
	s_and_saveexec_b64 s[40:41], s[42:43]
	s_cbranch_execz .LBB205_120
; %bb.115:                              ;   in Loop: Header=BB205_13 Depth=1
	v_bfrev_b32_e32 v2, 1
	v_mov_b32_e32 v3, 0
	v_cmp_ne_u16_sdwa s[44:45], v1, s52 src0_sel:BYTE_0 src1_sel:DWORD
	buffer_store_dword v2, off, s[56:59], 0 offset:164 ; 4-byte Folded Spill
	s_nop 0
	buffer_store_dword v3, off, s[56:59], 0 offset:168 ; 4-byte Folded Spill
	s_and_saveexec_b64 s[42:43], s[44:45]
	s_cbranch_execz .LBB205_119
; %bb.116:                              ;   in Loop: Header=BB205_13 Depth=1
	v_and_b32_e32 v2, 0x7f, v1
	v_mov_b32_e32 v3, 0x7f800001
	v_mov_b32_e32 v4, 0
	v_cmp_ne_u32_e32 vcc, s53, v2
	buffer_store_dword v3, off, s[56:59], 0 offset:164 ; 4-byte Folded Spill
	s_nop 0
	buffer_store_dword v4, off, s[56:59], 0 offset:168 ; 4-byte Folded Spill
	s_and_saveexec_b64 s[44:45], vcc
	s_cbranch_execz .LBB205_118
; %bb.117:                              ;   in Loop: Header=BB205_13 Depth=1
	v_and_b32_e32 v4, 7, v1
	v_lshrrev_b32_e32 v5, 3, v2
	v_cmp_gt_u32_e32 vcc, 8, v2
	v_ffbh_u32_e32 v2, v4
	v_min_u32_e32 v6, 32, v2
	v_subrev_u32_e32 v2, 28, v6
	v_lshlrev_b64 v[2:3], v2, v[1:2]
	v_sub_u32_e32 v3, 29, v6
	v_and_b32_e32 v2, 7, v2
	v_cndmask_b32_e32 v3, v5, v3, vcc
	v_cndmask_b32_e32 v2, v4, v2, vcc
	v_bfrev_b32_e32 v0, 60
	v_lshlrev_b32_e32 v2, 20, v2
	v_and_b32_sdwa v4, sext(v1), s54 dst_sel:DWORD dst_unused:UNUSED_PAD src0_sel:BYTE_0 src1_sel:DWORD
	v_lshl_add_u32 v3, v3, 23, v0
	v_or3_b32 v2, v4, v3, v2
	v_mov_b32_e32 v3, v49
	buffer_store_dword v2, off, s[56:59], 0 offset:164 ; 4-byte Folded Spill
	s_nop 0
	buffer_store_dword v3, off, s[56:59], 0 offset:168 ; 4-byte Folded Spill
.LBB205_118:                            ;   in Loop: Header=BB205_13 Depth=1
	s_or_b64 exec, exec, s[44:45]
.LBB205_119:                            ;   in Loop: Header=BB205_13 Depth=1
	s_or_b64 exec, exec, s[42:43]
.LBB205_120:                            ;   in Loop: Header=BB205_13 Depth=1
	s_or_b64 exec, exec, s[40:41]
	v_cmp_ne_u16_sdwa s[42:43], v1, v49 src0_sel:BYTE_1 src1_sel:DWORD
	s_and_saveexec_b64 s[40:41], s[42:43]
	s_cbranch_execz .LBB205_126
; %bb.121:                              ;   in Loop: Header=BB205_13 Depth=1
	v_cmp_ne_u16_sdwa s[44:45], v1, s52 src0_sel:BYTE_1 src1_sel:DWORD
	buffer_store_dword v49, off, s[56:59], 0 offset:172 ; 4-byte Folded Spill
	s_nop 0
	buffer_store_dword v50, off, s[56:59], 0 offset:176 ; 4-byte Folded Spill
	s_and_saveexec_b64 s[42:43], s[44:45]
	s_cbranch_execz .LBB205_125
; %bb.122:                              ;   in Loop: Header=BB205_13 Depth=1
	buffer_load_dword v3, off, s[56:59], 0  ; 4-byte Folded Reload
	buffer_load_dword v4, off, s[56:59], 0 offset:4 ; 4-byte Folded Reload
	v_and_b32_sdwa v2, v1, s53 dst_sel:DWORD dst_unused:UNUSED_PAD src0_sel:BYTE_1 src1_sel:DWORD
	v_cmp_ne_u32_e32 vcc, s53, v2
	s_waitcnt vmcnt(1)
	v_mov_b32_e32 v3, v49
	s_waitcnt vmcnt(0)
	v_mov_b32_e32 v5, v4
	buffer_store_dword v4, off, s[56:59], 0 ; 4-byte Folded Spill
	s_nop 0
	buffer_store_dword v5, off, s[56:59], 0 offset:4 ; 4-byte Folded Spill
	buffer_store_dword v3, off, s[56:59], 0 offset:172 ; 4-byte Folded Spill
	s_nop 0
	buffer_store_dword v4, off, s[56:59], 0 offset:176 ; 4-byte Folded Spill
	s_and_saveexec_b64 s[44:45], vcc
	s_cbranch_execz .LBB205_124
; %bb.123:                              ;   in Loop: Header=BB205_13 Depth=1
	v_mov_b32_e32 v0, 7
	v_and_b32_sdwa v3, v1, v0 dst_sel:DWORD dst_unused:UNUSED_PAD src0_sel:BYTE_1 src1_sel:DWORD
	v_lshrrev_b32_e32 v6, 3, v2
	v_cmp_gt_u32_e32 vcc, 8, v2
	v_ffbh_u32_e32 v2, v3
	v_min_u32_e32 v2, 32, v2
	v_mov_b32_e32 v4, v49
	v_subrev_u32_e32 v5, 28, v2
	v_lshlrev_b64 v[4:5], v5, v[3:4]
	v_sub_u32_e32 v2, 29, v2
	v_and_b32_e32 v4, 7, v4
	v_cndmask_b32_e32 v2, v6, v2, vcc
	v_bfrev_b32_e32 v0, 60
	v_cndmask_b32_e32 v3, v3, v4, vcc
	v_lshlrev_b32_e32 v1, 16, v1
	v_lshl_add_u32 v2, v2, 23, v0
	v_and_or_b32 v1, v1, s54, v2
	v_lshlrev_b32_e32 v2, 20, v3
	v_or_b32_e32 v1, v1, v2
	v_mov_b32_e32 v0, v49
	buffer_store_dword v0, off, s[56:59], 0 offset:172 ; 4-byte Folded Spill
	s_nop 0
	buffer_store_dword v1, off, s[56:59], 0 offset:176 ; 4-byte Folded Spill
.LBB205_124:                            ;   in Loop: Header=BB205_13 Depth=1
	s_or_b64 exec, exec, s[44:45]
.LBB205_125:                            ;   in Loop: Header=BB205_13 Depth=1
	s_or_b64 exec, exec, s[42:43]
.LBB205_126:                            ;   in Loop: Header=BB205_13 Depth=1
	s_or_b64 exec, exec, s[40:41]
	global_load_ushort v2, v[41:42], off offset:1028
	s_waitcnt vmcnt(0)
	v_and_b32_e32 v1, 0xffff, v2
	v_cmp_ne_u16_sdwa s[42:43], v2, v49 src0_sel:BYTE_0 src1_sel:DWORD
	v_mov_b32_e32 v2, 0
	v_mov_b32_e32 v3, 0
	buffer_store_dword v2, off, s[56:59], 0 offset:188 ; 4-byte Folded Spill
	s_nop 0
	buffer_store_dword v3, off, s[56:59], 0 offset:192 ; 4-byte Folded Spill
	v_mov_b32_e32 v2, 0
	v_mov_b32_e32 v3, 0
	buffer_store_dword v2, off, s[56:59], 0 offset:180 ; 4-byte Folded Spill
	s_nop 0
	buffer_store_dword v3, off, s[56:59], 0 offset:184 ; 4-byte Folded Spill
	s_and_saveexec_b64 s[40:41], s[42:43]
	s_cbranch_execz .LBB205_132
; %bb.127:                              ;   in Loop: Header=BB205_13 Depth=1
	v_bfrev_b32_e32 v2, 1
	v_mov_b32_e32 v3, 0
	v_cmp_ne_u16_sdwa s[44:45], v1, s52 src0_sel:BYTE_0 src1_sel:DWORD
	buffer_store_dword v2, off, s[56:59], 0 offset:180 ; 4-byte Folded Spill
	s_nop 0
	buffer_store_dword v3, off, s[56:59], 0 offset:184 ; 4-byte Folded Spill
	s_and_saveexec_b64 s[42:43], s[44:45]
	s_cbranch_execz .LBB205_131
; %bb.128:                              ;   in Loop: Header=BB205_13 Depth=1
	v_and_b32_e32 v2, 0x7f, v1
	v_mov_b32_e32 v3, 0x7f800001
	v_mov_b32_e32 v4, 0
	v_cmp_ne_u32_e32 vcc, s53, v2
	buffer_store_dword v3, off, s[56:59], 0 offset:180 ; 4-byte Folded Spill
	s_nop 0
	buffer_store_dword v4, off, s[56:59], 0 offset:184 ; 4-byte Folded Spill
	s_and_saveexec_b64 s[44:45], vcc
	s_cbranch_execz .LBB205_130
; %bb.129:                              ;   in Loop: Header=BB205_13 Depth=1
	v_and_b32_e32 v4, 7, v1
	v_lshrrev_b32_e32 v5, 3, v2
	v_cmp_gt_u32_e32 vcc, 8, v2
	v_ffbh_u32_e32 v2, v4
	v_min_u32_e32 v6, 32, v2
	v_subrev_u32_e32 v2, 28, v6
	v_lshlrev_b64 v[2:3], v2, v[1:2]
	v_sub_u32_e32 v3, 29, v6
	v_and_b32_e32 v2, 7, v2
	v_cndmask_b32_e32 v3, v5, v3, vcc
	v_cndmask_b32_e32 v2, v4, v2, vcc
	v_bfrev_b32_e32 v0, 60
	v_lshlrev_b32_e32 v2, 20, v2
	v_and_b32_sdwa v4, sext(v1), s54 dst_sel:DWORD dst_unused:UNUSED_PAD src0_sel:BYTE_0 src1_sel:DWORD
	v_lshl_add_u32 v3, v3, 23, v0
	v_or3_b32 v2, v4, v3, v2
	v_mov_b32_e32 v3, v49
	buffer_store_dword v2, off, s[56:59], 0 offset:180 ; 4-byte Folded Spill
	s_nop 0
	buffer_store_dword v3, off, s[56:59], 0 offset:184 ; 4-byte Folded Spill
.LBB205_130:                            ;   in Loop: Header=BB205_13 Depth=1
	s_or_b64 exec, exec, s[44:45]
.LBB205_131:                            ;   in Loop: Header=BB205_13 Depth=1
	s_or_b64 exec, exec, s[42:43]
.LBB205_132:                            ;   in Loop: Header=BB205_13 Depth=1
	s_or_b64 exec, exec, s[40:41]
	v_cmp_ne_u16_sdwa s[42:43], v1, v49 src0_sel:BYTE_1 src1_sel:DWORD
	s_and_saveexec_b64 s[40:41], s[42:43]
	s_cbranch_execz .LBB205_138
; %bb.133:                              ;   in Loop: Header=BB205_13 Depth=1
	v_cmp_ne_u16_sdwa s[44:45], v1, s52 src0_sel:BYTE_1 src1_sel:DWORD
	buffer_store_dword v49, off, s[56:59], 0 offset:188 ; 4-byte Folded Spill
	s_nop 0
	buffer_store_dword v50, off, s[56:59], 0 offset:192 ; 4-byte Folded Spill
	s_and_saveexec_b64 s[42:43], s[44:45]
	s_cbranch_execz .LBB205_137
; %bb.134:                              ;   in Loop: Header=BB205_13 Depth=1
	buffer_load_dword v3, off, s[56:59], 0  ; 4-byte Folded Reload
	buffer_load_dword v4, off, s[56:59], 0 offset:4 ; 4-byte Folded Reload
	v_and_b32_sdwa v2, v1, s53 dst_sel:DWORD dst_unused:UNUSED_PAD src0_sel:BYTE_1 src1_sel:DWORD
	v_cmp_ne_u32_e32 vcc, s53, v2
	s_waitcnt vmcnt(1)
	v_mov_b32_e32 v3, v49
	s_waitcnt vmcnt(0)
	v_mov_b32_e32 v5, v4
	buffer_store_dword v4, off, s[56:59], 0 ; 4-byte Folded Spill
	s_nop 0
	buffer_store_dword v5, off, s[56:59], 0 offset:4 ; 4-byte Folded Spill
	buffer_store_dword v3, off, s[56:59], 0 offset:188 ; 4-byte Folded Spill
	s_nop 0
	buffer_store_dword v4, off, s[56:59], 0 offset:192 ; 4-byte Folded Spill
	s_and_saveexec_b64 s[44:45], vcc
	s_cbranch_execz .LBB205_136
; %bb.135:                              ;   in Loop: Header=BB205_13 Depth=1
	v_mov_b32_e32 v0, 7
	v_and_b32_sdwa v3, v1, v0 dst_sel:DWORD dst_unused:UNUSED_PAD src0_sel:BYTE_1 src1_sel:DWORD
	v_lshrrev_b32_e32 v6, 3, v2
	v_cmp_gt_u32_e32 vcc, 8, v2
	v_ffbh_u32_e32 v2, v3
	v_min_u32_e32 v2, 32, v2
	v_mov_b32_e32 v4, v49
	v_subrev_u32_e32 v5, 28, v2
	v_lshlrev_b64 v[4:5], v5, v[3:4]
	v_sub_u32_e32 v2, 29, v2
	v_and_b32_e32 v4, 7, v4
	v_cndmask_b32_e32 v2, v6, v2, vcc
	v_bfrev_b32_e32 v0, 60
	v_cndmask_b32_e32 v3, v3, v4, vcc
	v_lshlrev_b32_e32 v1, 16, v1
	v_lshl_add_u32 v2, v2, 23, v0
	v_and_or_b32 v1, v1, s54, v2
	v_lshlrev_b32_e32 v2, 20, v3
	v_or_b32_e32 v1, v1, v2
	v_mov_b32_e32 v0, v49
	buffer_store_dword v0, off, s[56:59], 0 offset:188 ; 4-byte Folded Spill
	s_nop 0
	buffer_store_dword v1, off, s[56:59], 0 offset:192 ; 4-byte Folded Spill
.LBB205_136:                            ;   in Loop: Header=BB205_13 Depth=1
	s_or_b64 exec, exec, s[44:45]
.LBB205_137:                            ;   in Loop: Header=BB205_13 Depth=1
	s_or_b64 exec, exec, s[42:43]
.LBB205_138:                            ;   in Loop: Header=BB205_13 Depth=1
	s_or_b64 exec, exec, s[40:41]
	global_load_ushort v2, v[41:42], off offset:1032
	s_waitcnt vmcnt(0)
	v_and_b32_e32 v1, 0xffff, v2
	v_cmp_ne_u16_sdwa s[42:43], v2, v49 src0_sel:BYTE_0 src1_sel:DWORD
	v_mov_b32_e32 v2, 0
	v_mov_b32_e32 v3, 0
	buffer_store_dword v2, off, s[56:59], 0 offset:204 ; 4-byte Folded Spill
	s_nop 0
	buffer_store_dword v3, off, s[56:59], 0 offset:208 ; 4-byte Folded Spill
	v_mov_b32_e32 v2, 0
	v_mov_b32_e32 v3, 0
	buffer_store_dword v2, off, s[56:59], 0 offset:196 ; 4-byte Folded Spill
	s_nop 0
	buffer_store_dword v3, off, s[56:59], 0 offset:200 ; 4-byte Folded Spill
	s_and_saveexec_b64 s[40:41], s[42:43]
	s_cbranch_execz .LBB205_144
; %bb.139:                              ;   in Loop: Header=BB205_13 Depth=1
	v_bfrev_b32_e32 v2, 1
	v_mov_b32_e32 v3, 0
	v_cmp_ne_u16_sdwa s[44:45], v1, s52 src0_sel:BYTE_0 src1_sel:DWORD
	buffer_store_dword v2, off, s[56:59], 0 offset:196 ; 4-byte Folded Spill
	s_nop 0
	buffer_store_dword v3, off, s[56:59], 0 offset:200 ; 4-byte Folded Spill
	s_and_saveexec_b64 s[42:43], s[44:45]
	s_cbranch_execz .LBB205_143
; %bb.140:                              ;   in Loop: Header=BB205_13 Depth=1
	v_and_b32_e32 v2, 0x7f, v1
	v_mov_b32_e32 v3, 0x7f800001
	v_mov_b32_e32 v4, 0
	v_cmp_ne_u32_e32 vcc, s53, v2
	buffer_store_dword v3, off, s[56:59], 0 offset:196 ; 4-byte Folded Spill
	s_nop 0
	buffer_store_dword v4, off, s[56:59], 0 offset:200 ; 4-byte Folded Spill
	s_and_saveexec_b64 s[44:45], vcc
	s_cbranch_execz .LBB205_142
; %bb.141:                              ;   in Loop: Header=BB205_13 Depth=1
	v_and_b32_e32 v4, 7, v1
	v_lshrrev_b32_e32 v5, 3, v2
	v_cmp_gt_u32_e32 vcc, 8, v2
	v_ffbh_u32_e32 v2, v4
	v_min_u32_e32 v6, 32, v2
	v_subrev_u32_e32 v2, 28, v6
	v_lshlrev_b64 v[2:3], v2, v[1:2]
	v_sub_u32_e32 v3, 29, v6
	v_and_b32_e32 v2, 7, v2
	v_cndmask_b32_e32 v3, v5, v3, vcc
	v_cndmask_b32_e32 v2, v4, v2, vcc
	v_bfrev_b32_e32 v0, 60
	v_lshlrev_b32_e32 v2, 20, v2
	v_and_b32_sdwa v4, sext(v1), s54 dst_sel:DWORD dst_unused:UNUSED_PAD src0_sel:BYTE_0 src1_sel:DWORD
	v_lshl_add_u32 v3, v3, 23, v0
	v_or3_b32 v2, v4, v3, v2
	v_mov_b32_e32 v3, v49
	buffer_store_dword v2, off, s[56:59], 0 offset:196 ; 4-byte Folded Spill
	s_nop 0
	buffer_store_dword v3, off, s[56:59], 0 offset:200 ; 4-byte Folded Spill
.LBB205_142:                            ;   in Loop: Header=BB205_13 Depth=1
	s_or_b64 exec, exec, s[44:45]
.LBB205_143:                            ;   in Loop: Header=BB205_13 Depth=1
	s_or_b64 exec, exec, s[42:43]
.LBB205_144:                            ;   in Loop: Header=BB205_13 Depth=1
	s_or_b64 exec, exec, s[40:41]
	v_cmp_ne_u16_sdwa s[42:43], v1, v49 src0_sel:BYTE_1 src1_sel:DWORD
	s_and_saveexec_b64 s[40:41], s[42:43]
	s_cbranch_execz .LBB205_150
; %bb.145:                              ;   in Loop: Header=BB205_13 Depth=1
	v_cmp_ne_u16_sdwa s[44:45], v1, s52 src0_sel:BYTE_1 src1_sel:DWORD
	buffer_store_dword v49, off, s[56:59], 0 offset:204 ; 4-byte Folded Spill
	s_nop 0
	buffer_store_dword v50, off, s[56:59], 0 offset:208 ; 4-byte Folded Spill
	s_and_saveexec_b64 s[42:43], s[44:45]
	s_cbranch_execz .LBB205_149
; %bb.146:                              ;   in Loop: Header=BB205_13 Depth=1
	buffer_load_dword v3, off, s[56:59], 0  ; 4-byte Folded Reload
	buffer_load_dword v4, off, s[56:59], 0 offset:4 ; 4-byte Folded Reload
	v_and_b32_sdwa v2, v1, s53 dst_sel:DWORD dst_unused:UNUSED_PAD src0_sel:BYTE_1 src1_sel:DWORD
	v_cmp_ne_u32_e32 vcc, s53, v2
	s_waitcnt vmcnt(1)
	v_mov_b32_e32 v3, v49
	s_waitcnt vmcnt(0)
	v_mov_b32_e32 v5, v4
	buffer_store_dword v4, off, s[56:59], 0 ; 4-byte Folded Spill
	s_nop 0
	buffer_store_dword v5, off, s[56:59], 0 offset:4 ; 4-byte Folded Spill
	buffer_store_dword v3, off, s[56:59], 0 offset:204 ; 4-byte Folded Spill
	s_nop 0
	buffer_store_dword v4, off, s[56:59], 0 offset:208 ; 4-byte Folded Spill
	s_and_saveexec_b64 s[44:45], vcc
	s_cbranch_execz .LBB205_148
; %bb.147:                              ;   in Loop: Header=BB205_13 Depth=1
	v_mov_b32_e32 v0, 7
	v_and_b32_sdwa v3, v1, v0 dst_sel:DWORD dst_unused:UNUSED_PAD src0_sel:BYTE_1 src1_sel:DWORD
	v_lshrrev_b32_e32 v6, 3, v2
	v_cmp_gt_u32_e32 vcc, 8, v2
	v_ffbh_u32_e32 v2, v3
	v_min_u32_e32 v2, 32, v2
	v_mov_b32_e32 v4, v49
	v_subrev_u32_e32 v5, 28, v2
	v_lshlrev_b64 v[4:5], v5, v[3:4]
	v_sub_u32_e32 v2, 29, v2
	v_and_b32_e32 v4, 7, v4
	v_cndmask_b32_e32 v2, v6, v2, vcc
	v_bfrev_b32_e32 v0, 60
	v_cndmask_b32_e32 v3, v3, v4, vcc
	v_lshlrev_b32_e32 v1, 16, v1
	v_lshl_add_u32 v2, v2, 23, v0
	v_and_or_b32 v1, v1, s54, v2
	v_lshlrev_b32_e32 v2, 20, v3
	v_or_b32_e32 v1, v1, v2
	v_mov_b32_e32 v0, v49
	buffer_store_dword v0, off, s[56:59], 0 offset:204 ; 4-byte Folded Spill
	s_nop 0
	buffer_store_dword v1, off, s[56:59], 0 offset:208 ; 4-byte Folded Spill
.LBB205_148:                            ;   in Loop: Header=BB205_13 Depth=1
	s_or_b64 exec, exec, s[44:45]
.LBB205_149:                            ;   in Loop: Header=BB205_13 Depth=1
	s_or_b64 exec, exec, s[42:43]
.LBB205_150:                            ;   in Loop: Header=BB205_13 Depth=1
	s_or_b64 exec, exec, s[40:41]
	global_load_ushort v2, v[41:42], off offset:1036
	s_waitcnt vmcnt(0)
	v_and_b32_e32 v1, 0xffff, v2
	v_cmp_ne_u16_sdwa s[42:43], v2, v49 src0_sel:BYTE_0 src1_sel:DWORD
	v_mov_b32_e32 v2, 0
	v_mov_b32_e32 v3, 0
	buffer_store_dword v2, off, s[56:59], 0 offset:220 ; 4-byte Folded Spill
	s_nop 0
	buffer_store_dword v3, off, s[56:59], 0 offset:224 ; 4-byte Folded Spill
	v_mov_b32_e32 v2, 0
	v_mov_b32_e32 v3, 0
	buffer_store_dword v2, off, s[56:59], 0 offset:212 ; 4-byte Folded Spill
	s_nop 0
	buffer_store_dword v3, off, s[56:59], 0 offset:216 ; 4-byte Folded Spill
	s_and_saveexec_b64 s[40:41], s[42:43]
	s_cbranch_execz .LBB205_156
; %bb.151:                              ;   in Loop: Header=BB205_13 Depth=1
	v_bfrev_b32_e32 v2, 1
	v_mov_b32_e32 v3, 0
	v_cmp_ne_u16_sdwa s[44:45], v1, s52 src0_sel:BYTE_0 src1_sel:DWORD
	buffer_store_dword v2, off, s[56:59], 0 offset:212 ; 4-byte Folded Spill
	s_nop 0
	buffer_store_dword v3, off, s[56:59], 0 offset:216 ; 4-byte Folded Spill
	s_and_saveexec_b64 s[42:43], s[44:45]
	s_cbranch_execz .LBB205_155
; %bb.152:                              ;   in Loop: Header=BB205_13 Depth=1
	v_and_b32_e32 v2, 0x7f, v1
	v_mov_b32_e32 v3, 0x7f800001
	v_mov_b32_e32 v4, 0
	v_cmp_ne_u32_e32 vcc, s53, v2
	buffer_store_dword v3, off, s[56:59], 0 offset:212 ; 4-byte Folded Spill
	s_nop 0
	buffer_store_dword v4, off, s[56:59], 0 offset:216 ; 4-byte Folded Spill
	s_and_saveexec_b64 s[44:45], vcc
	s_cbranch_execz .LBB205_154
; %bb.153:                              ;   in Loop: Header=BB205_13 Depth=1
	v_and_b32_e32 v4, 7, v1
	v_lshrrev_b32_e32 v5, 3, v2
	v_cmp_gt_u32_e32 vcc, 8, v2
	v_ffbh_u32_e32 v2, v4
	v_min_u32_e32 v6, 32, v2
	v_subrev_u32_e32 v2, 28, v6
	v_lshlrev_b64 v[2:3], v2, v[1:2]
	v_sub_u32_e32 v3, 29, v6
	v_and_b32_e32 v2, 7, v2
	v_cndmask_b32_e32 v3, v5, v3, vcc
	v_cndmask_b32_e32 v2, v4, v2, vcc
	v_bfrev_b32_e32 v0, 60
	v_lshlrev_b32_e32 v2, 20, v2
	v_and_b32_sdwa v4, sext(v1), s54 dst_sel:DWORD dst_unused:UNUSED_PAD src0_sel:BYTE_0 src1_sel:DWORD
	v_lshl_add_u32 v3, v3, 23, v0
	v_or3_b32 v2, v4, v3, v2
	v_mov_b32_e32 v3, v49
	buffer_store_dword v2, off, s[56:59], 0 offset:212 ; 4-byte Folded Spill
	s_nop 0
	buffer_store_dword v3, off, s[56:59], 0 offset:216 ; 4-byte Folded Spill
.LBB205_154:                            ;   in Loop: Header=BB205_13 Depth=1
	s_or_b64 exec, exec, s[44:45]
.LBB205_155:                            ;   in Loop: Header=BB205_13 Depth=1
	s_or_b64 exec, exec, s[42:43]
.LBB205_156:                            ;   in Loop: Header=BB205_13 Depth=1
	s_or_b64 exec, exec, s[40:41]
	v_cmp_ne_u16_sdwa s[42:43], v1, v49 src0_sel:BYTE_1 src1_sel:DWORD
	s_and_saveexec_b64 s[40:41], s[42:43]
	s_cbranch_execz .LBB205_162
; %bb.157:                              ;   in Loop: Header=BB205_13 Depth=1
	v_cmp_ne_u16_sdwa s[44:45], v1, s52 src0_sel:BYTE_1 src1_sel:DWORD
	buffer_store_dword v49, off, s[56:59], 0 offset:220 ; 4-byte Folded Spill
	s_nop 0
	buffer_store_dword v50, off, s[56:59], 0 offset:224 ; 4-byte Folded Spill
	s_and_saveexec_b64 s[42:43], s[44:45]
	s_cbranch_execz .LBB205_161
; %bb.158:                              ;   in Loop: Header=BB205_13 Depth=1
	buffer_load_dword v3, off, s[56:59], 0  ; 4-byte Folded Reload
	buffer_load_dword v4, off, s[56:59], 0 offset:4 ; 4-byte Folded Reload
	v_and_b32_sdwa v2, v1, s53 dst_sel:DWORD dst_unused:UNUSED_PAD src0_sel:BYTE_1 src1_sel:DWORD
	v_cmp_ne_u32_e32 vcc, s53, v2
	s_waitcnt vmcnt(1)
	v_mov_b32_e32 v3, v49
	s_waitcnt vmcnt(0)
	v_mov_b32_e32 v5, v4
	buffer_store_dword v4, off, s[56:59], 0 ; 4-byte Folded Spill
	s_nop 0
	buffer_store_dword v5, off, s[56:59], 0 offset:4 ; 4-byte Folded Spill
	buffer_store_dword v3, off, s[56:59], 0 offset:220 ; 4-byte Folded Spill
	s_nop 0
	buffer_store_dword v4, off, s[56:59], 0 offset:224 ; 4-byte Folded Spill
	s_and_saveexec_b64 s[44:45], vcc
	s_cbranch_execz .LBB205_160
; %bb.159:                              ;   in Loop: Header=BB205_13 Depth=1
	v_mov_b32_e32 v0, 7
	v_and_b32_sdwa v3, v1, v0 dst_sel:DWORD dst_unused:UNUSED_PAD src0_sel:BYTE_1 src1_sel:DWORD
	v_lshrrev_b32_e32 v6, 3, v2
	v_cmp_gt_u32_e32 vcc, 8, v2
	v_ffbh_u32_e32 v2, v3
	v_min_u32_e32 v2, 32, v2
	v_mov_b32_e32 v4, v49
	v_subrev_u32_e32 v5, 28, v2
	v_lshlrev_b64 v[4:5], v5, v[3:4]
	v_sub_u32_e32 v2, 29, v2
	v_and_b32_e32 v4, 7, v4
	v_cndmask_b32_e32 v2, v6, v2, vcc
	v_bfrev_b32_e32 v0, 60
	v_cndmask_b32_e32 v3, v3, v4, vcc
	v_lshlrev_b32_e32 v1, 16, v1
	v_lshl_add_u32 v2, v2, 23, v0
	v_and_or_b32 v1, v1, s54, v2
	v_lshlrev_b32_e32 v2, 20, v3
	v_or_b32_e32 v1, v1, v2
	v_mov_b32_e32 v0, v49
	buffer_store_dword v0, off, s[56:59], 0 offset:220 ; 4-byte Folded Spill
	s_nop 0
	buffer_store_dword v1, off, s[56:59], 0 offset:224 ; 4-byte Folded Spill
.LBB205_160:                            ;   in Loop: Header=BB205_13 Depth=1
	s_or_b64 exec, exec, s[44:45]
.LBB205_161:                            ;   in Loop: Header=BB205_13 Depth=1
	s_or_b64 exec, exec, s[42:43]
.LBB205_162:                            ;   in Loop: Header=BB205_13 Depth=1
	s_or_b64 exec, exec, s[40:41]
	global_load_ushort v2, v[41:42], off offset:1536
	s_waitcnt vmcnt(0)
	v_and_b32_e32 v1, 0xffff, v2
	v_cmp_ne_u16_sdwa s[42:43], v2, v49 src0_sel:BYTE_0 src1_sel:DWORD
	v_mov_b32_e32 v2, 0
	v_mov_b32_e32 v3, 0
	buffer_store_dword v2, off, s[56:59], 0 offset:236 ; 4-byte Folded Spill
	s_nop 0
	buffer_store_dword v3, off, s[56:59], 0 offset:240 ; 4-byte Folded Spill
	v_mov_b32_e32 v2, 0
	v_mov_b32_e32 v3, 0
	buffer_store_dword v2, off, s[56:59], 0 offset:228 ; 4-byte Folded Spill
	s_nop 0
	buffer_store_dword v3, off, s[56:59], 0 offset:232 ; 4-byte Folded Spill
	s_and_saveexec_b64 s[40:41], s[42:43]
	s_cbranch_execz .LBB205_168
; %bb.163:                              ;   in Loop: Header=BB205_13 Depth=1
	v_bfrev_b32_e32 v2, 1
	v_mov_b32_e32 v3, 0
	v_cmp_ne_u16_sdwa s[44:45], v1, s52 src0_sel:BYTE_0 src1_sel:DWORD
	buffer_store_dword v2, off, s[56:59], 0 offset:228 ; 4-byte Folded Spill
	s_nop 0
	buffer_store_dword v3, off, s[56:59], 0 offset:232 ; 4-byte Folded Spill
	s_and_saveexec_b64 s[42:43], s[44:45]
	s_cbranch_execz .LBB205_167
; %bb.164:                              ;   in Loop: Header=BB205_13 Depth=1
	v_and_b32_e32 v2, 0x7f, v1
	v_mov_b32_e32 v3, 0x7f800001
	v_mov_b32_e32 v4, 0
	v_cmp_ne_u32_e32 vcc, s53, v2
	buffer_store_dword v3, off, s[56:59], 0 offset:228 ; 4-byte Folded Spill
	s_nop 0
	buffer_store_dword v4, off, s[56:59], 0 offset:232 ; 4-byte Folded Spill
	s_and_saveexec_b64 s[44:45], vcc
	s_cbranch_execz .LBB205_166
; %bb.165:                              ;   in Loop: Header=BB205_13 Depth=1
	v_and_b32_e32 v4, 7, v1
	v_lshrrev_b32_e32 v5, 3, v2
	v_cmp_gt_u32_e32 vcc, 8, v2
	v_ffbh_u32_e32 v2, v4
	v_min_u32_e32 v6, 32, v2
	v_subrev_u32_e32 v2, 28, v6
	v_lshlrev_b64 v[2:3], v2, v[1:2]
	v_sub_u32_e32 v3, 29, v6
	v_and_b32_e32 v2, 7, v2
	v_cndmask_b32_e32 v3, v5, v3, vcc
	v_cndmask_b32_e32 v2, v4, v2, vcc
	v_bfrev_b32_e32 v0, 60
	v_lshlrev_b32_e32 v2, 20, v2
	v_and_b32_sdwa v4, sext(v1), s54 dst_sel:DWORD dst_unused:UNUSED_PAD src0_sel:BYTE_0 src1_sel:DWORD
	v_lshl_add_u32 v3, v3, 23, v0
	v_or3_b32 v2, v4, v3, v2
	v_mov_b32_e32 v3, v49
	buffer_store_dword v2, off, s[56:59], 0 offset:228 ; 4-byte Folded Spill
	s_nop 0
	buffer_store_dword v3, off, s[56:59], 0 offset:232 ; 4-byte Folded Spill
.LBB205_166:                            ;   in Loop: Header=BB205_13 Depth=1
	s_or_b64 exec, exec, s[44:45]
.LBB205_167:                            ;   in Loop: Header=BB205_13 Depth=1
	s_or_b64 exec, exec, s[42:43]
.LBB205_168:                            ;   in Loop: Header=BB205_13 Depth=1
	s_or_b64 exec, exec, s[40:41]
	v_cmp_ne_u16_sdwa s[42:43], v1, v49 src0_sel:BYTE_1 src1_sel:DWORD
	s_and_saveexec_b64 s[40:41], s[42:43]
	s_cbranch_execz .LBB205_174
; %bb.169:                              ;   in Loop: Header=BB205_13 Depth=1
	v_cmp_ne_u16_sdwa s[44:45], v1, s52 src0_sel:BYTE_1 src1_sel:DWORD
	buffer_store_dword v49, off, s[56:59], 0 offset:236 ; 4-byte Folded Spill
	s_nop 0
	buffer_store_dword v50, off, s[56:59], 0 offset:240 ; 4-byte Folded Spill
	s_and_saveexec_b64 s[42:43], s[44:45]
	s_cbranch_execz .LBB205_173
; %bb.170:                              ;   in Loop: Header=BB205_13 Depth=1
	buffer_load_dword v3, off, s[56:59], 0  ; 4-byte Folded Reload
	buffer_load_dword v4, off, s[56:59], 0 offset:4 ; 4-byte Folded Reload
	v_and_b32_sdwa v2, v1, s53 dst_sel:DWORD dst_unused:UNUSED_PAD src0_sel:BYTE_1 src1_sel:DWORD
	v_cmp_ne_u32_e32 vcc, s53, v2
	s_waitcnt vmcnt(1)
	v_mov_b32_e32 v3, v49
	s_waitcnt vmcnt(0)
	v_mov_b32_e32 v5, v4
	buffer_store_dword v4, off, s[56:59], 0 ; 4-byte Folded Spill
	s_nop 0
	buffer_store_dword v5, off, s[56:59], 0 offset:4 ; 4-byte Folded Spill
	buffer_store_dword v3, off, s[56:59], 0 offset:236 ; 4-byte Folded Spill
	s_nop 0
	buffer_store_dword v4, off, s[56:59], 0 offset:240 ; 4-byte Folded Spill
	s_and_saveexec_b64 s[44:45], vcc
	s_cbranch_execz .LBB205_172
; %bb.171:                              ;   in Loop: Header=BB205_13 Depth=1
	v_mov_b32_e32 v0, 7
	v_and_b32_sdwa v3, v1, v0 dst_sel:DWORD dst_unused:UNUSED_PAD src0_sel:BYTE_1 src1_sel:DWORD
	v_lshrrev_b32_e32 v6, 3, v2
	v_cmp_gt_u32_e32 vcc, 8, v2
	v_ffbh_u32_e32 v2, v3
	v_min_u32_e32 v2, 32, v2
	v_mov_b32_e32 v4, v49
	v_subrev_u32_e32 v5, 28, v2
	v_lshlrev_b64 v[4:5], v5, v[3:4]
	v_sub_u32_e32 v2, 29, v2
	v_and_b32_e32 v4, 7, v4
	v_cndmask_b32_e32 v2, v6, v2, vcc
	v_bfrev_b32_e32 v0, 60
	v_cndmask_b32_e32 v3, v3, v4, vcc
	v_lshlrev_b32_e32 v1, 16, v1
	v_lshl_add_u32 v2, v2, 23, v0
	v_and_or_b32 v1, v1, s54, v2
	v_lshlrev_b32_e32 v2, 20, v3
	v_or_b32_e32 v1, v1, v2
	v_mov_b32_e32 v0, v49
	buffer_store_dword v0, off, s[56:59], 0 offset:236 ; 4-byte Folded Spill
	s_nop 0
	buffer_store_dword v1, off, s[56:59], 0 offset:240 ; 4-byte Folded Spill
.LBB205_172:                            ;   in Loop: Header=BB205_13 Depth=1
	s_or_b64 exec, exec, s[44:45]
.LBB205_173:                            ;   in Loop: Header=BB205_13 Depth=1
	s_or_b64 exec, exec, s[42:43]
.LBB205_174:                            ;   in Loop: Header=BB205_13 Depth=1
	s_or_b64 exec, exec, s[40:41]
	global_load_ushort v2, v[41:42], off offset:1540
	s_waitcnt vmcnt(0)
	v_and_b32_e32 v1, 0xffff, v2
	v_cmp_ne_u16_sdwa s[42:43], v2, v49 src0_sel:BYTE_0 src1_sel:DWORD
	v_mov_b32_e32 v2, 0
	v_mov_b32_e32 v3, 0
	buffer_store_dword v2, off, s[56:59], 0 offset:252 ; 4-byte Folded Spill
	s_nop 0
	buffer_store_dword v3, off, s[56:59], 0 offset:256 ; 4-byte Folded Spill
	v_mov_b32_e32 v2, 0
	v_mov_b32_e32 v3, 0
	buffer_store_dword v2, off, s[56:59], 0 offset:244 ; 4-byte Folded Spill
	s_nop 0
	buffer_store_dword v3, off, s[56:59], 0 offset:248 ; 4-byte Folded Spill
	s_and_saveexec_b64 s[40:41], s[42:43]
	s_cbranch_execz .LBB205_180
; %bb.175:                              ;   in Loop: Header=BB205_13 Depth=1
	v_bfrev_b32_e32 v2, 1
	v_mov_b32_e32 v3, 0
	v_cmp_ne_u16_sdwa s[44:45], v1, s52 src0_sel:BYTE_0 src1_sel:DWORD
	buffer_store_dword v2, off, s[56:59], 0 offset:244 ; 4-byte Folded Spill
	s_nop 0
	buffer_store_dword v3, off, s[56:59], 0 offset:248 ; 4-byte Folded Spill
	s_and_saveexec_b64 s[42:43], s[44:45]
	s_cbranch_execz .LBB205_179
; %bb.176:                              ;   in Loop: Header=BB205_13 Depth=1
	v_and_b32_e32 v2, 0x7f, v1
	v_mov_b32_e32 v3, 0x7f800001
	v_mov_b32_e32 v4, 0
	v_cmp_ne_u32_e32 vcc, s53, v2
	buffer_store_dword v3, off, s[56:59], 0 offset:244 ; 4-byte Folded Spill
	s_nop 0
	buffer_store_dword v4, off, s[56:59], 0 offset:248 ; 4-byte Folded Spill
	s_and_saveexec_b64 s[44:45], vcc
	s_cbranch_execz .LBB205_178
; %bb.177:                              ;   in Loop: Header=BB205_13 Depth=1
	v_and_b32_e32 v4, 7, v1
	v_lshrrev_b32_e32 v5, 3, v2
	v_cmp_gt_u32_e32 vcc, 8, v2
	v_ffbh_u32_e32 v2, v4
	v_min_u32_e32 v6, 32, v2
	v_subrev_u32_e32 v2, 28, v6
	v_lshlrev_b64 v[2:3], v2, v[1:2]
	v_sub_u32_e32 v3, 29, v6
	v_and_b32_e32 v2, 7, v2
	v_cndmask_b32_e32 v3, v5, v3, vcc
	v_cndmask_b32_e32 v2, v4, v2, vcc
	v_bfrev_b32_e32 v0, 60
	v_lshlrev_b32_e32 v2, 20, v2
	v_and_b32_sdwa v4, sext(v1), s54 dst_sel:DWORD dst_unused:UNUSED_PAD src0_sel:BYTE_0 src1_sel:DWORD
	v_lshl_add_u32 v3, v3, 23, v0
	v_or3_b32 v2, v4, v3, v2
	v_mov_b32_e32 v3, v49
	buffer_store_dword v2, off, s[56:59], 0 offset:244 ; 4-byte Folded Spill
	s_nop 0
	buffer_store_dword v3, off, s[56:59], 0 offset:248 ; 4-byte Folded Spill
.LBB205_178:                            ;   in Loop: Header=BB205_13 Depth=1
	s_or_b64 exec, exec, s[44:45]
.LBB205_179:                            ;   in Loop: Header=BB205_13 Depth=1
	s_or_b64 exec, exec, s[42:43]
.LBB205_180:                            ;   in Loop: Header=BB205_13 Depth=1
	s_or_b64 exec, exec, s[40:41]
	v_cmp_ne_u16_sdwa s[42:43], v1, v49 src0_sel:BYTE_1 src1_sel:DWORD
	s_and_saveexec_b64 s[40:41], s[42:43]
	s_cbranch_execz .LBB205_186
; %bb.181:                              ;   in Loop: Header=BB205_13 Depth=1
	v_cmp_ne_u16_sdwa s[44:45], v1, s52 src0_sel:BYTE_1 src1_sel:DWORD
	buffer_store_dword v49, off, s[56:59], 0 offset:252 ; 4-byte Folded Spill
	s_nop 0
	buffer_store_dword v50, off, s[56:59], 0 offset:256 ; 4-byte Folded Spill
	s_and_saveexec_b64 s[42:43], s[44:45]
	s_cbranch_execz .LBB205_185
; %bb.182:                              ;   in Loop: Header=BB205_13 Depth=1
	buffer_load_dword v3, off, s[56:59], 0  ; 4-byte Folded Reload
	buffer_load_dword v4, off, s[56:59], 0 offset:4 ; 4-byte Folded Reload
	v_and_b32_sdwa v2, v1, s53 dst_sel:DWORD dst_unused:UNUSED_PAD src0_sel:BYTE_1 src1_sel:DWORD
	v_cmp_ne_u32_e32 vcc, s53, v2
	s_waitcnt vmcnt(1)
	v_mov_b32_e32 v3, v49
	s_waitcnt vmcnt(0)
	v_mov_b32_e32 v5, v4
	buffer_store_dword v4, off, s[56:59], 0 ; 4-byte Folded Spill
	s_nop 0
	buffer_store_dword v5, off, s[56:59], 0 offset:4 ; 4-byte Folded Spill
	buffer_store_dword v3, off, s[56:59], 0 offset:252 ; 4-byte Folded Spill
	s_nop 0
	buffer_store_dword v4, off, s[56:59], 0 offset:256 ; 4-byte Folded Spill
	s_and_saveexec_b64 s[44:45], vcc
	s_cbranch_execz .LBB205_184
; %bb.183:                              ;   in Loop: Header=BB205_13 Depth=1
	v_mov_b32_e32 v0, 7
	v_and_b32_sdwa v3, v1, v0 dst_sel:DWORD dst_unused:UNUSED_PAD src0_sel:BYTE_1 src1_sel:DWORD
	v_lshrrev_b32_e32 v6, 3, v2
	v_cmp_gt_u32_e32 vcc, 8, v2
	v_ffbh_u32_e32 v2, v3
	v_min_u32_e32 v2, 32, v2
	v_mov_b32_e32 v4, v49
	v_subrev_u32_e32 v5, 28, v2
	v_lshlrev_b64 v[4:5], v5, v[3:4]
	v_sub_u32_e32 v2, 29, v2
	v_and_b32_e32 v4, 7, v4
	v_cndmask_b32_e32 v2, v6, v2, vcc
	v_bfrev_b32_e32 v0, 60
	v_cndmask_b32_e32 v3, v3, v4, vcc
	v_lshlrev_b32_e32 v1, 16, v1
	v_lshl_add_u32 v2, v2, 23, v0
	v_and_or_b32 v1, v1, s54, v2
	v_lshlrev_b32_e32 v2, 20, v3
	v_or_b32_e32 v1, v1, v2
	v_mov_b32_e32 v0, v49
	buffer_store_dword v0, off, s[56:59], 0 offset:252 ; 4-byte Folded Spill
	s_nop 0
	buffer_store_dword v1, off, s[56:59], 0 offset:256 ; 4-byte Folded Spill
.LBB205_184:                            ;   in Loop: Header=BB205_13 Depth=1
	s_or_b64 exec, exec, s[44:45]
.LBB205_185:                            ;   in Loop: Header=BB205_13 Depth=1
	s_or_b64 exec, exec, s[42:43]
.LBB205_186:                            ;   in Loop: Header=BB205_13 Depth=1
	s_or_b64 exec, exec, s[40:41]
	global_load_ushort v2, v[41:42], off offset:1544
	s_waitcnt vmcnt(0)
	v_and_b32_e32 v1, 0xffff, v2
	v_cmp_ne_u16_sdwa s[42:43], v2, v49 src0_sel:BYTE_0 src1_sel:DWORD
	v_mov_b32_e32 v2, 0
	v_mov_b32_e32 v3, 0
	buffer_store_dword v2, off, s[56:59], 0 offset:268 ; 4-byte Folded Spill
	s_nop 0
	buffer_store_dword v3, off, s[56:59], 0 offset:272 ; 4-byte Folded Spill
	v_mov_b32_e32 v2, 0
	v_mov_b32_e32 v3, 0
	buffer_store_dword v2, off, s[56:59], 0 offset:260 ; 4-byte Folded Spill
	s_nop 0
	buffer_store_dword v3, off, s[56:59], 0 offset:264 ; 4-byte Folded Spill
	s_and_saveexec_b64 s[40:41], s[42:43]
	s_cbranch_execz .LBB205_192
; %bb.187:                              ;   in Loop: Header=BB205_13 Depth=1
	v_bfrev_b32_e32 v2, 1
	v_mov_b32_e32 v3, 0
	v_cmp_ne_u16_sdwa s[44:45], v1, s52 src0_sel:BYTE_0 src1_sel:DWORD
	buffer_store_dword v2, off, s[56:59], 0 offset:260 ; 4-byte Folded Spill
	s_nop 0
	buffer_store_dword v3, off, s[56:59], 0 offset:264 ; 4-byte Folded Spill
	s_and_saveexec_b64 s[42:43], s[44:45]
	s_cbranch_execz .LBB205_191
; %bb.188:                              ;   in Loop: Header=BB205_13 Depth=1
	v_and_b32_e32 v2, 0x7f, v1
	v_mov_b32_e32 v3, 0x7f800001
	v_mov_b32_e32 v4, 0
	v_cmp_ne_u32_e32 vcc, s53, v2
	buffer_store_dword v3, off, s[56:59], 0 offset:260 ; 4-byte Folded Spill
	s_nop 0
	buffer_store_dword v4, off, s[56:59], 0 offset:264 ; 4-byte Folded Spill
	s_and_saveexec_b64 s[44:45], vcc
	s_cbranch_execz .LBB205_190
; %bb.189:                              ;   in Loop: Header=BB205_13 Depth=1
	v_and_b32_e32 v4, 7, v1
	v_lshrrev_b32_e32 v5, 3, v2
	v_cmp_gt_u32_e32 vcc, 8, v2
	v_ffbh_u32_e32 v2, v4
	v_min_u32_e32 v6, 32, v2
	v_subrev_u32_e32 v2, 28, v6
	v_lshlrev_b64 v[2:3], v2, v[1:2]
	v_sub_u32_e32 v3, 29, v6
	v_and_b32_e32 v2, 7, v2
	v_cndmask_b32_e32 v3, v5, v3, vcc
	v_cndmask_b32_e32 v2, v4, v2, vcc
	v_bfrev_b32_e32 v0, 60
	v_lshlrev_b32_e32 v2, 20, v2
	v_and_b32_sdwa v4, sext(v1), s54 dst_sel:DWORD dst_unused:UNUSED_PAD src0_sel:BYTE_0 src1_sel:DWORD
	v_lshl_add_u32 v3, v3, 23, v0
	v_or3_b32 v2, v4, v3, v2
	v_mov_b32_e32 v3, v49
	buffer_store_dword v2, off, s[56:59], 0 offset:260 ; 4-byte Folded Spill
	s_nop 0
	buffer_store_dword v3, off, s[56:59], 0 offset:264 ; 4-byte Folded Spill
.LBB205_190:                            ;   in Loop: Header=BB205_13 Depth=1
	s_or_b64 exec, exec, s[44:45]
.LBB205_191:                            ;   in Loop: Header=BB205_13 Depth=1
	s_or_b64 exec, exec, s[42:43]
.LBB205_192:                            ;   in Loop: Header=BB205_13 Depth=1
	s_or_b64 exec, exec, s[40:41]
	v_cmp_ne_u16_sdwa s[42:43], v1, v49 src0_sel:BYTE_1 src1_sel:DWORD
	s_and_saveexec_b64 s[40:41], s[42:43]
	s_cbranch_execz .LBB205_198
; %bb.193:                              ;   in Loop: Header=BB205_13 Depth=1
	v_cmp_ne_u16_sdwa s[44:45], v1, s52 src0_sel:BYTE_1 src1_sel:DWORD
	buffer_store_dword v49, off, s[56:59], 0 offset:268 ; 4-byte Folded Spill
	s_nop 0
	buffer_store_dword v50, off, s[56:59], 0 offset:272 ; 4-byte Folded Spill
	s_and_saveexec_b64 s[42:43], s[44:45]
	s_cbranch_execz .LBB205_197
; %bb.194:                              ;   in Loop: Header=BB205_13 Depth=1
	buffer_load_dword v3, off, s[56:59], 0  ; 4-byte Folded Reload
	buffer_load_dword v4, off, s[56:59], 0 offset:4 ; 4-byte Folded Reload
	v_and_b32_sdwa v2, v1, s53 dst_sel:DWORD dst_unused:UNUSED_PAD src0_sel:BYTE_1 src1_sel:DWORD
	v_cmp_ne_u32_e32 vcc, s53, v2
	s_waitcnt vmcnt(1)
	v_mov_b32_e32 v3, v49
	s_waitcnt vmcnt(0)
	v_mov_b32_e32 v5, v4
	buffer_store_dword v4, off, s[56:59], 0 ; 4-byte Folded Spill
	s_nop 0
	buffer_store_dword v5, off, s[56:59], 0 offset:4 ; 4-byte Folded Spill
	buffer_store_dword v3, off, s[56:59], 0 offset:268 ; 4-byte Folded Spill
	s_nop 0
	buffer_store_dword v4, off, s[56:59], 0 offset:272 ; 4-byte Folded Spill
	s_and_saveexec_b64 s[44:45], vcc
	s_cbranch_execz .LBB205_196
; %bb.195:                              ;   in Loop: Header=BB205_13 Depth=1
	v_mov_b32_e32 v0, 7
	v_and_b32_sdwa v3, v1, v0 dst_sel:DWORD dst_unused:UNUSED_PAD src0_sel:BYTE_1 src1_sel:DWORD
	v_lshrrev_b32_e32 v6, 3, v2
	v_cmp_gt_u32_e32 vcc, 8, v2
	v_ffbh_u32_e32 v2, v3
	v_min_u32_e32 v2, 32, v2
	v_mov_b32_e32 v4, v49
	v_subrev_u32_e32 v5, 28, v2
	v_lshlrev_b64 v[4:5], v5, v[3:4]
	v_sub_u32_e32 v2, 29, v2
	v_and_b32_e32 v4, 7, v4
	v_cndmask_b32_e32 v2, v6, v2, vcc
	v_bfrev_b32_e32 v0, 60
	v_cndmask_b32_e32 v3, v3, v4, vcc
	v_lshlrev_b32_e32 v1, 16, v1
	v_lshl_add_u32 v2, v2, 23, v0
	v_and_or_b32 v1, v1, s54, v2
	v_lshlrev_b32_e32 v2, 20, v3
	v_or_b32_e32 v1, v1, v2
	v_mov_b32_e32 v0, v49
	buffer_store_dword v0, off, s[56:59], 0 offset:268 ; 4-byte Folded Spill
	s_nop 0
	buffer_store_dword v1, off, s[56:59], 0 offset:272 ; 4-byte Folded Spill
.LBB205_196:                            ;   in Loop: Header=BB205_13 Depth=1
	s_or_b64 exec, exec, s[44:45]
.LBB205_197:                            ;   in Loop: Header=BB205_13 Depth=1
	s_or_b64 exec, exec, s[42:43]
.LBB205_198:                            ;   in Loop: Header=BB205_13 Depth=1
	s_or_b64 exec, exec, s[40:41]
	global_load_ushort v2, v[41:42], off offset:1548
	s_waitcnt vmcnt(0)
	v_and_b32_e32 v1, 0xffff, v2
	v_cmp_ne_u16_sdwa s[42:43], v2, v49 src0_sel:BYTE_0 src1_sel:DWORD
	v_mov_b32_e32 v2, 0
	v_mov_b32_e32 v3, 0
	buffer_store_dword v2, off, s[56:59], 0 offset:284 ; 4-byte Folded Spill
	s_nop 0
	buffer_store_dword v3, off, s[56:59], 0 offset:288 ; 4-byte Folded Spill
	v_mov_b32_e32 v2, 0
	v_mov_b32_e32 v3, 0
	buffer_store_dword v2, off, s[56:59], 0 offset:276 ; 4-byte Folded Spill
	s_nop 0
	buffer_store_dword v3, off, s[56:59], 0 offset:280 ; 4-byte Folded Spill
	s_and_saveexec_b64 s[40:41], s[42:43]
	s_cbranch_execz .LBB205_204
; %bb.199:                              ;   in Loop: Header=BB205_13 Depth=1
	v_bfrev_b32_e32 v2, 1
	v_mov_b32_e32 v3, 0
	v_cmp_ne_u16_sdwa s[44:45], v1, s52 src0_sel:BYTE_0 src1_sel:DWORD
	buffer_store_dword v2, off, s[56:59], 0 offset:276 ; 4-byte Folded Spill
	s_nop 0
	buffer_store_dword v3, off, s[56:59], 0 offset:280 ; 4-byte Folded Spill
	s_and_saveexec_b64 s[42:43], s[44:45]
	s_cbranch_execz .LBB205_203
; %bb.200:                              ;   in Loop: Header=BB205_13 Depth=1
	v_and_b32_e32 v2, 0x7f, v1
	v_mov_b32_e32 v3, 0x7f800001
	v_mov_b32_e32 v4, 0
	v_cmp_ne_u32_e32 vcc, s53, v2
	buffer_store_dword v3, off, s[56:59], 0 offset:276 ; 4-byte Folded Spill
	s_nop 0
	buffer_store_dword v4, off, s[56:59], 0 offset:280 ; 4-byte Folded Spill
	s_and_saveexec_b64 s[44:45], vcc
	s_cbranch_execz .LBB205_202
; %bb.201:                              ;   in Loop: Header=BB205_13 Depth=1
	v_and_b32_e32 v4, 7, v1
	v_lshrrev_b32_e32 v5, 3, v2
	v_cmp_gt_u32_e32 vcc, 8, v2
	v_ffbh_u32_e32 v2, v4
	v_min_u32_e32 v6, 32, v2
	v_subrev_u32_e32 v2, 28, v6
	v_lshlrev_b64 v[2:3], v2, v[1:2]
	v_sub_u32_e32 v3, 29, v6
	v_and_b32_e32 v2, 7, v2
	v_cndmask_b32_e32 v3, v5, v3, vcc
	v_cndmask_b32_e32 v2, v4, v2, vcc
	v_bfrev_b32_e32 v0, 60
	v_lshlrev_b32_e32 v2, 20, v2
	v_and_b32_sdwa v4, sext(v1), s54 dst_sel:DWORD dst_unused:UNUSED_PAD src0_sel:BYTE_0 src1_sel:DWORD
	v_lshl_add_u32 v3, v3, 23, v0
	v_or3_b32 v2, v4, v3, v2
	v_mov_b32_e32 v3, v49
	buffer_store_dword v2, off, s[56:59], 0 offset:276 ; 4-byte Folded Spill
	s_nop 0
	buffer_store_dword v3, off, s[56:59], 0 offset:280 ; 4-byte Folded Spill
.LBB205_202:                            ;   in Loop: Header=BB205_13 Depth=1
	s_or_b64 exec, exec, s[44:45]
.LBB205_203:                            ;   in Loop: Header=BB205_13 Depth=1
	s_or_b64 exec, exec, s[42:43]
.LBB205_204:                            ;   in Loop: Header=BB205_13 Depth=1
	s_or_b64 exec, exec, s[40:41]
	v_cmp_ne_u16_sdwa s[42:43], v1, v49 src0_sel:BYTE_1 src1_sel:DWORD
	s_and_saveexec_b64 s[40:41], s[42:43]
	s_cbranch_execz .LBB205_210
; %bb.205:                              ;   in Loop: Header=BB205_13 Depth=1
	v_cmp_ne_u16_sdwa s[44:45], v1, s52 src0_sel:BYTE_1 src1_sel:DWORD
	buffer_store_dword v49, off, s[56:59], 0 offset:284 ; 4-byte Folded Spill
	s_nop 0
	buffer_store_dword v50, off, s[56:59], 0 offset:288 ; 4-byte Folded Spill
	s_and_saveexec_b64 s[42:43], s[44:45]
	s_cbranch_execz .LBB205_209
; %bb.206:                              ;   in Loop: Header=BB205_13 Depth=1
	buffer_load_dword v3, off, s[56:59], 0  ; 4-byte Folded Reload
	buffer_load_dword v4, off, s[56:59], 0 offset:4 ; 4-byte Folded Reload
	v_and_b32_sdwa v2, v1, s53 dst_sel:DWORD dst_unused:UNUSED_PAD src0_sel:BYTE_1 src1_sel:DWORD
	v_cmp_ne_u32_e32 vcc, s53, v2
	s_waitcnt vmcnt(1)
	v_mov_b32_e32 v3, v49
	s_waitcnt vmcnt(0)
	v_mov_b32_e32 v5, v4
	buffer_store_dword v4, off, s[56:59], 0 ; 4-byte Folded Spill
	s_nop 0
	buffer_store_dword v5, off, s[56:59], 0 offset:4 ; 4-byte Folded Spill
	buffer_store_dword v3, off, s[56:59], 0 offset:284 ; 4-byte Folded Spill
	s_nop 0
	buffer_store_dword v4, off, s[56:59], 0 offset:288 ; 4-byte Folded Spill
	s_and_saveexec_b64 s[44:45], vcc
	s_cbranch_execz .LBB205_208
; %bb.207:                              ;   in Loop: Header=BB205_13 Depth=1
	v_mov_b32_e32 v0, 7
	v_and_b32_sdwa v3, v1, v0 dst_sel:DWORD dst_unused:UNUSED_PAD src0_sel:BYTE_1 src1_sel:DWORD
	v_lshrrev_b32_e32 v6, 3, v2
	v_cmp_gt_u32_e32 vcc, 8, v2
	v_ffbh_u32_e32 v2, v3
	v_min_u32_e32 v2, 32, v2
	v_mov_b32_e32 v4, v49
	v_subrev_u32_e32 v5, 28, v2
	v_lshlrev_b64 v[4:5], v5, v[3:4]
	v_sub_u32_e32 v2, 29, v2
	v_and_b32_e32 v4, 7, v4
	v_cndmask_b32_e32 v2, v6, v2, vcc
	v_bfrev_b32_e32 v0, 60
	v_cndmask_b32_e32 v3, v3, v4, vcc
	v_lshlrev_b32_e32 v1, 16, v1
	v_lshl_add_u32 v2, v2, 23, v0
	v_and_or_b32 v1, v1, s54, v2
	v_lshlrev_b32_e32 v2, 20, v3
	v_or_b32_e32 v1, v1, v2
	v_mov_b32_e32 v0, v49
	buffer_store_dword v0, off, s[56:59], 0 offset:284 ; 4-byte Folded Spill
	s_nop 0
	buffer_store_dword v1, off, s[56:59], 0 offset:288 ; 4-byte Folded Spill
.LBB205_208:                            ;   in Loop: Header=BB205_13 Depth=1
	s_or_b64 exec, exec, s[44:45]
.LBB205_209:                            ;   in Loop: Header=BB205_13 Depth=1
	s_or_b64 exec, exec, s[42:43]
.LBB205_210:                            ;   in Loop: Header=BB205_13 Depth=1
	s_or_b64 exec, exec, s[40:41]
	global_load_ushort v2, v[41:42], off offset:2048
	s_waitcnt vmcnt(0)
	v_and_b32_e32 v1, 0xffff, v2
	v_cmp_ne_u16_sdwa s[42:43], v2, v49 src0_sel:BYTE_0 src1_sel:DWORD
	v_mov_b32_e32 v2, 0
	v_mov_b32_e32 v3, 0
	buffer_store_dword v2, off, s[56:59], 0 offset:300 ; 4-byte Folded Spill
	s_nop 0
	buffer_store_dword v3, off, s[56:59], 0 offset:304 ; 4-byte Folded Spill
	v_mov_b32_e32 v2, 0
	v_mov_b32_e32 v3, 0
	buffer_store_dword v2, off, s[56:59], 0 offset:292 ; 4-byte Folded Spill
	s_nop 0
	buffer_store_dword v3, off, s[56:59], 0 offset:296 ; 4-byte Folded Spill
	s_and_saveexec_b64 s[40:41], s[42:43]
	s_cbranch_execz .LBB205_216
; %bb.211:                              ;   in Loop: Header=BB205_13 Depth=1
	v_bfrev_b32_e32 v2, 1
	v_mov_b32_e32 v3, 0
	v_cmp_ne_u16_sdwa s[44:45], v1, s52 src0_sel:BYTE_0 src1_sel:DWORD
	buffer_store_dword v2, off, s[56:59], 0 offset:292 ; 4-byte Folded Spill
	s_nop 0
	buffer_store_dword v3, off, s[56:59], 0 offset:296 ; 4-byte Folded Spill
	s_and_saveexec_b64 s[42:43], s[44:45]
	s_cbranch_execz .LBB205_215
; %bb.212:                              ;   in Loop: Header=BB205_13 Depth=1
	v_and_b32_e32 v2, 0x7f, v1
	v_mov_b32_e32 v3, 0x7f800001
	v_mov_b32_e32 v4, 0
	v_cmp_ne_u32_e32 vcc, s53, v2
	buffer_store_dword v3, off, s[56:59], 0 offset:292 ; 4-byte Folded Spill
	s_nop 0
	buffer_store_dword v4, off, s[56:59], 0 offset:296 ; 4-byte Folded Spill
	s_and_saveexec_b64 s[44:45], vcc
	s_cbranch_execz .LBB205_214
; %bb.213:                              ;   in Loop: Header=BB205_13 Depth=1
	v_and_b32_e32 v4, 7, v1
	v_lshrrev_b32_e32 v5, 3, v2
	v_cmp_gt_u32_e32 vcc, 8, v2
	v_ffbh_u32_e32 v2, v4
	v_min_u32_e32 v6, 32, v2
	v_subrev_u32_e32 v2, 28, v6
	v_lshlrev_b64 v[2:3], v2, v[1:2]
	v_sub_u32_e32 v3, 29, v6
	v_and_b32_e32 v2, 7, v2
	v_cndmask_b32_e32 v3, v5, v3, vcc
	v_cndmask_b32_e32 v2, v4, v2, vcc
	v_bfrev_b32_e32 v0, 60
	v_lshlrev_b32_e32 v2, 20, v2
	v_and_b32_sdwa v4, sext(v1), s54 dst_sel:DWORD dst_unused:UNUSED_PAD src0_sel:BYTE_0 src1_sel:DWORD
	v_lshl_add_u32 v3, v3, 23, v0
	v_or3_b32 v2, v4, v3, v2
	v_mov_b32_e32 v3, v49
	buffer_store_dword v2, off, s[56:59], 0 offset:292 ; 4-byte Folded Spill
	s_nop 0
	buffer_store_dword v3, off, s[56:59], 0 offset:296 ; 4-byte Folded Spill
.LBB205_214:                            ;   in Loop: Header=BB205_13 Depth=1
	s_or_b64 exec, exec, s[44:45]
.LBB205_215:                            ;   in Loop: Header=BB205_13 Depth=1
	s_or_b64 exec, exec, s[42:43]
.LBB205_216:                            ;   in Loop: Header=BB205_13 Depth=1
	s_or_b64 exec, exec, s[40:41]
	v_cmp_ne_u16_sdwa s[42:43], v1, v49 src0_sel:BYTE_1 src1_sel:DWORD
	s_and_saveexec_b64 s[40:41], s[42:43]
	s_cbranch_execz .LBB205_222
; %bb.217:                              ;   in Loop: Header=BB205_13 Depth=1
	v_cmp_ne_u16_sdwa s[44:45], v1, s52 src0_sel:BYTE_1 src1_sel:DWORD
	buffer_store_dword v49, off, s[56:59], 0 offset:300 ; 4-byte Folded Spill
	s_nop 0
	buffer_store_dword v50, off, s[56:59], 0 offset:304 ; 4-byte Folded Spill
	s_and_saveexec_b64 s[42:43], s[44:45]
	s_cbranch_execz .LBB205_221
; %bb.218:                              ;   in Loop: Header=BB205_13 Depth=1
	buffer_load_dword v3, off, s[56:59], 0  ; 4-byte Folded Reload
	buffer_load_dword v4, off, s[56:59], 0 offset:4 ; 4-byte Folded Reload
	v_and_b32_sdwa v2, v1, s53 dst_sel:DWORD dst_unused:UNUSED_PAD src0_sel:BYTE_1 src1_sel:DWORD
	v_cmp_ne_u32_e32 vcc, s53, v2
	s_waitcnt vmcnt(1)
	v_mov_b32_e32 v3, v49
	s_waitcnt vmcnt(0)
	v_mov_b32_e32 v5, v4
	buffer_store_dword v4, off, s[56:59], 0 ; 4-byte Folded Spill
	s_nop 0
	buffer_store_dword v5, off, s[56:59], 0 offset:4 ; 4-byte Folded Spill
	buffer_store_dword v3, off, s[56:59], 0 offset:300 ; 4-byte Folded Spill
	s_nop 0
	buffer_store_dword v4, off, s[56:59], 0 offset:304 ; 4-byte Folded Spill
	s_and_saveexec_b64 s[44:45], vcc
	s_cbranch_execz .LBB205_220
; %bb.219:                              ;   in Loop: Header=BB205_13 Depth=1
	v_mov_b32_e32 v0, 7
	v_and_b32_sdwa v3, v1, v0 dst_sel:DWORD dst_unused:UNUSED_PAD src0_sel:BYTE_1 src1_sel:DWORD
	v_lshrrev_b32_e32 v6, 3, v2
	v_cmp_gt_u32_e32 vcc, 8, v2
	v_ffbh_u32_e32 v2, v3
	v_min_u32_e32 v2, 32, v2
	v_mov_b32_e32 v4, v49
	v_subrev_u32_e32 v5, 28, v2
	v_lshlrev_b64 v[4:5], v5, v[3:4]
	v_sub_u32_e32 v2, 29, v2
	v_and_b32_e32 v4, 7, v4
	v_cndmask_b32_e32 v2, v6, v2, vcc
	v_bfrev_b32_e32 v0, 60
	v_cndmask_b32_e32 v3, v3, v4, vcc
	v_lshlrev_b32_e32 v1, 16, v1
	v_lshl_add_u32 v2, v2, 23, v0
	v_and_or_b32 v1, v1, s54, v2
	v_lshlrev_b32_e32 v2, 20, v3
	v_or_b32_e32 v1, v1, v2
	v_mov_b32_e32 v0, v49
	buffer_store_dword v0, off, s[56:59], 0 offset:300 ; 4-byte Folded Spill
	s_nop 0
	buffer_store_dword v1, off, s[56:59], 0 offset:304 ; 4-byte Folded Spill
.LBB205_220:                            ;   in Loop: Header=BB205_13 Depth=1
	s_or_b64 exec, exec, s[44:45]
.LBB205_221:                            ;   in Loop: Header=BB205_13 Depth=1
	s_or_b64 exec, exec, s[42:43]
.LBB205_222:                            ;   in Loop: Header=BB205_13 Depth=1
	s_or_b64 exec, exec, s[40:41]
	global_load_ushort v2, v[41:42], off offset:2052
	s_waitcnt vmcnt(0)
	v_and_b32_e32 v1, 0xffff, v2
	v_cmp_ne_u16_sdwa s[42:43], v2, v49 src0_sel:BYTE_0 src1_sel:DWORD
	v_mov_b32_e32 v2, 0
	v_mov_b32_e32 v3, 0
	buffer_store_dword v2, off, s[56:59], 0 offset:316 ; 4-byte Folded Spill
	s_nop 0
	buffer_store_dword v3, off, s[56:59], 0 offset:320 ; 4-byte Folded Spill
	v_mov_b32_e32 v2, 0
	v_mov_b32_e32 v3, 0
	buffer_store_dword v2, off, s[56:59], 0 offset:308 ; 4-byte Folded Spill
	s_nop 0
	buffer_store_dword v3, off, s[56:59], 0 offset:312 ; 4-byte Folded Spill
	s_and_saveexec_b64 s[40:41], s[42:43]
	s_cbranch_execz .LBB205_228
; %bb.223:                              ;   in Loop: Header=BB205_13 Depth=1
	v_bfrev_b32_e32 v2, 1
	v_mov_b32_e32 v3, 0
	v_cmp_ne_u16_sdwa s[44:45], v1, s52 src0_sel:BYTE_0 src1_sel:DWORD
	buffer_store_dword v2, off, s[56:59], 0 offset:308 ; 4-byte Folded Spill
	s_nop 0
	buffer_store_dword v3, off, s[56:59], 0 offset:312 ; 4-byte Folded Spill
	s_and_saveexec_b64 s[42:43], s[44:45]
	s_cbranch_execz .LBB205_227
; %bb.224:                              ;   in Loop: Header=BB205_13 Depth=1
	v_and_b32_e32 v2, 0x7f, v1
	v_mov_b32_e32 v3, 0x7f800001
	v_mov_b32_e32 v4, 0
	v_cmp_ne_u32_e32 vcc, s53, v2
	buffer_store_dword v3, off, s[56:59], 0 offset:308 ; 4-byte Folded Spill
	s_nop 0
	buffer_store_dword v4, off, s[56:59], 0 offset:312 ; 4-byte Folded Spill
	s_and_saveexec_b64 s[44:45], vcc
	s_cbranch_execz .LBB205_226
; %bb.225:                              ;   in Loop: Header=BB205_13 Depth=1
	v_and_b32_e32 v4, 7, v1
	v_lshrrev_b32_e32 v5, 3, v2
	v_cmp_gt_u32_e32 vcc, 8, v2
	v_ffbh_u32_e32 v2, v4
	v_min_u32_e32 v6, 32, v2
	v_subrev_u32_e32 v2, 28, v6
	v_lshlrev_b64 v[2:3], v2, v[1:2]
	v_sub_u32_e32 v3, 29, v6
	v_and_b32_e32 v2, 7, v2
	v_cndmask_b32_e32 v3, v5, v3, vcc
	v_cndmask_b32_e32 v2, v4, v2, vcc
	v_bfrev_b32_e32 v0, 60
	v_lshlrev_b32_e32 v2, 20, v2
	v_and_b32_sdwa v4, sext(v1), s54 dst_sel:DWORD dst_unused:UNUSED_PAD src0_sel:BYTE_0 src1_sel:DWORD
	v_lshl_add_u32 v3, v3, 23, v0
	v_or3_b32 v2, v4, v3, v2
	v_mov_b32_e32 v3, v49
	buffer_store_dword v2, off, s[56:59], 0 offset:308 ; 4-byte Folded Spill
	s_nop 0
	buffer_store_dword v3, off, s[56:59], 0 offset:312 ; 4-byte Folded Spill
.LBB205_226:                            ;   in Loop: Header=BB205_13 Depth=1
	s_or_b64 exec, exec, s[44:45]
.LBB205_227:                            ;   in Loop: Header=BB205_13 Depth=1
	s_or_b64 exec, exec, s[42:43]
.LBB205_228:                            ;   in Loop: Header=BB205_13 Depth=1
	s_or_b64 exec, exec, s[40:41]
	v_cmp_ne_u16_sdwa s[42:43], v1, v49 src0_sel:BYTE_1 src1_sel:DWORD
	s_and_saveexec_b64 s[40:41], s[42:43]
	s_cbranch_execz .LBB205_234
; %bb.229:                              ;   in Loop: Header=BB205_13 Depth=1
	v_cmp_ne_u16_sdwa s[44:45], v1, s52 src0_sel:BYTE_1 src1_sel:DWORD
	buffer_store_dword v49, off, s[56:59], 0 offset:316 ; 4-byte Folded Spill
	s_nop 0
	buffer_store_dword v50, off, s[56:59], 0 offset:320 ; 4-byte Folded Spill
	s_and_saveexec_b64 s[42:43], s[44:45]
	s_cbranch_execz .LBB205_233
; %bb.230:                              ;   in Loop: Header=BB205_13 Depth=1
	buffer_load_dword v3, off, s[56:59], 0  ; 4-byte Folded Reload
	buffer_load_dword v4, off, s[56:59], 0 offset:4 ; 4-byte Folded Reload
	v_and_b32_sdwa v2, v1, s53 dst_sel:DWORD dst_unused:UNUSED_PAD src0_sel:BYTE_1 src1_sel:DWORD
	v_cmp_ne_u32_e32 vcc, s53, v2
	s_waitcnt vmcnt(1)
	v_mov_b32_e32 v3, v49
	s_waitcnt vmcnt(0)
	v_mov_b32_e32 v5, v4
	buffer_store_dword v4, off, s[56:59], 0 ; 4-byte Folded Spill
	s_nop 0
	buffer_store_dword v5, off, s[56:59], 0 offset:4 ; 4-byte Folded Spill
	buffer_store_dword v3, off, s[56:59], 0 offset:316 ; 4-byte Folded Spill
	s_nop 0
	buffer_store_dword v4, off, s[56:59], 0 offset:320 ; 4-byte Folded Spill
	s_and_saveexec_b64 s[44:45], vcc
	s_cbranch_execz .LBB205_232
; %bb.231:                              ;   in Loop: Header=BB205_13 Depth=1
	v_mov_b32_e32 v0, 7
	v_and_b32_sdwa v3, v1, v0 dst_sel:DWORD dst_unused:UNUSED_PAD src0_sel:BYTE_1 src1_sel:DWORD
	v_lshrrev_b32_e32 v6, 3, v2
	v_cmp_gt_u32_e32 vcc, 8, v2
	v_ffbh_u32_e32 v2, v3
	v_min_u32_e32 v2, 32, v2
	v_mov_b32_e32 v4, v49
	v_subrev_u32_e32 v5, 28, v2
	v_lshlrev_b64 v[4:5], v5, v[3:4]
	v_sub_u32_e32 v2, 29, v2
	v_and_b32_e32 v4, 7, v4
	v_cndmask_b32_e32 v2, v6, v2, vcc
	v_bfrev_b32_e32 v0, 60
	v_cndmask_b32_e32 v3, v3, v4, vcc
	v_lshlrev_b32_e32 v1, 16, v1
	v_lshl_add_u32 v2, v2, 23, v0
	v_and_or_b32 v1, v1, s54, v2
	v_lshlrev_b32_e32 v2, 20, v3
	v_or_b32_e32 v1, v1, v2
	v_mov_b32_e32 v0, v49
	buffer_store_dword v0, off, s[56:59], 0 offset:316 ; 4-byte Folded Spill
	s_nop 0
	buffer_store_dword v1, off, s[56:59], 0 offset:320 ; 4-byte Folded Spill
.LBB205_232:                            ;   in Loop: Header=BB205_13 Depth=1
	s_or_b64 exec, exec, s[44:45]
.LBB205_233:                            ;   in Loop: Header=BB205_13 Depth=1
	s_or_b64 exec, exec, s[42:43]
.LBB205_234:                            ;   in Loop: Header=BB205_13 Depth=1
	s_or_b64 exec, exec, s[40:41]
	global_load_ushort v2, v[41:42], off offset:2056
	s_waitcnt vmcnt(0)
	v_and_b32_e32 v1, 0xffff, v2
	v_cmp_ne_u16_sdwa s[42:43], v2, v49 src0_sel:BYTE_0 src1_sel:DWORD
	v_mov_b32_e32 v2, 0
	v_mov_b32_e32 v3, 0
	buffer_store_dword v2, off, s[56:59], 0 offset:332 ; 4-byte Folded Spill
	s_nop 0
	buffer_store_dword v3, off, s[56:59], 0 offset:336 ; 4-byte Folded Spill
	v_mov_b32_e32 v2, 0
	v_mov_b32_e32 v3, 0
	buffer_store_dword v2, off, s[56:59], 0 offset:324 ; 4-byte Folded Spill
	s_nop 0
	buffer_store_dword v3, off, s[56:59], 0 offset:328 ; 4-byte Folded Spill
	s_and_saveexec_b64 s[40:41], s[42:43]
	s_cbranch_execz .LBB205_240
; %bb.235:                              ;   in Loop: Header=BB205_13 Depth=1
	v_bfrev_b32_e32 v2, 1
	v_mov_b32_e32 v3, 0
	v_cmp_ne_u16_sdwa s[44:45], v1, s52 src0_sel:BYTE_0 src1_sel:DWORD
	buffer_store_dword v2, off, s[56:59], 0 offset:324 ; 4-byte Folded Spill
	s_nop 0
	buffer_store_dword v3, off, s[56:59], 0 offset:328 ; 4-byte Folded Spill
	s_and_saveexec_b64 s[42:43], s[44:45]
	s_cbranch_execz .LBB205_239
; %bb.236:                              ;   in Loop: Header=BB205_13 Depth=1
	v_and_b32_e32 v2, 0x7f, v1
	v_mov_b32_e32 v3, 0x7f800001
	v_mov_b32_e32 v4, 0
	v_cmp_ne_u32_e32 vcc, s53, v2
	buffer_store_dword v3, off, s[56:59], 0 offset:324 ; 4-byte Folded Spill
	s_nop 0
	buffer_store_dword v4, off, s[56:59], 0 offset:328 ; 4-byte Folded Spill
	s_and_saveexec_b64 s[44:45], vcc
	s_cbranch_execz .LBB205_238
; %bb.237:                              ;   in Loop: Header=BB205_13 Depth=1
	v_and_b32_e32 v4, 7, v1
	v_lshrrev_b32_e32 v5, 3, v2
	v_cmp_gt_u32_e32 vcc, 8, v2
	v_ffbh_u32_e32 v2, v4
	v_min_u32_e32 v6, 32, v2
	v_subrev_u32_e32 v2, 28, v6
	v_lshlrev_b64 v[2:3], v2, v[1:2]
	v_sub_u32_e32 v3, 29, v6
	v_and_b32_e32 v2, 7, v2
	v_cndmask_b32_e32 v3, v5, v3, vcc
	v_cndmask_b32_e32 v2, v4, v2, vcc
	v_bfrev_b32_e32 v0, 60
	v_lshlrev_b32_e32 v2, 20, v2
	v_and_b32_sdwa v4, sext(v1), s54 dst_sel:DWORD dst_unused:UNUSED_PAD src0_sel:BYTE_0 src1_sel:DWORD
	v_lshl_add_u32 v3, v3, 23, v0
	v_or3_b32 v2, v4, v3, v2
	v_mov_b32_e32 v3, v49
	buffer_store_dword v2, off, s[56:59], 0 offset:324 ; 4-byte Folded Spill
	s_nop 0
	buffer_store_dword v3, off, s[56:59], 0 offset:328 ; 4-byte Folded Spill
.LBB205_238:                            ;   in Loop: Header=BB205_13 Depth=1
	s_or_b64 exec, exec, s[44:45]
.LBB205_239:                            ;   in Loop: Header=BB205_13 Depth=1
	s_or_b64 exec, exec, s[42:43]
.LBB205_240:                            ;   in Loop: Header=BB205_13 Depth=1
	s_or_b64 exec, exec, s[40:41]
	v_cmp_ne_u16_sdwa s[42:43], v1, v49 src0_sel:BYTE_1 src1_sel:DWORD
	s_and_saveexec_b64 s[40:41], s[42:43]
	s_cbranch_execz .LBB205_246
; %bb.241:                              ;   in Loop: Header=BB205_13 Depth=1
	v_cmp_ne_u16_sdwa s[44:45], v1, s52 src0_sel:BYTE_1 src1_sel:DWORD
	buffer_store_dword v49, off, s[56:59], 0 offset:332 ; 4-byte Folded Spill
	s_nop 0
	buffer_store_dword v50, off, s[56:59], 0 offset:336 ; 4-byte Folded Spill
	s_and_saveexec_b64 s[42:43], s[44:45]
	s_cbranch_execz .LBB205_245
; %bb.242:                              ;   in Loop: Header=BB205_13 Depth=1
	buffer_load_dword v3, off, s[56:59], 0  ; 4-byte Folded Reload
	buffer_load_dword v4, off, s[56:59], 0 offset:4 ; 4-byte Folded Reload
	v_and_b32_sdwa v2, v1, s53 dst_sel:DWORD dst_unused:UNUSED_PAD src0_sel:BYTE_1 src1_sel:DWORD
	v_cmp_ne_u32_e32 vcc, s53, v2
	s_waitcnt vmcnt(1)
	v_mov_b32_e32 v3, v49
	s_waitcnt vmcnt(0)
	v_mov_b32_e32 v5, v4
	buffer_store_dword v4, off, s[56:59], 0 ; 4-byte Folded Spill
	s_nop 0
	buffer_store_dword v5, off, s[56:59], 0 offset:4 ; 4-byte Folded Spill
	buffer_store_dword v3, off, s[56:59], 0 offset:332 ; 4-byte Folded Spill
	s_nop 0
	buffer_store_dword v4, off, s[56:59], 0 offset:336 ; 4-byte Folded Spill
	s_and_saveexec_b64 s[44:45], vcc
	s_cbranch_execz .LBB205_244
; %bb.243:                              ;   in Loop: Header=BB205_13 Depth=1
	v_mov_b32_e32 v0, 7
	v_and_b32_sdwa v3, v1, v0 dst_sel:DWORD dst_unused:UNUSED_PAD src0_sel:BYTE_1 src1_sel:DWORD
	v_lshrrev_b32_e32 v6, 3, v2
	v_cmp_gt_u32_e32 vcc, 8, v2
	v_ffbh_u32_e32 v2, v3
	v_min_u32_e32 v2, 32, v2
	v_mov_b32_e32 v4, v49
	v_subrev_u32_e32 v5, 28, v2
	v_lshlrev_b64 v[4:5], v5, v[3:4]
	v_sub_u32_e32 v2, 29, v2
	v_and_b32_e32 v4, 7, v4
	v_cndmask_b32_e32 v2, v6, v2, vcc
	v_bfrev_b32_e32 v0, 60
	v_cndmask_b32_e32 v3, v3, v4, vcc
	v_lshlrev_b32_e32 v1, 16, v1
	v_lshl_add_u32 v2, v2, 23, v0
	v_and_or_b32 v1, v1, s54, v2
	v_lshlrev_b32_e32 v2, 20, v3
	v_or_b32_e32 v1, v1, v2
	v_mov_b32_e32 v0, v49
	buffer_store_dword v0, off, s[56:59], 0 offset:332 ; 4-byte Folded Spill
	s_nop 0
	buffer_store_dword v1, off, s[56:59], 0 offset:336 ; 4-byte Folded Spill
.LBB205_244:                            ;   in Loop: Header=BB205_13 Depth=1
	s_or_b64 exec, exec, s[44:45]
.LBB205_245:                            ;   in Loop: Header=BB205_13 Depth=1
	s_or_b64 exec, exec, s[42:43]
.LBB205_246:                            ;   in Loop: Header=BB205_13 Depth=1
	s_or_b64 exec, exec, s[40:41]
	global_load_ushort v2, v[41:42], off offset:2060
	s_waitcnt vmcnt(0)
	v_and_b32_e32 v1, 0xffff, v2
	v_cmp_ne_u16_sdwa s[42:43], v2, v49 src0_sel:BYTE_0 src1_sel:DWORD
	v_mov_b32_e32 v2, 0
	v_mov_b32_e32 v3, 0
	buffer_store_dword v2, off, s[56:59], 0 offset:348 ; 4-byte Folded Spill
	s_nop 0
	buffer_store_dword v3, off, s[56:59], 0 offset:352 ; 4-byte Folded Spill
	v_mov_b32_e32 v2, 0
	v_mov_b32_e32 v3, 0
	buffer_store_dword v2, off, s[56:59], 0 offset:340 ; 4-byte Folded Spill
	s_nop 0
	buffer_store_dword v3, off, s[56:59], 0 offset:344 ; 4-byte Folded Spill
	s_and_saveexec_b64 s[40:41], s[42:43]
	s_cbranch_execz .LBB205_252
; %bb.247:                              ;   in Loop: Header=BB205_13 Depth=1
	v_bfrev_b32_e32 v2, 1
	v_mov_b32_e32 v3, 0
	v_cmp_ne_u16_sdwa s[44:45], v1, s52 src0_sel:BYTE_0 src1_sel:DWORD
	buffer_store_dword v2, off, s[56:59], 0 offset:340 ; 4-byte Folded Spill
	s_nop 0
	buffer_store_dword v3, off, s[56:59], 0 offset:344 ; 4-byte Folded Spill
	s_and_saveexec_b64 s[42:43], s[44:45]
	s_cbranch_execz .LBB205_251
; %bb.248:                              ;   in Loop: Header=BB205_13 Depth=1
	v_and_b32_e32 v2, 0x7f, v1
	v_mov_b32_e32 v3, 0x7f800001
	v_mov_b32_e32 v4, 0
	v_cmp_ne_u32_e32 vcc, s53, v2
	buffer_store_dword v3, off, s[56:59], 0 offset:340 ; 4-byte Folded Spill
	s_nop 0
	buffer_store_dword v4, off, s[56:59], 0 offset:344 ; 4-byte Folded Spill
	s_and_saveexec_b64 s[44:45], vcc
	s_cbranch_execz .LBB205_250
; %bb.249:                              ;   in Loop: Header=BB205_13 Depth=1
	v_and_b32_e32 v4, 7, v1
	v_lshrrev_b32_e32 v5, 3, v2
	v_cmp_gt_u32_e32 vcc, 8, v2
	v_ffbh_u32_e32 v2, v4
	v_min_u32_e32 v6, 32, v2
	v_subrev_u32_e32 v2, 28, v6
	v_lshlrev_b64 v[2:3], v2, v[1:2]
	v_sub_u32_e32 v3, 29, v6
	v_and_b32_e32 v2, 7, v2
	v_cndmask_b32_e32 v3, v5, v3, vcc
	v_cndmask_b32_e32 v2, v4, v2, vcc
	v_bfrev_b32_e32 v0, 60
	v_lshlrev_b32_e32 v2, 20, v2
	v_and_b32_sdwa v4, sext(v1), s54 dst_sel:DWORD dst_unused:UNUSED_PAD src0_sel:BYTE_0 src1_sel:DWORD
	v_lshl_add_u32 v3, v3, 23, v0
	v_or3_b32 v2, v4, v3, v2
	v_mov_b32_e32 v3, v49
	buffer_store_dword v2, off, s[56:59], 0 offset:340 ; 4-byte Folded Spill
	s_nop 0
	buffer_store_dword v3, off, s[56:59], 0 offset:344 ; 4-byte Folded Spill
.LBB205_250:                            ;   in Loop: Header=BB205_13 Depth=1
	s_or_b64 exec, exec, s[44:45]
.LBB205_251:                            ;   in Loop: Header=BB205_13 Depth=1
	s_or_b64 exec, exec, s[42:43]
.LBB205_252:                            ;   in Loop: Header=BB205_13 Depth=1
	s_or_b64 exec, exec, s[40:41]
	v_cmp_ne_u16_sdwa s[42:43], v1, v49 src0_sel:BYTE_1 src1_sel:DWORD
	s_and_saveexec_b64 s[40:41], s[42:43]
	s_cbranch_execz .LBB205_258
; %bb.253:                              ;   in Loop: Header=BB205_13 Depth=1
	v_cmp_ne_u16_sdwa s[44:45], v1, s52 src0_sel:BYTE_1 src1_sel:DWORD
	buffer_store_dword v49, off, s[56:59], 0 offset:348 ; 4-byte Folded Spill
	s_nop 0
	buffer_store_dword v50, off, s[56:59], 0 offset:352 ; 4-byte Folded Spill
	s_and_saveexec_b64 s[42:43], s[44:45]
	s_cbranch_execz .LBB205_257
; %bb.254:                              ;   in Loop: Header=BB205_13 Depth=1
	buffer_load_dword v3, off, s[56:59], 0  ; 4-byte Folded Reload
	buffer_load_dword v4, off, s[56:59], 0 offset:4 ; 4-byte Folded Reload
	v_and_b32_sdwa v2, v1, s53 dst_sel:DWORD dst_unused:UNUSED_PAD src0_sel:BYTE_1 src1_sel:DWORD
	v_cmp_ne_u32_e32 vcc, s53, v2
	s_waitcnt vmcnt(1)
	v_mov_b32_e32 v3, v49
	s_waitcnt vmcnt(0)
	v_mov_b32_e32 v5, v4
	buffer_store_dword v4, off, s[56:59], 0 ; 4-byte Folded Spill
	s_nop 0
	buffer_store_dword v5, off, s[56:59], 0 offset:4 ; 4-byte Folded Spill
	buffer_store_dword v3, off, s[56:59], 0 offset:348 ; 4-byte Folded Spill
	s_nop 0
	buffer_store_dword v4, off, s[56:59], 0 offset:352 ; 4-byte Folded Spill
	s_and_saveexec_b64 s[44:45], vcc
	s_cbranch_execz .LBB205_256
; %bb.255:                              ;   in Loop: Header=BB205_13 Depth=1
	v_mov_b32_e32 v0, 7
	v_and_b32_sdwa v3, v1, v0 dst_sel:DWORD dst_unused:UNUSED_PAD src0_sel:BYTE_1 src1_sel:DWORD
	v_lshrrev_b32_e32 v6, 3, v2
	v_cmp_gt_u32_e32 vcc, 8, v2
	v_ffbh_u32_e32 v2, v3
	v_min_u32_e32 v2, 32, v2
	v_mov_b32_e32 v4, v49
	v_subrev_u32_e32 v5, 28, v2
	v_lshlrev_b64 v[4:5], v5, v[3:4]
	v_sub_u32_e32 v2, 29, v2
	v_and_b32_e32 v4, 7, v4
	v_cndmask_b32_e32 v2, v6, v2, vcc
	v_bfrev_b32_e32 v0, 60
	v_cndmask_b32_e32 v3, v3, v4, vcc
	v_lshlrev_b32_e32 v1, 16, v1
	v_lshl_add_u32 v2, v2, 23, v0
	v_and_or_b32 v1, v1, s54, v2
	v_lshlrev_b32_e32 v2, 20, v3
	v_or_b32_e32 v1, v1, v2
	v_mov_b32_e32 v0, v49
	buffer_store_dword v0, off, s[56:59], 0 offset:348 ; 4-byte Folded Spill
	s_nop 0
	buffer_store_dword v1, off, s[56:59], 0 offset:352 ; 4-byte Folded Spill
.LBB205_256:                            ;   in Loop: Header=BB205_13 Depth=1
	s_or_b64 exec, exec, s[44:45]
.LBB205_257:                            ;   in Loop: Header=BB205_13 Depth=1
	s_or_b64 exec, exec, s[42:43]
.LBB205_258:                            ;   in Loop: Header=BB205_13 Depth=1
	s_or_b64 exec, exec, s[40:41]
	global_load_ushort v2, v[41:42], off offset:2560
	s_waitcnt vmcnt(0)
	v_and_b32_e32 v1, 0xffff, v2
	v_cmp_ne_u16_sdwa s[42:43], v2, v49 src0_sel:BYTE_0 src1_sel:DWORD
	v_mov_b32_e32 v2, 0
	v_mov_b32_e32 v3, 0
	buffer_store_dword v2, off, s[56:59], 0 offset:364 ; 4-byte Folded Spill
	s_nop 0
	buffer_store_dword v3, off, s[56:59], 0 offset:368 ; 4-byte Folded Spill
	v_mov_b32_e32 v2, 0
	v_mov_b32_e32 v3, 0
	buffer_store_dword v2, off, s[56:59], 0 offset:356 ; 4-byte Folded Spill
	s_nop 0
	buffer_store_dword v3, off, s[56:59], 0 offset:360 ; 4-byte Folded Spill
	s_and_saveexec_b64 s[40:41], s[42:43]
	s_cbranch_execz .LBB205_264
; %bb.259:                              ;   in Loop: Header=BB205_13 Depth=1
	v_bfrev_b32_e32 v2, 1
	v_mov_b32_e32 v3, 0
	v_cmp_ne_u16_sdwa s[44:45], v1, s52 src0_sel:BYTE_0 src1_sel:DWORD
	buffer_store_dword v2, off, s[56:59], 0 offset:356 ; 4-byte Folded Spill
	s_nop 0
	buffer_store_dword v3, off, s[56:59], 0 offset:360 ; 4-byte Folded Spill
	s_and_saveexec_b64 s[42:43], s[44:45]
	s_cbranch_execz .LBB205_263
; %bb.260:                              ;   in Loop: Header=BB205_13 Depth=1
	v_and_b32_e32 v2, 0x7f, v1
	v_mov_b32_e32 v3, 0x7f800001
	v_mov_b32_e32 v4, 0
	v_cmp_ne_u32_e32 vcc, s53, v2
	buffer_store_dword v3, off, s[56:59], 0 offset:356 ; 4-byte Folded Spill
	s_nop 0
	buffer_store_dword v4, off, s[56:59], 0 offset:360 ; 4-byte Folded Spill
	s_and_saveexec_b64 s[44:45], vcc
	s_cbranch_execz .LBB205_262
; %bb.261:                              ;   in Loop: Header=BB205_13 Depth=1
	v_and_b32_e32 v4, 7, v1
	v_lshrrev_b32_e32 v5, 3, v2
	v_cmp_gt_u32_e32 vcc, 8, v2
	v_ffbh_u32_e32 v2, v4
	v_min_u32_e32 v6, 32, v2
	v_subrev_u32_e32 v2, 28, v6
	v_lshlrev_b64 v[2:3], v2, v[1:2]
	v_sub_u32_e32 v3, 29, v6
	v_and_b32_e32 v2, 7, v2
	v_cndmask_b32_e32 v3, v5, v3, vcc
	v_cndmask_b32_e32 v2, v4, v2, vcc
	v_bfrev_b32_e32 v0, 60
	v_lshlrev_b32_e32 v2, 20, v2
	v_and_b32_sdwa v4, sext(v1), s54 dst_sel:DWORD dst_unused:UNUSED_PAD src0_sel:BYTE_0 src1_sel:DWORD
	v_lshl_add_u32 v3, v3, 23, v0
	v_or3_b32 v2, v4, v3, v2
	v_mov_b32_e32 v3, v49
	buffer_store_dword v2, off, s[56:59], 0 offset:356 ; 4-byte Folded Spill
	s_nop 0
	buffer_store_dword v3, off, s[56:59], 0 offset:360 ; 4-byte Folded Spill
.LBB205_262:                            ;   in Loop: Header=BB205_13 Depth=1
	s_or_b64 exec, exec, s[44:45]
.LBB205_263:                            ;   in Loop: Header=BB205_13 Depth=1
	s_or_b64 exec, exec, s[42:43]
.LBB205_264:                            ;   in Loop: Header=BB205_13 Depth=1
	s_or_b64 exec, exec, s[40:41]
	v_cmp_ne_u16_sdwa s[42:43], v1, v49 src0_sel:BYTE_1 src1_sel:DWORD
	s_and_saveexec_b64 s[40:41], s[42:43]
	s_cbranch_execz .LBB205_270
; %bb.265:                              ;   in Loop: Header=BB205_13 Depth=1
	v_cmp_ne_u16_sdwa s[44:45], v1, s52 src0_sel:BYTE_1 src1_sel:DWORD
	buffer_store_dword v49, off, s[56:59], 0 offset:364 ; 4-byte Folded Spill
	s_nop 0
	buffer_store_dword v50, off, s[56:59], 0 offset:368 ; 4-byte Folded Spill
	s_and_saveexec_b64 s[42:43], s[44:45]
	s_cbranch_execz .LBB205_269
; %bb.266:                              ;   in Loop: Header=BB205_13 Depth=1
	buffer_load_dword v3, off, s[56:59], 0  ; 4-byte Folded Reload
	buffer_load_dword v4, off, s[56:59], 0 offset:4 ; 4-byte Folded Reload
	v_and_b32_sdwa v2, v1, s53 dst_sel:DWORD dst_unused:UNUSED_PAD src0_sel:BYTE_1 src1_sel:DWORD
	v_cmp_ne_u32_e32 vcc, s53, v2
	s_waitcnt vmcnt(1)
	v_mov_b32_e32 v3, v49
	s_waitcnt vmcnt(0)
	v_mov_b32_e32 v5, v4
	buffer_store_dword v4, off, s[56:59], 0 ; 4-byte Folded Spill
	s_nop 0
	buffer_store_dword v5, off, s[56:59], 0 offset:4 ; 4-byte Folded Spill
	buffer_store_dword v3, off, s[56:59], 0 offset:364 ; 4-byte Folded Spill
	s_nop 0
	buffer_store_dword v4, off, s[56:59], 0 offset:368 ; 4-byte Folded Spill
	s_and_saveexec_b64 s[44:45], vcc
	s_cbranch_execz .LBB205_268
; %bb.267:                              ;   in Loop: Header=BB205_13 Depth=1
	v_mov_b32_e32 v0, 7
	v_and_b32_sdwa v3, v1, v0 dst_sel:DWORD dst_unused:UNUSED_PAD src0_sel:BYTE_1 src1_sel:DWORD
	v_lshrrev_b32_e32 v6, 3, v2
	v_cmp_gt_u32_e32 vcc, 8, v2
	v_ffbh_u32_e32 v2, v3
	v_min_u32_e32 v2, 32, v2
	v_mov_b32_e32 v4, v49
	v_subrev_u32_e32 v5, 28, v2
	v_lshlrev_b64 v[4:5], v5, v[3:4]
	v_sub_u32_e32 v2, 29, v2
	v_and_b32_e32 v4, 7, v4
	v_cndmask_b32_e32 v2, v6, v2, vcc
	v_bfrev_b32_e32 v0, 60
	v_cndmask_b32_e32 v3, v3, v4, vcc
	v_lshlrev_b32_e32 v1, 16, v1
	v_lshl_add_u32 v2, v2, 23, v0
	v_and_or_b32 v1, v1, s54, v2
	v_lshlrev_b32_e32 v2, 20, v3
	v_or_b32_e32 v1, v1, v2
	v_mov_b32_e32 v0, v49
	buffer_store_dword v0, off, s[56:59], 0 offset:364 ; 4-byte Folded Spill
	s_nop 0
	buffer_store_dword v1, off, s[56:59], 0 offset:368 ; 4-byte Folded Spill
.LBB205_268:                            ;   in Loop: Header=BB205_13 Depth=1
	s_or_b64 exec, exec, s[44:45]
.LBB205_269:                            ;   in Loop: Header=BB205_13 Depth=1
	s_or_b64 exec, exec, s[42:43]
.LBB205_270:                            ;   in Loop: Header=BB205_13 Depth=1
	s_or_b64 exec, exec, s[40:41]
	global_load_ushort v2, v[41:42], off offset:2564
	s_waitcnt vmcnt(0)
	v_and_b32_e32 v1, 0xffff, v2
	v_cmp_ne_u16_sdwa s[42:43], v2, v49 src0_sel:BYTE_0 src1_sel:DWORD
	v_mov_b32_e32 v2, 0
	v_mov_b32_e32 v3, 0
	buffer_store_dword v2, off, s[56:59], 0 offset:380 ; 4-byte Folded Spill
	s_nop 0
	buffer_store_dword v3, off, s[56:59], 0 offset:384 ; 4-byte Folded Spill
	v_mov_b32_e32 v2, 0
	v_mov_b32_e32 v3, 0
	buffer_store_dword v2, off, s[56:59], 0 offset:372 ; 4-byte Folded Spill
	s_nop 0
	buffer_store_dword v3, off, s[56:59], 0 offset:376 ; 4-byte Folded Spill
	s_and_saveexec_b64 s[40:41], s[42:43]
	s_cbranch_execz .LBB205_276
; %bb.271:                              ;   in Loop: Header=BB205_13 Depth=1
	v_bfrev_b32_e32 v2, 1
	v_mov_b32_e32 v3, 0
	v_cmp_ne_u16_sdwa s[44:45], v1, s52 src0_sel:BYTE_0 src1_sel:DWORD
	buffer_store_dword v2, off, s[56:59], 0 offset:372 ; 4-byte Folded Spill
	s_nop 0
	buffer_store_dword v3, off, s[56:59], 0 offset:376 ; 4-byte Folded Spill
	s_and_saveexec_b64 s[42:43], s[44:45]
	s_cbranch_execz .LBB205_275
; %bb.272:                              ;   in Loop: Header=BB205_13 Depth=1
	v_and_b32_e32 v2, 0x7f, v1
	v_mov_b32_e32 v3, 0x7f800001
	v_mov_b32_e32 v4, 0
	v_cmp_ne_u32_e32 vcc, s53, v2
	buffer_store_dword v3, off, s[56:59], 0 offset:372 ; 4-byte Folded Spill
	s_nop 0
	buffer_store_dword v4, off, s[56:59], 0 offset:376 ; 4-byte Folded Spill
	s_and_saveexec_b64 s[44:45], vcc
	s_cbranch_execz .LBB205_274
; %bb.273:                              ;   in Loop: Header=BB205_13 Depth=1
	v_and_b32_e32 v4, 7, v1
	v_lshrrev_b32_e32 v5, 3, v2
	v_cmp_gt_u32_e32 vcc, 8, v2
	v_ffbh_u32_e32 v2, v4
	v_min_u32_e32 v6, 32, v2
	v_subrev_u32_e32 v2, 28, v6
	v_lshlrev_b64 v[2:3], v2, v[1:2]
	v_sub_u32_e32 v3, 29, v6
	v_and_b32_e32 v2, 7, v2
	v_cndmask_b32_e32 v3, v5, v3, vcc
	v_cndmask_b32_e32 v2, v4, v2, vcc
	v_bfrev_b32_e32 v0, 60
	v_lshlrev_b32_e32 v2, 20, v2
	v_and_b32_sdwa v4, sext(v1), s54 dst_sel:DWORD dst_unused:UNUSED_PAD src0_sel:BYTE_0 src1_sel:DWORD
	v_lshl_add_u32 v3, v3, 23, v0
	v_or3_b32 v2, v4, v3, v2
	v_mov_b32_e32 v3, v49
	buffer_store_dword v2, off, s[56:59], 0 offset:372 ; 4-byte Folded Spill
	s_nop 0
	buffer_store_dword v3, off, s[56:59], 0 offset:376 ; 4-byte Folded Spill
.LBB205_274:                            ;   in Loop: Header=BB205_13 Depth=1
	s_or_b64 exec, exec, s[44:45]
.LBB205_275:                            ;   in Loop: Header=BB205_13 Depth=1
	s_or_b64 exec, exec, s[42:43]
.LBB205_276:                            ;   in Loop: Header=BB205_13 Depth=1
	s_or_b64 exec, exec, s[40:41]
	v_cmp_ne_u16_sdwa s[42:43], v1, v49 src0_sel:BYTE_1 src1_sel:DWORD
	s_and_saveexec_b64 s[40:41], s[42:43]
	s_cbranch_execz .LBB205_282
; %bb.277:                              ;   in Loop: Header=BB205_13 Depth=1
	v_cmp_ne_u16_sdwa s[44:45], v1, s52 src0_sel:BYTE_1 src1_sel:DWORD
	buffer_store_dword v49, off, s[56:59], 0 offset:380 ; 4-byte Folded Spill
	s_nop 0
	buffer_store_dword v50, off, s[56:59], 0 offset:384 ; 4-byte Folded Spill
	s_and_saveexec_b64 s[42:43], s[44:45]
	s_cbranch_execz .LBB205_281
; %bb.278:                              ;   in Loop: Header=BB205_13 Depth=1
	buffer_load_dword v3, off, s[56:59], 0  ; 4-byte Folded Reload
	buffer_load_dword v4, off, s[56:59], 0 offset:4 ; 4-byte Folded Reload
	v_and_b32_sdwa v2, v1, s53 dst_sel:DWORD dst_unused:UNUSED_PAD src0_sel:BYTE_1 src1_sel:DWORD
	v_cmp_ne_u32_e32 vcc, s53, v2
	s_waitcnt vmcnt(1)
	v_mov_b32_e32 v3, v49
	s_waitcnt vmcnt(0)
	v_mov_b32_e32 v5, v4
	buffer_store_dword v4, off, s[56:59], 0 ; 4-byte Folded Spill
	s_nop 0
	buffer_store_dword v5, off, s[56:59], 0 offset:4 ; 4-byte Folded Spill
	buffer_store_dword v3, off, s[56:59], 0 offset:380 ; 4-byte Folded Spill
	s_nop 0
	buffer_store_dword v4, off, s[56:59], 0 offset:384 ; 4-byte Folded Spill
	s_and_saveexec_b64 s[44:45], vcc
	s_cbranch_execz .LBB205_280
; %bb.279:                              ;   in Loop: Header=BB205_13 Depth=1
	v_mov_b32_e32 v0, 7
	v_and_b32_sdwa v3, v1, v0 dst_sel:DWORD dst_unused:UNUSED_PAD src0_sel:BYTE_1 src1_sel:DWORD
	v_lshrrev_b32_e32 v6, 3, v2
	v_cmp_gt_u32_e32 vcc, 8, v2
	v_ffbh_u32_e32 v2, v3
	v_min_u32_e32 v2, 32, v2
	v_mov_b32_e32 v4, v49
	v_subrev_u32_e32 v5, 28, v2
	v_lshlrev_b64 v[4:5], v5, v[3:4]
	v_sub_u32_e32 v2, 29, v2
	v_and_b32_e32 v4, 7, v4
	v_cndmask_b32_e32 v2, v6, v2, vcc
	v_bfrev_b32_e32 v0, 60
	v_cndmask_b32_e32 v3, v3, v4, vcc
	v_lshlrev_b32_e32 v1, 16, v1
	v_lshl_add_u32 v2, v2, 23, v0
	v_and_or_b32 v1, v1, s54, v2
	v_lshlrev_b32_e32 v2, 20, v3
	v_or_b32_e32 v1, v1, v2
	v_mov_b32_e32 v0, v49
	buffer_store_dword v0, off, s[56:59], 0 offset:380 ; 4-byte Folded Spill
	s_nop 0
	buffer_store_dword v1, off, s[56:59], 0 offset:384 ; 4-byte Folded Spill
.LBB205_280:                            ;   in Loop: Header=BB205_13 Depth=1
	s_or_b64 exec, exec, s[44:45]
.LBB205_281:                            ;   in Loop: Header=BB205_13 Depth=1
	s_or_b64 exec, exec, s[42:43]
.LBB205_282:                            ;   in Loop: Header=BB205_13 Depth=1
	s_or_b64 exec, exec, s[40:41]
	global_load_ushort v2, v[41:42], off offset:2568
	s_waitcnt vmcnt(0)
	v_and_b32_e32 v1, 0xffff, v2
	v_cmp_ne_u16_sdwa s[42:43], v2, v49 src0_sel:BYTE_0 src1_sel:DWORD
	v_mov_b32_e32 v2, 0
	v_mov_b32_e32 v3, 0
	buffer_store_dword v2, off, s[56:59], 0 offset:396 ; 4-byte Folded Spill
	s_nop 0
	buffer_store_dword v3, off, s[56:59], 0 offset:400 ; 4-byte Folded Spill
	v_mov_b32_e32 v2, 0
	v_mov_b32_e32 v3, 0
	buffer_store_dword v2, off, s[56:59], 0 offset:388 ; 4-byte Folded Spill
	s_nop 0
	buffer_store_dword v3, off, s[56:59], 0 offset:392 ; 4-byte Folded Spill
	s_and_saveexec_b64 s[40:41], s[42:43]
	s_cbranch_execz .LBB205_288
; %bb.283:                              ;   in Loop: Header=BB205_13 Depth=1
	v_bfrev_b32_e32 v2, 1
	v_mov_b32_e32 v3, 0
	v_cmp_ne_u16_sdwa s[44:45], v1, s52 src0_sel:BYTE_0 src1_sel:DWORD
	buffer_store_dword v2, off, s[56:59], 0 offset:388 ; 4-byte Folded Spill
	s_nop 0
	buffer_store_dword v3, off, s[56:59], 0 offset:392 ; 4-byte Folded Spill
	s_and_saveexec_b64 s[42:43], s[44:45]
	s_cbranch_execz .LBB205_287
; %bb.284:                              ;   in Loop: Header=BB205_13 Depth=1
	v_and_b32_e32 v2, 0x7f, v1
	v_mov_b32_e32 v3, 0x7f800001
	v_mov_b32_e32 v4, 0
	v_cmp_ne_u32_e32 vcc, s53, v2
	buffer_store_dword v3, off, s[56:59], 0 offset:388 ; 4-byte Folded Spill
	s_nop 0
	buffer_store_dword v4, off, s[56:59], 0 offset:392 ; 4-byte Folded Spill
	s_and_saveexec_b64 s[44:45], vcc
	s_cbranch_execz .LBB205_286
; %bb.285:                              ;   in Loop: Header=BB205_13 Depth=1
	v_and_b32_e32 v4, 7, v1
	v_lshrrev_b32_e32 v5, 3, v2
	v_cmp_gt_u32_e32 vcc, 8, v2
	v_ffbh_u32_e32 v2, v4
	v_min_u32_e32 v6, 32, v2
	v_subrev_u32_e32 v2, 28, v6
	v_lshlrev_b64 v[2:3], v2, v[1:2]
	v_sub_u32_e32 v3, 29, v6
	v_and_b32_e32 v2, 7, v2
	v_cndmask_b32_e32 v3, v5, v3, vcc
	v_cndmask_b32_e32 v2, v4, v2, vcc
	v_bfrev_b32_e32 v0, 60
	v_lshlrev_b32_e32 v2, 20, v2
	v_and_b32_sdwa v4, sext(v1), s54 dst_sel:DWORD dst_unused:UNUSED_PAD src0_sel:BYTE_0 src1_sel:DWORD
	v_lshl_add_u32 v3, v3, 23, v0
	v_or3_b32 v2, v4, v3, v2
	v_mov_b32_e32 v3, v49
	buffer_store_dword v2, off, s[56:59], 0 offset:388 ; 4-byte Folded Spill
	s_nop 0
	buffer_store_dword v3, off, s[56:59], 0 offset:392 ; 4-byte Folded Spill
.LBB205_286:                            ;   in Loop: Header=BB205_13 Depth=1
	s_or_b64 exec, exec, s[44:45]
.LBB205_287:                            ;   in Loop: Header=BB205_13 Depth=1
	s_or_b64 exec, exec, s[42:43]
.LBB205_288:                            ;   in Loop: Header=BB205_13 Depth=1
	s_or_b64 exec, exec, s[40:41]
	v_cmp_ne_u16_sdwa s[42:43], v1, v49 src0_sel:BYTE_1 src1_sel:DWORD
	s_and_saveexec_b64 s[40:41], s[42:43]
	s_cbranch_execz .LBB205_294
; %bb.289:                              ;   in Loop: Header=BB205_13 Depth=1
	v_cmp_ne_u16_sdwa s[44:45], v1, s52 src0_sel:BYTE_1 src1_sel:DWORD
	buffer_store_dword v49, off, s[56:59], 0 offset:396 ; 4-byte Folded Spill
	s_nop 0
	buffer_store_dword v50, off, s[56:59], 0 offset:400 ; 4-byte Folded Spill
	s_and_saveexec_b64 s[42:43], s[44:45]
	s_cbranch_execz .LBB205_293
; %bb.290:                              ;   in Loop: Header=BB205_13 Depth=1
	buffer_load_dword v3, off, s[56:59], 0  ; 4-byte Folded Reload
	buffer_load_dword v4, off, s[56:59], 0 offset:4 ; 4-byte Folded Reload
	v_and_b32_sdwa v2, v1, s53 dst_sel:DWORD dst_unused:UNUSED_PAD src0_sel:BYTE_1 src1_sel:DWORD
	v_cmp_ne_u32_e32 vcc, s53, v2
	s_waitcnt vmcnt(1)
	v_mov_b32_e32 v3, v49
	s_waitcnt vmcnt(0)
	v_mov_b32_e32 v5, v4
	buffer_store_dword v4, off, s[56:59], 0 ; 4-byte Folded Spill
	s_nop 0
	buffer_store_dword v5, off, s[56:59], 0 offset:4 ; 4-byte Folded Spill
	buffer_store_dword v3, off, s[56:59], 0 offset:396 ; 4-byte Folded Spill
	s_nop 0
	buffer_store_dword v4, off, s[56:59], 0 offset:400 ; 4-byte Folded Spill
	s_and_saveexec_b64 s[44:45], vcc
	s_cbranch_execz .LBB205_292
; %bb.291:                              ;   in Loop: Header=BB205_13 Depth=1
	v_mov_b32_e32 v0, 7
	v_and_b32_sdwa v3, v1, v0 dst_sel:DWORD dst_unused:UNUSED_PAD src0_sel:BYTE_1 src1_sel:DWORD
	v_lshrrev_b32_e32 v6, 3, v2
	v_cmp_gt_u32_e32 vcc, 8, v2
	v_ffbh_u32_e32 v2, v3
	v_min_u32_e32 v2, 32, v2
	v_mov_b32_e32 v4, v49
	v_subrev_u32_e32 v5, 28, v2
	v_lshlrev_b64 v[4:5], v5, v[3:4]
	v_sub_u32_e32 v2, 29, v2
	v_and_b32_e32 v4, 7, v4
	v_cndmask_b32_e32 v2, v6, v2, vcc
	v_bfrev_b32_e32 v0, 60
	v_cndmask_b32_e32 v3, v3, v4, vcc
	v_lshlrev_b32_e32 v1, 16, v1
	v_lshl_add_u32 v2, v2, 23, v0
	v_and_or_b32 v1, v1, s54, v2
	v_lshlrev_b32_e32 v2, 20, v3
	v_or_b32_e32 v1, v1, v2
	v_mov_b32_e32 v0, v49
	buffer_store_dword v0, off, s[56:59], 0 offset:396 ; 4-byte Folded Spill
	s_nop 0
	buffer_store_dword v1, off, s[56:59], 0 offset:400 ; 4-byte Folded Spill
.LBB205_292:                            ;   in Loop: Header=BB205_13 Depth=1
	s_or_b64 exec, exec, s[44:45]
.LBB205_293:                            ;   in Loop: Header=BB205_13 Depth=1
	s_or_b64 exec, exec, s[42:43]
.LBB205_294:                            ;   in Loop: Header=BB205_13 Depth=1
	s_or_b64 exec, exec, s[40:41]
	global_load_ushort v2, v[41:42], off offset:2572
	s_waitcnt vmcnt(0)
	v_and_b32_e32 v1, 0xffff, v2
	v_cmp_ne_u16_sdwa s[42:43], v2, v49 src0_sel:BYTE_0 src1_sel:DWORD
	v_mov_b32_e32 v2, 0
	v_mov_b32_e32 v3, 0
	buffer_store_dword v2, off, s[56:59], 0 offset:412 ; 4-byte Folded Spill
	s_nop 0
	buffer_store_dword v3, off, s[56:59], 0 offset:416 ; 4-byte Folded Spill
	v_mov_b32_e32 v2, 0
	v_mov_b32_e32 v3, 0
	buffer_store_dword v2, off, s[56:59], 0 offset:404 ; 4-byte Folded Spill
	s_nop 0
	buffer_store_dword v3, off, s[56:59], 0 offset:408 ; 4-byte Folded Spill
	s_and_saveexec_b64 s[40:41], s[42:43]
	s_cbranch_execz .LBB205_300
; %bb.295:                              ;   in Loop: Header=BB205_13 Depth=1
	v_bfrev_b32_e32 v2, 1
	v_mov_b32_e32 v3, 0
	v_cmp_ne_u16_sdwa s[44:45], v1, s52 src0_sel:BYTE_0 src1_sel:DWORD
	buffer_store_dword v2, off, s[56:59], 0 offset:404 ; 4-byte Folded Spill
	s_nop 0
	buffer_store_dword v3, off, s[56:59], 0 offset:408 ; 4-byte Folded Spill
	s_and_saveexec_b64 s[42:43], s[44:45]
	s_cbranch_execz .LBB205_299
; %bb.296:                              ;   in Loop: Header=BB205_13 Depth=1
	v_and_b32_e32 v2, 0x7f, v1
	v_mov_b32_e32 v3, 0x7f800001
	v_mov_b32_e32 v4, 0
	v_cmp_ne_u32_e32 vcc, s53, v2
	buffer_store_dword v3, off, s[56:59], 0 offset:404 ; 4-byte Folded Spill
	s_nop 0
	buffer_store_dword v4, off, s[56:59], 0 offset:408 ; 4-byte Folded Spill
	s_and_saveexec_b64 s[44:45], vcc
	s_cbranch_execz .LBB205_298
; %bb.297:                              ;   in Loop: Header=BB205_13 Depth=1
	v_and_b32_e32 v4, 7, v1
	v_lshrrev_b32_e32 v5, 3, v2
	v_cmp_gt_u32_e32 vcc, 8, v2
	v_ffbh_u32_e32 v2, v4
	v_min_u32_e32 v6, 32, v2
	v_subrev_u32_e32 v2, 28, v6
	v_lshlrev_b64 v[2:3], v2, v[1:2]
	v_sub_u32_e32 v3, 29, v6
	v_and_b32_e32 v2, 7, v2
	v_cndmask_b32_e32 v3, v5, v3, vcc
	v_cndmask_b32_e32 v2, v4, v2, vcc
	v_bfrev_b32_e32 v0, 60
	v_lshlrev_b32_e32 v2, 20, v2
	v_and_b32_sdwa v4, sext(v1), s54 dst_sel:DWORD dst_unused:UNUSED_PAD src0_sel:BYTE_0 src1_sel:DWORD
	v_lshl_add_u32 v3, v3, 23, v0
	v_or3_b32 v2, v4, v3, v2
	v_mov_b32_e32 v3, v49
	buffer_store_dword v2, off, s[56:59], 0 offset:404 ; 4-byte Folded Spill
	s_nop 0
	buffer_store_dword v3, off, s[56:59], 0 offset:408 ; 4-byte Folded Spill
.LBB205_298:                            ;   in Loop: Header=BB205_13 Depth=1
	s_or_b64 exec, exec, s[44:45]
.LBB205_299:                            ;   in Loop: Header=BB205_13 Depth=1
	s_or_b64 exec, exec, s[42:43]
.LBB205_300:                            ;   in Loop: Header=BB205_13 Depth=1
	s_or_b64 exec, exec, s[40:41]
	v_cmp_ne_u16_sdwa s[42:43], v1, v49 src0_sel:BYTE_1 src1_sel:DWORD
	s_and_saveexec_b64 s[40:41], s[42:43]
	s_cbranch_execz .LBB205_306
; %bb.301:                              ;   in Loop: Header=BB205_13 Depth=1
	v_cmp_ne_u16_sdwa s[44:45], v1, s52 src0_sel:BYTE_1 src1_sel:DWORD
	buffer_store_dword v49, off, s[56:59], 0 offset:412 ; 4-byte Folded Spill
	s_nop 0
	buffer_store_dword v50, off, s[56:59], 0 offset:416 ; 4-byte Folded Spill
	s_and_saveexec_b64 s[42:43], s[44:45]
	s_cbranch_execz .LBB205_305
; %bb.302:                              ;   in Loop: Header=BB205_13 Depth=1
	buffer_load_dword v3, off, s[56:59], 0  ; 4-byte Folded Reload
	buffer_load_dword v4, off, s[56:59], 0 offset:4 ; 4-byte Folded Reload
	v_and_b32_sdwa v2, v1, s53 dst_sel:DWORD dst_unused:UNUSED_PAD src0_sel:BYTE_1 src1_sel:DWORD
	v_cmp_ne_u32_e32 vcc, s53, v2
	s_waitcnt vmcnt(1)
	v_mov_b32_e32 v3, v49
	s_waitcnt vmcnt(0)
	v_mov_b32_e32 v5, v4
	buffer_store_dword v4, off, s[56:59], 0 ; 4-byte Folded Spill
	s_nop 0
	buffer_store_dword v5, off, s[56:59], 0 offset:4 ; 4-byte Folded Spill
	buffer_store_dword v3, off, s[56:59], 0 offset:412 ; 4-byte Folded Spill
	s_nop 0
	buffer_store_dword v4, off, s[56:59], 0 offset:416 ; 4-byte Folded Spill
	s_and_saveexec_b64 s[44:45], vcc
	s_cbranch_execz .LBB205_304
; %bb.303:                              ;   in Loop: Header=BB205_13 Depth=1
	v_mov_b32_e32 v0, 7
	v_and_b32_sdwa v3, v1, v0 dst_sel:DWORD dst_unused:UNUSED_PAD src0_sel:BYTE_1 src1_sel:DWORD
	v_lshrrev_b32_e32 v6, 3, v2
	v_cmp_gt_u32_e32 vcc, 8, v2
	v_ffbh_u32_e32 v2, v3
	v_min_u32_e32 v2, 32, v2
	v_mov_b32_e32 v4, v49
	v_subrev_u32_e32 v5, 28, v2
	v_lshlrev_b64 v[4:5], v5, v[3:4]
	v_sub_u32_e32 v2, 29, v2
	v_and_b32_e32 v4, 7, v4
	v_cndmask_b32_e32 v2, v6, v2, vcc
	v_bfrev_b32_e32 v0, 60
	v_cndmask_b32_e32 v3, v3, v4, vcc
	v_lshlrev_b32_e32 v1, 16, v1
	v_lshl_add_u32 v2, v2, 23, v0
	v_and_or_b32 v1, v1, s54, v2
	v_lshlrev_b32_e32 v2, 20, v3
	v_or_b32_e32 v1, v1, v2
	v_mov_b32_e32 v0, v49
	buffer_store_dword v0, off, s[56:59], 0 offset:412 ; 4-byte Folded Spill
	s_nop 0
	buffer_store_dword v1, off, s[56:59], 0 offset:416 ; 4-byte Folded Spill
.LBB205_304:                            ;   in Loop: Header=BB205_13 Depth=1
	s_or_b64 exec, exec, s[44:45]
.LBB205_305:                            ;   in Loop: Header=BB205_13 Depth=1
	s_or_b64 exec, exec, s[42:43]
.LBB205_306:                            ;   in Loop: Header=BB205_13 Depth=1
	s_or_b64 exec, exec, s[40:41]
	global_load_ushort v2, v[41:42], off offset:3072
	s_waitcnt vmcnt(0)
	v_and_b32_e32 v1, 0xffff, v2
	v_cmp_ne_u16_sdwa s[42:43], v2, v49 src0_sel:BYTE_0 src1_sel:DWORD
	v_mov_b32_e32 v2, 0
	v_mov_b32_e32 v3, 0
	buffer_store_dword v2, off, s[56:59], 0 offset:428 ; 4-byte Folded Spill
	s_nop 0
	buffer_store_dword v3, off, s[56:59], 0 offset:432 ; 4-byte Folded Spill
	v_mov_b32_e32 v2, 0
	v_mov_b32_e32 v3, 0
	buffer_store_dword v2, off, s[56:59], 0 offset:420 ; 4-byte Folded Spill
	s_nop 0
	buffer_store_dword v3, off, s[56:59], 0 offset:424 ; 4-byte Folded Spill
	s_and_saveexec_b64 s[40:41], s[42:43]
	s_cbranch_execz .LBB205_312
; %bb.307:                              ;   in Loop: Header=BB205_13 Depth=1
	v_bfrev_b32_e32 v2, 1
	v_mov_b32_e32 v3, 0
	v_cmp_ne_u16_sdwa s[44:45], v1, s52 src0_sel:BYTE_0 src1_sel:DWORD
	buffer_store_dword v2, off, s[56:59], 0 offset:420 ; 4-byte Folded Spill
	s_nop 0
	buffer_store_dword v3, off, s[56:59], 0 offset:424 ; 4-byte Folded Spill
	s_and_saveexec_b64 s[42:43], s[44:45]
	s_cbranch_execz .LBB205_311
; %bb.308:                              ;   in Loop: Header=BB205_13 Depth=1
	v_and_b32_e32 v2, 0x7f, v1
	v_mov_b32_e32 v3, 0x7f800001
	v_mov_b32_e32 v4, 0
	v_cmp_ne_u32_e32 vcc, s53, v2
	buffer_store_dword v3, off, s[56:59], 0 offset:420 ; 4-byte Folded Spill
	s_nop 0
	buffer_store_dword v4, off, s[56:59], 0 offset:424 ; 4-byte Folded Spill
	s_and_saveexec_b64 s[44:45], vcc
	s_cbranch_execz .LBB205_310
; %bb.309:                              ;   in Loop: Header=BB205_13 Depth=1
	v_and_b32_e32 v4, 7, v1
	v_lshrrev_b32_e32 v5, 3, v2
	v_cmp_gt_u32_e32 vcc, 8, v2
	v_ffbh_u32_e32 v2, v4
	v_min_u32_e32 v6, 32, v2
	v_subrev_u32_e32 v2, 28, v6
	v_lshlrev_b64 v[2:3], v2, v[1:2]
	v_sub_u32_e32 v3, 29, v6
	v_and_b32_e32 v2, 7, v2
	v_cndmask_b32_e32 v3, v5, v3, vcc
	v_cndmask_b32_e32 v2, v4, v2, vcc
	v_bfrev_b32_e32 v0, 60
	v_lshlrev_b32_e32 v2, 20, v2
	v_and_b32_sdwa v4, sext(v1), s54 dst_sel:DWORD dst_unused:UNUSED_PAD src0_sel:BYTE_0 src1_sel:DWORD
	v_lshl_add_u32 v3, v3, 23, v0
	v_or3_b32 v2, v4, v3, v2
	v_mov_b32_e32 v3, v49
	buffer_store_dword v2, off, s[56:59], 0 offset:420 ; 4-byte Folded Spill
	s_nop 0
	buffer_store_dword v3, off, s[56:59], 0 offset:424 ; 4-byte Folded Spill
.LBB205_310:                            ;   in Loop: Header=BB205_13 Depth=1
	s_or_b64 exec, exec, s[44:45]
.LBB205_311:                            ;   in Loop: Header=BB205_13 Depth=1
	s_or_b64 exec, exec, s[42:43]
.LBB205_312:                            ;   in Loop: Header=BB205_13 Depth=1
	s_or_b64 exec, exec, s[40:41]
	v_cmp_ne_u16_sdwa s[42:43], v1, v49 src0_sel:BYTE_1 src1_sel:DWORD
	s_and_saveexec_b64 s[40:41], s[42:43]
	s_cbranch_execz .LBB205_318
; %bb.313:                              ;   in Loop: Header=BB205_13 Depth=1
	v_cmp_ne_u16_sdwa s[44:45], v1, s52 src0_sel:BYTE_1 src1_sel:DWORD
	buffer_store_dword v49, off, s[56:59], 0 offset:428 ; 4-byte Folded Spill
	s_nop 0
	buffer_store_dword v50, off, s[56:59], 0 offset:432 ; 4-byte Folded Spill
	s_and_saveexec_b64 s[42:43], s[44:45]
	s_cbranch_execz .LBB205_317
; %bb.314:                              ;   in Loop: Header=BB205_13 Depth=1
	buffer_load_dword v3, off, s[56:59], 0  ; 4-byte Folded Reload
	buffer_load_dword v4, off, s[56:59], 0 offset:4 ; 4-byte Folded Reload
	v_and_b32_sdwa v2, v1, s53 dst_sel:DWORD dst_unused:UNUSED_PAD src0_sel:BYTE_1 src1_sel:DWORD
	v_cmp_ne_u32_e32 vcc, s53, v2
	s_waitcnt vmcnt(1)
	v_mov_b32_e32 v3, v49
	s_waitcnt vmcnt(0)
	v_mov_b32_e32 v5, v4
	buffer_store_dword v4, off, s[56:59], 0 ; 4-byte Folded Spill
	s_nop 0
	buffer_store_dword v5, off, s[56:59], 0 offset:4 ; 4-byte Folded Spill
	buffer_store_dword v3, off, s[56:59], 0 offset:428 ; 4-byte Folded Spill
	s_nop 0
	buffer_store_dword v4, off, s[56:59], 0 offset:432 ; 4-byte Folded Spill
	s_and_saveexec_b64 s[44:45], vcc
	s_cbranch_execz .LBB205_316
; %bb.315:                              ;   in Loop: Header=BB205_13 Depth=1
	v_mov_b32_e32 v0, 7
	v_and_b32_sdwa v3, v1, v0 dst_sel:DWORD dst_unused:UNUSED_PAD src0_sel:BYTE_1 src1_sel:DWORD
	v_lshrrev_b32_e32 v6, 3, v2
	v_cmp_gt_u32_e32 vcc, 8, v2
	v_ffbh_u32_e32 v2, v3
	v_min_u32_e32 v2, 32, v2
	v_mov_b32_e32 v4, v49
	v_subrev_u32_e32 v5, 28, v2
	v_lshlrev_b64 v[4:5], v5, v[3:4]
	v_sub_u32_e32 v2, 29, v2
	v_and_b32_e32 v4, 7, v4
	v_cndmask_b32_e32 v2, v6, v2, vcc
	v_bfrev_b32_e32 v0, 60
	v_cndmask_b32_e32 v3, v3, v4, vcc
	v_lshlrev_b32_e32 v1, 16, v1
	v_lshl_add_u32 v2, v2, 23, v0
	v_and_or_b32 v1, v1, s54, v2
	v_lshlrev_b32_e32 v2, 20, v3
	v_or_b32_e32 v1, v1, v2
	v_mov_b32_e32 v0, v49
	buffer_store_dword v0, off, s[56:59], 0 offset:428 ; 4-byte Folded Spill
	s_nop 0
	buffer_store_dword v1, off, s[56:59], 0 offset:432 ; 4-byte Folded Spill
.LBB205_316:                            ;   in Loop: Header=BB205_13 Depth=1
	s_or_b64 exec, exec, s[44:45]
.LBB205_317:                            ;   in Loop: Header=BB205_13 Depth=1
	s_or_b64 exec, exec, s[42:43]
.LBB205_318:                            ;   in Loop: Header=BB205_13 Depth=1
	s_or_b64 exec, exec, s[40:41]
	global_load_ushort v2, v[41:42], off offset:3076
	s_waitcnt vmcnt(0)
	v_and_b32_e32 v1, 0xffff, v2
	v_cmp_ne_u16_sdwa s[42:43], v2, v49 src0_sel:BYTE_0 src1_sel:DWORD
	v_mov_b32_e32 v2, 0
	v_mov_b32_e32 v3, 0
	buffer_store_dword v2, off, s[56:59], 0 offset:444 ; 4-byte Folded Spill
	s_nop 0
	buffer_store_dword v3, off, s[56:59], 0 offset:448 ; 4-byte Folded Spill
	v_mov_b32_e32 v2, 0
	v_mov_b32_e32 v3, 0
	buffer_store_dword v2, off, s[56:59], 0 offset:436 ; 4-byte Folded Spill
	s_nop 0
	buffer_store_dword v3, off, s[56:59], 0 offset:440 ; 4-byte Folded Spill
	s_and_saveexec_b64 s[40:41], s[42:43]
	s_cbranch_execz .LBB205_324
; %bb.319:                              ;   in Loop: Header=BB205_13 Depth=1
	v_bfrev_b32_e32 v2, 1
	v_mov_b32_e32 v3, 0
	v_cmp_ne_u16_sdwa s[44:45], v1, s52 src0_sel:BYTE_0 src1_sel:DWORD
	buffer_store_dword v2, off, s[56:59], 0 offset:436 ; 4-byte Folded Spill
	s_nop 0
	buffer_store_dword v3, off, s[56:59], 0 offset:440 ; 4-byte Folded Spill
	s_and_saveexec_b64 s[42:43], s[44:45]
	s_cbranch_execz .LBB205_323
; %bb.320:                              ;   in Loop: Header=BB205_13 Depth=1
	v_and_b32_e32 v2, 0x7f, v1
	v_mov_b32_e32 v3, 0x7f800001
	v_mov_b32_e32 v4, 0
	v_cmp_ne_u32_e32 vcc, s53, v2
	buffer_store_dword v3, off, s[56:59], 0 offset:436 ; 4-byte Folded Spill
	s_nop 0
	buffer_store_dword v4, off, s[56:59], 0 offset:440 ; 4-byte Folded Spill
	s_and_saveexec_b64 s[44:45], vcc
	s_cbranch_execz .LBB205_322
; %bb.321:                              ;   in Loop: Header=BB205_13 Depth=1
	v_and_b32_e32 v4, 7, v1
	v_lshrrev_b32_e32 v5, 3, v2
	v_cmp_gt_u32_e32 vcc, 8, v2
	v_ffbh_u32_e32 v2, v4
	v_min_u32_e32 v6, 32, v2
	v_subrev_u32_e32 v2, 28, v6
	v_lshlrev_b64 v[2:3], v2, v[1:2]
	v_sub_u32_e32 v3, 29, v6
	v_and_b32_e32 v2, 7, v2
	v_cndmask_b32_e32 v3, v5, v3, vcc
	v_cndmask_b32_e32 v2, v4, v2, vcc
	v_bfrev_b32_e32 v0, 60
	v_lshlrev_b32_e32 v2, 20, v2
	v_and_b32_sdwa v4, sext(v1), s54 dst_sel:DWORD dst_unused:UNUSED_PAD src0_sel:BYTE_0 src1_sel:DWORD
	v_lshl_add_u32 v3, v3, 23, v0
	v_or3_b32 v2, v4, v3, v2
	v_mov_b32_e32 v3, v49
	buffer_store_dword v2, off, s[56:59], 0 offset:436 ; 4-byte Folded Spill
	s_nop 0
	buffer_store_dword v3, off, s[56:59], 0 offset:440 ; 4-byte Folded Spill
.LBB205_322:                            ;   in Loop: Header=BB205_13 Depth=1
	s_or_b64 exec, exec, s[44:45]
.LBB205_323:                            ;   in Loop: Header=BB205_13 Depth=1
	s_or_b64 exec, exec, s[42:43]
.LBB205_324:                            ;   in Loop: Header=BB205_13 Depth=1
	s_or_b64 exec, exec, s[40:41]
	v_cmp_ne_u16_sdwa s[42:43], v1, v49 src0_sel:BYTE_1 src1_sel:DWORD
	s_and_saveexec_b64 s[40:41], s[42:43]
	s_cbranch_execz .LBB205_330
; %bb.325:                              ;   in Loop: Header=BB205_13 Depth=1
	v_cmp_ne_u16_sdwa s[44:45], v1, s52 src0_sel:BYTE_1 src1_sel:DWORD
	buffer_store_dword v49, off, s[56:59], 0 offset:444 ; 4-byte Folded Spill
	s_nop 0
	buffer_store_dword v50, off, s[56:59], 0 offset:448 ; 4-byte Folded Spill
	s_and_saveexec_b64 s[42:43], s[44:45]
	s_cbranch_execz .LBB205_329
; %bb.326:                              ;   in Loop: Header=BB205_13 Depth=1
	buffer_load_dword v3, off, s[56:59], 0  ; 4-byte Folded Reload
	buffer_load_dword v4, off, s[56:59], 0 offset:4 ; 4-byte Folded Reload
	v_and_b32_sdwa v2, v1, s53 dst_sel:DWORD dst_unused:UNUSED_PAD src0_sel:BYTE_1 src1_sel:DWORD
	v_cmp_ne_u32_e32 vcc, s53, v2
	s_waitcnt vmcnt(1)
	v_mov_b32_e32 v3, v49
	s_waitcnt vmcnt(0)
	v_mov_b32_e32 v5, v4
	buffer_store_dword v4, off, s[56:59], 0 ; 4-byte Folded Spill
	s_nop 0
	buffer_store_dword v5, off, s[56:59], 0 offset:4 ; 4-byte Folded Spill
	buffer_store_dword v3, off, s[56:59], 0 offset:444 ; 4-byte Folded Spill
	s_nop 0
	buffer_store_dword v4, off, s[56:59], 0 offset:448 ; 4-byte Folded Spill
	s_and_saveexec_b64 s[44:45], vcc
	s_cbranch_execz .LBB205_328
; %bb.327:                              ;   in Loop: Header=BB205_13 Depth=1
	v_mov_b32_e32 v0, 7
	v_and_b32_sdwa v3, v1, v0 dst_sel:DWORD dst_unused:UNUSED_PAD src0_sel:BYTE_1 src1_sel:DWORD
	v_lshrrev_b32_e32 v6, 3, v2
	v_cmp_gt_u32_e32 vcc, 8, v2
	v_ffbh_u32_e32 v2, v3
	v_min_u32_e32 v2, 32, v2
	v_mov_b32_e32 v4, v49
	v_subrev_u32_e32 v5, 28, v2
	v_lshlrev_b64 v[4:5], v5, v[3:4]
	v_sub_u32_e32 v2, 29, v2
	v_and_b32_e32 v4, 7, v4
	v_cndmask_b32_e32 v2, v6, v2, vcc
	v_bfrev_b32_e32 v0, 60
	v_cndmask_b32_e32 v3, v3, v4, vcc
	v_lshlrev_b32_e32 v1, 16, v1
	v_lshl_add_u32 v2, v2, 23, v0
	v_and_or_b32 v1, v1, s54, v2
	v_lshlrev_b32_e32 v2, 20, v3
	v_or_b32_e32 v1, v1, v2
	v_mov_b32_e32 v0, v49
	buffer_store_dword v0, off, s[56:59], 0 offset:444 ; 4-byte Folded Spill
	s_nop 0
	buffer_store_dword v1, off, s[56:59], 0 offset:448 ; 4-byte Folded Spill
.LBB205_328:                            ;   in Loop: Header=BB205_13 Depth=1
	s_or_b64 exec, exec, s[44:45]
.LBB205_329:                            ;   in Loop: Header=BB205_13 Depth=1
	s_or_b64 exec, exec, s[42:43]
.LBB205_330:                            ;   in Loop: Header=BB205_13 Depth=1
	s_or_b64 exec, exec, s[40:41]
	global_load_ushort v2, v[41:42], off offset:3080
	s_waitcnt vmcnt(0)
	v_and_b32_e32 v1, 0xffff, v2
	v_cmp_ne_u16_sdwa s[42:43], v2, v49 src0_sel:BYTE_0 src1_sel:DWORD
	v_mov_b32_e32 v2, 0
	v_mov_b32_e32 v3, 0
	buffer_store_dword v2, off, s[56:59], 0 offset:460 ; 4-byte Folded Spill
	s_nop 0
	buffer_store_dword v3, off, s[56:59], 0 offset:464 ; 4-byte Folded Spill
	v_mov_b32_e32 v2, 0
	v_mov_b32_e32 v3, 0
	buffer_store_dword v2, off, s[56:59], 0 offset:452 ; 4-byte Folded Spill
	s_nop 0
	buffer_store_dword v3, off, s[56:59], 0 offset:456 ; 4-byte Folded Spill
	s_and_saveexec_b64 s[40:41], s[42:43]
	s_cbranch_execz .LBB205_336
; %bb.331:                              ;   in Loop: Header=BB205_13 Depth=1
	v_bfrev_b32_e32 v2, 1
	v_mov_b32_e32 v3, 0
	v_cmp_ne_u16_sdwa s[44:45], v1, s52 src0_sel:BYTE_0 src1_sel:DWORD
	buffer_store_dword v2, off, s[56:59], 0 offset:452 ; 4-byte Folded Spill
	s_nop 0
	buffer_store_dword v3, off, s[56:59], 0 offset:456 ; 4-byte Folded Spill
	s_and_saveexec_b64 s[42:43], s[44:45]
	s_cbranch_execz .LBB205_335
; %bb.332:                              ;   in Loop: Header=BB205_13 Depth=1
	v_and_b32_e32 v2, 0x7f, v1
	v_mov_b32_e32 v3, 0x7f800001
	v_mov_b32_e32 v4, 0
	v_cmp_ne_u32_e32 vcc, s53, v2
	buffer_store_dword v3, off, s[56:59], 0 offset:452 ; 4-byte Folded Spill
	s_nop 0
	buffer_store_dword v4, off, s[56:59], 0 offset:456 ; 4-byte Folded Spill
	s_and_saveexec_b64 s[44:45], vcc
	s_cbranch_execz .LBB205_334
; %bb.333:                              ;   in Loop: Header=BB205_13 Depth=1
	v_and_b32_e32 v4, 7, v1
	v_lshrrev_b32_e32 v5, 3, v2
	v_cmp_gt_u32_e32 vcc, 8, v2
	v_ffbh_u32_e32 v2, v4
	v_min_u32_e32 v6, 32, v2
	v_subrev_u32_e32 v2, 28, v6
	v_lshlrev_b64 v[2:3], v2, v[1:2]
	v_sub_u32_e32 v3, 29, v6
	v_and_b32_e32 v2, 7, v2
	v_cndmask_b32_e32 v3, v5, v3, vcc
	v_cndmask_b32_e32 v2, v4, v2, vcc
	v_bfrev_b32_e32 v0, 60
	v_lshlrev_b32_e32 v2, 20, v2
	v_and_b32_sdwa v4, sext(v1), s54 dst_sel:DWORD dst_unused:UNUSED_PAD src0_sel:BYTE_0 src1_sel:DWORD
	v_lshl_add_u32 v3, v3, 23, v0
	v_or3_b32 v2, v4, v3, v2
	v_mov_b32_e32 v3, v49
	buffer_store_dword v2, off, s[56:59], 0 offset:452 ; 4-byte Folded Spill
	s_nop 0
	buffer_store_dword v3, off, s[56:59], 0 offset:456 ; 4-byte Folded Spill
.LBB205_334:                            ;   in Loop: Header=BB205_13 Depth=1
	s_or_b64 exec, exec, s[44:45]
.LBB205_335:                            ;   in Loop: Header=BB205_13 Depth=1
	s_or_b64 exec, exec, s[42:43]
.LBB205_336:                            ;   in Loop: Header=BB205_13 Depth=1
	s_or_b64 exec, exec, s[40:41]
	v_cmp_ne_u16_sdwa s[42:43], v1, v49 src0_sel:BYTE_1 src1_sel:DWORD
	s_and_saveexec_b64 s[40:41], s[42:43]
	s_cbranch_execz .LBB205_342
; %bb.337:                              ;   in Loop: Header=BB205_13 Depth=1
	v_cmp_ne_u16_sdwa s[44:45], v1, s52 src0_sel:BYTE_1 src1_sel:DWORD
	buffer_store_dword v49, off, s[56:59], 0 offset:460 ; 4-byte Folded Spill
	s_nop 0
	buffer_store_dword v50, off, s[56:59], 0 offset:464 ; 4-byte Folded Spill
	s_and_saveexec_b64 s[42:43], s[44:45]
	s_cbranch_execz .LBB205_341
; %bb.338:                              ;   in Loop: Header=BB205_13 Depth=1
	buffer_load_dword v3, off, s[56:59], 0  ; 4-byte Folded Reload
	buffer_load_dword v4, off, s[56:59], 0 offset:4 ; 4-byte Folded Reload
	v_and_b32_sdwa v2, v1, s53 dst_sel:DWORD dst_unused:UNUSED_PAD src0_sel:BYTE_1 src1_sel:DWORD
	v_cmp_ne_u32_e32 vcc, s53, v2
	s_waitcnt vmcnt(1)
	v_mov_b32_e32 v3, v49
	s_waitcnt vmcnt(0)
	v_mov_b32_e32 v5, v4
	buffer_store_dword v4, off, s[56:59], 0 ; 4-byte Folded Spill
	s_nop 0
	buffer_store_dword v5, off, s[56:59], 0 offset:4 ; 4-byte Folded Spill
	buffer_store_dword v3, off, s[56:59], 0 offset:460 ; 4-byte Folded Spill
	s_nop 0
	buffer_store_dword v4, off, s[56:59], 0 offset:464 ; 4-byte Folded Spill
	s_and_saveexec_b64 s[44:45], vcc
	s_cbranch_execz .LBB205_340
; %bb.339:                              ;   in Loop: Header=BB205_13 Depth=1
	v_mov_b32_e32 v0, 7
	v_and_b32_sdwa v3, v1, v0 dst_sel:DWORD dst_unused:UNUSED_PAD src0_sel:BYTE_1 src1_sel:DWORD
	v_lshrrev_b32_e32 v6, 3, v2
	v_cmp_gt_u32_e32 vcc, 8, v2
	v_ffbh_u32_e32 v2, v3
	v_min_u32_e32 v2, 32, v2
	v_mov_b32_e32 v4, v49
	v_subrev_u32_e32 v5, 28, v2
	v_lshlrev_b64 v[4:5], v5, v[3:4]
	v_sub_u32_e32 v2, 29, v2
	v_and_b32_e32 v4, 7, v4
	v_cndmask_b32_e32 v2, v6, v2, vcc
	v_bfrev_b32_e32 v0, 60
	v_cndmask_b32_e32 v3, v3, v4, vcc
	v_lshlrev_b32_e32 v1, 16, v1
	v_lshl_add_u32 v2, v2, 23, v0
	v_and_or_b32 v1, v1, s54, v2
	v_lshlrev_b32_e32 v2, 20, v3
	v_or_b32_e32 v1, v1, v2
	v_mov_b32_e32 v0, v49
	buffer_store_dword v0, off, s[56:59], 0 offset:460 ; 4-byte Folded Spill
	s_nop 0
	buffer_store_dword v1, off, s[56:59], 0 offset:464 ; 4-byte Folded Spill
.LBB205_340:                            ;   in Loop: Header=BB205_13 Depth=1
	s_or_b64 exec, exec, s[44:45]
.LBB205_341:                            ;   in Loop: Header=BB205_13 Depth=1
	s_or_b64 exec, exec, s[42:43]
.LBB205_342:                            ;   in Loop: Header=BB205_13 Depth=1
	s_or_b64 exec, exec, s[40:41]
	global_load_ushort v2, v[41:42], off offset:3084
	s_waitcnt vmcnt(0)
	v_and_b32_e32 v1, 0xffff, v2
	v_cmp_ne_u16_sdwa s[42:43], v2, v49 src0_sel:BYTE_0 src1_sel:DWORD
	v_mov_b32_e32 v2, 0
	v_mov_b32_e32 v3, 0
	buffer_store_dword v2, off, s[56:59], 0 offset:476 ; 4-byte Folded Spill
	s_nop 0
	buffer_store_dword v3, off, s[56:59], 0 offset:480 ; 4-byte Folded Spill
	v_mov_b32_e32 v2, 0
	v_mov_b32_e32 v3, 0
	buffer_store_dword v2, off, s[56:59], 0 offset:468 ; 4-byte Folded Spill
	s_nop 0
	buffer_store_dword v3, off, s[56:59], 0 offset:472 ; 4-byte Folded Spill
	s_and_saveexec_b64 s[40:41], s[42:43]
	s_cbranch_execz .LBB205_348
; %bb.343:                              ;   in Loop: Header=BB205_13 Depth=1
	v_bfrev_b32_e32 v2, 1
	v_mov_b32_e32 v3, 0
	v_cmp_ne_u16_sdwa s[44:45], v1, s52 src0_sel:BYTE_0 src1_sel:DWORD
	buffer_store_dword v2, off, s[56:59], 0 offset:468 ; 4-byte Folded Spill
	s_nop 0
	buffer_store_dword v3, off, s[56:59], 0 offset:472 ; 4-byte Folded Spill
	s_and_saveexec_b64 s[42:43], s[44:45]
	s_cbranch_execz .LBB205_347
; %bb.344:                              ;   in Loop: Header=BB205_13 Depth=1
	v_and_b32_e32 v2, 0x7f, v1
	v_mov_b32_e32 v3, 0x7f800001
	v_mov_b32_e32 v4, 0
	v_cmp_ne_u32_e32 vcc, s53, v2
	buffer_store_dword v3, off, s[56:59], 0 offset:468 ; 4-byte Folded Spill
	s_nop 0
	buffer_store_dword v4, off, s[56:59], 0 offset:472 ; 4-byte Folded Spill
	s_and_saveexec_b64 s[44:45], vcc
	s_cbranch_execz .LBB205_346
; %bb.345:                              ;   in Loop: Header=BB205_13 Depth=1
	v_and_b32_e32 v4, 7, v1
	v_lshrrev_b32_e32 v5, 3, v2
	v_cmp_gt_u32_e32 vcc, 8, v2
	v_ffbh_u32_e32 v2, v4
	v_min_u32_e32 v6, 32, v2
	v_subrev_u32_e32 v2, 28, v6
	v_lshlrev_b64 v[2:3], v2, v[1:2]
	v_sub_u32_e32 v3, 29, v6
	v_and_b32_e32 v2, 7, v2
	v_cndmask_b32_e32 v3, v5, v3, vcc
	v_cndmask_b32_e32 v2, v4, v2, vcc
	v_bfrev_b32_e32 v0, 60
	v_lshlrev_b32_e32 v2, 20, v2
	v_and_b32_sdwa v4, sext(v1), s54 dst_sel:DWORD dst_unused:UNUSED_PAD src0_sel:BYTE_0 src1_sel:DWORD
	v_lshl_add_u32 v3, v3, 23, v0
	v_or3_b32 v2, v4, v3, v2
	v_mov_b32_e32 v3, v49
	buffer_store_dword v2, off, s[56:59], 0 offset:468 ; 4-byte Folded Spill
	s_nop 0
	buffer_store_dword v3, off, s[56:59], 0 offset:472 ; 4-byte Folded Spill
.LBB205_346:                            ;   in Loop: Header=BB205_13 Depth=1
	s_or_b64 exec, exec, s[44:45]
.LBB205_347:                            ;   in Loop: Header=BB205_13 Depth=1
	s_or_b64 exec, exec, s[42:43]
.LBB205_348:                            ;   in Loop: Header=BB205_13 Depth=1
	s_or_b64 exec, exec, s[40:41]
	v_cmp_ne_u16_sdwa s[42:43], v1, v49 src0_sel:BYTE_1 src1_sel:DWORD
	s_and_saveexec_b64 s[40:41], s[42:43]
	s_cbranch_execz .LBB205_354
; %bb.349:                              ;   in Loop: Header=BB205_13 Depth=1
	v_cmp_ne_u16_sdwa s[44:45], v1, s52 src0_sel:BYTE_1 src1_sel:DWORD
	buffer_store_dword v49, off, s[56:59], 0 offset:476 ; 4-byte Folded Spill
	s_nop 0
	buffer_store_dword v50, off, s[56:59], 0 offset:480 ; 4-byte Folded Spill
	s_and_saveexec_b64 s[42:43], s[44:45]
	s_cbranch_execz .LBB205_353
; %bb.350:                              ;   in Loop: Header=BB205_13 Depth=1
	buffer_load_dword v3, off, s[56:59], 0  ; 4-byte Folded Reload
	buffer_load_dword v4, off, s[56:59], 0 offset:4 ; 4-byte Folded Reload
	v_and_b32_sdwa v2, v1, s53 dst_sel:DWORD dst_unused:UNUSED_PAD src0_sel:BYTE_1 src1_sel:DWORD
	v_cmp_ne_u32_e32 vcc, s53, v2
	s_waitcnt vmcnt(1)
	v_mov_b32_e32 v3, v49
	s_waitcnt vmcnt(0)
	v_mov_b32_e32 v5, v4
	buffer_store_dword v4, off, s[56:59], 0 ; 4-byte Folded Spill
	s_nop 0
	buffer_store_dword v5, off, s[56:59], 0 offset:4 ; 4-byte Folded Spill
	buffer_store_dword v3, off, s[56:59], 0 offset:476 ; 4-byte Folded Spill
	s_nop 0
	buffer_store_dword v4, off, s[56:59], 0 offset:480 ; 4-byte Folded Spill
	s_and_saveexec_b64 s[44:45], vcc
	s_cbranch_execz .LBB205_352
; %bb.351:                              ;   in Loop: Header=BB205_13 Depth=1
	v_mov_b32_e32 v0, 7
	v_and_b32_sdwa v3, v1, v0 dst_sel:DWORD dst_unused:UNUSED_PAD src0_sel:BYTE_1 src1_sel:DWORD
	v_lshrrev_b32_e32 v6, 3, v2
	v_cmp_gt_u32_e32 vcc, 8, v2
	v_ffbh_u32_e32 v2, v3
	v_min_u32_e32 v2, 32, v2
	v_mov_b32_e32 v4, v49
	v_subrev_u32_e32 v5, 28, v2
	v_lshlrev_b64 v[4:5], v5, v[3:4]
	v_sub_u32_e32 v2, 29, v2
	v_and_b32_e32 v4, 7, v4
	v_cndmask_b32_e32 v2, v6, v2, vcc
	v_bfrev_b32_e32 v0, 60
	v_cndmask_b32_e32 v3, v3, v4, vcc
	v_lshlrev_b32_e32 v1, 16, v1
	v_lshl_add_u32 v2, v2, 23, v0
	v_and_or_b32 v1, v1, s54, v2
	v_lshlrev_b32_e32 v2, 20, v3
	v_or_b32_e32 v1, v1, v2
	v_mov_b32_e32 v0, v49
	buffer_store_dword v0, off, s[56:59], 0 offset:476 ; 4-byte Folded Spill
	s_nop 0
	buffer_store_dword v1, off, s[56:59], 0 offset:480 ; 4-byte Folded Spill
.LBB205_352:                            ;   in Loop: Header=BB205_13 Depth=1
	s_or_b64 exec, exec, s[44:45]
.LBB205_353:                            ;   in Loop: Header=BB205_13 Depth=1
	s_or_b64 exec, exec, s[42:43]
.LBB205_354:                            ;   in Loop: Header=BB205_13 Depth=1
	s_or_b64 exec, exec, s[40:41]
	global_load_ushort v2, v[41:42], off offset:3584
	s_waitcnt vmcnt(0)
	v_and_b32_e32 v1, 0xffff, v2
	v_cmp_ne_u16_sdwa s[42:43], v2, v49 src0_sel:BYTE_0 src1_sel:DWORD
	v_mov_b32_e32 v2, 0
	v_mov_b32_e32 v3, 0
	buffer_store_dword v2, off, s[56:59], 0 offset:492 ; 4-byte Folded Spill
	s_nop 0
	buffer_store_dword v3, off, s[56:59], 0 offset:496 ; 4-byte Folded Spill
	v_mov_b32_e32 v2, 0
	v_mov_b32_e32 v3, 0
	buffer_store_dword v2, off, s[56:59], 0 offset:484 ; 4-byte Folded Spill
	s_nop 0
	buffer_store_dword v3, off, s[56:59], 0 offset:488 ; 4-byte Folded Spill
	s_and_saveexec_b64 s[40:41], s[42:43]
	s_cbranch_execz .LBB205_360
; %bb.355:                              ;   in Loop: Header=BB205_13 Depth=1
	v_bfrev_b32_e32 v2, 1
	v_mov_b32_e32 v3, 0
	v_cmp_ne_u16_sdwa s[44:45], v1, s52 src0_sel:BYTE_0 src1_sel:DWORD
	buffer_store_dword v2, off, s[56:59], 0 offset:484 ; 4-byte Folded Spill
	s_nop 0
	buffer_store_dword v3, off, s[56:59], 0 offset:488 ; 4-byte Folded Spill
	s_and_saveexec_b64 s[42:43], s[44:45]
	s_cbranch_execz .LBB205_359
; %bb.356:                              ;   in Loop: Header=BB205_13 Depth=1
	v_and_b32_e32 v2, 0x7f, v1
	v_mov_b32_e32 v3, 0x7f800001
	v_mov_b32_e32 v4, 0
	v_cmp_ne_u32_e32 vcc, s53, v2
	buffer_store_dword v3, off, s[56:59], 0 offset:484 ; 4-byte Folded Spill
	s_nop 0
	buffer_store_dword v4, off, s[56:59], 0 offset:488 ; 4-byte Folded Spill
	s_and_saveexec_b64 s[44:45], vcc
	s_cbranch_execz .LBB205_358
; %bb.357:                              ;   in Loop: Header=BB205_13 Depth=1
	v_and_b32_e32 v4, 7, v1
	v_lshrrev_b32_e32 v5, 3, v2
	v_cmp_gt_u32_e32 vcc, 8, v2
	v_ffbh_u32_e32 v2, v4
	v_min_u32_e32 v6, 32, v2
	v_subrev_u32_e32 v2, 28, v6
	v_lshlrev_b64 v[2:3], v2, v[1:2]
	v_sub_u32_e32 v3, 29, v6
	v_and_b32_e32 v2, 7, v2
	v_cndmask_b32_e32 v3, v5, v3, vcc
	v_cndmask_b32_e32 v2, v4, v2, vcc
	v_bfrev_b32_e32 v0, 60
	v_lshlrev_b32_e32 v2, 20, v2
	v_and_b32_sdwa v4, sext(v1), s54 dst_sel:DWORD dst_unused:UNUSED_PAD src0_sel:BYTE_0 src1_sel:DWORD
	v_lshl_add_u32 v3, v3, 23, v0
	v_or3_b32 v2, v4, v3, v2
	v_mov_b32_e32 v3, v49
	buffer_store_dword v2, off, s[56:59], 0 offset:484 ; 4-byte Folded Spill
	s_nop 0
	buffer_store_dword v3, off, s[56:59], 0 offset:488 ; 4-byte Folded Spill
.LBB205_358:                            ;   in Loop: Header=BB205_13 Depth=1
	s_or_b64 exec, exec, s[44:45]
.LBB205_359:                            ;   in Loop: Header=BB205_13 Depth=1
	s_or_b64 exec, exec, s[42:43]
.LBB205_360:                            ;   in Loop: Header=BB205_13 Depth=1
	s_or_b64 exec, exec, s[40:41]
	v_cmp_ne_u16_sdwa s[42:43], v1, v49 src0_sel:BYTE_1 src1_sel:DWORD
	s_and_saveexec_b64 s[40:41], s[42:43]
	s_cbranch_execz .LBB205_366
; %bb.361:                              ;   in Loop: Header=BB205_13 Depth=1
	v_cmp_ne_u16_sdwa s[44:45], v1, s52 src0_sel:BYTE_1 src1_sel:DWORD
	buffer_store_dword v49, off, s[56:59], 0 offset:492 ; 4-byte Folded Spill
	s_nop 0
	buffer_store_dword v50, off, s[56:59], 0 offset:496 ; 4-byte Folded Spill
	s_and_saveexec_b64 s[42:43], s[44:45]
	s_cbranch_execz .LBB205_365
; %bb.362:                              ;   in Loop: Header=BB205_13 Depth=1
	buffer_load_dword v3, off, s[56:59], 0  ; 4-byte Folded Reload
	buffer_load_dword v4, off, s[56:59], 0 offset:4 ; 4-byte Folded Reload
	v_and_b32_sdwa v2, v1, s53 dst_sel:DWORD dst_unused:UNUSED_PAD src0_sel:BYTE_1 src1_sel:DWORD
	v_cmp_ne_u32_e32 vcc, s53, v2
	s_waitcnt vmcnt(1)
	v_mov_b32_e32 v3, v49
	s_waitcnt vmcnt(0)
	v_mov_b32_e32 v5, v4
	buffer_store_dword v4, off, s[56:59], 0 ; 4-byte Folded Spill
	s_nop 0
	buffer_store_dword v5, off, s[56:59], 0 offset:4 ; 4-byte Folded Spill
	buffer_store_dword v3, off, s[56:59], 0 offset:492 ; 4-byte Folded Spill
	s_nop 0
	buffer_store_dword v4, off, s[56:59], 0 offset:496 ; 4-byte Folded Spill
	s_and_saveexec_b64 s[44:45], vcc
	s_cbranch_execz .LBB205_364
; %bb.363:                              ;   in Loop: Header=BB205_13 Depth=1
	v_mov_b32_e32 v0, 7
	v_and_b32_sdwa v3, v1, v0 dst_sel:DWORD dst_unused:UNUSED_PAD src0_sel:BYTE_1 src1_sel:DWORD
	v_lshrrev_b32_e32 v6, 3, v2
	v_cmp_gt_u32_e32 vcc, 8, v2
	v_ffbh_u32_e32 v2, v3
	v_min_u32_e32 v2, 32, v2
	v_mov_b32_e32 v4, v49
	v_subrev_u32_e32 v5, 28, v2
	v_lshlrev_b64 v[4:5], v5, v[3:4]
	v_sub_u32_e32 v2, 29, v2
	v_and_b32_e32 v4, 7, v4
	v_cndmask_b32_e32 v2, v6, v2, vcc
	v_bfrev_b32_e32 v0, 60
	v_cndmask_b32_e32 v3, v3, v4, vcc
	v_lshlrev_b32_e32 v1, 16, v1
	v_lshl_add_u32 v2, v2, 23, v0
	v_and_or_b32 v1, v1, s54, v2
	v_lshlrev_b32_e32 v2, 20, v3
	v_or_b32_e32 v1, v1, v2
	v_mov_b32_e32 v0, v49
	buffer_store_dword v0, off, s[56:59], 0 offset:492 ; 4-byte Folded Spill
	s_nop 0
	buffer_store_dword v1, off, s[56:59], 0 offset:496 ; 4-byte Folded Spill
.LBB205_364:                            ;   in Loop: Header=BB205_13 Depth=1
	s_or_b64 exec, exec, s[44:45]
.LBB205_365:                            ;   in Loop: Header=BB205_13 Depth=1
	s_or_b64 exec, exec, s[42:43]
.LBB205_366:                            ;   in Loop: Header=BB205_13 Depth=1
	s_or_b64 exec, exec, s[40:41]
	global_load_ushort v2, v[41:42], off offset:3588
	s_waitcnt vmcnt(0)
	v_and_b32_e32 v1, 0xffff, v2
	v_cmp_ne_u16_sdwa s[42:43], v2, v49 src0_sel:BYTE_0 src1_sel:DWORD
	v_mov_b32_e32 v2, 0
	v_mov_b32_e32 v3, 0
	buffer_store_dword v2, off, s[56:59], 0 offset:508 ; 4-byte Folded Spill
	s_nop 0
	buffer_store_dword v3, off, s[56:59], 0 offset:512 ; 4-byte Folded Spill
	v_mov_b32_e32 v2, 0
	v_mov_b32_e32 v3, 0
	buffer_store_dword v2, off, s[56:59], 0 offset:500 ; 4-byte Folded Spill
	s_nop 0
	buffer_store_dword v3, off, s[56:59], 0 offset:504 ; 4-byte Folded Spill
	s_and_saveexec_b64 s[40:41], s[42:43]
	s_cbranch_execz .LBB205_372
; %bb.367:                              ;   in Loop: Header=BB205_13 Depth=1
	v_bfrev_b32_e32 v2, 1
	v_mov_b32_e32 v3, 0
	v_cmp_ne_u16_sdwa s[44:45], v1, s52 src0_sel:BYTE_0 src1_sel:DWORD
	buffer_store_dword v2, off, s[56:59], 0 offset:500 ; 4-byte Folded Spill
	s_nop 0
	buffer_store_dword v3, off, s[56:59], 0 offset:504 ; 4-byte Folded Spill
	s_and_saveexec_b64 s[42:43], s[44:45]
	s_cbranch_execz .LBB205_371
; %bb.368:                              ;   in Loop: Header=BB205_13 Depth=1
	v_and_b32_e32 v2, 0x7f, v1
	v_mov_b32_e32 v3, 0x7f800001
	v_mov_b32_e32 v4, 0
	v_cmp_ne_u32_e32 vcc, s53, v2
	buffer_store_dword v3, off, s[56:59], 0 offset:500 ; 4-byte Folded Spill
	s_nop 0
	buffer_store_dword v4, off, s[56:59], 0 offset:504 ; 4-byte Folded Spill
	s_and_saveexec_b64 s[44:45], vcc
	s_cbranch_execz .LBB205_370
; %bb.369:                              ;   in Loop: Header=BB205_13 Depth=1
	v_and_b32_e32 v4, 7, v1
	v_lshrrev_b32_e32 v5, 3, v2
	v_cmp_gt_u32_e32 vcc, 8, v2
	v_ffbh_u32_e32 v2, v4
	v_min_u32_e32 v6, 32, v2
	v_subrev_u32_e32 v2, 28, v6
	v_lshlrev_b64 v[2:3], v2, v[1:2]
	v_sub_u32_e32 v3, 29, v6
	v_and_b32_e32 v2, 7, v2
	v_cndmask_b32_e32 v3, v5, v3, vcc
	v_cndmask_b32_e32 v2, v4, v2, vcc
	v_bfrev_b32_e32 v0, 60
	v_lshlrev_b32_e32 v2, 20, v2
	v_and_b32_sdwa v4, sext(v1), s54 dst_sel:DWORD dst_unused:UNUSED_PAD src0_sel:BYTE_0 src1_sel:DWORD
	v_lshl_add_u32 v3, v3, 23, v0
	v_or3_b32 v2, v4, v3, v2
	v_mov_b32_e32 v3, v49
	buffer_store_dword v2, off, s[56:59], 0 offset:500 ; 4-byte Folded Spill
	s_nop 0
	buffer_store_dword v3, off, s[56:59], 0 offset:504 ; 4-byte Folded Spill
.LBB205_370:                            ;   in Loop: Header=BB205_13 Depth=1
	s_or_b64 exec, exec, s[44:45]
.LBB205_371:                            ;   in Loop: Header=BB205_13 Depth=1
	s_or_b64 exec, exec, s[42:43]
.LBB205_372:                            ;   in Loop: Header=BB205_13 Depth=1
	s_or_b64 exec, exec, s[40:41]
	v_cmp_ne_u16_sdwa s[42:43], v1, v49 src0_sel:BYTE_1 src1_sel:DWORD
	s_and_saveexec_b64 s[40:41], s[42:43]
	s_cbranch_execz .LBB205_378
; %bb.373:                              ;   in Loop: Header=BB205_13 Depth=1
	v_cmp_ne_u16_sdwa s[44:45], v1, s52 src0_sel:BYTE_1 src1_sel:DWORD
	buffer_store_dword v49, off, s[56:59], 0 offset:508 ; 4-byte Folded Spill
	s_nop 0
	buffer_store_dword v50, off, s[56:59], 0 offset:512 ; 4-byte Folded Spill
	s_and_saveexec_b64 s[42:43], s[44:45]
	s_cbranch_execz .LBB205_377
; %bb.374:                              ;   in Loop: Header=BB205_13 Depth=1
	buffer_load_dword v3, off, s[56:59], 0  ; 4-byte Folded Reload
	buffer_load_dword v4, off, s[56:59], 0 offset:4 ; 4-byte Folded Reload
	v_and_b32_sdwa v2, v1, s53 dst_sel:DWORD dst_unused:UNUSED_PAD src0_sel:BYTE_1 src1_sel:DWORD
	v_cmp_ne_u32_e32 vcc, s53, v2
	s_waitcnt vmcnt(1)
	v_mov_b32_e32 v3, v49
	s_waitcnt vmcnt(0)
	v_mov_b32_e32 v5, v4
	buffer_store_dword v4, off, s[56:59], 0 ; 4-byte Folded Spill
	s_nop 0
	buffer_store_dword v5, off, s[56:59], 0 offset:4 ; 4-byte Folded Spill
	buffer_store_dword v3, off, s[56:59], 0 offset:508 ; 4-byte Folded Spill
	s_nop 0
	buffer_store_dword v4, off, s[56:59], 0 offset:512 ; 4-byte Folded Spill
	s_and_saveexec_b64 s[44:45], vcc
	s_cbranch_execz .LBB205_376
; %bb.375:                              ;   in Loop: Header=BB205_13 Depth=1
	v_mov_b32_e32 v0, 7
	v_and_b32_sdwa v3, v1, v0 dst_sel:DWORD dst_unused:UNUSED_PAD src0_sel:BYTE_1 src1_sel:DWORD
	v_lshrrev_b32_e32 v6, 3, v2
	v_cmp_gt_u32_e32 vcc, 8, v2
	v_ffbh_u32_e32 v2, v3
	v_min_u32_e32 v2, 32, v2
	v_mov_b32_e32 v4, v49
	v_subrev_u32_e32 v5, 28, v2
	v_lshlrev_b64 v[4:5], v5, v[3:4]
	v_sub_u32_e32 v2, 29, v2
	v_and_b32_e32 v4, 7, v4
	v_cndmask_b32_e32 v2, v6, v2, vcc
	v_bfrev_b32_e32 v0, 60
	v_cndmask_b32_e32 v3, v3, v4, vcc
	v_lshlrev_b32_e32 v1, 16, v1
	v_lshl_add_u32 v2, v2, 23, v0
	v_and_or_b32 v1, v1, s54, v2
	v_lshlrev_b32_e32 v2, 20, v3
	v_or_b32_e32 v1, v1, v2
	v_mov_b32_e32 v0, v49
	buffer_store_dword v0, off, s[56:59], 0 offset:508 ; 4-byte Folded Spill
	s_nop 0
	buffer_store_dword v1, off, s[56:59], 0 offset:512 ; 4-byte Folded Spill
.LBB205_376:                            ;   in Loop: Header=BB205_13 Depth=1
	s_or_b64 exec, exec, s[44:45]
.LBB205_377:                            ;   in Loop: Header=BB205_13 Depth=1
	s_or_b64 exec, exec, s[42:43]
.LBB205_378:                            ;   in Loop: Header=BB205_13 Depth=1
	s_or_b64 exec, exec, s[40:41]
	global_load_ushort v2, v[41:42], off offset:3592
	s_waitcnt vmcnt(0)
	v_and_b32_e32 v1, 0xffff, v2
	v_cmp_ne_u16_sdwa s[42:43], v2, v49 src0_sel:BYTE_0 src1_sel:DWORD
	v_mov_b32_e32 v2, 0
	v_mov_b32_e32 v3, 0
	buffer_store_dword v2, off, s[56:59], 0 offset:524 ; 4-byte Folded Spill
	s_nop 0
	buffer_store_dword v3, off, s[56:59], 0 offset:528 ; 4-byte Folded Spill
	v_mov_b32_e32 v2, 0
	v_mov_b32_e32 v3, 0
	buffer_store_dword v2, off, s[56:59], 0 offset:516 ; 4-byte Folded Spill
	s_nop 0
	buffer_store_dword v3, off, s[56:59], 0 offset:520 ; 4-byte Folded Spill
	s_and_saveexec_b64 s[40:41], s[42:43]
	s_cbranch_execz .LBB205_384
; %bb.379:                              ;   in Loop: Header=BB205_13 Depth=1
	v_bfrev_b32_e32 v2, 1
	v_mov_b32_e32 v3, 0
	v_cmp_ne_u16_sdwa s[44:45], v1, s52 src0_sel:BYTE_0 src1_sel:DWORD
	buffer_store_dword v2, off, s[56:59], 0 offset:516 ; 4-byte Folded Spill
	s_nop 0
	buffer_store_dword v3, off, s[56:59], 0 offset:520 ; 4-byte Folded Spill
	s_and_saveexec_b64 s[42:43], s[44:45]
	s_cbranch_execz .LBB205_383
; %bb.380:                              ;   in Loop: Header=BB205_13 Depth=1
	v_and_b32_e32 v2, 0x7f, v1
	v_mov_b32_e32 v3, 0x7f800001
	v_mov_b32_e32 v4, 0
	v_cmp_ne_u32_e32 vcc, s53, v2
	buffer_store_dword v3, off, s[56:59], 0 offset:516 ; 4-byte Folded Spill
	s_nop 0
	buffer_store_dword v4, off, s[56:59], 0 offset:520 ; 4-byte Folded Spill
	s_and_saveexec_b64 s[44:45], vcc
	s_cbranch_execz .LBB205_382
; %bb.381:                              ;   in Loop: Header=BB205_13 Depth=1
	v_and_b32_e32 v4, 7, v1
	v_lshrrev_b32_e32 v5, 3, v2
	v_cmp_gt_u32_e32 vcc, 8, v2
	v_ffbh_u32_e32 v2, v4
	v_min_u32_e32 v6, 32, v2
	v_subrev_u32_e32 v2, 28, v6
	v_lshlrev_b64 v[2:3], v2, v[1:2]
	v_sub_u32_e32 v3, 29, v6
	v_and_b32_e32 v2, 7, v2
	v_cndmask_b32_e32 v3, v5, v3, vcc
	v_cndmask_b32_e32 v2, v4, v2, vcc
	v_bfrev_b32_e32 v0, 60
	v_lshlrev_b32_e32 v2, 20, v2
	v_and_b32_sdwa v4, sext(v1), s54 dst_sel:DWORD dst_unused:UNUSED_PAD src0_sel:BYTE_0 src1_sel:DWORD
	v_lshl_add_u32 v3, v3, 23, v0
	v_or3_b32 v2, v4, v3, v2
	v_mov_b32_e32 v3, v49
	buffer_store_dword v2, off, s[56:59], 0 offset:516 ; 4-byte Folded Spill
	s_nop 0
	buffer_store_dword v3, off, s[56:59], 0 offset:520 ; 4-byte Folded Spill
.LBB205_382:                            ;   in Loop: Header=BB205_13 Depth=1
	s_or_b64 exec, exec, s[44:45]
.LBB205_383:                            ;   in Loop: Header=BB205_13 Depth=1
	s_or_b64 exec, exec, s[42:43]
.LBB205_384:                            ;   in Loop: Header=BB205_13 Depth=1
	s_or_b64 exec, exec, s[40:41]
	v_cmp_ne_u16_sdwa s[42:43], v1, v49 src0_sel:BYTE_1 src1_sel:DWORD
	s_and_saveexec_b64 s[40:41], s[42:43]
	s_cbranch_execz .LBB205_390
; %bb.385:                              ;   in Loop: Header=BB205_13 Depth=1
	v_cmp_ne_u16_sdwa s[44:45], v1, s52 src0_sel:BYTE_1 src1_sel:DWORD
	buffer_store_dword v49, off, s[56:59], 0 offset:524 ; 4-byte Folded Spill
	s_nop 0
	buffer_store_dword v50, off, s[56:59], 0 offset:528 ; 4-byte Folded Spill
	s_and_saveexec_b64 s[42:43], s[44:45]
	s_cbranch_execz .LBB205_389
; %bb.386:                              ;   in Loop: Header=BB205_13 Depth=1
	buffer_load_dword v3, off, s[56:59], 0  ; 4-byte Folded Reload
	buffer_load_dword v4, off, s[56:59], 0 offset:4 ; 4-byte Folded Reload
	v_and_b32_sdwa v2, v1, s53 dst_sel:DWORD dst_unused:UNUSED_PAD src0_sel:BYTE_1 src1_sel:DWORD
	v_cmp_ne_u32_e32 vcc, s53, v2
	s_waitcnt vmcnt(1)
	v_mov_b32_e32 v3, v49
	s_waitcnt vmcnt(0)
	v_mov_b32_e32 v5, v4
	buffer_store_dword v4, off, s[56:59], 0 ; 4-byte Folded Spill
	s_nop 0
	buffer_store_dword v5, off, s[56:59], 0 offset:4 ; 4-byte Folded Spill
	buffer_store_dword v3, off, s[56:59], 0 offset:524 ; 4-byte Folded Spill
	s_nop 0
	buffer_store_dword v4, off, s[56:59], 0 offset:528 ; 4-byte Folded Spill
	s_and_saveexec_b64 s[44:45], vcc
	s_cbranch_execz .LBB205_388
; %bb.387:                              ;   in Loop: Header=BB205_13 Depth=1
	v_mov_b32_e32 v0, 7
	v_and_b32_sdwa v3, v1, v0 dst_sel:DWORD dst_unused:UNUSED_PAD src0_sel:BYTE_1 src1_sel:DWORD
	v_lshrrev_b32_e32 v6, 3, v2
	v_cmp_gt_u32_e32 vcc, 8, v2
	v_ffbh_u32_e32 v2, v3
	v_min_u32_e32 v2, 32, v2
	v_mov_b32_e32 v4, v49
	v_subrev_u32_e32 v5, 28, v2
	v_lshlrev_b64 v[4:5], v5, v[3:4]
	v_sub_u32_e32 v2, 29, v2
	v_and_b32_e32 v4, 7, v4
	v_cndmask_b32_e32 v2, v6, v2, vcc
	v_bfrev_b32_e32 v0, 60
	v_cndmask_b32_e32 v3, v3, v4, vcc
	v_lshlrev_b32_e32 v1, 16, v1
	v_lshl_add_u32 v2, v2, 23, v0
	v_and_or_b32 v1, v1, s54, v2
	v_lshlrev_b32_e32 v2, 20, v3
	v_or_b32_e32 v1, v1, v2
	v_mov_b32_e32 v0, v49
	buffer_store_dword v0, off, s[56:59], 0 offset:524 ; 4-byte Folded Spill
	s_nop 0
	buffer_store_dword v1, off, s[56:59], 0 offset:528 ; 4-byte Folded Spill
.LBB205_388:                            ;   in Loop: Header=BB205_13 Depth=1
	s_or_b64 exec, exec, s[44:45]
.LBB205_389:                            ;   in Loop: Header=BB205_13 Depth=1
	s_or_b64 exec, exec, s[42:43]
.LBB205_390:                            ;   in Loop: Header=BB205_13 Depth=1
	s_or_b64 exec, exec, s[40:41]
	global_load_ushort v2, v[41:42], off offset:3596
	s_waitcnt vmcnt(0)
	v_and_b32_e32 v1, 0xffff, v2
	v_cmp_ne_u16_sdwa s[42:43], v2, v49 src0_sel:BYTE_0 src1_sel:DWORD
	v_mov_b32_e32 v2, 0
	v_mov_b32_e32 v3, 0
	buffer_store_dword v2, off, s[56:59], 0 offset:540 ; 4-byte Folded Spill
	s_nop 0
	buffer_store_dword v3, off, s[56:59], 0 offset:544 ; 4-byte Folded Spill
	v_mov_b32_e32 v2, 0
	v_mov_b32_e32 v3, 0
	buffer_store_dword v2, off, s[56:59], 0 offset:532 ; 4-byte Folded Spill
	s_nop 0
	buffer_store_dword v3, off, s[56:59], 0 offset:536 ; 4-byte Folded Spill
	s_and_saveexec_b64 s[40:41], s[42:43]
	s_cbranch_execz .LBB205_396
; %bb.391:                              ;   in Loop: Header=BB205_13 Depth=1
	v_bfrev_b32_e32 v2, 1
	v_mov_b32_e32 v3, 0
	v_cmp_ne_u16_sdwa s[44:45], v1, s52 src0_sel:BYTE_0 src1_sel:DWORD
	buffer_store_dword v2, off, s[56:59], 0 offset:532 ; 4-byte Folded Spill
	s_nop 0
	buffer_store_dword v3, off, s[56:59], 0 offset:536 ; 4-byte Folded Spill
	s_and_saveexec_b64 s[42:43], s[44:45]
	s_cbranch_execz .LBB205_395
; %bb.392:                              ;   in Loop: Header=BB205_13 Depth=1
	v_and_b32_e32 v2, 0x7f, v1
	v_mov_b32_e32 v3, 0x7f800001
	v_mov_b32_e32 v4, 0
	v_cmp_ne_u32_e32 vcc, s53, v2
	buffer_store_dword v3, off, s[56:59], 0 offset:532 ; 4-byte Folded Spill
	s_nop 0
	buffer_store_dword v4, off, s[56:59], 0 offset:536 ; 4-byte Folded Spill
	s_and_saveexec_b64 s[44:45], vcc
	s_cbranch_execz .LBB205_394
; %bb.393:                              ;   in Loop: Header=BB205_13 Depth=1
	v_and_b32_e32 v4, 7, v1
	v_lshrrev_b32_e32 v5, 3, v2
	v_cmp_gt_u32_e32 vcc, 8, v2
	v_ffbh_u32_e32 v2, v4
	v_min_u32_e32 v6, 32, v2
	v_subrev_u32_e32 v2, 28, v6
	v_lshlrev_b64 v[2:3], v2, v[1:2]
	v_sub_u32_e32 v3, 29, v6
	v_and_b32_e32 v2, 7, v2
	v_cndmask_b32_e32 v3, v5, v3, vcc
	v_cndmask_b32_e32 v2, v4, v2, vcc
	v_bfrev_b32_e32 v0, 60
	v_lshlrev_b32_e32 v2, 20, v2
	v_and_b32_sdwa v4, sext(v1), s54 dst_sel:DWORD dst_unused:UNUSED_PAD src0_sel:BYTE_0 src1_sel:DWORD
	v_lshl_add_u32 v3, v3, 23, v0
	v_or3_b32 v2, v4, v3, v2
	v_mov_b32_e32 v3, v49
	buffer_store_dword v2, off, s[56:59], 0 offset:532 ; 4-byte Folded Spill
	s_nop 0
	buffer_store_dword v3, off, s[56:59], 0 offset:536 ; 4-byte Folded Spill
.LBB205_394:                            ;   in Loop: Header=BB205_13 Depth=1
	s_or_b64 exec, exec, s[44:45]
.LBB205_395:                            ;   in Loop: Header=BB205_13 Depth=1
	s_or_b64 exec, exec, s[42:43]
.LBB205_396:                            ;   in Loop: Header=BB205_13 Depth=1
	s_or_b64 exec, exec, s[40:41]
	v_cmp_ne_u16_sdwa s[42:43], v1, v49 src0_sel:BYTE_1 src1_sel:DWORD
	s_and_saveexec_b64 s[40:41], s[42:43]
	s_cbranch_execz .LBB205_402
; %bb.397:                              ;   in Loop: Header=BB205_13 Depth=1
	v_cmp_ne_u16_sdwa s[44:45], v1, s52 src0_sel:BYTE_1 src1_sel:DWORD
	buffer_store_dword v49, off, s[56:59], 0 offset:540 ; 4-byte Folded Spill
	s_nop 0
	buffer_store_dword v50, off, s[56:59], 0 offset:544 ; 4-byte Folded Spill
	s_and_saveexec_b64 s[42:43], s[44:45]
	s_cbranch_execz .LBB205_401
; %bb.398:                              ;   in Loop: Header=BB205_13 Depth=1
	buffer_load_dword v3, off, s[56:59], 0  ; 4-byte Folded Reload
	buffer_load_dword v4, off, s[56:59], 0 offset:4 ; 4-byte Folded Reload
	v_and_b32_sdwa v2, v1, s53 dst_sel:DWORD dst_unused:UNUSED_PAD src0_sel:BYTE_1 src1_sel:DWORD
	v_cmp_ne_u32_e32 vcc, s53, v2
	s_waitcnt vmcnt(1)
	v_mov_b32_e32 v3, v49
	s_waitcnt vmcnt(0)
	v_mov_b32_e32 v5, v4
	buffer_store_dword v4, off, s[56:59], 0 ; 4-byte Folded Spill
	s_nop 0
	buffer_store_dword v5, off, s[56:59], 0 offset:4 ; 4-byte Folded Spill
	buffer_store_dword v3, off, s[56:59], 0 offset:540 ; 4-byte Folded Spill
	s_nop 0
	buffer_store_dword v4, off, s[56:59], 0 offset:544 ; 4-byte Folded Spill
	s_and_saveexec_b64 s[44:45], vcc
	s_cbranch_execz .LBB205_400
; %bb.399:                              ;   in Loop: Header=BB205_13 Depth=1
	v_mov_b32_e32 v0, 7
	v_and_b32_sdwa v3, v1, v0 dst_sel:DWORD dst_unused:UNUSED_PAD src0_sel:BYTE_1 src1_sel:DWORD
	v_lshrrev_b32_e32 v6, 3, v2
	v_cmp_gt_u32_e32 vcc, 8, v2
	v_ffbh_u32_e32 v2, v3
	v_min_u32_e32 v2, 32, v2
	v_mov_b32_e32 v4, v49
	v_subrev_u32_e32 v5, 28, v2
	v_lshlrev_b64 v[4:5], v5, v[3:4]
	v_sub_u32_e32 v2, 29, v2
	v_and_b32_e32 v4, 7, v4
	v_cndmask_b32_e32 v2, v6, v2, vcc
	v_bfrev_b32_e32 v0, 60
	v_cndmask_b32_e32 v3, v3, v4, vcc
	v_lshlrev_b32_e32 v1, 16, v1
	v_lshl_add_u32 v2, v2, 23, v0
	v_and_or_b32 v1, v1, s54, v2
	v_lshlrev_b32_e32 v2, 20, v3
	v_or_b32_e32 v1, v1, v2
	v_mov_b32_e32 v0, v49
	buffer_store_dword v0, off, s[56:59], 0 offset:540 ; 4-byte Folded Spill
	s_nop 0
	buffer_store_dword v1, off, s[56:59], 0 offset:544 ; 4-byte Folded Spill
.LBB205_400:                            ;   in Loop: Header=BB205_13 Depth=1
	s_or_b64 exec, exec, s[44:45]
.LBB205_401:                            ;   in Loop: Header=BB205_13 Depth=1
	s_or_b64 exec, exec, s[42:43]
.LBB205_402:                            ;   in Loop: Header=BB205_13 Depth=1
	s_or_b64 exec, exec, s[40:41]
	buffer_load_dword v0, off, s[56:59], 0 offset:16 ; 4-byte Folded Reload
	v_add_co_u32_e32 v2, vcc, 0x1000, v51
	v_addc_co_u32_e32 v3, vcc, 0, v52, vcc
	s_waitcnt vmcnt(0)
	v_add_co_u32_e32 v4, vcc, v2, v0
	v_addc_co_u32_e32 v5, vcc, 0, v3, vcc
	global_load_ushort v4, v[4:5], off
	s_waitcnt vmcnt(0)
	v_and_b32_e32 v1, 0xffff, v4
	v_cmp_ne_u16_sdwa s[42:43], v4, v49 src0_sel:BYTE_0 src1_sel:DWORD
	v_mov_b32_e32 v4, 0
	v_mov_b32_e32 v5, 0
	buffer_store_dword v4, off, s[56:59], 0 offset:556 ; 4-byte Folded Spill
	s_nop 0
	buffer_store_dword v5, off, s[56:59], 0 offset:560 ; 4-byte Folded Spill
	v_mov_b32_e32 v4, 0
	v_mov_b32_e32 v5, 0
	buffer_store_dword v4, off, s[56:59], 0 offset:548 ; 4-byte Folded Spill
	s_nop 0
	buffer_store_dword v5, off, s[56:59], 0 offset:552 ; 4-byte Folded Spill
	s_and_saveexec_b64 s[40:41], s[42:43]
	s_cbranch_execz .LBB205_408
; %bb.403:                              ;   in Loop: Header=BB205_13 Depth=1
	v_bfrev_b32_e32 v4, 1
	v_mov_b32_e32 v5, 0
	v_cmp_ne_u16_sdwa s[44:45], v1, s52 src0_sel:BYTE_0 src1_sel:DWORD
	buffer_store_dword v4, off, s[56:59], 0 offset:548 ; 4-byte Folded Spill
	s_nop 0
	buffer_store_dword v5, off, s[56:59], 0 offset:552 ; 4-byte Folded Spill
	s_and_saveexec_b64 s[42:43], s[44:45]
	s_cbranch_execz .LBB205_407
; %bb.404:                              ;   in Loop: Header=BB205_13 Depth=1
	v_and_b32_e32 v4, 0x7f, v1
	v_mov_b32_e32 v5, 0x7f800001
	v_mov_b32_e32 v6, 0
	v_cmp_ne_u32_e32 vcc, s53, v4
	buffer_store_dword v5, off, s[56:59], 0 offset:548 ; 4-byte Folded Spill
	s_nop 0
	buffer_store_dword v6, off, s[56:59], 0 offset:552 ; 4-byte Folded Spill
	s_and_saveexec_b64 s[44:45], vcc
	s_cbranch_execz .LBB205_406
; %bb.405:                              ;   in Loop: Header=BB205_13 Depth=1
	v_and_b32_e32 v6, 7, v1
	v_lshrrev_b32_e32 v7, 3, v4
	v_cmp_gt_u32_e32 vcc, 8, v4
	v_ffbh_u32_e32 v4, v6
	v_min_u32_e32 v8, 32, v4
	v_subrev_u32_e32 v4, 28, v8
	v_lshlrev_b64 v[4:5], v4, v[1:2]
	v_sub_u32_e32 v5, 29, v8
	v_and_b32_e32 v4, 7, v4
	v_cndmask_b32_e32 v5, v7, v5, vcc
	v_cndmask_b32_e32 v4, v6, v4, vcc
	v_bfrev_b32_e32 v0, 60
	v_lshlrev_b32_e32 v4, 20, v4
	v_and_b32_sdwa v6, sext(v1), s54 dst_sel:DWORD dst_unused:UNUSED_PAD src0_sel:BYTE_0 src1_sel:DWORD
	v_lshl_add_u32 v5, v5, 23, v0
	v_or3_b32 v4, v6, v5, v4
	v_mov_b32_e32 v5, v49
	buffer_store_dword v4, off, s[56:59], 0 offset:548 ; 4-byte Folded Spill
	s_nop 0
	buffer_store_dword v5, off, s[56:59], 0 offset:552 ; 4-byte Folded Spill
.LBB205_406:                            ;   in Loop: Header=BB205_13 Depth=1
	s_or_b64 exec, exec, s[44:45]
.LBB205_407:                            ;   in Loop: Header=BB205_13 Depth=1
	s_or_b64 exec, exec, s[42:43]
.LBB205_408:                            ;   in Loop: Header=BB205_13 Depth=1
	s_or_b64 exec, exec, s[40:41]
	v_cmp_ne_u16_sdwa s[42:43], v1, v49 src0_sel:BYTE_1 src1_sel:DWORD
	s_and_saveexec_b64 s[40:41], s[42:43]
	s_cbranch_execz .LBB205_414
; %bb.409:                              ;   in Loop: Header=BB205_13 Depth=1
	v_cmp_ne_u16_sdwa s[44:45], v1, s52 src0_sel:BYTE_1 src1_sel:DWORD
	buffer_store_dword v49, off, s[56:59], 0 offset:556 ; 4-byte Folded Spill
	s_nop 0
	buffer_store_dword v50, off, s[56:59], 0 offset:560 ; 4-byte Folded Spill
	s_and_saveexec_b64 s[42:43], s[44:45]
	s_cbranch_execz .LBB205_413
; %bb.410:                              ;   in Loop: Header=BB205_13 Depth=1
	buffer_load_dword v5, off, s[56:59], 0  ; 4-byte Folded Reload
	buffer_load_dword v6, off, s[56:59], 0 offset:4 ; 4-byte Folded Reload
	v_and_b32_sdwa v4, v1, s53 dst_sel:DWORD dst_unused:UNUSED_PAD src0_sel:BYTE_1 src1_sel:DWORD
	v_cmp_ne_u32_e32 vcc, s53, v4
	s_waitcnt vmcnt(1)
	v_mov_b32_e32 v5, v49
	s_waitcnt vmcnt(0)
	v_mov_b32_e32 v7, v6
	buffer_store_dword v6, off, s[56:59], 0 ; 4-byte Folded Spill
	s_nop 0
	buffer_store_dword v7, off, s[56:59], 0 offset:4 ; 4-byte Folded Spill
	buffer_store_dword v5, off, s[56:59], 0 offset:556 ; 4-byte Folded Spill
	s_nop 0
	buffer_store_dword v6, off, s[56:59], 0 offset:560 ; 4-byte Folded Spill
	s_and_saveexec_b64 s[44:45], vcc
	s_cbranch_execz .LBB205_412
; %bb.411:                              ;   in Loop: Header=BB205_13 Depth=1
	v_mov_b32_e32 v0, 7
	v_and_b32_sdwa v5, v1, v0 dst_sel:DWORD dst_unused:UNUSED_PAD src0_sel:BYTE_1 src1_sel:DWORD
	v_lshrrev_b32_e32 v8, 3, v4
	v_cmp_gt_u32_e32 vcc, 8, v4
	v_ffbh_u32_e32 v4, v5
	v_min_u32_e32 v4, 32, v4
	v_mov_b32_e32 v6, v49
	v_subrev_u32_e32 v7, 28, v4
	v_lshlrev_b64 v[6:7], v7, v[5:6]
	v_sub_u32_e32 v4, 29, v4
	v_and_b32_e32 v6, 7, v6
	v_cndmask_b32_e32 v4, v8, v4, vcc
	v_bfrev_b32_e32 v0, 60
	v_cndmask_b32_e32 v5, v5, v6, vcc
	v_lshlrev_b32_e32 v1, 16, v1
	v_lshl_add_u32 v4, v4, 23, v0
	v_and_or_b32 v1, v1, s54, v4
	v_lshlrev_b32_e32 v4, 20, v5
	v_or_b32_e32 v1, v1, v4
	v_mov_b32_e32 v0, v49
	buffer_store_dword v0, off, s[56:59], 0 offset:556 ; 4-byte Folded Spill
	s_nop 0
	buffer_store_dword v1, off, s[56:59], 0 offset:560 ; 4-byte Folded Spill
.LBB205_412:                            ;   in Loop: Header=BB205_13 Depth=1
	s_or_b64 exec, exec, s[44:45]
.LBB205_413:                            ;   in Loop: Header=BB205_13 Depth=1
	s_or_b64 exec, exec, s[42:43]
.LBB205_414:                            ;   in Loop: Header=BB205_13 Depth=1
	s_or_b64 exec, exec, s[40:41]
	buffer_load_dword v0, off, s[56:59], 0 offset:36 ; 4-byte Folded Reload
	s_waitcnt vmcnt(0)
	v_add_co_u32_e32 v4, vcc, v2, v0
	v_addc_co_u32_e32 v5, vcc, 0, v3, vcc
	global_load_ushort v4, v[4:5], off
	s_waitcnt vmcnt(0)
	v_and_b32_e32 v1, 0xffff, v4
	v_cmp_ne_u16_sdwa s[42:43], v4, v49 src0_sel:BYTE_0 src1_sel:DWORD
	v_mov_b32_e32 v4, 0
	v_mov_b32_e32 v5, 0
	buffer_store_dword v4, off, s[56:59], 0 offset:572 ; 4-byte Folded Spill
	s_nop 0
	buffer_store_dword v5, off, s[56:59], 0 offset:576 ; 4-byte Folded Spill
	v_mov_b32_e32 v4, 0
	v_mov_b32_e32 v5, 0
	buffer_store_dword v4, off, s[56:59], 0 offset:564 ; 4-byte Folded Spill
	s_nop 0
	buffer_store_dword v5, off, s[56:59], 0 offset:568 ; 4-byte Folded Spill
	s_and_saveexec_b64 s[40:41], s[42:43]
	s_cbranch_execz .LBB205_420
; %bb.415:                              ;   in Loop: Header=BB205_13 Depth=1
	v_bfrev_b32_e32 v4, 1
	v_mov_b32_e32 v5, 0
	v_cmp_ne_u16_sdwa s[44:45], v1, s52 src0_sel:BYTE_0 src1_sel:DWORD
	buffer_store_dword v4, off, s[56:59], 0 offset:564 ; 4-byte Folded Spill
	s_nop 0
	buffer_store_dword v5, off, s[56:59], 0 offset:568 ; 4-byte Folded Spill
	s_and_saveexec_b64 s[42:43], s[44:45]
	s_cbranch_execz .LBB205_419
; %bb.416:                              ;   in Loop: Header=BB205_13 Depth=1
	v_and_b32_e32 v4, 0x7f, v1
	v_mov_b32_e32 v5, 0x7f800001
	v_mov_b32_e32 v6, 0
	v_cmp_ne_u32_e32 vcc, s53, v4
	buffer_store_dword v5, off, s[56:59], 0 offset:564 ; 4-byte Folded Spill
	s_nop 0
	buffer_store_dword v6, off, s[56:59], 0 offset:568 ; 4-byte Folded Spill
	s_and_saveexec_b64 s[44:45], vcc
	s_cbranch_execz .LBB205_418
; %bb.417:                              ;   in Loop: Header=BB205_13 Depth=1
	v_and_b32_e32 v6, 7, v1
	v_lshrrev_b32_e32 v7, 3, v4
	v_cmp_gt_u32_e32 vcc, 8, v4
	v_ffbh_u32_e32 v4, v6
	v_min_u32_e32 v8, 32, v4
	v_subrev_u32_e32 v4, 28, v8
	v_lshlrev_b64 v[4:5], v4, v[1:2]
	v_sub_u32_e32 v5, 29, v8
	v_and_b32_e32 v4, 7, v4
	v_cndmask_b32_e32 v5, v7, v5, vcc
	v_cndmask_b32_e32 v4, v6, v4, vcc
	v_bfrev_b32_e32 v0, 60
	v_lshlrev_b32_e32 v4, 20, v4
	v_and_b32_sdwa v6, sext(v1), s54 dst_sel:DWORD dst_unused:UNUSED_PAD src0_sel:BYTE_0 src1_sel:DWORD
	v_lshl_add_u32 v5, v5, 23, v0
	v_or3_b32 v4, v6, v5, v4
	v_mov_b32_e32 v5, v49
	buffer_store_dword v4, off, s[56:59], 0 offset:564 ; 4-byte Folded Spill
	s_nop 0
	buffer_store_dword v5, off, s[56:59], 0 offset:568 ; 4-byte Folded Spill
.LBB205_418:                            ;   in Loop: Header=BB205_13 Depth=1
	s_or_b64 exec, exec, s[44:45]
.LBB205_419:                            ;   in Loop: Header=BB205_13 Depth=1
	s_or_b64 exec, exec, s[42:43]
.LBB205_420:                            ;   in Loop: Header=BB205_13 Depth=1
	s_or_b64 exec, exec, s[40:41]
	v_cmp_ne_u16_sdwa s[42:43], v1, v49 src0_sel:BYTE_1 src1_sel:DWORD
	s_and_saveexec_b64 s[40:41], s[42:43]
	s_cbranch_execz .LBB205_426
; %bb.421:                              ;   in Loop: Header=BB205_13 Depth=1
	v_cmp_ne_u16_sdwa s[44:45], v1, s52 src0_sel:BYTE_1 src1_sel:DWORD
	buffer_store_dword v49, off, s[56:59], 0 offset:572 ; 4-byte Folded Spill
	s_nop 0
	buffer_store_dword v50, off, s[56:59], 0 offset:576 ; 4-byte Folded Spill
	s_and_saveexec_b64 s[42:43], s[44:45]
	s_cbranch_execz .LBB205_425
; %bb.422:                              ;   in Loop: Header=BB205_13 Depth=1
	buffer_load_dword v5, off, s[56:59], 0  ; 4-byte Folded Reload
	buffer_load_dword v6, off, s[56:59], 0 offset:4 ; 4-byte Folded Reload
	v_and_b32_sdwa v4, v1, s53 dst_sel:DWORD dst_unused:UNUSED_PAD src0_sel:BYTE_1 src1_sel:DWORD
	v_cmp_ne_u32_e32 vcc, s53, v4
	s_waitcnt vmcnt(1)
	v_mov_b32_e32 v5, v49
	s_waitcnt vmcnt(0)
	v_mov_b32_e32 v7, v6
	buffer_store_dword v6, off, s[56:59], 0 ; 4-byte Folded Spill
	s_nop 0
	buffer_store_dword v7, off, s[56:59], 0 offset:4 ; 4-byte Folded Spill
	buffer_store_dword v5, off, s[56:59], 0 offset:572 ; 4-byte Folded Spill
	s_nop 0
	buffer_store_dword v6, off, s[56:59], 0 offset:576 ; 4-byte Folded Spill
	s_and_saveexec_b64 s[44:45], vcc
	s_cbranch_execz .LBB205_424
; %bb.423:                              ;   in Loop: Header=BB205_13 Depth=1
	v_mov_b32_e32 v0, 7
	v_and_b32_sdwa v5, v1, v0 dst_sel:DWORD dst_unused:UNUSED_PAD src0_sel:BYTE_1 src1_sel:DWORD
	v_lshrrev_b32_e32 v8, 3, v4
	v_cmp_gt_u32_e32 vcc, 8, v4
	v_ffbh_u32_e32 v4, v5
	v_min_u32_e32 v4, 32, v4
	v_mov_b32_e32 v6, v49
	v_subrev_u32_e32 v7, 28, v4
	v_lshlrev_b64 v[6:7], v7, v[5:6]
	v_sub_u32_e32 v4, 29, v4
	v_and_b32_e32 v6, 7, v6
	v_cndmask_b32_e32 v4, v8, v4, vcc
	v_bfrev_b32_e32 v0, 60
	v_cndmask_b32_e32 v5, v5, v6, vcc
	v_lshlrev_b32_e32 v1, 16, v1
	v_lshl_add_u32 v4, v4, 23, v0
	v_and_or_b32 v1, v1, s54, v4
	v_lshlrev_b32_e32 v4, 20, v5
	v_or_b32_e32 v1, v1, v4
	v_mov_b32_e32 v0, v49
	buffer_store_dword v0, off, s[56:59], 0 offset:572 ; 4-byte Folded Spill
	s_nop 0
	buffer_store_dword v1, off, s[56:59], 0 offset:576 ; 4-byte Folded Spill
.LBB205_424:                            ;   in Loop: Header=BB205_13 Depth=1
	s_or_b64 exec, exec, s[44:45]
.LBB205_425:                            ;   in Loop: Header=BB205_13 Depth=1
	s_or_b64 exec, exec, s[42:43]
.LBB205_426:                            ;   in Loop: Header=BB205_13 Depth=1
	s_or_b64 exec, exec, s[40:41]
	buffer_load_dword v0, off, s[56:59], 0 offset:40 ; 4-byte Folded Reload
	s_waitcnt vmcnt(0)
	v_add_co_u32_e32 v4, vcc, v2, v0
	v_addc_co_u32_e32 v5, vcc, 0, v3, vcc
	global_load_ushort v4, v[4:5], off
	s_waitcnt vmcnt(0)
	v_and_b32_e32 v1, 0xffff, v4
	v_cmp_ne_u16_sdwa s[42:43], v4, v49 src0_sel:BYTE_0 src1_sel:DWORD
	v_mov_b32_e32 v4, 0
	v_mov_b32_e32 v5, 0
	buffer_store_dword v4, off, s[56:59], 0 offset:588 ; 4-byte Folded Spill
	s_nop 0
	buffer_store_dword v5, off, s[56:59], 0 offset:592 ; 4-byte Folded Spill
	v_mov_b32_e32 v4, 0
	v_mov_b32_e32 v5, 0
	buffer_store_dword v4, off, s[56:59], 0 offset:580 ; 4-byte Folded Spill
	s_nop 0
	buffer_store_dword v5, off, s[56:59], 0 offset:584 ; 4-byte Folded Spill
	s_and_saveexec_b64 s[40:41], s[42:43]
	s_cbranch_execz .LBB205_432
; %bb.427:                              ;   in Loop: Header=BB205_13 Depth=1
	v_bfrev_b32_e32 v4, 1
	v_mov_b32_e32 v5, 0
	v_cmp_ne_u16_sdwa s[44:45], v1, s52 src0_sel:BYTE_0 src1_sel:DWORD
	buffer_store_dword v4, off, s[56:59], 0 offset:580 ; 4-byte Folded Spill
	s_nop 0
	buffer_store_dword v5, off, s[56:59], 0 offset:584 ; 4-byte Folded Spill
	s_and_saveexec_b64 s[42:43], s[44:45]
	s_cbranch_execz .LBB205_431
; %bb.428:                              ;   in Loop: Header=BB205_13 Depth=1
	v_and_b32_e32 v4, 0x7f, v1
	v_mov_b32_e32 v5, 0x7f800001
	v_mov_b32_e32 v6, 0
	v_cmp_ne_u32_e32 vcc, s53, v4
	buffer_store_dword v5, off, s[56:59], 0 offset:580 ; 4-byte Folded Spill
	s_nop 0
	buffer_store_dword v6, off, s[56:59], 0 offset:584 ; 4-byte Folded Spill
	s_and_saveexec_b64 s[44:45], vcc
	s_cbranch_execz .LBB205_430
; %bb.429:                              ;   in Loop: Header=BB205_13 Depth=1
	v_and_b32_e32 v6, 7, v1
	v_lshrrev_b32_e32 v7, 3, v4
	v_cmp_gt_u32_e32 vcc, 8, v4
	v_ffbh_u32_e32 v4, v6
	v_min_u32_e32 v8, 32, v4
	v_subrev_u32_e32 v4, 28, v8
	v_lshlrev_b64 v[4:5], v4, v[1:2]
	v_sub_u32_e32 v5, 29, v8
	v_and_b32_e32 v4, 7, v4
	v_cndmask_b32_e32 v5, v7, v5, vcc
	v_cndmask_b32_e32 v4, v6, v4, vcc
	v_bfrev_b32_e32 v0, 60
	v_lshlrev_b32_e32 v4, 20, v4
	v_and_b32_sdwa v6, sext(v1), s54 dst_sel:DWORD dst_unused:UNUSED_PAD src0_sel:BYTE_0 src1_sel:DWORD
	v_lshl_add_u32 v5, v5, 23, v0
	v_or3_b32 v4, v6, v5, v4
	v_mov_b32_e32 v5, v49
	buffer_store_dword v4, off, s[56:59], 0 offset:580 ; 4-byte Folded Spill
	s_nop 0
	buffer_store_dword v5, off, s[56:59], 0 offset:584 ; 4-byte Folded Spill
.LBB205_430:                            ;   in Loop: Header=BB205_13 Depth=1
	s_or_b64 exec, exec, s[44:45]
.LBB205_431:                            ;   in Loop: Header=BB205_13 Depth=1
	s_or_b64 exec, exec, s[42:43]
.LBB205_432:                            ;   in Loop: Header=BB205_13 Depth=1
	s_or_b64 exec, exec, s[40:41]
	v_cmp_ne_u16_sdwa s[42:43], v1, v49 src0_sel:BYTE_1 src1_sel:DWORD
	s_and_saveexec_b64 s[40:41], s[42:43]
	s_cbranch_execz .LBB205_438
; %bb.433:                              ;   in Loop: Header=BB205_13 Depth=1
	v_cmp_ne_u16_sdwa s[44:45], v1, s52 src0_sel:BYTE_1 src1_sel:DWORD
	buffer_store_dword v49, off, s[56:59], 0 offset:588 ; 4-byte Folded Spill
	s_nop 0
	buffer_store_dword v50, off, s[56:59], 0 offset:592 ; 4-byte Folded Spill
	s_and_saveexec_b64 s[42:43], s[44:45]
	s_cbranch_execz .LBB205_437
; %bb.434:                              ;   in Loop: Header=BB205_13 Depth=1
	buffer_load_dword v5, off, s[56:59], 0  ; 4-byte Folded Reload
	buffer_load_dword v6, off, s[56:59], 0 offset:4 ; 4-byte Folded Reload
	v_and_b32_sdwa v4, v1, s53 dst_sel:DWORD dst_unused:UNUSED_PAD src0_sel:BYTE_1 src1_sel:DWORD
	v_cmp_ne_u32_e32 vcc, s53, v4
	s_waitcnt vmcnt(1)
	v_mov_b32_e32 v5, v49
	s_waitcnt vmcnt(0)
	v_mov_b32_e32 v7, v6
	buffer_store_dword v6, off, s[56:59], 0 ; 4-byte Folded Spill
	s_nop 0
	buffer_store_dword v7, off, s[56:59], 0 offset:4 ; 4-byte Folded Spill
	buffer_store_dword v5, off, s[56:59], 0 offset:588 ; 4-byte Folded Spill
	s_nop 0
	buffer_store_dword v6, off, s[56:59], 0 offset:592 ; 4-byte Folded Spill
	s_and_saveexec_b64 s[44:45], vcc
	s_cbranch_execz .LBB205_436
; %bb.435:                              ;   in Loop: Header=BB205_13 Depth=1
	v_mov_b32_e32 v0, 7
	v_and_b32_sdwa v5, v1, v0 dst_sel:DWORD dst_unused:UNUSED_PAD src0_sel:BYTE_1 src1_sel:DWORD
	v_lshrrev_b32_e32 v8, 3, v4
	v_cmp_gt_u32_e32 vcc, 8, v4
	v_ffbh_u32_e32 v4, v5
	v_min_u32_e32 v4, 32, v4
	v_mov_b32_e32 v6, v49
	v_subrev_u32_e32 v7, 28, v4
	v_lshlrev_b64 v[6:7], v7, v[5:6]
	v_sub_u32_e32 v4, 29, v4
	v_and_b32_e32 v6, 7, v6
	v_cndmask_b32_e32 v4, v8, v4, vcc
	v_bfrev_b32_e32 v0, 60
	v_cndmask_b32_e32 v5, v5, v6, vcc
	v_lshlrev_b32_e32 v1, 16, v1
	v_lshl_add_u32 v4, v4, 23, v0
	v_and_or_b32 v1, v1, s54, v4
	v_lshlrev_b32_e32 v4, 20, v5
	v_or_b32_e32 v1, v1, v4
	v_mov_b32_e32 v0, v49
	buffer_store_dword v0, off, s[56:59], 0 offset:588 ; 4-byte Folded Spill
	s_nop 0
	buffer_store_dword v1, off, s[56:59], 0 offset:592 ; 4-byte Folded Spill
.LBB205_436:                            ;   in Loop: Header=BB205_13 Depth=1
	s_or_b64 exec, exec, s[44:45]
.LBB205_437:                            ;   in Loop: Header=BB205_13 Depth=1
	s_or_b64 exec, exec, s[42:43]
.LBB205_438:                            ;   in Loop: Header=BB205_13 Depth=1
	s_or_b64 exec, exec, s[40:41]
	buffer_load_dword v0, off, s[56:59], 0 offset:44 ; 4-byte Folded Reload
	s_waitcnt vmcnt(0)
	v_add_co_u32_e32 v1, vcc, v2, v0
	v_addc_co_u32_e32 v2, vcc, 0, v3, vcc
	global_load_ushort v2, v[1:2], off
	s_waitcnt vmcnt(0)
	v_and_b32_e32 v1, 0xffff, v2
	v_cmp_ne_u16_sdwa s[42:43], v2, v49 src0_sel:BYTE_0 src1_sel:DWORD
	v_mov_b32_e32 v2, 0
	v_mov_b32_e32 v3, 0
	buffer_store_dword v2, off, s[56:59], 0 offset:604 ; 4-byte Folded Spill
	s_nop 0
	buffer_store_dword v3, off, s[56:59], 0 offset:608 ; 4-byte Folded Spill
	v_mov_b32_e32 v2, 0
	v_mov_b32_e32 v3, 0
	buffer_store_dword v2, off, s[56:59], 0 offset:596 ; 4-byte Folded Spill
	s_nop 0
	buffer_store_dword v3, off, s[56:59], 0 offset:600 ; 4-byte Folded Spill
	s_and_saveexec_b64 s[40:41], s[42:43]
	s_cbranch_execz .LBB205_444
; %bb.439:                              ;   in Loop: Header=BB205_13 Depth=1
	v_bfrev_b32_e32 v2, 1
	v_mov_b32_e32 v3, 0
	v_cmp_ne_u16_sdwa s[44:45], v1, s52 src0_sel:BYTE_0 src1_sel:DWORD
	buffer_store_dword v2, off, s[56:59], 0 offset:596 ; 4-byte Folded Spill
	s_nop 0
	buffer_store_dword v3, off, s[56:59], 0 offset:600 ; 4-byte Folded Spill
	s_and_saveexec_b64 s[42:43], s[44:45]
	s_cbranch_execz .LBB205_443
; %bb.440:                              ;   in Loop: Header=BB205_13 Depth=1
	v_and_b32_e32 v2, 0x7f, v1
	v_mov_b32_e32 v3, 0x7f800001
	v_mov_b32_e32 v4, 0
	v_cmp_ne_u32_e32 vcc, s53, v2
	buffer_store_dword v3, off, s[56:59], 0 offset:596 ; 4-byte Folded Spill
	s_nop 0
	buffer_store_dword v4, off, s[56:59], 0 offset:600 ; 4-byte Folded Spill
	s_and_saveexec_b64 s[44:45], vcc
	s_cbranch_execz .LBB205_442
; %bb.441:                              ;   in Loop: Header=BB205_13 Depth=1
	v_and_b32_e32 v7, 7, v1
	v_lshrrev_b32_e32 v8, 3, v2
	v_cmp_gt_u32_e32 vcc, 8, v2
	v_ffbh_u32_e32 v2, v7
	v_min_u32_e32 v2, 32, v2
	v_subrev_u32_e32 v5, 28, v2
	v_lshlrev_b64 v[5:6], v5, v[1:2]
	v_sub_u32_e32 v2, 29, v2
	v_and_b32_e32 v5, 7, v5
	v_cndmask_b32_e32 v2, v8, v2, vcc
	v_cndmask_b32_e32 v5, v7, v5, vcc
	v_bfrev_b32_e32 v0, 60
	v_lshlrev_b32_e32 v5, 20, v5
	v_and_b32_sdwa v6, sext(v1), s54 dst_sel:DWORD dst_unused:UNUSED_PAD src0_sel:BYTE_0 src1_sel:DWORD
	v_lshl_add_u32 v2, v2, 23, v0
	v_or3_b32 v2, v6, v2, v5
	v_mov_b32_e32 v3, v49
	buffer_store_dword v2, off, s[56:59], 0 offset:596 ; 4-byte Folded Spill
	s_nop 0
	buffer_store_dword v3, off, s[56:59], 0 offset:600 ; 4-byte Folded Spill
.LBB205_442:                            ;   in Loop: Header=BB205_13 Depth=1
	s_or_b64 exec, exec, s[44:45]
.LBB205_443:                            ;   in Loop: Header=BB205_13 Depth=1
	s_or_b64 exec, exec, s[42:43]
.LBB205_444:                            ;   in Loop: Header=BB205_13 Depth=1
	s_or_b64 exec, exec, s[40:41]
	v_cmp_ne_u16_sdwa s[42:43], v1, v49 src0_sel:BYTE_1 src1_sel:DWORD
	s_and_saveexec_b64 s[40:41], s[42:43]
	s_cbranch_execz .LBB205_450
; %bb.445:                              ;   in Loop: Header=BB205_13 Depth=1
	v_cmp_ne_u16_sdwa s[44:45], v1, s52 src0_sel:BYTE_1 src1_sel:DWORD
	buffer_store_dword v49, off, s[56:59], 0 offset:604 ; 4-byte Folded Spill
	s_nop 0
	buffer_store_dword v50, off, s[56:59], 0 offset:608 ; 4-byte Folded Spill
	s_and_saveexec_b64 s[42:43], s[44:45]
	s_cbranch_execz .LBB205_449
; %bb.446:                              ;   in Loop: Header=BB205_13 Depth=1
	buffer_load_dword v3, off, s[56:59], 0  ; 4-byte Folded Reload
	buffer_load_dword v4, off, s[56:59], 0 offset:4 ; 4-byte Folded Reload
	v_and_b32_sdwa v2, v1, s53 dst_sel:DWORD dst_unused:UNUSED_PAD src0_sel:BYTE_1 src1_sel:DWORD
	v_cmp_ne_u32_e32 vcc, s53, v2
	s_waitcnt vmcnt(1)
	v_mov_b32_e32 v3, v49
	s_waitcnt vmcnt(0)
	v_mov_b32_e32 v5, v4
	buffer_store_dword v4, off, s[56:59], 0 ; 4-byte Folded Spill
	s_nop 0
	buffer_store_dword v5, off, s[56:59], 0 offset:4 ; 4-byte Folded Spill
	buffer_store_dword v3, off, s[56:59], 0 offset:604 ; 4-byte Folded Spill
	s_nop 0
	buffer_store_dword v4, off, s[56:59], 0 offset:608 ; 4-byte Folded Spill
	s_and_saveexec_b64 s[44:45], vcc
	s_cbranch_execz .LBB205_448
; %bb.447:                              ;   in Loop: Header=BB205_13 Depth=1
	v_mov_b32_e32 v0, 7
	v_and_b32_sdwa v3, v1, v0 dst_sel:DWORD dst_unused:UNUSED_PAD src0_sel:BYTE_1 src1_sel:DWORD
	v_lshrrev_b32_e32 v6, 3, v2
	v_cmp_gt_u32_e32 vcc, 8, v2
	v_ffbh_u32_e32 v2, v3
	v_min_u32_e32 v2, 32, v2
	v_mov_b32_e32 v4, v49
	v_subrev_u32_e32 v5, 28, v2
	v_lshlrev_b64 v[4:5], v5, v[3:4]
	v_sub_u32_e32 v2, 29, v2
	v_and_b32_e32 v4, 7, v4
	v_cndmask_b32_e32 v2, v6, v2, vcc
	v_bfrev_b32_e32 v0, 60
	v_cndmask_b32_e32 v3, v3, v4, vcc
	v_lshlrev_b32_e32 v1, 16, v1
	v_lshl_add_u32 v2, v2, 23, v0
	v_and_or_b32 v1, v1, s54, v2
	v_lshlrev_b32_e32 v2, 20, v3
	v_or_b32_e32 v1, v1, v2
	v_mov_b32_e32 v0, v49
	buffer_store_dword v0, off, s[56:59], 0 offset:604 ; 4-byte Folded Spill
	s_nop 0
	buffer_store_dword v1, off, s[56:59], 0 offset:608 ; 4-byte Folded Spill
.LBB205_448:                            ;   in Loop: Header=BB205_13 Depth=1
	s_or_b64 exec, exec, s[44:45]
.LBB205_449:                            ;   in Loop: Header=BB205_13 Depth=1
	s_or_b64 exec, exec, s[42:43]
.LBB205_450:                            ;   in Loop: Header=BB205_13 Depth=1
	s_or_b64 exec, exec, s[40:41]
	buffer_load_dword v0, off, s[56:59], 0 offset:16 ; 4-byte Folded Reload
	v_add_co_u32_e32 v2, vcc, 0x1200, v51
	v_addc_co_u32_e32 v15, vcc, 0, v52, vcc
	v_mov_b32_e32 v3, 0
	v_mov_b32_e32 v4, 0
	s_waitcnt vmcnt(0)
	v_add_co_u32_e32 v5, vcc, v2, v0
	v_addc_co_u32_e32 v6, vcc, 0, v15, vcc
	global_load_ushort v5, v[5:6], off
	s_waitcnt vmcnt(0)
	v_and_b32_e32 v1, 0xffff, v5
	v_cmp_ne_u16_sdwa s[42:43], v5, v49 src0_sel:BYTE_0 src1_sel:DWORD
	v_mov_b32_e32 v5, 0
	v_mov_b32_e32 v6, 0
	s_and_saveexec_b64 s[40:41], s[42:43]
	s_cbranch_execz .LBB205_456
; %bb.451:                              ;   in Loop: Header=BB205_13 Depth=1
	v_bfrev_b32_e32 v3, 1
	v_mov_b32_e32 v4, 0
	v_cmp_ne_u16_sdwa s[44:45], v1, s52 src0_sel:BYTE_0 src1_sel:DWORD
	s_and_saveexec_b64 s[42:43], s[44:45]
	s_cbranch_execz .LBB205_455
; %bb.452:                              ;   in Loop: Header=BB205_13 Depth=1
	v_and_b32_e32 v7, 0x7f, v1
	v_mov_b32_e32 v3, 0x7f800001
	v_mov_b32_e32 v4, 0
	v_cmp_ne_u32_e32 vcc, s53, v7
	s_and_saveexec_b64 s[44:45], vcc
	s_cbranch_execz .LBB205_454
; %bb.453:                              ;   in Loop: Header=BB205_13 Depth=1
	v_and_b32_e32 v9, 7, v1
	v_lshrrev_b32_e32 v10, 3, v7
	v_cmp_gt_u32_e32 vcc, 8, v7
	v_ffbh_u32_e32 v7, v9
	v_min_u32_e32 v11, 32, v7
	v_subrev_u32_e32 v7, 28, v11
	v_lshlrev_b64 v[7:8], v7, v[1:2]
	v_sub_u32_e32 v8, 29, v11
	v_and_b32_e32 v7, 7, v7
	v_cndmask_b32_e32 v8, v10, v8, vcc
	v_cndmask_b32_e32 v7, v9, v7, vcc
	v_bfrev_b32_e32 v0, 60
	v_lshlrev_b32_e32 v7, 20, v7
	v_and_b32_sdwa v9, sext(v1), s54 dst_sel:DWORD dst_unused:UNUSED_PAD src0_sel:BYTE_0 src1_sel:DWORD
	v_lshl_add_u32 v8, v8, 23, v0
	v_or3_b32 v3, v9, v8, v7
	v_mov_b32_e32 v4, v49
.LBB205_454:                            ;   in Loop: Header=BB205_13 Depth=1
	s_or_b64 exec, exec, s[44:45]
.LBB205_455:                            ;   in Loop: Header=BB205_13 Depth=1
	s_or_b64 exec, exec, s[42:43]
.LBB205_456:                            ;   in Loop: Header=BB205_13 Depth=1
	s_or_b64 exec, exec, s[40:41]
	v_cmp_ne_u16_sdwa s[42:43], v1, v49 src0_sel:BYTE_1 src1_sel:DWORD
	buffer_store_dword v3, off, s[56:59], 0 offset:816 ; 4-byte Folded Spill
	s_nop 0
	buffer_store_dword v4, off, s[56:59], 0 offset:820 ; 4-byte Folded Spill
	s_and_saveexec_b64 s[40:41], s[42:43]
	s_cbranch_execz .LBB205_462
; %bb.457:                              ;   in Loop: Header=BB205_13 Depth=1
	v_mov_b32_e32 v5, v49
	v_cmp_ne_u16_sdwa s[44:45], v1, s52 src0_sel:BYTE_1 src1_sel:DWORD
	v_mov_b32_e32 v6, v50
	s_and_saveexec_b64 s[42:43], s[44:45]
	s_cbranch_execz .LBB205_461
; %bb.458:                              ;   in Loop: Header=BB205_13 Depth=1
	buffer_load_dword v53, off, s[56:59], 0 ; 4-byte Folded Reload
	buffer_load_dword v54, off, s[56:59], 0 offset:4 ; 4-byte Folded Reload
	s_waitcnt vmcnt(1)
	v_mov_b32_e32 v53, v49
	v_and_b32_sdwa v7, v1, s53 dst_sel:DWORD dst_unused:UNUSED_PAD src0_sel:BYTE_1 src1_sel:DWORD
	v_cmp_ne_u32_e32 vcc, s53, v7
	s_waitcnt vmcnt(0)
	v_mov_b32_e32 v5, v53
	v_mov_b32_e32 v3, v54
	;; [unrolled: 1-line block ×3, first 2 shown]
	buffer_store_dword v2, off, s[56:59], 0 ; 4-byte Folded Spill
	s_nop 0
	buffer_store_dword v3, off, s[56:59], 0 offset:4 ; 4-byte Folded Spill
	s_and_saveexec_b64 s[44:45], vcc
	s_cbranch_execz .LBB205_460
; %bb.459:                              ;   in Loop: Header=BB205_13 Depth=1
	v_mov_b32_e32 v0, 7
	v_and_b32_sdwa v5, v1, v0 dst_sel:DWORD dst_unused:UNUSED_PAD src0_sel:BYTE_1 src1_sel:DWORD
	v_lshrrev_b32_e32 v8, 3, v7
	v_cmp_gt_u32_e32 vcc, 8, v7
	v_ffbh_u32_e32 v7, v5
	v_min_u32_e32 v9, 32, v7
	v_mov_b32_e32 v6, v49
	v_subrev_u32_e32 v7, 28, v9
	v_lshlrev_b64 v[6:7], v7, v[5:6]
	v_sub_u32_e32 v7, 29, v9
	v_and_b32_e32 v6, 7, v6
	v_cndmask_b32_e32 v7, v8, v7, vcc
	v_bfrev_b32_e32 v0, 60
	v_cndmask_b32_e32 v5, v5, v6, vcc
	v_lshlrev_b32_e32 v1, 16, v1
	v_lshl_add_u32 v6, v7, 23, v0
	v_and_or_b32 v1, v1, s54, v6
	v_lshlrev_b32_e32 v5, 20, v5
	v_or_b32_e32 v6, v1, v5
	v_mov_b32_e32 v5, v49
.LBB205_460:                            ;   in Loop: Header=BB205_13 Depth=1
	s_or_b64 exec, exec, s[44:45]
.LBB205_461:                            ;   in Loop: Header=BB205_13 Depth=1
	s_or_b64 exec, exec, s[42:43]
.LBB205_462:                            ;   in Loop: Header=BB205_13 Depth=1
	s_or_b64 exec, exec, s[40:41]
	buffer_load_dword v0, off, s[56:59], 0 offset:36 ; 4-byte Folded Reload
	v_mov_b32_e32 v53, 0
	v_mov_b32_e32 v54, 0
	s_waitcnt vmcnt(0)
	v_add_co_u32_e32 v7, vcc, v2, v0
	v_addc_co_u32_e32 v8, vcc, 0, v15, vcc
	global_load_ushort v7, v[7:8], off
	s_waitcnt vmcnt(0)
	v_and_b32_e32 v1, 0xffff, v7
	v_cmp_ne_u16_sdwa s[42:43], v7, v49 src0_sel:BYTE_0 src1_sel:DWORD
	v_mov_b32_e32 v7, 0
	v_mov_b32_e32 v8, 0
	s_and_saveexec_b64 s[40:41], s[42:43]
	s_cbranch_execz .LBB205_468
; %bb.463:                              ;   in Loop: Header=BB205_13 Depth=1
	v_bfrev_b32_e32 v53, 1
	v_mov_b32_e32 v54, 0
	v_cmp_ne_u16_sdwa s[44:45], v1, s52 src0_sel:BYTE_0 src1_sel:DWORD
	s_and_saveexec_b64 s[42:43], s[44:45]
	s_cbranch_execz .LBB205_467
; %bb.464:                              ;   in Loop: Header=BB205_13 Depth=1
	v_and_b32_e32 v11, 0x7f, v1
	v_mov_b32_e32 v53, 0x7f800001
	v_mov_b32_e32 v54, 0
	v_cmp_ne_u32_e32 vcc, s53, v11
	s_and_saveexec_b64 s[44:45], vcc
	s_cbranch_execz .LBB205_466
; %bb.465:                              ;   in Loop: Header=BB205_13 Depth=1
	v_and_b32_e32 v12, 7, v1
	v_ffbh_u32_e32 v7, v12
	v_lshrrev_b32_e32 v13, 3, v11
	v_cmp_gt_u32_e32 vcc, 8, v11
	v_min_u32_e32 v11, 32, v7
	v_subrev_u32_e32 v7, 28, v11
	v_lshlrev_b64 v[7:8], v7, v[1:2]
	v_sub_u32_e32 v8, 29, v11
	v_and_b32_e32 v7, 7, v7
	v_cndmask_b32_e32 v8, v13, v8, vcc
	v_cndmask_b32_e32 v7, v12, v7, vcc
	v_bfrev_b32_e32 v0, 60
	v_lshlrev_b32_e32 v7, 20, v7
	v_and_b32_sdwa v11, sext(v1), s54 dst_sel:DWORD dst_unused:UNUSED_PAD src0_sel:BYTE_0 src1_sel:DWORD
	v_lshl_add_u32 v8, v8, 23, v0
	v_or3_b32 v53, v11, v8, v7
	v_mov_b32_e32 v7, 0
	v_mov_b32_e32 v8, 0
	;; [unrolled: 1-line block ×3, first 2 shown]
.LBB205_466:                            ;   in Loop: Header=BB205_13 Depth=1
	s_or_b64 exec, exec, s[44:45]
.LBB205_467:                            ;   in Loop: Header=BB205_13 Depth=1
	s_or_b64 exec, exec, s[42:43]
.LBB205_468:                            ;   in Loop: Header=BB205_13 Depth=1
	s_or_b64 exec, exec, s[40:41]
	v_cmp_ne_u16_sdwa s[42:43], v1, v49 src0_sel:BYTE_1 src1_sel:DWORD
	s_mov_b64 s[40:41], exec
	s_and_b64 s[42:43], s[40:41], s[42:43]
	buffer_store_dword v5, off, s[56:59], 0 offset:824 ; 4-byte Folded Spill
	s_nop 0
	buffer_store_dword v6, off, s[56:59], 0 offset:828 ; 4-byte Folded Spill
	s_mov_b64 exec, s[42:43]
	s_cbranch_execz .LBB205_474
; %bb.469:                              ;   in Loop: Header=BB205_13 Depth=1
	v_mov_b32_e32 v7, v49
	v_cmp_ne_u16_sdwa s[44:45], v1, s52 src0_sel:BYTE_1 src1_sel:DWORD
	v_mov_b32_e32 v8, v50
	s_and_saveexec_b64 s[42:43], s[44:45]
	s_cbranch_execz .LBB205_473
; %bb.470:                              ;   in Loop: Header=BB205_13 Depth=1
	buffer_load_dword v3, off, s[56:59], 0  ; 4-byte Folded Reload
	buffer_load_dword v4, off, s[56:59], 0 offset:4 ; 4-byte Folded Reload
	v_and_b32_sdwa v11, v1, s53 dst_sel:DWORD dst_unused:UNUSED_PAD src0_sel:BYTE_1 src1_sel:DWORD
	s_waitcnt vmcnt(1)
	v_mov_b32_e32 v3, v49
	v_cmp_ne_u32_e32 vcc, s53, v11
	s_waitcnt vmcnt(0)
	v_mov_b32_e32 v5, v4
	buffer_store_dword v4, off, s[56:59], 0 ; 4-byte Folded Spill
	s_nop 0
	buffer_store_dword v5, off, s[56:59], 0 offset:4 ; 4-byte Folded Spill
	v_mov_b32_e32 v8, v4
	v_mov_b32_e32 v7, v3
	s_and_saveexec_b64 s[44:45], vcc
	s_cbranch_execz .LBB205_472
; %bb.471:                              ;   in Loop: Header=BB205_13 Depth=1
	v_mov_b32_e32 v0, 7
	v_and_b32_sdwa v9, v1, v0 dst_sel:DWORD dst_unused:UNUSED_PAD src0_sel:BYTE_1 src1_sel:DWORD
	v_lshrrev_b32_e32 v12, 3, v11
	v_cmp_gt_u32_e32 vcc, 8, v11
	v_ffbh_u32_e32 v11, v9
	v_min_u32_e32 v13, 32, v11
	v_mov_b32_e32 v10, v49
	v_subrev_u32_e32 v11, 28, v13
	v_lshlrev_b64 v[10:11], v11, v[9:10]
	v_sub_u32_e32 v11, 29, v13
	v_and_b32_e32 v10, 7, v10
	v_cndmask_b32_e32 v11, v12, v11, vcc
	v_bfrev_b32_e32 v0, 60
	v_cndmask_b32_e32 v9, v9, v10, vcc
	v_lshlrev_b32_e32 v1, 16, v1
	v_lshl_add_u32 v10, v11, 23, v0
	v_and_or_b32 v1, v1, s54, v10
	v_lshlrev_b32_e32 v9, 20, v9
	v_or_b32_e32 v8, v1, v9
	v_mov_b32_e32 v7, v49
.LBB205_472:                            ;   in Loop: Header=BB205_13 Depth=1
	s_or_b64 exec, exec, s[44:45]
.LBB205_473:                            ;   in Loop: Header=BB205_13 Depth=1
	s_or_b64 exec, exec, s[42:43]
.LBB205_474:                            ;   in Loop: Header=BB205_13 Depth=1
	s_or_b64 exec, exec, s[40:41]
	buffer_load_dword v0, off, s[56:59], 0 offset:40 ; 4-byte Folded Reload
	v_mov_b32_e32 v13, 0
	v_mov_b32_e32 v59, 0
	;; [unrolled: 1-line block ×4, first 2 shown]
	s_waitcnt vmcnt(0)
	v_add_co_u32_e32 v11, vcc, v2, v0
	v_addc_co_u32_e32 v12, vcc, 0, v15, vcc
	global_load_ushort v11, v[11:12], off
	s_waitcnt vmcnt(0)
	v_and_b32_e32 v1, 0xffff, v11
	v_cmp_ne_u16_sdwa s[42:43], v11, v49 src0_sel:BYTE_0 src1_sel:DWORD
	s_and_saveexec_b64 s[40:41], s[42:43]
	s_cbranch_execz .LBB205_480
; %bb.475:                              ;   in Loop: Header=BB205_13 Depth=1
	v_bfrev_b32_e32 v59, 1
	v_mov_b32_e32 v60, 0
	v_cmp_ne_u16_sdwa s[44:45], v1, s52 src0_sel:BYTE_0 src1_sel:DWORD
	s_and_saveexec_b64 s[42:43], s[44:45]
	s_cbranch_execz .LBB205_479
; %bb.476:                              ;   in Loop: Header=BB205_13 Depth=1
	v_and_b32_e32 v16, 0x7f, v1
	v_mov_b32_e32 v59, 0x7f800001
	v_mov_b32_e32 v60, 0
	v_cmp_ne_u32_e32 vcc, s53, v16
	s_and_saveexec_b64 s[44:45], vcc
	s_cbranch_execz .LBB205_478
; %bb.477:                              ;   in Loop: Header=BB205_13 Depth=1
	v_and_b32_e32 v17, 7, v1
	v_ffbh_u32_e32 v11, v17
	v_lshrrev_b32_e32 v18, 3, v16
	v_cmp_gt_u32_e32 vcc, 8, v16
	v_min_u32_e32 v16, 32, v11
	v_subrev_u32_e32 v11, 28, v16
	v_lshlrev_b64 v[11:12], v11, v[1:2]
	v_sub_u32_e32 v12, 29, v16
	v_and_b32_e32 v11, 7, v11
	v_cndmask_b32_e32 v12, v18, v12, vcc
	v_cndmask_b32_e32 v11, v17, v11, vcc
	v_bfrev_b32_e32 v0, 60
	v_lshlrev_b32_e32 v11, 20, v11
	v_and_b32_sdwa v16, sext(v1), s54 dst_sel:DWORD dst_unused:UNUSED_PAD src0_sel:BYTE_0 src1_sel:DWORD
	v_lshl_add_u32 v12, v12, 23, v0
	v_or3_b32 v59, v16, v12, v11
	v_mov_b32_e32 v60, v49
.LBB205_478:                            ;   in Loop: Header=BB205_13 Depth=1
	s_or_b64 exec, exec, s[44:45]
.LBB205_479:                            ;   in Loop: Header=BB205_13 Depth=1
	s_or_b64 exec, exec, s[42:43]
.LBB205_480:                            ;   in Loop: Header=BB205_13 Depth=1
	s_or_b64 exec, exec, s[40:41]
	v_cmp_ne_u16_sdwa s[42:43], v1, v49 src0_sel:BYTE_1 src1_sel:DWORD
	s_and_saveexec_b64 s[40:41], s[42:43]
	s_cbranch_execz .LBB205_486
; %bb.481:                              ;   in Loop: Header=BB205_13 Depth=1
	v_mov_b32_e32 v13, v49
	v_cmp_ne_u16_sdwa s[44:45], v1, s52 src0_sel:BYTE_1 src1_sel:DWORD
	v_mov_b32_e32 v14, v50
	s_and_saveexec_b64 s[42:43], s[44:45]
	s_cbranch_execz .LBB205_485
; %bb.482:                              ;   in Loop: Header=BB205_13 Depth=1
	buffer_load_dword v13, off, s[56:59], 0 ; 4-byte Folded Reload
	buffer_load_dword v14, off, s[56:59], 0 offset:4 ; 4-byte Folded Reload
	v_and_b32_sdwa v16, v1, s53 dst_sel:DWORD dst_unused:UNUSED_PAD src0_sel:BYTE_1 src1_sel:DWORD
	v_cmp_ne_u32_e32 vcc, s53, v16
	s_waitcnt vmcnt(1)
	v_mov_b32_e32 v13, v49
	s_waitcnt vmcnt(0)
	v_mov_b32_e32 v9, v14
	buffer_store_dword v8, off, s[56:59], 0 ; 4-byte Folded Spill
	s_nop 0
	buffer_store_dword v9, off, s[56:59], 0 offset:4 ; 4-byte Folded Spill
	s_and_saveexec_b64 s[44:45], vcc
	s_cbranch_execz .LBB205_484
; %bb.483:                              ;   in Loop: Header=BB205_13 Depth=1
	v_mov_b32_e32 v0, 7
	v_and_b32_sdwa v13, v1, v0 dst_sel:DWORD dst_unused:UNUSED_PAD src0_sel:BYTE_1 src1_sel:DWORD
	v_lshrrev_b32_e32 v18, 3, v16
	v_cmp_gt_u32_e32 vcc, 8, v16
	v_ffbh_u32_e32 v16, v13
	v_min_u32_e32 v19, 32, v16
	v_mov_b32_e32 v14, v49
	v_subrev_u32_e32 v16, 28, v19
	v_lshlrev_b64 v[16:17], v16, v[13:14]
	v_sub_u32_e32 v14, 29, v19
	v_and_b32_e32 v16, 7, v16
	v_cndmask_b32_e32 v14, v18, v14, vcc
	v_bfrev_b32_e32 v0, 60
	v_cndmask_b32_e32 v13, v13, v16, vcc
	v_lshlrev_b32_e32 v1, 16, v1
	v_lshl_add_u32 v14, v14, 23, v0
	v_and_or_b32 v1, v1, s54, v14
	v_lshlrev_b32_e32 v13, 20, v13
	v_or_b32_e32 v14, v1, v13
	v_mov_b32_e32 v13, v49
.LBB205_484:                            ;   in Loop: Header=BB205_13 Depth=1
	s_or_b64 exec, exec, s[44:45]
.LBB205_485:                            ;   in Loop: Header=BB205_13 Depth=1
	s_or_b64 exec, exec, s[42:43]
.LBB205_486:                            ;   in Loop: Header=BB205_13 Depth=1
	s_or_b64 exec, exec, s[40:41]
	buffer_load_dword v0, off, s[56:59], 0 offset:44 ; 4-byte Folded Reload
	v_mov_b32_e32 v17, 0
	v_mov_b32_e32 v10, 0
	;; [unrolled: 1-line block ×4, first 2 shown]
	s_waitcnt vmcnt(0)
	v_add_co_u32_e32 v1, vcc, v2, v0
	v_addc_co_u32_e32 v2, vcc, 0, v15, vcc
	global_load_ushort v2, v[1:2], off
	s_waitcnt vmcnt(0)
	v_and_b32_e32 v1, 0xffff, v2
	v_cmp_ne_u16_sdwa s[42:43], v2, v49 src0_sel:BYTE_0 src1_sel:DWORD
	s_and_saveexec_b64 s[40:41], s[42:43]
	s_cbranch_execz .LBB205_492
; %bb.487:                              ;   in Loop: Header=BB205_13 Depth=1
	v_bfrev_b32_e32 v10, 1
	v_mov_b32_e32 v11, 0
	v_cmp_ne_u16_sdwa s[44:45], v1, s52 src0_sel:BYTE_0 src1_sel:DWORD
	s_and_saveexec_b64 s[42:43], s[44:45]
	s_cbranch_execz .LBB205_491
; %bb.488:                              ;   in Loop: Header=BB205_13 Depth=1
	v_and_b32_e32 v2, 0x7f, v1
	v_mov_b32_e32 v10, 0x7f800001
	v_mov_b32_e32 v11, 0
	v_cmp_ne_u32_e32 vcc, s53, v2
	s_and_saveexec_b64 s[44:45], vcc
	s_cbranch_execz .LBB205_490
; %bb.489:                              ;   in Loop: Header=BB205_13 Depth=1
	v_and_b32_e32 v19, 7, v1
	v_lshrrev_b32_e32 v20, 3, v2
	v_cmp_gt_u32_e32 vcc, 8, v2
	v_ffbh_u32_e32 v2, v19
	v_min_u32_e32 v2, 32, v2
	v_subrev_u32_e32 v15, 28, v2
	v_lshlrev_b64 v[15:16], v15, v[1:2]
	v_sub_u32_e32 v2, 29, v2
	v_and_b32_e32 v15, 7, v15
	v_cndmask_b32_e32 v2, v20, v2, vcc
	v_cndmask_b32_e32 v15, v19, v15, vcc
	v_bfrev_b32_e32 v0, 60
	v_lshlrev_b32_e32 v15, 20, v15
	v_and_b32_sdwa v16, sext(v1), s54 dst_sel:DWORD dst_unused:UNUSED_PAD src0_sel:BYTE_0 src1_sel:DWORD
	v_lshl_add_u32 v2, v2, 23, v0
	v_or3_b32 v10, v16, v2, v15
	v_mov_b32_e32 v11, v49
.LBB205_490:                            ;   in Loop: Header=BB205_13 Depth=1
	s_or_b64 exec, exec, s[44:45]
.LBB205_491:                            ;   in Loop: Header=BB205_13 Depth=1
	s_or_b64 exec, exec, s[42:43]
.LBB205_492:                            ;   in Loop: Header=BB205_13 Depth=1
	s_or_b64 exec, exec, s[40:41]
	v_cmp_ne_u16_sdwa s[42:43], v1, v49 src0_sel:BYTE_1 src1_sel:DWORD
	s_and_saveexec_b64 s[40:41], s[42:43]
	s_cbranch_execz .LBB205_498
; %bb.493:                              ;   in Loop: Header=BB205_13 Depth=1
	v_mov_b32_e32 v17, v49
	v_cmp_ne_u16_sdwa s[44:45], v1, s52 src0_sel:BYTE_1 src1_sel:DWORD
	v_mov_b32_e32 v18, v50
	s_and_saveexec_b64 s[42:43], s[44:45]
	s_cbranch_execz .LBB205_497
; %bb.494:                              ;   in Loop: Header=BB205_13 Depth=1
	buffer_load_dword v17, off, s[56:59], 0 ; 4-byte Folded Reload
	buffer_load_dword v18, off, s[56:59], 0 offset:4 ; 4-byte Folded Reload
	v_and_b32_sdwa v2, v1, s53 dst_sel:DWORD dst_unused:UNUSED_PAD src0_sel:BYTE_1 src1_sel:DWORD
	v_cmp_ne_u32_e32 vcc, s53, v2
	s_waitcnt vmcnt(1)
	v_mov_b32_e32 v17, v49
	s_waitcnt vmcnt(0)
	v_mov_b32_e32 v9, v18
	buffer_store_dword v8, off, s[56:59], 0 ; 4-byte Folded Spill
	s_nop 0
	buffer_store_dword v9, off, s[56:59], 0 offset:4 ; 4-byte Folded Spill
	s_and_saveexec_b64 s[44:45], vcc
	s_cbranch_execz .LBB205_496
; %bb.495:                              ;   in Loop: Header=BB205_13 Depth=1
	v_mov_b32_e32 v0, 7
	v_and_b32_sdwa v17, v1, v0 dst_sel:DWORD dst_unused:UNUSED_PAD src0_sel:BYTE_1 src1_sel:DWORD
	v_lshrrev_b32_e32 v20, 3, v2
	v_cmp_gt_u32_e32 vcc, 8, v2
	v_ffbh_u32_e32 v2, v17
	v_min_u32_e32 v2, 32, v2
	v_mov_b32_e32 v18, v49
	v_subrev_u32_e32 v19, 28, v2
	v_lshlrev_b64 v[18:19], v19, v[17:18]
	v_sub_u32_e32 v2, 29, v2
	v_and_b32_e32 v18, 7, v18
	v_cndmask_b32_e32 v2, v20, v2, vcc
	v_bfrev_b32_e32 v0, 60
	v_cndmask_b32_e32 v17, v17, v18, vcc
	v_lshlrev_b32_e32 v1, 16, v1
	v_lshl_add_u32 v2, v2, 23, v0
	v_and_or_b32 v1, v1, s54, v2
	v_lshlrev_b32_e32 v2, 20, v17
	v_or_b32_e32 v18, v1, v2
	v_mov_b32_e32 v17, v49
.LBB205_496:                            ;   in Loop: Header=BB205_13 Depth=1
	s_or_b64 exec, exec, s[44:45]
.LBB205_497:                            ;   in Loop: Header=BB205_13 Depth=1
	s_or_b64 exec, exec, s[42:43]
.LBB205_498:                            ;   in Loop: Header=BB205_13 Depth=1
	s_or_b64 exec, exec, s[40:41]
	buffer_load_dword v0, off, s[56:59], 0 offset:16 ; 4-byte Folded Reload
	v_add_co_u32_e32 v2, vcc, 0x1400, v51
	v_addc_co_u32_e32 v29, vcc, 0, v52, vcc
	v_mov_b32_e32 v61, 0
	v_mov_b32_e32 v62, 0
	s_waitcnt vmcnt(0)
	v_add_co_u32_e32 v19, vcc, v2, v0
	v_addc_co_u32_e32 v20, vcc, 0, v29, vcc
	global_load_ushort v19, v[19:20], off
	s_waitcnt vmcnt(0)
	v_and_b32_e32 v1, 0xffff, v19
	v_cmp_ne_u16_sdwa s[42:43], v19, v49 src0_sel:BYTE_0 src1_sel:DWORD
	v_mov_b32_e32 v19, 0
	v_mov_b32_e32 v20, 0
	s_and_saveexec_b64 s[40:41], s[42:43]
	s_cbranch_execz .LBB205_504
; %bb.499:                              ;   in Loop: Header=BB205_13 Depth=1
	v_bfrev_b32_e32 v19, 1
	v_mov_b32_e32 v20, 0
	v_cmp_ne_u16_sdwa s[44:45], v1, s52 src0_sel:BYTE_0 src1_sel:DWORD
	s_and_saveexec_b64 s[42:43], s[44:45]
	s_cbranch_execz .LBB205_503
; %bb.500:                              ;   in Loop: Header=BB205_13 Depth=1
	v_and_b32_e32 v21, 0x7f, v1
	v_mov_b32_e32 v19, 0x7f800001
	v_mov_b32_e32 v20, 0
	v_cmp_ne_u32_e32 vcc, s53, v21
	s_and_saveexec_b64 s[44:45], vcc
	s_cbranch_execz .LBB205_502
; %bb.501:                              ;   in Loop: Header=BB205_13 Depth=1
	v_and_b32_e32 v22, 7, v1
	v_ffbh_u32_e32 v19, v22
	v_lshrrev_b32_e32 v23, 3, v21
	v_cmp_gt_u32_e32 vcc, 8, v21
	v_min_u32_e32 v21, 32, v19
	v_subrev_u32_e32 v19, 28, v21
	v_lshlrev_b64 v[19:20], v19, v[1:2]
	v_sub_u32_e32 v20, 29, v21
	v_and_b32_e32 v19, 7, v19
	v_cndmask_b32_e32 v20, v23, v20, vcc
	v_cndmask_b32_e32 v19, v22, v19, vcc
	v_bfrev_b32_e32 v0, 60
	v_lshlrev_b32_e32 v19, 20, v19
	v_and_b32_sdwa v21, sext(v1), s54 dst_sel:DWORD dst_unused:UNUSED_PAD src0_sel:BYTE_0 src1_sel:DWORD
	v_lshl_add_u32 v20, v20, 23, v0
	v_or3_b32 v19, v21, v20, v19
	v_mov_b32_e32 v20, v49
.LBB205_502:                            ;   in Loop: Header=BB205_13 Depth=1
	s_or_b64 exec, exec, s[44:45]
.LBB205_503:                            ;   in Loop: Header=BB205_13 Depth=1
	s_or_b64 exec, exec, s[42:43]
.LBB205_504:                            ;   in Loop: Header=BB205_13 Depth=1
	s_or_b64 exec, exec, s[40:41]
	v_cmp_ne_u16_sdwa s[42:43], v1, v49 src0_sel:BYTE_1 src1_sel:DWORD
	s_and_saveexec_b64 s[40:41], s[42:43]
	s_cbranch_execz .LBB205_510
; %bb.505:                              ;   in Loop: Header=BB205_13 Depth=1
	v_mov_b32_e32 v62, v50
	v_cmp_ne_u16_sdwa s[44:45], v1, s52 src0_sel:BYTE_1 src1_sel:DWORD
	v_mov_b32_e32 v61, v49
	s_and_saveexec_b64 s[42:43], s[44:45]
	s_cbranch_execz .LBB205_509
; %bb.506:                              ;   in Loop: Header=BB205_13 Depth=1
	buffer_load_dword v61, off, s[56:59], 0 ; 4-byte Folded Reload
	buffer_load_dword v62, off, s[56:59], 0 offset:4 ; 4-byte Folded Reload
	v_and_b32_sdwa v21, v1, s53 dst_sel:DWORD dst_unused:UNUSED_PAD src0_sel:BYTE_1 src1_sel:DWORD
	v_cmp_ne_u32_e32 vcc, s53, v21
	s_waitcnt vmcnt(1)
	v_mov_b32_e32 v61, v49
	s_waitcnt vmcnt(0)
	v_mov_b32_e32 v9, v62
	buffer_store_dword v8, off, s[56:59], 0 ; 4-byte Folded Spill
	s_nop 0
	buffer_store_dword v9, off, s[56:59], 0 offset:4 ; 4-byte Folded Spill
	s_and_saveexec_b64 s[44:45], vcc
	s_cbranch_execz .LBB205_508
; %bb.507:                              ;   in Loop: Header=BB205_13 Depth=1
	v_mov_b32_e32 v0, 7
	v_and_b32_sdwa v22, v1, v0 dst_sel:DWORD dst_unused:UNUSED_PAD src0_sel:BYTE_1 src1_sel:DWORD
	v_lshrrev_b32_e32 v25, 3, v21
	v_cmp_gt_u32_e32 vcc, 8, v21
	v_ffbh_u32_e32 v21, v22
	v_min_u32_e32 v21, 32, v21
	v_mov_b32_e32 v23, v49
	v_subrev_u32_e32 v24, 28, v21
	v_lshlrev_b64 v[23:24], v24, v[22:23]
	v_sub_u32_e32 v21, 29, v21
	v_and_b32_e32 v23, 7, v23
	v_cndmask_b32_e32 v21, v25, v21, vcc
	v_bfrev_b32_e32 v0, 60
	v_cndmask_b32_e32 v22, v22, v23, vcc
	v_lshlrev_b32_e32 v1, 16, v1
	v_lshl_add_u32 v21, v21, 23, v0
	v_and_or_b32 v1, v1, s54, v21
	v_lshlrev_b32_e32 v21, 20, v22
	v_or_b32_e32 v62, v1, v21
	v_mov_b32_e32 v61, v49
.LBB205_508:                            ;   in Loop: Header=BB205_13 Depth=1
	s_or_b64 exec, exec, s[44:45]
.LBB205_509:                            ;   in Loop: Header=BB205_13 Depth=1
	s_or_b64 exec, exec, s[42:43]
.LBB205_510:                            ;   in Loop: Header=BB205_13 Depth=1
	s_or_b64 exec, exec, s[40:41]
	buffer_load_dword v0, off, s[56:59], 0 offset:36 ; 4-byte Folded Reload
	v_mov_b32_e32 v23, 0
	v_mov_b32_e32 v24, 0
	s_waitcnt vmcnt(0)
	v_add_co_u32_e32 v21, vcc, v2, v0
	v_addc_co_u32_e32 v22, vcc, 0, v29, vcc
	global_load_ushort v21, v[21:22], off
	s_waitcnt vmcnt(0)
	v_and_b32_e32 v1, 0xffff, v21
	v_cmp_ne_u16_sdwa s[42:43], v21, v49 src0_sel:BYTE_0 src1_sel:DWORD
	v_mov_b32_e32 v21, 0
	v_mov_b32_e32 v22, 0
	s_and_saveexec_b64 s[40:41], s[42:43]
	s_cbranch_execz .LBB205_516
; %bb.511:                              ;   in Loop: Header=BB205_13 Depth=1
	v_bfrev_b32_e32 v21, 1
	v_mov_b32_e32 v22, 0
	v_cmp_ne_u16_sdwa s[44:45], v1, s52 src0_sel:BYTE_0 src1_sel:DWORD
	s_and_saveexec_b64 s[42:43], s[44:45]
	s_cbranch_execz .LBB205_515
; %bb.512:                              ;   in Loop: Header=BB205_13 Depth=1
	v_and_b32_e32 v25, 0x7f, v1
	v_mov_b32_e32 v21, 0x7f800001
	v_mov_b32_e32 v22, 0
	v_cmp_ne_u32_e32 vcc, s53, v25
	s_and_saveexec_b64 s[44:45], vcc
	s_cbranch_execz .LBB205_514
; %bb.513:                              ;   in Loop: Header=BB205_13 Depth=1
	v_and_b32_e32 v26, 7, v1
	v_ffbh_u32_e32 v21, v26
	v_lshrrev_b32_e32 v27, 3, v25
	v_cmp_gt_u32_e32 vcc, 8, v25
	v_min_u32_e32 v25, 32, v21
	v_subrev_u32_e32 v21, 28, v25
	v_lshlrev_b64 v[21:22], v21, v[1:2]
	v_sub_u32_e32 v22, 29, v25
	v_and_b32_e32 v21, 7, v21
	v_cndmask_b32_e32 v22, v27, v22, vcc
	v_cndmask_b32_e32 v21, v26, v21, vcc
	v_bfrev_b32_e32 v0, 60
	v_lshlrev_b32_e32 v21, 20, v21
	v_and_b32_sdwa v25, sext(v1), s54 dst_sel:DWORD dst_unused:UNUSED_PAD src0_sel:BYTE_0 src1_sel:DWORD
	v_lshl_add_u32 v22, v22, 23, v0
	v_or3_b32 v21, v25, v22, v21
	v_mov_b32_e32 v22, v49
.LBB205_514:                            ;   in Loop: Header=BB205_13 Depth=1
	s_or_b64 exec, exec, s[44:45]
.LBB205_515:                            ;   in Loop: Header=BB205_13 Depth=1
	s_or_b64 exec, exec, s[42:43]
.LBB205_516:                            ;   in Loop: Header=BB205_13 Depth=1
	s_or_b64 exec, exec, s[40:41]
	v_cmp_ne_u16_sdwa s[42:43], v1, v49 src0_sel:BYTE_1 src1_sel:DWORD
	s_and_saveexec_b64 s[40:41], s[42:43]
	s_cbranch_execz .LBB205_522
; %bb.517:                              ;   in Loop: Header=BB205_13 Depth=1
	v_mov_b32_e32 v23, v49
	v_cmp_ne_u16_sdwa s[44:45], v1, s52 src0_sel:BYTE_1 src1_sel:DWORD
	v_mov_b32_e32 v24, v50
	s_and_saveexec_b64 s[42:43], s[44:45]
	s_cbranch_execz .LBB205_521
; %bb.518:                              ;   in Loop: Header=BB205_13 Depth=1
	buffer_load_dword v23, off, s[56:59], 0 ; 4-byte Folded Reload
	buffer_load_dword v24, off, s[56:59], 0 offset:4 ; 4-byte Folded Reload
	v_and_b32_sdwa v25, v1, s53 dst_sel:DWORD dst_unused:UNUSED_PAD src0_sel:BYTE_1 src1_sel:DWORD
	v_cmp_ne_u32_e32 vcc, s53, v25
	s_waitcnt vmcnt(1)
	v_mov_b32_e32 v23, v49
	s_waitcnt vmcnt(0)
	v_mov_b32_e32 v9, v24
	buffer_store_dword v8, off, s[56:59], 0 ; 4-byte Folded Spill
	s_nop 0
	buffer_store_dword v9, off, s[56:59], 0 offset:4 ; 4-byte Folded Spill
	s_and_saveexec_b64 s[44:45], vcc
	s_cbranch_execz .LBB205_520
; %bb.519:                              ;   in Loop: Header=BB205_13 Depth=1
	v_mov_b32_e32 v0, 7
	v_and_b32_sdwa v23, v1, v0 dst_sel:DWORD dst_unused:UNUSED_PAD src0_sel:BYTE_1 src1_sel:DWORD
	v_lshrrev_b32_e32 v26, 3, v25
	v_cmp_gt_u32_e32 vcc, 8, v25
	v_ffbh_u32_e32 v25, v23
	v_min_u32_e32 v27, 32, v25
	v_mov_b32_e32 v24, v49
	v_subrev_u32_e32 v25, 28, v27
	v_lshlrev_b64 v[24:25], v25, v[23:24]
	v_sub_u32_e32 v25, 29, v27
	v_and_b32_e32 v24, 7, v24
	v_cndmask_b32_e32 v25, v26, v25, vcc
	v_bfrev_b32_e32 v0, 60
	v_cndmask_b32_e32 v23, v23, v24, vcc
	v_lshlrev_b32_e32 v1, 16, v1
	v_lshl_add_u32 v24, v25, 23, v0
	v_and_or_b32 v1, v1, s54, v24
	v_lshlrev_b32_e32 v23, 20, v23
	v_or_b32_e32 v24, v1, v23
	v_mov_b32_e32 v23, v49
.LBB205_520:                            ;   in Loop: Header=BB205_13 Depth=1
	s_or_b64 exec, exec, s[44:45]
.LBB205_521:                            ;   in Loop: Header=BB205_13 Depth=1
	s_or_b64 exec, exec, s[42:43]
.LBB205_522:                            ;   in Loop: Header=BB205_13 Depth=1
	s_or_b64 exec, exec, s[40:41]
	buffer_load_dword v0, off, s[56:59], 0 offset:40 ; 4-byte Folded Reload
	v_mov_b32_e32 v27, 0
	v_mov_b32_e32 v28, 0
	s_waitcnt vmcnt(0)
	v_add_co_u32_e32 v25, vcc, v2, v0
	v_addc_co_u32_e32 v26, vcc, 0, v29, vcc
	global_load_ushort v25, v[25:26], off
	s_waitcnt vmcnt(0)
	v_and_b32_e32 v1, 0xffff, v25
	v_cmp_ne_u16_sdwa s[42:43], v25, v49 src0_sel:BYTE_0 src1_sel:DWORD
	v_mov_b32_e32 v25, 0
	v_mov_b32_e32 v26, 0
	s_and_saveexec_b64 s[40:41], s[42:43]
	s_cbranch_execz .LBB205_528
; %bb.523:                              ;   in Loop: Header=BB205_13 Depth=1
	v_bfrev_b32_e32 v25, 1
	v_mov_b32_e32 v26, 0
	v_cmp_ne_u16_sdwa s[44:45], v1, s52 src0_sel:BYTE_0 src1_sel:DWORD
	s_and_saveexec_b64 s[42:43], s[44:45]
	s_cbranch_execz .LBB205_527
; %bb.524:                              ;   in Loop: Header=BB205_13 Depth=1
	v_and_b32_e32 v30, 0x7f, v1
	v_mov_b32_e32 v25, 0x7f800001
	v_mov_b32_e32 v26, 0
	v_cmp_ne_u32_e32 vcc, s53, v30
	s_and_saveexec_b64 s[44:45], vcc
	s_cbranch_execz .LBB205_526
; %bb.525:                              ;   in Loop: Header=BB205_13 Depth=1
	v_and_b32_e32 v31, 7, v1
	v_ffbh_u32_e32 v25, v31
	v_lshrrev_b32_e32 v32, 3, v30
	v_cmp_gt_u32_e32 vcc, 8, v30
	v_min_u32_e32 v30, 32, v25
	v_subrev_u32_e32 v25, 28, v30
	v_lshlrev_b64 v[25:26], v25, v[1:2]
	v_sub_u32_e32 v26, 29, v30
	v_and_b32_e32 v25, 7, v25
	v_cndmask_b32_e32 v26, v32, v26, vcc
	v_cndmask_b32_e32 v25, v31, v25, vcc
	v_bfrev_b32_e32 v0, 60
	v_lshlrev_b32_e32 v25, 20, v25
	v_and_b32_sdwa v30, sext(v1), s54 dst_sel:DWORD dst_unused:UNUSED_PAD src0_sel:BYTE_0 src1_sel:DWORD
	v_lshl_add_u32 v26, v26, 23, v0
	v_or3_b32 v25, v30, v26, v25
	v_mov_b32_e32 v26, v49
.LBB205_526:                            ;   in Loop: Header=BB205_13 Depth=1
	s_or_b64 exec, exec, s[44:45]
.LBB205_527:                            ;   in Loop: Header=BB205_13 Depth=1
	s_or_b64 exec, exec, s[42:43]
.LBB205_528:                            ;   in Loop: Header=BB205_13 Depth=1
	s_or_b64 exec, exec, s[40:41]
	v_cmp_ne_u16_sdwa s[42:43], v1, v49 src0_sel:BYTE_1 src1_sel:DWORD
	s_and_saveexec_b64 s[40:41], s[42:43]
	s_cbranch_execz .LBB205_534
; %bb.529:                              ;   in Loop: Header=BB205_13 Depth=1
	v_mov_b32_e32 v27, v49
	v_cmp_ne_u16_sdwa s[44:45], v1, s52 src0_sel:BYTE_1 src1_sel:DWORD
	v_mov_b32_e32 v28, v50
	s_and_saveexec_b64 s[42:43], s[44:45]
	s_cbranch_execz .LBB205_533
; %bb.530:                              ;   in Loop: Header=BB205_13 Depth=1
	buffer_load_dword v27, off, s[56:59], 0 ; 4-byte Folded Reload
	buffer_load_dword v28, off, s[56:59], 0 offset:4 ; 4-byte Folded Reload
	v_and_b32_sdwa v30, v1, s53 dst_sel:DWORD dst_unused:UNUSED_PAD src0_sel:BYTE_1 src1_sel:DWORD
	v_cmp_ne_u32_e32 vcc, s53, v30
	s_waitcnt vmcnt(1)
	v_mov_b32_e32 v27, v49
	s_waitcnt vmcnt(0)
	v_mov_b32_e32 v9, v28
	buffer_store_dword v8, off, s[56:59], 0 ; 4-byte Folded Spill
	s_nop 0
	buffer_store_dword v9, off, s[56:59], 0 offset:4 ; 4-byte Folded Spill
	s_and_saveexec_b64 s[44:45], vcc
	s_cbranch_execz .LBB205_532
; %bb.531:                              ;   in Loop: Header=BB205_13 Depth=1
	v_mov_b32_e32 v0, 7
	v_and_b32_sdwa v27, v1, v0 dst_sel:DWORD dst_unused:UNUSED_PAD src0_sel:BYTE_1 src1_sel:DWORD
	v_lshrrev_b32_e32 v32, 3, v30
	v_cmp_gt_u32_e32 vcc, 8, v30
	v_ffbh_u32_e32 v30, v27
	v_min_u32_e32 v33, 32, v30
	v_mov_b32_e32 v28, v49
	v_subrev_u32_e32 v30, 28, v33
	v_lshlrev_b64 v[30:31], v30, v[27:28]
	v_sub_u32_e32 v28, 29, v33
	v_and_b32_e32 v30, 7, v30
	v_cndmask_b32_e32 v28, v32, v28, vcc
	v_bfrev_b32_e32 v0, 60
	v_cndmask_b32_e32 v27, v27, v30, vcc
	v_lshlrev_b32_e32 v1, 16, v1
	v_lshl_add_u32 v28, v28, 23, v0
	v_and_or_b32 v1, v1, s54, v28
	v_lshlrev_b32_e32 v27, 20, v27
	v_or_b32_e32 v28, v1, v27
	v_mov_b32_e32 v27, v49
.LBB205_532:                            ;   in Loop: Header=BB205_13 Depth=1
	s_or_b64 exec, exec, s[44:45]
.LBB205_533:                            ;   in Loop: Header=BB205_13 Depth=1
	s_or_b64 exec, exec, s[42:43]
.LBB205_534:                            ;   in Loop: Header=BB205_13 Depth=1
	s_or_b64 exec, exec, s[40:41]
	buffer_load_dword v0, off, s[56:59], 0 offset:44 ; 4-byte Folded Reload
	v_mov_b32_e32 v31, 0
	v_mov_b32_e32 v32, 0
	s_waitcnt vmcnt(0)
	v_add_co_u32_e32 v1, vcc, v2, v0
	v_addc_co_u32_e32 v2, vcc, 0, v29, vcc
	global_load_ushort v2, v[1:2], off
	v_mov_b32_e32 v29, 0
	v_mov_b32_e32 v30, 0
	s_waitcnt vmcnt(0)
	v_and_b32_e32 v1, 0xffff, v2
	v_cmp_ne_u16_sdwa s[42:43], v2, v49 src0_sel:BYTE_0 src1_sel:DWORD
	s_and_saveexec_b64 s[40:41], s[42:43]
	s_cbranch_execz .LBB205_540
; %bb.535:                              ;   in Loop: Header=BB205_13 Depth=1
	v_bfrev_b32_e32 v29, 1
	v_mov_b32_e32 v30, 0
	v_cmp_ne_u16_sdwa s[44:45], v1, s52 src0_sel:BYTE_0 src1_sel:DWORD
	s_and_saveexec_b64 s[42:43], s[44:45]
	s_cbranch_execz .LBB205_539
; %bb.536:                              ;   in Loop: Header=BB205_13 Depth=1
	v_and_b32_e32 v2, 0x7f, v1
	v_mov_b32_e32 v29, 0x7f800001
	v_mov_b32_e32 v30, 0
	v_cmp_ne_u32_e32 vcc, s53, v2
	s_and_saveexec_b64 s[44:45], vcc
	s_cbranch_execz .LBB205_538
; %bb.537:                              ;   in Loop: Header=BB205_13 Depth=1
	v_and_b32_e32 v33, 7, v1
	v_lshrrev_b32_e32 v34, 3, v2
	v_cmp_gt_u32_e32 vcc, 8, v2
	v_ffbh_u32_e32 v2, v33
	v_min_u32_e32 v2, 32, v2
	v_subrev_u32_e32 v29, 28, v2
	v_lshlrev_b64 v[29:30], v29, v[1:2]
	v_sub_u32_e32 v2, 29, v2
	v_and_b32_e32 v29, 7, v29
	v_cndmask_b32_e32 v2, v34, v2, vcc
	v_cndmask_b32_e32 v29, v33, v29, vcc
	v_bfrev_b32_e32 v0, 60
	v_lshlrev_b32_e32 v29, 20, v29
	v_and_b32_sdwa v30, sext(v1), s54 dst_sel:DWORD dst_unused:UNUSED_PAD src0_sel:BYTE_0 src1_sel:DWORD
	v_lshl_add_u32 v2, v2, 23, v0
	v_or3_b32 v29, v30, v2, v29
	v_mov_b32_e32 v30, v49
.LBB205_538:                            ;   in Loop: Header=BB205_13 Depth=1
	s_or_b64 exec, exec, s[44:45]
.LBB205_539:                            ;   in Loop: Header=BB205_13 Depth=1
	s_or_b64 exec, exec, s[42:43]
.LBB205_540:                            ;   in Loop: Header=BB205_13 Depth=1
	s_or_b64 exec, exec, s[40:41]
	v_cmp_ne_u16_sdwa s[42:43], v1, v49 src0_sel:BYTE_1 src1_sel:DWORD
	s_and_saveexec_b64 s[40:41], s[42:43]
	s_cbranch_execz .LBB205_546
; %bb.541:                              ;   in Loop: Header=BB205_13 Depth=1
	v_mov_b32_e32 v31, v49
	v_cmp_ne_u16_sdwa s[44:45], v1, s52 src0_sel:BYTE_1 src1_sel:DWORD
	v_mov_b32_e32 v32, v50
	s_and_saveexec_b64 s[42:43], s[44:45]
	s_cbranch_execz .LBB205_545
; %bb.542:                              ;   in Loop: Header=BB205_13 Depth=1
	buffer_load_dword v31, off, s[56:59], 0 ; 4-byte Folded Reload
	buffer_load_dword v32, off, s[56:59], 0 offset:4 ; 4-byte Folded Reload
	v_and_b32_sdwa v2, v1, s53 dst_sel:DWORD dst_unused:UNUSED_PAD src0_sel:BYTE_1 src1_sel:DWORD
	v_cmp_ne_u32_e32 vcc, s53, v2
	s_waitcnt vmcnt(1)
	v_mov_b32_e32 v31, v49
	s_waitcnt vmcnt(0)
	v_mov_b32_e32 v9, v32
	buffer_store_dword v8, off, s[56:59], 0 ; 4-byte Folded Spill
	s_nop 0
	buffer_store_dword v9, off, s[56:59], 0 offset:4 ; 4-byte Folded Spill
	s_and_saveexec_b64 s[44:45], vcc
	s_cbranch_execz .LBB205_544
; %bb.543:                              ;   in Loop: Header=BB205_13 Depth=1
	v_mov_b32_e32 v0, 7
	v_and_b32_sdwa v31, v1, v0 dst_sel:DWORD dst_unused:UNUSED_PAD src0_sel:BYTE_1 src1_sel:DWORD
	v_lshrrev_b32_e32 v34, 3, v2
	v_cmp_gt_u32_e32 vcc, 8, v2
	v_ffbh_u32_e32 v2, v31
	v_min_u32_e32 v2, 32, v2
	v_mov_b32_e32 v32, v49
	v_subrev_u32_e32 v33, 28, v2
	v_lshlrev_b64 v[32:33], v33, v[31:32]
	v_sub_u32_e32 v2, 29, v2
	v_and_b32_e32 v32, 7, v32
	v_cndmask_b32_e32 v2, v34, v2, vcc
	v_bfrev_b32_e32 v0, 60
	v_cndmask_b32_e32 v31, v31, v32, vcc
	v_lshlrev_b32_e32 v1, 16, v1
	v_lshl_add_u32 v2, v2, 23, v0
	v_and_or_b32 v1, v1, s54, v2
	v_lshlrev_b32_e32 v2, 20, v31
	v_or_b32_e32 v32, v1, v2
	v_mov_b32_e32 v31, v49
.LBB205_544:                            ;   in Loop: Header=BB205_13 Depth=1
	s_or_b64 exec, exec, s[44:45]
.LBB205_545:                            ;   in Loop: Header=BB205_13 Depth=1
	s_or_b64 exec, exec, s[42:43]
.LBB205_546:                            ;   in Loop: Header=BB205_13 Depth=1
	s_or_b64 exec, exec, s[40:41]
	buffer_load_dword v0, off, s[56:59], 0 offset:16 ; 4-byte Folded Reload
	v_add_co_u32_e32 v2, vcc, 0x1600, v51
	v_addc_co_u32_e32 v39, vcc, 0, v52, vcc
	v_mov_b32_e32 v55, 0
	v_mov_b32_e32 v51, 0
	;; [unrolled: 1-line block ×4, first 2 shown]
	s_waitcnt vmcnt(0)
	v_add_co_u32_e32 v33, vcc, v2, v0
	v_addc_co_u32_e32 v34, vcc, 0, v39, vcc
	global_load_ushort v33, v[33:34], off
	s_waitcnt vmcnt(0)
	v_and_b32_e32 v1, 0xffff, v33
	v_cmp_ne_u16_sdwa s[42:43], v33, v49 src0_sel:BYTE_0 src1_sel:DWORD
	s_and_saveexec_b64 s[40:41], s[42:43]
	s_cbranch_execz .LBB205_552
; %bb.547:                              ;   in Loop: Header=BB205_13 Depth=1
	v_bfrev_b32_e32 v51, 1
	v_mov_b32_e32 v52, 0
	v_cmp_ne_u16_sdwa s[44:45], v1, s52 src0_sel:BYTE_0 src1_sel:DWORD
	s_and_saveexec_b64 s[42:43], s[44:45]
	s_cbranch_execz .LBB205_551
; %bb.548:                              ;   in Loop: Header=BB205_13 Depth=1
	v_and_b32_e32 v33, 0x7f, v1
	v_mov_b32_e32 v51, 0x7f800001
	v_mov_b32_e32 v52, 0
	v_cmp_ne_u32_e32 vcc, s53, v33
	s_and_saveexec_b64 s[44:45], vcc
	s_cbranch_execz .LBB205_550
; %bb.549:                              ;   in Loop: Header=BB205_13 Depth=1
	v_and_b32_e32 v35, 7, v1
	v_lshrrev_b32_e32 v36, 3, v33
	v_cmp_gt_u32_e32 vcc, 8, v33
	v_ffbh_u32_e32 v33, v35
	v_min_u32_e32 v37, 32, v33
	v_subrev_u32_e32 v33, 28, v37
	v_lshlrev_b64 v[33:34], v33, v[1:2]
	v_sub_u32_e32 v34, 29, v37
	v_and_b32_e32 v33, 7, v33
	v_cndmask_b32_e32 v34, v36, v34, vcc
	v_cndmask_b32_e32 v33, v35, v33, vcc
	v_bfrev_b32_e32 v0, 60
	v_lshlrev_b32_e32 v33, 20, v33
	v_and_b32_sdwa v35, sext(v1), s54 dst_sel:DWORD dst_unused:UNUSED_PAD src0_sel:BYTE_0 src1_sel:DWORD
	v_lshl_add_u32 v34, v34, 23, v0
	v_or3_b32 v51, v35, v34, v33
	v_mov_b32_e32 v52, v49
.LBB205_550:                            ;   in Loop: Header=BB205_13 Depth=1
	s_or_b64 exec, exec, s[44:45]
.LBB205_551:                            ;   in Loop: Header=BB205_13 Depth=1
	s_or_b64 exec, exec, s[42:43]
.LBB205_552:                            ;   in Loop: Header=BB205_13 Depth=1
	s_or_b64 exec, exec, s[40:41]
	v_cmp_ne_u16_sdwa s[42:43], v1, v49 src0_sel:BYTE_1 src1_sel:DWORD
	s_and_saveexec_b64 s[40:41], s[42:43]
	s_cbranch_execz .LBB205_558
; %bb.553:                              ;   in Loop: Header=BB205_13 Depth=1
	v_mov_b32_e32 v56, v50
	v_cmp_ne_u16_sdwa s[44:45], v1, s52 src0_sel:BYTE_1 src1_sel:DWORD
	v_mov_b32_e32 v55, v49
	s_and_saveexec_b64 s[42:43], s[44:45]
	s_cbranch_execz .LBB205_557
; %bb.554:                              ;   in Loop: Header=BB205_13 Depth=1
	buffer_load_dword v55, off, s[56:59], 0 ; 4-byte Folded Reload
	buffer_load_dword v56, off, s[56:59], 0 offset:4 ; 4-byte Folded Reload
	v_and_b32_sdwa v33, v1, s53 dst_sel:DWORD dst_unused:UNUSED_PAD src0_sel:BYTE_1 src1_sel:DWORD
	v_cmp_ne_u32_e32 vcc, s53, v33
	s_waitcnt vmcnt(1)
	v_mov_b32_e32 v55, v49
	s_waitcnt vmcnt(0)
	v_mov_b32_e32 v9, v56
	buffer_store_dword v8, off, s[56:59], 0 ; 4-byte Folded Spill
	s_nop 0
	buffer_store_dword v9, off, s[56:59], 0 offset:4 ; 4-byte Folded Spill
	s_and_saveexec_b64 s[44:45], vcc
	s_cbranch_execz .LBB205_556
; %bb.555:                              ;   in Loop: Header=BB205_13 Depth=1
	v_mov_b32_e32 v0, 7
	v_and_b32_sdwa v34, v1, v0 dst_sel:DWORD dst_unused:UNUSED_PAD src0_sel:BYTE_1 src1_sel:DWORD
	v_lshrrev_b32_e32 v37, 3, v33
	v_cmp_gt_u32_e32 vcc, 8, v33
	v_ffbh_u32_e32 v33, v34
	v_min_u32_e32 v33, 32, v33
	v_mov_b32_e32 v35, v49
	v_subrev_u32_e32 v36, 28, v33
	v_lshlrev_b64 v[35:36], v36, v[34:35]
	v_sub_u32_e32 v33, 29, v33
	v_and_b32_e32 v35, 7, v35
	v_cndmask_b32_e32 v33, v37, v33, vcc
	v_bfrev_b32_e32 v0, 60
	v_cndmask_b32_e32 v34, v34, v35, vcc
	v_lshlrev_b32_e32 v1, 16, v1
	v_lshl_add_u32 v33, v33, 23, v0
	v_and_or_b32 v1, v1, s54, v33
	v_lshlrev_b32_e32 v33, 20, v34
	v_or_b32_e32 v56, v1, v33
	v_mov_b32_e32 v55, v49
.LBB205_556:                            ;   in Loop: Header=BB205_13 Depth=1
	s_or_b64 exec, exec, s[44:45]
.LBB205_557:                            ;   in Loop: Header=BB205_13 Depth=1
	s_or_b64 exec, exec, s[42:43]
.LBB205_558:                            ;   in Loop: Header=BB205_13 Depth=1
	s_or_b64 exec, exec, s[40:41]
	buffer_load_dword v0, off, s[56:59], 0 offset:36 ; 4-byte Folded Reload
	v_mov_b32_e32 v41, 0
	v_mov_b32_e32 v42, 0
	s_waitcnt vmcnt(0)
	v_add_co_u32_e32 v33, vcc, v2, v0
	v_addc_co_u32_e32 v34, vcc, 0, v39, vcc
	global_load_ushort v33, v[33:34], off
	s_waitcnt vmcnt(0)
	v_and_b32_e32 v1, 0xffff, v33
	v_cmp_ne_u16_sdwa s[42:43], v33, v49 src0_sel:BYTE_0 src1_sel:DWORD
	v_mov_b32_e32 v33, 0
	v_mov_b32_e32 v34, 0
	s_and_saveexec_b64 s[40:41], s[42:43]
	s_cbranch_execz .LBB205_564
; %bb.559:                              ;   in Loop: Header=BB205_13 Depth=1
	v_bfrev_b32_e32 v41, 1
	v_mov_b32_e32 v42, 0
	v_cmp_ne_u16_sdwa s[44:45], v1, s52 src0_sel:BYTE_0 src1_sel:DWORD
	s_and_saveexec_b64 s[42:43], s[44:45]
	s_cbranch_execz .LBB205_563
; %bb.560:                              ;   in Loop: Header=BB205_13 Depth=1
	v_and_b32_e32 v35, 0x7f, v1
	v_mov_b32_e32 v41, 0x7f800001
	v_mov_b32_e32 v42, 0
	v_cmp_ne_u32_e32 vcc, s53, v35
	s_and_saveexec_b64 s[44:45], vcc
	s_cbranch_execz .LBB205_562
; %bb.561:                              ;   in Loop: Header=BB205_13 Depth=1
	v_and_b32_e32 v37, 7, v1
	v_lshrrev_b32_e32 v38, 3, v35
	v_cmp_gt_u32_e32 vcc, 8, v35
	v_ffbh_u32_e32 v35, v37
	v_min_u32_e32 v40, 32, v35
	v_subrev_u32_e32 v35, 28, v40
	v_lshlrev_b64 v[35:36], v35, v[1:2]
	v_sub_u32_e32 v36, 29, v40
	v_and_b32_e32 v35, 7, v35
	v_cndmask_b32_e32 v36, v38, v36, vcc
	v_cndmask_b32_e32 v35, v37, v35, vcc
	v_bfrev_b32_e32 v0, 60
	v_lshlrev_b32_e32 v35, 20, v35
	v_and_b32_sdwa v37, sext(v1), s54 dst_sel:DWORD dst_unused:UNUSED_PAD src0_sel:BYTE_0 src1_sel:DWORD
	v_lshl_add_u32 v36, v36, 23, v0
	v_or3_b32 v41, v37, v36, v35
	v_mov_b32_e32 v42, v49
.LBB205_562:                            ;   in Loop: Header=BB205_13 Depth=1
	s_or_b64 exec, exec, s[44:45]
.LBB205_563:                            ;   in Loop: Header=BB205_13 Depth=1
	s_or_b64 exec, exec, s[42:43]
.LBB205_564:                            ;   in Loop: Header=BB205_13 Depth=1
	s_or_b64 exec, exec, s[40:41]
	v_cmp_ne_u16_sdwa s[42:43], v1, v49 src0_sel:BYTE_1 src1_sel:DWORD
	s_and_saveexec_b64 s[40:41], s[42:43]
	s_cbranch_execz .LBB205_570
; %bb.565:                              ;   in Loop: Header=BB205_13 Depth=1
	v_mov_b32_e32 v33, v49
	v_cmp_ne_u16_sdwa s[44:45], v1, s52 src0_sel:BYTE_1 src1_sel:DWORD
	v_mov_b32_e32 v34, v50
	s_and_saveexec_b64 s[42:43], s[44:45]
	s_cbranch_execz .LBB205_569
; %bb.566:                              ;   in Loop: Header=BB205_13 Depth=1
	buffer_load_dword v33, off, s[56:59], 0 ; 4-byte Folded Reload
	buffer_load_dword v34, off, s[56:59], 0 offset:4 ; 4-byte Folded Reload
	v_and_b32_sdwa v35, v1, s53 dst_sel:DWORD dst_unused:UNUSED_PAD src0_sel:BYTE_1 src1_sel:DWORD
	v_cmp_ne_u32_e32 vcc, s53, v35
	s_waitcnt vmcnt(1)
	v_mov_b32_e32 v33, v49
	s_waitcnt vmcnt(0)
	v_mov_b32_e32 v9, v34
	buffer_store_dword v8, off, s[56:59], 0 ; 4-byte Folded Spill
	s_nop 0
	buffer_store_dword v9, off, s[56:59], 0 offset:4 ; 4-byte Folded Spill
	s_and_saveexec_b64 s[44:45], vcc
	s_cbranch_execz .LBB205_568
; %bb.567:                              ;   in Loop: Header=BB205_13 Depth=1
	v_mov_b32_e32 v0, 7
	v_and_b32_sdwa v33, v1, v0 dst_sel:DWORD dst_unused:UNUSED_PAD src0_sel:BYTE_1 src1_sel:DWORD
	v_lshrrev_b32_e32 v36, 3, v35
	v_cmp_gt_u32_e32 vcc, 8, v35
	v_ffbh_u32_e32 v35, v33
	v_min_u32_e32 v37, 32, v35
	v_mov_b32_e32 v34, v49
	v_subrev_u32_e32 v35, 28, v37
	v_lshlrev_b64 v[34:35], v35, v[33:34]
	v_sub_u32_e32 v35, 29, v37
	v_and_b32_e32 v34, 7, v34
	v_cndmask_b32_e32 v35, v36, v35, vcc
	v_bfrev_b32_e32 v0, 60
	v_cndmask_b32_e32 v33, v33, v34, vcc
	v_lshlrev_b32_e32 v1, 16, v1
	v_lshl_add_u32 v34, v35, 23, v0
	v_and_or_b32 v1, v1, s54, v34
	v_lshlrev_b32_e32 v33, 20, v33
	v_or_b32_e32 v34, v1, v33
	v_mov_b32_e32 v33, v49
.LBB205_568:                            ;   in Loop: Header=BB205_13 Depth=1
	s_or_b64 exec, exec, s[44:45]
.LBB205_569:                            ;   in Loop: Header=BB205_13 Depth=1
	s_or_b64 exec, exec, s[42:43]
.LBB205_570:                            ;   in Loop: Header=BB205_13 Depth=1
	s_or_b64 exec, exec, s[40:41]
	buffer_load_dword v0, off, s[56:59], 0 offset:40 ; 4-byte Folded Reload
	v_mov_b32_e32 v37, 0
	v_mov_b32_e32 v38, 0
	s_waitcnt vmcnt(0)
	v_add_co_u32_e32 v35, vcc, v2, v0
	v_addc_co_u32_e32 v36, vcc, 0, v39, vcc
	global_load_ushort v35, v[35:36], off
	s_waitcnt vmcnt(0)
	v_and_b32_e32 v1, 0xffff, v35
	v_cmp_ne_u16_sdwa s[42:43], v35, v49 src0_sel:BYTE_0 src1_sel:DWORD
	v_mov_b32_e32 v35, 0
	v_mov_b32_e32 v36, 0
	s_and_saveexec_b64 s[40:41], s[42:43]
	s_cbranch_execz .LBB205_576
; %bb.571:                              ;   in Loop: Header=BB205_13 Depth=1
	v_bfrev_b32_e32 v37, 1
	v_mov_b32_e32 v38, 0
	v_cmp_ne_u16_sdwa s[44:45], v1, s52 src0_sel:BYTE_0 src1_sel:DWORD
	s_and_saveexec_b64 s[42:43], s[44:45]
	s_cbranch_execz .LBB205_575
; %bb.572:                              ;   in Loop: Header=BB205_13 Depth=1
	v_and_b32_e32 v40, 0x7f, v1
	v_mov_b32_e32 v37, 0x7f800001
	v_mov_b32_e32 v38, 0
	v_cmp_ne_u32_e32 vcc, s53, v40
	s_and_saveexec_b64 s[44:45], vcc
	s_cbranch_execz .LBB205_574
; %bb.573:                              ;   in Loop: Header=BB205_13 Depth=1
	v_and_b32_e32 v43, 7, v1
	v_ffbh_u32_e32 v37, v43
	v_lshrrev_b32_e32 v45, 3, v40
	v_cmp_gt_u32_e32 vcc, 8, v40
	v_min_u32_e32 v40, 32, v37
	v_subrev_u32_e32 v37, 28, v40
	v_lshlrev_b64 v[37:38], v37, v[1:2]
	v_sub_u32_e32 v38, 29, v40
	v_and_b32_e32 v37, 7, v37
	v_cndmask_b32_e32 v38, v45, v38, vcc
	v_cndmask_b32_e32 v37, v43, v37, vcc
	v_bfrev_b32_e32 v0, 60
	v_lshlrev_b32_e32 v37, 20, v37
	v_and_b32_sdwa v40, sext(v1), s54 dst_sel:DWORD dst_unused:UNUSED_PAD src0_sel:BYTE_0 src1_sel:DWORD
	v_lshl_add_u32 v38, v38, 23, v0
	v_or3_b32 v37, v40, v38, v37
	v_mov_b32_e32 v38, v49
.LBB205_574:                            ;   in Loop: Header=BB205_13 Depth=1
	s_or_b64 exec, exec, s[44:45]
.LBB205_575:                            ;   in Loop: Header=BB205_13 Depth=1
	s_or_b64 exec, exec, s[42:43]
.LBB205_576:                            ;   in Loop: Header=BB205_13 Depth=1
	s_or_b64 exec, exec, s[40:41]
	v_cmp_ne_u16_sdwa s[42:43], v1, v49 src0_sel:BYTE_1 src1_sel:DWORD
	s_and_saveexec_b64 s[40:41], s[42:43]
	s_cbranch_execz .LBB205_582
; %bb.577:                              ;   in Loop: Header=BB205_13 Depth=1
	v_mov_b32_e32 v35, v49
	v_cmp_ne_u16_sdwa s[44:45], v1, s52 src0_sel:BYTE_1 src1_sel:DWORD
	v_mov_b32_e32 v36, v50
	s_and_saveexec_b64 s[42:43], s[44:45]
	s_cbranch_execz .LBB205_581
; %bb.578:                              ;   in Loop: Header=BB205_13 Depth=1
	buffer_load_dword v35, off, s[56:59], 0 ; 4-byte Folded Reload
	buffer_load_dword v36, off, s[56:59], 0 offset:4 ; 4-byte Folded Reload
	v_and_b32_sdwa v40, v1, s53 dst_sel:DWORD dst_unused:UNUSED_PAD src0_sel:BYTE_1 src1_sel:DWORD
	v_cmp_ne_u32_e32 vcc, s53, v40
	s_waitcnt vmcnt(1)
	v_mov_b32_e32 v35, v49
	s_waitcnt vmcnt(0)
	v_mov_b32_e32 v9, v36
	buffer_store_dword v8, off, s[56:59], 0 ; 4-byte Folded Spill
	s_nop 0
	buffer_store_dword v9, off, s[56:59], 0 offset:4 ; 4-byte Folded Spill
	s_and_saveexec_b64 s[44:45], vcc
	s_cbranch_execz .LBB205_580
; %bb.579:                              ;   in Loop: Header=BB205_13 Depth=1
	v_mov_b32_e32 v0, 7
	v_and_b32_sdwa v35, v1, v0 dst_sel:DWORD dst_unused:UNUSED_PAD src0_sel:BYTE_1 src1_sel:DWORD
	v_lshrrev_b32_e32 v43, 3, v40
	v_cmp_gt_u32_e32 vcc, 8, v40
	v_ffbh_u32_e32 v40, v35
	v_min_u32_e32 v40, 32, v40
	v_mov_b32_e32 v36, v49
	v_subrev_u32_e32 v45, 28, v40
	v_mov_b32_e32 v3, v46
	v_mov_b32_e32 v4, v47
	v_lshlrev_b64 v[47:48], v45, v[35:36]
	v_sub_u32_e32 v36, 29, v40
	v_and_b32_e32 v40, 7, v47
	v_cndmask_b32_e32 v36, v43, v36, vcc
	v_bfrev_b32_e32 v0, 60
	v_cndmask_b32_e32 v35, v35, v40, vcc
	v_lshlrev_b32_e32 v1, 16, v1
	v_lshl_add_u32 v36, v36, 23, v0
	v_mov_b32_e32 v47, v4
	v_and_or_b32 v1, v1, s54, v36
	v_lshlrev_b32_e32 v35, 20, v35
	v_mov_b32_e32 v46, v3
	v_or_b32_e32 v36, v1, v35
	v_mov_b32_e32 v35, v49
.LBB205_580:                            ;   in Loop: Header=BB205_13 Depth=1
	s_or_b64 exec, exec, s[44:45]
.LBB205_581:                            ;   in Loop: Header=BB205_13 Depth=1
	s_or_b64 exec, exec, s[42:43]
.LBB205_582:                            ;   in Loop: Header=BB205_13 Depth=1
	s_or_b64 exec, exec, s[40:41]
	buffer_load_dword v0, off, s[56:59], 0 offset:44 ; 4-byte Folded Reload
	s_waitcnt vmcnt(0)
	v_add_co_u32_e32 v1, vcc, v2, v0
	v_addc_co_u32_e32 v2, vcc, 0, v39, vcc
	global_load_ushort v1, v[1:2], off
	v_mov_b32_e32 v39, 0
	v_mov_b32_e32 v2, 0
	;; [unrolled: 1-line block ×4, first 2 shown]
	s_waitcnt vmcnt(0)
	v_and_b32_e32 v45, 0xffff, v1
	v_cmp_ne_u16_sdwa s[42:43], v1, v49 src0_sel:BYTE_0 src1_sel:DWORD
	s_and_saveexec_b64 s[40:41], s[42:43]
	s_cbranch_execz .LBB205_588
; %bb.583:                              ;   in Loop: Header=BB205_13 Depth=1
	v_bfrev_b32_e32 v2, 1
	v_mov_b32_e32 v3, 0
	v_cmp_ne_u16_sdwa s[44:45], v45, s52 src0_sel:BYTE_0 src1_sel:DWORD
	s_and_saveexec_b64 s[42:43], s[44:45]
	s_cbranch_execz .LBB205_587
; %bb.584:                              ;   in Loop: Header=BB205_13 Depth=1
	v_and_b32_e32 v43, 0x7f, v45
	v_mov_b32_e32 v2, 0x7f800001
	v_mov_b32_e32 v3, 0
	v_cmp_ne_u32_e32 vcc, s53, v43
	s_and_saveexec_b64 s[44:45], vcc
	s_cbranch_execz .LBB205_586
; %bb.585:                              ;   in Loop: Header=BB205_13 Depth=1
	v_mov_b32_e32 v3, v46
	v_mov_b32_e32 v4, v47
	v_and_b32_e32 v47, 7, v45
	v_ffbh_u32_e32 v1, v47
	v_lshrrev_b32_e32 v48, 3, v43
	v_cmp_gt_u32_e32 vcc, 8, v43
	v_min_u32_e32 v43, 32, v1
	v_subrev_u32_e32 v1, 28, v43
	v_lshlrev_b64 v[1:2], v1, v[45:46]
	v_sub_u32_e32 v2, 29, v43
	v_and_b32_e32 v1, 7, v1
	v_cndmask_b32_e32 v2, v48, v2, vcc
	v_cndmask_b32_e32 v1, v47, v1, vcc
	v_bfrev_b32_e32 v0, 60
	v_mov_b32_e32 v47, v4
	v_lshlrev_b32_e32 v1, 20, v1
	v_and_b32_sdwa v43, sext(v45), s54 dst_sel:DWORD dst_unused:UNUSED_PAD src0_sel:BYTE_0 src1_sel:DWORD
	v_lshl_add_u32 v2, v2, 23, v0
	v_mov_b32_e32 v46, v3
	v_or3_b32 v2, v43, v2, v1
	v_mov_b32_e32 v3, v49
.LBB205_586:                            ;   in Loop: Header=BB205_13 Depth=1
	s_or_b64 exec, exec, s[44:45]
.LBB205_587:                            ;   in Loop: Header=BB205_13 Depth=1
	s_or_b64 exec, exec, s[42:43]
.LBB205_588:                            ;   in Loop: Header=BB205_13 Depth=1
	s_or_b64 exec, exec, s[40:41]
	v_mov_b32_e32 v9, v8
	v_mov_b32_e32 v8, v7
	v_cmp_ne_u16_sdwa s[42:43], v45, v49 src0_sel:BYTE_1 src1_sel:DWORD
	s_and_saveexec_b64 s[40:41], s[42:43]
	s_cbranch_execz .LBB205_594
; %bb.589:                              ;   in Loop: Header=BB205_13 Depth=1
	v_mov_b32_e32 v39, v49
	v_cmp_ne_u16_sdwa s[44:45], v45, s52 src0_sel:BYTE_1 src1_sel:DWORD
	v_mov_b32_e32 v40, v50
	s_and_saveexec_b64 s[42:43], s[44:45]
	s_cbranch_execz .LBB205_593
; %bb.590:                              ;   in Loop: Header=BB205_13 Depth=1
	buffer_load_dword v39, off, s[56:59], 0 ; 4-byte Folded Reload
	buffer_load_dword v40, off, s[56:59], 0 offset:4 ; 4-byte Folded Reload
	v_mov_b32_e32 v4, v46
	v_mov_b32_e32 v5, v47
	v_and_b32_sdwa v47, v45, s53 dst_sel:DWORD dst_unused:UNUSED_PAD src0_sel:BYTE_1 src1_sel:DWORD
	v_cmp_ne_u32_e32 vcc, s53, v47
	s_waitcnt vmcnt(1)
	v_mov_b32_e32 v39, v49
	s_waitcnt vmcnt(0)
	v_mov_b32_e32 v1, v40
	buffer_store_dword v0, off, s[56:59], 0 ; 4-byte Folded Spill
	s_nop 0
	buffer_store_dword v1, off, s[56:59], 0 offset:4 ; 4-byte Folded Spill
	s_and_saveexec_b64 s[44:45], vcc
	s_cbranch_execz .LBB205_592
; %bb.591:                              ;   in Loop: Header=BB205_13 Depth=1
	v_mov_b32_e32 v0, 7
	v_and_b32_sdwa v39, v45, v0 dst_sel:DWORD dst_unused:UNUSED_PAD src0_sel:BYTE_1 src1_sel:DWORD
	v_lshrrev_b32_e32 v43, 3, v47
	v_cmp_gt_u32_e32 vcc, 8, v47
	v_ffbh_u32_e32 v47, v39
	v_min_u32_e32 v63, 32, v47
	v_mov_b32_e32 v40, v49
	v_subrev_u32_e32 v47, 28, v63
	v_lshlrev_b64 v[47:48], v47, v[39:40]
	v_sub_u32_e32 v40, 29, v63
	v_and_b32_e32 v47, 7, v47
	v_cndmask_b32_e32 v40, v43, v40, vcc
	v_bfrev_b32_e32 v0, 60
	v_cndmask_b32_e32 v39, v39, v47, vcc
	v_lshlrev_b32_e32 v43, 16, v45
	v_lshl_add_u32 v40, v40, 23, v0
	v_and_or_b32 v40, v43, s54, v40
	v_lshlrev_b32_e32 v39, 20, v39
	v_or_b32_e32 v40, v40, v39
	v_mov_b32_e32 v39, v49
.LBB205_592:                            ;   in Loop: Header=BB205_13 Depth=1
	s_or_b64 exec, exec, s[44:45]
	v_mov_b32_e32 v47, v5
	v_mov_b32_e32 v46, v4
.LBB205_593:                            ;   in Loop: Header=BB205_13 Depth=1
	s_or_b64 exec, exec, s[42:43]
.LBB205_594:                            ;   in Loop: Header=BB205_13 Depth=1
	s_or_b64 exec, exec, s[40:41]
	buffer_load_dword v0, off, s[56:59], 0 offset:52 ; 4-byte Folded Reload
	buffer_load_dword v1, off, s[56:59], 0 offset:56 ; 4-byte Folded Reload
	;; [unrolled: 1-line block ×4, first 2 shown]
	v_or_b32_e32 v47, v47, v58
	v_or_b32_e32 v48, v46, v57
	s_waitcnt lgkmcnt(0)
	v_mul_f32_e32 v48, s55, v48
	v_mul_f32_e32 v47, s55, v47
	v_or_b32_e32 v29, v31, v29
	v_or_b32_e32 v26, v28, v26
	;; [unrolled: 1-line block ×21, first 2 shown]
	s_waitcnt vmcnt(1)
	v_or_b32_e32 v43, v4, v0
	s_waitcnt vmcnt(0)
	v_or_b32_e32 v45, v5, v1
	buffer_load_dword v4, off, s[56:59], 0 offset:800 ; 4-byte Folded Reload
	buffer_load_dword v5, off, s[56:59], 0 offset:804 ; 4-byte Folded Reload
	;; [unrolled: 1-line block ×4, first 2 shown]
	v_mul_f32_e32 v43, s55, v43
	v_mul_f32_e32 v45, s55, v45
	s_waitcnt vmcnt(1)
	v_mul_f32_e32 v43, v6, v43
	s_waitcnt vmcnt(0)
	v_mul_f32_e32 v45, v7, v45
	v_fmac_f32_e32 v43, v4, v48
	v_fmac_f32_e32 v45, v5, v47
	buffer_load_dword v0, off, s[56:59], 0 offset:84 ; 4-byte Folded Reload
	buffer_load_dword v1, off, s[56:59], 0 offset:88 ; 4-byte Folded Reload
	;; [unrolled: 1-line block ×4, first 2 shown]
	s_waitcnt vmcnt(1)
	v_or_b32_e32 v48, v4, v0
	s_waitcnt vmcnt(0)
	v_or_b32_e32 v47, v5, v1
	buffer_load_dword v0, off, s[56:59], 0 offset:68 ; 4-byte Folded Reload
	buffer_load_dword v1, off, s[56:59], 0 offset:72 ; 4-byte Folded Reload
	;; [unrolled: 1-line block ×4, first 2 shown]
	v_mul_f32_e32 v48, s55, v48
	v_mul_f32_e32 v47, s55, v47
	s_waitcnt vmcnt(1)
	v_or_b32_e32 v57, v4, v0
	s_waitcnt vmcnt(0)
	v_or_b32_e32 v63, v5, v1
	buffer_load_dword v4, off, s[56:59], 0 offset:784 ; 4-byte Folded Reload
	buffer_load_dword v5, off, s[56:59], 0 offset:788 ; 4-byte Folded Reload
	;; [unrolled: 1-line block ×4, first 2 shown]
	v_mul_f32_e32 v57, s55, v57
	s_waitcnt vmcnt(3)
	v_fmac_f32_e32 v43, v4, v57
	v_mul_f32_e32 v57, s55, v63
	s_waitcnt vmcnt(2)
	v_fmac_f32_e32 v45, v5, v57
	buffer_load_dword v0, off, s[56:59], 0 offset:116 ; 4-byte Folded Reload
	buffer_load_dword v1, off, s[56:59], 0 offset:120 ; 4-byte Folded Reload
	buffer_load_dword v4, off, s[56:59], 0 offset:124 ; 4-byte Folded Reload
	buffer_load_dword v5, off, s[56:59], 0 offset:128 ; 4-byte Folded Reload
	s_waitcnt vmcnt(5)
	v_fmac_f32_e32 v43, v6, v48
	s_waitcnt vmcnt(4)
	v_fmac_f32_e32 v45, v7, v47
	s_waitcnt vmcnt(1)
	v_or_b32_e32 v48, v4, v0
	s_waitcnt vmcnt(0)
	v_or_b32_e32 v47, v5, v1
	buffer_load_dword v0, off, s[56:59], 0 offset:100 ; 4-byte Folded Reload
	buffer_load_dword v1, off, s[56:59], 0 offset:104 ; 4-byte Folded Reload
	buffer_load_dword v4, off, s[56:59], 0 offset:108 ; 4-byte Folded Reload
	buffer_load_dword v5, off, s[56:59], 0 offset:112 ; 4-byte Folded Reload
	v_mul_f32_e32 v48, s55, v48
	v_mul_f32_e32 v47, s55, v47
	s_waitcnt vmcnt(1)
	v_or_b32_e32 v58, v4, v0
	s_waitcnt vmcnt(0)
	v_or_b32_e32 v57, v5, v1
	buffer_load_dword v4, off, s[56:59], 0 offset:768 ; 4-byte Folded Reload
	buffer_load_dword v5, off, s[56:59], 0 offset:772 ; 4-byte Folded Reload
	buffer_load_dword v6, off, s[56:59], 0 offset:776 ; 4-byte Folded Reload
	buffer_load_dword v7, off, s[56:59], 0 offset:780 ; 4-byte Folded Reload
	v_mul_f32_e32 v58, s55, v58
	v_mul_f32_e32 v57, s55, v57
	s_waitcnt vmcnt(3)
	v_fmac_f32_e32 v43, v4, v58
	s_waitcnt vmcnt(2)
	v_fmac_f32_e32 v45, v5, v57
	buffer_load_dword v0, off, s[56:59], 0 offset:148 ; 4-byte Folded Reload
	buffer_load_dword v1, off, s[56:59], 0 offset:152 ; 4-byte Folded Reload
	buffer_load_dword v4, off, s[56:59], 0 offset:156 ; 4-byte Folded Reload
	buffer_load_dword v5, off, s[56:59], 0 offset:160 ; 4-byte Folded Reload
	s_waitcnt vmcnt(5)
	v_fmac_f32_e32 v43, v6, v48
	s_waitcnt vmcnt(4)
	v_fmac_f32_e32 v45, v7, v47
	s_waitcnt vmcnt(1)
	v_or_b32_e32 v48, v4, v0
	s_waitcnt vmcnt(0)
	v_or_b32_e32 v47, v5, v1
	buffer_load_dword v0, off, s[56:59], 0 offset:132 ; 4-byte Folded Reload
	buffer_load_dword v1, off, s[56:59], 0 offset:136 ; 4-byte Folded Reload
	buffer_load_dword v4, off, s[56:59], 0 offset:140 ; 4-byte Folded Reload
	buffer_load_dword v5, off, s[56:59], 0 offset:144 ; 4-byte Folded Reload
	v_mul_f32_e32 v48, s55, v48
	v_mul_f32_e32 v47, s55, v47
	s_waitcnt vmcnt(1)
	v_or_b32_e32 v58, v4, v0
	s_waitcnt vmcnt(0)
	v_or_b32_e32 v57, v5, v1
	buffer_load_dword v4, off, s[56:59], 0 offset:752 ; 4-byte Folded Reload
	buffer_load_dword v5, off, s[56:59], 0 offset:756 ; 4-byte Folded Reload
	buffer_load_dword v6, off, s[56:59], 0 offset:760 ; 4-byte Folded Reload
	buffer_load_dword v7, off, s[56:59], 0 offset:764 ; 4-byte Folded Reload
	v_mul_f32_e32 v58, s55, v58
	v_mul_f32_e32 v57, s55, v57
	s_waitcnt vmcnt(3)
	v_fmac_f32_e32 v43, v4, v58
	;; [unrolled: 32-line block ×9, first 2 shown]
	s_waitcnt vmcnt(2)
	v_fmac_f32_e32 v45, v5, v57
	buffer_load_dword v0, off, s[56:59], 0 offset:816 ; 4-byte Folded Reload
	buffer_load_dword v1, off, s[56:59], 0 offset:820 ; 4-byte Folded Reload
	;; [unrolled: 1-line block ×4, first 2 shown]
	s_waitcnt vmcnt(4)
	v_fmac_f32_e32 v45, v7, v47
	v_fmac_f32_e32 v43, v6, v48
	s_waitcnt vmcnt(1)
	v_or_b32_e32 v31, v4, v0
	s_waitcnt vmcnt(0)
	v_or_b32_e32 v28, v5, v1
	buffer_load_dword v0, off, s[56:59], 0 offset:596 ; 4-byte Folded Reload
	buffer_load_dword v1, off, s[56:59], 0 offset:600 ; 4-byte Folded Reload
	buffer_load_dword v4, off, s[56:59], 0 offset:604 ; 4-byte Folded Reload
	buffer_load_dword v5, off, s[56:59], 0 offset:608 ; 4-byte Folded Reload
	s_waitcnt vmcnt(1)
	v_or_b32_e32 v41, v4, v0
	s_waitcnt vmcnt(0)
	v_or_b32_e32 v32, v5, v1
	buffer_load_dword v0, off, s[56:59], 0 offset:580 ; 4-byte Folded Reload
	buffer_load_dword v1, off, s[56:59], 0 offset:584 ; 4-byte Folded Reload
	buffer_load_dword v4, off, s[56:59], 0 offset:588 ; 4-byte Folded Reload
	buffer_load_dword v5, off, s[56:59], 0 offset:592 ; 4-byte Folded Reload
	;; [unrolled: 8-line block ×9, first 2 shown]
	s_waitcnt vmcnt(0)
	v_or_b32_e32 v46, v5, v1
	v_or_b32_e32 v5, v4, v0
	buffer_load_dword v0, off, s[56:59], 0 offset:452 ; 4-byte Folded Reload
	buffer_load_dword v1, off, s[56:59], 0 offset:456 ; 4-byte Folded Reload
	buffer_load_dword v6, off, s[56:59], 0 offset:460 ; 4-byte Folded Reload
	buffer_load_dword v7, off, s[56:59], 0 offset:464 ; 4-byte Folded Reload
	s_waitcnt vmcnt(1)
	v_or_b32_e32 v54, v6, v0
	s_waitcnt vmcnt(0)
	v_or_b32_e32 v53, v7, v1
	buffer_load_dword v0, off, s[56:59], 0 offset:436 ; 4-byte Folded Reload
	buffer_load_dword v1, off, s[56:59], 0 offset:440 ; 4-byte Folded Reload
	buffer_load_dword v6, off, s[56:59], 0 offset:444 ; 4-byte Folded Reload
	buffer_load_dword v7, off, s[56:59], 0 offset:448 ; 4-byte Folded Reload
	s_waitcnt vmcnt(1)
	v_or_b32_e32 v14, v6, v0
	s_waitcnt vmcnt(0)
	;; [unrolled: 8-line block ×3, first 2 shown]
	v_or_b32_e32 v13, v7, v1
	buffer_load_dword v0, off, s[56:59], 0 offset:404 ; 4-byte Folded Reload
	buffer_load_dword v1, off, s[56:59], 0 offset:408 ; 4-byte Folded Reload
	;; [unrolled: 1-line block ×4, first 2 shown]
	v_mul_f32_e32 v11, s55, v11
	v_mul_f32_e32 v13, s55, v13
	s_waitcnt vmcnt(0)
	v_or_b32_e32 v4, v7, v1
	v_or_b32_e32 v7, v6, v0
	buffer_load_dword v0, off, s[56:59], 0 offset:388 ; 4-byte Folded Reload
	buffer_load_dword v1, off, s[56:59], 0 offset:392 ; 4-byte Folded Reload
	;; [unrolled: 1-line block ×4, first 2 shown]
	v_or_b32_e32 v6, v40, v3
	buffer_load_dword v25, off, s[56:59], 0 offset:852 ; 4-byte Folded Reload
	v_mul_f32_e32 v7, s55, v7
	v_mul_f32_e32 v40, s55, v62
	;; [unrolled: 1-line block ×3, first 2 shown]
	s_waitcnt vmcnt(2)
	v_or_b32_e32 v9, v9, v0
	s_waitcnt vmcnt(1)
	v_or_b32_e32 v8, v10, v1
	buffer_load_dword v0, off, s[56:59], 0 offset:624 ; 4-byte Folded Reload
	buffer_load_dword v1, off, s[56:59], 0 offset:628 ; 4-byte Folded Reload
	;; [unrolled: 1-line block ×4, first 2 shown]
	v_mul_f32_e32 v9, s55, v9
	v_mul_f32_e32 v8, s55, v8
	s_waitcnt vmcnt(4)
	v_and_b32_e32 v10, 64, v25
	v_add_u32_e32 v10, 64, v10
	v_xor_b32_e32 v39, 1, v25
	v_cmp_lt_i32_e32 vcc, v39, v10
	v_mul_f32_e32 v10, s55, v61
	s_waitcnt vmcnt(3)
	v_fmac_f32_e32 v43, v0, v9
	v_mul_f32_e32 v0, s55, v36
	buffer_store_dword v0, off, s[56:59], 0 offset:52 ; 4-byte Folded Spill
	v_mul_f32_e32 v0, s55, v35
	buffer_store_dword v0, off, s[56:59], 0 offset:60 ; 4-byte Folded Spill
	;; [unrolled: 2-line block ×9, first 2 shown]
	v_mul_f32_e32 v0, s55, v15
	v_mul_f32_e32 v15, s55, v16
	v_mul_f32_e32 v16, s55, v17
	v_mul_f32_e32 v17, s55, v18
	v_mul_f32_e32 v18, s55, v23
	v_mul_f32_e32 v23, s55, v32
	v_mul_f32_e32 v32, s55, v52
	v_mul_f32_e32 v52, s55, v44
	buffer_load_dword v44, off, s[56:59], 0 offset:848 ; 4-byte Folded Reload
	s_waitcnt vmcnt(12)
	v_fmac_f32_e32 v45, v1, v8
	buffer_store_dword v0, off, s[56:59], 0 offset:124 ; 4-byte Folded Spill
	v_mul_f32_e32 v34, s55, v56
	v_mul_f32_e32 v35, s55, v57
	;; [unrolled: 1-line block ×4, first 2 shown]
	s_waitcnt vmcnt(12)
	v_fmac_f32_e32 v43, v2, v7
	v_mul_f32_e32 v26, s55, v41
	v_mul_f32_e32 v38, s55, v60
	;; [unrolled: 1-line block ×5, first 2 shown]
	s_waitcnt vmcnt(11)
	v_fmac_f32_e32 v45, v3, v4
	v_mul_f32_e32 v8, s55, v22
	v_mul_f32_e32 v22, s55, v31
	;; [unrolled: 1-line block ×12, first 2 shown]
	v_cndmask_b32_e32 v5, v25, v39, vcc
	v_mul_f32_e32 v2, s55, v20
	v_mul_f32_e32 v7, s55, v19
	;; [unrolled: 1-line block ×5, first 2 shown]
	v_lshlrev_b32_e32 v27, 2, v5
	v_mul_f32_e32 v25, s55, v12
	s_waitcnt vmcnt(1)
	ds_read2_b64 v[56:59], v44 offset0:25 offset1:26
	buffer_load_dword v0, off, s[56:59], 0 offset:616 ; 4-byte Folded Reload
	buffer_load_dword v1, off, s[56:59], 0 offset:620 ; 4-byte Folded Reload
	ds_read2_b64 v[60:63], v44 offset0:27 offset1:28
	ds_read_b64 v[5:6], v44 offset:376
	s_waitcnt vmcnt(1)
	v_fmac_f32_e32 v43, v0, v11
	buffer_load_dword v0, off, s[56:59], 0 offset:124 ; 4-byte Folded Reload
	s_waitcnt vmcnt(1)
	v_fmac_f32_e32 v45, v1, v13
	s_waitcnt lgkmcnt(2)
	v_fmac_f32_e32 v43, v55, v56
	v_fmac_f32_e32 v45, v52, v57
	;; [unrolled: 1-line block ×3, first 2 shown]
	ds_read2_b64 v[55:58], v44 offset0:29 offset1:30
	v_fmac_f32_e32 v45, v48, v59
	s_waitcnt lgkmcnt(2)
	v_fmac_f32_e32 v43, v47, v60
	v_fmac_f32_e32 v45, v42, v61
	;; [unrolled: 1-line block ×3, first 2 shown]
	ds_read2_b64 v[59:62], v44 offset0:31 offset1:32
	v_fmac_f32_e32 v45, v40, v63
	s_waitcnt lgkmcnt(1)
	v_fmac_f32_e32 v43, v10, v55
	v_fmac_f32_e32 v45, v38, v56
	;; [unrolled: 1-line block ×4, first 2 shown]
	ds_read2_b64 v[39:42], v44 offset0:35 offset1:36
	s_waitcnt lgkmcnt(1)
	v_fmac_f32_e32 v43, v35, v59
	ds_read2_b64 v[35:38], v44 offset0:33 offset1:34
	v_fmac_f32_e32 v45, v34, v60
	v_fmac_f32_e32 v43, v33, v61
	;; [unrolled: 1-line block ×3, first 2 shown]
	s_waitcnt lgkmcnt(0)
	v_fmac_f32_e32 v43, v31, v35
	v_fmac_f32_e32 v45, v30, v36
	;; [unrolled: 1-line block ×4, first 2 shown]
	ds_read2_b64 v[28:31], v44 offset0:37 offset1:38
	ds_read2_b64 v[32:35], v44 offset0:39 offset1:40
	v_fmac_f32_e32 v43, v26, v39
	v_fmac_f32_e32 v45, v23, v40
	;; [unrolled: 1-line block ×4, first 2 shown]
	s_waitcnt lgkmcnt(1)
	v_fmac_f32_e32 v43, v20, v28
	v_fmac_f32_e32 v45, v19, v29
	;; [unrolled: 1-line block ×4, first 2 shown]
	s_waitcnt lgkmcnt(0)
	v_fmac_f32_e32 v43, v16, v32
	ds_read2_b64 v[16:19], v44 offset0:41 offset1:42
	ds_read2_b64 v[20:23], v44 offset0:43 offset1:44
	v_fmac_f32_e32 v43, v7, v34
	v_fmac_f32_e32 v45, v15, v33
	;; [unrolled: 1-line block ×3, first 2 shown]
	s_waitcnt lgkmcnt(1)
	v_fmac_f32_e32 v43, v9, v16
	v_fmac_f32_e32 v45, v8, v17
	ds_read2_b64 v[8:11], v44 offset0:45 offset1:46
	s_waitcnt vmcnt(0)
	v_fmac_f32_e32 v43, v0, v18
	buffer_load_dword v0, off, s[56:59], 0 offset:116 ; 4-byte Folded Reload
	s_waitcnt vmcnt(0)
	v_fmac_f32_e32 v45, v0, v19
	buffer_load_dword v0, off, s[56:59], 0 offset:108 ; 4-byte Folded Reload
	s_waitcnt vmcnt(0) lgkmcnt(1)
	v_fmac_f32_e32 v43, v0, v20
	buffer_load_dword v0, off, s[56:59], 0 offset:100 ; 4-byte Folded Reload
	s_waitcnt vmcnt(0)
	v_fmac_f32_e32 v45, v0, v21
	buffer_load_dword v0, off, s[56:59], 0 offset:92 ; 4-byte Folded Reload
	s_waitcnt vmcnt(0)
	;; [unrolled: 3-line block ×3, first 2 shown]
	v_fmac_f32_e32 v45, v0, v23
	buffer_load_dword v0, off, s[56:59], 0 offset:76 ; 4-byte Folded Reload
	s_waitcnt vmcnt(0) lgkmcnt(0)
	v_fmac_f32_e32 v43, v0, v8
	buffer_load_dword v0, off, s[56:59], 0 offset:68 ; 4-byte Folded Reload
	s_waitcnt vmcnt(0)
	v_fmac_f32_e32 v45, v0, v9
	buffer_load_dword v0, off, s[56:59], 0 offset:60 ; 4-byte Folded Reload
	s_waitcnt vmcnt(0)
	v_fmac_f32_e32 v43, v0, v10
	buffer_load_dword v0, off, s[56:59], 0 offset:52 ; 4-byte Folded Reload
	v_fmac_f32_e32 v43, v25, v5
	s_waitcnt vmcnt(0)
	v_fmac_f32_e32 v45, v0, v11
	v_fmac_f32_e32 v45, v24, v6
	v_add_f32_e32 v1, v43, v45
	ds_bpermute_b32 v2, v27, v1
	s_and_saveexec_b64 s[40:41], s[2:3]
	s_cbranch_execz .LBB205_11
; %bb.595:                              ;   in Loop: Header=BB205_13 Depth=1
	buffer_load_dword v4, off, s[56:59], 0 offset:32 ; 4-byte Folded Reload
	buffer_load_dword v0, off, s[56:59], 0 offset:860 ; 4-byte Folded Reload
	;; [unrolled: 1-line block ×3, first 2 shown]
	s_waitcnt lgkmcnt(0)
	v_add_f32_e32 v1, v1, v2
	buffer_load_dword v2, off, s[56:59], 0 offset:28 ; 4-byte Folded Reload
	s_waitcnt vmcnt(2)
	v_add_u32_e32 v0, v0, v4
	v_cvt_f32_i32_e32 v0, v0
	s_waitcnt vmcnt(1)
	v_add_u32_e32 v3, v3, v4
	v_cmp_gt_i32_e32 vcc, s33, v3
	v_mul_f32_e32 v0, s48, v0
	v_cndmask_b32_e64 v0, 0, v0, s[4:5]
	v_fmac_f32_e32 v0, s37, v1
	v_cndmask_b32_e32 v1, 0, v0, vcc
	s_waitcnt vmcnt(0)
	ds_write_b32 v2, v1
	buffer_load_dword v2, off, s[56:59], 0 offset:836 ; 4-byte Folded Reload
	s_waitcnt vmcnt(0)
	v_max_f32_e32 v1, v2, v2
	v_max_f32_e32 v0, v1, v0
	v_cndmask_b32_e32 v2, v2, v0, vcc
	buffer_store_dword v2, off, s[56:59], 0 offset:836 ; 4-byte Folded Spill
	s_branch .LBB205_11
.LBB205_596:
	s_or_b64 exec, exec, s[38:39]
	buffer_load_dword v11, off, s[56:59], 0 offset:864 ; 4-byte Folded Reload
	buffer_load_dword v12, off, s[56:59], 0 offset:868 ; 4-byte Folded Reload
	;; [unrolled: 1-line block ×3, first 2 shown]
	v_mbcnt_lo_u32_b32 v3, -1, 0
.LBB205_597:
	s_or_b64 exec, exec, s[18:19]
	v_mbcnt_hi_u32_b32 v0, -1, v3
	v_and_b32_e32 v6, 64, v0
	v_add_u32_e32 v7, 64, v6
	v_xor_b32_e32 v1, 32, v0
	v_cmp_lt_i32_e32 vcc, v1, v7
	v_cndmask_b32_e32 v1, v0, v1, vcc
	v_lshlrev_b32_e32 v1, 2, v1
	s_waitcnt vmcnt(0) lgkmcnt(0)
	ds_bpermute_b32 v2, v1, v4
	v_max_f32_e32 v3, v4, v4
	v_xor_b32_e32 v4, 16, v0
	v_cmp_lt_i32_e32 vcc, v4, v7
	v_xor_b32_e32 v5, 8, v0
	s_waitcnt lgkmcnt(0)
	v_max_f32_e32 v2, v2, v2
	v_max_f32_e32 v3, v3, v2
	v_cndmask_b32_e32 v2, v0, v4, vcc
	v_lshlrev_b32_e32 v2, 2, v2
	ds_bpermute_b32 v4, v2, v3
	v_cmp_lt_i32_e32 vcc, v5, v7
	v_xor_b32_e32 v8, 4, v0
	s_waitcnt lgkmcnt(0)
	v_max_f32_e32 v4, v4, v4
	v_max_f32_e32 v4, v3, v4
	v_cndmask_b32_e32 v3, v0, v5, vcc
	v_lshlrev_b32_e32 v3, 2, v3
	ds_bpermute_b32 v5, v3, v4
	v_cmp_lt_i32_e32 vcc, v8, v7
	s_waitcnt lgkmcnt(0)
	v_max_f32_e32 v5, v5, v5
	v_max_f32_e32 v4, v4, v5
	v_cndmask_b32_e32 v5, v0, v8, vcc
	v_lshlrev_b32_e32 v25, 2, v5
	ds_bpermute_b32 v5, v25, v4
	v_xor_b32_e32 v8, 2, v0
	v_cmp_lt_i32_e32 vcc, v8, v7
	s_waitcnt lgkmcnt(0)
	v_max_f32_e32 v5, v5, v5
	v_max_f32_e32 v5, v4, v5
	v_cndmask_b32_e32 v4, v0, v8, vcc
	v_lshlrev_b32_e32 v28, 2, v4
	buffer_load_dword v4, off, s[56:59], 0 offset:832 ; 4-byte Folded Reload
	ds_bpermute_b32 v8, v28, v5
	s_waitcnt vmcnt(0)
	v_and_b32_e32 v30, 63, v4
	buffer_load_dword v4, off, s[56:59], 0 offset:8 ; 4-byte Folded Reload
	v_cmp_eq_u32_e32 vcc, 0, v30
	s_waitcnt vmcnt(0)
	v_lshlrev_b32_e32 v4, 2, v4
	s_and_saveexec_b64 s[2:3], vcc
	s_cbranch_execz .LBB205_599
; %bb.598:
	s_waitcnt lgkmcnt(0)
	v_max_f32_e32 v8, v8, v8
	v_max_f32_e32 v5, v5, v5
	;; [unrolled: 1-line block ×3, first 2 shown]
	ds_write_b32 v4, v5 offset:768
.LBB205_599:
	s_or_b64 exec, exec, s[2:3]
	v_cmp_gt_u32_e64 s[2:3], 2, v30
	s_waitcnt lgkmcnt(0)
	v_mov_b32_e32 v8, 0xff7fffff
	v_lshlrev_b32_e32 v5, 2, v30
	s_barrier
	s_and_saveexec_b64 s[4:5], s[2:3]
; %bb.600:
	ds_read_b32 v8, v5 offset:768
; %bb.601:
	s_or_b64 exec, exec, s[4:5]
	v_xor_b32_e32 v9, 1, v0
	v_cmp_lt_i32_e64 s[4:5], v9, v7
	v_cndmask_b32_e64 v7, v0, v9, s[4:5]
	v_lshlrev_b32_e32 v31, 2, v7
	s_waitcnt lgkmcnt(0)
	ds_bpermute_b32 v7, v31, v8
	v_max_f32_e32 v8, v8, v8
	v_lshlrev_b32_e32 v6, 2, v6
	s_lshl_b32 s4, s47, 5
	s_min_i32 s37, s4, s33
	s_waitcnt lgkmcnt(0)
	v_max_f32_e32 v7, v7, v7
	v_max_f32_e32 v7, v8, v7
	ds_bpermute_b32 v7, v6, v7
	buffer_load_dword v6, off, s[56:59], 0 offset:832 ; 4-byte Folded Reload
	s_waitcnt vmcnt(0)
	v_cmp_gt_i32_e64 s[4:5], s37, v6
	v_mov_b32_e32 v6, 0
	s_and_saveexec_b64 s[12:13], s[4:5]
	s_cbranch_execz .LBB205_605
; %bb.602:
	buffer_load_dword v9, off, s[56:59], 0 offset:832 ; 4-byte Folded Reload
	v_mov_b32_e32 v6, 0x310
	s_mov_b64 s[18:19], 0
	s_waitcnt vmcnt(0)
	v_lshl_add_u32 v8, v9, 2, v6
	v_mov_b32_e32 v6, 0
.LBB205_603:                            ; =>This Inner Loop Header: Depth=1
	ds_read_b32 v10, v8
	v_add_u32_e32 v9, 0x80, v9
	v_cmp_le_i32_e64 s[6:7], s37, v9
	s_or_b64 s[18:19], s[6:7], s[18:19]
	s_waitcnt lgkmcnt(0)
	v_sub_f32_e32 v10, v10, v7
	v_mul_f32_e32 v10, 0x3fb8aa3b, v10
	v_exp_f32_e32 v10, v10
	ds_write_b32 v8, v10
	v_add_f32_e32 v6, v6, v10
	v_add_u32_e32 v8, 0x200, v8
	s_andn2_b64 exec, exec, s[18:19]
	s_cbranch_execnz .LBB205_603
; %bb.604:
	s_or_b64 exec, exec, s[18:19]
.LBB205_605:
	s_or_b64 exec, exec, s[12:13]
	ds_bpermute_b32 v1, v1, v6
	s_waitcnt lgkmcnt(0)
	v_add_f32_e32 v1, v6, v1
	ds_bpermute_b32 v2, v2, v1
	s_waitcnt lgkmcnt(0)
	v_add_f32_e32 v1, v1, v2
	;; [unrolled: 3-line block ×6, first 2 shown]
	s_and_saveexec_b64 s[6:7], vcc
; %bb.606:
	ds_write_b32 v4, v1 offset:776
; %bb.607:
	s_or_b64 exec, exec, s[6:7]
	s_waitcnt lgkmcnt(0)
	s_barrier
	s_and_saveexec_b64 s[6:7], s[2:3]
; %bb.608:
	ds_read_b32 v1, v5 offset:776
; %bb.609:
	s_or_b64 exec, exec, s[6:7]
	s_waitcnt lgkmcnt(0)
	ds_bpermute_b32 v2, v31, v1
	v_lshlrev_b32_e32 v0, 2, v0
	v_and_b32_e32 v0, 0x100, v0
	s_waitcnt lgkmcnt(0)
	v_add_f32_e32 v1, v1, v2
	ds_bpermute_b32 v0, v0, v1
	s_and_saveexec_b64 s[2:3], s[4:5]
	s_cbranch_execz .LBB205_612
; %bb.610:
	s_waitcnt lgkmcnt(0)
	v_add_f32_e32 v1, 0x358637bd, v0
	v_div_scale_f32 v0, s[4:5], v1, v1, 1.0
	v_div_scale_f32 v2, vcc, 1.0, v1, 1.0
	s_mov_b64 s[4:5], 0
	v_rcp_f32_e32 v3, v0
	v_fma_f32 v4, -v0, v3, 1.0
	v_fmac_f32_e32 v3, v4, v3
	v_mul_f32_e32 v4, v2, v3
	v_fma_f32 v5, -v0, v4, v2
	v_fmac_f32_e32 v4, v5, v3
	v_fma_f32 v0, -v0, v4, v2
	v_div_fmas_f32 v2, v0, v3, v4
	buffer_load_dword v3, off, s[56:59], 0 offset:832 ; 4-byte Folded Reload
	v_mov_b32_e32 v0, 0x310
	v_div_fixup_f32 v1, v2, v1, 1.0
	s_waitcnt vmcnt(0)
	v_lshl_add_u32 v0, v3, 2, v0
	v_mov_b32_e32 v2, v3
.LBB205_611:                            ; =>This Inner Loop Header: Depth=1
	ds_read_b32 v3, v0
	v_add_u32_e32 v2, 0x80, v2
	v_cmp_le_i32_e32 vcc, s37, v2
	s_or_b64 s[4:5], vcc, s[4:5]
	s_waitcnt lgkmcnt(0)
	v_mul_f32_e32 v3, v1, v3
	ds_write_b32 v0, v3
	v_add_u32_e32 v0, 0x200, v0
	s_andn2_b64 exec, exec, s[4:5]
	s_cbranch_execnz .LBB205_611
.LBB205_612:
	s_or_b64 exec, exec, s[2:3]
	s_waitcnt lgkmcnt(0)
	s_barrier
	buffer_load_dword v0, off, s[56:59], 0 offset:832 ; 4-byte Folded Reload
	v_mov_b32_e32 v4, 0
	v_mov_b32_e32 v5, 0
	;; [unrolled: 1-line block ×23, first 2 shown]
	s_waitcnt vmcnt(0)
	v_and_b32_e32 v32, 7, v0
	v_mov_b32_e32 v0, 0
	buffer_store_dword v0, off, s[56:59], 0 offset:540 ; 4-byte Folded Spill
	s_and_saveexec_b64 s[2:3], s[0:1]
	s_cbranch_execz .LBB205_1242
; %bb.613:
	s_sub_i32 s37, s16, s21
	s_ashr_i32 s0, s20, 31
	s_add_u32 s4, s34, s20
	s_addc_u32 s5, s35, s0
	s_abs_i32 s22, s22
	v_cvt_f32_u32_e32 v0, s22
	v_and_b32_e32 v1, 28, v11
	buffer_store_dword v31, off, s[56:59], 0 offset:720 ; 4-byte Folded Spill
	buffer_store_dword v28, off, s[56:59], 0 offset:704 ; 4-byte Folded Spill
	;; [unrolled: 1-line block ×5, first 2 shown]
	v_rcp_iflag_f32_e32 v0, v0
	v_and_b32_e32 v1, 0xfc, v11
	buffer_store_dword v1, off, s[56:59], 0 offset:640 ; 4-byte Folded Spill
	v_or_b32_e32 v1, 0xf00, v11
	v_mul_f32_e32 v0, 0x4f7ffffe, v0
	v_cvt_u32_f32_e32 v0, v0
	s_sub_i32 s0, 0, s22
	buffer_store_dword v1, off, s[56:59], 0 offset:656 ; 4-byte Folded Spill
	s_add_i32 s35, s47, -1
	v_mul_lo_u32 v1, s0, v0
	s_lshl_b64 s[0:1], s[30:31], 2
	v_mov_b32_e32 v5, 0
	s_add_u32 s0, s28, s0
	v_mul_hi_u32 v1, v0, v1
	v_and_b32_e32 v2, 60, v12
	s_addc_u32 s1, s29, s1
	v_mov_b32_e32 v3, s1
	v_add_u32_e32 v0, v0, v1
	buffer_load_dword v1, off, s[56:59], 0 offset:8 ; 4-byte Folded Reload
	v_add_co_u32_e32 v7, vcc, s0, v2
	buffer_store_dword v0, off, s[56:59], 0 offset:596 ; 4-byte Folded Spill
	v_lshlrev_b32_e32 v0, 4, v32
	buffer_store_dword v32, off, s[56:59], 0 offset:736 ; 4-byte Folded Spill
	v_addc_co_u32_e32 v8, vcc, 0, v3, vcc
	s_mov_b32 s34, s17
	s_mov_b64 s[6:7], 0
	s_movk_i32 s28, 0x80
	s_movk_i32 s29, 0x7f
	s_brev_b32 s30, 1
	s_mov_b32 s31, 0xffffff
	v_bfrev_b32_e32 v6, 1
	v_mov_b32_e32 v10, 0x7f800001
	v_mov_b32_e32 v39, v5
	;; [unrolled: 1-line block ×20, first 2 shown]
	s_waitcnt vmcnt(2)
	v_lshl_or_b32 v0, v1, 7, v0
	v_add_u32_e32 v60, 0x310, v0
	v_mov_b32_e32 v0, v5
	buffer_store_dword v0, off, s[56:59], 0 offset:540 ; 4-byte Folded Spill
	buffer_store_dword v0, off, s[56:59], 0 offset:548 ; 4-byte Folded Spill
	;; [unrolled: 1-line block ×5, first 2 shown]
	buffer_load_dword v3, off, s[56:59], 0 offset:12 ; 4-byte Folded Reload
	s_branch .LBB205_616
.LBB205_614:                            ;   in Loop: Header=BB205_616 Depth=1
	s_or_b64 exec, exec, s[16:17]
	buffer_load_dword v14, off, s[56:59], 0 offset:540 ; 4-byte Folded Reload
	v_mul_f32_e32 v0, v1, v37
	v_fmac_f32_e32 v0, v2, v36
	v_fmac_f32_e32 v0, v3, v21
	;; [unrolled: 1-line block ×3, first 2 shown]
	v_add_f32_e32 v42, v42, v0
	v_mul_f32_e32 v0, v1, v35
	v_fmac_f32_e32 v0, v2, v32
	v_fmac_f32_e32 v0, v3, v34
	;; [unrolled: 1-line block ×3, first 2 shown]
	buffer_load_dword v15, off, s[56:59], 0 offset:148 ; 4-byte Folded Reload
	buffer_load_dword v16, off, s[56:59], 0 offset:84 ; 4-byte Folded Reload
	;; [unrolled: 1-line block ×3, first 2 shown]
	s_waitcnt vmcnt(3)
	v_add_f32_e32 v14, v14, v0
	buffer_store_dword v14, off, s[56:59], 0 offset:540 ; 4-byte Folded Spill
	buffer_load_dword v14, off, s[56:59], 0 offset:524 ; 4-byte Folded Reload
	v_mul_f32_e32 v0, v1, v31
	v_fmac_f32_e32 v0, v2, v29
	v_fmac_f32_e32 v0, v3, v30
	;; [unrolled: 1-line block ×3, first 2 shown]
	v_add_f32_e32 v40, v40, v0
	v_mul_f32_e32 v0, v1, v28
	s_waitcnt vmcnt(0)
	v_fmac_f32_e32 v0, v2, v14
	buffer_load_dword v14, off, s[56:59], 0 offset:532 ; 4-byte Folded Reload
	v_fmac_f32_e32 v0, v3, v55
	s_waitcnt vmcnt(0)
	v_fmac_f32_e32 v0, v4, v14
	v_add_f32_e32 v41, v41, v0
	buffer_load_dword v0, off, s[56:59], 0 offset:516 ; 4-byte Folded Reload
	buffer_load_dword v14, off, s[56:59], 0 offset:492 ; 4-byte Folded Reload
	s_waitcnt vmcnt(1)
	v_mul_f32_e32 v0, v1, v0
	s_waitcnt vmcnt(0)
	v_fmac_f32_e32 v0, v2, v14
	buffer_load_dword v14, off, s[56:59], 0 offset:508 ; 4-byte Folded Reload
	s_waitcnt vmcnt(0)
	v_fmac_f32_e32 v0, v3, v14
	buffer_load_dword v14, off, s[56:59], 0 offset:500 ; 4-byte Folded Reload
	s_waitcnt vmcnt(0)
	v_fmac_f32_e32 v0, v4, v14
	v_add_f32_e32 v43, v43, v0
	buffer_load_dword v0, off, s[56:59], 0 offset:484 ; 4-byte Folded Reload
	buffer_load_dword v14, off, s[56:59], 0 offset:460 ; 4-byte Folded Reload
	s_waitcnt vmcnt(1)
	v_mul_f32_e32 v0, v1, v0
	s_waitcnt vmcnt(0)
	v_fmac_f32_e32 v0, v2, v14
	buffer_load_dword v14, off, s[56:59], 0 offset:476 ; 4-byte Folded Reload
	s_waitcnt vmcnt(0)
	v_fmac_f32_e32 v0, v3, v14
	buffer_load_dword v14, off, s[56:59], 0 offset:468 ; 4-byte Folded Reload
	s_waitcnt vmcnt(0)
	v_fmac_f32_e32 v0, v4, v14
	v_add_f32_e32 v27, v27, v0
	buffer_load_dword v0, off, s[56:59], 0 offset:452 ; 4-byte Folded Reload
	buffer_load_dword v14, off, s[56:59], 0 offset:444 ; 4-byte Folded Reload
	s_waitcnt vmcnt(1)
	v_mul_f32_e32 v0, v1, v0
	v_fmac_f32_e32 v0, v2, v22
	s_waitcnt vmcnt(0)
	v_fmac_f32_e32 v0, v3, v14
	buffer_load_dword v14, off, s[56:59], 0 offset:436 ; 4-byte Folded Reload
	s_waitcnt vmcnt(0)
	v_fmac_f32_e32 v0, v4, v14
	v_add_f32_e32 v44, v44, v0
	v_mul_f32_e32 v0, v1, v26
	v_fmac_f32_e32 v0, v2, v59
	v_fmac_f32_e32 v0, v3, v54
	;; [unrolled: 1-line block ×3, first 2 shown]
	v_add_f32_e32 v45, v45, v0
	v_mul_f32_e32 v0, v1, v61
	v_fmac_f32_e32 v0, v2, v23
	v_fmac_f32_e32 v0, v3, v53
	;; [unrolled: 1-line block ×3, first 2 shown]
	v_add_f32_e32 v46, v46, v0
	buffer_load_dword v0, off, s[56:59], 0 offset:428 ; 4-byte Folded Reload
	buffer_load_dword v14, off, s[56:59], 0 offset:404 ; 4-byte Folded Reload
	s_waitcnt vmcnt(1)
	v_mul_f32_e32 v0, v1, v0
	s_waitcnt vmcnt(0)
	v_fmac_f32_e32 v0, v2, v14
	buffer_load_dword v14, off, s[56:59], 0 offset:420 ; 4-byte Folded Reload
	s_waitcnt vmcnt(0)
	v_fmac_f32_e32 v0, v3, v14
	buffer_load_dword v14, off, s[56:59], 0 offset:412 ; 4-byte Folded Reload
	s_waitcnt vmcnt(0)
	v_fmac_f32_e32 v0, v4, v14
	v_add_f32_e32 v47, v47, v0
	buffer_load_dword v0, off, s[56:59], 0 offset:396 ; 4-byte Folded Reload
	buffer_load_dword v14, off, s[56:59], 0 offset:372 ; 4-byte Folded Reload
	s_waitcnt vmcnt(1)
	v_mul_f32_e32 v0, v1, v0
	s_waitcnt vmcnt(0)
	v_fmac_f32_e32 v0, v2, v14
	buffer_load_dword v14, off, s[56:59], 0 offset:388 ; 4-byte Folded Reload
	s_waitcnt vmcnt(0)
	v_fmac_f32_e32 v0, v3, v14
	buffer_load_dword v14, off, s[56:59], 0 offset:380 ; 4-byte Folded Reload
	s_waitcnt vmcnt(0)
	v_fmac_f32_e32 v0, v4, v14
	;; [unrolled: 13-line block ×8, first 2 shown]
	buffer_load_dword v14, off, s[56:59], 0 offset:604 ; 4-byte Folded Reload
	s_waitcnt vmcnt(0)
	v_add_f32_e32 v14, v14, v0
	buffer_load_dword v0, off, s[56:59], 0 offset:172 ; 4-byte Folded Reload
	s_waitcnt vmcnt(0)
	v_mul_f32_e32 v0, v1, v0
	v_fmac_f32_e32 v0, v2, v15
	buffer_load_dword v15, off, s[56:59], 0 offset:164 ; 4-byte Folded Reload
	s_waitcnt vmcnt(0)
	v_fmac_f32_e32 v0, v3, v15
	buffer_load_dword v15, off, s[56:59], 0 offset:156 ; 4-byte Folded Reload
	s_waitcnt vmcnt(0)
	v_fmac_f32_e32 v0, v4, v15
	buffer_load_dword v15, off, s[56:59], 0 offset:548 ; 4-byte Folded Reload
	s_waitcnt vmcnt(0)
	v_add_f32_e32 v15, v15, v0
	buffer_load_dword v0, off, s[56:59], 0 offset:140 ; 4-byte Folded Reload
	s_nop 0
	buffer_store_dword v15, off, s[56:59], 0 offset:548 ; 4-byte Folded Spill
	buffer_load_dword v15, off, s[56:59], 0 offset:116 ; 4-byte Folded Reload
	s_waitcnt vmcnt(2)
	v_mul_f32_e32 v0, v1, v0
	s_waitcnt vmcnt(0)
	v_fmac_f32_e32 v0, v2, v15
	buffer_load_dword v15, off, s[56:59], 0 offset:132 ; 4-byte Folded Reload
	s_waitcnt vmcnt(0)
	v_fmac_f32_e32 v0, v3, v15
	buffer_load_dword v15, off, s[56:59], 0 offset:124 ; 4-byte Folded Reload
	s_waitcnt vmcnt(0)
	v_fmac_f32_e32 v0, v4, v15
	buffer_load_dword v15, off, s[56:59], 0 offset:612 ; 4-byte Folded Reload
	s_waitcnt vmcnt(0)
	v_add_f32_e32 v15, v15, v0
	buffer_load_dword v0, off, s[56:59], 0 offset:108 ; 4-byte Folded Reload
	s_waitcnt vmcnt(0)
	v_mul_f32_e32 v0, v1, v0
	v_fmac_f32_e32 v0, v2, v16
	buffer_load_dword v16, off, s[56:59], 0 offset:100 ; 4-byte Folded Reload
	s_waitcnt vmcnt(0)
	v_fmac_f32_e32 v0, v3, v16
	buffer_load_dword v16, off, s[56:59], 0 offset:92 ; 4-byte Folded Reload
	s_waitcnt vmcnt(0)
	v_fmac_f32_e32 v0, v4, v16
	buffer_load_dword v16, off, s[56:59], 0 offset:556 ; 4-byte Folded Reload
	s_waitcnt vmcnt(0)
	v_add_f32_e32 v16, v16, v0
	buffer_load_dword v0, off, s[56:59], 0 offset:76 ; 4-byte Folded Reload
	s_nop 0
	buffer_store_dword v16, off, s[56:59], 0 offset:556 ; 4-byte Folded Spill
	buffer_load_dword v16, off, s[56:59], 0 offset:52 ; 4-byte Folded Reload
	s_waitcnt vmcnt(2)
	v_mul_f32_e32 v0, v1, v0
	s_waitcnt vmcnt(0)
	v_fmac_f32_e32 v0, v2, v16
	buffer_load_dword v16, off, s[56:59], 0 offset:68 ; 4-byte Folded Reload
	s_waitcnt vmcnt(0)
	v_fmac_f32_e32 v0, v3, v16
	buffer_load_dword v16, off, s[56:59], 0 offset:60 ; 4-byte Folded Reload
	s_waitcnt vmcnt(0)
	v_fmac_f32_e32 v0, v4, v16
	;; [unrolled: 30-line block ×3, first 2 shown]
	buffer_load_dword v17, off, s[56:59], 0 offset:564 ; 4-byte Folded Reload
	s_waitcnt vmcnt(0)
	v_add_f32_e32 v17, v17, v0
	v_mul_f32_e32 v0, v1, v13
	v_fmac_f32_e32 v0, v2, v9
	v_fmac_f32_e32 v0, v3, v12
	;; [unrolled: 1-line block ×3, first 2 shown]
	v_add_f32_e32 v39, v39, v0
	buffer_store_dword v17, off, s[56:59], 0 offset:564 ; 4-byte Folded Spill
.LBB205_615:                            ;   in Loop: Header=BB205_616 Depth=1
	s_or_b64 exec, exec, s[12:13]
	buffer_load_dword v0, off, s[56:59], 0 offset:8 ; 4-byte Folded Reload
	buffer_load_dword v3, off, s[56:59], 0 offset:12 ; 4-byte Folded Reload
	v_add_co_u32_e32 v7, vcc, 8, v7
	v_addc_co_u32_e32 v8, vcc, 0, v8, vcc
	v_add_u32_e32 v60, 0x100, v60
	s_waitcnt vmcnt(1)
	v_add_u32_e32 v0, 2, v0
	v_cmp_le_i32_e32 vcc, s47, v0
	s_waitcnt vmcnt(0)
	v_add_u32_e32 v3, 64, v3
	s_or_b64 s[6:7], vcc, s[6:7]
	buffer_store_dword v0, off, s[56:59], 0 offset:8 ; 4-byte Folded Spill
	s_andn2_b64 exec, exec, s[6:7]
	s_cbranch_execz .LBB205_1241
.LBB205_616:                            ; =>This Inner Loop Header: Depth=1
	s_waitcnt vmcnt(0)
	v_mul_hi_u32 v0, v3, s46
	buffer_store_dword v3, off, s[56:59], 0 offset:12 ; 4-byte Folded Spill
	v_mul_lo_u32 v1, v0, s25
	v_add_u32_e32 v2, 1, v0
	v_sub_u32_e32 v1, v3, v1
	buffer_load_dword v3, off, s[56:59], 0 offset:596 ; 4-byte Folded Reload
	v_cmp_le_u32_e32 vcc, s25, v1
	v_cndmask_b32_e32 v0, v0, v2, vcc
	v_subrev_u32_e32 v2, s25, v1
	v_cndmask_b32_e32 v1, v1, v2, vcc
	v_add_u32_e32 v2, 1, v0
	v_cmp_le_u32_e32 vcc, s25, v1
	v_cndmask_b32_e32 v0, v0, v2, vcc
	v_xor_b32_e32 v0, s23, v0
	v_subrev_u32_e32 v0, s23, v0
	v_add_u32_e32 v1, s36, v0
	v_sub_u32_e32 v2, 0, v1
	v_max_i32_e32 v2, v1, v2
	v_ashrrev_i32_e32 v1, 31, v1
	v_cmp_lt_i32_e64 s[0:1], s37, v0
	s_waitcnt vmcnt(0)
	v_mul_hi_u32 v3, v2, v3
	v_mul_lo_u32 v3, v3, s22
	v_sub_u32_e32 v2, v2, v3
	v_subrev_u32_e32 v3, s22, v2
	v_cmp_le_u32_e32 vcc, s22, v2
	v_cndmask_b32_e32 v2, v2, v3, vcc
	v_subrev_u32_e32 v3, s22, v2
	v_cmp_le_u32_e32 vcc, s22, v2
	v_cndmask_b32_e32 v2, v2, v3, vcc
	v_xor_b32_e32 v2, v2, v1
	v_sub_u32_e32 v1, v2, v1
	v_cmp_eq_u32_e32 vcc, 0, v1
	s_or_b64 s[0:1], vcc, s[0:1]
	s_and_saveexec_b64 s[12:13], s[0:1]
	s_cbranch_execz .LBB205_615
; %bb.617:                              ;   in Loop: Header=BB205_616 Depth=1
	buffer_store_dword v16, off, s[56:59], 0 offset:616 ; 4-byte Folded Spill
	buffer_store_dword v15, off, s[56:59], 0 offset:612 ; 4-byte Folded Spill
	;; [unrolled: 1-line block ×3, first 2 shown]
	global_load_dword v2, v[7:8], off
	v_mov_b32_e32 v0, s4
	v_mov_b32_e32 v1, s5
	s_load_dword s38, s[14:15], 0x0
	v_mov_b32_e32 v18, 0
	v_mov_b32_e32 v16, 0
	;; [unrolled: 1-line block ×4, first 2 shown]
	s_waitcnt vmcnt(0)
	v_mad_i64_i32 v[13:14], s[0:1], v2, s34, v[0:1]
	buffer_load_dword v0, off, s[56:59], 0 offset:640 ; 4-byte Folded Reload
	ds_read_b128 v[1:4], v60
	s_waitcnt vmcnt(0)
	v_add_co_u32_e32 v11, vcc, v13, v0
	v_addc_co_u32_e32 v12, vcc, 0, v14, vcc
	global_load_dword v15, v[11:12], off
	s_waitcnt vmcnt(0)
	v_cmp_ne_u16_sdwa s[16:17], v15, v5 src0_sel:BYTE_0 src1_sel:DWORD
	s_and_saveexec_b64 s[0:1], s[16:17]
	s_cbranch_execz .LBB205_623
; %bb.618:                              ;   in Loop: Header=BB205_616 Depth=1
	v_bfrev_b32_e32 v16, 1
	v_mov_b32_e32 v17, 0
	v_cmp_ne_u16_sdwa s[18:19], v15, s28 src0_sel:BYTE_0 src1_sel:DWORD
	s_and_saveexec_b64 s[16:17], s[18:19]
	s_cbranch_execz .LBB205_622
; %bb.619:                              ;   in Loop: Header=BB205_616 Depth=1
	v_and_b32_e32 v0, 0x7f, v15
	v_mov_b32_e32 v16, 0x7f800001
	v_mov_b32_e32 v17, 0
	v_cmp_ne_u32_e32 vcc, s29, v0
	s_and_saveexec_b64 s[18:19], vcc
	s_cbranch_execz .LBB205_621
; %bb.620:                              ;   in Loop: Header=BB205_616 Depth=1
	v_and_b32_e32 v9, 7, v15
	v_ffbh_u32_e32 v16, v9
	v_min_u32_e32 v21, 32, v16
	v_subrev_u32_e32 v16, 28, v21
	v_lshlrev_b64 v[16:17], v16, v[15:16]
	v_lshrrev_b32_e32 v20, 3, v0
	v_sub_u32_e32 v17, 29, v21
	v_and_b32_e32 v16, 7, v16
	v_cmp_gt_u32_e32 vcc, 8, v0
	v_cndmask_b32_e32 v0, v20, v17, vcc
	v_cndmask_b32_e32 v9, v9, v16, vcc
	v_bfrev_b32_e32 v17, 60
	v_lshlrev_b32_e32 v9, 20, v9
	v_and_b32_sdwa v16, sext(v15), s30 dst_sel:DWORD dst_unused:UNUSED_PAD src0_sel:BYTE_0 src1_sel:DWORD
	v_lshl_add_u32 v0, v0, 23, v17
	v_or3_b32 v16, v16, v0, v9
	v_mov_b32_e32 v17, v5
.LBB205_621:                            ;   in Loop: Header=BB205_616 Depth=1
	s_or_b64 exec, exec, s[18:19]
.LBB205_622:                            ;   in Loop: Header=BB205_616 Depth=1
	s_or_b64 exec, exec, s[16:17]
.LBB205_623:                            ;   in Loop: Header=BB205_616 Depth=1
	s_or_b64 exec, exec, s[0:1]
	v_cmp_ne_u16_sdwa s[16:17], v15, v5 src0_sel:BYTE_1 src1_sel:DWORD
	s_and_saveexec_b64 s[0:1], s[16:17]
	s_cbranch_execz .LBB205_629
; %bb.624:                              ;   in Loop: Header=BB205_616 Depth=1
	v_mov_b32_e32 v19, v6
	v_cmp_ne_u16_sdwa s[18:19], v15, s28 src0_sel:BYTE_1 src1_sel:DWORD
	v_mov_b32_e32 v18, v5
	s_and_saveexec_b64 s[16:17], s[18:19]
	s_cbranch_execz .LBB205_628
; %bb.625:                              ;   in Loop: Header=BB205_616 Depth=1
	v_and_b32_sdwa v0, v15, s29 dst_sel:DWORD dst_unused:UNUSED_PAD src0_sel:BYTE_1 src1_sel:DWORD
	v_mov_b32_e32 v9, v5
	v_mov_b32_e32 v19, v10
	v_cmp_ne_u32_e32 vcc, s29, v0
	v_mov_b32_e32 v18, v9
	s_and_saveexec_b64 s[18:19], vcc
	s_cbranch_execz .LBB205_627
; %bb.626:                              ;   in Loop: Header=BB205_616 Depth=1
	v_mov_b32_e32 v9, 7
	v_and_b32_sdwa v18, v15, v9 dst_sel:DWORD dst_unused:UNUSED_PAD src0_sel:BYTE_1 src1_sel:DWORD
	v_ffbh_u32_e32 v20, v18
	v_min_u32_e32 v21, 32, v20
	v_mov_b32_e32 v19, v5
	v_subrev_u32_e32 v20, 28, v21
	v_lshlrev_b64 v[19:20], v20, v[18:19]
	v_lshrrev_b32_e32 v9, 3, v0
	v_sub_u32_e32 v20, 29, v21
	v_and_b32_e32 v19, 7, v19
	v_cmp_gt_u32_e32 vcc, 8, v0
	v_cndmask_b32_e32 v0, v9, v20, vcc
	v_cndmask_b32_e32 v9, v18, v19, vcc
	v_bfrev_b32_e32 v19, 60
	v_lshlrev_b32_e32 v18, 16, v15
	v_lshl_add_u32 v0, v0, 23, v19
	v_and_or_b32 v0, v18, s30, v0
	v_lshlrev_b32_e32 v9, 20, v9
	v_or_b32_e32 v19, v0, v9
	v_mov_b32_e32 v18, v5
.LBB205_627:                            ;   in Loop: Header=BB205_616 Depth=1
	s_or_b64 exec, exec, s[18:19]
.LBB205_628:                            ;   in Loop: Header=BB205_616 Depth=1
	s_or_b64 exec, exec, s[16:17]
.LBB205_629:                            ;   in Loop: Header=BB205_616 Depth=1
	s_or_b64 exec, exec, s[0:1]
	v_lshrrev_b32_e32 v9, 16, v15
	v_mov_b32_e32 v22, 0
	v_mov_b32_e32 v20, 0
	;; [unrolled: 1-line block ×4, first 2 shown]
	v_cmp_ne_u16_sdwa s[16:17], v9, v5 src0_sel:BYTE_0 src1_sel:DWORD
	s_and_saveexec_b64 s[0:1], s[16:17]
	s_cbranch_execz .LBB205_635
; %bb.630:                              ;   in Loop: Header=BB205_616 Depth=1
	v_bfrev_b32_e32 v20, 1
	v_mov_b32_e32 v21, 0
	v_cmp_ne_u16_sdwa s[18:19], v9, s28 src0_sel:BYTE_0 src1_sel:DWORD
	s_and_saveexec_b64 s[16:17], s[18:19]
	s_cbranch_execz .LBB205_634
; %bb.631:                              ;   in Loop: Header=BB205_616 Depth=1
	v_bfe_u32 v0, v15, 16, 7
	v_mov_b32_e32 v20, 0x7f800001
	v_mov_b32_e32 v21, 0
	v_cmp_ne_u32_e32 vcc, s29, v0
	s_and_saveexec_b64 s[18:19], vcc
	s_cbranch_execz .LBB205_633
; %bb.632:                              ;   in Loop: Header=BB205_616 Depth=1
	v_and_b32_e32 v24, 7, v9
	v_lshrrev_b32_e32 v25, 3, v0
	v_cmp_gt_u32_e32 vcc, 8, v0
	v_ffbh_u32_e32 v0, v24
	v_min_u32_e32 v0, 32, v0
	v_subrev_u32_e32 v20, 28, v0
	v_lshlrev_b64 v[20:21], v20, v[9:10]
	v_sub_u32_e32 v0, 29, v0
	v_and_b32_e32 v20, 7, v20
	v_cndmask_b32_e32 v0, v25, v0, vcc
	v_cndmask_b32_e32 v20, v24, v20, vcc
	v_bfrev_b32_e32 v21, 60
	v_lshlrev_b32_e32 v20, 20, v20
	v_and_b32_sdwa v9, sext(v9), s30 dst_sel:DWORD dst_unused:UNUSED_PAD src0_sel:BYTE_0 src1_sel:DWORD
	v_lshl_add_u32 v0, v0, 23, v21
	v_or3_b32 v20, v9, v0, v20
	v_mov_b32_e32 v21, v5
.LBB205_633:                            ;   in Loop: Header=BB205_616 Depth=1
	s_or_b64 exec, exec, s[18:19]
.LBB205_634:                            ;   in Loop: Header=BB205_616 Depth=1
	s_or_b64 exec, exec, s[16:17]
.LBB205_635:                            ;   in Loop: Header=BB205_616 Depth=1
	s_or_b64 exec, exec, s[0:1]
	v_cmp_lt_u32_e32 vcc, s31, v15
	s_and_saveexec_b64 s[0:1], vcc
	s_cbranch_execz .LBB205_641
; %bb.636:                              ;   in Loop: Header=BB205_616 Depth=1
	v_mov_b32_e32 v23, v6
	v_cmp_ne_u32_sdwa s[18:19], v15, s28 src0_sel:BYTE_3 src1_sel:DWORD
	v_mov_b32_e32 v22, v5
	s_and_saveexec_b64 s[16:17], s[18:19]
	s_cbranch_execz .LBB205_640
; %bb.637:                              ;   in Loop: Header=BB205_616 Depth=1
	v_bfe_u32 v0, v15, 24, 7
	v_mov_b32_e32 v9, v5
	v_mov_b32_e32 v23, v10
	v_cmp_ne_u32_e32 vcc, s29, v0
	v_mov_b32_e32 v22, v9
	s_and_saveexec_b64 s[18:19], vcc
	s_cbranch_execz .LBB205_639
; %bb.638:                              ;   in Loop: Header=BB205_616 Depth=1
	v_mov_b32_e32 v9, 7
	v_and_b32_sdwa v22, v15, v9 dst_sel:DWORD dst_unused:UNUSED_PAD src0_sel:BYTE_3 src1_sel:DWORD
	v_lshrrev_b32_e32 v9, 3, v0
	v_cmp_gt_u32_e32 vcc, 8, v0
	v_ffbh_u32_e32 v0, v22
	v_min_u32_e32 v0, 32, v0
	v_mov_b32_e32 v23, v5
	v_subrev_u32_e32 v24, 28, v0
	v_lshlrev_b64 v[23:24], v24, v[22:23]
	v_sub_u32_e32 v0, 29, v0
	v_and_b32_e32 v23, 7, v23
	v_cndmask_b32_e32 v0, v9, v0, vcc
	v_cndmask_b32_e32 v9, v22, v23, vcc
	v_mov_b32_e32 v22, 24
	v_lshlrev_b32_sdwa v15, v22, v15 dst_sel:DWORD dst_unused:UNUSED_PAD src0_sel:DWORD src1_sel:BYTE_3
	v_bfrev_b32_e32 v22, 60
	v_lshl_add_u32 v0, v0, 23, v22
	v_and_or_b32 v0, v15, s30, v0
	v_lshlrev_b32_e32 v9, 20, v9
	v_or_b32_e32 v23, v0, v9
	v_mov_b32_e32 v22, v5
.LBB205_639:                            ;   in Loop: Header=BB205_616 Depth=1
	s_or_b64 exec, exec, s[18:19]
.LBB205_640:                            ;   in Loop: Header=BB205_616 Depth=1
	s_or_b64 exec, exec, s[16:17]
.LBB205_641:                            ;   in Loop: Header=BB205_616 Depth=1
	s_or_b64 exec, exec, s[0:1]
	buffer_load_dword v0, off, s[56:59], 0 offset:12 ; 4-byte Folded Reload
	buffer_load_dword v9, off, s[56:59], 0 offset:624 ; 4-byte Folded Reload
	s_waitcnt vmcnt(0)
	v_add_u32_e32 v15, v9, v0
	buffer_load_dword v0, off, s[56:59], 0 offset:8 ; 4-byte Folded Reload
	v_or_b32_e32 v9, v18, v16
	v_add_u32_e32 v56, 1, v15
	v_add_u32_e32 v63, 2, v15
	buffer_store_dword v15, off, s[56:59], 0 ; 4-byte Folded Spill
	s_waitcnt vmcnt(1)
	v_cmp_eq_u32_e64 s[0:1], s35, v0
	v_or_b32_e32 v0, v19, v17
	s_waitcnt lgkmcnt(0)
	v_mul_f32_e32 v0, s38, v0
	buffer_store_dword v0, off, s[56:59], 0 offset:16 ; 4-byte Folded Spill
	v_mul_f32_e32 v0, s38, v9
	buffer_store_dword v0, off, s[56:59], 0 offset:32 ; 4-byte Folded Spill
	v_or_b32_e32 v0, v23, v21
	v_or_b32_e32 v9, v22, v20
	v_mul_f32_e32 v0, s38, v0
	v_mul_f32_e32 v9, s38, v9
	buffer_store_dword v0, off, s[56:59], 0 offset:20 ; 4-byte Folded Spill
	v_add_u32_e32 v0, 3, v15
	buffer_store_dword v9, off, s[56:59], 0 offset:28 ; 4-byte Folded Spill
	s_and_saveexec_b64 s[16:17], s[0:1]
	s_cbranch_execz .LBB205_643
; %bb.642:                              ;   in Loop: Header=BB205_616 Depth=1
	buffer_load_dword v9, off, s[56:59], 0  ; 4-byte Folded Reload
	s_waitcnt vmcnt(0)
	v_cmp_gt_i32_e32 vcc, s33, v9
	buffer_load_dword v9, off, s[56:59], 0 offset:32 ; 4-byte Folded Reload
	s_waitcnt vmcnt(0)
	v_cndmask_b32_e32 v9, 0, v9, vcc
	buffer_store_dword v9, off, s[56:59], 0 offset:32 ; 4-byte Folded Spill
	buffer_load_dword v9, off, s[56:59], 0 offset:16 ; 4-byte Folded Reload
	v_cmp_gt_i32_e32 vcc, s33, v56
	s_waitcnt vmcnt(0)
	v_cndmask_b32_e32 v9, 0, v9, vcc
	buffer_store_dword v9, off, s[56:59], 0 offset:16 ; 4-byte Folded Spill
	buffer_load_dword v9, off, s[56:59], 0 offset:28 ; 4-byte Folded Reload
	v_cmp_gt_i32_e32 vcc, s33, v63
	;; [unrolled: 5-line block ×3, first 2 shown]
	s_waitcnt vmcnt(0)
	v_cndmask_b32_e32 v9, 0, v9, vcc
	buffer_store_dword v9, off, s[56:59], 0 offset:20 ; 4-byte Folded Spill
.LBB205_643:                            ;   in Loop: Header=BB205_616 Depth=1
	s_or_b64 exec, exec, s[16:17]
	global_load_dword v15, v[11:12], off offset:256
	v_mov_b32_e32 v18, 0
	v_mov_b32_e32 v16, 0
	;; [unrolled: 1-line block ×4, first 2 shown]
	s_waitcnt vmcnt(0)
	v_cmp_ne_u16_sdwa s[18:19], v15, v5 src0_sel:BYTE_0 src1_sel:DWORD
	s_and_saveexec_b64 s[16:17], s[18:19]
	s_cbranch_execz .LBB205_649
; %bb.644:                              ;   in Loop: Header=BB205_616 Depth=1
	v_bfrev_b32_e32 v16, 1
	v_mov_b32_e32 v17, 0
	v_cmp_ne_u16_sdwa s[20:21], v15, s28 src0_sel:BYTE_0 src1_sel:DWORD
	s_and_saveexec_b64 s[18:19], s[20:21]
	s_cbranch_execz .LBB205_648
; %bb.645:                              ;   in Loop: Header=BB205_616 Depth=1
	v_and_b32_e32 v9, 0x7f, v15
	v_mov_b32_e32 v16, 0x7f800001
	v_mov_b32_e32 v17, 0
	v_cmp_ne_u32_e32 vcc, s29, v9
	s_and_saveexec_b64 s[20:21], vcc
	s_cbranch_execz .LBB205_647
; %bb.646:                              ;   in Loop: Header=BB205_616 Depth=1
	v_and_b32_e32 v20, 7, v15
	v_lshrrev_b32_e32 v21, 3, v9
	v_cmp_gt_u32_e32 vcc, 8, v9
	v_ffbh_u32_e32 v9, v20
	v_min_u32_e32 v9, 32, v9
	v_subrev_u32_e32 v16, 28, v9
	v_lshlrev_b64 v[16:17], v16, v[15:16]
	v_sub_u32_e32 v9, 29, v9
	v_and_b32_e32 v16, 7, v16
	v_cndmask_b32_e32 v9, v21, v9, vcc
	v_cndmask_b32_e32 v16, v20, v16, vcc
	v_bfrev_b32_e32 v20, 60
	v_lshlrev_b32_e32 v16, 20, v16
	v_and_b32_sdwa v17, sext(v15), s30 dst_sel:DWORD dst_unused:UNUSED_PAD src0_sel:BYTE_0 src1_sel:DWORD
	v_lshl_add_u32 v9, v9, 23, v20
	v_or3_b32 v16, v17, v9, v16
	v_mov_b32_e32 v17, v5
.LBB205_647:                            ;   in Loop: Header=BB205_616 Depth=1
	s_or_b64 exec, exec, s[20:21]
.LBB205_648:                            ;   in Loop: Header=BB205_616 Depth=1
	s_or_b64 exec, exec, s[18:19]
.LBB205_649:                            ;   in Loop: Header=BB205_616 Depth=1
	s_or_b64 exec, exec, s[16:17]
	v_cmp_ne_u16_sdwa s[18:19], v15, v5 src0_sel:BYTE_1 src1_sel:DWORD
	s_and_saveexec_b64 s[16:17], s[18:19]
	s_cbranch_execz .LBB205_655
; %bb.650:                              ;   in Loop: Header=BB205_616 Depth=1
	v_mov_b32_e32 v19, v6
	v_cmp_ne_u16_sdwa s[20:21], v15, s28 src0_sel:BYTE_1 src1_sel:DWORD
	v_mov_b32_e32 v18, v5
	s_and_saveexec_b64 s[18:19], s[20:21]
	s_cbranch_execz .LBB205_654
; %bb.651:                              ;   in Loop: Header=BB205_616 Depth=1
	v_and_b32_sdwa v20, v15, s29 dst_sel:DWORD dst_unused:UNUSED_PAD src0_sel:BYTE_1 src1_sel:DWORD
	v_mov_b32_e32 v9, v5
	v_mov_b32_e32 v19, v10
	v_cmp_ne_u32_e32 vcc, s29, v20
	v_mov_b32_e32 v18, v9
	s_and_saveexec_b64 s[20:21], vcc
	s_cbranch_execz .LBB205_653
; %bb.652:                              ;   in Loop: Header=BB205_616 Depth=1
	v_mov_b32_e32 v9, 7
	v_and_b32_sdwa v18, v15, v9 dst_sel:DWORD dst_unused:UNUSED_PAD src0_sel:BYTE_1 src1_sel:DWORD
	v_lshrrev_b32_e32 v9, 3, v20
	v_cmp_gt_u32_e32 vcc, 8, v20
	v_ffbh_u32_e32 v20, v18
	v_min_u32_e32 v21, 32, v20
	v_mov_b32_e32 v19, v5
	v_subrev_u32_e32 v20, 28, v21
	v_lshlrev_b64 v[19:20], v20, v[18:19]
	v_sub_u32_e32 v20, 29, v21
	v_and_b32_e32 v19, 7, v19
	v_cndmask_b32_e32 v9, v9, v20, vcc
	v_bfrev_b32_e32 v20, 60
	v_cndmask_b32_e32 v18, v18, v19, vcc
	v_lshlrev_b32_e32 v19, 16, v15
	v_lshl_add_u32 v9, v9, 23, v20
	v_and_or_b32 v9, v19, s30, v9
	v_lshlrev_b32_e32 v18, 20, v18
	v_or_b32_e32 v19, v9, v18
	v_mov_b32_e32 v18, v5
.LBB205_653:                            ;   in Loop: Header=BB205_616 Depth=1
	s_or_b64 exec, exec, s[20:21]
.LBB205_654:                            ;   in Loop: Header=BB205_616 Depth=1
	s_or_b64 exec, exec, s[18:19]
.LBB205_655:                            ;   in Loop: Header=BB205_616 Depth=1
	s_or_b64 exec, exec, s[16:17]
	v_lshrrev_b32_e32 v9, 16, v15
	v_mov_b32_e32 v22, 0
	v_mov_b32_e32 v20, 0
	v_mov_b32_e32 v23, 0
	v_mov_b32_e32 v21, 0
	v_cmp_ne_u16_sdwa s[18:19], v9, v5 src0_sel:BYTE_0 src1_sel:DWORD
	s_and_saveexec_b64 s[16:17], s[18:19]
	s_cbranch_execz .LBB205_661
; %bb.656:                              ;   in Loop: Header=BB205_616 Depth=1
	v_bfrev_b32_e32 v20, 1
	v_mov_b32_e32 v21, 0
	v_cmp_ne_u16_sdwa s[20:21], v9, s28 src0_sel:BYTE_0 src1_sel:DWORD
	s_and_saveexec_b64 s[18:19], s[20:21]
	s_cbranch_execz .LBB205_660
; %bb.657:                              ;   in Loop: Header=BB205_616 Depth=1
	v_bfe_u32 v24, v15, 16, 7
	v_mov_b32_e32 v20, 0x7f800001
	v_mov_b32_e32 v21, 0
	v_cmp_ne_u32_e32 vcc, s29, v24
	s_and_saveexec_b64 s[20:21], vcc
	s_cbranch_execz .LBB205_659
; %bb.658:                              ;   in Loop: Header=BB205_616 Depth=1
	v_and_b32_e32 v25, 7, v9
	v_ffbh_u32_e32 v20, v25
	v_lshrrev_b32_e32 v26, 3, v24
	v_cmp_gt_u32_e32 vcc, 8, v24
	v_min_u32_e32 v24, 32, v20
	v_subrev_u32_e32 v20, 28, v24
	v_lshlrev_b64 v[20:21], v20, v[9:10]
	v_sub_u32_e32 v21, 29, v24
	v_and_b32_e32 v20, 7, v20
	v_cndmask_b32_e32 v21, v26, v21, vcc
	v_cndmask_b32_e32 v20, v25, v20, vcc
	v_bfrev_b32_e32 v24, 60
	v_lshlrev_b32_e32 v20, 20, v20
	v_and_b32_sdwa v9, sext(v9), s30 dst_sel:DWORD dst_unused:UNUSED_PAD src0_sel:BYTE_0 src1_sel:DWORD
	v_lshl_add_u32 v21, v21, 23, v24
	v_or3_b32 v20, v9, v21, v20
	v_mov_b32_e32 v21, v5
.LBB205_659:                            ;   in Loop: Header=BB205_616 Depth=1
	s_or_b64 exec, exec, s[20:21]
.LBB205_660:                            ;   in Loop: Header=BB205_616 Depth=1
	s_or_b64 exec, exec, s[18:19]
.LBB205_661:                            ;   in Loop: Header=BB205_616 Depth=1
	s_or_b64 exec, exec, s[16:17]
	v_cmp_lt_u32_e32 vcc, s31, v15
	s_and_saveexec_b64 s[16:17], vcc
	s_cbranch_execz .LBB205_667
; %bb.662:                              ;   in Loop: Header=BB205_616 Depth=1
	v_mov_b32_e32 v23, v6
	v_cmp_ne_u32_sdwa s[20:21], v15, s28 src0_sel:BYTE_3 src1_sel:DWORD
	v_mov_b32_e32 v22, v5
	s_and_saveexec_b64 s[18:19], s[20:21]
	s_cbranch_execz .LBB205_666
; %bb.663:                              ;   in Loop: Header=BB205_616 Depth=1
	v_bfe_u32 v24, v15, 24, 7
	v_mov_b32_e32 v9, v5
	v_mov_b32_e32 v23, v10
	v_cmp_ne_u32_e32 vcc, s29, v24
	v_mov_b32_e32 v22, v9
	s_and_saveexec_b64 s[20:21], vcc
	s_cbranch_execz .LBB205_665
; %bb.664:                              ;   in Loop: Header=BB205_616 Depth=1
	v_mov_b32_e32 v9, 7
	v_and_b32_sdwa v22, v15, v9 dst_sel:DWORD dst_unused:UNUSED_PAD src0_sel:BYTE_3 src1_sel:DWORD
	v_lshrrev_b32_e32 v9, 3, v24
	v_cmp_gt_u32_e32 vcc, 8, v24
	v_ffbh_u32_e32 v24, v22
	v_min_u32_e32 v25, 32, v24
	v_mov_b32_e32 v23, v5
	v_subrev_u32_e32 v24, 28, v25
	v_lshlrev_b64 v[23:24], v24, v[22:23]
	v_sub_u32_e32 v24, 29, v25
	v_and_b32_e32 v23, 7, v23
	v_cndmask_b32_e32 v22, v22, v23, vcc
	v_mov_b32_e32 v23, 24
	v_cndmask_b32_e32 v9, v9, v24, vcc
	v_lshlrev_b32_sdwa v15, v23, v15 dst_sel:DWORD dst_unused:UNUSED_PAD src0_sel:DWORD src1_sel:BYTE_3
	v_bfrev_b32_e32 v23, 60
	v_lshl_add_u32 v9, v9, 23, v23
	v_and_or_b32 v9, v15, s30, v9
	v_lshlrev_b32_e32 v15, 20, v22
	v_or_b32_e32 v23, v9, v15
	v_mov_b32_e32 v22, v5
.LBB205_665:                            ;   in Loop: Header=BB205_616 Depth=1
	s_or_b64 exec, exec, s[20:21]
.LBB205_666:                            ;   in Loop: Header=BB205_616 Depth=1
	s_or_b64 exec, exec, s[18:19]
.LBB205_667:                            ;   in Loop: Header=BB205_616 Depth=1
	s_or_b64 exec, exec, s[16:17]
	s_mov_b32 s39, s38
	v_or_b32_e32 v9, v19, v17
	v_or_b32_e32 v15, v18, v16
	v_mul_f32_e32 v9, s39, v9
	buffer_store_dword v9, off, s[56:59], 0 offset:36 ; 4-byte Folded Spill
	v_mul_f32_e32 v9, s38, v15
	buffer_store_dword v9, off, s[56:59], 0 offset:48 ; 4-byte Folded Spill
	v_or_b32_e32 v9, v23, v21
	v_or_b32_e32 v15, v22, v20
	v_mul_f32_e32 v15, s38, v15
	v_mul_f32_e32 v9, s39, v9
	buffer_store_dword v15, off, s[56:59], 0 offset:44 ; 4-byte Folded Spill
	buffer_store_dword v9, off, s[56:59], 0 offset:40 ; 4-byte Folded Spill
	s_and_saveexec_b64 s[16:17], s[0:1]
	s_cbranch_execz .LBB205_669
; %bb.668:                              ;   in Loop: Header=BB205_616 Depth=1
	buffer_load_dword v9, off, s[56:59], 0  ; 4-byte Folded Reload
	s_waitcnt vmcnt(0)
	v_cmp_gt_i32_e32 vcc, s33, v9
	buffer_load_dword v9, off, s[56:59], 0 offset:48 ; 4-byte Folded Reload
	s_waitcnt vmcnt(0)
	v_cndmask_b32_e32 v9, 0, v9, vcc
	buffer_store_dword v9, off, s[56:59], 0 offset:48 ; 4-byte Folded Spill
	buffer_load_dword v9, off, s[56:59], 0 offset:36 ; 4-byte Folded Reload
	v_cmp_gt_i32_e32 vcc, s33, v56
	s_waitcnt vmcnt(0)
	v_cndmask_b32_e32 v9, 0, v9, vcc
	buffer_store_dword v9, off, s[56:59], 0 offset:36 ; 4-byte Folded Spill
	buffer_load_dword v9, off, s[56:59], 0 offset:44 ; 4-byte Folded Reload
	v_cmp_gt_i32_e32 vcc, s33, v63
	;; [unrolled: 5-line block ×3, first 2 shown]
	s_waitcnt vmcnt(0)
	v_cndmask_b32_e32 v9, 0, v9, vcc
	buffer_store_dword v9, off, s[56:59], 0 offset:40 ; 4-byte Folded Spill
.LBB205_669:                            ;   in Loop: Header=BB205_616 Depth=1
	s_or_b64 exec, exec, s[16:17]
	global_load_dword v15, v[11:12], off offset:512
	v_mov_b32_e32 v18, 0
	v_mov_b32_e32 v16, 0
	;; [unrolled: 1-line block ×4, first 2 shown]
	s_waitcnt vmcnt(0)
	v_cmp_ne_u16_sdwa s[18:19], v15, v5 src0_sel:BYTE_0 src1_sel:DWORD
	s_and_saveexec_b64 s[16:17], s[18:19]
	s_cbranch_execz .LBB205_675
; %bb.670:                              ;   in Loop: Header=BB205_616 Depth=1
	v_bfrev_b32_e32 v16, 1
	v_mov_b32_e32 v17, 0
	v_cmp_ne_u16_sdwa s[20:21], v15, s28 src0_sel:BYTE_0 src1_sel:DWORD
	s_and_saveexec_b64 s[18:19], s[20:21]
	s_cbranch_execz .LBB205_674
; %bb.671:                              ;   in Loop: Header=BB205_616 Depth=1
	v_and_b32_e32 v9, 0x7f, v15
	v_mov_b32_e32 v16, 0x7f800001
	v_mov_b32_e32 v17, 0
	v_cmp_ne_u32_e32 vcc, s29, v9
	s_and_saveexec_b64 s[20:21], vcc
	s_cbranch_execz .LBB205_673
; %bb.672:                              ;   in Loop: Header=BB205_616 Depth=1
	v_and_b32_e32 v20, 7, v15
	v_lshrrev_b32_e32 v21, 3, v9
	v_cmp_gt_u32_e32 vcc, 8, v9
	v_ffbh_u32_e32 v9, v20
	v_min_u32_e32 v9, 32, v9
	v_subrev_u32_e32 v16, 28, v9
	v_lshlrev_b64 v[16:17], v16, v[15:16]
	v_sub_u32_e32 v9, 29, v9
	v_and_b32_e32 v16, 7, v16
	v_cndmask_b32_e32 v9, v21, v9, vcc
	v_cndmask_b32_e32 v16, v20, v16, vcc
	v_bfrev_b32_e32 v20, 60
	v_lshlrev_b32_e32 v16, 20, v16
	v_and_b32_sdwa v17, sext(v15), s30 dst_sel:DWORD dst_unused:UNUSED_PAD src0_sel:BYTE_0 src1_sel:DWORD
	v_lshl_add_u32 v9, v9, 23, v20
	v_or3_b32 v16, v17, v9, v16
	v_mov_b32_e32 v17, v5
.LBB205_673:                            ;   in Loop: Header=BB205_616 Depth=1
	s_or_b64 exec, exec, s[20:21]
.LBB205_674:                            ;   in Loop: Header=BB205_616 Depth=1
	s_or_b64 exec, exec, s[18:19]
.LBB205_675:                            ;   in Loop: Header=BB205_616 Depth=1
	s_or_b64 exec, exec, s[16:17]
	v_cmp_ne_u16_sdwa s[18:19], v15, v5 src0_sel:BYTE_1 src1_sel:DWORD
	s_and_saveexec_b64 s[16:17], s[18:19]
	s_cbranch_execz .LBB205_681
; %bb.676:                              ;   in Loop: Header=BB205_616 Depth=1
	v_mov_b32_e32 v19, v6
	v_cmp_ne_u16_sdwa s[20:21], v15, s28 src0_sel:BYTE_1 src1_sel:DWORD
	v_mov_b32_e32 v18, v5
	s_and_saveexec_b64 s[18:19], s[20:21]
	s_cbranch_execz .LBB205_680
; %bb.677:                              ;   in Loop: Header=BB205_616 Depth=1
	v_and_b32_sdwa v20, v15, s29 dst_sel:DWORD dst_unused:UNUSED_PAD src0_sel:BYTE_1 src1_sel:DWORD
	v_mov_b32_e32 v9, v5
	v_mov_b32_e32 v19, v10
	v_cmp_ne_u32_e32 vcc, s29, v20
	v_mov_b32_e32 v18, v9
	s_and_saveexec_b64 s[20:21], vcc
	s_cbranch_execz .LBB205_679
; %bb.678:                              ;   in Loop: Header=BB205_616 Depth=1
	v_mov_b32_e32 v9, 7
	v_and_b32_sdwa v18, v15, v9 dst_sel:DWORD dst_unused:UNUSED_PAD src0_sel:BYTE_1 src1_sel:DWORD
	v_lshrrev_b32_e32 v9, 3, v20
	v_cmp_gt_u32_e32 vcc, 8, v20
	v_ffbh_u32_e32 v20, v18
	v_min_u32_e32 v21, 32, v20
	v_mov_b32_e32 v19, v5
	v_subrev_u32_e32 v20, 28, v21
	v_lshlrev_b64 v[19:20], v20, v[18:19]
	v_sub_u32_e32 v20, 29, v21
	v_and_b32_e32 v19, 7, v19
	v_cndmask_b32_e32 v9, v9, v20, vcc
	v_bfrev_b32_e32 v20, 60
	v_cndmask_b32_e32 v18, v18, v19, vcc
	v_lshlrev_b32_e32 v19, 16, v15
	v_lshl_add_u32 v9, v9, 23, v20
	v_and_or_b32 v9, v19, s30, v9
	v_lshlrev_b32_e32 v18, 20, v18
	v_or_b32_e32 v19, v9, v18
	v_mov_b32_e32 v18, v5
.LBB205_679:                            ;   in Loop: Header=BB205_616 Depth=1
	s_or_b64 exec, exec, s[20:21]
.LBB205_680:                            ;   in Loop: Header=BB205_616 Depth=1
	s_or_b64 exec, exec, s[18:19]
.LBB205_681:                            ;   in Loop: Header=BB205_616 Depth=1
	s_or_b64 exec, exec, s[16:17]
	v_lshrrev_b32_e32 v9, 16, v15
	v_mov_b32_e32 v22, 0
	v_mov_b32_e32 v20, 0
	;; [unrolled: 1-line block ×4, first 2 shown]
	v_cmp_ne_u16_sdwa s[18:19], v9, v5 src0_sel:BYTE_0 src1_sel:DWORD
	s_and_saveexec_b64 s[16:17], s[18:19]
	s_cbranch_execz .LBB205_687
; %bb.682:                              ;   in Loop: Header=BB205_616 Depth=1
	v_bfrev_b32_e32 v20, 1
	v_mov_b32_e32 v21, 0
	v_cmp_ne_u16_sdwa s[20:21], v9, s28 src0_sel:BYTE_0 src1_sel:DWORD
	s_and_saveexec_b64 s[18:19], s[20:21]
	s_cbranch_execz .LBB205_686
; %bb.683:                              ;   in Loop: Header=BB205_616 Depth=1
	v_bfe_u32 v24, v15, 16, 7
	v_mov_b32_e32 v20, 0x7f800001
	v_mov_b32_e32 v21, 0
	v_cmp_ne_u32_e32 vcc, s29, v24
	s_and_saveexec_b64 s[20:21], vcc
	s_cbranch_execz .LBB205_685
; %bb.684:                              ;   in Loop: Header=BB205_616 Depth=1
	v_and_b32_e32 v25, 7, v9
	v_ffbh_u32_e32 v20, v25
	v_lshrrev_b32_e32 v26, 3, v24
	v_cmp_gt_u32_e32 vcc, 8, v24
	v_min_u32_e32 v24, 32, v20
	v_subrev_u32_e32 v20, 28, v24
	v_lshlrev_b64 v[20:21], v20, v[9:10]
	v_sub_u32_e32 v21, 29, v24
	v_and_b32_e32 v20, 7, v20
	v_cndmask_b32_e32 v21, v26, v21, vcc
	v_cndmask_b32_e32 v20, v25, v20, vcc
	v_bfrev_b32_e32 v24, 60
	v_lshlrev_b32_e32 v20, 20, v20
	v_and_b32_sdwa v9, sext(v9), s30 dst_sel:DWORD dst_unused:UNUSED_PAD src0_sel:BYTE_0 src1_sel:DWORD
	v_lshl_add_u32 v21, v21, 23, v24
	v_or3_b32 v20, v9, v21, v20
	v_mov_b32_e32 v21, v5
.LBB205_685:                            ;   in Loop: Header=BB205_616 Depth=1
	s_or_b64 exec, exec, s[20:21]
.LBB205_686:                            ;   in Loop: Header=BB205_616 Depth=1
	s_or_b64 exec, exec, s[18:19]
.LBB205_687:                            ;   in Loop: Header=BB205_616 Depth=1
	s_or_b64 exec, exec, s[16:17]
	v_cmp_lt_u32_e32 vcc, s31, v15
	s_and_saveexec_b64 s[16:17], vcc
	s_cbranch_execz .LBB205_693
; %bb.688:                              ;   in Loop: Header=BB205_616 Depth=1
	v_mov_b32_e32 v23, v6
	v_cmp_ne_u32_sdwa s[20:21], v15, s28 src0_sel:BYTE_3 src1_sel:DWORD
	v_mov_b32_e32 v22, v5
	s_and_saveexec_b64 s[18:19], s[20:21]
	s_cbranch_execz .LBB205_692
; %bb.689:                              ;   in Loop: Header=BB205_616 Depth=1
	v_bfe_u32 v24, v15, 24, 7
	v_mov_b32_e32 v9, v5
	v_mov_b32_e32 v23, v10
	v_cmp_ne_u32_e32 vcc, s29, v24
	v_mov_b32_e32 v22, v9
	s_and_saveexec_b64 s[20:21], vcc
	s_cbranch_execz .LBB205_691
; %bb.690:                              ;   in Loop: Header=BB205_616 Depth=1
	v_mov_b32_e32 v9, 7
	v_and_b32_sdwa v22, v15, v9 dst_sel:DWORD dst_unused:UNUSED_PAD src0_sel:BYTE_3 src1_sel:DWORD
	v_lshrrev_b32_e32 v9, 3, v24
	v_cmp_gt_u32_e32 vcc, 8, v24
	v_ffbh_u32_e32 v24, v22
	v_min_u32_e32 v25, 32, v24
	v_mov_b32_e32 v23, v5
	v_subrev_u32_e32 v24, 28, v25
	v_lshlrev_b64 v[23:24], v24, v[22:23]
	v_sub_u32_e32 v24, 29, v25
	v_and_b32_e32 v23, 7, v23
	v_cndmask_b32_e32 v22, v22, v23, vcc
	v_mov_b32_e32 v23, 24
	v_cndmask_b32_e32 v9, v9, v24, vcc
	v_lshlrev_b32_sdwa v15, v23, v15 dst_sel:DWORD dst_unused:UNUSED_PAD src0_sel:DWORD src1_sel:BYTE_3
	v_bfrev_b32_e32 v23, 60
	v_lshl_add_u32 v9, v9, 23, v23
	v_and_or_b32 v9, v15, s30, v9
	v_lshlrev_b32_e32 v15, 20, v22
	v_or_b32_e32 v23, v9, v15
	v_mov_b32_e32 v22, v5
.LBB205_691:                            ;   in Loop: Header=BB205_616 Depth=1
	s_or_b64 exec, exec, s[20:21]
.LBB205_692:                            ;   in Loop: Header=BB205_616 Depth=1
	s_or_b64 exec, exec, s[18:19]
.LBB205_693:                            ;   in Loop: Header=BB205_616 Depth=1
	s_or_b64 exec, exec, s[16:17]
	v_or_b32_e32 v9, v19, v17
	v_or_b32_e32 v15, v18, v16
	v_mul_f32_e32 v9, s39, v9
	buffer_store_dword v9, off, s[56:59], 0 offset:52 ; 4-byte Folded Spill
	v_mul_f32_e32 v9, s38, v15
	buffer_store_dword v9, off, s[56:59], 0 offset:76 ; 4-byte Folded Spill
	v_or_b32_e32 v9, v23, v21
	v_or_b32_e32 v15, v22, v20
	v_mul_f32_e32 v15, s38, v15
	v_mul_f32_e32 v9, s39, v9
	buffer_store_dword v15, off, s[56:59], 0 offset:68 ; 4-byte Folded Spill
	buffer_store_dword v9, off, s[56:59], 0 offset:60 ; 4-byte Folded Spill
	s_and_saveexec_b64 s[16:17], s[0:1]
	s_cbranch_execz .LBB205_695
; %bb.694:                              ;   in Loop: Header=BB205_616 Depth=1
	buffer_load_dword v9, off, s[56:59], 0  ; 4-byte Folded Reload
	s_waitcnt vmcnt(0)
	v_cmp_gt_i32_e32 vcc, s33, v9
	buffer_load_dword v9, off, s[56:59], 0 offset:76 ; 4-byte Folded Reload
	s_waitcnt vmcnt(0)
	v_cndmask_b32_e32 v9, 0, v9, vcc
	buffer_store_dword v9, off, s[56:59], 0 offset:76 ; 4-byte Folded Spill
	buffer_load_dword v9, off, s[56:59], 0 offset:52 ; 4-byte Folded Reload
	v_cmp_gt_i32_e32 vcc, s33, v56
	s_waitcnt vmcnt(0)
	v_cndmask_b32_e32 v9, 0, v9, vcc
	buffer_store_dword v9, off, s[56:59], 0 offset:52 ; 4-byte Folded Spill
	buffer_load_dword v9, off, s[56:59], 0 offset:68 ; 4-byte Folded Reload
	v_cmp_gt_i32_e32 vcc, s33, v63
	;; [unrolled: 5-line block ×3, first 2 shown]
	s_waitcnt vmcnt(0)
	v_cndmask_b32_e32 v9, 0, v9, vcc
	buffer_store_dword v9, off, s[56:59], 0 offset:60 ; 4-byte Folded Spill
.LBB205_695:                            ;   in Loop: Header=BB205_616 Depth=1
	s_or_b64 exec, exec, s[16:17]
	global_load_dword v15, v[11:12], off offset:768
	v_mov_b32_e32 v18, 0
	v_mov_b32_e32 v16, 0
	;; [unrolled: 1-line block ×4, first 2 shown]
	s_waitcnt vmcnt(0)
	v_cmp_ne_u16_sdwa s[18:19], v15, v5 src0_sel:BYTE_0 src1_sel:DWORD
	s_and_saveexec_b64 s[16:17], s[18:19]
	s_cbranch_execz .LBB205_701
; %bb.696:                              ;   in Loop: Header=BB205_616 Depth=1
	v_bfrev_b32_e32 v16, 1
	v_mov_b32_e32 v17, 0
	v_cmp_ne_u16_sdwa s[20:21], v15, s28 src0_sel:BYTE_0 src1_sel:DWORD
	s_and_saveexec_b64 s[18:19], s[20:21]
	s_cbranch_execz .LBB205_700
; %bb.697:                              ;   in Loop: Header=BB205_616 Depth=1
	v_and_b32_e32 v9, 0x7f, v15
	v_mov_b32_e32 v16, 0x7f800001
	v_mov_b32_e32 v17, 0
	v_cmp_ne_u32_e32 vcc, s29, v9
	s_and_saveexec_b64 s[20:21], vcc
	s_cbranch_execz .LBB205_699
; %bb.698:                              ;   in Loop: Header=BB205_616 Depth=1
	v_and_b32_e32 v20, 7, v15
	v_lshrrev_b32_e32 v21, 3, v9
	v_cmp_gt_u32_e32 vcc, 8, v9
	v_ffbh_u32_e32 v9, v20
	v_min_u32_e32 v9, 32, v9
	v_subrev_u32_e32 v16, 28, v9
	v_lshlrev_b64 v[16:17], v16, v[15:16]
	v_sub_u32_e32 v9, 29, v9
	v_and_b32_e32 v16, 7, v16
	v_cndmask_b32_e32 v9, v21, v9, vcc
	v_cndmask_b32_e32 v16, v20, v16, vcc
	v_bfrev_b32_e32 v20, 60
	v_lshlrev_b32_e32 v16, 20, v16
	v_and_b32_sdwa v17, sext(v15), s30 dst_sel:DWORD dst_unused:UNUSED_PAD src0_sel:BYTE_0 src1_sel:DWORD
	v_lshl_add_u32 v9, v9, 23, v20
	v_or3_b32 v16, v17, v9, v16
	v_mov_b32_e32 v17, v5
.LBB205_699:                            ;   in Loop: Header=BB205_616 Depth=1
	s_or_b64 exec, exec, s[20:21]
.LBB205_700:                            ;   in Loop: Header=BB205_616 Depth=1
	s_or_b64 exec, exec, s[18:19]
.LBB205_701:                            ;   in Loop: Header=BB205_616 Depth=1
	s_or_b64 exec, exec, s[16:17]
	v_cmp_ne_u16_sdwa s[18:19], v15, v5 src0_sel:BYTE_1 src1_sel:DWORD
	s_and_saveexec_b64 s[16:17], s[18:19]
	s_cbranch_execz .LBB205_707
; %bb.702:                              ;   in Loop: Header=BB205_616 Depth=1
	v_mov_b32_e32 v19, v6
	v_cmp_ne_u16_sdwa s[20:21], v15, s28 src0_sel:BYTE_1 src1_sel:DWORD
	v_mov_b32_e32 v18, v5
	s_and_saveexec_b64 s[18:19], s[20:21]
	s_cbranch_execz .LBB205_706
; %bb.703:                              ;   in Loop: Header=BB205_616 Depth=1
	v_and_b32_sdwa v20, v15, s29 dst_sel:DWORD dst_unused:UNUSED_PAD src0_sel:BYTE_1 src1_sel:DWORD
	v_mov_b32_e32 v9, v5
	v_mov_b32_e32 v19, v10
	v_cmp_ne_u32_e32 vcc, s29, v20
	v_mov_b32_e32 v18, v9
	s_and_saveexec_b64 s[20:21], vcc
	s_cbranch_execz .LBB205_705
; %bb.704:                              ;   in Loop: Header=BB205_616 Depth=1
	v_mov_b32_e32 v9, 7
	v_and_b32_sdwa v18, v15, v9 dst_sel:DWORD dst_unused:UNUSED_PAD src0_sel:BYTE_1 src1_sel:DWORD
	v_lshrrev_b32_e32 v9, 3, v20
	v_cmp_gt_u32_e32 vcc, 8, v20
	v_ffbh_u32_e32 v20, v18
	v_min_u32_e32 v21, 32, v20
	v_mov_b32_e32 v19, v5
	v_subrev_u32_e32 v20, 28, v21
	v_lshlrev_b64 v[19:20], v20, v[18:19]
	v_sub_u32_e32 v20, 29, v21
	v_and_b32_e32 v19, 7, v19
	v_cndmask_b32_e32 v9, v9, v20, vcc
	v_bfrev_b32_e32 v20, 60
	v_cndmask_b32_e32 v18, v18, v19, vcc
	v_lshlrev_b32_e32 v19, 16, v15
	v_lshl_add_u32 v9, v9, 23, v20
	v_and_or_b32 v9, v19, s30, v9
	v_lshlrev_b32_e32 v18, 20, v18
	v_or_b32_e32 v19, v9, v18
	v_mov_b32_e32 v18, v5
.LBB205_705:                            ;   in Loop: Header=BB205_616 Depth=1
	s_or_b64 exec, exec, s[20:21]
.LBB205_706:                            ;   in Loop: Header=BB205_616 Depth=1
	s_or_b64 exec, exec, s[18:19]
.LBB205_707:                            ;   in Loop: Header=BB205_616 Depth=1
	s_or_b64 exec, exec, s[16:17]
	v_lshrrev_b32_e32 v9, 16, v15
	v_mov_b32_e32 v22, 0
	v_mov_b32_e32 v20, 0
	;; [unrolled: 1-line block ×4, first 2 shown]
	v_cmp_ne_u16_sdwa s[18:19], v9, v5 src0_sel:BYTE_0 src1_sel:DWORD
	s_and_saveexec_b64 s[16:17], s[18:19]
	s_cbranch_execz .LBB205_713
; %bb.708:                              ;   in Loop: Header=BB205_616 Depth=1
	v_bfrev_b32_e32 v20, 1
	v_mov_b32_e32 v21, 0
	v_cmp_ne_u16_sdwa s[20:21], v9, s28 src0_sel:BYTE_0 src1_sel:DWORD
	s_and_saveexec_b64 s[18:19], s[20:21]
	s_cbranch_execz .LBB205_712
; %bb.709:                              ;   in Loop: Header=BB205_616 Depth=1
	v_bfe_u32 v24, v15, 16, 7
	v_mov_b32_e32 v20, 0x7f800001
	v_mov_b32_e32 v21, 0
	v_cmp_ne_u32_e32 vcc, s29, v24
	s_and_saveexec_b64 s[20:21], vcc
	s_cbranch_execz .LBB205_711
; %bb.710:                              ;   in Loop: Header=BB205_616 Depth=1
	v_and_b32_e32 v25, 7, v9
	v_ffbh_u32_e32 v20, v25
	v_lshrrev_b32_e32 v26, 3, v24
	v_cmp_gt_u32_e32 vcc, 8, v24
	v_min_u32_e32 v24, 32, v20
	v_subrev_u32_e32 v20, 28, v24
	v_lshlrev_b64 v[20:21], v20, v[9:10]
	v_sub_u32_e32 v21, 29, v24
	v_and_b32_e32 v20, 7, v20
	v_cndmask_b32_e32 v21, v26, v21, vcc
	v_cndmask_b32_e32 v20, v25, v20, vcc
	v_bfrev_b32_e32 v24, 60
	v_lshlrev_b32_e32 v20, 20, v20
	v_and_b32_sdwa v9, sext(v9), s30 dst_sel:DWORD dst_unused:UNUSED_PAD src0_sel:BYTE_0 src1_sel:DWORD
	v_lshl_add_u32 v21, v21, 23, v24
	v_or3_b32 v20, v9, v21, v20
	v_mov_b32_e32 v21, v5
.LBB205_711:                            ;   in Loop: Header=BB205_616 Depth=1
	s_or_b64 exec, exec, s[20:21]
.LBB205_712:                            ;   in Loop: Header=BB205_616 Depth=1
	s_or_b64 exec, exec, s[18:19]
.LBB205_713:                            ;   in Loop: Header=BB205_616 Depth=1
	s_or_b64 exec, exec, s[16:17]
	v_cmp_lt_u32_e32 vcc, s31, v15
	s_and_saveexec_b64 s[16:17], vcc
	s_cbranch_execz .LBB205_719
; %bb.714:                              ;   in Loop: Header=BB205_616 Depth=1
	v_mov_b32_e32 v23, v6
	v_cmp_ne_u32_sdwa s[20:21], v15, s28 src0_sel:BYTE_3 src1_sel:DWORD
	v_mov_b32_e32 v22, v5
	s_and_saveexec_b64 s[18:19], s[20:21]
	s_cbranch_execz .LBB205_718
; %bb.715:                              ;   in Loop: Header=BB205_616 Depth=1
	v_bfe_u32 v24, v15, 24, 7
	v_mov_b32_e32 v9, v5
	v_mov_b32_e32 v23, v10
	v_cmp_ne_u32_e32 vcc, s29, v24
	v_mov_b32_e32 v22, v9
	s_and_saveexec_b64 s[20:21], vcc
	s_cbranch_execz .LBB205_717
; %bb.716:                              ;   in Loop: Header=BB205_616 Depth=1
	v_mov_b32_e32 v9, 7
	v_and_b32_sdwa v22, v15, v9 dst_sel:DWORD dst_unused:UNUSED_PAD src0_sel:BYTE_3 src1_sel:DWORD
	v_lshrrev_b32_e32 v9, 3, v24
	v_cmp_gt_u32_e32 vcc, 8, v24
	v_ffbh_u32_e32 v24, v22
	v_min_u32_e32 v25, 32, v24
	v_mov_b32_e32 v23, v5
	v_subrev_u32_e32 v24, 28, v25
	v_lshlrev_b64 v[23:24], v24, v[22:23]
	v_sub_u32_e32 v24, 29, v25
	v_and_b32_e32 v23, 7, v23
	v_cndmask_b32_e32 v22, v22, v23, vcc
	v_mov_b32_e32 v23, 24
	v_cndmask_b32_e32 v9, v9, v24, vcc
	v_lshlrev_b32_sdwa v15, v23, v15 dst_sel:DWORD dst_unused:UNUSED_PAD src0_sel:DWORD src1_sel:BYTE_3
	v_bfrev_b32_e32 v23, 60
	v_lshl_add_u32 v9, v9, 23, v23
	v_and_or_b32 v9, v15, s30, v9
	v_lshlrev_b32_e32 v15, 20, v22
	v_or_b32_e32 v23, v9, v15
	v_mov_b32_e32 v22, v5
.LBB205_717:                            ;   in Loop: Header=BB205_616 Depth=1
	s_or_b64 exec, exec, s[20:21]
.LBB205_718:                            ;   in Loop: Header=BB205_616 Depth=1
	s_or_b64 exec, exec, s[18:19]
.LBB205_719:                            ;   in Loop: Header=BB205_616 Depth=1
	s_or_b64 exec, exec, s[16:17]
	v_or_b32_e32 v9, v19, v17
	v_or_b32_e32 v15, v18, v16
	v_mul_f32_e32 v9, s39, v9
	buffer_store_dword v9, off, s[56:59], 0 offset:84 ; 4-byte Folded Spill
	v_mul_f32_e32 v9, s38, v15
	buffer_store_dword v9, off, s[56:59], 0 offset:108 ; 4-byte Folded Spill
	v_or_b32_e32 v9, v23, v21
	v_or_b32_e32 v15, v22, v20
	v_mul_f32_e32 v15, s38, v15
	v_mul_f32_e32 v9, s39, v9
	buffer_store_dword v15, off, s[56:59], 0 offset:100 ; 4-byte Folded Spill
	buffer_store_dword v9, off, s[56:59], 0 offset:92 ; 4-byte Folded Spill
	s_and_saveexec_b64 s[16:17], s[0:1]
	s_cbranch_execz .LBB205_721
; %bb.720:                              ;   in Loop: Header=BB205_616 Depth=1
	buffer_load_dword v9, off, s[56:59], 0  ; 4-byte Folded Reload
	s_waitcnt vmcnt(0)
	v_cmp_gt_i32_e32 vcc, s33, v9
	buffer_load_dword v9, off, s[56:59], 0 offset:108 ; 4-byte Folded Reload
	s_waitcnt vmcnt(0)
	v_cndmask_b32_e32 v9, 0, v9, vcc
	buffer_store_dword v9, off, s[56:59], 0 offset:108 ; 4-byte Folded Spill
	buffer_load_dword v9, off, s[56:59], 0 offset:84 ; 4-byte Folded Reload
	v_cmp_gt_i32_e32 vcc, s33, v56
	s_waitcnt vmcnt(0)
	v_cndmask_b32_e32 v9, 0, v9, vcc
	buffer_store_dword v9, off, s[56:59], 0 offset:84 ; 4-byte Folded Spill
	buffer_load_dword v9, off, s[56:59], 0 offset:100 ; 4-byte Folded Reload
	v_cmp_gt_i32_e32 vcc, s33, v63
	;; [unrolled: 5-line block ×3, first 2 shown]
	s_waitcnt vmcnt(0)
	v_cndmask_b32_e32 v9, 0, v9, vcc
	buffer_store_dword v9, off, s[56:59], 0 offset:92 ; 4-byte Folded Spill
.LBB205_721:                            ;   in Loop: Header=BB205_616 Depth=1
	s_or_b64 exec, exec, s[16:17]
	global_load_dword v15, v[11:12], off offset:1024
	v_mov_b32_e32 v18, 0
	v_mov_b32_e32 v16, 0
	;; [unrolled: 1-line block ×4, first 2 shown]
	s_waitcnt vmcnt(0)
	v_cmp_ne_u16_sdwa s[18:19], v15, v5 src0_sel:BYTE_0 src1_sel:DWORD
	s_and_saveexec_b64 s[16:17], s[18:19]
	s_cbranch_execz .LBB205_727
; %bb.722:                              ;   in Loop: Header=BB205_616 Depth=1
	v_bfrev_b32_e32 v16, 1
	v_mov_b32_e32 v17, 0
	v_cmp_ne_u16_sdwa s[20:21], v15, s28 src0_sel:BYTE_0 src1_sel:DWORD
	s_and_saveexec_b64 s[18:19], s[20:21]
	s_cbranch_execz .LBB205_726
; %bb.723:                              ;   in Loop: Header=BB205_616 Depth=1
	v_and_b32_e32 v9, 0x7f, v15
	v_mov_b32_e32 v16, 0x7f800001
	v_mov_b32_e32 v17, 0
	v_cmp_ne_u32_e32 vcc, s29, v9
	s_and_saveexec_b64 s[20:21], vcc
	s_cbranch_execz .LBB205_725
; %bb.724:                              ;   in Loop: Header=BB205_616 Depth=1
	v_and_b32_e32 v20, 7, v15
	v_lshrrev_b32_e32 v21, 3, v9
	v_cmp_gt_u32_e32 vcc, 8, v9
	v_ffbh_u32_e32 v9, v20
	v_min_u32_e32 v9, 32, v9
	v_subrev_u32_e32 v16, 28, v9
	v_lshlrev_b64 v[16:17], v16, v[15:16]
	v_sub_u32_e32 v9, 29, v9
	v_and_b32_e32 v16, 7, v16
	v_cndmask_b32_e32 v9, v21, v9, vcc
	v_cndmask_b32_e32 v16, v20, v16, vcc
	v_bfrev_b32_e32 v20, 60
	v_lshlrev_b32_e32 v16, 20, v16
	v_and_b32_sdwa v17, sext(v15), s30 dst_sel:DWORD dst_unused:UNUSED_PAD src0_sel:BYTE_0 src1_sel:DWORD
	v_lshl_add_u32 v9, v9, 23, v20
	v_or3_b32 v16, v17, v9, v16
	v_mov_b32_e32 v17, v5
.LBB205_725:                            ;   in Loop: Header=BB205_616 Depth=1
	s_or_b64 exec, exec, s[20:21]
.LBB205_726:                            ;   in Loop: Header=BB205_616 Depth=1
	s_or_b64 exec, exec, s[18:19]
.LBB205_727:                            ;   in Loop: Header=BB205_616 Depth=1
	s_or_b64 exec, exec, s[16:17]
	v_cmp_ne_u16_sdwa s[18:19], v15, v5 src0_sel:BYTE_1 src1_sel:DWORD
	s_and_saveexec_b64 s[16:17], s[18:19]
	s_cbranch_execz .LBB205_733
; %bb.728:                              ;   in Loop: Header=BB205_616 Depth=1
	v_mov_b32_e32 v19, v6
	v_cmp_ne_u16_sdwa s[20:21], v15, s28 src0_sel:BYTE_1 src1_sel:DWORD
	v_mov_b32_e32 v18, v5
	s_and_saveexec_b64 s[18:19], s[20:21]
	s_cbranch_execz .LBB205_732
; %bb.729:                              ;   in Loop: Header=BB205_616 Depth=1
	v_and_b32_sdwa v20, v15, s29 dst_sel:DWORD dst_unused:UNUSED_PAD src0_sel:BYTE_1 src1_sel:DWORD
	v_mov_b32_e32 v9, v5
	v_mov_b32_e32 v19, v10
	v_cmp_ne_u32_e32 vcc, s29, v20
	v_mov_b32_e32 v18, v9
	s_and_saveexec_b64 s[20:21], vcc
	s_cbranch_execz .LBB205_731
; %bb.730:                              ;   in Loop: Header=BB205_616 Depth=1
	v_mov_b32_e32 v9, 7
	v_and_b32_sdwa v18, v15, v9 dst_sel:DWORD dst_unused:UNUSED_PAD src0_sel:BYTE_1 src1_sel:DWORD
	v_lshrrev_b32_e32 v9, 3, v20
	v_cmp_gt_u32_e32 vcc, 8, v20
	v_ffbh_u32_e32 v20, v18
	v_min_u32_e32 v21, 32, v20
	v_mov_b32_e32 v19, v5
	v_subrev_u32_e32 v20, 28, v21
	v_lshlrev_b64 v[19:20], v20, v[18:19]
	v_sub_u32_e32 v20, 29, v21
	v_and_b32_e32 v19, 7, v19
	v_cndmask_b32_e32 v9, v9, v20, vcc
	v_bfrev_b32_e32 v20, 60
	v_cndmask_b32_e32 v18, v18, v19, vcc
	v_lshlrev_b32_e32 v19, 16, v15
	v_lshl_add_u32 v9, v9, 23, v20
	v_and_or_b32 v9, v19, s30, v9
	v_lshlrev_b32_e32 v18, 20, v18
	v_or_b32_e32 v19, v9, v18
	v_mov_b32_e32 v18, v5
.LBB205_731:                            ;   in Loop: Header=BB205_616 Depth=1
	s_or_b64 exec, exec, s[20:21]
.LBB205_732:                            ;   in Loop: Header=BB205_616 Depth=1
	s_or_b64 exec, exec, s[18:19]
.LBB205_733:                            ;   in Loop: Header=BB205_616 Depth=1
	s_or_b64 exec, exec, s[16:17]
	v_lshrrev_b32_e32 v9, 16, v15
	v_mov_b32_e32 v22, 0
	v_mov_b32_e32 v20, 0
	;; [unrolled: 1-line block ×4, first 2 shown]
	v_cmp_ne_u16_sdwa s[18:19], v9, v5 src0_sel:BYTE_0 src1_sel:DWORD
	s_and_saveexec_b64 s[16:17], s[18:19]
	s_cbranch_execz .LBB205_739
; %bb.734:                              ;   in Loop: Header=BB205_616 Depth=1
	v_bfrev_b32_e32 v20, 1
	v_mov_b32_e32 v21, 0
	v_cmp_ne_u16_sdwa s[20:21], v9, s28 src0_sel:BYTE_0 src1_sel:DWORD
	s_and_saveexec_b64 s[18:19], s[20:21]
	s_cbranch_execz .LBB205_738
; %bb.735:                              ;   in Loop: Header=BB205_616 Depth=1
	v_bfe_u32 v24, v15, 16, 7
	v_mov_b32_e32 v20, 0x7f800001
	v_mov_b32_e32 v21, 0
	v_cmp_ne_u32_e32 vcc, s29, v24
	s_and_saveexec_b64 s[20:21], vcc
	s_cbranch_execz .LBB205_737
; %bb.736:                              ;   in Loop: Header=BB205_616 Depth=1
	v_and_b32_e32 v25, 7, v9
	v_ffbh_u32_e32 v20, v25
	v_lshrrev_b32_e32 v26, 3, v24
	v_cmp_gt_u32_e32 vcc, 8, v24
	v_min_u32_e32 v24, 32, v20
	v_subrev_u32_e32 v20, 28, v24
	v_lshlrev_b64 v[20:21], v20, v[9:10]
	v_sub_u32_e32 v21, 29, v24
	v_and_b32_e32 v20, 7, v20
	v_cndmask_b32_e32 v21, v26, v21, vcc
	v_cndmask_b32_e32 v20, v25, v20, vcc
	v_bfrev_b32_e32 v24, 60
	v_lshlrev_b32_e32 v20, 20, v20
	v_and_b32_sdwa v9, sext(v9), s30 dst_sel:DWORD dst_unused:UNUSED_PAD src0_sel:BYTE_0 src1_sel:DWORD
	v_lshl_add_u32 v21, v21, 23, v24
	v_or3_b32 v20, v9, v21, v20
	v_mov_b32_e32 v21, v5
.LBB205_737:                            ;   in Loop: Header=BB205_616 Depth=1
	s_or_b64 exec, exec, s[20:21]
.LBB205_738:                            ;   in Loop: Header=BB205_616 Depth=1
	s_or_b64 exec, exec, s[18:19]
.LBB205_739:                            ;   in Loop: Header=BB205_616 Depth=1
	s_or_b64 exec, exec, s[16:17]
	v_cmp_lt_u32_e32 vcc, s31, v15
	s_and_saveexec_b64 s[16:17], vcc
	s_cbranch_execz .LBB205_745
; %bb.740:                              ;   in Loop: Header=BB205_616 Depth=1
	v_mov_b32_e32 v23, v6
	v_cmp_ne_u32_sdwa s[20:21], v15, s28 src0_sel:BYTE_3 src1_sel:DWORD
	v_mov_b32_e32 v22, v5
	s_and_saveexec_b64 s[18:19], s[20:21]
	s_cbranch_execz .LBB205_744
; %bb.741:                              ;   in Loop: Header=BB205_616 Depth=1
	v_bfe_u32 v24, v15, 24, 7
	v_mov_b32_e32 v9, v5
	v_mov_b32_e32 v23, v10
	v_cmp_ne_u32_e32 vcc, s29, v24
	v_mov_b32_e32 v22, v9
	s_and_saveexec_b64 s[20:21], vcc
	s_cbranch_execz .LBB205_743
; %bb.742:                              ;   in Loop: Header=BB205_616 Depth=1
	v_mov_b32_e32 v9, 7
	v_and_b32_sdwa v22, v15, v9 dst_sel:DWORD dst_unused:UNUSED_PAD src0_sel:BYTE_3 src1_sel:DWORD
	v_lshrrev_b32_e32 v9, 3, v24
	v_cmp_gt_u32_e32 vcc, 8, v24
	v_ffbh_u32_e32 v24, v22
	v_min_u32_e32 v25, 32, v24
	v_mov_b32_e32 v23, v5
	v_subrev_u32_e32 v24, 28, v25
	v_lshlrev_b64 v[23:24], v24, v[22:23]
	v_sub_u32_e32 v24, 29, v25
	v_and_b32_e32 v23, 7, v23
	v_cndmask_b32_e32 v22, v22, v23, vcc
	v_mov_b32_e32 v23, 24
	v_cndmask_b32_e32 v9, v9, v24, vcc
	v_lshlrev_b32_sdwa v15, v23, v15 dst_sel:DWORD dst_unused:UNUSED_PAD src0_sel:DWORD src1_sel:BYTE_3
	v_bfrev_b32_e32 v23, 60
	v_lshl_add_u32 v9, v9, 23, v23
	v_and_or_b32 v9, v15, s30, v9
	v_lshlrev_b32_e32 v15, 20, v22
	v_or_b32_e32 v23, v9, v15
	v_mov_b32_e32 v22, v5
.LBB205_743:                            ;   in Loop: Header=BB205_616 Depth=1
	s_or_b64 exec, exec, s[20:21]
.LBB205_744:                            ;   in Loop: Header=BB205_616 Depth=1
	s_or_b64 exec, exec, s[18:19]
.LBB205_745:                            ;   in Loop: Header=BB205_616 Depth=1
	s_or_b64 exec, exec, s[16:17]
	v_or_b32_e32 v9, v19, v17
	v_or_b32_e32 v15, v18, v16
	v_mul_f32_e32 v9, s39, v9
	buffer_store_dword v9, off, s[56:59], 0 offset:116 ; 4-byte Folded Spill
	v_mul_f32_e32 v9, s38, v15
	buffer_store_dword v9, off, s[56:59], 0 offset:140 ; 4-byte Folded Spill
	v_or_b32_e32 v9, v23, v21
	v_or_b32_e32 v15, v22, v20
	v_mul_f32_e32 v15, s38, v15
	v_mul_f32_e32 v9, s39, v9
	buffer_store_dword v15, off, s[56:59], 0 offset:132 ; 4-byte Folded Spill
	buffer_store_dword v9, off, s[56:59], 0 offset:124 ; 4-byte Folded Spill
	s_and_saveexec_b64 s[16:17], s[0:1]
	s_cbranch_execz .LBB205_747
; %bb.746:                              ;   in Loop: Header=BB205_616 Depth=1
	buffer_load_dword v9, off, s[56:59], 0  ; 4-byte Folded Reload
	s_waitcnt vmcnt(0)
	v_cmp_gt_i32_e32 vcc, s33, v9
	buffer_load_dword v9, off, s[56:59], 0 offset:140 ; 4-byte Folded Reload
	s_waitcnt vmcnt(0)
	v_cndmask_b32_e32 v9, 0, v9, vcc
	buffer_store_dword v9, off, s[56:59], 0 offset:140 ; 4-byte Folded Spill
	buffer_load_dword v9, off, s[56:59], 0 offset:116 ; 4-byte Folded Reload
	v_cmp_gt_i32_e32 vcc, s33, v56
	s_waitcnt vmcnt(0)
	v_cndmask_b32_e32 v9, 0, v9, vcc
	buffer_store_dword v9, off, s[56:59], 0 offset:116 ; 4-byte Folded Spill
	buffer_load_dword v9, off, s[56:59], 0 offset:132 ; 4-byte Folded Reload
	v_cmp_gt_i32_e32 vcc, s33, v63
	;; [unrolled: 5-line block ×3, first 2 shown]
	s_waitcnt vmcnt(0)
	v_cndmask_b32_e32 v9, 0, v9, vcc
	buffer_store_dword v9, off, s[56:59], 0 offset:124 ; 4-byte Folded Spill
.LBB205_747:                            ;   in Loop: Header=BB205_616 Depth=1
	s_or_b64 exec, exec, s[16:17]
	global_load_dword v15, v[11:12], off offset:1280
	v_mov_b32_e32 v18, 0
	v_mov_b32_e32 v16, 0
	;; [unrolled: 1-line block ×4, first 2 shown]
	s_waitcnt vmcnt(0)
	v_cmp_ne_u16_sdwa s[18:19], v15, v5 src0_sel:BYTE_0 src1_sel:DWORD
	s_and_saveexec_b64 s[16:17], s[18:19]
	s_cbranch_execz .LBB205_753
; %bb.748:                              ;   in Loop: Header=BB205_616 Depth=1
	v_bfrev_b32_e32 v16, 1
	v_mov_b32_e32 v17, 0
	v_cmp_ne_u16_sdwa s[20:21], v15, s28 src0_sel:BYTE_0 src1_sel:DWORD
	s_and_saveexec_b64 s[18:19], s[20:21]
	s_cbranch_execz .LBB205_752
; %bb.749:                              ;   in Loop: Header=BB205_616 Depth=1
	v_and_b32_e32 v9, 0x7f, v15
	v_mov_b32_e32 v16, 0x7f800001
	v_mov_b32_e32 v17, 0
	v_cmp_ne_u32_e32 vcc, s29, v9
	s_and_saveexec_b64 s[20:21], vcc
	s_cbranch_execz .LBB205_751
; %bb.750:                              ;   in Loop: Header=BB205_616 Depth=1
	v_and_b32_e32 v20, 7, v15
	v_lshrrev_b32_e32 v21, 3, v9
	v_cmp_gt_u32_e32 vcc, 8, v9
	v_ffbh_u32_e32 v9, v20
	v_min_u32_e32 v9, 32, v9
	v_subrev_u32_e32 v16, 28, v9
	v_lshlrev_b64 v[16:17], v16, v[15:16]
	v_sub_u32_e32 v9, 29, v9
	v_and_b32_e32 v16, 7, v16
	v_cndmask_b32_e32 v9, v21, v9, vcc
	v_cndmask_b32_e32 v16, v20, v16, vcc
	v_bfrev_b32_e32 v20, 60
	v_lshlrev_b32_e32 v16, 20, v16
	v_and_b32_sdwa v17, sext(v15), s30 dst_sel:DWORD dst_unused:UNUSED_PAD src0_sel:BYTE_0 src1_sel:DWORD
	v_lshl_add_u32 v9, v9, 23, v20
	v_or3_b32 v16, v17, v9, v16
	v_mov_b32_e32 v17, v5
.LBB205_751:                            ;   in Loop: Header=BB205_616 Depth=1
	s_or_b64 exec, exec, s[20:21]
.LBB205_752:                            ;   in Loop: Header=BB205_616 Depth=1
	s_or_b64 exec, exec, s[18:19]
.LBB205_753:                            ;   in Loop: Header=BB205_616 Depth=1
	s_or_b64 exec, exec, s[16:17]
	v_cmp_ne_u16_sdwa s[18:19], v15, v5 src0_sel:BYTE_1 src1_sel:DWORD
	s_and_saveexec_b64 s[16:17], s[18:19]
	s_cbranch_execz .LBB205_759
; %bb.754:                              ;   in Loop: Header=BB205_616 Depth=1
	v_mov_b32_e32 v19, v6
	v_cmp_ne_u16_sdwa s[20:21], v15, s28 src0_sel:BYTE_1 src1_sel:DWORD
	v_mov_b32_e32 v18, v5
	s_and_saveexec_b64 s[18:19], s[20:21]
	s_cbranch_execz .LBB205_758
; %bb.755:                              ;   in Loop: Header=BB205_616 Depth=1
	v_and_b32_sdwa v20, v15, s29 dst_sel:DWORD dst_unused:UNUSED_PAD src0_sel:BYTE_1 src1_sel:DWORD
	v_mov_b32_e32 v9, v5
	v_mov_b32_e32 v19, v10
	v_cmp_ne_u32_e32 vcc, s29, v20
	v_mov_b32_e32 v18, v9
	s_and_saveexec_b64 s[20:21], vcc
	s_cbranch_execz .LBB205_757
; %bb.756:                              ;   in Loop: Header=BB205_616 Depth=1
	v_mov_b32_e32 v9, 7
	v_and_b32_sdwa v18, v15, v9 dst_sel:DWORD dst_unused:UNUSED_PAD src0_sel:BYTE_1 src1_sel:DWORD
	v_lshrrev_b32_e32 v9, 3, v20
	v_cmp_gt_u32_e32 vcc, 8, v20
	v_ffbh_u32_e32 v20, v18
	v_min_u32_e32 v21, 32, v20
	v_mov_b32_e32 v19, v5
	v_subrev_u32_e32 v20, 28, v21
	v_lshlrev_b64 v[19:20], v20, v[18:19]
	v_sub_u32_e32 v20, 29, v21
	v_and_b32_e32 v19, 7, v19
	v_cndmask_b32_e32 v9, v9, v20, vcc
	v_bfrev_b32_e32 v20, 60
	v_cndmask_b32_e32 v18, v18, v19, vcc
	v_lshlrev_b32_e32 v19, 16, v15
	v_lshl_add_u32 v9, v9, 23, v20
	v_and_or_b32 v9, v19, s30, v9
	v_lshlrev_b32_e32 v18, 20, v18
	v_or_b32_e32 v19, v9, v18
	v_mov_b32_e32 v18, v5
.LBB205_757:                            ;   in Loop: Header=BB205_616 Depth=1
	s_or_b64 exec, exec, s[20:21]
.LBB205_758:                            ;   in Loop: Header=BB205_616 Depth=1
	s_or_b64 exec, exec, s[18:19]
.LBB205_759:                            ;   in Loop: Header=BB205_616 Depth=1
	s_or_b64 exec, exec, s[16:17]
	v_lshrrev_b32_e32 v9, 16, v15
	v_mov_b32_e32 v22, 0
	v_mov_b32_e32 v20, 0
	;; [unrolled: 1-line block ×4, first 2 shown]
	v_cmp_ne_u16_sdwa s[18:19], v9, v5 src0_sel:BYTE_0 src1_sel:DWORD
	s_and_saveexec_b64 s[16:17], s[18:19]
	s_cbranch_execz .LBB205_765
; %bb.760:                              ;   in Loop: Header=BB205_616 Depth=1
	v_bfrev_b32_e32 v20, 1
	v_mov_b32_e32 v21, 0
	v_cmp_ne_u16_sdwa s[20:21], v9, s28 src0_sel:BYTE_0 src1_sel:DWORD
	s_and_saveexec_b64 s[18:19], s[20:21]
	s_cbranch_execz .LBB205_764
; %bb.761:                              ;   in Loop: Header=BB205_616 Depth=1
	v_bfe_u32 v24, v15, 16, 7
	v_mov_b32_e32 v20, 0x7f800001
	v_mov_b32_e32 v21, 0
	v_cmp_ne_u32_e32 vcc, s29, v24
	s_and_saveexec_b64 s[20:21], vcc
	s_cbranch_execz .LBB205_763
; %bb.762:                              ;   in Loop: Header=BB205_616 Depth=1
	v_and_b32_e32 v25, 7, v9
	v_ffbh_u32_e32 v20, v25
	v_lshrrev_b32_e32 v26, 3, v24
	v_cmp_gt_u32_e32 vcc, 8, v24
	v_min_u32_e32 v24, 32, v20
	v_subrev_u32_e32 v20, 28, v24
	v_lshlrev_b64 v[20:21], v20, v[9:10]
	v_sub_u32_e32 v21, 29, v24
	v_and_b32_e32 v20, 7, v20
	v_cndmask_b32_e32 v21, v26, v21, vcc
	v_cndmask_b32_e32 v20, v25, v20, vcc
	v_bfrev_b32_e32 v24, 60
	v_lshlrev_b32_e32 v20, 20, v20
	v_and_b32_sdwa v9, sext(v9), s30 dst_sel:DWORD dst_unused:UNUSED_PAD src0_sel:BYTE_0 src1_sel:DWORD
	v_lshl_add_u32 v21, v21, 23, v24
	v_or3_b32 v20, v9, v21, v20
	v_mov_b32_e32 v21, v5
.LBB205_763:                            ;   in Loop: Header=BB205_616 Depth=1
	s_or_b64 exec, exec, s[20:21]
.LBB205_764:                            ;   in Loop: Header=BB205_616 Depth=1
	s_or_b64 exec, exec, s[18:19]
.LBB205_765:                            ;   in Loop: Header=BB205_616 Depth=1
	s_or_b64 exec, exec, s[16:17]
	v_cmp_lt_u32_e32 vcc, s31, v15
	s_and_saveexec_b64 s[16:17], vcc
	s_cbranch_execz .LBB205_771
; %bb.766:                              ;   in Loop: Header=BB205_616 Depth=1
	v_mov_b32_e32 v23, v6
	v_cmp_ne_u32_sdwa s[20:21], v15, s28 src0_sel:BYTE_3 src1_sel:DWORD
	v_mov_b32_e32 v22, v5
	s_and_saveexec_b64 s[18:19], s[20:21]
	s_cbranch_execz .LBB205_770
; %bb.767:                              ;   in Loop: Header=BB205_616 Depth=1
	v_bfe_u32 v24, v15, 24, 7
	v_mov_b32_e32 v9, v5
	v_mov_b32_e32 v23, v10
	v_cmp_ne_u32_e32 vcc, s29, v24
	v_mov_b32_e32 v22, v9
	s_and_saveexec_b64 s[20:21], vcc
	s_cbranch_execz .LBB205_769
; %bb.768:                              ;   in Loop: Header=BB205_616 Depth=1
	v_mov_b32_e32 v9, 7
	v_and_b32_sdwa v22, v15, v9 dst_sel:DWORD dst_unused:UNUSED_PAD src0_sel:BYTE_3 src1_sel:DWORD
	v_lshrrev_b32_e32 v9, 3, v24
	v_cmp_gt_u32_e32 vcc, 8, v24
	v_ffbh_u32_e32 v24, v22
	v_min_u32_e32 v25, 32, v24
	v_mov_b32_e32 v23, v5
	v_subrev_u32_e32 v24, 28, v25
	v_lshlrev_b64 v[23:24], v24, v[22:23]
	v_sub_u32_e32 v24, 29, v25
	v_and_b32_e32 v23, 7, v23
	v_cndmask_b32_e32 v22, v22, v23, vcc
	v_mov_b32_e32 v23, 24
	v_cndmask_b32_e32 v9, v9, v24, vcc
	v_lshlrev_b32_sdwa v15, v23, v15 dst_sel:DWORD dst_unused:UNUSED_PAD src0_sel:DWORD src1_sel:BYTE_3
	v_bfrev_b32_e32 v23, 60
	v_lshl_add_u32 v9, v9, 23, v23
	v_and_or_b32 v9, v15, s30, v9
	v_lshlrev_b32_e32 v15, 20, v22
	v_or_b32_e32 v23, v9, v15
	v_mov_b32_e32 v22, v5
.LBB205_769:                            ;   in Loop: Header=BB205_616 Depth=1
	s_or_b64 exec, exec, s[20:21]
.LBB205_770:                            ;   in Loop: Header=BB205_616 Depth=1
	s_or_b64 exec, exec, s[18:19]
.LBB205_771:                            ;   in Loop: Header=BB205_616 Depth=1
	s_or_b64 exec, exec, s[16:17]
	v_or_b32_e32 v9, v19, v17
	v_or_b32_e32 v15, v18, v16
	v_mul_f32_e32 v9, s39, v9
	buffer_store_dword v9, off, s[56:59], 0 offset:148 ; 4-byte Folded Spill
	v_mul_f32_e32 v9, s38, v15
	buffer_store_dword v9, off, s[56:59], 0 offset:172 ; 4-byte Folded Spill
	v_or_b32_e32 v9, v23, v21
	v_or_b32_e32 v15, v22, v20
	v_mul_f32_e32 v15, s38, v15
	v_mul_f32_e32 v9, s39, v9
	buffer_store_dword v15, off, s[56:59], 0 offset:164 ; 4-byte Folded Spill
	buffer_store_dword v9, off, s[56:59], 0 offset:156 ; 4-byte Folded Spill
	s_and_saveexec_b64 s[16:17], s[0:1]
	s_cbranch_execz .LBB205_773
; %bb.772:                              ;   in Loop: Header=BB205_616 Depth=1
	buffer_load_dword v9, off, s[56:59], 0  ; 4-byte Folded Reload
	s_waitcnt vmcnt(0)
	v_cmp_gt_i32_e32 vcc, s33, v9
	buffer_load_dword v9, off, s[56:59], 0 offset:172 ; 4-byte Folded Reload
	s_waitcnt vmcnt(0)
	v_cndmask_b32_e32 v9, 0, v9, vcc
	buffer_store_dword v9, off, s[56:59], 0 offset:172 ; 4-byte Folded Spill
	buffer_load_dword v9, off, s[56:59], 0 offset:148 ; 4-byte Folded Reload
	v_cmp_gt_i32_e32 vcc, s33, v56
	s_waitcnt vmcnt(0)
	v_cndmask_b32_e32 v9, 0, v9, vcc
	buffer_store_dword v9, off, s[56:59], 0 offset:148 ; 4-byte Folded Spill
	buffer_load_dword v9, off, s[56:59], 0 offset:164 ; 4-byte Folded Reload
	v_cmp_gt_i32_e32 vcc, s33, v63
	;; [unrolled: 5-line block ×3, first 2 shown]
	s_waitcnt vmcnt(0)
	v_cndmask_b32_e32 v9, 0, v9, vcc
	buffer_store_dword v9, off, s[56:59], 0 offset:156 ; 4-byte Folded Spill
.LBB205_773:                            ;   in Loop: Header=BB205_616 Depth=1
	s_or_b64 exec, exec, s[16:17]
	global_load_dword v15, v[11:12], off offset:1536
	v_mov_b32_e32 v18, 0
	v_mov_b32_e32 v16, 0
	;; [unrolled: 1-line block ×4, first 2 shown]
	s_waitcnt vmcnt(0)
	v_cmp_ne_u16_sdwa s[18:19], v15, v5 src0_sel:BYTE_0 src1_sel:DWORD
	s_and_saveexec_b64 s[16:17], s[18:19]
	s_cbranch_execz .LBB205_779
; %bb.774:                              ;   in Loop: Header=BB205_616 Depth=1
	v_bfrev_b32_e32 v16, 1
	v_mov_b32_e32 v17, 0
	v_cmp_ne_u16_sdwa s[20:21], v15, s28 src0_sel:BYTE_0 src1_sel:DWORD
	s_and_saveexec_b64 s[18:19], s[20:21]
	s_cbranch_execz .LBB205_778
; %bb.775:                              ;   in Loop: Header=BB205_616 Depth=1
	v_and_b32_e32 v9, 0x7f, v15
	v_mov_b32_e32 v16, 0x7f800001
	v_mov_b32_e32 v17, 0
	v_cmp_ne_u32_e32 vcc, s29, v9
	s_and_saveexec_b64 s[20:21], vcc
	s_cbranch_execz .LBB205_777
; %bb.776:                              ;   in Loop: Header=BB205_616 Depth=1
	v_and_b32_e32 v20, 7, v15
	v_lshrrev_b32_e32 v21, 3, v9
	v_cmp_gt_u32_e32 vcc, 8, v9
	v_ffbh_u32_e32 v9, v20
	v_min_u32_e32 v9, 32, v9
	v_subrev_u32_e32 v16, 28, v9
	v_lshlrev_b64 v[16:17], v16, v[15:16]
	v_sub_u32_e32 v9, 29, v9
	v_and_b32_e32 v16, 7, v16
	v_cndmask_b32_e32 v9, v21, v9, vcc
	v_cndmask_b32_e32 v16, v20, v16, vcc
	v_bfrev_b32_e32 v20, 60
	v_lshlrev_b32_e32 v16, 20, v16
	v_and_b32_sdwa v17, sext(v15), s30 dst_sel:DWORD dst_unused:UNUSED_PAD src0_sel:BYTE_0 src1_sel:DWORD
	v_lshl_add_u32 v9, v9, 23, v20
	v_or3_b32 v16, v17, v9, v16
	v_mov_b32_e32 v17, v5
.LBB205_777:                            ;   in Loop: Header=BB205_616 Depth=1
	s_or_b64 exec, exec, s[20:21]
.LBB205_778:                            ;   in Loop: Header=BB205_616 Depth=1
	s_or_b64 exec, exec, s[18:19]
.LBB205_779:                            ;   in Loop: Header=BB205_616 Depth=1
	s_or_b64 exec, exec, s[16:17]
	v_cmp_ne_u16_sdwa s[18:19], v15, v5 src0_sel:BYTE_1 src1_sel:DWORD
	s_and_saveexec_b64 s[16:17], s[18:19]
	s_cbranch_execz .LBB205_785
; %bb.780:                              ;   in Loop: Header=BB205_616 Depth=1
	v_mov_b32_e32 v19, v6
	v_cmp_ne_u16_sdwa s[20:21], v15, s28 src0_sel:BYTE_1 src1_sel:DWORD
	v_mov_b32_e32 v18, v5
	s_and_saveexec_b64 s[18:19], s[20:21]
	s_cbranch_execz .LBB205_784
; %bb.781:                              ;   in Loop: Header=BB205_616 Depth=1
	v_and_b32_sdwa v20, v15, s29 dst_sel:DWORD dst_unused:UNUSED_PAD src0_sel:BYTE_1 src1_sel:DWORD
	v_mov_b32_e32 v9, v5
	v_mov_b32_e32 v19, v10
	v_cmp_ne_u32_e32 vcc, s29, v20
	v_mov_b32_e32 v18, v9
	s_and_saveexec_b64 s[20:21], vcc
	s_cbranch_execz .LBB205_783
; %bb.782:                              ;   in Loop: Header=BB205_616 Depth=1
	v_mov_b32_e32 v9, 7
	v_and_b32_sdwa v18, v15, v9 dst_sel:DWORD dst_unused:UNUSED_PAD src0_sel:BYTE_1 src1_sel:DWORD
	v_lshrrev_b32_e32 v9, 3, v20
	v_cmp_gt_u32_e32 vcc, 8, v20
	v_ffbh_u32_e32 v20, v18
	v_min_u32_e32 v21, 32, v20
	v_mov_b32_e32 v19, v5
	v_subrev_u32_e32 v20, 28, v21
	v_lshlrev_b64 v[19:20], v20, v[18:19]
	v_sub_u32_e32 v20, 29, v21
	v_and_b32_e32 v19, 7, v19
	v_cndmask_b32_e32 v9, v9, v20, vcc
	v_bfrev_b32_e32 v20, 60
	v_cndmask_b32_e32 v18, v18, v19, vcc
	v_lshlrev_b32_e32 v19, 16, v15
	v_lshl_add_u32 v9, v9, 23, v20
	v_and_or_b32 v9, v19, s30, v9
	v_lshlrev_b32_e32 v18, 20, v18
	v_or_b32_e32 v19, v9, v18
	v_mov_b32_e32 v18, v5
.LBB205_783:                            ;   in Loop: Header=BB205_616 Depth=1
	s_or_b64 exec, exec, s[20:21]
.LBB205_784:                            ;   in Loop: Header=BB205_616 Depth=1
	s_or_b64 exec, exec, s[18:19]
.LBB205_785:                            ;   in Loop: Header=BB205_616 Depth=1
	s_or_b64 exec, exec, s[16:17]
	v_lshrrev_b32_e32 v9, 16, v15
	v_mov_b32_e32 v22, 0
	v_mov_b32_e32 v20, 0
	;; [unrolled: 1-line block ×4, first 2 shown]
	v_cmp_ne_u16_sdwa s[18:19], v9, v5 src0_sel:BYTE_0 src1_sel:DWORD
	s_and_saveexec_b64 s[16:17], s[18:19]
	s_cbranch_execz .LBB205_791
; %bb.786:                              ;   in Loop: Header=BB205_616 Depth=1
	v_bfrev_b32_e32 v20, 1
	v_mov_b32_e32 v21, 0
	v_cmp_ne_u16_sdwa s[20:21], v9, s28 src0_sel:BYTE_0 src1_sel:DWORD
	s_and_saveexec_b64 s[18:19], s[20:21]
	s_cbranch_execz .LBB205_790
; %bb.787:                              ;   in Loop: Header=BB205_616 Depth=1
	v_bfe_u32 v24, v15, 16, 7
	v_mov_b32_e32 v20, 0x7f800001
	v_mov_b32_e32 v21, 0
	v_cmp_ne_u32_e32 vcc, s29, v24
	s_and_saveexec_b64 s[20:21], vcc
	s_cbranch_execz .LBB205_789
; %bb.788:                              ;   in Loop: Header=BB205_616 Depth=1
	v_and_b32_e32 v25, 7, v9
	v_ffbh_u32_e32 v20, v25
	v_lshrrev_b32_e32 v26, 3, v24
	v_cmp_gt_u32_e32 vcc, 8, v24
	v_min_u32_e32 v24, 32, v20
	v_subrev_u32_e32 v20, 28, v24
	v_lshlrev_b64 v[20:21], v20, v[9:10]
	v_sub_u32_e32 v21, 29, v24
	v_and_b32_e32 v20, 7, v20
	v_cndmask_b32_e32 v21, v26, v21, vcc
	v_cndmask_b32_e32 v20, v25, v20, vcc
	v_bfrev_b32_e32 v24, 60
	v_lshlrev_b32_e32 v20, 20, v20
	v_and_b32_sdwa v9, sext(v9), s30 dst_sel:DWORD dst_unused:UNUSED_PAD src0_sel:BYTE_0 src1_sel:DWORD
	v_lshl_add_u32 v21, v21, 23, v24
	v_or3_b32 v20, v9, v21, v20
	v_mov_b32_e32 v21, v5
.LBB205_789:                            ;   in Loop: Header=BB205_616 Depth=1
	s_or_b64 exec, exec, s[20:21]
.LBB205_790:                            ;   in Loop: Header=BB205_616 Depth=1
	s_or_b64 exec, exec, s[18:19]
.LBB205_791:                            ;   in Loop: Header=BB205_616 Depth=1
	s_or_b64 exec, exec, s[16:17]
	v_cmp_lt_u32_e32 vcc, s31, v15
	s_and_saveexec_b64 s[16:17], vcc
	s_cbranch_execz .LBB205_797
; %bb.792:                              ;   in Loop: Header=BB205_616 Depth=1
	v_mov_b32_e32 v23, v6
	v_cmp_ne_u32_sdwa s[20:21], v15, s28 src0_sel:BYTE_3 src1_sel:DWORD
	v_mov_b32_e32 v22, v5
	s_and_saveexec_b64 s[18:19], s[20:21]
	s_cbranch_execz .LBB205_796
; %bb.793:                              ;   in Loop: Header=BB205_616 Depth=1
	v_bfe_u32 v24, v15, 24, 7
	v_mov_b32_e32 v9, v5
	v_mov_b32_e32 v23, v10
	v_cmp_ne_u32_e32 vcc, s29, v24
	v_mov_b32_e32 v22, v9
	s_and_saveexec_b64 s[20:21], vcc
	s_cbranch_execz .LBB205_795
; %bb.794:                              ;   in Loop: Header=BB205_616 Depth=1
	v_mov_b32_e32 v9, 7
	v_and_b32_sdwa v22, v15, v9 dst_sel:DWORD dst_unused:UNUSED_PAD src0_sel:BYTE_3 src1_sel:DWORD
	v_lshrrev_b32_e32 v9, 3, v24
	v_cmp_gt_u32_e32 vcc, 8, v24
	v_ffbh_u32_e32 v24, v22
	v_min_u32_e32 v25, 32, v24
	v_mov_b32_e32 v23, v5
	v_subrev_u32_e32 v24, 28, v25
	v_lshlrev_b64 v[23:24], v24, v[22:23]
	v_sub_u32_e32 v24, 29, v25
	v_and_b32_e32 v23, 7, v23
	v_cndmask_b32_e32 v22, v22, v23, vcc
	v_mov_b32_e32 v23, 24
	v_cndmask_b32_e32 v9, v9, v24, vcc
	v_lshlrev_b32_sdwa v15, v23, v15 dst_sel:DWORD dst_unused:UNUSED_PAD src0_sel:DWORD src1_sel:BYTE_3
	v_bfrev_b32_e32 v23, 60
	v_lshl_add_u32 v9, v9, 23, v23
	v_and_or_b32 v9, v15, s30, v9
	v_lshlrev_b32_e32 v15, 20, v22
	v_or_b32_e32 v23, v9, v15
	v_mov_b32_e32 v22, v5
.LBB205_795:                            ;   in Loop: Header=BB205_616 Depth=1
	s_or_b64 exec, exec, s[20:21]
.LBB205_796:                            ;   in Loop: Header=BB205_616 Depth=1
	s_or_b64 exec, exec, s[18:19]
.LBB205_797:                            ;   in Loop: Header=BB205_616 Depth=1
	s_or_b64 exec, exec, s[16:17]
	v_or_b32_e32 v9, v19, v17
	v_or_b32_e32 v15, v18, v16
	v_mul_f32_e32 v9, s39, v9
	buffer_store_dword v9, off, s[56:59], 0 offset:180 ; 4-byte Folded Spill
	v_mul_f32_e32 v9, s38, v15
	buffer_store_dword v9, off, s[56:59], 0 offset:204 ; 4-byte Folded Spill
	v_or_b32_e32 v9, v23, v21
	v_or_b32_e32 v15, v22, v20
	v_mul_f32_e32 v15, s38, v15
	v_mul_f32_e32 v9, s39, v9
	buffer_store_dword v15, off, s[56:59], 0 offset:196 ; 4-byte Folded Spill
	buffer_store_dword v9, off, s[56:59], 0 offset:188 ; 4-byte Folded Spill
	s_and_saveexec_b64 s[16:17], s[0:1]
	s_cbranch_execz .LBB205_799
; %bb.798:                              ;   in Loop: Header=BB205_616 Depth=1
	buffer_load_dword v9, off, s[56:59], 0  ; 4-byte Folded Reload
	s_waitcnt vmcnt(0)
	v_cmp_gt_i32_e32 vcc, s33, v9
	buffer_load_dword v9, off, s[56:59], 0 offset:204 ; 4-byte Folded Reload
	s_waitcnt vmcnt(0)
	v_cndmask_b32_e32 v9, 0, v9, vcc
	buffer_store_dword v9, off, s[56:59], 0 offset:204 ; 4-byte Folded Spill
	buffer_load_dword v9, off, s[56:59], 0 offset:180 ; 4-byte Folded Reload
	v_cmp_gt_i32_e32 vcc, s33, v56
	s_waitcnt vmcnt(0)
	v_cndmask_b32_e32 v9, 0, v9, vcc
	buffer_store_dword v9, off, s[56:59], 0 offset:180 ; 4-byte Folded Spill
	buffer_load_dword v9, off, s[56:59], 0 offset:196 ; 4-byte Folded Reload
	v_cmp_gt_i32_e32 vcc, s33, v63
	s_waitcnt vmcnt(0)
	v_cndmask_b32_e32 v9, 0, v9, vcc
	buffer_store_dword v9, off, s[56:59], 0 offset:196 ; 4-byte Folded Spill
	buffer_load_dword v9, off, s[56:59], 0 offset:188 ; 4-byte Folded Reload
	v_cmp_gt_i32_e32 vcc, s33, v0
	s_waitcnt vmcnt(0)
	v_cndmask_b32_e32 v9, 0, v9, vcc
	buffer_store_dword v9, off, s[56:59], 0 offset:188 ; 4-byte Folded Spill
.LBB205_799:                            ;   in Loop: Header=BB205_616 Depth=1
	s_or_b64 exec, exec, s[16:17]
	global_load_dword v15, v[11:12], off offset:1792
	v_mov_b32_e32 v18, 0
	v_mov_b32_e32 v16, 0
	;; [unrolled: 1-line block ×4, first 2 shown]
	s_waitcnt vmcnt(0)
	v_cmp_ne_u16_sdwa s[18:19], v15, v5 src0_sel:BYTE_0 src1_sel:DWORD
	s_and_saveexec_b64 s[16:17], s[18:19]
	s_cbranch_execz .LBB205_805
; %bb.800:                              ;   in Loop: Header=BB205_616 Depth=1
	v_bfrev_b32_e32 v16, 1
	v_mov_b32_e32 v17, 0
	v_cmp_ne_u16_sdwa s[20:21], v15, s28 src0_sel:BYTE_0 src1_sel:DWORD
	s_and_saveexec_b64 s[18:19], s[20:21]
	s_cbranch_execz .LBB205_804
; %bb.801:                              ;   in Loop: Header=BB205_616 Depth=1
	v_and_b32_e32 v9, 0x7f, v15
	v_mov_b32_e32 v16, 0x7f800001
	v_mov_b32_e32 v17, 0
	v_cmp_ne_u32_e32 vcc, s29, v9
	s_and_saveexec_b64 s[20:21], vcc
	s_cbranch_execz .LBB205_803
; %bb.802:                              ;   in Loop: Header=BB205_616 Depth=1
	v_and_b32_e32 v20, 7, v15
	v_lshrrev_b32_e32 v21, 3, v9
	v_cmp_gt_u32_e32 vcc, 8, v9
	v_ffbh_u32_e32 v9, v20
	v_min_u32_e32 v9, 32, v9
	v_subrev_u32_e32 v16, 28, v9
	v_lshlrev_b64 v[16:17], v16, v[15:16]
	v_sub_u32_e32 v9, 29, v9
	v_and_b32_e32 v16, 7, v16
	v_cndmask_b32_e32 v9, v21, v9, vcc
	v_cndmask_b32_e32 v16, v20, v16, vcc
	v_bfrev_b32_e32 v20, 60
	v_lshlrev_b32_e32 v16, 20, v16
	v_and_b32_sdwa v17, sext(v15), s30 dst_sel:DWORD dst_unused:UNUSED_PAD src0_sel:BYTE_0 src1_sel:DWORD
	v_lshl_add_u32 v9, v9, 23, v20
	v_or3_b32 v16, v17, v9, v16
	v_mov_b32_e32 v17, v5
.LBB205_803:                            ;   in Loop: Header=BB205_616 Depth=1
	s_or_b64 exec, exec, s[20:21]
.LBB205_804:                            ;   in Loop: Header=BB205_616 Depth=1
	s_or_b64 exec, exec, s[18:19]
.LBB205_805:                            ;   in Loop: Header=BB205_616 Depth=1
	s_or_b64 exec, exec, s[16:17]
	v_cmp_ne_u16_sdwa s[18:19], v15, v5 src0_sel:BYTE_1 src1_sel:DWORD
	s_and_saveexec_b64 s[16:17], s[18:19]
	s_cbranch_execz .LBB205_811
; %bb.806:                              ;   in Loop: Header=BB205_616 Depth=1
	v_mov_b32_e32 v19, v6
	v_cmp_ne_u16_sdwa s[20:21], v15, s28 src0_sel:BYTE_1 src1_sel:DWORD
	v_mov_b32_e32 v18, v5
	s_and_saveexec_b64 s[18:19], s[20:21]
	s_cbranch_execz .LBB205_810
; %bb.807:                              ;   in Loop: Header=BB205_616 Depth=1
	v_and_b32_sdwa v20, v15, s29 dst_sel:DWORD dst_unused:UNUSED_PAD src0_sel:BYTE_1 src1_sel:DWORD
	v_mov_b32_e32 v9, v5
	v_mov_b32_e32 v19, v10
	v_cmp_ne_u32_e32 vcc, s29, v20
	v_mov_b32_e32 v18, v9
	s_and_saveexec_b64 s[20:21], vcc
	s_cbranch_execz .LBB205_809
; %bb.808:                              ;   in Loop: Header=BB205_616 Depth=1
	v_mov_b32_e32 v9, 7
	v_and_b32_sdwa v18, v15, v9 dst_sel:DWORD dst_unused:UNUSED_PAD src0_sel:BYTE_1 src1_sel:DWORD
	v_lshrrev_b32_e32 v9, 3, v20
	v_cmp_gt_u32_e32 vcc, 8, v20
	v_ffbh_u32_e32 v20, v18
	v_min_u32_e32 v21, 32, v20
	v_mov_b32_e32 v19, v5
	v_subrev_u32_e32 v20, 28, v21
	v_lshlrev_b64 v[19:20], v20, v[18:19]
	v_sub_u32_e32 v20, 29, v21
	v_and_b32_e32 v19, 7, v19
	v_cndmask_b32_e32 v9, v9, v20, vcc
	v_bfrev_b32_e32 v20, 60
	v_cndmask_b32_e32 v18, v18, v19, vcc
	v_lshlrev_b32_e32 v19, 16, v15
	v_lshl_add_u32 v9, v9, 23, v20
	v_and_or_b32 v9, v19, s30, v9
	v_lshlrev_b32_e32 v18, 20, v18
	v_or_b32_e32 v19, v9, v18
	v_mov_b32_e32 v18, v5
.LBB205_809:                            ;   in Loop: Header=BB205_616 Depth=1
	s_or_b64 exec, exec, s[20:21]
.LBB205_810:                            ;   in Loop: Header=BB205_616 Depth=1
	s_or_b64 exec, exec, s[18:19]
.LBB205_811:                            ;   in Loop: Header=BB205_616 Depth=1
	s_or_b64 exec, exec, s[16:17]
	v_lshrrev_b32_e32 v9, 16, v15
	v_mov_b32_e32 v22, 0
	v_mov_b32_e32 v20, 0
	;; [unrolled: 1-line block ×4, first 2 shown]
	v_cmp_ne_u16_sdwa s[18:19], v9, v5 src0_sel:BYTE_0 src1_sel:DWORD
	s_and_saveexec_b64 s[16:17], s[18:19]
	s_cbranch_execz .LBB205_817
; %bb.812:                              ;   in Loop: Header=BB205_616 Depth=1
	v_bfrev_b32_e32 v20, 1
	v_mov_b32_e32 v21, 0
	v_cmp_ne_u16_sdwa s[20:21], v9, s28 src0_sel:BYTE_0 src1_sel:DWORD
	s_and_saveexec_b64 s[18:19], s[20:21]
	s_cbranch_execz .LBB205_816
; %bb.813:                              ;   in Loop: Header=BB205_616 Depth=1
	v_bfe_u32 v24, v15, 16, 7
	v_mov_b32_e32 v20, 0x7f800001
	v_mov_b32_e32 v21, 0
	v_cmp_ne_u32_e32 vcc, s29, v24
	s_and_saveexec_b64 s[20:21], vcc
	s_cbranch_execz .LBB205_815
; %bb.814:                              ;   in Loop: Header=BB205_616 Depth=1
	v_and_b32_e32 v25, 7, v9
	v_ffbh_u32_e32 v20, v25
	v_lshrrev_b32_e32 v26, 3, v24
	v_cmp_gt_u32_e32 vcc, 8, v24
	v_min_u32_e32 v24, 32, v20
	v_subrev_u32_e32 v20, 28, v24
	v_lshlrev_b64 v[20:21], v20, v[9:10]
	v_sub_u32_e32 v21, 29, v24
	v_and_b32_e32 v20, 7, v20
	v_cndmask_b32_e32 v21, v26, v21, vcc
	v_cndmask_b32_e32 v20, v25, v20, vcc
	v_bfrev_b32_e32 v24, 60
	v_lshlrev_b32_e32 v20, 20, v20
	v_and_b32_sdwa v9, sext(v9), s30 dst_sel:DWORD dst_unused:UNUSED_PAD src0_sel:BYTE_0 src1_sel:DWORD
	v_lshl_add_u32 v21, v21, 23, v24
	v_or3_b32 v20, v9, v21, v20
	v_mov_b32_e32 v21, v5
.LBB205_815:                            ;   in Loop: Header=BB205_616 Depth=1
	s_or_b64 exec, exec, s[20:21]
.LBB205_816:                            ;   in Loop: Header=BB205_616 Depth=1
	s_or_b64 exec, exec, s[18:19]
.LBB205_817:                            ;   in Loop: Header=BB205_616 Depth=1
	s_or_b64 exec, exec, s[16:17]
	v_cmp_lt_u32_e32 vcc, s31, v15
	s_and_saveexec_b64 s[16:17], vcc
	s_cbranch_execz .LBB205_823
; %bb.818:                              ;   in Loop: Header=BB205_616 Depth=1
	v_mov_b32_e32 v23, v6
	v_cmp_ne_u32_sdwa s[20:21], v15, s28 src0_sel:BYTE_3 src1_sel:DWORD
	v_mov_b32_e32 v22, v5
	s_and_saveexec_b64 s[18:19], s[20:21]
	s_cbranch_execz .LBB205_822
; %bb.819:                              ;   in Loop: Header=BB205_616 Depth=1
	v_bfe_u32 v24, v15, 24, 7
	v_mov_b32_e32 v9, v5
	v_mov_b32_e32 v23, v10
	v_cmp_ne_u32_e32 vcc, s29, v24
	v_mov_b32_e32 v22, v9
	s_and_saveexec_b64 s[20:21], vcc
	s_cbranch_execz .LBB205_821
; %bb.820:                              ;   in Loop: Header=BB205_616 Depth=1
	v_mov_b32_e32 v9, 7
	v_and_b32_sdwa v22, v15, v9 dst_sel:DWORD dst_unused:UNUSED_PAD src0_sel:BYTE_3 src1_sel:DWORD
	v_lshrrev_b32_e32 v9, 3, v24
	v_cmp_gt_u32_e32 vcc, 8, v24
	v_ffbh_u32_e32 v24, v22
	v_min_u32_e32 v25, 32, v24
	v_mov_b32_e32 v23, v5
	v_subrev_u32_e32 v24, 28, v25
	v_lshlrev_b64 v[23:24], v24, v[22:23]
	v_sub_u32_e32 v24, 29, v25
	v_and_b32_e32 v23, 7, v23
	v_cndmask_b32_e32 v22, v22, v23, vcc
	v_mov_b32_e32 v23, 24
	v_cndmask_b32_e32 v9, v9, v24, vcc
	v_lshlrev_b32_sdwa v15, v23, v15 dst_sel:DWORD dst_unused:UNUSED_PAD src0_sel:DWORD src1_sel:BYTE_3
	v_bfrev_b32_e32 v23, 60
	v_lshl_add_u32 v9, v9, 23, v23
	v_and_or_b32 v9, v15, s30, v9
	v_lshlrev_b32_e32 v15, 20, v22
	v_or_b32_e32 v23, v9, v15
	v_mov_b32_e32 v22, v5
.LBB205_821:                            ;   in Loop: Header=BB205_616 Depth=1
	s_or_b64 exec, exec, s[20:21]
.LBB205_822:                            ;   in Loop: Header=BB205_616 Depth=1
	s_or_b64 exec, exec, s[18:19]
.LBB205_823:                            ;   in Loop: Header=BB205_616 Depth=1
	s_or_b64 exec, exec, s[16:17]
	v_or_b32_e32 v9, v19, v17
	v_or_b32_e32 v15, v18, v16
	v_mul_f32_e32 v9, s39, v9
	buffer_store_dword v9, off, s[56:59], 0 offset:212 ; 4-byte Folded Spill
	v_mul_f32_e32 v9, s38, v15
	buffer_store_dword v9, off, s[56:59], 0 offset:236 ; 4-byte Folded Spill
	v_or_b32_e32 v9, v23, v21
	v_or_b32_e32 v15, v22, v20
	v_mul_f32_e32 v15, s38, v15
	v_mul_f32_e32 v9, s39, v9
	buffer_store_dword v15, off, s[56:59], 0 offset:228 ; 4-byte Folded Spill
	buffer_store_dword v9, off, s[56:59], 0 offset:220 ; 4-byte Folded Spill
	s_and_saveexec_b64 s[16:17], s[0:1]
	s_cbranch_execz .LBB205_825
; %bb.824:                              ;   in Loop: Header=BB205_616 Depth=1
	buffer_load_dword v9, off, s[56:59], 0  ; 4-byte Folded Reload
	s_waitcnt vmcnt(0)
	v_cmp_gt_i32_e32 vcc, s33, v9
	buffer_load_dword v9, off, s[56:59], 0 offset:236 ; 4-byte Folded Reload
	s_waitcnt vmcnt(0)
	v_cndmask_b32_e32 v9, 0, v9, vcc
	buffer_store_dword v9, off, s[56:59], 0 offset:236 ; 4-byte Folded Spill
	buffer_load_dword v9, off, s[56:59], 0 offset:212 ; 4-byte Folded Reload
	v_cmp_gt_i32_e32 vcc, s33, v56
	s_waitcnt vmcnt(0)
	v_cndmask_b32_e32 v9, 0, v9, vcc
	buffer_store_dword v9, off, s[56:59], 0 offset:212 ; 4-byte Folded Spill
	buffer_load_dword v9, off, s[56:59], 0 offset:228 ; 4-byte Folded Reload
	v_cmp_gt_i32_e32 vcc, s33, v63
	;; [unrolled: 5-line block ×3, first 2 shown]
	s_waitcnt vmcnt(0)
	v_cndmask_b32_e32 v9, 0, v9, vcc
	buffer_store_dword v9, off, s[56:59], 0 offset:220 ; 4-byte Folded Spill
.LBB205_825:                            ;   in Loop: Header=BB205_616 Depth=1
	s_or_b64 exec, exec, s[16:17]
	global_load_dword v15, v[11:12], off offset:2048
	v_mov_b32_e32 v18, 0
	v_mov_b32_e32 v16, 0
	;; [unrolled: 1-line block ×4, first 2 shown]
	s_waitcnt vmcnt(0)
	v_cmp_ne_u16_sdwa s[18:19], v15, v5 src0_sel:BYTE_0 src1_sel:DWORD
	s_and_saveexec_b64 s[16:17], s[18:19]
	s_cbranch_execz .LBB205_831
; %bb.826:                              ;   in Loop: Header=BB205_616 Depth=1
	v_bfrev_b32_e32 v16, 1
	v_mov_b32_e32 v17, 0
	v_cmp_ne_u16_sdwa s[20:21], v15, s28 src0_sel:BYTE_0 src1_sel:DWORD
	s_and_saveexec_b64 s[18:19], s[20:21]
	s_cbranch_execz .LBB205_830
; %bb.827:                              ;   in Loop: Header=BB205_616 Depth=1
	v_and_b32_e32 v9, 0x7f, v15
	v_mov_b32_e32 v16, 0x7f800001
	v_mov_b32_e32 v17, 0
	v_cmp_ne_u32_e32 vcc, s29, v9
	s_and_saveexec_b64 s[20:21], vcc
	s_cbranch_execz .LBB205_829
; %bb.828:                              ;   in Loop: Header=BB205_616 Depth=1
	v_and_b32_e32 v20, 7, v15
	v_lshrrev_b32_e32 v21, 3, v9
	v_cmp_gt_u32_e32 vcc, 8, v9
	v_ffbh_u32_e32 v9, v20
	v_min_u32_e32 v9, 32, v9
	v_subrev_u32_e32 v16, 28, v9
	v_lshlrev_b64 v[16:17], v16, v[15:16]
	v_sub_u32_e32 v9, 29, v9
	v_and_b32_e32 v16, 7, v16
	v_cndmask_b32_e32 v9, v21, v9, vcc
	v_cndmask_b32_e32 v16, v20, v16, vcc
	v_bfrev_b32_e32 v20, 60
	v_lshlrev_b32_e32 v16, 20, v16
	v_and_b32_sdwa v17, sext(v15), s30 dst_sel:DWORD dst_unused:UNUSED_PAD src0_sel:BYTE_0 src1_sel:DWORD
	v_lshl_add_u32 v9, v9, 23, v20
	v_or3_b32 v16, v17, v9, v16
	v_mov_b32_e32 v17, v5
.LBB205_829:                            ;   in Loop: Header=BB205_616 Depth=1
	s_or_b64 exec, exec, s[20:21]
.LBB205_830:                            ;   in Loop: Header=BB205_616 Depth=1
	s_or_b64 exec, exec, s[18:19]
.LBB205_831:                            ;   in Loop: Header=BB205_616 Depth=1
	s_or_b64 exec, exec, s[16:17]
	v_cmp_ne_u16_sdwa s[18:19], v15, v5 src0_sel:BYTE_1 src1_sel:DWORD
	s_and_saveexec_b64 s[16:17], s[18:19]
	s_cbranch_execz .LBB205_837
; %bb.832:                              ;   in Loop: Header=BB205_616 Depth=1
	v_mov_b32_e32 v19, v6
	v_cmp_ne_u16_sdwa s[20:21], v15, s28 src0_sel:BYTE_1 src1_sel:DWORD
	v_mov_b32_e32 v18, v5
	s_and_saveexec_b64 s[18:19], s[20:21]
	s_cbranch_execz .LBB205_836
; %bb.833:                              ;   in Loop: Header=BB205_616 Depth=1
	v_and_b32_sdwa v20, v15, s29 dst_sel:DWORD dst_unused:UNUSED_PAD src0_sel:BYTE_1 src1_sel:DWORD
	v_mov_b32_e32 v9, v5
	v_mov_b32_e32 v19, v10
	v_cmp_ne_u32_e32 vcc, s29, v20
	v_mov_b32_e32 v18, v9
	s_and_saveexec_b64 s[20:21], vcc
	s_cbranch_execz .LBB205_835
; %bb.834:                              ;   in Loop: Header=BB205_616 Depth=1
	v_mov_b32_e32 v9, 7
	v_and_b32_sdwa v18, v15, v9 dst_sel:DWORD dst_unused:UNUSED_PAD src0_sel:BYTE_1 src1_sel:DWORD
	v_lshrrev_b32_e32 v9, 3, v20
	v_cmp_gt_u32_e32 vcc, 8, v20
	v_ffbh_u32_e32 v20, v18
	v_min_u32_e32 v21, 32, v20
	v_mov_b32_e32 v19, v5
	v_subrev_u32_e32 v20, 28, v21
	v_lshlrev_b64 v[19:20], v20, v[18:19]
	v_sub_u32_e32 v20, 29, v21
	v_and_b32_e32 v19, 7, v19
	v_cndmask_b32_e32 v9, v9, v20, vcc
	v_bfrev_b32_e32 v20, 60
	v_cndmask_b32_e32 v18, v18, v19, vcc
	v_lshlrev_b32_e32 v19, 16, v15
	v_lshl_add_u32 v9, v9, 23, v20
	v_and_or_b32 v9, v19, s30, v9
	v_lshlrev_b32_e32 v18, 20, v18
	v_or_b32_e32 v19, v9, v18
	v_mov_b32_e32 v18, v5
.LBB205_835:                            ;   in Loop: Header=BB205_616 Depth=1
	s_or_b64 exec, exec, s[20:21]
.LBB205_836:                            ;   in Loop: Header=BB205_616 Depth=1
	s_or_b64 exec, exec, s[18:19]
.LBB205_837:                            ;   in Loop: Header=BB205_616 Depth=1
	s_or_b64 exec, exec, s[16:17]
	v_lshrrev_b32_e32 v9, 16, v15
	v_mov_b32_e32 v22, 0
	v_mov_b32_e32 v20, 0
	;; [unrolled: 1-line block ×4, first 2 shown]
	v_cmp_ne_u16_sdwa s[18:19], v9, v5 src0_sel:BYTE_0 src1_sel:DWORD
	s_and_saveexec_b64 s[16:17], s[18:19]
	s_cbranch_execz .LBB205_843
; %bb.838:                              ;   in Loop: Header=BB205_616 Depth=1
	v_bfrev_b32_e32 v20, 1
	v_mov_b32_e32 v21, 0
	v_cmp_ne_u16_sdwa s[20:21], v9, s28 src0_sel:BYTE_0 src1_sel:DWORD
	s_and_saveexec_b64 s[18:19], s[20:21]
	s_cbranch_execz .LBB205_842
; %bb.839:                              ;   in Loop: Header=BB205_616 Depth=1
	v_bfe_u32 v24, v15, 16, 7
	v_mov_b32_e32 v20, 0x7f800001
	v_mov_b32_e32 v21, 0
	v_cmp_ne_u32_e32 vcc, s29, v24
	s_and_saveexec_b64 s[20:21], vcc
	s_cbranch_execz .LBB205_841
; %bb.840:                              ;   in Loop: Header=BB205_616 Depth=1
	v_and_b32_e32 v25, 7, v9
	v_ffbh_u32_e32 v20, v25
	v_lshrrev_b32_e32 v26, 3, v24
	v_cmp_gt_u32_e32 vcc, 8, v24
	v_min_u32_e32 v24, 32, v20
	v_subrev_u32_e32 v20, 28, v24
	v_lshlrev_b64 v[20:21], v20, v[9:10]
	v_sub_u32_e32 v21, 29, v24
	v_and_b32_e32 v20, 7, v20
	v_cndmask_b32_e32 v21, v26, v21, vcc
	v_cndmask_b32_e32 v20, v25, v20, vcc
	v_bfrev_b32_e32 v24, 60
	v_lshlrev_b32_e32 v20, 20, v20
	v_and_b32_sdwa v9, sext(v9), s30 dst_sel:DWORD dst_unused:UNUSED_PAD src0_sel:BYTE_0 src1_sel:DWORD
	v_lshl_add_u32 v21, v21, 23, v24
	v_or3_b32 v20, v9, v21, v20
	v_mov_b32_e32 v21, v5
.LBB205_841:                            ;   in Loop: Header=BB205_616 Depth=1
	s_or_b64 exec, exec, s[20:21]
.LBB205_842:                            ;   in Loop: Header=BB205_616 Depth=1
	s_or_b64 exec, exec, s[18:19]
.LBB205_843:                            ;   in Loop: Header=BB205_616 Depth=1
	s_or_b64 exec, exec, s[16:17]
	v_cmp_lt_u32_e32 vcc, s31, v15
	s_and_saveexec_b64 s[16:17], vcc
	s_cbranch_execz .LBB205_849
; %bb.844:                              ;   in Loop: Header=BB205_616 Depth=1
	v_mov_b32_e32 v23, v6
	v_cmp_ne_u32_sdwa s[20:21], v15, s28 src0_sel:BYTE_3 src1_sel:DWORD
	v_mov_b32_e32 v22, v5
	s_and_saveexec_b64 s[18:19], s[20:21]
	s_cbranch_execz .LBB205_848
; %bb.845:                              ;   in Loop: Header=BB205_616 Depth=1
	v_bfe_u32 v24, v15, 24, 7
	v_mov_b32_e32 v9, v5
	v_mov_b32_e32 v23, v10
	v_cmp_ne_u32_e32 vcc, s29, v24
	v_mov_b32_e32 v22, v9
	s_and_saveexec_b64 s[20:21], vcc
	s_cbranch_execz .LBB205_847
; %bb.846:                              ;   in Loop: Header=BB205_616 Depth=1
	v_mov_b32_e32 v9, 7
	v_and_b32_sdwa v22, v15, v9 dst_sel:DWORD dst_unused:UNUSED_PAD src0_sel:BYTE_3 src1_sel:DWORD
	v_lshrrev_b32_e32 v9, 3, v24
	v_cmp_gt_u32_e32 vcc, 8, v24
	v_ffbh_u32_e32 v24, v22
	v_min_u32_e32 v25, 32, v24
	v_mov_b32_e32 v23, v5
	v_subrev_u32_e32 v24, 28, v25
	v_lshlrev_b64 v[23:24], v24, v[22:23]
	v_sub_u32_e32 v24, 29, v25
	v_and_b32_e32 v23, 7, v23
	v_cndmask_b32_e32 v22, v22, v23, vcc
	v_mov_b32_e32 v23, 24
	v_cndmask_b32_e32 v9, v9, v24, vcc
	v_lshlrev_b32_sdwa v15, v23, v15 dst_sel:DWORD dst_unused:UNUSED_PAD src0_sel:DWORD src1_sel:BYTE_3
	v_bfrev_b32_e32 v23, 60
	v_lshl_add_u32 v9, v9, 23, v23
	v_and_or_b32 v9, v15, s30, v9
	v_lshlrev_b32_e32 v15, 20, v22
	v_or_b32_e32 v23, v9, v15
	v_mov_b32_e32 v22, v5
.LBB205_847:                            ;   in Loop: Header=BB205_616 Depth=1
	s_or_b64 exec, exec, s[20:21]
.LBB205_848:                            ;   in Loop: Header=BB205_616 Depth=1
	s_or_b64 exec, exec, s[18:19]
.LBB205_849:                            ;   in Loop: Header=BB205_616 Depth=1
	s_or_b64 exec, exec, s[16:17]
	v_or_b32_e32 v9, v19, v17
	v_or_b32_e32 v15, v18, v16
	v_mul_f32_e32 v9, s39, v9
	buffer_store_dword v9, off, s[56:59], 0 offset:244 ; 4-byte Folded Spill
	v_mul_f32_e32 v9, s38, v15
	buffer_store_dword v9, off, s[56:59], 0 offset:268 ; 4-byte Folded Spill
	v_or_b32_e32 v9, v23, v21
	v_or_b32_e32 v15, v22, v20
	v_mul_f32_e32 v15, s38, v15
	v_mul_f32_e32 v9, s39, v9
	buffer_store_dword v15, off, s[56:59], 0 offset:260 ; 4-byte Folded Spill
	buffer_store_dword v9, off, s[56:59], 0 offset:252 ; 4-byte Folded Spill
	s_and_saveexec_b64 s[16:17], s[0:1]
	s_cbranch_execz .LBB205_851
; %bb.850:                              ;   in Loop: Header=BB205_616 Depth=1
	buffer_load_dword v9, off, s[56:59], 0  ; 4-byte Folded Reload
	s_waitcnt vmcnt(0)
	v_cmp_gt_i32_e32 vcc, s33, v9
	buffer_load_dword v9, off, s[56:59], 0 offset:268 ; 4-byte Folded Reload
	s_waitcnt vmcnt(0)
	v_cndmask_b32_e32 v9, 0, v9, vcc
	buffer_store_dword v9, off, s[56:59], 0 offset:268 ; 4-byte Folded Spill
	buffer_load_dword v9, off, s[56:59], 0 offset:244 ; 4-byte Folded Reload
	v_cmp_gt_i32_e32 vcc, s33, v56
	s_waitcnt vmcnt(0)
	v_cndmask_b32_e32 v9, 0, v9, vcc
	buffer_store_dword v9, off, s[56:59], 0 offset:244 ; 4-byte Folded Spill
	buffer_load_dword v9, off, s[56:59], 0 offset:260 ; 4-byte Folded Reload
	v_cmp_gt_i32_e32 vcc, s33, v63
	;; [unrolled: 5-line block ×3, first 2 shown]
	s_waitcnt vmcnt(0)
	v_cndmask_b32_e32 v9, 0, v9, vcc
	buffer_store_dword v9, off, s[56:59], 0 offset:252 ; 4-byte Folded Spill
.LBB205_851:                            ;   in Loop: Header=BB205_616 Depth=1
	s_or_b64 exec, exec, s[16:17]
	global_load_dword v15, v[11:12], off offset:2304
	v_mov_b32_e32 v18, 0
	v_mov_b32_e32 v16, 0
	;; [unrolled: 1-line block ×4, first 2 shown]
	s_waitcnt vmcnt(0)
	v_cmp_ne_u16_sdwa s[18:19], v15, v5 src0_sel:BYTE_0 src1_sel:DWORD
	s_and_saveexec_b64 s[16:17], s[18:19]
	s_cbranch_execz .LBB205_857
; %bb.852:                              ;   in Loop: Header=BB205_616 Depth=1
	v_bfrev_b32_e32 v16, 1
	v_mov_b32_e32 v17, 0
	v_cmp_ne_u16_sdwa s[20:21], v15, s28 src0_sel:BYTE_0 src1_sel:DWORD
	s_and_saveexec_b64 s[18:19], s[20:21]
	s_cbranch_execz .LBB205_856
; %bb.853:                              ;   in Loop: Header=BB205_616 Depth=1
	v_and_b32_e32 v9, 0x7f, v15
	v_mov_b32_e32 v16, 0x7f800001
	v_mov_b32_e32 v17, 0
	v_cmp_ne_u32_e32 vcc, s29, v9
	s_and_saveexec_b64 s[20:21], vcc
	s_cbranch_execz .LBB205_855
; %bb.854:                              ;   in Loop: Header=BB205_616 Depth=1
	v_and_b32_e32 v20, 7, v15
	v_lshrrev_b32_e32 v21, 3, v9
	v_cmp_gt_u32_e32 vcc, 8, v9
	v_ffbh_u32_e32 v9, v20
	v_min_u32_e32 v9, 32, v9
	v_subrev_u32_e32 v16, 28, v9
	v_lshlrev_b64 v[16:17], v16, v[15:16]
	v_sub_u32_e32 v9, 29, v9
	v_and_b32_e32 v16, 7, v16
	v_cndmask_b32_e32 v9, v21, v9, vcc
	v_cndmask_b32_e32 v16, v20, v16, vcc
	v_bfrev_b32_e32 v20, 60
	v_lshlrev_b32_e32 v16, 20, v16
	v_and_b32_sdwa v17, sext(v15), s30 dst_sel:DWORD dst_unused:UNUSED_PAD src0_sel:BYTE_0 src1_sel:DWORD
	v_lshl_add_u32 v9, v9, 23, v20
	v_or3_b32 v16, v17, v9, v16
	v_mov_b32_e32 v17, v5
.LBB205_855:                            ;   in Loop: Header=BB205_616 Depth=1
	s_or_b64 exec, exec, s[20:21]
.LBB205_856:                            ;   in Loop: Header=BB205_616 Depth=1
	s_or_b64 exec, exec, s[18:19]
.LBB205_857:                            ;   in Loop: Header=BB205_616 Depth=1
	s_or_b64 exec, exec, s[16:17]
	v_cmp_ne_u16_sdwa s[18:19], v15, v5 src0_sel:BYTE_1 src1_sel:DWORD
	s_and_saveexec_b64 s[16:17], s[18:19]
	s_cbranch_execz .LBB205_863
; %bb.858:                              ;   in Loop: Header=BB205_616 Depth=1
	v_mov_b32_e32 v19, v6
	v_cmp_ne_u16_sdwa s[20:21], v15, s28 src0_sel:BYTE_1 src1_sel:DWORD
	v_mov_b32_e32 v18, v5
	s_and_saveexec_b64 s[18:19], s[20:21]
	s_cbranch_execz .LBB205_862
; %bb.859:                              ;   in Loop: Header=BB205_616 Depth=1
	v_and_b32_sdwa v20, v15, s29 dst_sel:DWORD dst_unused:UNUSED_PAD src0_sel:BYTE_1 src1_sel:DWORD
	v_mov_b32_e32 v9, v5
	v_mov_b32_e32 v19, v10
	v_cmp_ne_u32_e32 vcc, s29, v20
	v_mov_b32_e32 v18, v9
	s_and_saveexec_b64 s[20:21], vcc
	s_cbranch_execz .LBB205_861
; %bb.860:                              ;   in Loop: Header=BB205_616 Depth=1
	v_mov_b32_e32 v9, 7
	v_and_b32_sdwa v18, v15, v9 dst_sel:DWORD dst_unused:UNUSED_PAD src0_sel:BYTE_1 src1_sel:DWORD
	v_lshrrev_b32_e32 v9, 3, v20
	v_cmp_gt_u32_e32 vcc, 8, v20
	v_ffbh_u32_e32 v20, v18
	v_min_u32_e32 v21, 32, v20
	v_mov_b32_e32 v19, v5
	v_subrev_u32_e32 v20, 28, v21
	v_lshlrev_b64 v[19:20], v20, v[18:19]
	v_sub_u32_e32 v20, 29, v21
	v_and_b32_e32 v19, 7, v19
	v_cndmask_b32_e32 v9, v9, v20, vcc
	v_bfrev_b32_e32 v20, 60
	v_cndmask_b32_e32 v18, v18, v19, vcc
	v_lshlrev_b32_e32 v19, 16, v15
	v_lshl_add_u32 v9, v9, 23, v20
	v_and_or_b32 v9, v19, s30, v9
	v_lshlrev_b32_e32 v18, 20, v18
	v_or_b32_e32 v19, v9, v18
	v_mov_b32_e32 v18, v5
.LBB205_861:                            ;   in Loop: Header=BB205_616 Depth=1
	s_or_b64 exec, exec, s[20:21]
.LBB205_862:                            ;   in Loop: Header=BB205_616 Depth=1
	s_or_b64 exec, exec, s[18:19]
.LBB205_863:                            ;   in Loop: Header=BB205_616 Depth=1
	s_or_b64 exec, exec, s[16:17]
	v_lshrrev_b32_e32 v9, 16, v15
	v_mov_b32_e32 v22, 0
	v_mov_b32_e32 v20, 0
	;; [unrolled: 1-line block ×4, first 2 shown]
	v_cmp_ne_u16_sdwa s[18:19], v9, v5 src0_sel:BYTE_0 src1_sel:DWORD
	s_and_saveexec_b64 s[16:17], s[18:19]
	s_cbranch_execz .LBB205_869
; %bb.864:                              ;   in Loop: Header=BB205_616 Depth=1
	v_bfrev_b32_e32 v20, 1
	v_mov_b32_e32 v21, 0
	v_cmp_ne_u16_sdwa s[20:21], v9, s28 src0_sel:BYTE_0 src1_sel:DWORD
	s_and_saveexec_b64 s[18:19], s[20:21]
	s_cbranch_execz .LBB205_868
; %bb.865:                              ;   in Loop: Header=BB205_616 Depth=1
	v_bfe_u32 v24, v15, 16, 7
	v_mov_b32_e32 v20, 0x7f800001
	v_mov_b32_e32 v21, 0
	v_cmp_ne_u32_e32 vcc, s29, v24
	s_and_saveexec_b64 s[20:21], vcc
	s_cbranch_execz .LBB205_867
; %bb.866:                              ;   in Loop: Header=BB205_616 Depth=1
	v_and_b32_e32 v25, 7, v9
	v_ffbh_u32_e32 v20, v25
	v_lshrrev_b32_e32 v26, 3, v24
	v_cmp_gt_u32_e32 vcc, 8, v24
	v_min_u32_e32 v24, 32, v20
	v_subrev_u32_e32 v20, 28, v24
	v_lshlrev_b64 v[20:21], v20, v[9:10]
	v_sub_u32_e32 v21, 29, v24
	v_and_b32_e32 v20, 7, v20
	v_cndmask_b32_e32 v21, v26, v21, vcc
	v_cndmask_b32_e32 v20, v25, v20, vcc
	v_bfrev_b32_e32 v24, 60
	v_lshlrev_b32_e32 v20, 20, v20
	v_and_b32_sdwa v9, sext(v9), s30 dst_sel:DWORD dst_unused:UNUSED_PAD src0_sel:BYTE_0 src1_sel:DWORD
	v_lshl_add_u32 v21, v21, 23, v24
	v_or3_b32 v20, v9, v21, v20
	v_mov_b32_e32 v21, v5
.LBB205_867:                            ;   in Loop: Header=BB205_616 Depth=1
	s_or_b64 exec, exec, s[20:21]
.LBB205_868:                            ;   in Loop: Header=BB205_616 Depth=1
	s_or_b64 exec, exec, s[18:19]
.LBB205_869:                            ;   in Loop: Header=BB205_616 Depth=1
	s_or_b64 exec, exec, s[16:17]
	v_cmp_lt_u32_e32 vcc, s31, v15
	s_and_saveexec_b64 s[16:17], vcc
	s_cbranch_execz .LBB205_875
; %bb.870:                              ;   in Loop: Header=BB205_616 Depth=1
	v_mov_b32_e32 v23, v6
	v_cmp_ne_u32_sdwa s[20:21], v15, s28 src0_sel:BYTE_3 src1_sel:DWORD
	v_mov_b32_e32 v22, v5
	s_and_saveexec_b64 s[18:19], s[20:21]
	s_cbranch_execz .LBB205_874
; %bb.871:                              ;   in Loop: Header=BB205_616 Depth=1
	v_bfe_u32 v24, v15, 24, 7
	v_mov_b32_e32 v9, v5
	v_mov_b32_e32 v23, v10
	v_cmp_ne_u32_e32 vcc, s29, v24
	v_mov_b32_e32 v22, v9
	s_and_saveexec_b64 s[20:21], vcc
	s_cbranch_execz .LBB205_873
; %bb.872:                              ;   in Loop: Header=BB205_616 Depth=1
	v_mov_b32_e32 v9, 7
	v_and_b32_sdwa v22, v15, v9 dst_sel:DWORD dst_unused:UNUSED_PAD src0_sel:BYTE_3 src1_sel:DWORD
	v_lshrrev_b32_e32 v9, 3, v24
	v_cmp_gt_u32_e32 vcc, 8, v24
	v_ffbh_u32_e32 v24, v22
	v_min_u32_e32 v25, 32, v24
	v_mov_b32_e32 v23, v5
	v_subrev_u32_e32 v24, 28, v25
	v_lshlrev_b64 v[23:24], v24, v[22:23]
	v_sub_u32_e32 v24, 29, v25
	v_and_b32_e32 v23, 7, v23
	v_cndmask_b32_e32 v22, v22, v23, vcc
	v_mov_b32_e32 v23, 24
	v_cndmask_b32_e32 v9, v9, v24, vcc
	v_lshlrev_b32_sdwa v15, v23, v15 dst_sel:DWORD dst_unused:UNUSED_PAD src0_sel:DWORD src1_sel:BYTE_3
	v_bfrev_b32_e32 v23, 60
	v_lshl_add_u32 v9, v9, 23, v23
	v_and_or_b32 v9, v15, s30, v9
	v_lshlrev_b32_e32 v15, 20, v22
	v_or_b32_e32 v23, v9, v15
	v_mov_b32_e32 v22, v5
.LBB205_873:                            ;   in Loop: Header=BB205_616 Depth=1
	s_or_b64 exec, exec, s[20:21]
.LBB205_874:                            ;   in Loop: Header=BB205_616 Depth=1
	s_or_b64 exec, exec, s[18:19]
.LBB205_875:                            ;   in Loop: Header=BB205_616 Depth=1
	s_or_b64 exec, exec, s[16:17]
	v_or_b32_e32 v9, v19, v17
	v_or_b32_e32 v15, v18, v16
	v_mul_f32_e32 v9, s39, v9
	buffer_store_dword v9, off, s[56:59], 0 offset:276 ; 4-byte Folded Spill
	v_mul_f32_e32 v9, s38, v15
	buffer_store_dword v9, off, s[56:59], 0 offset:300 ; 4-byte Folded Spill
	v_or_b32_e32 v9, v23, v21
	v_or_b32_e32 v15, v22, v20
	v_mul_f32_e32 v15, s38, v15
	v_mul_f32_e32 v9, s39, v9
	buffer_store_dword v15, off, s[56:59], 0 offset:292 ; 4-byte Folded Spill
	buffer_store_dword v9, off, s[56:59], 0 offset:284 ; 4-byte Folded Spill
	s_and_saveexec_b64 s[16:17], s[0:1]
	s_cbranch_execz .LBB205_877
; %bb.876:                              ;   in Loop: Header=BB205_616 Depth=1
	buffer_load_dword v9, off, s[56:59], 0  ; 4-byte Folded Reload
	s_waitcnt vmcnt(0)
	v_cmp_gt_i32_e32 vcc, s33, v9
	buffer_load_dword v9, off, s[56:59], 0 offset:300 ; 4-byte Folded Reload
	s_waitcnt vmcnt(0)
	v_cndmask_b32_e32 v9, 0, v9, vcc
	buffer_store_dword v9, off, s[56:59], 0 offset:300 ; 4-byte Folded Spill
	buffer_load_dword v9, off, s[56:59], 0 offset:276 ; 4-byte Folded Reload
	v_cmp_gt_i32_e32 vcc, s33, v56
	s_waitcnt vmcnt(0)
	v_cndmask_b32_e32 v9, 0, v9, vcc
	buffer_store_dword v9, off, s[56:59], 0 offset:276 ; 4-byte Folded Spill
	buffer_load_dword v9, off, s[56:59], 0 offset:292 ; 4-byte Folded Reload
	v_cmp_gt_i32_e32 vcc, s33, v63
	;; [unrolled: 5-line block ×3, first 2 shown]
	s_waitcnt vmcnt(0)
	v_cndmask_b32_e32 v9, 0, v9, vcc
	buffer_store_dword v9, off, s[56:59], 0 offset:284 ; 4-byte Folded Spill
.LBB205_877:                            ;   in Loop: Header=BB205_616 Depth=1
	s_or_b64 exec, exec, s[16:17]
	global_load_dword v15, v[11:12], off offset:2560
	v_mov_b32_e32 v18, 0
	v_mov_b32_e32 v16, 0
	;; [unrolled: 1-line block ×4, first 2 shown]
	s_waitcnt vmcnt(0)
	v_cmp_ne_u16_sdwa s[18:19], v15, v5 src0_sel:BYTE_0 src1_sel:DWORD
	s_and_saveexec_b64 s[16:17], s[18:19]
	s_cbranch_execz .LBB205_883
; %bb.878:                              ;   in Loop: Header=BB205_616 Depth=1
	v_bfrev_b32_e32 v16, 1
	v_mov_b32_e32 v17, 0
	v_cmp_ne_u16_sdwa s[20:21], v15, s28 src0_sel:BYTE_0 src1_sel:DWORD
	s_and_saveexec_b64 s[18:19], s[20:21]
	s_cbranch_execz .LBB205_882
; %bb.879:                              ;   in Loop: Header=BB205_616 Depth=1
	v_and_b32_e32 v9, 0x7f, v15
	v_mov_b32_e32 v16, 0x7f800001
	v_mov_b32_e32 v17, 0
	v_cmp_ne_u32_e32 vcc, s29, v9
	s_and_saveexec_b64 s[20:21], vcc
	s_cbranch_execz .LBB205_881
; %bb.880:                              ;   in Loop: Header=BB205_616 Depth=1
	v_and_b32_e32 v20, 7, v15
	v_lshrrev_b32_e32 v21, 3, v9
	v_cmp_gt_u32_e32 vcc, 8, v9
	v_ffbh_u32_e32 v9, v20
	v_min_u32_e32 v9, 32, v9
	v_subrev_u32_e32 v16, 28, v9
	v_lshlrev_b64 v[16:17], v16, v[15:16]
	v_sub_u32_e32 v9, 29, v9
	v_and_b32_e32 v16, 7, v16
	v_cndmask_b32_e32 v9, v21, v9, vcc
	v_cndmask_b32_e32 v16, v20, v16, vcc
	v_bfrev_b32_e32 v20, 60
	v_lshlrev_b32_e32 v16, 20, v16
	v_and_b32_sdwa v17, sext(v15), s30 dst_sel:DWORD dst_unused:UNUSED_PAD src0_sel:BYTE_0 src1_sel:DWORD
	v_lshl_add_u32 v9, v9, 23, v20
	v_or3_b32 v16, v17, v9, v16
	v_mov_b32_e32 v17, v5
.LBB205_881:                            ;   in Loop: Header=BB205_616 Depth=1
	s_or_b64 exec, exec, s[20:21]
.LBB205_882:                            ;   in Loop: Header=BB205_616 Depth=1
	s_or_b64 exec, exec, s[18:19]
.LBB205_883:                            ;   in Loop: Header=BB205_616 Depth=1
	s_or_b64 exec, exec, s[16:17]
	v_cmp_ne_u16_sdwa s[18:19], v15, v5 src0_sel:BYTE_1 src1_sel:DWORD
	s_and_saveexec_b64 s[16:17], s[18:19]
	s_cbranch_execz .LBB205_889
; %bb.884:                              ;   in Loop: Header=BB205_616 Depth=1
	v_mov_b32_e32 v19, v6
	v_cmp_ne_u16_sdwa s[20:21], v15, s28 src0_sel:BYTE_1 src1_sel:DWORD
	v_mov_b32_e32 v18, v5
	s_and_saveexec_b64 s[18:19], s[20:21]
	s_cbranch_execz .LBB205_888
; %bb.885:                              ;   in Loop: Header=BB205_616 Depth=1
	v_and_b32_sdwa v20, v15, s29 dst_sel:DWORD dst_unused:UNUSED_PAD src0_sel:BYTE_1 src1_sel:DWORD
	v_mov_b32_e32 v9, v5
	v_mov_b32_e32 v19, v10
	v_cmp_ne_u32_e32 vcc, s29, v20
	v_mov_b32_e32 v18, v9
	s_and_saveexec_b64 s[20:21], vcc
	s_cbranch_execz .LBB205_887
; %bb.886:                              ;   in Loop: Header=BB205_616 Depth=1
	v_mov_b32_e32 v9, 7
	v_and_b32_sdwa v18, v15, v9 dst_sel:DWORD dst_unused:UNUSED_PAD src0_sel:BYTE_1 src1_sel:DWORD
	v_lshrrev_b32_e32 v9, 3, v20
	v_cmp_gt_u32_e32 vcc, 8, v20
	v_ffbh_u32_e32 v20, v18
	v_min_u32_e32 v21, 32, v20
	v_mov_b32_e32 v19, v5
	v_subrev_u32_e32 v20, 28, v21
	v_lshlrev_b64 v[19:20], v20, v[18:19]
	v_sub_u32_e32 v20, 29, v21
	v_and_b32_e32 v19, 7, v19
	v_cndmask_b32_e32 v9, v9, v20, vcc
	v_bfrev_b32_e32 v20, 60
	v_cndmask_b32_e32 v18, v18, v19, vcc
	v_lshlrev_b32_e32 v19, 16, v15
	v_lshl_add_u32 v9, v9, 23, v20
	v_and_or_b32 v9, v19, s30, v9
	v_lshlrev_b32_e32 v18, 20, v18
	v_or_b32_e32 v19, v9, v18
	v_mov_b32_e32 v18, v5
.LBB205_887:                            ;   in Loop: Header=BB205_616 Depth=1
	s_or_b64 exec, exec, s[20:21]
.LBB205_888:                            ;   in Loop: Header=BB205_616 Depth=1
	s_or_b64 exec, exec, s[18:19]
.LBB205_889:                            ;   in Loop: Header=BB205_616 Depth=1
	s_or_b64 exec, exec, s[16:17]
	v_lshrrev_b32_e32 v9, 16, v15
	v_mov_b32_e32 v22, 0
	v_mov_b32_e32 v20, 0
	;; [unrolled: 1-line block ×4, first 2 shown]
	v_cmp_ne_u16_sdwa s[18:19], v9, v5 src0_sel:BYTE_0 src1_sel:DWORD
	s_and_saveexec_b64 s[16:17], s[18:19]
	s_cbranch_execz .LBB205_895
; %bb.890:                              ;   in Loop: Header=BB205_616 Depth=1
	v_bfrev_b32_e32 v20, 1
	v_mov_b32_e32 v21, 0
	v_cmp_ne_u16_sdwa s[20:21], v9, s28 src0_sel:BYTE_0 src1_sel:DWORD
	s_and_saveexec_b64 s[18:19], s[20:21]
	s_cbranch_execz .LBB205_894
; %bb.891:                              ;   in Loop: Header=BB205_616 Depth=1
	v_bfe_u32 v24, v15, 16, 7
	v_mov_b32_e32 v20, 0x7f800001
	v_mov_b32_e32 v21, 0
	v_cmp_ne_u32_e32 vcc, s29, v24
	s_and_saveexec_b64 s[20:21], vcc
	s_cbranch_execz .LBB205_893
; %bb.892:                              ;   in Loop: Header=BB205_616 Depth=1
	v_and_b32_e32 v25, 7, v9
	v_ffbh_u32_e32 v20, v25
	v_lshrrev_b32_e32 v26, 3, v24
	v_cmp_gt_u32_e32 vcc, 8, v24
	v_min_u32_e32 v24, 32, v20
	v_subrev_u32_e32 v20, 28, v24
	v_lshlrev_b64 v[20:21], v20, v[9:10]
	v_sub_u32_e32 v21, 29, v24
	v_and_b32_e32 v20, 7, v20
	v_cndmask_b32_e32 v21, v26, v21, vcc
	v_cndmask_b32_e32 v20, v25, v20, vcc
	v_bfrev_b32_e32 v24, 60
	v_lshlrev_b32_e32 v20, 20, v20
	v_and_b32_sdwa v9, sext(v9), s30 dst_sel:DWORD dst_unused:UNUSED_PAD src0_sel:BYTE_0 src1_sel:DWORD
	v_lshl_add_u32 v21, v21, 23, v24
	v_or3_b32 v20, v9, v21, v20
	v_mov_b32_e32 v21, v5
.LBB205_893:                            ;   in Loop: Header=BB205_616 Depth=1
	s_or_b64 exec, exec, s[20:21]
.LBB205_894:                            ;   in Loop: Header=BB205_616 Depth=1
	s_or_b64 exec, exec, s[18:19]
.LBB205_895:                            ;   in Loop: Header=BB205_616 Depth=1
	s_or_b64 exec, exec, s[16:17]
	v_cmp_lt_u32_e32 vcc, s31, v15
	s_and_saveexec_b64 s[16:17], vcc
	s_cbranch_execz .LBB205_901
; %bb.896:                              ;   in Loop: Header=BB205_616 Depth=1
	v_mov_b32_e32 v23, v6
	v_cmp_ne_u32_sdwa s[20:21], v15, s28 src0_sel:BYTE_3 src1_sel:DWORD
	v_mov_b32_e32 v22, v5
	s_and_saveexec_b64 s[18:19], s[20:21]
	s_cbranch_execz .LBB205_900
; %bb.897:                              ;   in Loop: Header=BB205_616 Depth=1
	v_bfe_u32 v24, v15, 24, 7
	v_mov_b32_e32 v9, v5
	v_mov_b32_e32 v23, v10
	v_cmp_ne_u32_e32 vcc, s29, v24
	v_mov_b32_e32 v22, v9
	s_and_saveexec_b64 s[20:21], vcc
	s_cbranch_execz .LBB205_899
; %bb.898:                              ;   in Loop: Header=BB205_616 Depth=1
	v_mov_b32_e32 v9, 7
	v_and_b32_sdwa v22, v15, v9 dst_sel:DWORD dst_unused:UNUSED_PAD src0_sel:BYTE_3 src1_sel:DWORD
	v_lshrrev_b32_e32 v9, 3, v24
	v_cmp_gt_u32_e32 vcc, 8, v24
	v_ffbh_u32_e32 v24, v22
	v_min_u32_e32 v25, 32, v24
	v_mov_b32_e32 v23, v5
	v_subrev_u32_e32 v24, 28, v25
	v_lshlrev_b64 v[23:24], v24, v[22:23]
	v_sub_u32_e32 v24, 29, v25
	v_and_b32_e32 v23, 7, v23
	v_cndmask_b32_e32 v22, v22, v23, vcc
	v_mov_b32_e32 v23, 24
	v_cndmask_b32_e32 v9, v9, v24, vcc
	v_lshlrev_b32_sdwa v15, v23, v15 dst_sel:DWORD dst_unused:UNUSED_PAD src0_sel:DWORD src1_sel:BYTE_3
	v_bfrev_b32_e32 v23, 60
	v_lshl_add_u32 v9, v9, 23, v23
	v_and_or_b32 v9, v15, s30, v9
	v_lshlrev_b32_e32 v15, 20, v22
	v_or_b32_e32 v23, v9, v15
	v_mov_b32_e32 v22, v5
.LBB205_899:                            ;   in Loop: Header=BB205_616 Depth=1
	s_or_b64 exec, exec, s[20:21]
.LBB205_900:                            ;   in Loop: Header=BB205_616 Depth=1
	s_or_b64 exec, exec, s[18:19]
.LBB205_901:                            ;   in Loop: Header=BB205_616 Depth=1
	s_or_b64 exec, exec, s[16:17]
	v_or_b32_e32 v9, v19, v17
	v_or_b32_e32 v15, v18, v16
	v_mul_f32_e32 v9, s39, v9
	buffer_store_dword v9, off, s[56:59], 0 offset:308 ; 4-byte Folded Spill
	v_mul_f32_e32 v9, s38, v15
	buffer_store_dword v9, off, s[56:59], 0 offset:332 ; 4-byte Folded Spill
	v_or_b32_e32 v9, v23, v21
	v_or_b32_e32 v15, v22, v20
	v_mul_f32_e32 v15, s38, v15
	v_mul_f32_e32 v9, s39, v9
	buffer_store_dword v15, off, s[56:59], 0 offset:324 ; 4-byte Folded Spill
	buffer_store_dword v9, off, s[56:59], 0 offset:316 ; 4-byte Folded Spill
	s_and_saveexec_b64 s[16:17], s[0:1]
	s_cbranch_execz .LBB205_903
; %bb.902:                              ;   in Loop: Header=BB205_616 Depth=1
	buffer_load_dword v9, off, s[56:59], 0  ; 4-byte Folded Reload
	s_waitcnt vmcnt(0)
	v_cmp_gt_i32_e32 vcc, s33, v9
	buffer_load_dword v9, off, s[56:59], 0 offset:332 ; 4-byte Folded Reload
	s_waitcnt vmcnt(0)
	v_cndmask_b32_e32 v9, 0, v9, vcc
	buffer_store_dword v9, off, s[56:59], 0 offset:332 ; 4-byte Folded Spill
	buffer_load_dword v9, off, s[56:59], 0 offset:308 ; 4-byte Folded Reload
	v_cmp_gt_i32_e32 vcc, s33, v56
	s_waitcnt vmcnt(0)
	v_cndmask_b32_e32 v9, 0, v9, vcc
	buffer_store_dword v9, off, s[56:59], 0 offset:308 ; 4-byte Folded Spill
	buffer_load_dword v9, off, s[56:59], 0 offset:324 ; 4-byte Folded Reload
	v_cmp_gt_i32_e32 vcc, s33, v63
	;; [unrolled: 5-line block ×3, first 2 shown]
	s_waitcnt vmcnt(0)
	v_cndmask_b32_e32 v9, 0, v9, vcc
	buffer_store_dword v9, off, s[56:59], 0 offset:316 ; 4-byte Folded Spill
.LBB205_903:                            ;   in Loop: Header=BB205_616 Depth=1
	s_or_b64 exec, exec, s[16:17]
	global_load_dword v15, v[11:12], off offset:2816
	v_mov_b32_e32 v18, 0
	v_mov_b32_e32 v16, 0
	;; [unrolled: 1-line block ×4, first 2 shown]
	s_waitcnt vmcnt(0)
	v_cmp_ne_u16_sdwa s[18:19], v15, v5 src0_sel:BYTE_0 src1_sel:DWORD
	s_and_saveexec_b64 s[16:17], s[18:19]
	s_cbranch_execz .LBB205_909
; %bb.904:                              ;   in Loop: Header=BB205_616 Depth=1
	v_bfrev_b32_e32 v16, 1
	v_mov_b32_e32 v17, 0
	v_cmp_ne_u16_sdwa s[20:21], v15, s28 src0_sel:BYTE_0 src1_sel:DWORD
	s_and_saveexec_b64 s[18:19], s[20:21]
	s_cbranch_execz .LBB205_908
; %bb.905:                              ;   in Loop: Header=BB205_616 Depth=1
	v_and_b32_e32 v9, 0x7f, v15
	v_mov_b32_e32 v16, 0x7f800001
	v_mov_b32_e32 v17, 0
	v_cmp_ne_u32_e32 vcc, s29, v9
	s_and_saveexec_b64 s[20:21], vcc
	s_cbranch_execz .LBB205_907
; %bb.906:                              ;   in Loop: Header=BB205_616 Depth=1
	v_and_b32_e32 v20, 7, v15
	v_lshrrev_b32_e32 v21, 3, v9
	v_cmp_gt_u32_e32 vcc, 8, v9
	v_ffbh_u32_e32 v9, v20
	v_min_u32_e32 v9, 32, v9
	v_subrev_u32_e32 v16, 28, v9
	v_lshlrev_b64 v[16:17], v16, v[15:16]
	v_sub_u32_e32 v9, 29, v9
	v_and_b32_e32 v16, 7, v16
	v_cndmask_b32_e32 v9, v21, v9, vcc
	v_cndmask_b32_e32 v16, v20, v16, vcc
	v_bfrev_b32_e32 v20, 60
	v_lshlrev_b32_e32 v16, 20, v16
	v_and_b32_sdwa v17, sext(v15), s30 dst_sel:DWORD dst_unused:UNUSED_PAD src0_sel:BYTE_0 src1_sel:DWORD
	v_lshl_add_u32 v9, v9, 23, v20
	v_or3_b32 v16, v17, v9, v16
	v_mov_b32_e32 v17, v5
.LBB205_907:                            ;   in Loop: Header=BB205_616 Depth=1
	s_or_b64 exec, exec, s[20:21]
.LBB205_908:                            ;   in Loop: Header=BB205_616 Depth=1
	s_or_b64 exec, exec, s[18:19]
.LBB205_909:                            ;   in Loop: Header=BB205_616 Depth=1
	s_or_b64 exec, exec, s[16:17]
	v_cmp_ne_u16_sdwa s[18:19], v15, v5 src0_sel:BYTE_1 src1_sel:DWORD
	s_and_saveexec_b64 s[16:17], s[18:19]
	s_cbranch_execz .LBB205_915
; %bb.910:                              ;   in Loop: Header=BB205_616 Depth=1
	v_mov_b32_e32 v19, v6
	v_cmp_ne_u16_sdwa s[20:21], v15, s28 src0_sel:BYTE_1 src1_sel:DWORD
	v_mov_b32_e32 v18, v5
	s_and_saveexec_b64 s[18:19], s[20:21]
	s_cbranch_execz .LBB205_914
; %bb.911:                              ;   in Loop: Header=BB205_616 Depth=1
	v_and_b32_sdwa v20, v15, s29 dst_sel:DWORD dst_unused:UNUSED_PAD src0_sel:BYTE_1 src1_sel:DWORD
	v_mov_b32_e32 v9, v5
	v_mov_b32_e32 v19, v10
	v_cmp_ne_u32_e32 vcc, s29, v20
	v_mov_b32_e32 v18, v9
	s_and_saveexec_b64 s[20:21], vcc
	s_cbranch_execz .LBB205_913
; %bb.912:                              ;   in Loop: Header=BB205_616 Depth=1
	v_mov_b32_e32 v9, 7
	v_and_b32_sdwa v18, v15, v9 dst_sel:DWORD dst_unused:UNUSED_PAD src0_sel:BYTE_1 src1_sel:DWORD
	v_lshrrev_b32_e32 v9, 3, v20
	v_cmp_gt_u32_e32 vcc, 8, v20
	v_ffbh_u32_e32 v20, v18
	v_min_u32_e32 v21, 32, v20
	v_mov_b32_e32 v19, v5
	v_subrev_u32_e32 v20, 28, v21
	v_lshlrev_b64 v[19:20], v20, v[18:19]
	v_sub_u32_e32 v20, 29, v21
	v_and_b32_e32 v19, 7, v19
	v_cndmask_b32_e32 v9, v9, v20, vcc
	v_bfrev_b32_e32 v20, 60
	v_cndmask_b32_e32 v18, v18, v19, vcc
	v_lshlrev_b32_e32 v19, 16, v15
	v_lshl_add_u32 v9, v9, 23, v20
	v_and_or_b32 v9, v19, s30, v9
	v_lshlrev_b32_e32 v18, 20, v18
	v_or_b32_e32 v19, v9, v18
	v_mov_b32_e32 v18, v5
.LBB205_913:                            ;   in Loop: Header=BB205_616 Depth=1
	s_or_b64 exec, exec, s[20:21]
.LBB205_914:                            ;   in Loop: Header=BB205_616 Depth=1
	s_or_b64 exec, exec, s[18:19]
.LBB205_915:                            ;   in Loop: Header=BB205_616 Depth=1
	s_or_b64 exec, exec, s[16:17]
	v_lshrrev_b32_e32 v9, 16, v15
	v_mov_b32_e32 v22, 0
	v_mov_b32_e32 v20, 0
	;; [unrolled: 1-line block ×4, first 2 shown]
	v_cmp_ne_u16_sdwa s[18:19], v9, v5 src0_sel:BYTE_0 src1_sel:DWORD
	s_and_saveexec_b64 s[16:17], s[18:19]
	s_cbranch_execz .LBB205_921
; %bb.916:                              ;   in Loop: Header=BB205_616 Depth=1
	v_bfrev_b32_e32 v20, 1
	v_mov_b32_e32 v21, 0
	v_cmp_ne_u16_sdwa s[20:21], v9, s28 src0_sel:BYTE_0 src1_sel:DWORD
	s_and_saveexec_b64 s[18:19], s[20:21]
	s_cbranch_execz .LBB205_920
; %bb.917:                              ;   in Loop: Header=BB205_616 Depth=1
	v_bfe_u32 v24, v15, 16, 7
	v_mov_b32_e32 v20, 0x7f800001
	v_mov_b32_e32 v21, 0
	v_cmp_ne_u32_e32 vcc, s29, v24
	s_and_saveexec_b64 s[20:21], vcc
	s_cbranch_execz .LBB205_919
; %bb.918:                              ;   in Loop: Header=BB205_616 Depth=1
	v_and_b32_e32 v25, 7, v9
	v_ffbh_u32_e32 v20, v25
	v_lshrrev_b32_e32 v26, 3, v24
	v_cmp_gt_u32_e32 vcc, 8, v24
	v_min_u32_e32 v24, 32, v20
	v_subrev_u32_e32 v20, 28, v24
	v_lshlrev_b64 v[20:21], v20, v[9:10]
	v_sub_u32_e32 v21, 29, v24
	v_and_b32_e32 v20, 7, v20
	v_cndmask_b32_e32 v21, v26, v21, vcc
	v_cndmask_b32_e32 v20, v25, v20, vcc
	v_bfrev_b32_e32 v24, 60
	v_lshlrev_b32_e32 v20, 20, v20
	v_and_b32_sdwa v9, sext(v9), s30 dst_sel:DWORD dst_unused:UNUSED_PAD src0_sel:BYTE_0 src1_sel:DWORD
	v_lshl_add_u32 v21, v21, 23, v24
	v_or3_b32 v20, v9, v21, v20
	v_mov_b32_e32 v21, v5
.LBB205_919:                            ;   in Loop: Header=BB205_616 Depth=1
	s_or_b64 exec, exec, s[20:21]
.LBB205_920:                            ;   in Loop: Header=BB205_616 Depth=1
	s_or_b64 exec, exec, s[18:19]
.LBB205_921:                            ;   in Loop: Header=BB205_616 Depth=1
	s_or_b64 exec, exec, s[16:17]
	v_cmp_lt_u32_e32 vcc, s31, v15
	s_and_saveexec_b64 s[16:17], vcc
	s_cbranch_execz .LBB205_927
; %bb.922:                              ;   in Loop: Header=BB205_616 Depth=1
	v_mov_b32_e32 v23, v6
	v_cmp_ne_u32_sdwa s[20:21], v15, s28 src0_sel:BYTE_3 src1_sel:DWORD
	v_mov_b32_e32 v22, v5
	s_and_saveexec_b64 s[18:19], s[20:21]
	s_cbranch_execz .LBB205_926
; %bb.923:                              ;   in Loop: Header=BB205_616 Depth=1
	v_bfe_u32 v24, v15, 24, 7
	v_mov_b32_e32 v9, v5
	v_mov_b32_e32 v23, v10
	v_cmp_ne_u32_e32 vcc, s29, v24
	v_mov_b32_e32 v22, v9
	s_and_saveexec_b64 s[20:21], vcc
	s_cbranch_execz .LBB205_925
; %bb.924:                              ;   in Loop: Header=BB205_616 Depth=1
	v_mov_b32_e32 v9, 7
	v_and_b32_sdwa v22, v15, v9 dst_sel:DWORD dst_unused:UNUSED_PAD src0_sel:BYTE_3 src1_sel:DWORD
	v_lshrrev_b32_e32 v9, 3, v24
	v_cmp_gt_u32_e32 vcc, 8, v24
	v_ffbh_u32_e32 v24, v22
	v_min_u32_e32 v25, 32, v24
	v_mov_b32_e32 v23, v5
	v_subrev_u32_e32 v24, 28, v25
	v_lshlrev_b64 v[23:24], v24, v[22:23]
	v_sub_u32_e32 v24, 29, v25
	v_and_b32_e32 v23, 7, v23
	v_cndmask_b32_e32 v22, v22, v23, vcc
	v_mov_b32_e32 v23, 24
	v_cndmask_b32_e32 v9, v9, v24, vcc
	v_lshlrev_b32_sdwa v15, v23, v15 dst_sel:DWORD dst_unused:UNUSED_PAD src0_sel:DWORD src1_sel:BYTE_3
	v_bfrev_b32_e32 v23, 60
	v_lshl_add_u32 v9, v9, 23, v23
	v_and_or_b32 v9, v15, s30, v9
	v_lshlrev_b32_e32 v15, 20, v22
	v_or_b32_e32 v23, v9, v15
	v_mov_b32_e32 v22, v5
.LBB205_925:                            ;   in Loop: Header=BB205_616 Depth=1
	s_or_b64 exec, exec, s[20:21]
.LBB205_926:                            ;   in Loop: Header=BB205_616 Depth=1
	s_or_b64 exec, exec, s[18:19]
.LBB205_927:                            ;   in Loop: Header=BB205_616 Depth=1
	s_or_b64 exec, exec, s[16:17]
	v_or_b32_e32 v9, v19, v17
	v_or_b32_e32 v15, v18, v16
	v_mul_f32_e32 v9, s39, v9
	buffer_store_dword v9, off, s[56:59], 0 offset:340 ; 4-byte Folded Spill
	v_mul_f32_e32 v9, s38, v15
	buffer_store_dword v9, off, s[56:59], 0 offset:364 ; 4-byte Folded Spill
	v_or_b32_e32 v9, v23, v21
	v_or_b32_e32 v15, v22, v20
	v_mul_f32_e32 v15, s38, v15
	v_mul_f32_e32 v9, s39, v9
	buffer_store_dword v15, off, s[56:59], 0 offset:356 ; 4-byte Folded Spill
	buffer_store_dword v9, off, s[56:59], 0 offset:348 ; 4-byte Folded Spill
	s_and_saveexec_b64 s[16:17], s[0:1]
	s_cbranch_execz .LBB205_929
; %bb.928:                              ;   in Loop: Header=BB205_616 Depth=1
	buffer_load_dword v9, off, s[56:59], 0  ; 4-byte Folded Reload
	s_waitcnt vmcnt(0)
	v_cmp_gt_i32_e32 vcc, s33, v9
	buffer_load_dword v9, off, s[56:59], 0 offset:364 ; 4-byte Folded Reload
	s_waitcnt vmcnt(0)
	v_cndmask_b32_e32 v9, 0, v9, vcc
	buffer_store_dword v9, off, s[56:59], 0 offset:364 ; 4-byte Folded Spill
	buffer_load_dword v9, off, s[56:59], 0 offset:340 ; 4-byte Folded Reload
	v_cmp_gt_i32_e32 vcc, s33, v56
	s_waitcnt vmcnt(0)
	v_cndmask_b32_e32 v9, 0, v9, vcc
	buffer_store_dword v9, off, s[56:59], 0 offset:340 ; 4-byte Folded Spill
	buffer_load_dword v9, off, s[56:59], 0 offset:356 ; 4-byte Folded Reload
	v_cmp_gt_i32_e32 vcc, s33, v63
	;; [unrolled: 5-line block ×3, first 2 shown]
	s_waitcnt vmcnt(0)
	v_cndmask_b32_e32 v9, 0, v9, vcc
	buffer_store_dword v9, off, s[56:59], 0 offset:348 ; 4-byte Folded Spill
.LBB205_929:                            ;   in Loop: Header=BB205_616 Depth=1
	s_or_b64 exec, exec, s[16:17]
	global_load_dword v15, v[11:12], off offset:3072
	v_mov_b32_e32 v18, 0
	v_mov_b32_e32 v16, 0
	;; [unrolled: 1-line block ×4, first 2 shown]
	s_waitcnt vmcnt(0)
	v_cmp_ne_u16_sdwa s[18:19], v15, v5 src0_sel:BYTE_0 src1_sel:DWORD
	s_and_saveexec_b64 s[16:17], s[18:19]
	s_cbranch_execz .LBB205_935
; %bb.930:                              ;   in Loop: Header=BB205_616 Depth=1
	v_bfrev_b32_e32 v16, 1
	v_mov_b32_e32 v17, 0
	v_cmp_ne_u16_sdwa s[20:21], v15, s28 src0_sel:BYTE_0 src1_sel:DWORD
	s_and_saveexec_b64 s[18:19], s[20:21]
	s_cbranch_execz .LBB205_934
; %bb.931:                              ;   in Loop: Header=BB205_616 Depth=1
	v_and_b32_e32 v9, 0x7f, v15
	v_mov_b32_e32 v16, 0x7f800001
	v_mov_b32_e32 v17, 0
	v_cmp_ne_u32_e32 vcc, s29, v9
	s_and_saveexec_b64 s[20:21], vcc
	s_cbranch_execz .LBB205_933
; %bb.932:                              ;   in Loop: Header=BB205_616 Depth=1
	v_and_b32_e32 v20, 7, v15
	v_lshrrev_b32_e32 v21, 3, v9
	v_cmp_gt_u32_e32 vcc, 8, v9
	v_ffbh_u32_e32 v9, v20
	v_min_u32_e32 v9, 32, v9
	v_subrev_u32_e32 v16, 28, v9
	v_lshlrev_b64 v[16:17], v16, v[15:16]
	v_sub_u32_e32 v9, 29, v9
	v_and_b32_e32 v16, 7, v16
	v_cndmask_b32_e32 v9, v21, v9, vcc
	v_cndmask_b32_e32 v16, v20, v16, vcc
	v_bfrev_b32_e32 v20, 60
	v_lshlrev_b32_e32 v16, 20, v16
	v_and_b32_sdwa v17, sext(v15), s30 dst_sel:DWORD dst_unused:UNUSED_PAD src0_sel:BYTE_0 src1_sel:DWORD
	v_lshl_add_u32 v9, v9, 23, v20
	v_or3_b32 v16, v17, v9, v16
	v_mov_b32_e32 v17, v5
.LBB205_933:                            ;   in Loop: Header=BB205_616 Depth=1
	s_or_b64 exec, exec, s[20:21]
.LBB205_934:                            ;   in Loop: Header=BB205_616 Depth=1
	s_or_b64 exec, exec, s[18:19]
.LBB205_935:                            ;   in Loop: Header=BB205_616 Depth=1
	s_or_b64 exec, exec, s[16:17]
	v_cmp_ne_u16_sdwa s[18:19], v15, v5 src0_sel:BYTE_1 src1_sel:DWORD
	s_and_saveexec_b64 s[16:17], s[18:19]
	s_cbranch_execz .LBB205_941
; %bb.936:                              ;   in Loop: Header=BB205_616 Depth=1
	v_mov_b32_e32 v19, v6
	v_cmp_ne_u16_sdwa s[20:21], v15, s28 src0_sel:BYTE_1 src1_sel:DWORD
	v_mov_b32_e32 v18, v5
	s_and_saveexec_b64 s[18:19], s[20:21]
	s_cbranch_execz .LBB205_940
; %bb.937:                              ;   in Loop: Header=BB205_616 Depth=1
	v_and_b32_sdwa v20, v15, s29 dst_sel:DWORD dst_unused:UNUSED_PAD src0_sel:BYTE_1 src1_sel:DWORD
	v_mov_b32_e32 v9, v5
	v_mov_b32_e32 v19, v10
	v_cmp_ne_u32_e32 vcc, s29, v20
	v_mov_b32_e32 v18, v9
	s_and_saveexec_b64 s[20:21], vcc
	s_cbranch_execz .LBB205_939
; %bb.938:                              ;   in Loop: Header=BB205_616 Depth=1
	v_mov_b32_e32 v9, 7
	v_and_b32_sdwa v18, v15, v9 dst_sel:DWORD dst_unused:UNUSED_PAD src0_sel:BYTE_1 src1_sel:DWORD
	v_lshrrev_b32_e32 v9, 3, v20
	v_cmp_gt_u32_e32 vcc, 8, v20
	v_ffbh_u32_e32 v20, v18
	v_min_u32_e32 v21, 32, v20
	v_mov_b32_e32 v19, v5
	v_subrev_u32_e32 v20, 28, v21
	v_lshlrev_b64 v[19:20], v20, v[18:19]
	v_sub_u32_e32 v20, 29, v21
	v_and_b32_e32 v19, 7, v19
	v_cndmask_b32_e32 v9, v9, v20, vcc
	v_bfrev_b32_e32 v20, 60
	v_cndmask_b32_e32 v18, v18, v19, vcc
	v_lshlrev_b32_e32 v19, 16, v15
	v_lshl_add_u32 v9, v9, 23, v20
	v_and_or_b32 v9, v19, s30, v9
	v_lshlrev_b32_e32 v18, 20, v18
	v_or_b32_e32 v19, v9, v18
	v_mov_b32_e32 v18, v5
.LBB205_939:                            ;   in Loop: Header=BB205_616 Depth=1
	s_or_b64 exec, exec, s[20:21]
.LBB205_940:                            ;   in Loop: Header=BB205_616 Depth=1
	s_or_b64 exec, exec, s[18:19]
.LBB205_941:                            ;   in Loop: Header=BB205_616 Depth=1
	s_or_b64 exec, exec, s[16:17]
	v_lshrrev_b32_e32 v9, 16, v15
	v_mov_b32_e32 v22, 0
	v_mov_b32_e32 v20, 0
	;; [unrolled: 1-line block ×4, first 2 shown]
	v_cmp_ne_u16_sdwa s[18:19], v9, v5 src0_sel:BYTE_0 src1_sel:DWORD
	s_and_saveexec_b64 s[16:17], s[18:19]
	s_cbranch_execz .LBB205_947
; %bb.942:                              ;   in Loop: Header=BB205_616 Depth=1
	v_bfrev_b32_e32 v20, 1
	v_mov_b32_e32 v21, 0
	v_cmp_ne_u16_sdwa s[20:21], v9, s28 src0_sel:BYTE_0 src1_sel:DWORD
	s_and_saveexec_b64 s[18:19], s[20:21]
	s_cbranch_execz .LBB205_946
; %bb.943:                              ;   in Loop: Header=BB205_616 Depth=1
	v_bfe_u32 v24, v15, 16, 7
	v_mov_b32_e32 v20, 0x7f800001
	v_mov_b32_e32 v21, 0
	v_cmp_ne_u32_e32 vcc, s29, v24
	s_and_saveexec_b64 s[20:21], vcc
	s_cbranch_execz .LBB205_945
; %bb.944:                              ;   in Loop: Header=BB205_616 Depth=1
	v_and_b32_e32 v25, 7, v9
	v_ffbh_u32_e32 v20, v25
	v_lshrrev_b32_e32 v26, 3, v24
	v_cmp_gt_u32_e32 vcc, 8, v24
	v_min_u32_e32 v24, 32, v20
	v_subrev_u32_e32 v20, 28, v24
	v_lshlrev_b64 v[20:21], v20, v[9:10]
	v_sub_u32_e32 v21, 29, v24
	v_and_b32_e32 v20, 7, v20
	v_cndmask_b32_e32 v21, v26, v21, vcc
	v_cndmask_b32_e32 v20, v25, v20, vcc
	v_bfrev_b32_e32 v24, 60
	v_lshlrev_b32_e32 v20, 20, v20
	v_and_b32_sdwa v9, sext(v9), s30 dst_sel:DWORD dst_unused:UNUSED_PAD src0_sel:BYTE_0 src1_sel:DWORD
	v_lshl_add_u32 v21, v21, 23, v24
	v_or3_b32 v20, v9, v21, v20
	v_mov_b32_e32 v21, v5
.LBB205_945:                            ;   in Loop: Header=BB205_616 Depth=1
	s_or_b64 exec, exec, s[20:21]
.LBB205_946:                            ;   in Loop: Header=BB205_616 Depth=1
	s_or_b64 exec, exec, s[18:19]
.LBB205_947:                            ;   in Loop: Header=BB205_616 Depth=1
	s_or_b64 exec, exec, s[16:17]
	v_cmp_lt_u32_e32 vcc, s31, v15
	s_and_saveexec_b64 s[16:17], vcc
	s_cbranch_execz .LBB205_953
; %bb.948:                              ;   in Loop: Header=BB205_616 Depth=1
	v_mov_b32_e32 v23, v6
	v_cmp_ne_u32_sdwa s[20:21], v15, s28 src0_sel:BYTE_3 src1_sel:DWORD
	v_mov_b32_e32 v22, v5
	s_and_saveexec_b64 s[18:19], s[20:21]
	s_cbranch_execz .LBB205_952
; %bb.949:                              ;   in Loop: Header=BB205_616 Depth=1
	v_bfe_u32 v24, v15, 24, 7
	v_mov_b32_e32 v9, v5
	v_mov_b32_e32 v23, v10
	v_cmp_ne_u32_e32 vcc, s29, v24
	v_mov_b32_e32 v22, v9
	s_and_saveexec_b64 s[20:21], vcc
	s_cbranch_execz .LBB205_951
; %bb.950:                              ;   in Loop: Header=BB205_616 Depth=1
	v_mov_b32_e32 v9, 7
	v_and_b32_sdwa v22, v15, v9 dst_sel:DWORD dst_unused:UNUSED_PAD src0_sel:BYTE_3 src1_sel:DWORD
	v_lshrrev_b32_e32 v9, 3, v24
	v_cmp_gt_u32_e32 vcc, 8, v24
	v_ffbh_u32_e32 v24, v22
	v_min_u32_e32 v25, 32, v24
	v_mov_b32_e32 v23, v5
	v_subrev_u32_e32 v24, 28, v25
	v_lshlrev_b64 v[23:24], v24, v[22:23]
	v_sub_u32_e32 v24, 29, v25
	v_and_b32_e32 v23, 7, v23
	v_cndmask_b32_e32 v22, v22, v23, vcc
	v_mov_b32_e32 v23, 24
	v_cndmask_b32_e32 v9, v9, v24, vcc
	v_lshlrev_b32_sdwa v15, v23, v15 dst_sel:DWORD dst_unused:UNUSED_PAD src0_sel:DWORD src1_sel:BYTE_3
	v_bfrev_b32_e32 v23, 60
	v_lshl_add_u32 v9, v9, 23, v23
	v_and_or_b32 v9, v15, s30, v9
	v_lshlrev_b32_e32 v15, 20, v22
	v_or_b32_e32 v23, v9, v15
	v_mov_b32_e32 v22, v5
.LBB205_951:                            ;   in Loop: Header=BB205_616 Depth=1
	s_or_b64 exec, exec, s[20:21]
.LBB205_952:                            ;   in Loop: Header=BB205_616 Depth=1
	s_or_b64 exec, exec, s[18:19]
.LBB205_953:                            ;   in Loop: Header=BB205_616 Depth=1
	s_or_b64 exec, exec, s[16:17]
	v_or_b32_e32 v9, v19, v17
	v_or_b32_e32 v15, v18, v16
	v_mul_f32_e32 v9, s39, v9
	buffer_store_dword v9, off, s[56:59], 0 offset:372 ; 4-byte Folded Spill
	v_mul_f32_e32 v9, s38, v15
	buffer_store_dword v9, off, s[56:59], 0 offset:396 ; 4-byte Folded Spill
	v_or_b32_e32 v9, v23, v21
	v_or_b32_e32 v15, v22, v20
	v_mul_f32_e32 v15, s38, v15
	v_mul_f32_e32 v9, s39, v9
	buffer_store_dword v15, off, s[56:59], 0 offset:388 ; 4-byte Folded Spill
	buffer_store_dword v9, off, s[56:59], 0 offset:380 ; 4-byte Folded Spill
	s_and_saveexec_b64 s[16:17], s[0:1]
	s_cbranch_execz .LBB205_955
; %bb.954:                              ;   in Loop: Header=BB205_616 Depth=1
	buffer_load_dword v9, off, s[56:59], 0  ; 4-byte Folded Reload
	s_waitcnt vmcnt(0)
	v_cmp_gt_i32_e32 vcc, s33, v9
	buffer_load_dword v9, off, s[56:59], 0 offset:396 ; 4-byte Folded Reload
	s_waitcnt vmcnt(0)
	v_cndmask_b32_e32 v9, 0, v9, vcc
	buffer_store_dword v9, off, s[56:59], 0 offset:396 ; 4-byte Folded Spill
	buffer_load_dword v9, off, s[56:59], 0 offset:372 ; 4-byte Folded Reload
	v_cmp_gt_i32_e32 vcc, s33, v56
	s_waitcnt vmcnt(0)
	v_cndmask_b32_e32 v9, 0, v9, vcc
	buffer_store_dword v9, off, s[56:59], 0 offset:372 ; 4-byte Folded Spill
	buffer_load_dword v9, off, s[56:59], 0 offset:388 ; 4-byte Folded Reload
	v_cmp_gt_i32_e32 vcc, s33, v63
	s_waitcnt vmcnt(0)
	v_cndmask_b32_e32 v9, 0, v9, vcc
	buffer_store_dword v9, off, s[56:59], 0 offset:388 ; 4-byte Folded Spill
	buffer_load_dword v9, off, s[56:59], 0 offset:380 ; 4-byte Folded Reload
	v_cmp_gt_i32_e32 vcc, s33, v0
	s_waitcnt vmcnt(0)
	v_cndmask_b32_e32 v9, 0, v9, vcc
	buffer_store_dword v9, off, s[56:59], 0 offset:380 ; 4-byte Folded Spill
.LBB205_955:                            ;   in Loop: Header=BB205_616 Depth=1
	s_or_b64 exec, exec, s[16:17]
	global_load_dword v15, v[11:12], off offset:3328
	v_mov_b32_e32 v18, 0
	v_mov_b32_e32 v16, 0
	;; [unrolled: 1-line block ×4, first 2 shown]
	s_waitcnt vmcnt(0)
	v_cmp_ne_u16_sdwa s[18:19], v15, v5 src0_sel:BYTE_0 src1_sel:DWORD
	s_and_saveexec_b64 s[16:17], s[18:19]
	s_cbranch_execz .LBB205_961
; %bb.956:                              ;   in Loop: Header=BB205_616 Depth=1
	v_bfrev_b32_e32 v16, 1
	v_mov_b32_e32 v17, 0
	v_cmp_ne_u16_sdwa s[20:21], v15, s28 src0_sel:BYTE_0 src1_sel:DWORD
	s_and_saveexec_b64 s[18:19], s[20:21]
	s_cbranch_execz .LBB205_960
; %bb.957:                              ;   in Loop: Header=BB205_616 Depth=1
	v_and_b32_e32 v9, 0x7f, v15
	v_mov_b32_e32 v16, 0x7f800001
	v_mov_b32_e32 v17, 0
	v_cmp_ne_u32_e32 vcc, s29, v9
	s_and_saveexec_b64 s[20:21], vcc
	s_cbranch_execz .LBB205_959
; %bb.958:                              ;   in Loop: Header=BB205_616 Depth=1
	v_and_b32_e32 v20, 7, v15
	v_lshrrev_b32_e32 v21, 3, v9
	v_cmp_gt_u32_e32 vcc, 8, v9
	v_ffbh_u32_e32 v9, v20
	v_min_u32_e32 v9, 32, v9
	v_subrev_u32_e32 v16, 28, v9
	v_lshlrev_b64 v[16:17], v16, v[15:16]
	v_sub_u32_e32 v9, 29, v9
	v_and_b32_e32 v16, 7, v16
	v_cndmask_b32_e32 v9, v21, v9, vcc
	v_cndmask_b32_e32 v16, v20, v16, vcc
	v_bfrev_b32_e32 v20, 60
	v_lshlrev_b32_e32 v16, 20, v16
	v_and_b32_sdwa v17, sext(v15), s30 dst_sel:DWORD dst_unused:UNUSED_PAD src0_sel:BYTE_0 src1_sel:DWORD
	v_lshl_add_u32 v9, v9, 23, v20
	v_or3_b32 v16, v17, v9, v16
	v_mov_b32_e32 v17, v5
.LBB205_959:                            ;   in Loop: Header=BB205_616 Depth=1
	s_or_b64 exec, exec, s[20:21]
.LBB205_960:                            ;   in Loop: Header=BB205_616 Depth=1
	s_or_b64 exec, exec, s[18:19]
.LBB205_961:                            ;   in Loop: Header=BB205_616 Depth=1
	s_or_b64 exec, exec, s[16:17]
	v_cmp_ne_u16_sdwa s[18:19], v15, v5 src0_sel:BYTE_1 src1_sel:DWORD
	s_and_saveexec_b64 s[16:17], s[18:19]
	s_cbranch_execz .LBB205_967
; %bb.962:                              ;   in Loop: Header=BB205_616 Depth=1
	v_mov_b32_e32 v19, v6
	v_cmp_ne_u16_sdwa s[20:21], v15, s28 src0_sel:BYTE_1 src1_sel:DWORD
	v_mov_b32_e32 v18, v5
	s_and_saveexec_b64 s[18:19], s[20:21]
	s_cbranch_execz .LBB205_966
; %bb.963:                              ;   in Loop: Header=BB205_616 Depth=1
	v_and_b32_sdwa v20, v15, s29 dst_sel:DWORD dst_unused:UNUSED_PAD src0_sel:BYTE_1 src1_sel:DWORD
	v_mov_b32_e32 v9, v5
	v_mov_b32_e32 v19, v10
	v_cmp_ne_u32_e32 vcc, s29, v20
	v_mov_b32_e32 v18, v9
	s_and_saveexec_b64 s[20:21], vcc
	s_cbranch_execz .LBB205_965
; %bb.964:                              ;   in Loop: Header=BB205_616 Depth=1
	v_mov_b32_e32 v9, 7
	v_and_b32_sdwa v18, v15, v9 dst_sel:DWORD dst_unused:UNUSED_PAD src0_sel:BYTE_1 src1_sel:DWORD
	v_lshrrev_b32_e32 v9, 3, v20
	v_cmp_gt_u32_e32 vcc, 8, v20
	v_ffbh_u32_e32 v20, v18
	v_min_u32_e32 v21, 32, v20
	v_mov_b32_e32 v19, v5
	v_subrev_u32_e32 v20, 28, v21
	v_lshlrev_b64 v[19:20], v20, v[18:19]
	v_sub_u32_e32 v20, 29, v21
	v_and_b32_e32 v19, 7, v19
	v_cndmask_b32_e32 v9, v9, v20, vcc
	v_bfrev_b32_e32 v20, 60
	v_cndmask_b32_e32 v18, v18, v19, vcc
	v_lshlrev_b32_e32 v19, 16, v15
	v_lshl_add_u32 v9, v9, 23, v20
	v_and_or_b32 v9, v19, s30, v9
	v_lshlrev_b32_e32 v18, 20, v18
	v_or_b32_e32 v19, v9, v18
	v_mov_b32_e32 v18, v5
.LBB205_965:                            ;   in Loop: Header=BB205_616 Depth=1
	s_or_b64 exec, exec, s[20:21]
.LBB205_966:                            ;   in Loop: Header=BB205_616 Depth=1
	s_or_b64 exec, exec, s[18:19]
.LBB205_967:                            ;   in Loop: Header=BB205_616 Depth=1
	s_or_b64 exec, exec, s[16:17]
	v_lshrrev_b32_e32 v9, 16, v15
	v_mov_b32_e32 v22, 0
	v_mov_b32_e32 v20, 0
	v_mov_b32_e32 v23, 0
	v_mov_b32_e32 v21, 0
	v_cmp_ne_u16_sdwa s[18:19], v9, v5 src0_sel:BYTE_0 src1_sel:DWORD
	s_and_saveexec_b64 s[16:17], s[18:19]
	s_cbranch_execz .LBB205_973
; %bb.968:                              ;   in Loop: Header=BB205_616 Depth=1
	v_bfrev_b32_e32 v20, 1
	v_mov_b32_e32 v21, 0
	v_cmp_ne_u16_sdwa s[20:21], v9, s28 src0_sel:BYTE_0 src1_sel:DWORD
	s_and_saveexec_b64 s[18:19], s[20:21]
	s_cbranch_execz .LBB205_972
; %bb.969:                              ;   in Loop: Header=BB205_616 Depth=1
	v_bfe_u32 v24, v15, 16, 7
	v_mov_b32_e32 v20, 0x7f800001
	v_mov_b32_e32 v21, 0
	v_cmp_ne_u32_e32 vcc, s29, v24
	s_and_saveexec_b64 s[20:21], vcc
	s_cbranch_execz .LBB205_971
; %bb.970:                              ;   in Loop: Header=BB205_616 Depth=1
	v_and_b32_e32 v25, 7, v9
	v_ffbh_u32_e32 v20, v25
	v_lshrrev_b32_e32 v26, 3, v24
	v_cmp_gt_u32_e32 vcc, 8, v24
	v_min_u32_e32 v24, 32, v20
	v_subrev_u32_e32 v20, 28, v24
	v_lshlrev_b64 v[20:21], v20, v[9:10]
	v_sub_u32_e32 v21, 29, v24
	v_and_b32_e32 v20, 7, v20
	v_cndmask_b32_e32 v21, v26, v21, vcc
	v_cndmask_b32_e32 v20, v25, v20, vcc
	v_bfrev_b32_e32 v24, 60
	v_lshlrev_b32_e32 v20, 20, v20
	v_and_b32_sdwa v9, sext(v9), s30 dst_sel:DWORD dst_unused:UNUSED_PAD src0_sel:BYTE_0 src1_sel:DWORD
	v_lshl_add_u32 v21, v21, 23, v24
	v_or3_b32 v20, v9, v21, v20
	v_mov_b32_e32 v21, v5
.LBB205_971:                            ;   in Loop: Header=BB205_616 Depth=1
	s_or_b64 exec, exec, s[20:21]
.LBB205_972:                            ;   in Loop: Header=BB205_616 Depth=1
	s_or_b64 exec, exec, s[18:19]
.LBB205_973:                            ;   in Loop: Header=BB205_616 Depth=1
	s_or_b64 exec, exec, s[16:17]
	v_cmp_lt_u32_e32 vcc, s31, v15
	s_and_saveexec_b64 s[16:17], vcc
	s_cbranch_execz .LBB205_979
; %bb.974:                              ;   in Loop: Header=BB205_616 Depth=1
	v_mov_b32_e32 v23, v6
	v_cmp_ne_u32_sdwa s[20:21], v15, s28 src0_sel:BYTE_3 src1_sel:DWORD
	v_mov_b32_e32 v22, v5
	s_and_saveexec_b64 s[18:19], s[20:21]
	s_cbranch_execz .LBB205_978
; %bb.975:                              ;   in Loop: Header=BB205_616 Depth=1
	v_bfe_u32 v24, v15, 24, 7
	v_mov_b32_e32 v9, v5
	v_mov_b32_e32 v23, v10
	v_cmp_ne_u32_e32 vcc, s29, v24
	v_mov_b32_e32 v22, v9
	s_and_saveexec_b64 s[20:21], vcc
	s_cbranch_execz .LBB205_977
; %bb.976:                              ;   in Loop: Header=BB205_616 Depth=1
	v_mov_b32_e32 v9, 7
	v_and_b32_sdwa v22, v15, v9 dst_sel:DWORD dst_unused:UNUSED_PAD src0_sel:BYTE_3 src1_sel:DWORD
	v_lshrrev_b32_e32 v9, 3, v24
	v_cmp_gt_u32_e32 vcc, 8, v24
	v_ffbh_u32_e32 v24, v22
	v_min_u32_e32 v25, 32, v24
	v_mov_b32_e32 v23, v5
	v_subrev_u32_e32 v24, 28, v25
	v_lshlrev_b64 v[23:24], v24, v[22:23]
	v_sub_u32_e32 v24, 29, v25
	v_and_b32_e32 v23, 7, v23
	v_cndmask_b32_e32 v22, v22, v23, vcc
	v_mov_b32_e32 v23, 24
	v_cndmask_b32_e32 v9, v9, v24, vcc
	v_lshlrev_b32_sdwa v15, v23, v15 dst_sel:DWORD dst_unused:UNUSED_PAD src0_sel:DWORD src1_sel:BYTE_3
	v_bfrev_b32_e32 v23, 60
	v_lshl_add_u32 v9, v9, 23, v23
	v_and_or_b32 v9, v15, s30, v9
	v_lshlrev_b32_e32 v15, 20, v22
	v_or_b32_e32 v23, v9, v15
	v_mov_b32_e32 v22, v5
.LBB205_977:                            ;   in Loop: Header=BB205_616 Depth=1
	s_or_b64 exec, exec, s[20:21]
.LBB205_978:                            ;   in Loop: Header=BB205_616 Depth=1
	s_or_b64 exec, exec, s[18:19]
.LBB205_979:                            ;   in Loop: Header=BB205_616 Depth=1
	s_or_b64 exec, exec, s[16:17]
	v_or_b32_e32 v9, v19, v17
	v_or_b32_e32 v15, v18, v16
	v_mul_f32_e32 v9, s39, v9
	buffer_store_dword v9, off, s[56:59], 0 offset:404 ; 4-byte Folded Spill
	v_mul_f32_e32 v9, s38, v15
	buffer_store_dword v9, off, s[56:59], 0 offset:428 ; 4-byte Folded Spill
	v_or_b32_e32 v9, v23, v21
	v_or_b32_e32 v15, v22, v20
	v_mul_f32_e32 v15, s38, v15
	v_mul_f32_e32 v9, s39, v9
	buffer_store_dword v15, off, s[56:59], 0 offset:420 ; 4-byte Folded Spill
	buffer_store_dword v9, off, s[56:59], 0 offset:412 ; 4-byte Folded Spill
	s_and_saveexec_b64 s[16:17], s[0:1]
	s_cbranch_execz .LBB205_981
; %bb.980:                              ;   in Loop: Header=BB205_616 Depth=1
	buffer_load_dword v9, off, s[56:59], 0  ; 4-byte Folded Reload
	s_waitcnt vmcnt(0)
	v_cmp_gt_i32_e32 vcc, s33, v9
	buffer_load_dword v9, off, s[56:59], 0 offset:428 ; 4-byte Folded Reload
	s_waitcnt vmcnt(0)
	v_cndmask_b32_e32 v9, 0, v9, vcc
	buffer_store_dword v9, off, s[56:59], 0 offset:428 ; 4-byte Folded Spill
	buffer_load_dword v9, off, s[56:59], 0 offset:404 ; 4-byte Folded Reload
	v_cmp_gt_i32_e32 vcc, s33, v56
	s_waitcnt vmcnt(0)
	v_cndmask_b32_e32 v9, 0, v9, vcc
	buffer_store_dword v9, off, s[56:59], 0 offset:404 ; 4-byte Folded Spill
	buffer_load_dword v9, off, s[56:59], 0 offset:420 ; 4-byte Folded Reload
	v_cmp_gt_i32_e32 vcc, s33, v63
	;; [unrolled: 5-line block ×3, first 2 shown]
	s_waitcnt vmcnt(0)
	v_cndmask_b32_e32 v9, 0, v9, vcc
	buffer_store_dword v9, off, s[56:59], 0 offset:412 ; 4-byte Folded Spill
.LBB205_981:                            ;   in Loop: Header=BB205_616 Depth=1
	s_or_b64 exec, exec, s[16:17]
	global_load_dword v15, v[11:12], off offset:3584
	v_mov_b32_e32 v18, 0
	v_mov_b32_e32 v16, 0
	;; [unrolled: 1-line block ×4, first 2 shown]
	s_waitcnt vmcnt(0)
	v_cmp_ne_u16_sdwa s[18:19], v15, v5 src0_sel:BYTE_0 src1_sel:DWORD
	s_and_saveexec_b64 s[16:17], s[18:19]
	s_cbranch_execz .LBB205_987
; %bb.982:                              ;   in Loop: Header=BB205_616 Depth=1
	v_bfrev_b32_e32 v16, 1
	v_mov_b32_e32 v17, 0
	v_cmp_ne_u16_sdwa s[20:21], v15, s28 src0_sel:BYTE_0 src1_sel:DWORD
	s_and_saveexec_b64 s[18:19], s[20:21]
	s_cbranch_execz .LBB205_986
; %bb.983:                              ;   in Loop: Header=BB205_616 Depth=1
	v_and_b32_e32 v9, 0x7f, v15
	v_mov_b32_e32 v16, 0x7f800001
	v_mov_b32_e32 v17, 0
	v_cmp_ne_u32_e32 vcc, s29, v9
	s_and_saveexec_b64 s[20:21], vcc
	s_cbranch_execz .LBB205_985
; %bb.984:                              ;   in Loop: Header=BB205_616 Depth=1
	v_and_b32_e32 v20, 7, v15
	v_lshrrev_b32_e32 v21, 3, v9
	v_cmp_gt_u32_e32 vcc, 8, v9
	v_ffbh_u32_e32 v9, v20
	v_min_u32_e32 v9, 32, v9
	v_subrev_u32_e32 v16, 28, v9
	v_lshlrev_b64 v[16:17], v16, v[15:16]
	v_sub_u32_e32 v9, 29, v9
	v_and_b32_e32 v16, 7, v16
	v_cndmask_b32_e32 v9, v21, v9, vcc
	v_cndmask_b32_e32 v16, v20, v16, vcc
	v_bfrev_b32_e32 v20, 60
	v_lshlrev_b32_e32 v16, 20, v16
	v_and_b32_sdwa v17, sext(v15), s30 dst_sel:DWORD dst_unused:UNUSED_PAD src0_sel:BYTE_0 src1_sel:DWORD
	v_lshl_add_u32 v9, v9, 23, v20
	v_or3_b32 v16, v17, v9, v16
	v_mov_b32_e32 v17, v5
.LBB205_985:                            ;   in Loop: Header=BB205_616 Depth=1
	s_or_b64 exec, exec, s[20:21]
.LBB205_986:                            ;   in Loop: Header=BB205_616 Depth=1
	s_or_b64 exec, exec, s[18:19]
.LBB205_987:                            ;   in Loop: Header=BB205_616 Depth=1
	s_or_b64 exec, exec, s[16:17]
	v_cmp_ne_u16_sdwa s[18:19], v15, v5 src0_sel:BYTE_1 src1_sel:DWORD
	s_and_saveexec_b64 s[16:17], s[18:19]
	s_cbranch_execz .LBB205_993
; %bb.988:                              ;   in Loop: Header=BB205_616 Depth=1
	v_mov_b32_e32 v19, v6
	v_cmp_ne_u16_sdwa s[20:21], v15, s28 src0_sel:BYTE_1 src1_sel:DWORD
	v_mov_b32_e32 v18, v5
	s_and_saveexec_b64 s[18:19], s[20:21]
	s_cbranch_execz .LBB205_992
; %bb.989:                              ;   in Loop: Header=BB205_616 Depth=1
	v_and_b32_sdwa v20, v15, s29 dst_sel:DWORD dst_unused:UNUSED_PAD src0_sel:BYTE_1 src1_sel:DWORD
	v_mov_b32_e32 v9, v5
	v_mov_b32_e32 v19, v10
	v_cmp_ne_u32_e32 vcc, s29, v20
	v_mov_b32_e32 v18, v9
	s_and_saveexec_b64 s[20:21], vcc
	s_cbranch_execz .LBB205_991
; %bb.990:                              ;   in Loop: Header=BB205_616 Depth=1
	v_mov_b32_e32 v9, 7
	v_and_b32_sdwa v18, v15, v9 dst_sel:DWORD dst_unused:UNUSED_PAD src0_sel:BYTE_1 src1_sel:DWORD
	v_lshrrev_b32_e32 v9, 3, v20
	v_cmp_gt_u32_e32 vcc, 8, v20
	v_ffbh_u32_e32 v20, v18
	v_min_u32_e32 v21, 32, v20
	v_mov_b32_e32 v19, v5
	v_subrev_u32_e32 v20, 28, v21
	v_lshlrev_b64 v[19:20], v20, v[18:19]
	v_sub_u32_e32 v20, 29, v21
	v_and_b32_e32 v19, 7, v19
	v_cndmask_b32_e32 v9, v9, v20, vcc
	v_bfrev_b32_e32 v20, 60
	v_cndmask_b32_e32 v18, v18, v19, vcc
	v_lshlrev_b32_e32 v19, 16, v15
	v_lshl_add_u32 v9, v9, 23, v20
	v_and_or_b32 v9, v19, s30, v9
	v_lshlrev_b32_e32 v18, 20, v18
	v_or_b32_e32 v19, v9, v18
	v_mov_b32_e32 v18, v5
.LBB205_991:                            ;   in Loop: Header=BB205_616 Depth=1
	s_or_b64 exec, exec, s[20:21]
.LBB205_992:                            ;   in Loop: Header=BB205_616 Depth=1
	s_or_b64 exec, exec, s[18:19]
.LBB205_993:                            ;   in Loop: Header=BB205_616 Depth=1
	s_or_b64 exec, exec, s[16:17]
	v_lshrrev_b32_e32 v9, 16, v15
	v_mov_b32_e32 v22, 0
	v_mov_b32_e32 v20, 0
	;; [unrolled: 1-line block ×4, first 2 shown]
	v_cmp_ne_u16_sdwa s[18:19], v9, v5 src0_sel:BYTE_0 src1_sel:DWORD
	s_and_saveexec_b64 s[16:17], s[18:19]
	s_cbranch_execz .LBB205_999
; %bb.994:                              ;   in Loop: Header=BB205_616 Depth=1
	v_bfrev_b32_e32 v20, 1
	v_mov_b32_e32 v21, 0
	v_cmp_ne_u16_sdwa s[20:21], v9, s28 src0_sel:BYTE_0 src1_sel:DWORD
	s_and_saveexec_b64 s[18:19], s[20:21]
	s_cbranch_execz .LBB205_998
; %bb.995:                              ;   in Loop: Header=BB205_616 Depth=1
	v_bfe_u32 v24, v15, 16, 7
	v_mov_b32_e32 v20, 0x7f800001
	v_mov_b32_e32 v21, 0
	v_cmp_ne_u32_e32 vcc, s29, v24
	s_and_saveexec_b64 s[20:21], vcc
	s_cbranch_execz .LBB205_997
; %bb.996:                              ;   in Loop: Header=BB205_616 Depth=1
	v_and_b32_e32 v25, 7, v9
	v_ffbh_u32_e32 v20, v25
	v_lshrrev_b32_e32 v26, 3, v24
	v_cmp_gt_u32_e32 vcc, 8, v24
	v_min_u32_e32 v24, 32, v20
	v_subrev_u32_e32 v20, 28, v24
	v_lshlrev_b64 v[20:21], v20, v[9:10]
	v_sub_u32_e32 v21, 29, v24
	v_and_b32_e32 v20, 7, v20
	v_cndmask_b32_e32 v21, v26, v21, vcc
	v_cndmask_b32_e32 v20, v25, v20, vcc
	v_bfrev_b32_e32 v24, 60
	v_lshlrev_b32_e32 v20, 20, v20
	v_and_b32_sdwa v9, sext(v9), s30 dst_sel:DWORD dst_unused:UNUSED_PAD src0_sel:BYTE_0 src1_sel:DWORD
	v_lshl_add_u32 v21, v21, 23, v24
	v_or3_b32 v20, v9, v21, v20
	v_mov_b32_e32 v21, v5
.LBB205_997:                            ;   in Loop: Header=BB205_616 Depth=1
	s_or_b64 exec, exec, s[20:21]
.LBB205_998:                            ;   in Loop: Header=BB205_616 Depth=1
	s_or_b64 exec, exec, s[18:19]
.LBB205_999:                            ;   in Loop: Header=BB205_616 Depth=1
	s_or_b64 exec, exec, s[16:17]
	v_cmp_lt_u32_e32 vcc, s31, v15
	s_and_saveexec_b64 s[16:17], vcc
	s_cbranch_execz .LBB205_1005
; %bb.1000:                             ;   in Loop: Header=BB205_616 Depth=1
	v_mov_b32_e32 v23, v6
	v_cmp_ne_u32_sdwa s[20:21], v15, s28 src0_sel:BYTE_3 src1_sel:DWORD
	v_mov_b32_e32 v22, v5
	s_and_saveexec_b64 s[18:19], s[20:21]
	s_cbranch_execz .LBB205_1004
; %bb.1001:                             ;   in Loop: Header=BB205_616 Depth=1
	v_bfe_u32 v24, v15, 24, 7
	v_mov_b32_e32 v9, v5
	v_mov_b32_e32 v23, v10
	v_cmp_ne_u32_e32 vcc, s29, v24
	v_mov_b32_e32 v22, v9
	s_and_saveexec_b64 s[20:21], vcc
	s_cbranch_execz .LBB205_1003
; %bb.1002:                             ;   in Loop: Header=BB205_616 Depth=1
	v_mov_b32_e32 v9, 7
	v_and_b32_sdwa v22, v15, v9 dst_sel:DWORD dst_unused:UNUSED_PAD src0_sel:BYTE_3 src1_sel:DWORD
	v_lshrrev_b32_e32 v9, 3, v24
	v_cmp_gt_u32_e32 vcc, 8, v24
	v_ffbh_u32_e32 v24, v22
	v_min_u32_e32 v25, 32, v24
	v_mov_b32_e32 v23, v5
	v_subrev_u32_e32 v24, 28, v25
	v_lshlrev_b64 v[23:24], v24, v[22:23]
	v_sub_u32_e32 v24, 29, v25
	v_and_b32_e32 v23, 7, v23
	v_cndmask_b32_e32 v22, v22, v23, vcc
	v_mov_b32_e32 v23, 24
	v_cndmask_b32_e32 v9, v9, v24, vcc
	v_lshlrev_b32_sdwa v15, v23, v15 dst_sel:DWORD dst_unused:UNUSED_PAD src0_sel:DWORD src1_sel:BYTE_3
	v_bfrev_b32_e32 v23, 60
	v_lshl_add_u32 v9, v9, 23, v23
	v_and_or_b32 v9, v15, s30, v9
	v_lshlrev_b32_e32 v15, 20, v22
	v_or_b32_e32 v23, v9, v15
	v_mov_b32_e32 v22, v5
.LBB205_1003:                           ;   in Loop: Header=BB205_616 Depth=1
	s_or_b64 exec, exec, s[20:21]
.LBB205_1004:                           ;   in Loop: Header=BB205_616 Depth=1
	s_or_b64 exec, exec, s[18:19]
.LBB205_1005:                           ;   in Loop: Header=BB205_616 Depth=1
	s_or_b64 exec, exec, s[16:17]
	v_or_b32_e32 v9, v19, v17
	v_or_b32_e32 v15, v18, v16
	v_mul_f32_e32 v16, s39, v9
	v_mul_f32_e32 v61, s38, v15
	v_or_b32_e32 v9, v23, v21
	v_or_b32_e32 v15, v22, v20
	v_mov_b32_e32 v23, v16
	v_mul_f32_e32 v53, s38, v15
	v_mul_f32_e32 v62, s39, v9
	s_and_saveexec_b64 s[16:17], s[0:1]
	s_cbranch_execz .LBB205_1007
; %bb.1006:                             ;   in Loop: Header=BB205_616 Depth=1
	buffer_load_dword v9, off, s[56:59], 0  ; 4-byte Folded Reload
	s_waitcnt vmcnt(0)
	v_cmp_gt_i32_e32 vcc, s33, v9
	v_cndmask_b32_e32 v61, 0, v61, vcc
	v_cmp_gt_i32_e32 vcc, s33, v56
	v_cndmask_b32_e32 v23, 0, v23, vcc
	;; [unrolled: 2-line block ×4, first 2 shown]
.LBB205_1007:                           ;   in Loop: Header=BB205_616 Depth=1
	s_or_b64 exec, exec, s[16:17]
	buffer_load_dword v9, off, s[56:59], 0 offset:656 ; 4-byte Folded Reload
	v_mov_b32_e32 v16, 0
	v_mov_b32_e32 v17, 0
	s_waitcnt vmcnt(0)
	v_add_co_u32_e32 v13, vcc, v13, v9
	v_addc_co_u32_e32 v14, vcc, 0, v14, vcc
	global_load_dword v13, v[13:14], off
	v_mov_b32_e32 v14, 0
	v_mov_b32_e32 v15, 0
	s_waitcnt vmcnt(0)
	v_cmp_ne_u16_sdwa s[18:19], v13, v5 src0_sel:BYTE_0 src1_sel:DWORD
	s_and_saveexec_b64 s[16:17], s[18:19]
	s_cbranch_execz .LBB205_1013
; %bb.1008:                             ;   in Loop: Header=BB205_616 Depth=1
	v_bfrev_b32_e32 v14, 1
	v_mov_b32_e32 v15, 0
	v_cmp_ne_u16_sdwa s[20:21], v13, s28 src0_sel:BYTE_0 src1_sel:DWORD
	s_and_saveexec_b64 s[18:19], s[20:21]
	s_cbranch_execz .LBB205_1012
; %bb.1009:                             ;   in Loop: Header=BB205_616 Depth=1
	v_and_b32_e32 v9, 0x7f, v13
	v_mov_b32_e32 v14, 0x7f800001
	v_mov_b32_e32 v15, 0
	v_cmp_ne_u32_e32 vcc, s29, v9
	s_and_saveexec_b64 s[20:21], vcc
	s_cbranch_execz .LBB205_1011
; %bb.1010:                             ;   in Loop: Header=BB205_616 Depth=1
	v_and_b32_e32 v18, 7, v13
	v_lshrrev_b32_e32 v19, 3, v9
	v_cmp_gt_u32_e32 vcc, 8, v9
	v_ffbh_u32_e32 v9, v18
	v_min_u32_e32 v9, 32, v9
	v_subrev_u32_e32 v14, 28, v9
	v_lshlrev_b64 v[14:15], v14, v[13:14]
	v_sub_u32_e32 v9, 29, v9
	v_and_b32_e32 v14, 7, v14
	v_cndmask_b32_e32 v9, v19, v9, vcc
	v_cndmask_b32_e32 v14, v18, v14, vcc
	v_bfrev_b32_e32 v18, 60
	v_lshlrev_b32_e32 v14, 20, v14
	v_and_b32_sdwa v15, sext(v13), s30 dst_sel:DWORD dst_unused:UNUSED_PAD src0_sel:BYTE_0 src1_sel:DWORD
	v_lshl_add_u32 v9, v9, 23, v18
	v_or3_b32 v14, v15, v9, v14
	v_mov_b32_e32 v15, v5
.LBB205_1011:                           ;   in Loop: Header=BB205_616 Depth=1
	s_or_b64 exec, exec, s[20:21]
.LBB205_1012:                           ;   in Loop: Header=BB205_616 Depth=1
	s_or_b64 exec, exec, s[18:19]
.LBB205_1013:                           ;   in Loop: Header=BB205_616 Depth=1
	s_or_b64 exec, exec, s[16:17]
	v_cmp_ne_u16_sdwa s[18:19], v13, v5 src0_sel:BYTE_1 src1_sel:DWORD
	s_and_saveexec_b64 s[16:17], s[18:19]
	s_cbranch_execz .LBB205_1019
; %bb.1014:                             ;   in Loop: Header=BB205_616 Depth=1
	v_mov_b32_e32 v17, v6
	v_cmp_ne_u16_sdwa s[20:21], v13, s28 src0_sel:BYTE_1 src1_sel:DWORD
	v_mov_b32_e32 v16, v5
	s_and_saveexec_b64 s[18:19], s[20:21]
	s_cbranch_execz .LBB205_1018
; %bb.1015:                             ;   in Loop: Header=BB205_616 Depth=1
	v_and_b32_sdwa v18, v13, s29 dst_sel:DWORD dst_unused:UNUSED_PAD src0_sel:BYTE_1 src1_sel:DWORD
	v_mov_b32_e32 v9, v5
	v_mov_b32_e32 v17, v10
	v_cmp_ne_u32_e32 vcc, s29, v18
	v_mov_b32_e32 v16, v9
	s_and_saveexec_b64 s[20:21], vcc
	s_cbranch_execz .LBB205_1017
; %bb.1016:                             ;   in Loop: Header=BB205_616 Depth=1
	v_mov_b32_e32 v9, 7
	v_and_b32_sdwa v16, v13, v9 dst_sel:DWORD dst_unused:UNUSED_PAD src0_sel:BYTE_1 src1_sel:DWORD
	v_lshrrev_b32_e32 v9, 3, v18
	v_cmp_gt_u32_e32 vcc, 8, v18
	v_ffbh_u32_e32 v18, v16
	v_min_u32_e32 v19, 32, v18
	v_mov_b32_e32 v17, v5
	v_subrev_u32_e32 v18, 28, v19
	v_lshlrev_b64 v[17:18], v18, v[16:17]
	v_sub_u32_e32 v18, 29, v19
	v_and_b32_e32 v17, 7, v17
	v_cndmask_b32_e32 v9, v9, v18, vcc
	v_bfrev_b32_e32 v18, 60
	v_cndmask_b32_e32 v16, v16, v17, vcc
	v_lshlrev_b32_e32 v17, 16, v13
	v_lshl_add_u32 v9, v9, 23, v18
	v_and_or_b32 v9, v17, s30, v9
	v_lshlrev_b32_e32 v16, 20, v16
	v_or_b32_e32 v17, v9, v16
	v_mov_b32_e32 v16, v5
.LBB205_1017:                           ;   in Loop: Header=BB205_616 Depth=1
	s_or_b64 exec, exec, s[20:21]
.LBB205_1018:                           ;   in Loop: Header=BB205_616 Depth=1
	s_or_b64 exec, exec, s[18:19]
.LBB205_1019:                           ;   in Loop: Header=BB205_616 Depth=1
	s_or_b64 exec, exec, s[16:17]
	v_lshrrev_b32_e32 v9, 16, v13
	v_mov_b32_e32 v20, 0
	v_mov_b32_e32 v18, 0
	;; [unrolled: 1-line block ×4, first 2 shown]
	v_cmp_ne_u16_sdwa s[18:19], v9, v5 src0_sel:BYTE_0 src1_sel:DWORD
	s_and_saveexec_b64 s[16:17], s[18:19]
	s_cbranch_execz .LBB205_1025
; %bb.1020:                             ;   in Loop: Header=BB205_616 Depth=1
	v_bfrev_b32_e32 v18, 1
	v_mov_b32_e32 v19, 0
	v_cmp_ne_u16_sdwa s[20:21], v9, s28 src0_sel:BYTE_0 src1_sel:DWORD
	s_and_saveexec_b64 s[18:19], s[20:21]
	s_cbranch_execz .LBB205_1024
; %bb.1021:                             ;   in Loop: Header=BB205_616 Depth=1
	v_bfe_u32 v24, v13, 16, 7
	v_mov_b32_e32 v18, 0x7f800001
	v_mov_b32_e32 v19, 0
	v_cmp_ne_u32_e32 vcc, s29, v24
	s_and_saveexec_b64 s[20:21], vcc
	s_cbranch_execz .LBB205_1023
; %bb.1022:                             ;   in Loop: Header=BB205_616 Depth=1
	v_and_b32_e32 v25, 7, v9
	v_ffbh_u32_e32 v18, v25
	v_lshrrev_b32_e32 v26, 3, v24
	v_cmp_gt_u32_e32 vcc, 8, v24
	v_min_u32_e32 v24, 32, v18
	v_subrev_u32_e32 v18, 28, v24
	v_lshlrev_b64 v[18:19], v18, v[9:10]
	v_sub_u32_e32 v19, 29, v24
	v_and_b32_e32 v18, 7, v18
	v_cndmask_b32_e32 v19, v26, v19, vcc
	v_cndmask_b32_e32 v18, v25, v18, vcc
	v_bfrev_b32_e32 v22, 60
	v_lshlrev_b32_e32 v18, 20, v18
	v_and_b32_sdwa v9, sext(v9), s30 dst_sel:DWORD dst_unused:UNUSED_PAD src0_sel:BYTE_0 src1_sel:DWORD
	v_lshl_add_u32 v19, v19, 23, v22
	v_or3_b32 v18, v9, v19, v18
	v_mov_b32_e32 v19, v5
.LBB205_1023:                           ;   in Loop: Header=BB205_616 Depth=1
	s_or_b64 exec, exec, s[20:21]
.LBB205_1024:                           ;   in Loop: Header=BB205_616 Depth=1
	s_or_b64 exec, exec, s[18:19]
.LBB205_1025:                           ;   in Loop: Header=BB205_616 Depth=1
	s_or_b64 exec, exec, s[16:17]
	v_cmp_lt_u32_e32 vcc, s31, v13
	s_and_saveexec_b64 s[16:17], vcc
	s_cbranch_execz .LBB205_1031
; %bb.1026:                             ;   in Loop: Header=BB205_616 Depth=1
	v_mov_b32_e32 v21, v6
	v_cmp_ne_u32_sdwa s[20:21], v13, s28 src0_sel:BYTE_3 src1_sel:DWORD
	v_mov_b32_e32 v20, v5
	s_and_saveexec_b64 s[18:19], s[20:21]
	s_cbranch_execz .LBB205_1030
; %bb.1027:                             ;   in Loop: Header=BB205_616 Depth=1
	v_bfe_u32 v24, v13, 24, 7
	v_mov_b32_e32 v9, v5
	v_mov_b32_e32 v21, v10
	v_cmp_ne_u32_e32 vcc, s29, v24
	v_mov_b32_e32 v20, v9
	s_and_saveexec_b64 s[20:21], vcc
	s_cbranch_execz .LBB205_1029
; %bb.1028:                             ;   in Loop: Header=BB205_616 Depth=1
	v_mov_b32_e32 v9, 7
	v_and_b32_sdwa v20, v13, v9 dst_sel:DWORD dst_unused:UNUSED_PAD src0_sel:BYTE_3 src1_sel:DWORD
	v_lshrrev_b32_e32 v9, 3, v24
	v_cmp_gt_u32_e32 vcc, 8, v24
	v_ffbh_u32_e32 v24, v20
	v_min_u32_e32 v26, 32, v24
	v_mov_b32_e32 v21, v5
	v_subrev_u32_e32 v24, 28, v26
	v_lshlrev_b64 v[24:25], v24, v[20:21]
	v_sub_u32_e32 v21, 29, v26
	v_cndmask_b32_e32 v9, v9, v21, vcc
	v_mov_b32_e32 v21, 24
	v_and_b32_e32 v24, 7, v24
	v_lshlrev_b32_sdwa v13, v21, v13 dst_sel:DWORD dst_unused:UNUSED_PAD src0_sel:DWORD src1_sel:BYTE_3
	v_bfrev_b32_e32 v21, 60
	v_cndmask_b32_e32 v20, v20, v24, vcc
	v_lshl_add_u32 v9, v9, 23, v21
	v_and_or_b32 v9, v13, s30, v9
	v_lshlrev_b32_e32 v13, 20, v20
	v_or_b32_e32 v21, v9, v13
	v_mov_b32_e32 v20, v5
.LBB205_1029:                           ;   in Loop: Header=BB205_616 Depth=1
	s_or_b64 exec, exec, s[20:21]
.LBB205_1030:                           ;   in Loop: Header=BB205_616 Depth=1
	s_or_b64 exec, exec, s[18:19]
.LBB205_1031:                           ;   in Loop: Header=BB205_616 Depth=1
	s_or_b64 exec, exec, s[16:17]
	v_or_b32_e32 v9, v17, v15
	v_or_b32_e32 v13, v16, v14
	v_mul_f32_e32 v59, s39, v9
	v_mul_f32_e32 v26, s38, v13
	v_or_b32_e32 v9, v21, v19
	v_or_b32_e32 v13, v20, v18
	v_mul_f32_e32 v54, s38, v13
	v_mul_f32_e32 v52, s39, v9
	s_and_saveexec_b64 s[16:17], s[0:1]
	s_cbranch_execz .LBB205_1033
; %bb.1032:                             ;   in Loop: Header=BB205_616 Depth=1
	buffer_load_dword v9, off, s[56:59], 0  ; 4-byte Folded Reload
	s_waitcnt vmcnt(0)
	v_cmp_gt_i32_e32 vcc, s33, v9
	v_cndmask_b32_e32 v26, 0, v26, vcc
	v_cmp_gt_i32_e32 vcc, s33, v56
	v_cndmask_b32_e32 v59, 0, v59, vcc
	v_cmp_gt_i32_e32 vcc, s33, v63
	v_cndmask_b32_e32 v54, 0, v54, vcc
	v_cmp_gt_i32_e32 vcc, s33, v0
	v_cndmask_b32_e32 v52, 0, v52, vcc
.LBB205_1033:                           ;   in Loop: Header=BB205_616 Depth=1
	s_or_b64 exec, exec, s[16:17]
	v_add_co_u32_e32 v13, vcc, 0x1000, v11
	v_addc_co_u32_e32 v14, vcc, 0, v12, vcc
	global_load_dword v13, v[13:14], off
	v_mov_b32_e32 v16, 0
	v_mov_b32_e32 v14, 0
	;; [unrolled: 1-line block ×4, first 2 shown]
	s_waitcnt vmcnt(0)
	v_cmp_ne_u16_sdwa s[18:19], v13, v5 src0_sel:BYTE_0 src1_sel:DWORD
	s_and_saveexec_b64 s[16:17], s[18:19]
	s_cbranch_execz .LBB205_1039
; %bb.1034:                             ;   in Loop: Header=BB205_616 Depth=1
	v_bfrev_b32_e32 v14, 1
	v_mov_b32_e32 v15, 0
	v_cmp_ne_u16_sdwa s[20:21], v13, s28 src0_sel:BYTE_0 src1_sel:DWORD
	s_and_saveexec_b64 s[18:19], s[20:21]
	s_cbranch_execz .LBB205_1038
; %bb.1035:                             ;   in Loop: Header=BB205_616 Depth=1
	v_and_b32_e32 v9, 0x7f, v13
	v_mov_b32_e32 v14, 0x7f800001
	v_mov_b32_e32 v15, 0
	v_cmp_ne_u32_e32 vcc, s29, v9
	s_and_saveexec_b64 s[20:21], vcc
	s_cbranch_execz .LBB205_1037
; %bb.1036:                             ;   in Loop: Header=BB205_616 Depth=1
	v_and_b32_e32 v18, 7, v13
	v_lshrrev_b32_e32 v19, 3, v9
	v_cmp_gt_u32_e32 vcc, 8, v9
	v_ffbh_u32_e32 v9, v18
	v_min_u32_e32 v9, 32, v9
	v_subrev_u32_e32 v14, 28, v9
	v_lshlrev_b64 v[14:15], v14, v[13:14]
	v_sub_u32_e32 v9, 29, v9
	v_and_b32_e32 v14, 7, v14
	v_cndmask_b32_e32 v9, v19, v9, vcc
	v_cndmask_b32_e32 v14, v18, v14, vcc
	v_bfrev_b32_e32 v18, 60
	v_lshlrev_b32_e32 v14, 20, v14
	v_and_b32_sdwa v15, sext(v13), s30 dst_sel:DWORD dst_unused:UNUSED_PAD src0_sel:BYTE_0 src1_sel:DWORD
	v_lshl_add_u32 v9, v9, 23, v18
	v_or3_b32 v14, v15, v9, v14
	v_mov_b32_e32 v15, v5
.LBB205_1037:                           ;   in Loop: Header=BB205_616 Depth=1
	s_or_b64 exec, exec, s[20:21]
.LBB205_1038:                           ;   in Loop: Header=BB205_616 Depth=1
	s_or_b64 exec, exec, s[18:19]
.LBB205_1039:                           ;   in Loop: Header=BB205_616 Depth=1
	s_or_b64 exec, exec, s[16:17]
	v_cmp_ne_u16_sdwa s[18:19], v13, v5 src0_sel:BYTE_1 src1_sel:DWORD
	s_and_saveexec_b64 s[16:17], s[18:19]
	s_cbranch_execz .LBB205_1045
; %bb.1040:                             ;   in Loop: Header=BB205_616 Depth=1
	v_mov_b32_e32 v17, v6
	v_cmp_ne_u16_sdwa s[20:21], v13, s28 src0_sel:BYTE_1 src1_sel:DWORD
	v_mov_b32_e32 v16, v5
	s_and_saveexec_b64 s[18:19], s[20:21]
	s_cbranch_execz .LBB205_1044
; %bb.1041:                             ;   in Loop: Header=BB205_616 Depth=1
	v_and_b32_sdwa v18, v13, s29 dst_sel:DWORD dst_unused:UNUSED_PAD src0_sel:BYTE_1 src1_sel:DWORD
	v_mov_b32_e32 v9, v5
	v_mov_b32_e32 v17, v10
	v_cmp_ne_u32_e32 vcc, s29, v18
	v_mov_b32_e32 v16, v9
	s_and_saveexec_b64 s[20:21], vcc
	s_cbranch_execz .LBB205_1043
; %bb.1042:                             ;   in Loop: Header=BB205_616 Depth=1
	v_mov_b32_e32 v9, 7
	v_and_b32_sdwa v16, v13, v9 dst_sel:DWORD dst_unused:UNUSED_PAD src0_sel:BYTE_1 src1_sel:DWORD
	v_lshrrev_b32_e32 v9, 3, v18
	v_cmp_gt_u32_e32 vcc, 8, v18
	v_ffbh_u32_e32 v18, v16
	v_min_u32_e32 v19, 32, v18
	v_mov_b32_e32 v17, v5
	v_subrev_u32_e32 v18, 28, v19
	v_lshlrev_b64 v[17:18], v18, v[16:17]
	v_sub_u32_e32 v18, 29, v19
	v_and_b32_e32 v17, 7, v17
	v_cndmask_b32_e32 v9, v9, v18, vcc
	v_bfrev_b32_e32 v18, 60
	v_cndmask_b32_e32 v16, v16, v17, vcc
	v_lshlrev_b32_e32 v17, 16, v13
	v_lshl_add_u32 v9, v9, 23, v18
	v_and_or_b32 v9, v17, s30, v9
	v_lshlrev_b32_e32 v16, 20, v16
	v_or_b32_e32 v17, v9, v16
	v_mov_b32_e32 v16, v5
.LBB205_1043:                           ;   in Loop: Header=BB205_616 Depth=1
	s_or_b64 exec, exec, s[20:21]
.LBB205_1044:                           ;   in Loop: Header=BB205_616 Depth=1
	s_or_b64 exec, exec, s[18:19]
.LBB205_1045:                           ;   in Loop: Header=BB205_616 Depth=1
	s_or_b64 exec, exec, s[16:17]
	v_mov_b32_e32 v20, 0
	v_mov_b32_e32 v18, 0
	v_lshrrev_b32_e32 v9, 16, v13
	v_mov_b32_e32 v21, 0
	v_mov_b32_e32 v19, 0
	v_cmp_ne_u16_sdwa s[18:19], v9, v5 src0_sel:BYTE_0 src1_sel:DWORD
	s_mov_b64 s[16:17], exec
	s_and_b64 s[18:19], s[16:17], s[18:19]
	buffer_store_dword v26, off, s[56:59], 0 offset:580 ; 4-byte Folded Spill
	s_mov_b64 exec, s[18:19]
	s_cbranch_execz .LBB205_1051
; %bb.1046:                             ;   in Loop: Header=BB205_616 Depth=1
	v_bfrev_b32_e32 v18, 1
	v_mov_b32_e32 v19, 0
	v_cmp_ne_u16_sdwa s[20:21], v9, s28 src0_sel:BYTE_0 src1_sel:DWORD
	s_and_saveexec_b64 s[18:19], s[20:21]
	s_cbranch_execz .LBB205_1050
; %bb.1047:                             ;   in Loop: Header=BB205_616 Depth=1
	v_bfe_u32 v24, v13, 16, 7
	v_mov_b32_e32 v18, 0x7f800001
	v_mov_b32_e32 v19, 0
	v_cmp_ne_u32_e32 vcc, s29, v24
	s_and_saveexec_b64 s[20:21], vcc
	s_cbranch_execz .LBB205_1049
; %bb.1048:                             ;   in Loop: Header=BB205_616 Depth=1
	v_and_b32_e32 v25, 7, v9
	v_ffbh_u32_e32 v18, v25
	v_lshrrev_b32_e32 v26, 3, v24
	v_cmp_gt_u32_e32 vcc, 8, v24
	v_min_u32_e32 v24, 32, v18
	v_subrev_u32_e32 v18, 28, v24
	v_lshlrev_b64 v[18:19], v18, v[9:10]
	v_sub_u32_e32 v19, 29, v24
	v_cndmask_b32_e32 v19, v26, v19, vcc
	buffer_load_dword v26, off, s[56:59], 0 offset:580 ; 4-byte Folded Reload
	v_and_b32_e32 v18, 7, v18
	v_cndmask_b32_e32 v18, v25, v18, vcc
	v_bfrev_b32_e32 v22, 60
	v_lshlrev_b32_e32 v18, 20, v18
	v_and_b32_sdwa v9, sext(v9), s30 dst_sel:DWORD dst_unused:UNUSED_PAD src0_sel:BYTE_0 src1_sel:DWORD
	v_lshl_add_u32 v19, v19, 23, v22
	v_or3_b32 v18, v9, v19, v18
	v_mov_b32_e32 v19, v5
.LBB205_1049:                           ;   in Loop: Header=BB205_616 Depth=1
	s_or_b64 exec, exec, s[20:21]
.LBB205_1050:                           ;   in Loop: Header=BB205_616 Depth=1
	s_or_b64 exec, exec, s[18:19]
.LBB205_1051:                           ;   in Loop: Header=BB205_616 Depth=1
	s_or_b64 exec, exec, s[16:17]
	v_cmp_lt_u32_e32 vcc, s31, v13
	s_and_saveexec_b64 s[16:17], vcc
	s_cbranch_execz .LBB205_1057
; %bb.1052:                             ;   in Loop: Header=BB205_616 Depth=1
	v_mov_b32_e32 v21, v6
	v_cmp_ne_u32_sdwa s[20:21], v13, s28 src0_sel:BYTE_3 src1_sel:DWORD
	v_mov_b32_e32 v20, v5
	s_and_saveexec_b64 s[18:19], s[20:21]
	s_cbranch_execz .LBB205_1056
; %bb.1053:                             ;   in Loop: Header=BB205_616 Depth=1
	v_bfe_u32 v24, v13, 24, 7
	v_mov_b32_e32 v9, v5
	v_mov_b32_e32 v21, v10
	v_cmp_ne_u32_e32 vcc, s29, v24
	v_mov_b32_e32 v20, v9
	s_and_saveexec_b64 s[20:21], vcc
	s_cbranch_execz .LBB205_1055
; %bb.1054:                             ;   in Loop: Header=BB205_616 Depth=1
	v_mov_b32_e32 v9, 7
	v_and_b32_sdwa v20, v13, v9 dst_sel:DWORD dst_unused:UNUSED_PAD src0_sel:BYTE_3 src1_sel:DWORD
	v_lshrrev_b32_e32 v9, 3, v24
	v_cmp_gt_u32_e32 vcc, 8, v24
	v_ffbh_u32_e32 v24, v20
	s_waitcnt vmcnt(0)
	v_min_u32_e32 v26, 32, v24
	v_mov_b32_e32 v21, v5
	v_subrev_u32_e32 v24, 28, v26
	v_lshlrev_b64 v[24:25], v24, v[20:21]
	v_sub_u32_e32 v21, 29, v26
	buffer_load_dword v26, off, s[56:59], 0 offset:580 ; 4-byte Folded Reload
	v_cndmask_b32_e32 v9, v9, v21, vcc
	v_mov_b32_e32 v21, 24
	v_and_b32_e32 v24, 7, v24
	v_lshlrev_b32_sdwa v13, v21, v13 dst_sel:DWORD dst_unused:UNUSED_PAD src0_sel:DWORD src1_sel:BYTE_3
	v_bfrev_b32_e32 v21, 60
	v_cndmask_b32_e32 v20, v20, v24, vcc
	v_lshl_add_u32 v9, v9, 23, v21
	v_and_or_b32 v9, v13, s30, v9
	v_lshlrev_b32_e32 v13, 20, v20
	v_or_b32_e32 v21, v9, v13
	v_mov_b32_e32 v20, v5
.LBB205_1055:                           ;   in Loop: Header=BB205_616 Depth=1
	s_or_b64 exec, exec, s[20:21]
.LBB205_1056:                           ;   in Loop: Header=BB205_616 Depth=1
	s_or_b64 exec, exec, s[18:19]
.LBB205_1057:                           ;   in Loop: Header=BB205_616 Depth=1
	s_or_b64 exec, exec, s[16:17]
	v_or_b32_e32 v9, v17, v15
	v_or_b32_e32 v13, v16, v14
	v_mul_f32_e32 v22, s39, v9
	v_mul_f32_e32 v9, s38, v13
	buffer_store_dword v9, off, s[56:59], 0 offset:452 ; 4-byte Folded Spill
	v_or_b32_e32 v9, v21, v19
	v_or_b32_e32 v13, v20, v18
	v_mul_f32_e32 v13, s38, v13
	v_mul_f32_e32 v9, s39, v9
	buffer_store_dword v13, off, s[56:59], 0 offset:444 ; 4-byte Folded Spill
	buffer_store_dword v9, off, s[56:59], 0 offset:436 ; 4-byte Folded Spill
	s_and_saveexec_b64 s[16:17], s[0:1]
	s_cbranch_execz .LBB205_1059
; %bb.1058:                             ;   in Loop: Header=BB205_616 Depth=1
	buffer_load_dword v9, off, s[56:59], 0  ; 4-byte Folded Reload
	s_waitcnt vmcnt(0)
	v_cmp_gt_i32_e32 vcc, s33, v9
	buffer_load_dword v9, off, s[56:59], 0 offset:452 ; 4-byte Folded Reload
	s_waitcnt vmcnt(0)
	v_cndmask_b32_e32 v9, 0, v9, vcc
	buffer_store_dword v9, off, s[56:59], 0 offset:452 ; 4-byte Folded Spill
	buffer_load_dword v9, off, s[56:59], 0 offset:444 ; 4-byte Folded Reload
	v_cmp_gt_i32_e32 vcc, s33, v56
	v_cndmask_b32_e32 v22, 0, v22, vcc
	v_cmp_gt_i32_e32 vcc, s33, v63
	s_waitcnt vmcnt(0)
	v_cndmask_b32_e32 v9, 0, v9, vcc
	buffer_store_dword v9, off, s[56:59], 0 offset:444 ; 4-byte Folded Spill
	buffer_load_dword v9, off, s[56:59], 0 offset:436 ; 4-byte Folded Reload
	v_cmp_gt_i32_e32 vcc, s33, v0
	s_waitcnt vmcnt(0)
	v_cndmask_b32_e32 v9, 0, v9, vcc
	buffer_store_dword v9, off, s[56:59], 0 offset:436 ; 4-byte Folded Spill
.LBB205_1059:                           ;   in Loop: Header=BB205_616 Depth=1
	s_or_b64 exec, exec, s[16:17]
	v_add_co_u32_e32 v13, vcc, 0x1000, v11
	v_addc_co_u32_e32 v14, vcc, 0, v12, vcc
	global_load_dword v13, v[13:14], off offset:256
	v_mov_b32_e32 v16, 0
	v_mov_b32_e32 v14, 0
	;; [unrolled: 1-line block ×4, first 2 shown]
	s_waitcnt vmcnt(0)
	v_cmp_ne_u16_sdwa s[18:19], v13, v5 src0_sel:BYTE_0 src1_sel:DWORD
	s_and_saveexec_b64 s[16:17], s[18:19]
	s_cbranch_execz .LBB205_1065
; %bb.1060:                             ;   in Loop: Header=BB205_616 Depth=1
	v_bfrev_b32_e32 v14, 1
	v_mov_b32_e32 v15, 0
	v_cmp_ne_u16_sdwa s[20:21], v13, s28 src0_sel:BYTE_0 src1_sel:DWORD
	s_and_saveexec_b64 s[18:19], s[20:21]
	s_cbranch_execz .LBB205_1064
; %bb.1061:                             ;   in Loop: Header=BB205_616 Depth=1
	v_and_b32_e32 v9, 0x7f, v13
	v_mov_b32_e32 v14, 0x7f800001
	v_mov_b32_e32 v15, 0
	v_cmp_ne_u32_e32 vcc, s29, v9
	s_and_saveexec_b64 s[20:21], vcc
	s_cbranch_execz .LBB205_1063
; %bb.1062:                             ;   in Loop: Header=BB205_616 Depth=1
	v_and_b32_e32 v18, 7, v13
	v_lshrrev_b32_e32 v19, 3, v9
	v_cmp_gt_u32_e32 vcc, 8, v9
	v_ffbh_u32_e32 v9, v18
	v_min_u32_e32 v9, 32, v9
	v_subrev_u32_e32 v14, 28, v9
	v_lshlrev_b64 v[14:15], v14, v[13:14]
	v_sub_u32_e32 v9, 29, v9
	v_and_b32_e32 v14, 7, v14
	v_cndmask_b32_e32 v9, v19, v9, vcc
	v_cndmask_b32_e32 v14, v18, v14, vcc
	v_bfrev_b32_e32 v18, 60
	v_lshlrev_b32_e32 v14, 20, v14
	v_and_b32_sdwa v15, sext(v13), s30 dst_sel:DWORD dst_unused:UNUSED_PAD src0_sel:BYTE_0 src1_sel:DWORD
	v_lshl_add_u32 v9, v9, 23, v18
	v_or3_b32 v14, v15, v9, v14
	v_mov_b32_e32 v15, v5
.LBB205_1063:                           ;   in Loop: Header=BB205_616 Depth=1
	s_or_b64 exec, exec, s[20:21]
.LBB205_1064:                           ;   in Loop: Header=BB205_616 Depth=1
	s_or_b64 exec, exec, s[18:19]
.LBB205_1065:                           ;   in Loop: Header=BB205_616 Depth=1
	s_or_b64 exec, exec, s[16:17]
	v_cmp_ne_u16_sdwa s[18:19], v13, v5 src0_sel:BYTE_1 src1_sel:DWORD
	s_and_saveexec_b64 s[16:17], s[18:19]
	s_cbranch_execz .LBB205_1071
; %bb.1066:                             ;   in Loop: Header=BB205_616 Depth=1
	v_mov_b32_e32 v17, v6
	v_cmp_ne_u16_sdwa s[20:21], v13, s28 src0_sel:BYTE_1 src1_sel:DWORD
	v_mov_b32_e32 v16, v5
	s_and_saveexec_b64 s[18:19], s[20:21]
	s_cbranch_execz .LBB205_1070
; %bb.1067:                             ;   in Loop: Header=BB205_616 Depth=1
	v_and_b32_sdwa v18, v13, s29 dst_sel:DWORD dst_unused:UNUSED_PAD src0_sel:BYTE_1 src1_sel:DWORD
	v_mov_b32_e32 v9, v5
	v_mov_b32_e32 v17, v10
	v_cmp_ne_u32_e32 vcc, s29, v18
	v_mov_b32_e32 v16, v9
	s_and_saveexec_b64 s[20:21], vcc
	s_cbranch_execz .LBB205_1069
; %bb.1068:                             ;   in Loop: Header=BB205_616 Depth=1
	v_mov_b32_e32 v9, 7
	v_and_b32_sdwa v16, v13, v9 dst_sel:DWORD dst_unused:UNUSED_PAD src0_sel:BYTE_1 src1_sel:DWORD
	v_lshrrev_b32_e32 v9, 3, v18
	v_cmp_gt_u32_e32 vcc, 8, v18
	v_ffbh_u32_e32 v18, v16
	v_min_u32_e32 v19, 32, v18
	v_mov_b32_e32 v17, v5
	v_subrev_u32_e32 v18, 28, v19
	v_lshlrev_b64 v[17:18], v18, v[16:17]
	v_sub_u32_e32 v18, 29, v19
	v_and_b32_e32 v17, 7, v17
	v_cndmask_b32_e32 v9, v9, v18, vcc
	v_bfrev_b32_e32 v18, 60
	v_cndmask_b32_e32 v16, v16, v17, vcc
	v_lshlrev_b32_e32 v17, 16, v13
	v_lshl_add_u32 v9, v9, 23, v18
	v_and_or_b32 v9, v17, s30, v9
	v_lshlrev_b32_e32 v16, 20, v16
	v_or_b32_e32 v17, v9, v16
	v_mov_b32_e32 v16, v5
.LBB205_1069:                           ;   in Loop: Header=BB205_616 Depth=1
	s_or_b64 exec, exec, s[20:21]
.LBB205_1070:                           ;   in Loop: Header=BB205_616 Depth=1
	s_or_b64 exec, exec, s[18:19]
.LBB205_1071:                           ;   in Loop: Header=BB205_616 Depth=1
	s_or_b64 exec, exec, s[16:17]
	v_mov_b32_e32 v20, 0
	v_mov_b32_e32 v18, 0
	v_lshrrev_b32_e32 v9, 16, v13
	v_mov_b32_e32 v21, 0
	v_mov_b32_e32 v19, 0
	v_cmp_ne_u16_sdwa s[18:19], v9, v5 src0_sel:BYTE_0 src1_sel:DWORD
	s_mov_b64 s[16:17], exec
	s_and_b64 s[18:19], s[16:17], s[18:19]
	buffer_store_dword v22, off, s[56:59], 0 offset:588 ; 4-byte Folded Spill
	s_mov_b64 exec, s[18:19]
	s_cbranch_execz .LBB205_1077
; %bb.1072:                             ;   in Loop: Header=BB205_616 Depth=1
	v_bfrev_b32_e32 v18, 1
	v_mov_b32_e32 v19, 0
	v_cmp_ne_u16_sdwa s[20:21], v9, s28 src0_sel:BYTE_0 src1_sel:DWORD
	s_and_saveexec_b64 s[18:19], s[20:21]
	s_cbranch_execz .LBB205_1076
; %bb.1073:                             ;   in Loop: Header=BB205_616 Depth=1
	v_bfe_u32 v24, v13, 16, 7
	v_mov_b32_e32 v18, 0x7f800001
	v_mov_b32_e32 v19, 0
	v_cmp_ne_u32_e32 vcc, s29, v24
	s_and_saveexec_b64 s[20:21], vcc
	s_cbranch_execz .LBB205_1075
; %bb.1074:                             ;   in Loop: Header=BB205_616 Depth=1
	v_and_b32_e32 v25, 7, v9
	v_ffbh_u32_e32 v18, v25
	v_lshrrev_b32_e32 v26, 3, v24
	v_cmp_gt_u32_e32 vcc, 8, v24
	v_min_u32_e32 v24, 32, v18
	v_subrev_u32_e32 v18, 28, v24
	v_lshlrev_b64 v[18:19], v18, v[9:10]
	v_sub_u32_e32 v19, 29, v24
	v_cndmask_b32_e32 v19, v26, v19, vcc
	v_bfrev_b32_e32 v22, 60
	buffer_load_dword v26, off, s[56:59], 0 offset:580 ; 4-byte Folded Reload
	v_lshl_add_u32 v19, v19, 23, v22
	buffer_load_dword v22, off, s[56:59], 0 offset:588 ; 4-byte Folded Reload
	v_and_b32_e32 v18, 7, v18
	v_cndmask_b32_e32 v18, v25, v18, vcc
	v_lshlrev_b32_e32 v18, 20, v18
	v_and_b32_sdwa v9, sext(v9), s30 dst_sel:DWORD dst_unused:UNUSED_PAD src0_sel:BYTE_0 src1_sel:DWORD
	v_or3_b32 v18, v9, v19, v18
	v_mov_b32_e32 v19, v5
.LBB205_1075:                           ;   in Loop: Header=BB205_616 Depth=1
	s_or_b64 exec, exec, s[20:21]
.LBB205_1076:                           ;   in Loop: Header=BB205_616 Depth=1
	s_or_b64 exec, exec, s[18:19]
.LBB205_1077:                           ;   in Loop: Header=BB205_616 Depth=1
	s_or_b64 exec, exec, s[16:17]
	v_cmp_lt_u32_e32 vcc, s31, v13
	s_and_saveexec_b64 s[16:17], vcc
	s_cbranch_execz .LBB205_1083
; %bb.1078:                             ;   in Loop: Header=BB205_616 Depth=1
	v_mov_b32_e32 v21, v6
	v_cmp_ne_u32_sdwa s[20:21], v13, s28 src0_sel:BYTE_3 src1_sel:DWORD
	v_mov_b32_e32 v20, v5
	s_and_saveexec_b64 s[18:19], s[20:21]
	s_cbranch_execz .LBB205_1082
; %bb.1079:                             ;   in Loop: Header=BB205_616 Depth=1
	v_bfe_u32 v24, v13, 24, 7
	v_mov_b32_e32 v9, v5
	v_mov_b32_e32 v21, v10
	v_cmp_ne_u32_e32 vcc, s29, v24
	v_mov_b32_e32 v20, v9
	s_and_saveexec_b64 s[20:21], vcc
	s_cbranch_execz .LBB205_1081
; %bb.1080:                             ;   in Loop: Header=BB205_616 Depth=1
	v_mov_b32_e32 v9, 7
	v_and_b32_sdwa v20, v13, v9 dst_sel:DWORD dst_unused:UNUSED_PAD src0_sel:BYTE_3 src1_sel:DWORD
	v_lshrrev_b32_e32 v9, 3, v24
	v_cmp_gt_u32_e32 vcc, 8, v24
	v_ffbh_u32_e32 v24, v20
	s_waitcnt vmcnt(1)
	v_min_u32_e32 v26, 32, v24
	v_mov_b32_e32 v21, v5
	v_subrev_u32_e32 v24, 28, v26
	v_lshlrev_b64 v[24:25], v24, v[20:21]
	v_sub_u32_e32 v21, 29, v26
	buffer_load_dword v26, off, s[56:59], 0 offset:580 ; 4-byte Folded Reload
	v_cndmask_b32_e32 v9, v9, v21, vcc
	v_mov_b32_e32 v21, 24
	v_and_b32_e32 v24, 7, v24
	v_lshlrev_b32_sdwa v13, v21, v13 dst_sel:DWORD dst_unused:UNUSED_PAD src0_sel:DWORD src1_sel:BYTE_3
	v_bfrev_b32_e32 v21, 60
	v_cndmask_b32_e32 v20, v20, v24, vcc
	v_lshl_add_u32 v9, v9, 23, v21
	v_and_or_b32 v9, v13, s30, v9
	v_lshlrev_b32_e32 v13, 20, v20
	v_or_b32_e32 v21, v9, v13
	v_mov_b32_e32 v20, v5
.LBB205_1081:                           ;   in Loop: Header=BB205_616 Depth=1
	s_or_b64 exec, exec, s[20:21]
.LBB205_1082:                           ;   in Loop: Header=BB205_616 Depth=1
	s_or_b64 exec, exec, s[18:19]
.LBB205_1083:                           ;   in Loop: Header=BB205_616 Depth=1
	s_or_b64 exec, exec, s[16:17]
	v_or_b32_e32 v9, v17, v15
	v_or_b32_e32 v13, v16, v14
	v_mul_f32_e32 v9, s39, v9
	buffer_store_dword v9, off, s[56:59], 0 offset:460 ; 4-byte Folded Spill
	v_mul_f32_e32 v9, s38, v13
	buffer_store_dword v9, off, s[56:59], 0 offset:484 ; 4-byte Folded Spill
	v_or_b32_e32 v9, v21, v19
	v_or_b32_e32 v13, v20, v18
	v_mul_f32_e32 v13, s38, v13
	v_mul_f32_e32 v9, s39, v9
	buffer_store_dword v13, off, s[56:59], 0 offset:476 ; 4-byte Folded Spill
	buffer_store_dword v9, off, s[56:59], 0 offset:468 ; 4-byte Folded Spill
	s_and_saveexec_b64 s[16:17], s[0:1]
	s_cbranch_execz .LBB205_1085
; %bb.1084:                             ;   in Loop: Header=BB205_616 Depth=1
	buffer_load_dword v9, off, s[56:59], 0  ; 4-byte Folded Reload
	s_waitcnt vmcnt(0)
	v_cmp_gt_i32_e32 vcc, s33, v9
	buffer_load_dword v9, off, s[56:59], 0 offset:484 ; 4-byte Folded Reload
	s_waitcnt vmcnt(0)
	v_cndmask_b32_e32 v9, 0, v9, vcc
	buffer_store_dword v9, off, s[56:59], 0 offset:484 ; 4-byte Folded Spill
	buffer_load_dword v9, off, s[56:59], 0 offset:460 ; 4-byte Folded Reload
	v_cmp_gt_i32_e32 vcc, s33, v56
	s_waitcnt vmcnt(0)
	v_cndmask_b32_e32 v9, 0, v9, vcc
	buffer_store_dword v9, off, s[56:59], 0 offset:460 ; 4-byte Folded Spill
	buffer_load_dword v9, off, s[56:59], 0 offset:476 ; 4-byte Folded Reload
	v_cmp_gt_i32_e32 vcc, s33, v63
	;; [unrolled: 5-line block ×3, first 2 shown]
	s_waitcnt vmcnt(0)
	v_cndmask_b32_e32 v9, 0, v9, vcc
	buffer_store_dword v9, off, s[56:59], 0 offset:468 ; 4-byte Folded Spill
.LBB205_1085:                           ;   in Loop: Header=BB205_616 Depth=1
	s_or_b64 exec, exec, s[16:17]
	v_add_co_u32_e32 v13, vcc, 0x1000, v11
	v_addc_co_u32_e32 v14, vcc, 0, v12, vcc
	global_load_dword v13, v[13:14], off offset:512
	v_mov_b32_e32 v16, 0
	v_mov_b32_e32 v14, 0
	;; [unrolled: 1-line block ×4, first 2 shown]
	s_waitcnt vmcnt(0)
	v_cmp_ne_u16_sdwa s[18:19], v13, v5 src0_sel:BYTE_0 src1_sel:DWORD
	s_and_saveexec_b64 s[16:17], s[18:19]
	s_cbranch_execz .LBB205_1091
; %bb.1086:                             ;   in Loop: Header=BB205_616 Depth=1
	v_bfrev_b32_e32 v14, 1
	v_mov_b32_e32 v15, 0
	v_cmp_ne_u16_sdwa s[20:21], v13, s28 src0_sel:BYTE_0 src1_sel:DWORD
	s_and_saveexec_b64 s[18:19], s[20:21]
	s_cbranch_execz .LBB205_1090
; %bb.1087:                             ;   in Loop: Header=BB205_616 Depth=1
	v_and_b32_e32 v9, 0x7f, v13
	v_mov_b32_e32 v14, 0x7f800001
	v_mov_b32_e32 v15, 0
	v_cmp_ne_u32_e32 vcc, s29, v9
	s_and_saveexec_b64 s[20:21], vcc
	s_cbranch_execz .LBB205_1089
; %bb.1088:                             ;   in Loop: Header=BB205_616 Depth=1
	v_and_b32_e32 v18, 7, v13
	v_lshrrev_b32_e32 v19, 3, v9
	v_cmp_gt_u32_e32 vcc, 8, v9
	v_ffbh_u32_e32 v9, v18
	v_min_u32_e32 v9, 32, v9
	v_subrev_u32_e32 v14, 28, v9
	v_lshlrev_b64 v[14:15], v14, v[13:14]
	v_sub_u32_e32 v9, 29, v9
	v_and_b32_e32 v14, 7, v14
	v_cndmask_b32_e32 v9, v19, v9, vcc
	v_cndmask_b32_e32 v14, v18, v14, vcc
	v_bfrev_b32_e32 v18, 60
	v_lshlrev_b32_e32 v14, 20, v14
	v_and_b32_sdwa v15, sext(v13), s30 dst_sel:DWORD dst_unused:UNUSED_PAD src0_sel:BYTE_0 src1_sel:DWORD
	v_lshl_add_u32 v9, v9, 23, v18
	v_or3_b32 v14, v15, v9, v14
	v_mov_b32_e32 v15, v5
.LBB205_1089:                           ;   in Loop: Header=BB205_616 Depth=1
	s_or_b64 exec, exec, s[20:21]
.LBB205_1090:                           ;   in Loop: Header=BB205_616 Depth=1
	s_or_b64 exec, exec, s[18:19]
.LBB205_1091:                           ;   in Loop: Header=BB205_616 Depth=1
	s_or_b64 exec, exec, s[16:17]
	v_cmp_ne_u16_sdwa s[18:19], v13, v5 src0_sel:BYTE_1 src1_sel:DWORD
	s_and_saveexec_b64 s[16:17], s[18:19]
	s_cbranch_execz .LBB205_1097
; %bb.1092:                             ;   in Loop: Header=BB205_616 Depth=1
	v_mov_b32_e32 v17, v6
	v_cmp_ne_u16_sdwa s[20:21], v13, s28 src0_sel:BYTE_1 src1_sel:DWORD
	v_mov_b32_e32 v16, v5
	s_and_saveexec_b64 s[18:19], s[20:21]
	s_cbranch_execz .LBB205_1096
; %bb.1093:                             ;   in Loop: Header=BB205_616 Depth=1
	v_and_b32_sdwa v18, v13, s29 dst_sel:DWORD dst_unused:UNUSED_PAD src0_sel:BYTE_1 src1_sel:DWORD
	v_mov_b32_e32 v9, v5
	v_mov_b32_e32 v17, v10
	v_cmp_ne_u32_e32 vcc, s29, v18
	v_mov_b32_e32 v16, v9
	s_and_saveexec_b64 s[20:21], vcc
	s_cbranch_execz .LBB205_1095
; %bb.1094:                             ;   in Loop: Header=BB205_616 Depth=1
	v_mov_b32_e32 v9, 7
	v_and_b32_sdwa v16, v13, v9 dst_sel:DWORD dst_unused:UNUSED_PAD src0_sel:BYTE_1 src1_sel:DWORD
	v_lshrrev_b32_e32 v9, 3, v18
	v_cmp_gt_u32_e32 vcc, 8, v18
	v_ffbh_u32_e32 v18, v16
	v_min_u32_e32 v19, 32, v18
	v_mov_b32_e32 v17, v5
	v_subrev_u32_e32 v18, 28, v19
	v_lshlrev_b64 v[17:18], v18, v[16:17]
	v_sub_u32_e32 v18, 29, v19
	v_and_b32_e32 v17, 7, v17
	v_cndmask_b32_e32 v9, v9, v18, vcc
	v_bfrev_b32_e32 v18, 60
	v_cndmask_b32_e32 v16, v16, v17, vcc
	v_lshlrev_b32_e32 v17, 16, v13
	v_lshl_add_u32 v9, v9, 23, v18
	v_and_or_b32 v9, v17, s30, v9
	v_lshlrev_b32_e32 v16, 20, v16
	v_or_b32_e32 v17, v9, v16
	v_mov_b32_e32 v16, v5
.LBB205_1095:                           ;   in Loop: Header=BB205_616 Depth=1
	s_or_b64 exec, exec, s[20:21]
.LBB205_1096:                           ;   in Loop: Header=BB205_616 Depth=1
	s_or_b64 exec, exec, s[18:19]
.LBB205_1097:                           ;   in Loop: Header=BB205_616 Depth=1
	s_or_b64 exec, exec, s[16:17]
	v_lshrrev_b32_e32 v9, 16, v13
	v_mov_b32_e32 v20, 0
	v_mov_b32_e32 v18, 0
	;; [unrolled: 1-line block ×4, first 2 shown]
	v_cmp_ne_u16_sdwa s[18:19], v9, v5 src0_sel:BYTE_0 src1_sel:DWORD
	s_and_saveexec_b64 s[16:17], s[18:19]
	s_cbranch_execz .LBB205_1103
; %bb.1098:                             ;   in Loop: Header=BB205_616 Depth=1
	v_bfrev_b32_e32 v18, 1
	v_mov_b32_e32 v19, 0
	v_cmp_ne_u16_sdwa s[20:21], v9, s28 src0_sel:BYTE_0 src1_sel:DWORD
	s_and_saveexec_b64 s[18:19], s[20:21]
	s_cbranch_execz .LBB205_1102
; %bb.1099:                             ;   in Loop: Header=BB205_616 Depth=1
	v_bfe_u32 v26, v13, 16, 7
	v_mov_b32_e32 v18, 0x7f800001
	v_mov_b32_e32 v19, 0
	v_cmp_ne_u32_e32 vcc, s29, v26
	s_and_saveexec_b64 s[20:21], vcc
	s_cbranch_execz .LBB205_1101
; %bb.1100:                             ;   in Loop: Header=BB205_616 Depth=1
	v_and_b32_e32 v28, 7, v9
	v_ffbh_u32_e32 v18, v28
	v_lshrrev_b32_e32 v29, 3, v26
	v_cmp_gt_u32_e32 vcc, 8, v26
	v_min_u32_e32 v26, 32, v18
	v_subrev_u32_e32 v18, 28, v26
	v_lshlrev_b64 v[18:19], v18, v[9:10]
	v_sub_u32_e32 v19, 29, v26
	v_cndmask_b32_e32 v19, v29, v19, vcc
	v_bfrev_b32_e32 v22, 60
	v_lshl_add_u32 v19, v19, 23, v22
	buffer_load_dword v22, off, s[56:59], 0 offset:588 ; 4-byte Folded Reload
	v_and_b32_e32 v18, 7, v18
	v_cndmask_b32_e32 v18, v28, v18, vcc
	v_lshlrev_b32_e32 v18, 20, v18
	v_and_b32_sdwa v9, sext(v9), s30 dst_sel:DWORD dst_unused:UNUSED_PAD src0_sel:BYTE_0 src1_sel:DWORD
	v_or3_b32 v18, v9, v19, v18
	v_mov_b32_e32 v19, v5
.LBB205_1101:                           ;   in Loop: Header=BB205_616 Depth=1
	s_or_b64 exec, exec, s[20:21]
	buffer_load_dword v26, off, s[56:59], 0 offset:580 ; 4-byte Folded Reload
.LBB205_1102:                           ;   in Loop: Header=BB205_616 Depth=1
	s_or_b64 exec, exec, s[18:19]
.LBB205_1103:                           ;   in Loop: Header=BB205_616 Depth=1
	s_or_b64 exec, exec, s[16:17]
	v_cmp_lt_u32_e32 vcc, s31, v13
	s_and_saveexec_b64 s[16:17], vcc
	s_cbranch_execz .LBB205_1109
; %bb.1104:                             ;   in Loop: Header=BB205_616 Depth=1
	v_mov_b32_e32 v21, v6
	v_cmp_ne_u32_sdwa s[20:21], v13, s28 src0_sel:BYTE_3 src1_sel:DWORD
	v_mov_b32_e32 v20, v5
	s_and_saveexec_b64 s[18:19], s[20:21]
	s_cbranch_execz .LBB205_1108
; %bb.1105:                             ;   in Loop: Header=BB205_616 Depth=1
	s_waitcnt vmcnt(0)
	v_bfe_u32 v26, v13, 24, 7
	v_mov_b32_e32 v9, v5
	v_mov_b32_e32 v21, v10
	v_cmp_ne_u32_e32 vcc, s29, v26
	v_mov_b32_e32 v20, v9
	s_and_saveexec_b64 s[20:21], vcc
	s_cbranch_execz .LBB205_1107
; %bb.1106:                             ;   in Loop: Header=BB205_616 Depth=1
	v_mov_b32_e32 v9, 7
	v_and_b32_sdwa v20, v13, v9 dst_sel:DWORD dst_unused:UNUSED_PAD src0_sel:BYTE_3 src1_sel:DWORD
	v_lshrrev_b32_e32 v9, 3, v26
	v_cmp_gt_u32_e32 vcc, 8, v26
	v_ffbh_u32_e32 v26, v20
	v_min_u32_e32 v26, 32, v26
	v_mov_b32_e32 v21, v5
	v_subrev_u32_e32 v28, 28, v26
	v_lshlrev_b64 v[28:29], v28, v[20:21]
	v_sub_u32_e32 v21, 29, v26
	v_cndmask_b32_e32 v9, v9, v21, vcc
	v_mov_b32_e32 v21, 24
	v_and_b32_e32 v26, 7, v28
	v_lshlrev_b32_sdwa v13, v21, v13 dst_sel:DWORD dst_unused:UNUSED_PAD src0_sel:DWORD src1_sel:BYTE_3
	v_bfrev_b32_e32 v21, 60
	v_cndmask_b32_e32 v20, v20, v26, vcc
	v_lshl_add_u32 v9, v9, 23, v21
	v_and_or_b32 v9, v13, s30, v9
	v_lshlrev_b32_e32 v13, 20, v20
	v_or_b32_e32 v21, v9, v13
	v_mov_b32_e32 v20, v5
.LBB205_1107:                           ;   in Loop: Header=BB205_616 Depth=1
	s_or_b64 exec, exec, s[20:21]
	buffer_load_dword v26, off, s[56:59], 0 offset:580 ; 4-byte Folded Reload
.LBB205_1108:                           ;   in Loop: Header=BB205_616 Depth=1
	s_or_b64 exec, exec, s[18:19]
.LBB205_1109:                           ;   in Loop: Header=BB205_616 Depth=1
	s_or_b64 exec, exec, s[16:17]
	v_or_b32_e32 v9, v17, v15
	v_or_b32_e32 v13, v16, v14
	v_mul_f32_e32 v9, s39, v9
	buffer_store_dword v9, off, s[56:59], 0 offset:492 ; 4-byte Folded Spill
	v_mul_f32_e32 v9, s38, v13
	buffer_store_dword v9, off, s[56:59], 0 offset:516 ; 4-byte Folded Spill
	v_or_b32_e32 v9, v21, v19
	v_or_b32_e32 v13, v20, v18
	v_mul_f32_e32 v13, s38, v13
	v_mul_f32_e32 v9, s39, v9
	buffer_store_dword v13, off, s[56:59], 0 offset:508 ; 4-byte Folded Spill
	buffer_store_dword v9, off, s[56:59], 0 offset:500 ; 4-byte Folded Spill
	s_and_saveexec_b64 s[16:17], s[0:1]
	s_cbranch_execz .LBB205_1111
; %bb.1110:                             ;   in Loop: Header=BB205_616 Depth=1
	buffer_load_dword v9, off, s[56:59], 0  ; 4-byte Folded Reload
	s_waitcnt vmcnt(0)
	v_cmp_gt_i32_e32 vcc, s33, v9
	buffer_load_dword v9, off, s[56:59], 0 offset:516 ; 4-byte Folded Reload
	s_waitcnt vmcnt(0)
	v_cndmask_b32_e32 v9, 0, v9, vcc
	buffer_store_dword v9, off, s[56:59], 0 offset:516 ; 4-byte Folded Spill
	buffer_load_dword v9, off, s[56:59], 0 offset:492 ; 4-byte Folded Reload
	v_cmp_gt_i32_e32 vcc, s33, v56
	s_waitcnt vmcnt(0)
	v_cndmask_b32_e32 v9, 0, v9, vcc
	buffer_store_dword v9, off, s[56:59], 0 offset:492 ; 4-byte Folded Spill
	buffer_load_dword v9, off, s[56:59], 0 offset:508 ; 4-byte Folded Reload
	v_cmp_gt_i32_e32 vcc, s33, v63
	;; [unrolled: 5-line block ×3, first 2 shown]
	s_waitcnt vmcnt(0)
	v_cndmask_b32_e32 v9, 0, v9, vcc
	buffer_store_dword v9, off, s[56:59], 0 offset:500 ; 4-byte Folded Spill
.LBB205_1111:                           ;   in Loop: Header=BB205_616 Depth=1
	s_or_b64 exec, exec, s[16:17]
	v_add_co_u32_e32 v13, vcc, 0x1000, v11
	v_addc_co_u32_e32 v14, vcc, 0, v12, vcc
	global_load_dword v13, v[13:14], off offset:768
	v_mov_b32_e32 v16, 0
	v_mov_b32_e32 v14, 0
	;; [unrolled: 1-line block ×4, first 2 shown]
	s_waitcnt vmcnt(0)
	v_cmp_ne_u16_sdwa s[18:19], v13, v5 src0_sel:BYTE_0 src1_sel:DWORD
	s_and_saveexec_b64 s[16:17], s[18:19]
	s_cbranch_execz .LBB205_1117
; %bb.1112:                             ;   in Loop: Header=BB205_616 Depth=1
	v_bfrev_b32_e32 v14, 1
	v_mov_b32_e32 v15, 0
	v_cmp_ne_u16_sdwa s[20:21], v13, s28 src0_sel:BYTE_0 src1_sel:DWORD
	s_and_saveexec_b64 s[18:19], s[20:21]
	s_cbranch_execz .LBB205_1116
; %bb.1113:                             ;   in Loop: Header=BB205_616 Depth=1
	v_and_b32_e32 v9, 0x7f, v13
	v_mov_b32_e32 v14, 0x7f800001
	v_mov_b32_e32 v15, 0
	v_cmp_ne_u32_e32 vcc, s29, v9
	s_and_saveexec_b64 s[20:21], vcc
	s_cbranch_execz .LBB205_1115
; %bb.1114:                             ;   in Loop: Header=BB205_616 Depth=1
	v_and_b32_e32 v18, 7, v13
	v_lshrrev_b32_e32 v19, 3, v9
	v_cmp_gt_u32_e32 vcc, 8, v9
	v_ffbh_u32_e32 v9, v18
	v_min_u32_e32 v9, 32, v9
	v_subrev_u32_e32 v14, 28, v9
	v_lshlrev_b64 v[14:15], v14, v[13:14]
	v_sub_u32_e32 v9, 29, v9
	v_and_b32_e32 v14, 7, v14
	v_cndmask_b32_e32 v9, v19, v9, vcc
	v_cndmask_b32_e32 v14, v18, v14, vcc
	v_bfrev_b32_e32 v18, 60
	v_lshlrev_b32_e32 v14, 20, v14
	v_and_b32_sdwa v15, sext(v13), s30 dst_sel:DWORD dst_unused:UNUSED_PAD src0_sel:BYTE_0 src1_sel:DWORD
	v_lshl_add_u32 v9, v9, 23, v18
	v_or3_b32 v14, v15, v9, v14
	v_mov_b32_e32 v15, v5
.LBB205_1115:                           ;   in Loop: Header=BB205_616 Depth=1
	s_or_b64 exec, exec, s[20:21]
.LBB205_1116:                           ;   in Loop: Header=BB205_616 Depth=1
	s_or_b64 exec, exec, s[18:19]
.LBB205_1117:                           ;   in Loop: Header=BB205_616 Depth=1
	s_or_b64 exec, exec, s[16:17]
	v_cmp_ne_u16_sdwa s[18:19], v13, v5 src0_sel:BYTE_1 src1_sel:DWORD
	s_and_saveexec_b64 s[16:17], s[18:19]
	s_cbranch_execz .LBB205_1123
; %bb.1118:                             ;   in Loop: Header=BB205_616 Depth=1
	v_mov_b32_e32 v17, v6
	v_cmp_ne_u16_sdwa s[20:21], v13, s28 src0_sel:BYTE_1 src1_sel:DWORD
	v_mov_b32_e32 v16, v5
	s_and_saveexec_b64 s[18:19], s[20:21]
	s_cbranch_execz .LBB205_1122
; %bb.1119:                             ;   in Loop: Header=BB205_616 Depth=1
	v_and_b32_sdwa v18, v13, s29 dst_sel:DWORD dst_unused:UNUSED_PAD src0_sel:BYTE_1 src1_sel:DWORD
	v_mov_b32_e32 v9, v5
	v_mov_b32_e32 v17, v10
	v_cmp_ne_u32_e32 vcc, s29, v18
	v_mov_b32_e32 v16, v9
	s_and_saveexec_b64 s[20:21], vcc
	s_cbranch_execz .LBB205_1121
; %bb.1120:                             ;   in Loop: Header=BB205_616 Depth=1
	v_mov_b32_e32 v9, 7
	v_and_b32_sdwa v16, v13, v9 dst_sel:DWORD dst_unused:UNUSED_PAD src0_sel:BYTE_1 src1_sel:DWORD
	v_lshrrev_b32_e32 v9, 3, v18
	v_cmp_gt_u32_e32 vcc, 8, v18
	v_ffbh_u32_e32 v18, v16
	v_min_u32_e32 v19, 32, v18
	v_mov_b32_e32 v17, v5
	v_subrev_u32_e32 v18, 28, v19
	v_lshlrev_b64 v[17:18], v18, v[16:17]
	v_sub_u32_e32 v18, 29, v19
	v_and_b32_e32 v17, 7, v17
	v_cndmask_b32_e32 v9, v9, v18, vcc
	v_bfrev_b32_e32 v18, 60
	v_cndmask_b32_e32 v16, v16, v17, vcc
	v_lshlrev_b32_e32 v17, 16, v13
	v_lshl_add_u32 v9, v9, 23, v18
	v_and_or_b32 v9, v17, s30, v9
	v_lshlrev_b32_e32 v16, 20, v16
	v_or_b32_e32 v17, v9, v16
	v_mov_b32_e32 v16, v5
.LBB205_1121:                           ;   in Loop: Header=BB205_616 Depth=1
	s_or_b64 exec, exec, s[20:21]
.LBB205_1122:                           ;   in Loop: Header=BB205_616 Depth=1
	s_or_b64 exec, exec, s[18:19]
.LBB205_1123:                           ;   in Loop: Header=BB205_616 Depth=1
	s_or_b64 exec, exec, s[16:17]
	v_lshrrev_b32_e32 v9, 16, v13
	v_mov_b32_e32 v20, 0
	v_mov_b32_e32 v18, 0
	;; [unrolled: 1-line block ×4, first 2 shown]
	v_cmp_ne_u16_sdwa s[18:19], v9, v5 src0_sel:BYTE_0 src1_sel:DWORD
	s_and_saveexec_b64 s[16:17], s[18:19]
	s_cbranch_execz .LBB205_1129
; %bb.1124:                             ;   in Loop: Header=BB205_616 Depth=1
	v_bfrev_b32_e32 v18, 1
	v_mov_b32_e32 v19, 0
	v_cmp_ne_u16_sdwa s[20:21], v9, s28 src0_sel:BYTE_0 src1_sel:DWORD
	s_and_saveexec_b64 s[18:19], s[20:21]
	s_cbranch_execz .LBB205_1128
; %bb.1125:                             ;   in Loop: Header=BB205_616 Depth=1
	v_bfe_u32 v28, v13, 16, 7
	v_mov_b32_e32 v18, 0x7f800001
	v_mov_b32_e32 v19, 0
	v_cmp_ne_u32_e32 vcc, s29, v28
	s_and_saveexec_b64 s[20:21], vcc
	s_cbranch_execz .LBB205_1127
; %bb.1126:                             ;   in Loop: Header=BB205_616 Depth=1
	v_and_b32_e32 v29, 7, v9
	v_ffbh_u32_e32 v18, v29
	v_lshrrev_b32_e32 v30, 3, v28
	v_cmp_gt_u32_e32 vcc, 8, v28
	v_min_u32_e32 v28, 32, v18
	v_subrev_u32_e32 v18, 28, v28
	v_lshlrev_b64 v[18:19], v18, v[9:10]
	v_sub_u32_e32 v19, 29, v28
	v_cndmask_b32_e32 v19, v30, v19, vcc
	v_bfrev_b32_e32 v22, 60
	v_lshl_add_u32 v19, v19, 23, v22
	buffer_load_dword v22, off, s[56:59], 0 offset:588 ; 4-byte Folded Reload
	v_and_b32_e32 v18, 7, v18
	v_cndmask_b32_e32 v18, v29, v18, vcc
	v_lshlrev_b32_e32 v18, 20, v18
	v_and_b32_sdwa v9, sext(v9), s30 dst_sel:DWORD dst_unused:UNUSED_PAD src0_sel:BYTE_0 src1_sel:DWORD
	v_or3_b32 v18, v9, v19, v18
	v_mov_b32_e32 v19, v5
.LBB205_1127:                           ;   in Loop: Header=BB205_616 Depth=1
	s_or_b64 exec, exec, s[20:21]
.LBB205_1128:                           ;   in Loop: Header=BB205_616 Depth=1
	s_or_b64 exec, exec, s[18:19]
.LBB205_1129:                           ;   in Loop: Header=BB205_616 Depth=1
	s_or_b64 exec, exec, s[16:17]
	v_cmp_lt_u32_e32 vcc, s31, v13
	s_and_saveexec_b64 s[16:17], vcc
	s_cbranch_execz .LBB205_1135
; %bb.1130:                             ;   in Loop: Header=BB205_616 Depth=1
	v_mov_b32_e32 v21, v6
	v_cmp_ne_u32_sdwa s[20:21], v13, s28 src0_sel:BYTE_3 src1_sel:DWORD
	v_mov_b32_e32 v20, v5
	s_and_saveexec_b64 s[18:19], s[20:21]
	s_cbranch_execz .LBB205_1134
; %bb.1131:                             ;   in Loop: Header=BB205_616 Depth=1
	v_bfe_u32 v28, v13, 24, 7
	v_mov_b32_e32 v9, v5
	v_mov_b32_e32 v21, v10
	v_cmp_ne_u32_e32 vcc, s29, v28
	v_mov_b32_e32 v20, v9
	s_and_saveexec_b64 s[20:21], vcc
	s_cbranch_execz .LBB205_1133
; %bb.1132:                             ;   in Loop: Header=BB205_616 Depth=1
	v_mov_b32_e32 v9, 7
	v_and_b32_sdwa v20, v13, v9 dst_sel:DWORD dst_unused:UNUSED_PAD src0_sel:BYTE_3 src1_sel:DWORD
	v_lshrrev_b32_e32 v9, 3, v28
	v_cmp_gt_u32_e32 vcc, 8, v28
	v_ffbh_u32_e32 v28, v20
	v_min_u32_e32 v30, 32, v28
	v_mov_b32_e32 v21, v5
	v_subrev_u32_e32 v28, 28, v30
	v_lshlrev_b64 v[28:29], v28, v[20:21]
	v_sub_u32_e32 v21, 29, v30
	v_cndmask_b32_e32 v9, v9, v21, vcc
	v_mov_b32_e32 v21, 24
	v_and_b32_e32 v28, 7, v28
	v_lshlrev_b32_sdwa v13, v21, v13 dst_sel:DWORD dst_unused:UNUSED_PAD src0_sel:DWORD src1_sel:BYTE_3
	v_bfrev_b32_e32 v21, 60
	v_cndmask_b32_e32 v20, v20, v28, vcc
	v_lshl_add_u32 v9, v9, 23, v21
	v_and_or_b32 v9, v13, s30, v9
	v_lshlrev_b32_e32 v13, 20, v20
	v_or_b32_e32 v21, v9, v13
	v_mov_b32_e32 v20, v5
.LBB205_1133:                           ;   in Loop: Header=BB205_616 Depth=1
	s_or_b64 exec, exec, s[20:21]
.LBB205_1134:                           ;   in Loop: Header=BB205_616 Depth=1
	s_or_b64 exec, exec, s[18:19]
.LBB205_1135:                           ;   in Loop: Header=BB205_616 Depth=1
	s_or_b64 exec, exec, s[16:17]
	v_or_b32_e32 v9, v17, v15
	v_or_b32_e32 v13, v16, v14
	v_mul_f32_e32 v9, s39, v9
	buffer_store_dword v9, off, s[56:59], 0 offset:524 ; 4-byte Folded Spill
	v_mul_f32_e32 v28, s38, v13
	v_or_b32_e32 v9, v21, v19
	v_or_b32_e32 v13, v20, v18
	v_mul_f32_e32 v55, s38, v13
	v_mul_f32_e32 v9, s39, v9
	buffer_store_dword v9, off, s[56:59], 0 offset:532 ; 4-byte Folded Spill
	s_and_saveexec_b64 s[16:17], s[0:1]
	s_cbranch_execz .LBB205_1137
; %bb.1136:                             ;   in Loop: Header=BB205_616 Depth=1
	buffer_load_dword v9, off, s[56:59], 0  ; 4-byte Folded Reload
	s_waitcnt vmcnt(0)
	v_cmp_gt_i32_e32 vcc, s33, v9
	buffer_load_dword v9, off, s[56:59], 0 offset:524 ; 4-byte Folded Reload
	v_cndmask_b32_e32 v28, 0, v28, vcc
	v_cmp_gt_i32_e32 vcc, s33, v56
	s_waitcnt vmcnt(0)
	v_cndmask_b32_e32 v9, 0, v9, vcc
	buffer_store_dword v9, off, s[56:59], 0 offset:524 ; 4-byte Folded Spill
	buffer_load_dword v9, off, s[56:59], 0 offset:532 ; 4-byte Folded Reload
	v_cmp_gt_i32_e32 vcc, s33, v63
	v_cndmask_b32_e32 v55, 0, v55, vcc
	v_cmp_gt_i32_e32 vcc, s33, v0
	s_waitcnt vmcnt(0)
	v_cndmask_b32_e32 v9, 0, v9, vcc
	buffer_store_dword v9, off, s[56:59], 0 offset:532 ; 4-byte Folded Spill
.LBB205_1137:                           ;   in Loop: Header=BB205_616 Depth=1
	s_or_b64 exec, exec, s[16:17]
	v_add_co_u32_e32 v13, vcc, 0x1000, v11
	v_addc_co_u32_e32 v14, vcc, 0, v12, vcc
	global_load_dword v13, v[13:14], off offset:1024
	v_mov_b32_e32 v16, 0
	v_mov_b32_e32 v14, 0
	;; [unrolled: 1-line block ×4, first 2 shown]
	s_waitcnt vmcnt(0)
	v_cmp_ne_u16_sdwa s[18:19], v13, v5 src0_sel:BYTE_0 src1_sel:DWORD
	s_and_saveexec_b64 s[16:17], s[18:19]
	s_cbranch_execz .LBB205_1143
; %bb.1138:                             ;   in Loop: Header=BB205_616 Depth=1
	v_bfrev_b32_e32 v14, 1
	v_mov_b32_e32 v15, 0
	v_cmp_ne_u16_sdwa s[20:21], v13, s28 src0_sel:BYTE_0 src1_sel:DWORD
	s_and_saveexec_b64 s[18:19], s[20:21]
	s_cbranch_execz .LBB205_1142
; %bb.1139:                             ;   in Loop: Header=BB205_616 Depth=1
	v_and_b32_e32 v9, 0x7f, v13
	v_mov_b32_e32 v14, 0x7f800001
	v_mov_b32_e32 v15, 0
	v_cmp_ne_u32_e32 vcc, s29, v9
	s_and_saveexec_b64 s[20:21], vcc
	s_cbranch_execz .LBB205_1141
; %bb.1140:                             ;   in Loop: Header=BB205_616 Depth=1
	v_and_b32_e32 v18, 7, v13
	v_lshrrev_b32_e32 v19, 3, v9
	v_cmp_gt_u32_e32 vcc, 8, v9
	v_ffbh_u32_e32 v9, v18
	v_min_u32_e32 v9, 32, v9
	v_subrev_u32_e32 v14, 28, v9
	v_lshlrev_b64 v[14:15], v14, v[13:14]
	v_sub_u32_e32 v9, 29, v9
	v_and_b32_e32 v14, 7, v14
	v_cndmask_b32_e32 v9, v19, v9, vcc
	v_cndmask_b32_e32 v14, v18, v14, vcc
	v_bfrev_b32_e32 v18, 60
	v_lshlrev_b32_e32 v14, 20, v14
	v_and_b32_sdwa v15, sext(v13), s30 dst_sel:DWORD dst_unused:UNUSED_PAD src0_sel:BYTE_0 src1_sel:DWORD
	v_lshl_add_u32 v9, v9, 23, v18
	v_or3_b32 v14, v15, v9, v14
	v_mov_b32_e32 v15, v5
.LBB205_1141:                           ;   in Loop: Header=BB205_616 Depth=1
	s_or_b64 exec, exec, s[20:21]
.LBB205_1142:                           ;   in Loop: Header=BB205_616 Depth=1
	s_or_b64 exec, exec, s[18:19]
.LBB205_1143:                           ;   in Loop: Header=BB205_616 Depth=1
	s_or_b64 exec, exec, s[16:17]
	v_cmp_ne_u16_sdwa s[18:19], v13, v5 src0_sel:BYTE_1 src1_sel:DWORD
	s_and_saveexec_b64 s[16:17], s[18:19]
	s_cbranch_execz .LBB205_1149
; %bb.1144:                             ;   in Loop: Header=BB205_616 Depth=1
	v_mov_b32_e32 v17, v6
	v_cmp_ne_u16_sdwa s[20:21], v13, s28 src0_sel:BYTE_1 src1_sel:DWORD
	v_mov_b32_e32 v16, v5
	s_and_saveexec_b64 s[18:19], s[20:21]
	s_cbranch_execz .LBB205_1148
; %bb.1145:                             ;   in Loop: Header=BB205_616 Depth=1
	v_and_b32_sdwa v18, v13, s29 dst_sel:DWORD dst_unused:UNUSED_PAD src0_sel:BYTE_1 src1_sel:DWORD
	v_mov_b32_e32 v9, v5
	v_mov_b32_e32 v17, v10
	v_cmp_ne_u32_e32 vcc, s29, v18
	v_mov_b32_e32 v16, v9
	s_and_saveexec_b64 s[20:21], vcc
	s_cbranch_execz .LBB205_1147
; %bb.1146:                             ;   in Loop: Header=BB205_616 Depth=1
	v_mov_b32_e32 v9, 7
	v_and_b32_sdwa v16, v13, v9 dst_sel:DWORD dst_unused:UNUSED_PAD src0_sel:BYTE_1 src1_sel:DWORD
	v_lshrrev_b32_e32 v9, 3, v18
	v_cmp_gt_u32_e32 vcc, 8, v18
	v_ffbh_u32_e32 v18, v16
	v_min_u32_e32 v19, 32, v18
	v_mov_b32_e32 v17, v5
	v_subrev_u32_e32 v18, 28, v19
	v_lshlrev_b64 v[17:18], v18, v[16:17]
	v_sub_u32_e32 v18, 29, v19
	v_and_b32_e32 v17, 7, v17
	v_cndmask_b32_e32 v9, v9, v18, vcc
	v_bfrev_b32_e32 v18, 60
	v_cndmask_b32_e32 v16, v16, v17, vcc
	v_lshlrev_b32_e32 v17, 16, v13
	v_lshl_add_u32 v9, v9, 23, v18
	v_and_or_b32 v9, v17, s30, v9
	v_lshlrev_b32_e32 v16, 20, v16
	v_or_b32_e32 v17, v9, v16
	v_mov_b32_e32 v16, v5
.LBB205_1147:                           ;   in Loop: Header=BB205_616 Depth=1
	s_or_b64 exec, exec, s[20:21]
.LBB205_1148:                           ;   in Loop: Header=BB205_616 Depth=1
	s_or_b64 exec, exec, s[18:19]
.LBB205_1149:                           ;   in Loop: Header=BB205_616 Depth=1
	s_or_b64 exec, exec, s[16:17]
	v_lshrrev_b32_e32 v9, 16, v13
	v_mov_b32_e32 v20, 0
	v_mov_b32_e32 v18, 0
	;; [unrolled: 1-line block ×4, first 2 shown]
	v_cmp_ne_u16_sdwa s[18:19], v9, v5 src0_sel:BYTE_0 src1_sel:DWORD
	s_and_saveexec_b64 s[16:17], s[18:19]
	s_cbranch_execz .LBB205_1155
; %bb.1150:                             ;   in Loop: Header=BB205_616 Depth=1
	v_bfrev_b32_e32 v18, 1
	v_mov_b32_e32 v19, 0
	v_cmp_ne_u16_sdwa s[20:21], v9, s28 src0_sel:BYTE_0 src1_sel:DWORD
	s_and_saveexec_b64 s[18:19], s[20:21]
	s_cbranch_execz .LBB205_1154
; %bb.1151:                             ;   in Loop: Header=BB205_616 Depth=1
	v_bfe_u32 v29, v13, 16, 7
	v_mov_b32_e32 v18, 0x7f800001
	v_mov_b32_e32 v19, 0
	v_cmp_ne_u32_e32 vcc, s29, v29
	s_and_saveexec_b64 s[20:21], vcc
	s_cbranch_execz .LBB205_1153
; %bb.1152:                             ;   in Loop: Header=BB205_616 Depth=1
	v_and_b32_e32 v30, 7, v9
	v_ffbh_u32_e32 v18, v30
	v_lshrrev_b32_e32 v31, 3, v29
	v_cmp_gt_u32_e32 vcc, 8, v29
	v_min_u32_e32 v29, 32, v18
	v_subrev_u32_e32 v18, 28, v29
	v_lshlrev_b64 v[18:19], v18, v[9:10]
	v_sub_u32_e32 v19, 29, v29
	v_cndmask_b32_e32 v19, v31, v19, vcc
	v_bfrev_b32_e32 v22, 60
	v_lshl_add_u32 v19, v19, 23, v22
	buffer_load_dword v22, off, s[56:59], 0 offset:588 ; 4-byte Folded Reload
	v_and_b32_e32 v18, 7, v18
	v_cndmask_b32_e32 v18, v30, v18, vcc
	v_lshlrev_b32_e32 v18, 20, v18
	v_and_b32_sdwa v9, sext(v9), s30 dst_sel:DWORD dst_unused:UNUSED_PAD src0_sel:BYTE_0 src1_sel:DWORD
	v_or3_b32 v18, v9, v19, v18
	v_mov_b32_e32 v19, v5
.LBB205_1153:                           ;   in Loop: Header=BB205_616 Depth=1
	s_or_b64 exec, exec, s[20:21]
.LBB205_1154:                           ;   in Loop: Header=BB205_616 Depth=1
	s_or_b64 exec, exec, s[18:19]
.LBB205_1155:                           ;   in Loop: Header=BB205_616 Depth=1
	s_or_b64 exec, exec, s[16:17]
	v_cmp_lt_u32_e32 vcc, s31, v13
	s_and_saveexec_b64 s[16:17], vcc
	s_cbranch_execz .LBB205_1161
; %bb.1156:                             ;   in Loop: Header=BB205_616 Depth=1
	v_mov_b32_e32 v21, v6
	v_cmp_ne_u32_sdwa s[20:21], v13, s28 src0_sel:BYTE_3 src1_sel:DWORD
	v_mov_b32_e32 v20, v5
	s_and_saveexec_b64 s[18:19], s[20:21]
	s_cbranch_execz .LBB205_1160
; %bb.1157:                             ;   in Loop: Header=BB205_616 Depth=1
	v_bfe_u32 v29, v13, 24, 7
	v_mov_b32_e32 v9, v5
	v_mov_b32_e32 v21, v10
	v_cmp_ne_u32_e32 vcc, s29, v29
	v_mov_b32_e32 v20, v9
	s_and_saveexec_b64 s[20:21], vcc
	s_cbranch_execz .LBB205_1159
; %bb.1158:                             ;   in Loop: Header=BB205_616 Depth=1
	v_mov_b32_e32 v9, 7
	v_and_b32_sdwa v20, v13, v9 dst_sel:DWORD dst_unused:UNUSED_PAD src0_sel:BYTE_3 src1_sel:DWORD
	v_lshrrev_b32_e32 v9, 3, v29
	v_cmp_gt_u32_e32 vcc, 8, v29
	v_ffbh_u32_e32 v29, v20
	v_min_u32_e32 v31, 32, v29
	v_mov_b32_e32 v21, v5
	v_subrev_u32_e32 v29, 28, v31
	v_lshlrev_b64 v[29:30], v29, v[20:21]
	v_sub_u32_e32 v21, 29, v31
	v_cndmask_b32_e32 v9, v9, v21, vcc
	v_mov_b32_e32 v21, 24
	v_and_b32_e32 v29, 7, v29
	v_lshlrev_b32_sdwa v13, v21, v13 dst_sel:DWORD dst_unused:UNUSED_PAD src0_sel:DWORD src1_sel:BYTE_3
	v_bfrev_b32_e32 v21, 60
	v_cndmask_b32_e32 v20, v20, v29, vcc
	v_lshl_add_u32 v9, v9, 23, v21
	v_and_or_b32 v9, v13, s30, v9
	v_lshlrev_b32_e32 v13, 20, v20
	v_or_b32_e32 v21, v9, v13
	v_mov_b32_e32 v20, v5
.LBB205_1159:                           ;   in Loop: Header=BB205_616 Depth=1
	s_or_b64 exec, exec, s[20:21]
.LBB205_1160:                           ;   in Loop: Header=BB205_616 Depth=1
	s_or_b64 exec, exec, s[18:19]
.LBB205_1161:                           ;   in Loop: Header=BB205_616 Depth=1
	s_or_b64 exec, exec, s[16:17]
	v_or_b32_e32 v9, v17, v15
	v_or_b32_e32 v13, v16, v14
	v_mul_f32_e32 v29, s39, v9
	v_mul_f32_e32 v31, s38, v13
	v_or_b32_e32 v9, v21, v19
	v_or_b32_e32 v13, v20, v18
	v_mul_f32_e32 v30, s38, v13
	v_mul_f32_e32 v57, s39, v9
	s_and_saveexec_b64 s[16:17], s[0:1]
	s_cbranch_execz .LBB205_1163
; %bb.1162:                             ;   in Loop: Header=BB205_616 Depth=1
	buffer_load_dword v9, off, s[56:59], 0  ; 4-byte Folded Reload
	s_waitcnt vmcnt(0)
	v_cmp_gt_i32_e32 vcc, s33, v9
	v_cndmask_b32_e32 v31, 0, v31, vcc
	v_cmp_gt_i32_e32 vcc, s33, v56
	v_cndmask_b32_e32 v29, 0, v29, vcc
	;; [unrolled: 2-line block ×4, first 2 shown]
.LBB205_1163:                           ;   in Loop: Header=BB205_616 Depth=1
	s_or_b64 exec, exec, s[16:17]
	v_add_co_u32_e32 v13, vcc, 0x1000, v11
	v_addc_co_u32_e32 v14, vcc, 0, v12, vcc
	global_load_dword v13, v[13:14], off offset:1280
	v_mov_b32_e32 v16, 0
	v_mov_b32_e32 v14, 0
	;; [unrolled: 1-line block ×4, first 2 shown]
	s_waitcnt vmcnt(0)
	v_cmp_ne_u16_sdwa s[18:19], v13, v5 src0_sel:BYTE_0 src1_sel:DWORD
	s_and_saveexec_b64 s[16:17], s[18:19]
	s_cbranch_execz .LBB205_1169
; %bb.1164:                             ;   in Loop: Header=BB205_616 Depth=1
	v_bfrev_b32_e32 v14, 1
	v_mov_b32_e32 v15, 0
	v_cmp_ne_u16_sdwa s[20:21], v13, s28 src0_sel:BYTE_0 src1_sel:DWORD
	s_and_saveexec_b64 s[18:19], s[20:21]
	s_cbranch_execz .LBB205_1168
; %bb.1165:                             ;   in Loop: Header=BB205_616 Depth=1
	v_and_b32_e32 v9, 0x7f, v13
	v_mov_b32_e32 v14, 0x7f800001
	v_mov_b32_e32 v15, 0
	v_cmp_ne_u32_e32 vcc, s29, v9
	s_and_saveexec_b64 s[20:21], vcc
	s_cbranch_execz .LBB205_1167
; %bb.1166:                             ;   in Loop: Header=BB205_616 Depth=1
	v_and_b32_e32 v18, 7, v13
	v_lshrrev_b32_e32 v19, 3, v9
	v_cmp_gt_u32_e32 vcc, 8, v9
	v_ffbh_u32_e32 v9, v18
	v_min_u32_e32 v9, 32, v9
	v_subrev_u32_e32 v14, 28, v9
	v_lshlrev_b64 v[14:15], v14, v[13:14]
	v_sub_u32_e32 v9, 29, v9
	v_and_b32_e32 v14, 7, v14
	v_cndmask_b32_e32 v9, v19, v9, vcc
	v_cndmask_b32_e32 v14, v18, v14, vcc
	v_bfrev_b32_e32 v18, 60
	v_lshlrev_b32_e32 v14, 20, v14
	v_and_b32_sdwa v15, sext(v13), s30 dst_sel:DWORD dst_unused:UNUSED_PAD src0_sel:BYTE_0 src1_sel:DWORD
	v_lshl_add_u32 v9, v9, 23, v18
	v_or3_b32 v14, v15, v9, v14
	v_mov_b32_e32 v15, v5
.LBB205_1167:                           ;   in Loop: Header=BB205_616 Depth=1
	s_or_b64 exec, exec, s[20:21]
.LBB205_1168:                           ;   in Loop: Header=BB205_616 Depth=1
	s_or_b64 exec, exec, s[18:19]
.LBB205_1169:                           ;   in Loop: Header=BB205_616 Depth=1
	s_or_b64 exec, exec, s[16:17]
	v_cmp_ne_u16_sdwa s[18:19], v13, v5 src0_sel:BYTE_1 src1_sel:DWORD
	s_and_saveexec_b64 s[16:17], s[18:19]
	s_cbranch_execz .LBB205_1175
; %bb.1170:                             ;   in Loop: Header=BB205_616 Depth=1
	v_mov_b32_e32 v17, v6
	v_cmp_ne_u16_sdwa s[20:21], v13, s28 src0_sel:BYTE_1 src1_sel:DWORD
	v_mov_b32_e32 v16, v5
	s_and_saveexec_b64 s[18:19], s[20:21]
	s_cbranch_execz .LBB205_1174
; %bb.1171:                             ;   in Loop: Header=BB205_616 Depth=1
	v_and_b32_sdwa v18, v13, s29 dst_sel:DWORD dst_unused:UNUSED_PAD src0_sel:BYTE_1 src1_sel:DWORD
	v_mov_b32_e32 v9, v5
	v_mov_b32_e32 v17, v10
	v_cmp_ne_u32_e32 vcc, s29, v18
	v_mov_b32_e32 v16, v9
	s_and_saveexec_b64 s[20:21], vcc
	s_cbranch_execz .LBB205_1173
; %bb.1172:                             ;   in Loop: Header=BB205_616 Depth=1
	v_mov_b32_e32 v9, 7
	v_and_b32_sdwa v16, v13, v9 dst_sel:DWORD dst_unused:UNUSED_PAD src0_sel:BYTE_1 src1_sel:DWORD
	v_lshrrev_b32_e32 v9, 3, v18
	v_cmp_gt_u32_e32 vcc, 8, v18
	v_ffbh_u32_e32 v18, v16
	v_min_u32_e32 v19, 32, v18
	v_mov_b32_e32 v17, v5
	v_subrev_u32_e32 v18, 28, v19
	v_lshlrev_b64 v[17:18], v18, v[16:17]
	v_sub_u32_e32 v18, 29, v19
	v_and_b32_e32 v17, 7, v17
	v_cndmask_b32_e32 v9, v9, v18, vcc
	v_bfrev_b32_e32 v18, 60
	v_cndmask_b32_e32 v16, v16, v17, vcc
	v_lshlrev_b32_e32 v17, 16, v13
	v_lshl_add_u32 v9, v9, 23, v18
	v_and_or_b32 v9, v17, s30, v9
	v_lshlrev_b32_e32 v16, 20, v16
	v_or_b32_e32 v17, v9, v16
	v_mov_b32_e32 v16, v5
.LBB205_1173:                           ;   in Loop: Header=BB205_616 Depth=1
	s_or_b64 exec, exec, s[20:21]
.LBB205_1174:                           ;   in Loop: Header=BB205_616 Depth=1
	s_or_b64 exec, exec, s[18:19]
.LBB205_1175:                           ;   in Loop: Header=BB205_616 Depth=1
	s_or_b64 exec, exec, s[16:17]
	v_lshrrev_b32_e32 v9, 16, v13
	v_mov_b32_e32 v20, 0
	v_mov_b32_e32 v18, 0
	;; [unrolled: 1-line block ×4, first 2 shown]
	v_cmp_ne_u16_sdwa s[18:19], v9, v5 src0_sel:BYTE_0 src1_sel:DWORD
	s_and_saveexec_b64 s[16:17], s[18:19]
	s_cbranch_execz .LBB205_1181
; %bb.1176:                             ;   in Loop: Header=BB205_616 Depth=1
	v_bfrev_b32_e32 v18, 1
	v_mov_b32_e32 v19, 0
	v_cmp_ne_u16_sdwa s[20:21], v9, s28 src0_sel:BYTE_0 src1_sel:DWORD
	s_and_saveexec_b64 s[18:19], s[20:21]
	s_cbranch_execz .LBB205_1180
; %bb.1177:                             ;   in Loop: Header=BB205_616 Depth=1
	v_bfe_u32 v32, v13, 16, 7
	v_mov_b32_e32 v18, 0x7f800001
	v_mov_b32_e32 v19, 0
	v_cmp_ne_u32_e32 vcc, s29, v32
	s_and_saveexec_b64 s[20:21], vcc
	s_cbranch_execz .LBB205_1179
; %bb.1178:                             ;   in Loop: Header=BB205_616 Depth=1
	v_and_b32_e32 v33, 7, v9
	v_ffbh_u32_e32 v18, v33
	v_lshrrev_b32_e32 v34, 3, v32
	v_cmp_gt_u32_e32 vcc, 8, v32
	v_min_u32_e32 v32, 32, v18
	v_subrev_u32_e32 v18, 28, v32
	v_lshlrev_b64 v[18:19], v18, v[9:10]
	v_sub_u32_e32 v19, 29, v32
	v_cndmask_b32_e32 v19, v34, v19, vcc
	v_bfrev_b32_e32 v22, 60
	v_lshl_add_u32 v19, v19, 23, v22
	buffer_load_dword v22, off, s[56:59], 0 offset:588 ; 4-byte Folded Reload
	v_and_b32_e32 v18, 7, v18
	v_cndmask_b32_e32 v18, v33, v18, vcc
	v_lshlrev_b32_e32 v18, 20, v18
	v_and_b32_sdwa v9, sext(v9), s30 dst_sel:DWORD dst_unused:UNUSED_PAD src0_sel:BYTE_0 src1_sel:DWORD
	v_or3_b32 v18, v9, v19, v18
	v_mov_b32_e32 v19, v5
.LBB205_1179:                           ;   in Loop: Header=BB205_616 Depth=1
	s_or_b64 exec, exec, s[20:21]
.LBB205_1180:                           ;   in Loop: Header=BB205_616 Depth=1
	s_or_b64 exec, exec, s[18:19]
.LBB205_1181:                           ;   in Loop: Header=BB205_616 Depth=1
	s_or_b64 exec, exec, s[16:17]
	v_cmp_lt_u32_e32 vcc, s31, v13
	s_and_saveexec_b64 s[16:17], vcc
	s_cbranch_execz .LBB205_1187
; %bb.1182:                             ;   in Loop: Header=BB205_616 Depth=1
	v_mov_b32_e32 v21, v6
	v_cmp_ne_u32_sdwa s[20:21], v13, s28 src0_sel:BYTE_3 src1_sel:DWORD
	v_mov_b32_e32 v20, v5
	s_and_saveexec_b64 s[18:19], s[20:21]
	s_cbranch_execz .LBB205_1186
; %bb.1183:                             ;   in Loop: Header=BB205_616 Depth=1
	v_bfe_u32 v32, v13, 24, 7
	v_mov_b32_e32 v9, v5
	v_mov_b32_e32 v21, v10
	v_cmp_ne_u32_e32 vcc, s29, v32
	v_mov_b32_e32 v20, v9
	s_and_saveexec_b64 s[20:21], vcc
	s_cbranch_execz .LBB205_1185
; %bb.1184:                             ;   in Loop: Header=BB205_616 Depth=1
	v_mov_b32_e32 v9, 7
	v_and_b32_sdwa v20, v13, v9 dst_sel:DWORD dst_unused:UNUSED_PAD src0_sel:BYTE_3 src1_sel:DWORD
	v_lshrrev_b32_e32 v9, 3, v32
	v_cmp_gt_u32_e32 vcc, 8, v32
	v_ffbh_u32_e32 v32, v20
	v_min_u32_e32 v34, 32, v32
	v_mov_b32_e32 v21, v5
	v_subrev_u32_e32 v32, 28, v34
	v_lshlrev_b64 v[32:33], v32, v[20:21]
	v_sub_u32_e32 v21, 29, v34
	v_cndmask_b32_e32 v9, v9, v21, vcc
	v_mov_b32_e32 v21, 24
	v_and_b32_e32 v32, 7, v32
	v_lshlrev_b32_sdwa v13, v21, v13 dst_sel:DWORD dst_unused:UNUSED_PAD src0_sel:DWORD src1_sel:BYTE_3
	v_bfrev_b32_e32 v21, 60
	v_cndmask_b32_e32 v20, v20, v32, vcc
	v_lshl_add_u32 v9, v9, 23, v21
	v_and_or_b32 v9, v13, s30, v9
	v_lshlrev_b32_e32 v13, 20, v20
	v_or_b32_e32 v21, v9, v13
	v_mov_b32_e32 v20, v5
.LBB205_1185:                           ;   in Loop: Header=BB205_616 Depth=1
	s_or_b64 exec, exec, s[20:21]
.LBB205_1186:                           ;   in Loop: Header=BB205_616 Depth=1
	s_or_b64 exec, exec, s[18:19]
.LBB205_1187:                           ;   in Loop: Header=BB205_616 Depth=1
	s_or_b64 exec, exec, s[16:17]
	v_or_b32_e32 v9, v17, v15
	v_or_b32_e32 v13, v16, v14
	v_mul_f32_e32 v32, s39, v9
	v_mul_f32_e32 v35, s38, v13
	v_or_b32_e32 v9, v21, v19
	v_or_b32_e32 v13, v20, v18
	v_mul_f32_e32 v34, s38, v13
	v_mul_f32_e32 v33, s39, v9
	s_and_saveexec_b64 s[16:17], s[0:1]
	s_cbranch_execz .LBB205_1189
; %bb.1188:                             ;   in Loop: Header=BB205_616 Depth=1
	buffer_load_dword v9, off, s[56:59], 0  ; 4-byte Folded Reload
	s_waitcnt vmcnt(0)
	v_cmp_gt_i32_e32 vcc, s33, v9
	v_cndmask_b32_e32 v35, 0, v35, vcc
	v_cmp_gt_i32_e32 vcc, s33, v56
	v_cndmask_b32_e32 v32, 0, v32, vcc
	v_cmp_gt_i32_e32 vcc, s33, v63
	v_cndmask_b32_e32 v34, 0, v34, vcc
	v_cmp_gt_i32_e32 vcc, s33, v0
	v_cndmask_b32_e32 v33, 0, v33, vcc
.LBB205_1189:                           ;   in Loop: Header=BB205_616 Depth=1
	s_or_b64 exec, exec, s[16:17]
	v_add_co_u32_e32 v13, vcc, 0x1000, v11
	v_addc_co_u32_e32 v14, vcc, 0, v12, vcc
	global_load_dword v13, v[13:14], off offset:1536
	v_mov_b32_e32 v16, 0
	v_mov_b32_e32 v14, 0
	;; [unrolled: 1-line block ×4, first 2 shown]
	s_waitcnt vmcnt(0)
	v_cmp_ne_u16_sdwa s[18:19], v13, v5 src0_sel:BYTE_0 src1_sel:DWORD
	s_and_saveexec_b64 s[16:17], s[18:19]
	s_cbranch_execz .LBB205_1195
; %bb.1190:                             ;   in Loop: Header=BB205_616 Depth=1
	v_bfrev_b32_e32 v14, 1
	v_mov_b32_e32 v15, 0
	v_cmp_ne_u16_sdwa s[20:21], v13, s28 src0_sel:BYTE_0 src1_sel:DWORD
	s_and_saveexec_b64 s[18:19], s[20:21]
	s_cbranch_execz .LBB205_1194
; %bb.1191:                             ;   in Loop: Header=BB205_616 Depth=1
	v_and_b32_e32 v9, 0x7f, v13
	v_mov_b32_e32 v14, 0x7f800001
	v_mov_b32_e32 v15, 0
	v_cmp_ne_u32_e32 vcc, s29, v9
	s_and_saveexec_b64 s[20:21], vcc
	s_cbranch_execz .LBB205_1193
; %bb.1192:                             ;   in Loop: Header=BB205_616 Depth=1
	v_and_b32_e32 v18, 7, v13
	v_lshrrev_b32_e32 v19, 3, v9
	v_cmp_gt_u32_e32 vcc, 8, v9
	v_ffbh_u32_e32 v9, v18
	v_min_u32_e32 v9, 32, v9
	v_subrev_u32_e32 v14, 28, v9
	v_lshlrev_b64 v[14:15], v14, v[13:14]
	v_sub_u32_e32 v9, 29, v9
	v_and_b32_e32 v14, 7, v14
	v_cndmask_b32_e32 v9, v19, v9, vcc
	v_cndmask_b32_e32 v14, v18, v14, vcc
	v_bfrev_b32_e32 v18, 60
	v_lshlrev_b32_e32 v14, 20, v14
	v_and_b32_sdwa v15, sext(v13), s30 dst_sel:DWORD dst_unused:UNUSED_PAD src0_sel:BYTE_0 src1_sel:DWORD
	v_lshl_add_u32 v9, v9, 23, v18
	v_or3_b32 v14, v15, v9, v14
	v_mov_b32_e32 v15, v5
.LBB205_1193:                           ;   in Loop: Header=BB205_616 Depth=1
	s_or_b64 exec, exec, s[20:21]
.LBB205_1194:                           ;   in Loop: Header=BB205_616 Depth=1
	s_or_b64 exec, exec, s[18:19]
.LBB205_1195:                           ;   in Loop: Header=BB205_616 Depth=1
	s_or_b64 exec, exec, s[16:17]
	v_cmp_ne_u16_sdwa s[18:19], v13, v5 src0_sel:BYTE_1 src1_sel:DWORD
	s_and_saveexec_b64 s[16:17], s[18:19]
	s_cbranch_execz .LBB205_1201
; %bb.1196:                             ;   in Loop: Header=BB205_616 Depth=1
	v_mov_b32_e32 v17, v6
	v_cmp_ne_u16_sdwa s[20:21], v13, s28 src0_sel:BYTE_1 src1_sel:DWORD
	v_mov_b32_e32 v16, v5
	s_and_saveexec_b64 s[18:19], s[20:21]
	s_cbranch_execz .LBB205_1200
; %bb.1197:                             ;   in Loop: Header=BB205_616 Depth=1
	v_and_b32_sdwa v18, v13, s29 dst_sel:DWORD dst_unused:UNUSED_PAD src0_sel:BYTE_1 src1_sel:DWORD
	v_mov_b32_e32 v9, v5
	v_mov_b32_e32 v17, v10
	v_cmp_ne_u32_e32 vcc, s29, v18
	v_mov_b32_e32 v16, v9
	s_and_saveexec_b64 s[20:21], vcc
	s_cbranch_execz .LBB205_1199
; %bb.1198:                             ;   in Loop: Header=BB205_616 Depth=1
	v_mov_b32_e32 v9, 7
	v_and_b32_sdwa v16, v13, v9 dst_sel:DWORD dst_unused:UNUSED_PAD src0_sel:BYTE_1 src1_sel:DWORD
	v_lshrrev_b32_e32 v9, 3, v18
	v_cmp_gt_u32_e32 vcc, 8, v18
	v_ffbh_u32_e32 v18, v16
	v_min_u32_e32 v19, 32, v18
	v_mov_b32_e32 v17, v5
	v_subrev_u32_e32 v18, 28, v19
	v_lshlrev_b64 v[17:18], v18, v[16:17]
	v_sub_u32_e32 v18, 29, v19
	v_and_b32_e32 v17, 7, v17
	v_cndmask_b32_e32 v9, v9, v18, vcc
	v_bfrev_b32_e32 v18, 60
	v_cndmask_b32_e32 v16, v16, v17, vcc
	v_lshlrev_b32_e32 v17, 16, v13
	v_lshl_add_u32 v9, v9, 23, v18
	v_and_or_b32 v9, v17, s30, v9
	v_lshlrev_b32_e32 v16, 20, v16
	v_or_b32_e32 v17, v9, v16
	v_mov_b32_e32 v16, v5
.LBB205_1199:                           ;   in Loop: Header=BB205_616 Depth=1
	s_or_b64 exec, exec, s[20:21]
.LBB205_1200:                           ;   in Loop: Header=BB205_616 Depth=1
	s_or_b64 exec, exec, s[18:19]
.LBB205_1201:                           ;   in Loop: Header=BB205_616 Depth=1
	s_or_b64 exec, exec, s[16:17]
	v_lshrrev_b32_e32 v9, 16, v13
	v_mov_b32_e32 v20, 0
	v_mov_b32_e32 v18, 0
	v_mov_b32_e32 v21, 0
	v_mov_b32_e32 v19, 0
	v_cmp_ne_u16_sdwa s[18:19], v9, v5 src0_sel:BYTE_0 src1_sel:DWORD
	s_and_saveexec_b64 s[16:17], s[18:19]
	s_cbranch_execz .LBB205_1207
; %bb.1202:                             ;   in Loop: Header=BB205_616 Depth=1
	v_bfrev_b32_e32 v18, 1
	v_mov_b32_e32 v19, 0
	v_cmp_ne_u16_sdwa s[20:21], v9, s28 src0_sel:BYTE_0 src1_sel:DWORD
	s_and_saveexec_b64 s[18:19], s[20:21]
	s_cbranch_execz .LBB205_1206
; %bb.1203:                             ;   in Loop: Header=BB205_616 Depth=1
	v_bfe_u32 v36, v13, 16, 7
	v_mov_b32_e32 v18, 0x7f800001
	v_mov_b32_e32 v19, 0
	v_cmp_ne_u32_e32 vcc, s29, v36
	s_and_saveexec_b64 s[20:21], vcc
	s_cbranch_execz .LBB205_1205
; %bb.1204:                             ;   in Loop: Header=BB205_616 Depth=1
	v_and_b32_e32 v37, 7, v9
	v_ffbh_u32_e32 v18, v37
	v_mov_b32_e32 v22, v38
	v_lshrrev_b32_e32 v38, 3, v36
	v_cmp_gt_u32_e32 vcc, 8, v36
	v_min_u32_e32 v36, 32, v18
	v_subrev_u32_e32 v18, 28, v36
	v_lshlrev_b64 v[18:19], v18, v[9:10]
	v_sub_u32_e32 v19, 29, v36
	v_cndmask_b32_e32 v19, v38, v19, vcc
	v_mov_b32_e32 v38, v22
	v_bfrev_b32_e32 v22, 60
	v_lshl_add_u32 v19, v19, 23, v22
	buffer_load_dword v22, off, s[56:59], 0 offset:588 ; 4-byte Folded Reload
	v_and_b32_e32 v18, 7, v18
	v_cndmask_b32_e32 v18, v37, v18, vcc
	v_lshlrev_b32_e32 v18, 20, v18
	v_and_b32_sdwa v9, sext(v9), s30 dst_sel:DWORD dst_unused:UNUSED_PAD src0_sel:BYTE_0 src1_sel:DWORD
	v_or3_b32 v18, v9, v19, v18
	v_mov_b32_e32 v19, v5
.LBB205_1205:                           ;   in Loop: Header=BB205_616 Depth=1
	s_or_b64 exec, exec, s[20:21]
.LBB205_1206:                           ;   in Loop: Header=BB205_616 Depth=1
	s_or_b64 exec, exec, s[18:19]
.LBB205_1207:                           ;   in Loop: Header=BB205_616 Depth=1
	s_or_b64 exec, exec, s[16:17]
	v_cmp_lt_u32_e32 vcc, s31, v13
	s_and_saveexec_b64 s[16:17], vcc
	s_cbranch_execz .LBB205_1213
; %bb.1208:                             ;   in Loop: Header=BB205_616 Depth=1
	v_mov_b32_e32 v21, v6
	v_cmp_ne_u32_sdwa s[20:21], v13, s28 src0_sel:BYTE_3 src1_sel:DWORD
	v_mov_b32_e32 v20, v5
	s_and_saveexec_b64 s[18:19], s[20:21]
	s_cbranch_execz .LBB205_1212
; %bb.1209:                             ;   in Loop: Header=BB205_616 Depth=1
	v_bfe_u32 v36, v13, 24, 7
	v_mov_b32_e32 v9, v5
	v_mov_b32_e32 v21, v10
	v_cmp_ne_u32_e32 vcc, s29, v36
	v_mov_b32_e32 v20, v9
	s_and_saveexec_b64 s[20:21], vcc
	s_cbranch_execz .LBB205_1211
; %bb.1210:                             ;   in Loop: Header=BB205_616 Depth=1
	v_mov_b32_e32 v9, 7
	v_and_b32_sdwa v20, v13, v9 dst_sel:DWORD dst_unused:UNUSED_PAD src0_sel:BYTE_3 src1_sel:DWORD
	v_lshrrev_b32_e32 v9, 3, v36
	v_cmp_gt_u32_e32 vcc, 8, v36
	v_ffbh_u32_e32 v36, v20
	s_waitcnt vmcnt(0)
	v_mov_b32_e32 v22, v38
	v_min_u32_e32 v38, 32, v36
	v_mov_b32_e32 v21, v5
	v_subrev_u32_e32 v36, 28, v38
	v_lshlrev_b64 v[36:37], v36, v[20:21]
	v_sub_u32_e32 v21, 29, v38
	v_mov_b32_e32 v38, v22
	buffer_load_dword v22, off, s[56:59], 0 offset:588 ; 4-byte Folded Reload
	v_cndmask_b32_e32 v9, v9, v21, vcc
	v_mov_b32_e32 v21, 24
	v_and_b32_e32 v36, 7, v36
	v_lshlrev_b32_sdwa v13, v21, v13 dst_sel:DWORD dst_unused:UNUSED_PAD src0_sel:DWORD src1_sel:BYTE_3
	v_bfrev_b32_e32 v21, 60
	v_cndmask_b32_e32 v20, v20, v36, vcc
	v_lshl_add_u32 v9, v9, 23, v21
	v_and_or_b32 v9, v13, s30, v9
	v_lshlrev_b32_e32 v13, 20, v20
	v_or_b32_e32 v21, v9, v13
	v_mov_b32_e32 v20, v5
.LBB205_1211:                           ;   in Loop: Header=BB205_616 Depth=1
	s_or_b64 exec, exec, s[20:21]
.LBB205_1212:                           ;   in Loop: Header=BB205_616 Depth=1
	s_or_b64 exec, exec, s[18:19]
.LBB205_1213:                           ;   in Loop: Header=BB205_616 Depth=1
	s_or_b64 exec, exec, s[16:17]
	v_or_b32_e32 v9, v17, v15
	v_or_b32_e32 v13, v16, v14
	v_mul_f32_e32 v36, s39, v9
	v_mul_f32_e32 v37, s38, v13
	v_or_b32_e32 v9, v21, v19
	v_or_b32_e32 v13, v20, v18
	v_mul_f32_e32 v21, s38, v13
	v_mul_f32_e32 v20, s39, v9
	s_and_saveexec_b64 s[16:17], s[0:1]
	s_cbranch_execz .LBB205_1215
; %bb.1214:                             ;   in Loop: Header=BB205_616 Depth=1
	buffer_load_dword v9, off, s[56:59], 0  ; 4-byte Folded Reload
	s_waitcnt vmcnt(0)
	v_cmp_gt_i32_e32 vcc, s33, v9
	v_cndmask_b32_e32 v37, 0, v37, vcc
	v_cmp_gt_i32_e32 vcc, s33, v56
	v_cndmask_b32_e32 v36, 0, v36, vcc
	v_cmp_gt_i32_e32 vcc, s33, v63
	v_cndmask_b32_e32 v21, 0, v21, vcc
	v_cmp_gt_i32_e32 vcc, s33, v0
	v_cndmask_b32_e32 v20, 0, v20, vcc
.LBB205_1215:                           ;   in Loop: Header=BB205_616 Depth=1
	s_or_b64 exec, exec, s[16:17]
	v_add_co_u32_e32 v11, vcc, 0x1000, v11
	v_addc_co_u32_e32 v12, vcc, 0, v12, vcc
	global_load_dword v11, v[11:12], off offset:1792
	v_mov_b32_e32 v14, 0
	v_mov_b32_e32 v12, 0
	;; [unrolled: 1-line block ×4, first 2 shown]
	s_waitcnt vmcnt(0)
	v_cmp_ne_u16_sdwa s[18:19], v11, v5 src0_sel:BYTE_0 src1_sel:DWORD
	s_and_saveexec_b64 s[16:17], s[18:19]
	s_cbranch_execz .LBB205_1221
; %bb.1216:                             ;   in Loop: Header=BB205_616 Depth=1
	v_bfrev_b32_e32 v12, 1
	v_mov_b32_e32 v13, 0
	v_cmp_ne_u16_sdwa s[20:21], v11, s28 src0_sel:BYTE_0 src1_sel:DWORD
	s_and_saveexec_b64 s[18:19], s[20:21]
	s_cbranch_execz .LBB205_1220
; %bb.1217:                             ;   in Loop: Header=BB205_616 Depth=1
	v_and_b32_e32 v9, 0x7f, v11
	v_mov_b32_e32 v12, 0x7f800001
	v_mov_b32_e32 v13, 0
	v_cmp_ne_u32_e32 vcc, s29, v9
	s_and_saveexec_b64 s[20:21], vcc
	s_cbranch_execz .LBB205_1219
; %bb.1218:                             ;   in Loop: Header=BB205_616 Depth=1
	v_and_b32_e32 v16, 7, v11
	v_lshrrev_b32_e32 v17, 3, v9
	v_cmp_gt_u32_e32 vcc, 8, v9
	v_ffbh_u32_e32 v9, v16
	v_min_u32_e32 v9, 32, v9
	v_subrev_u32_e32 v12, 28, v9
	v_lshlrev_b64 v[12:13], v12, v[11:12]
	v_sub_u32_e32 v9, 29, v9
	v_and_b32_e32 v12, 7, v12
	v_cndmask_b32_e32 v9, v17, v9, vcc
	v_cndmask_b32_e32 v12, v16, v12, vcc
	v_bfrev_b32_e32 v16, 60
	v_lshlrev_b32_e32 v12, 20, v12
	v_and_b32_sdwa v13, sext(v11), s30 dst_sel:DWORD dst_unused:UNUSED_PAD src0_sel:BYTE_0 src1_sel:DWORD
	v_lshl_add_u32 v9, v9, 23, v16
	v_or3_b32 v12, v13, v9, v12
	v_mov_b32_e32 v13, v5
.LBB205_1219:                           ;   in Loop: Header=BB205_616 Depth=1
	s_or_b64 exec, exec, s[20:21]
.LBB205_1220:                           ;   in Loop: Header=BB205_616 Depth=1
	s_or_b64 exec, exec, s[18:19]
.LBB205_1221:                           ;   in Loop: Header=BB205_616 Depth=1
	s_or_b64 exec, exec, s[16:17]
	v_cmp_ne_u16_sdwa s[18:19], v11, v5 src0_sel:BYTE_1 src1_sel:DWORD
	s_and_saveexec_b64 s[16:17], s[18:19]
	s_cbranch_execz .LBB205_1227
; %bb.1222:                             ;   in Loop: Header=BB205_616 Depth=1
	v_mov_b32_e32 v15, v6
	v_cmp_ne_u16_sdwa s[20:21], v11, s28 src0_sel:BYTE_1 src1_sel:DWORD
	v_mov_b32_e32 v14, v5
	s_and_saveexec_b64 s[18:19], s[20:21]
	s_cbranch_execz .LBB205_1226
; %bb.1223:                             ;   in Loop: Header=BB205_616 Depth=1
	v_and_b32_sdwa v16, v11, s29 dst_sel:DWORD dst_unused:UNUSED_PAD src0_sel:BYTE_1 src1_sel:DWORD
	v_mov_b32_e32 v9, v5
	v_mov_b32_e32 v15, v10
	v_cmp_ne_u32_e32 vcc, s29, v16
	v_mov_b32_e32 v14, v9
	s_and_saveexec_b64 s[20:21], vcc
	s_cbranch_execz .LBB205_1225
; %bb.1224:                             ;   in Loop: Header=BB205_616 Depth=1
	v_mov_b32_e32 v9, 7
	v_and_b32_sdwa v14, v11, v9 dst_sel:DWORD dst_unused:UNUSED_PAD src0_sel:BYTE_1 src1_sel:DWORD
	v_lshrrev_b32_e32 v9, 3, v16
	v_cmp_gt_u32_e32 vcc, 8, v16
	v_ffbh_u32_e32 v16, v14
	v_min_u32_e32 v17, 32, v16
	v_mov_b32_e32 v15, v5
	v_subrev_u32_e32 v16, 28, v17
	v_lshlrev_b64 v[15:16], v16, v[14:15]
	v_sub_u32_e32 v16, 29, v17
	v_and_b32_e32 v15, 7, v15
	v_cndmask_b32_e32 v9, v9, v16, vcc
	v_bfrev_b32_e32 v16, 60
	v_cndmask_b32_e32 v14, v14, v15, vcc
	v_lshlrev_b32_e32 v15, 16, v11
	v_lshl_add_u32 v9, v9, 23, v16
	v_and_or_b32 v9, v15, s30, v9
	v_lshlrev_b32_e32 v14, 20, v14
	v_or_b32_e32 v15, v9, v14
	v_mov_b32_e32 v14, v5
.LBB205_1225:                           ;   in Loop: Header=BB205_616 Depth=1
	s_or_b64 exec, exec, s[20:21]
.LBB205_1226:                           ;   in Loop: Header=BB205_616 Depth=1
	s_or_b64 exec, exec, s[18:19]
.LBB205_1227:                           ;   in Loop: Header=BB205_616 Depth=1
	s_or_b64 exec, exec, s[16:17]
	v_lshrrev_b32_e32 v9, 16, v11
	v_mov_b32_e32 v18, 0
	v_mov_b32_e32 v16, 0
	;; [unrolled: 1-line block ×4, first 2 shown]
	v_cmp_ne_u16_sdwa s[18:19], v9, v5 src0_sel:BYTE_0 src1_sel:DWORD
	s_and_saveexec_b64 s[16:17], s[18:19]
	s_cbranch_execz .LBB205_1233
; %bb.1228:                             ;   in Loop: Header=BB205_616 Depth=1
	v_bfrev_b32_e32 v16, 1
	v_mov_b32_e32 v17, 0
	v_cmp_ne_u16_sdwa s[20:21], v9, s28 src0_sel:BYTE_0 src1_sel:DWORD
	s_and_saveexec_b64 s[18:19], s[20:21]
	s_cbranch_execz .LBB205_1232
; %bb.1229:                             ;   in Loop: Header=BB205_616 Depth=1
	v_mov_b32_e32 v24, v38
	v_bfe_u32 v38, v11, 16, 7
	v_mov_b32_e32 v16, 0x7f800001
	v_mov_b32_e32 v17, 0
	v_cmp_ne_u32_e32 vcc, s29, v38
	s_and_saveexec_b64 s[20:21], vcc
	s_cbranch_execz .LBB205_1231
; %bb.1230:                             ;   in Loop: Header=BB205_616 Depth=1
	v_mov_b32_e32 v22, v41
	v_and_b32_e32 v41, 7, v9
	v_ffbh_u32_e32 v16, v41
	v_mov_b32_e32 v25, v23
	v_mov_b32_e32 v23, v40
	v_lshrrev_b32_e32 v40, 3, v38
	v_cmp_gt_u32_e32 vcc, 8, v38
	v_min_u32_e32 v38, 32, v16
	v_subrev_u32_e32 v16, 28, v38
	v_lshlrev_b64 v[16:17], v16, v[9:10]
	v_sub_u32_e32 v17, 29, v38
	v_and_b32_e32 v16, 7, v16
	v_cndmask_b32_e32 v17, v40, v17, vcc
	v_cndmask_b32_e32 v16, v41, v16, vcc
	v_mov_b32_e32 v41, v22
	v_bfrev_b32_e32 v22, 60
	v_lshl_add_u32 v17, v17, 23, v22
	buffer_load_dword v22, off, s[56:59], 0 offset:588 ; 4-byte Folded Reload
	v_lshlrev_b32_e32 v16, 20, v16
	v_and_b32_sdwa v9, sext(v9), s30 dst_sel:DWORD dst_unused:UNUSED_PAD src0_sel:BYTE_0 src1_sel:DWORD
	v_mov_b32_e32 v40, v23
	v_mov_b32_e32 v23, v25
	v_or3_b32 v16, v9, v17, v16
	v_mov_b32_e32 v17, v5
.LBB205_1231:                           ;   in Loop: Header=BB205_616 Depth=1
	s_or_b64 exec, exec, s[20:21]
	v_mov_b32_e32 v38, v24
.LBB205_1232:                           ;   in Loop: Header=BB205_616 Depth=1
	s_or_b64 exec, exec, s[18:19]
.LBB205_1233:                           ;   in Loop: Header=BB205_616 Depth=1
	s_or_b64 exec, exec, s[16:17]
	v_cmp_lt_u32_e32 vcc, s31, v11
	s_and_saveexec_b64 s[16:17], vcc
	s_cbranch_execz .LBB205_1239
; %bb.1234:                             ;   in Loop: Header=BB205_616 Depth=1
	v_mov_b32_e32 v19, v6
	v_cmp_ne_u32_sdwa s[20:21], v11, s28 src0_sel:BYTE_3 src1_sel:DWORD
	v_mov_b32_e32 v18, v5
	s_and_saveexec_b64 s[18:19], s[20:21]
	s_cbranch_execz .LBB205_1238
; %bb.1235:                             ;   in Loop: Header=BB205_616 Depth=1
	v_mov_b32_e32 v25, v38
	v_bfe_u32 v38, v11, 24, 7
	v_mov_b32_e32 v9, v5
	v_mov_b32_e32 v19, v10
	v_cmp_ne_u32_e32 vcc, s29, v38
	v_mov_b32_e32 v18, v9
	s_and_saveexec_b64 s[20:21], vcc
	s_cbranch_execz .LBB205_1237
; %bb.1236:                             ;   in Loop: Header=BB205_616 Depth=1
	v_mov_b32_e32 v9, 7
	v_and_b32_sdwa v18, v11, v9 dst_sel:DWORD dst_unused:UNUSED_PAD src0_sel:BYTE_3 src1_sel:DWORD
	v_lshrrev_b32_e32 v9, 3, v38
	v_cmp_gt_u32_e32 vcc, 8, v38
	v_ffbh_u32_e32 v38, v18
	v_mov_b32_e32 v24, v58
	v_mov_b32_e32 v58, v51
	;; [unrolled: 1-line block ×13, first 2 shown]
	v_min_u32_e32 v40, 32, v38
	v_mov_b32_e32 v19, v5
	v_subrev_u32_e32 v38, 28, v40
	s_waitcnt vmcnt(0)
	v_mov_b32_e32 v22, v60
	v_mov_b32_e32 v26, v54
	;; [unrolled: 1-line block ×7, first 2 shown]
	v_lshlrev_b64 v[59:60], v38, v[18:19]
	v_mov_b32_e32 v60, v22
	v_and_b32_e32 v38, 7, v59
	v_mov_b32_e32 v59, v0
	v_mov_b32_e32 v0, v63
	;; [unrolled: 1-line block ×6, first 2 shown]
	buffer_load_dword v26, off, s[56:59], 0 offset:580 ; 4-byte Folded Reload
	buffer_load_dword v22, off, s[56:59], 0 offset:588 ; 4-byte Folded Reload
	v_sub_u32_e32 v19, 29, v40
	v_cndmask_b32_e32 v9, v9, v19, vcc
	v_mov_b32_e32 v19, 24
	v_lshlrev_b32_sdwa v11, v19, v11 dst_sel:DWORD dst_unused:UNUSED_PAD src0_sel:DWORD src1_sel:BYTE_3
	v_bfrev_b32_e32 v19, 60
	v_cndmask_b32_e32 v18, v18, v38, vcc
	v_lshl_add_u32 v9, v9, 23, v19
	v_and_or_b32 v9, v11, s30, v9
	v_lshlrev_b32_e32 v11, 20, v18
	v_mov_b32_e32 v40, v41
	v_mov_b32_e32 v41, v43
	;; [unrolled: 1-line block ×13, first 2 shown]
	v_or_b32_e32 v19, v9, v11
	v_mov_b32_e32 v18, v5
.LBB205_1237:                           ;   in Loop: Header=BB205_616 Depth=1
	s_or_b64 exec, exec, s[20:21]
	v_mov_b32_e32 v38, v25
.LBB205_1238:                           ;   in Loop: Header=BB205_616 Depth=1
	s_or_b64 exec, exec, s[18:19]
.LBB205_1239:                           ;   in Loop: Header=BB205_616 Depth=1
	s_or_b64 exec, exec, s[16:17]
	v_or_b32_e32 v11, v14, v12
	v_or_b32_e32 v9, v15, v13
	v_mul_f32_e32 v13, s38, v11
	v_or_b32_e32 v11, v19, v17
	v_or_b32_e32 v12, v18, v16
	v_mul_f32_e32 v9, s39, v9
	v_mul_f32_e32 v12, s38, v12
	;; [unrolled: 1-line block ×3, first 2 shown]
	s_and_saveexec_b64 s[16:17], s[0:1]
	s_cbranch_execz .LBB205_614
; %bb.1240:                             ;   in Loop: Header=BB205_616 Depth=1
	buffer_load_dword v14, off, s[56:59], 0 ; 4-byte Folded Reload
	s_waitcnt vmcnt(0)
	v_cmp_gt_i32_e32 vcc, s33, v14
	v_cndmask_b32_e32 v13, 0, v13, vcc
	v_cmp_gt_i32_e32 vcc, s33, v56
	v_cndmask_b32_e32 v9, 0, v9, vcc
	;; [unrolled: 2-line block ×4, first 2 shown]
	s_branch .LBB205_614
.LBB205_1241:
	s_or_b64 exec, exec, s[6:7]
	buffer_load_dword v30, off, s[56:59], 0 offset:672 ; 4-byte Folded Reload
	buffer_load_dword v25, off, s[56:59], 0 offset:688 ; 4-byte Folded Reload
	;; [unrolled: 1-line block ×9, first 2 shown]
.LBB205_1242:
	s_or_b64 exec, exec, s[2:3]
	s_waitcnt vmcnt(0)
	ds_bpermute_b32 v1, v25, v5
	ds_bpermute_b32 v0, v25, v4
	ds_bpermute_b32 v2, v25, v16
	ds_bpermute_b32 v3, v25, v8
	ds_bpermute_b32 v7, v25, v15
	s_waitcnt lgkmcnt(4)
	v_add_f32_e32 v1, v5, v1
	s_waitcnt lgkmcnt(3)
	v_add_f32_e32 v0, v4, v0
	ds_bpermute_b32 v5, v28, v1
	ds_bpermute_b32 v4, v28, v0
	s_waitcnt lgkmcnt(4)
	v_add_f32_e32 v2, v16, v2
	ds_bpermute_b32 v6, v28, v2
	s_waitcnt lgkmcnt(4)
	v_add_f32_e32 v3, v8, v3
	s_waitcnt lgkmcnt(2)
	v_add_f32_e32 v1, v1, v5
	s_waitcnt lgkmcnt(1)
	v_add_f32_e32 v0, v0, v4
	ds_bpermute_b32 v5, v31, v1
	ds_bpermute_b32 v4, v31, v0
	s_waitcnt lgkmcnt(2)
	v_add_f32_e32 v2, v2, v6
	ds_bpermute_b32 v6, v31, v2
	ds_bpermute_b32 v12, v25, v50
	s_waitcnt lgkmcnt(3)
	v_add_f32_e32 v1, v1, v5
	v_add_f32_e32 v5, v15, v7
	s_waitcnt lgkmcnt(2)
	v_add_f32_e32 v0, v0, v4
	ds_bpermute_b32 v4, v28, v3
	ds_bpermute_b32 v7, v28, v5
	s_waitcnt lgkmcnt(3)
	v_add_f32_e32 v2, v2, v6
	ds_bpermute_b32 v18, v25, v44
	buffer_load_dword v26, off, s[56:59], 0 offset:540 ; 4-byte Folded Reload
	s_waitcnt lgkmcnt(2)
	v_add_f32_e32 v3, v3, v4
	s_waitcnt lgkmcnt(1)
	v_add_f32_e32 v5, v5, v7
	ds_bpermute_b32 v4, v25, v9
	ds_bpermute_b32 v6, v31, v3
	;; [unrolled: 1-line block ×4, first 2 shown]
	s_waitcnt lgkmcnt(0)
	v_add_f32_e32 v9, v9, v4
	v_add_f32_e32 v3, v3, v6
	;; [unrolled: 1-line block ×4, first 2 shown]
	ds_bpermute_b32 v8, v25, v38
	ds_bpermute_b32 v10, v28, v9
	;; [unrolled: 1-line block ×3, first 2 shown]
	s_waitcnt vmcnt(0) lgkmcnt(0)
	s_barrier
	v_add_f32_e32 v8, v38, v8
	v_add_f32_e32 v5, v9, v10
	;; [unrolled: 1-line block ×3, first 2 shown]
	ds_bpermute_b32 v7, v25, v58
	ds_bpermute_b32 v11, v28, v8
	;; [unrolled: 1-line block ×4, first 2 shown]
	s_waitcnt lgkmcnt(3)
	v_add_f32_e32 v7, v58, v7
	s_waitcnt lgkmcnt(2)
	v_add_f32_e32 v8, v8, v11
	;; [unrolled: 2-line block ×3, first 2 shown]
	ds_bpermute_b32 v9, v28, v7
	ds_bpermute_b32 v11, v31, v8
	s_waitcnt lgkmcnt(2)
	v_add_f32_e32 v6, v6, v10
	ds_bpermute_b32 v10, v25, v51
	s_waitcnt lgkmcnt(2)
	v_add_f32_e32 v9, v7, v9
	s_waitcnt lgkmcnt(1)
	v_add_f32_e32 v7, v8, v11
	v_add_f32_e32 v11, v50, v12
	s_waitcnt lgkmcnt(0)
	v_add_f32_e32 v10, v51, v10
	ds_bpermute_b32 v12, v28, v11
	ds_bpermute_b32 v13, v31, v9
	;; [unrolled: 1-line block ×3, first 2 shown]
	s_waitcnt lgkmcnt(2)
	v_add_f32_e32 v11, v11, v12
	s_waitcnt lgkmcnt(1)
	v_add_f32_e32 v8, v9, v13
	;; [unrolled: 2-line block ×3, first 2 shown]
	ds_bpermute_b32 v10, v25, v49
	ds_bpermute_b32 v12, v25, v48
	;; [unrolled: 1-line block ×4, first 2 shown]
	s_waitcnt lgkmcnt(3)
	v_add_f32_e32 v15, v49, v10
	s_waitcnt lgkmcnt(2)
	v_add_f32_e32 v12, v48, v12
	;; [unrolled: 2-line block ×3, first 2 shown]
	ds_bpermute_b32 v14, v25, v47
	ds_bpermute_b32 v16, v28, v15
	s_waitcnt lgkmcnt(2)
	v_add_f32_e32 v9, v9, v13
	ds_bpermute_b32 v13, v28, v12
	s_waitcnt lgkmcnt(2)
	v_add_f32_e32 v14, v47, v14
	s_waitcnt lgkmcnt(1)
	v_add_f32_e32 v11, v15, v16
	ds_bpermute_b32 v17, v28, v14
	s_waitcnt lgkmcnt(1)
	v_add_f32_e32 v12, v12, v13
	ds_bpermute_b32 v13, v25, v46
	ds_bpermute_b32 v15, v31, v11
	;; [unrolled: 1-line block ×3, first 2 shown]
	s_waitcnt lgkmcnt(3)
	v_add_f32_e32 v14, v14, v17
	ds_bpermute_b32 v17, v31, v14
	s_waitcnt lgkmcnt(3)
	v_add_f32_e32 v13, v46, v13
	s_waitcnt lgkmcnt(2)
	v_add_f32_e32 v11, v11, v15
	ds_bpermute_b32 v15, v28, v13
	s_waitcnt lgkmcnt(2)
	v_add_f32_e32 v12, v12, v16
	ds_bpermute_b32 v16, v25, v45
	s_waitcnt lgkmcnt(1)
	v_add_f32_e32 v15, v13, v15
	v_add_f32_e32 v13, v14, v17
	s_waitcnt lgkmcnt(0)
	v_add_f32_e32 v16, v45, v16
	v_add_f32_e32 v17, v44, v18
	ds_bpermute_b32 v19, v31, v15
	ds_bpermute_b32 v20, v28, v16
	;; [unrolled: 1-line block ×3, first 2 shown]
	s_waitcnt lgkmcnt(2)
	v_add_f32_e32 v14, v15, v19
	s_waitcnt lgkmcnt(1)
	v_add_f32_e32 v15, v16, v20
	ds_bpermute_b32 v16, v25, v27
	s_waitcnt lgkmcnt(1)
	v_add_f32_e32 v17, v17, v18
	ds_bpermute_b32 v18, v25, v43
	ds_bpermute_b32 v19, v31, v15
	;; [unrolled: 1-line block ×3, first 2 shown]
	s_waitcnt lgkmcnt(3)
	v_add_f32_e32 v21, v27, v16
	ds_bpermute_b32 v22, v28, v21
	s_waitcnt lgkmcnt(3)
	v_add_f32_e32 v18, v43, v18
	s_waitcnt lgkmcnt(2)
	v_add_f32_e32 v15, v15, v19
	ds_bpermute_b32 v19, v28, v18
	s_waitcnt lgkmcnt(2)
	v_add_f32_e32 v16, v17, v20
	s_waitcnt lgkmcnt(1)
	v_add_f32_e32 v17, v21, v22
	ds_bpermute_b32 v21, v31, v17
	ds_bpermute_b32 v20, v25, v41
	s_waitcnt lgkmcnt(2)
	v_add_f32_e32 v18, v18, v19
	ds_bpermute_b32 v19, v25, v40
	ds_bpermute_b32 v22, v31, v18
	s_waitcnt lgkmcnt(3)
	v_add_f32_e32 v17, v17, v21
	s_waitcnt lgkmcnt(2)
	v_add_f32_e32 v20, v41, v20
	ds_bpermute_b32 v23, v28, v20
	s_waitcnt lgkmcnt(2)
	v_add_f32_e32 v19, v40, v19
	ds_bpermute_b32 v21, v28, v19
	s_waitcnt lgkmcnt(2)
	v_add_f32_e32 v18, v18, v22
	s_waitcnt lgkmcnt(1)
	v_add_f32_e32 v20, v20, v23
	ds_bpermute_b32 v22, v31, v20
	s_waitcnt lgkmcnt(1)
	v_add_f32_e32 v21, v19, v21
	ds_bpermute_b32 v19, v25, v42
	ds_bpermute_b32 v24, v31, v21
	;; [unrolled: 1-line block ×4, first 2 shown]
	s_waitcnt lgkmcnt(3)
	v_add_f32_e32 v19, v42, v19
	ds_bpermute_b32 v27, v28, v19
	s_waitcnt lgkmcnt(2)
	v_add_f32_e32 v23, v26, v23
	s_waitcnt lgkmcnt(1)
	v_add_f32_e32 v25, v39, v25
	ds_bpermute_b32 v26, v28, v23
	ds_bpermute_b32 v28, v28, v25
	s_waitcnt lgkmcnt(2)
	v_add_f32_e32 v27, v19, v27
	v_add_f32_e32 v19, v20, v22
	;; [unrolled: 1-line block ×3, first 2 shown]
	buffer_load_dword v24, off, s[56:59], 0 offset:832 ; 4-byte Folded Reload
	s_waitcnt lgkmcnt(1)
	v_add_f32_e32 v23, v23, v26
	s_waitcnt lgkmcnt(0)
	v_add_f32_e32 v25, v25, v28
	ds_bpermute_b32 v26, v31, v23
	ds_bpermute_b32 v28, v31, v25
	;; [unrolled: 1-line block ×3, first 2 shown]
	s_waitcnt lgkmcnt(2)
	v_add_f32_e32 v21, v23, v26
	s_waitcnt lgkmcnt(1)
	v_add_f32_e32 v23, v25, v28
	;; [unrolled: 2-line block ×3, first 2 shown]
	s_waitcnt vmcnt(0)
	v_and_b32_e32 v25, 0x3c7, v24
	v_cmp_eq_u32_e32 vcc, 64, v25
	s_and_saveexec_b64 s[0:1], vcc
	s_cbranch_execz .LBB205_1244
; %bb.1243:
	v_lshrrev_b32_e32 v24, 1, v30
	v_add_u32_e32 v24, 0x310, v24
	ds_write2_b32 v24, v0, v1 offset1:8
	ds_write2_b32 v24, v2, v3 offset0:16 offset1:24
	ds_write2_b32 v24, v4, v5 offset0:32 offset1:40
	;; [unrolled: 1-line block ×11, first 2 shown]
.LBB205_1244:
	s_or_b64 exec, exec, s[0:1]
	buffer_load_dword v24, off, s[56:59], 0 offset:832 ; 4-byte Folded Reload
	s_waitcnt vmcnt(0) lgkmcnt(0)
	s_barrier
	v_cmp_gt_u32_e32 vcc, 64, v24
	v_lshrrev_b32_e32 v24, 3, v24
	s_and_saveexec_b64 s[0:1], vcc
	s_cbranch_execz .LBB205_1271
; %bb.1245:
	v_mov_b32_e32 v26, 0x310
	v_cmp_eq_u32_e32 vcc, 0, v32
	v_lshl_add_u32 v26, v24, 2, v26
	s_and_saveexec_b64 s[2:3], vcc
	s_cbranch_execnz .LBB205_1274
; %bb.1246:
	s_or_b64 exec, exec, s[2:3]
	s_and_saveexec_b64 s[2:3], vcc
	s_cbranch_execnz .LBB205_1275
.LBB205_1247:
	s_or_b64 exec, exec, s[2:3]
	s_and_saveexec_b64 s[2:3], vcc
	s_cbranch_execnz .LBB205_1276
.LBB205_1248:
	s_or_b64 exec, exec, s[2:3]
	s_and_saveexec_b64 s[2:3], vcc
	s_cbranch_execnz .LBB205_1277
.LBB205_1249:
	s_or_b64 exec, exec, s[2:3]
	s_and_saveexec_b64 s[2:3], vcc
	s_cbranch_execnz .LBB205_1278
.LBB205_1250:
	s_or_b64 exec, exec, s[2:3]
	s_and_saveexec_b64 s[2:3], vcc
	s_cbranch_execnz .LBB205_1279
.LBB205_1251:
	s_or_b64 exec, exec, s[2:3]
	s_and_saveexec_b64 s[2:3], vcc
	s_cbranch_execnz .LBB205_1280
.LBB205_1252:
	s_or_b64 exec, exec, s[2:3]
	s_and_saveexec_b64 s[2:3], vcc
	s_cbranch_execnz .LBB205_1281
.LBB205_1253:
	s_or_b64 exec, exec, s[2:3]
	s_and_saveexec_b64 s[2:3], vcc
	s_cbranch_execnz .LBB205_1282
.LBB205_1254:
	s_or_b64 exec, exec, s[2:3]
	s_and_saveexec_b64 s[2:3], vcc
	s_cbranch_execnz .LBB205_1283
.LBB205_1255:
	s_or_b64 exec, exec, s[2:3]
	s_and_saveexec_b64 s[2:3], vcc
	s_cbranch_execnz .LBB205_1284
.LBB205_1256:
	s_or_b64 exec, exec, s[2:3]
	s_and_saveexec_b64 s[2:3], vcc
	s_cbranch_execnz .LBB205_1285
.LBB205_1257:
	s_or_b64 exec, exec, s[2:3]
	s_and_saveexec_b64 s[2:3], vcc
	s_cbranch_execnz .LBB205_1286
.LBB205_1258:
	s_or_b64 exec, exec, s[2:3]
	s_and_saveexec_b64 s[2:3], vcc
	s_cbranch_execnz .LBB205_1287
.LBB205_1259:
	s_or_b64 exec, exec, s[2:3]
	s_and_saveexec_b64 s[2:3], vcc
	s_cbranch_execnz .LBB205_1288
.LBB205_1260:
	s_or_b64 exec, exec, s[2:3]
	s_and_saveexec_b64 s[2:3], vcc
	s_cbranch_execnz .LBB205_1289
.LBB205_1261:
	s_or_b64 exec, exec, s[2:3]
	s_and_saveexec_b64 s[2:3], vcc
	s_cbranch_execnz .LBB205_1290
.LBB205_1262:
	s_or_b64 exec, exec, s[2:3]
	s_and_saveexec_b64 s[2:3], vcc
	s_cbranch_execnz .LBB205_1291
.LBB205_1263:
	s_or_b64 exec, exec, s[2:3]
	s_and_saveexec_b64 s[2:3], vcc
	s_cbranch_execnz .LBB205_1292
.LBB205_1264:
	s_or_b64 exec, exec, s[2:3]
	s_and_saveexec_b64 s[2:3], vcc
	s_cbranch_execnz .LBB205_1293
.LBB205_1265:
	s_or_b64 exec, exec, s[2:3]
	s_and_saveexec_b64 s[2:3], vcc
	s_cbranch_execnz .LBB205_1294
.LBB205_1266:
	s_or_b64 exec, exec, s[2:3]
	s_and_saveexec_b64 s[2:3], vcc
	s_cbranch_execnz .LBB205_1295
.LBB205_1267:
	s_or_b64 exec, exec, s[2:3]
	s_and_saveexec_b64 s[2:3], vcc
	s_cbranch_execnz .LBB205_1296
.LBB205_1268:
	s_or_b64 exec, exec, s[2:3]
	s_and_saveexec_b64 s[2:3], vcc
	s_cbranch_execz .LBB205_1270
.LBB205_1269:
	ds_read_b32 v26, v26 offset:736
	s_waitcnt lgkmcnt(0)
	v_add_f32_e32 v23, v23, v26
.LBB205_1270:
	s_or_b64 exec, exec, s[2:3]
.LBB205_1271:
	s_or_b64 exec, exec, s[0:1]
	v_cmp_eq_u32_e32 vcc, 0, v25
	s_barrier
	s_and_saveexec_b64 s[0:1], vcc
	s_cbranch_execz .LBB205_1273
; %bb.1272:
	s_mul_i32 s0, s10, s11
	s_mul_i32 s0, s0, s9
	s_mulk_i32 s0, 0xc0
	s_ashr_i32 s1, s0, 31
	s_lshl_b64 s[0:1], s[0:1], 2
	s_add_u32 s2, s26, s0
	s_mul_i32 s0, s11, s24
	s_addc_u32 s3, s27, s1
	s_ashr_i32 s1, s0, 31
	s_lshl_b64 s[0:1], s[0:1], 2
	s_add_u32 s2, s2, s0
	s_mul_i32 s0, s8, 0xc0
	s_addc_u32 s3, s3, s1
	s_ashr_i32 s1, s0, 31
	s_lshl_b64 s[0:1], s[0:1], 2
	s_add_u32 s0, s2, s0
	s_addc_u32 s1, s3, s1
	v_lshlrev_b32_e32 v24, 2, v24
	global_store_dword v24, v0, s[0:1]
	global_store_dword v24, v1, s[0:1] offset:32
	global_store_dword v24, v2, s[0:1] offset:64
	;; [unrolled: 1-line block ×23, first 2 shown]
.LBB205_1273:
	s_endpgm
.LBB205_1274:
	ds_read_b32 v27, v26
	s_waitcnt lgkmcnt(0)
	v_add_f32_e32 v0, v0, v27
	s_or_b64 exec, exec, s[2:3]
	s_and_saveexec_b64 s[2:3], vcc
	s_cbranch_execz .LBB205_1247
.LBB205_1275:
	ds_read_b32 v27, v26 offset:32
	s_waitcnt lgkmcnt(0)
	v_add_f32_e32 v1, v1, v27
	s_or_b64 exec, exec, s[2:3]
	s_and_saveexec_b64 s[2:3], vcc
	s_cbranch_execz .LBB205_1248
.LBB205_1276:
	ds_read_b32 v27, v26 offset:64
	s_waitcnt lgkmcnt(0)
	v_add_f32_e32 v2, v2, v27
	s_or_b64 exec, exec, s[2:3]
	s_and_saveexec_b64 s[2:3], vcc
	s_cbranch_execz .LBB205_1249
.LBB205_1277:
	ds_read_b32 v27, v26 offset:96
	s_waitcnt lgkmcnt(0)
	v_add_f32_e32 v3, v3, v27
	s_or_b64 exec, exec, s[2:3]
	s_and_saveexec_b64 s[2:3], vcc
	s_cbranch_execz .LBB205_1250
.LBB205_1278:
	ds_read_b32 v27, v26 offset:128
	s_waitcnt lgkmcnt(0)
	v_add_f32_e32 v4, v4, v27
	s_or_b64 exec, exec, s[2:3]
	s_and_saveexec_b64 s[2:3], vcc
	s_cbranch_execz .LBB205_1251
.LBB205_1279:
	ds_read_b32 v27, v26 offset:160
	s_waitcnt lgkmcnt(0)
	v_add_f32_e32 v5, v5, v27
	s_or_b64 exec, exec, s[2:3]
	s_and_saveexec_b64 s[2:3], vcc
	s_cbranch_execz .LBB205_1252
.LBB205_1280:
	ds_read_b32 v27, v26 offset:192
	s_waitcnt lgkmcnt(0)
	v_add_f32_e32 v6, v6, v27
	s_or_b64 exec, exec, s[2:3]
	s_and_saveexec_b64 s[2:3], vcc
	s_cbranch_execz .LBB205_1253
.LBB205_1281:
	ds_read_b32 v27, v26 offset:224
	s_waitcnt lgkmcnt(0)
	v_add_f32_e32 v7, v7, v27
	s_or_b64 exec, exec, s[2:3]
	s_and_saveexec_b64 s[2:3], vcc
	s_cbranch_execz .LBB205_1254
.LBB205_1282:
	ds_read_b32 v27, v26 offset:256
	s_waitcnt lgkmcnt(0)
	v_add_f32_e32 v8, v8, v27
	s_or_b64 exec, exec, s[2:3]
	s_and_saveexec_b64 s[2:3], vcc
	s_cbranch_execz .LBB205_1255
.LBB205_1283:
	ds_read_b32 v27, v26 offset:288
	s_waitcnt lgkmcnt(0)
	v_add_f32_e32 v9, v9, v27
	s_or_b64 exec, exec, s[2:3]
	s_and_saveexec_b64 s[2:3], vcc
	s_cbranch_execz .LBB205_1256
.LBB205_1284:
	ds_read_b32 v27, v26 offset:320
	s_waitcnt lgkmcnt(0)
	v_add_f32_e32 v10, v10, v27
	s_or_b64 exec, exec, s[2:3]
	s_and_saveexec_b64 s[2:3], vcc
	s_cbranch_execz .LBB205_1257
.LBB205_1285:
	ds_read_b32 v27, v26 offset:352
	s_waitcnt lgkmcnt(0)
	v_add_f32_e32 v11, v11, v27
	s_or_b64 exec, exec, s[2:3]
	s_and_saveexec_b64 s[2:3], vcc
	s_cbranch_execz .LBB205_1258
.LBB205_1286:
	ds_read_b32 v27, v26 offset:384
	s_waitcnt lgkmcnt(0)
	v_add_f32_e32 v12, v12, v27
	s_or_b64 exec, exec, s[2:3]
	s_and_saveexec_b64 s[2:3], vcc
	s_cbranch_execz .LBB205_1259
.LBB205_1287:
	ds_read_b32 v27, v26 offset:416
	s_waitcnt lgkmcnt(0)
	v_add_f32_e32 v13, v13, v27
	s_or_b64 exec, exec, s[2:3]
	s_and_saveexec_b64 s[2:3], vcc
	s_cbranch_execz .LBB205_1260
.LBB205_1288:
	ds_read_b32 v27, v26 offset:448
	s_waitcnt lgkmcnt(0)
	v_add_f32_e32 v14, v14, v27
	s_or_b64 exec, exec, s[2:3]
	s_and_saveexec_b64 s[2:3], vcc
	s_cbranch_execz .LBB205_1261
.LBB205_1289:
	ds_read_b32 v27, v26 offset:480
	s_waitcnt lgkmcnt(0)
	v_add_f32_e32 v15, v15, v27
	s_or_b64 exec, exec, s[2:3]
	s_and_saveexec_b64 s[2:3], vcc
	s_cbranch_execz .LBB205_1262
.LBB205_1290:
	ds_read_b32 v27, v26 offset:512
	s_waitcnt lgkmcnt(0)
	v_add_f32_e32 v16, v16, v27
	s_or_b64 exec, exec, s[2:3]
	s_and_saveexec_b64 s[2:3], vcc
	s_cbranch_execz .LBB205_1263
.LBB205_1291:
	ds_read_b32 v27, v26 offset:544
	s_waitcnt lgkmcnt(0)
	v_add_f32_e32 v17, v17, v27
	s_or_b64 exec, exec, s[2:3]
	s_and_saveexec_b64 s[2:3], vcc
	s_cbranch_execz .LBB205_1264
.LBB205_1292:
	ds_read_b32 v27, v26 offset:576
	s_waitcnt lgkmcnt(0)
	v_add_f32_e32 v18, v18, v27
	s_or_b64 exec, exec, s[2:3]
	s_and_saveexec_b64 s[2:3], vcc
	s_cbranch_execz .LBB205_1265
.LBB205_1293:
	ds_read_b32 v27, v26 offset:608
	s_waitcnt lgkmcnt(0)
	v_add_f32_e32 v19, v19, v27
	s_or_b64 exec, exec, s[2:3]
	s_and_saveexec_b64 s[2:3], vcc
	s_cbranch_execz .LBB205_1266
.LBB205_1294:
	ds_read_b32 v27, v26 offset:640
	s_waitcnt lgkmcnt(0)
	v_add_f32_e32 v20, v20, v27
	s_or_b64 exec, exec, s[2:3]
	s_and_saveexec_b64 s[2:3], vcc
	s_cbranch_execz .LBB205_1267
.LBB205_1295:
	ds_read_b32 v27, v26 offset:672
	s_waitcnt lgkmcnt(0)
	v_add_f32_e32 v21, v21, v27
	s_or_b64 exec, exec, s[2:3]
	s_and_saveexec_b64 s[2:3], vcc
	s_cbranch_execz .LBB205_1268
.LBB205_1296:
	ds_read_b32 v27, v26 offset:704
	s_waitcnt lgkmcnt(0)
	v_add_f32_e32 v22, v22, v27
	s_or_b64 exec, exec, s[2:3]
	s_and_saveexec_b64 s[2:3], vcc
	s_cbranch_execnz .LBB205_1269
	s_branch .LBB205_1270
	.section	.rodata,"a",@progbits
	.p2align	6, 0x0
	.amdhsa_kernel _ZN4vllm25paged_attention_v1_kernelIfhLi192ELi32ELi128ELNS_18Fp8KVCacheDataTypeE1ELb1EEEvPT_PKS2_PKT0_S8_ifPKiSA_iPKfiiiSC_SC_iiiii
		.amdhsa_group_segment_fixed_size 784
		.amdhsa_private_segment_fixed_size 876
		.amdhsa_kernarg_size 384
		.amdhsa_user_sgpr_count 6
		.amdhsa_user_sgpr_private_segment_buffer 1
		.amdhsa_user_sgpr_dispatch_ptr 0
		.amdhsa_user_sgpr_queue_ptr 0
		.amdhsa_user_sgpr_kernarg_segment_ptr 1
		.amdhsa_user_sgpr_dispatch_id 0
		.amdhsa_user_sgpr_flat_scratch_init 0
		.amdhsa_user_sgpr_private_segment_size 0
		.amdhsa_uses_dynamic_stack 0
		.amdhsa_system_sgpr_private_segment_wavefront_offset 1
		.amdhsa_system_sgpr_workgroup_id_x 1
		.amdhsa_system_sgpr_workgroup_id_y 1
		.amdhsa_system_sgpr_workgroup_id_z 1
		.amdhsa_system_sgpr_workgroup_info 0
		.amdhsa_system_vgpr_workitem_id 0
		.amdhsa_next_free_vgpr 64
		.amdhsa_next_free_sgpr 60
		.amdhsa_reserve_vcc 1
		.amdhsa_reserve_flat_scratch 0
		.amdhsa_float_round_mode_32 0
		.amdhsa_float_round_mode_16_64 0
		.amdhsa_float_denorm_mode_32 3
		.amdhsa_float_denorm_mode_16_64 3
		.amdhsa_dx10_clamp 1
		.amdhsa_ieee_mode 1
		.amdhsa_fp16_overflow 0
		.amdhsa_exception_fp_ieee_invalid_op 0
		.amdhsa_exception_fp_denorm_src 0
		.amdhsa_exception_fp_ieee_div_zero 0
		.amdhsa_exception_fp_ieee_overflow 0
		.amdhsa_exception_fp_ieee_underflow 0
		.amdhsa_exception_fp_ieee_inexact 0
		.amdhsa_exception_int_div_zero 0
	.end_amdhsa_kernel
	.section	.text._ZN4vllm25paged_attention_v1_kernelIfhLi192ELi32ELi128ELNS_18Fp8KVCacheDataTypeE1ELb1EEEvPT_PKS2_PKT0_S8_ifPKiSA_iPKfiiiSC_SC_iiiii,"axG",@progbits,_ZN4vllm25paged_attention_v1_kernelIfhLi192ELi32ELi128ELNS_18Fp8KVCacheDataTypeE1ELb1EEEvPT_PKS2_PKT0_S8_ifPKiSA_iPKfiiiSC_SC_iiiii,comdat
.Lfunc_end205:
	.size	_ZN4vllm25paged_attention_v1_kernelIfhLi192ELi32ELi128ELNS_18Fp8KVCacheDataTypeE1ELb1EEEvPT_PKS2_PKT0_S8_ifPKiSA_iPKfiiiSC_SC_iiiii, .Lfunc_end205-_ZN4vllm25paged_attention_v1_kernelIfhLi192ELi32ELi128ELNS_18Fp8KVCacheDataTypeE1ELb1EEEvPT_PKS2_PKT0_S8_ifPKiSA_iPKfiiiSC_SC_iiiii
                                        ; -- End function
	.set _ZN4vllm25paged_attention_v1_kernelIfhLi192ELi32ELi128ELNS_18Fp8KVCacheDataTypeE1ELb1EEEvPT_PKS2_PKT0_S8_ifPKiSA_iPKfiiiSC_SC_iiiii.num_vgpr, 64
	.set _ZN4vllm25paged_attention_v1_kernelIfhLi192ELi32ELi128ELNS_18Fp8KVCacheDataTypeE1ELb1EEEvPT_PKS2_PKT0_S8_ifPKiSA_iPKfiiiSC_SC_iiiii.num_agpr, 0
	.set _ZN4vllm25paged_attention_v1_kernelIfhLi192ELi32ELi128ELNS_18Fp8KVCacheDataTypeE1ELb1EEEvPT_PKS2_PKT0_S8_ifPKiSA_iPKfiiiSC_SC_iiiii.numbered_sgpr, 60
	.set _ZN4vllm25paged_attention_v1_kernelIfhLi192ELi32ELi128ELNS_18Fp8KVCacheDataTypeE1ELb1EEEvPT_PKS2_PKT0_S8_ifPKiSA_iPKfiiiSC_SC_iiiii.num_named_barrier, 0
	.set _ZN4vllm25paged_attention_v1_kernelIfhLi192ELi32ELi128ELNS_18Fp8KVCacheDataTypeE1ELb1EEEvPT_PKS2_PKT0_S8_ifPKiSA_iPKfiiiSC_SC_iiiii.private_seg_size, 876
	.set _ZN4vllm25paged_attention_v1_kernelIfhLi192ELi32ELi128ELNS_18Fp8KVCacheDataTypeE1ELb1EEEvPT_PKS2_PKT0_S8_ifPKiSA_iPKfiiiSC_SC_iiiii.uses_vcc, 1
	.set _ZN4vllm25paged_attention_v1_kernelIfhLi192ELi32ELi128ELNS_18Fp8KVCacheDataTypeE1ELb1EEEvPT_PKS2_PKT0_S8_ifPKiSA_iPKfiiiSC_SC_iiiii.uses_flat_scratch, 0
	.set _ZN4vllm25paged_attention_v1_kernelIfhLi192ELi32ELi128ELNS_18Fp8KVCacheDataTypeE1ELb1EEEvPT_PKS2_PKT0_S8_ifPKiSA_iPKfiiiSC_SC_iiiii.has_dyn_sized_stack, 0
	.set _ZN4vllm25paged_attention_v1_kernelIfhLi192ELi32ELi128ELNS_18Fp8KVCacheDataTypeE1ELb1EEEvPT_PKS2_PKT0_S8_ifPKiSA_iPKfiiiSC_SC_iiiii.has_recursion, 0
	.set _ZN4vllm25paged_attention_v1_kernelIfhLi192ELi32ELi128ELNS_18Fp8KVCacheDataTypeE1ELb1EEEvPT_PKS2_PKT0_S8_ifPKiSA_iPKfiiiSC_SC_iiiii.has_indirect_call, 0
	.section	.AMDGPU.csdata,"",@progbits
; Kernel info:
; codeLenInByte = 60748
; TotalNumSgprs: 64
; NumVgprs: 64
; ScratchSize: 876
; MemoryBound: 0
; FloatMode: 240
; IeeeMode: 1
; LDSByteSize: 784 bytes/workgroup (compile time only)
; SGPRBlocks: 7
; VGPRBlocks: 15
; NumSGPRsForWavesPerEU: 64
; NumVGPRsForWavesPerEU: 64
; Occupancy: 4
; WaveLimiterHint : 1
; COMPUTE_PGM_RSRC2:SCRATCH_EN: 1
; COMPUTE_PGM_RSRC2:USER_SGPR: 6
; COMPUTE_PGM_RSRC2:TRAP_HANDLER: 0
; COMPUTE_PGM_RSRC2:TGID_X_EN: 1
; COMPUTE_PGM_RSRC2:TGID_Y_EN: 1
; COMPUTE_PGM_RSRC2:TGID_Z_EN: 1
; COMPUTE_PGM_RSRC2:TIDIG_COMP_CNT: 0
	.text
	.p2align	2                               ; -- Begin function _ZN4vllm22paged_attention_kernelIfhLi256ELi32ELi128ELNS_18Fp8KVCacheDataTypeE1ELb1ELi0EEEvPfS2_PT_PKS3_PKT0_S9_ifPKiSB_iPKfiiiSD_SD_iiiii
	.type	_ZN4vllm22paged_attention_kernelIfhLi256ELi32ELi128ELNS_18Fp8KVCacheDataTypeE1ELb1ELi0EEEvPfS2_PT_PKS3_PKT0_S9_ifPKiSB_iPKfiiiSD_SD_iiiii,@function
_ZN4vllm22paged_attention_kernelIfhLi256ELi32ELi128ELNS_18Fp8KVCacheDataTypeE1ELb1ELi0EEEvPfS2_PT_PKS3_PKT0_S9_ifPKiSB_iPKfiiiSD_SD_iiiii: ; @_ZN4vllm22paged_attention_kernelIfhLi256ELi32ELi128ELNS_18Fp8KVCacheDataTypeE1ELb1ELi0EEEvPfS2_PT_PKS3_PKT0_S9_ifPKiSB_iPKfiiiSD_SD_iiiii
; %bb.0:
	s_waitcnt vmcnt(0) expcnt(0) lgkmcnt(0)
	s_mov_b32 s16, s13
	s_ashr_i32 s17, s13, 31
	s_lshl_b64 s[4:5], s[16:17], 2
	buffer_store_dword v40, off, s[0:3], s32 offset:60 ; 4-byte Folded Spill
	buffer_store_dword v41, off, s[0:3], s32 offset:56 ; 4-byte Folded Spill
	;; [unrolled: 1-line block ×15, first 2 shown]
	buffer_store_dword v63, off, s[0:3], s32 ; 4-byte Folded Spill
	buffer_store_dword v26, off, s[0:3], s32 offset:1260 ; 4-byte Folded Spill
	buffer_store_dword v18, off, s[0:3], s32 offset:988 ; 4-byte Folded Spill
	;; [unrolled: 1-line block ×9, first 2 shown]
	v_mov_b32_e32 v1, s5
	v_add_co_u32_e32 v0, vcc, s4, v12
	buffer_store_dword v22, off, s[0:3], s32 offset:1212 ; 4-byte Folded Spill
	s_nop 0
	buffer_store_dword v23, off, s[0:3], s32 offset:1216 ; 4-byte Folded Spill
	buffer_store_dword v20, off, s[0:3], s32 offset:1220 ; 4-byte Folded Spill
	s_nop 0
	buffer_store_dword v21, off, s[0:3], s32 offset:1224 ; 4-byte Folded Spill
	v_addc_co_u32_e32 v1, vcc, v13, v1, vcc
	flat_load_dword v0, v[0:1]
	v_sub_u32_e32 v6, 0, v8
	v_max_i32_e32 v6, v8, v6
	v_cvt_f32_u32_e32 v7, v6
	s_load_dword s4, s[8:9], 0x10
	s_load_dword s6, s[8:9], 0x0
	v_sub_u32_e32 v1, 0, v6
	s_mov_b32 s20, s15
	s_waitcnt lgkmcnt(0)
	s_lshr_b32 s4, s4, 16
	s_cmp_lg_u32 s4, 0
	s_cselect_b64 s[4:5], -1, 0
	s_cmp_lg_u64 s[4:5], 0
	s_addc_u32 s15, s6, 0
	s_abs_i32 s4, s15
	s_abs_i32 s6, s12
	s_waitcnt vmcnt(0)
	buffer_store_dword v0, off, s[0:3], s32 offset:72 ; 4-byte Folded Spill
	v_rcp_iflag_f32_e32 v0, v7
	v_mul_f32_e32 v0, 0x4f7ffffe, v0
	v_cvt_u32_f32_e32 v0, v0
	v_mul_lo_u32 v1, v1, v0
	v_mul_hi_u32 v1, v0, v1
	v_add_u32_e32 v0, v0, v1
	v_mul_hi_u32 v0, s4, v0
	v_mul_lo_u32 v1, v0, v6
	v_add_u32_e32 v7, 1, v0
	v_sub_u32_e32 v1, s4, v1
	v_cmp_ge_u32_e32 vcc, v1, v6
	v_cndmask_b32_e32 v0, v0, v7, vcc
	v_sub_u32_e32 v7, v1, v6
	v_cndmask_b32_e32 v1, v1, v7, vcc
	v_add_u32_e32 v7, 1, v0
	v_cmp_ge_u32_e32 vcc, v1, v6
	v_xor_b32_e32 v1, s15, v8
	v_cndmask_b32_e32 v0, v0, v7, vcc
	v_ashrrev_i32_e32 v1, 31, v1
	v_xor_b32_e32 v0, v0, v1
	v_sub_u32_e32 v6, v0, v1
	v_sub_u32_e32 v0, 0, v6
	v_max_i32_e32 v7, v6, v0
	v_cvt_f32_u32_e32 v0, v7
	v_sub_u32_e32 v1, 0, v7
	v_cmp_ne_u64_e32 vcc, 0, v[15:16]
	v_rcp_iflag_f32_e32 v0, v0
	v_mul_f32_e32 v0, 0x4f7ffffe, v0
	v_cvt_u32_f32_e32 v0, v0
	v_mul_lo_u32 v1, v1, v0
	v_mul_hi_u32 v1, v0, v1
	v_add_u32_e32 v0, v0, v1
	v_mad_u64_u32 v[0:1], s[4:5], s6, v0, 0
	v_mov_b32_e32 v0, 0
	buffer_store_dword v0, off, s[0:3], s32 offset:1244 ; 4-byte Folded Spill
	s_and_saveexec_b64 s[4:5], vcc
	s_cbranch_execz .LBB206_2
; %bb.1:
	s_ashr_i32 s13, s12, 31
	s_lshl_b64 s[10:11], s[12:13], 2
	v_mov_b32_e32 v0, s11
	v_add_co_u32_e32 v9, vcc, s10, v15
	v_addc_co_u32_e32 v10, vcc, v16, v0, vcc
	flat_load_dword v0, v[9:10]
	s_waitcnt vmcnt(0) lgkmcnt(0)
	buffer_store_dword v0, off, s[0:3], s32 offset:1244 ; 4-byte Folded Spill
.LBB206_2:
	s_or_b64 exec, exec, s[4:5]
	v_and_b32_e32 v9, 0x3ff, v31
	s_movk_i32 s4, 0x80
	s_ashr_i32 s7, s12, 31
	v_ashrrev_i32_e32 v0, 31, v6
	v_and_b32_e32 v6, 1, v31
	s_lshl_b32 s18, s12, 8
	v_cmp_gt_u32_e32 vcc, s4, v9
	buffer_store_dword v9, off, s[0:3], s32 offset:1208 ; 4-byte Folded Spill
	v_lshlrev_b32_e32 v9, 2, v9
	buffer_store_dword v9, off, s[0:3], s32 offset:1272 ; 4-byte Folded Spill
	s_and_saveexec_b64 s[4:5], vcc
	s_cbranch_execz .LBB206_4
; %bb.3:
	v_mul_lo_u32 v9, v17, s16
	s_ashr_i32 s19, s18, 31
	s_lshl_b64 s[10:11], s[18:19], 2
	v_ashrrev_i32_e32 v10, 31, v9
	v_lshlrev_b64 v[9:10], 2, v[9:10]
	v_add_co_u32_e32 v2, vcc, v2, v9
	v_addc_co_u32_e32 v3, vcc, v3, v10, vcc
	v_mov_b32_e32 v9, s11
	v_add_co_u32_e32 v2, vcc, s10, v2
	v_addc_co_u32_e32 v3, vcc, v3, v9, vcc
	buffer_load_dword v9, off, s[0:3], s32 offset:1208 ; 4-byte Folded Reload
	s_waitcnt vmcnt(0)
	v_lshlrev_b32_e32 v9, 3, v9
	v_add_co_u32_e32 v2, vcc, v2, v9
	buffer_load_dword v9, off, s[0:3], s32 offset:1272 ; 4-byte Folded Reload
	v_addc_co_u32_e32 v3, vcc, 0, v3, vcc
	flat_load_dwordx2 v[2:3], v[2:3]
	s_waitcnt vmcnt(0)
	v_and_b32_e32 v9, 0xff8, v9
	v_lshl_add_u32 v9, v6, 9, v9
	s_waitcnt lgkmcnt(0)
	ds_write_b64 v9, v[2:3]
.LBB206_4:
	s_or_b64 exec, exec, s[4:5]
	v_sub_u32_e32 v3, 0, v27
	v_max_i32_e32 v11, v27, v3
	v_cvt_f32_u32_e32 v3, v11
	v_mul_lo_u32 v2, v1, v7
	v_add_u32_e32 v9, 1, v1
	v_xor_b32_e32 v0, s7, v0
	v_rcp_iflag_f32_e32 v3, v3
	v_sub_u32_e32 v2, s6, v2
	v_cmp_ge_u32_e32 vcc, v2, v7
	v_cndmask_b32_e32 v1, v1, v9, vcc
	v_mul_f32_e32 v3, 0x4f7ffffe, v3
	v_cvt_u32_f32_e32 v10, v3
	v_sub_u32_e32 v9, v2, v7
	v_cndmask_b32_e32 v2, v2, v9, vcc
	v_cmp_ge_u32_e32 vcc, v2, v7
	v_sub_u32_e32 v2, 0, v11
	v_mul_lo_u32 v2, v2, v10
	v_add_u32_e32 v9, 1, v1
	v_cndmask_b32_e32 v1, v1, v9, vcc
	v_xor_b32_e32 v1, v1, v0
	buffer_store_dword v11, off, s[0:3], s32 offset:128 ; 4-byte Folded Spill
	v_sub_u32_e32 v0, v1, v0
	s_waitcnt lgkmcnt(0)
	v_mul_hi_u32 v1, v10, v2
	buffer_load_dword v2, off, s[0:3], s32 offset:72 ; 4-byte Folded Reload
	v_cmp_gt_i32_e32 vcc, 0, v28
	v_add_u32_e32 v1, v10, v1
	buffer_store_dword v1, off, s[0:3], s32 offset:136 ; 4-byte Folded Spill
	s_waitcnt vmcnt(0)
	s_barrier
	v_add_u32_e32 v7, -1, v2
	v_sub_u32_e32 v2, 0, v7
	v_max_i32_e32 v3, v7, v2
	v_mad_u64_u32 v[1:2], s[4:5], v3, v1, 0
                                        ; implicit-def: $vgpr1
	buffer_store_dword v1, off, s[0:3], s32 offset:120 ; 4-byte Folded Spill
	s_nop 0
	buffer_store_dword v2, off, s[0:3], s32 offset:124 ; 4-byte Folded Spill
	s_and_saveexec_b64 s[4:5], vcc
	s_xor_b64 s[4:5], exec, s[4:5]
	s_cbranch_execz .LBB206_6
; %bb.5:
	v_mad_u64_u32 v[8:9], s[6:7], v24, v8, v[0:1]
                                        ; implicit-def: $vgpr24
	v_mul_lo_u32 v1, v8, v28
                                        ; implicit-def: $vgpr28
	v_sub_u32_e32 v1, 1, v1
	buffer_store_dword v1, off, s[0:3], s32 offset:120 ; 4-byte Folded Spill
	s_nop 0
	buffer_store_dword v2, off, s[0:3], s32 offset:124 ; 4-byte Folded Spill
.LBB206_6:
	s_or_saveexec_b64 s[4:5], s[4:5]
	v_ashrrev_i32_e32 v1, 31, v7
	v_ashrrev_i32_e32 v7, 31, v27
	buffer_store_dword v7, off, s[0:3], s32 offset:132 ; 4-byte Folded Spill
	s_xor_b64 exec, exec, s[4:5]
	s_cbranch_execz .LBB206_8
; %bb.7:
	v_mul_lo_u32 v7, s15, v24
	v_add_u32_e32 v7, s12, v7
	v_mad_u64_u32 v[7:8], s[6:7], v7, v28, 1
	buffer_store_dword v7, off, s[0:3], s32 offset:120 ; 4-byte Folded Spill
	s_nop 0
	buffer_store_dword v8, off, s[0:3], s32 offset:124 ; 4-byte Folded Spill
.LBB206_8:
	s_or_b64 exec, exec, s[4:5]
	buffer_load_dword v10, off, s[0:3], s32 offset:128 ; 4-byte Folded Reload
	s_load_dword s19, s[8:9], 0x14
	s_load_dword s17, s[8:9], 0x8
	buffer_load_dword v11, off, s[0:3], s32 offset:132 ; 4-byte Folded Reload
	v_mul_lo_u32 v12, v0, v19
	v_mul_lo_u32 v7, v14, s16
	v_ashrrev_i32_e32 v13, 31, v12
	v_ashrrev_i32_e32 v8, 31, v7
	s_waitcnt vmcnt(1)
	v_mul_lo_u32 v9, v2, v10
	s_waitcnt vmcnt(0)
	v_xor_b32_e32 v1, v1, v11
	v_sub_u32_e32 v3, v3, v9
	v_add_u32_e32 v9, 1, v2
	v_cmp_ge_u32_e32 vcc, v3, v10
	v_cndmask_b32_e32 v2, v2, v9, vcc
	v_sub_u32_e32 v9, v3, v10
	v_cndmask_b32_e32 v3, v3, v9, vcc
	v_add_u32_e32 v9, 1, v2
	v_cmp_ge_u32_e32 vcc, v3, v10
	v_cndmask_b32_e32 v2, v2, v9, vcc
	v_xor_b32_e32 v2, v2, v1
	v_sub_u32_e32 v1, v2, v1
	buffer_load_dword v2, off, s[0:3], s32 offset:72 ; 4-byte Folded Reload
	v_sub_u32_e32 v0, v1, v25
	buffer_store_dword v0, off, s[0:3], s32 offset:140 ; 4-byte Folded Spill
	buffer_load_dword v0, off, s[0:3], s32 offset:1260 ; 4-byte Folded Reload
	v_mov_b32_e32 v10, 0xff7fffff
	s_waitcnt vmcnt(2)
	v_add_u32_e32 v2, 31, v2
	v_ashrrev_i32_e32 v3, 31, v2
	v_lshrrev_b32_e32 v3, 27, v3
	v_add_u32_e32 v2, v2, v3
	v_ashrrev_i32_e32 v3, 5, v2
	buffer_load_dword v2, off, s[0:3], s32 offset:1208 ; 4-byte Folded Reload
	s_waitcnt vmcnt(1)
	v_sub_u32_e32 v14, 0, v0
	buffer_store_dword v3, off, s[0:3], s32 offset:96 ; 4-byte Folded Spill
	s_waitcnt vmcnt(1)
	v_lshrrev_b32_e32 v9, 6, v2
	v_lshlrev_b32_e32 v0, 5, v9
	buffer_store_dword v0, off, s[0:3], s32 offset:100 ; 4-byte Folded Spill
	v_lshrrev_b32_e32 v0, 4, v2
	buffer_store_dword v0, off, s[0:3], s32 offset:1276 ; 4-byte Folded Spill
	v_lshlrev_b64 v[0:1], 2, v[7:8]
	buffer_store_dword v9, off, s[0:3], s32 offset:92 ; 4-byte Folded Spill
	buffer_store_dword v0, off, s[0:3], s32 offset:1280 ; 4-byte Folded Spill
	s_nop 0
	buffer_store_dword v1, off, s[0:3], s32 offset:1284 ; 4-byte Folded Spill
	v_cmp_ge_i32_e64 s[4:5], v9, v3
	v_cmp_lt_i32_e32 vcc, v9, v3
	v_mbcnt_lo_u32_b32 v0, -1, 0
	s_and_saveexec_b64 s[12:13], vcc
	s_cbranch_execz .LBB206_788
; %bb.9:
	v_mov_b32_e32 v7, v0
	buffer_load_dword v0, off, s[0:3], s32 offset:1208 ; 4-byte Folded Reload
	s_ashr_i32 s21, s20, 31
	s_lshl_b64 s[8:9], s[20:21], 2
	v_add_co_u32_e32 v1, vcc, v4, v12
	s_getpc_b64 s[10:11]
	s_add_u32 s10, s10, llvm.amdgcn.dynlds.offset.table@rel32@lo+4
	s_addc_u32 s11, s11, llvm.amdgcn.dynlds.offset.table@rel32@hi+12
	v_addc_co_u32_e32 v2, vcc, v5, v13, vcc
	s_add_u32 s22, s10, s8
	s_addc_u32 s23, s11, s9
	buffer_store_dword v14, off, s[0:3], s32 offset:1312 ; 4-byte Folded Spill
	s_load_dword s21, s[22:23], 0x0
	buffer_store_dword v12, off, s[0:3], s32 offset:1304 ; 4-byte Folded Spill
	buffer_store_dword v13, off, s[0:3], s32 offset:1308 ; 4-byte Folded Spill
	v_cmp_eq_u32_e64 s[6:7], 0, v6
	v_mov_b32_e32 v24, 0
	v_lshlrev_b32_e32 v10, 9, v6
	s_mov_b64 s[24:25], 0
	s_movk_i32 s42, 0x80
	s_movk_i32 s43, 0x7f
	s_brev_b32 s44, 1
	v_bfrev_b32_e32 v25, 1
	s_waitcnt vmcnt(3)
	v_bfe_u32 v8, v0, 1, 5
	buffer_load_dword v0, off, s[0:3], s32 offset:1260 ; 4-byte Folded Reload
	v_lshlrev_b32_e32 v3, 4, v8
	v_add_co_u32_e32 v1, vcc, v1, v3
	v_addc_co_u32_e32 v2, vcc, 0, v2, vcc
	v_lshlrev_b32_e32 v3, 1, v6
	s_waitcnt vmcnt(0)
	v_max_i32_e32 v9, v0, v14
	buffer_store_dword v1, off, s[0:3], s32 offset:1232 ; 4-byte Folded Spill
	s_nop 0
	buffer_store_dword v2, off, s[0:3], s32 offset:1236 ; 4-byte Folded Spill
	buffer_store_dword v9, off, s[0:3], s32 offset:992 ; 4-byte Folded Spill
	buffer_load_dword v2, off, s[0:3], s32 offset:1244 ; 4-byte Folded Reload
	v_cvt_f32_u32_e32 v0, v9
	v_sub_u32_e32 v1, 0, v9
	v_rcp_iflag_f32_e32 v0, v0
	v_mul_f32_e32 v0, 0x4f7ffffe, v0
	v_cvt_u32_f32_e32 v0, v0
	v_mul_lo_u32 v1, v1, v0
	v_mul_hi_u32 v1, v0, v1
	v_add_u32_e32 v0, v0, v1
	s_waitcnt vmcnt(0)
	v_cmp_neq_f32_e64 s[8:9], 0, v2
	v_or_b32_e32 v2, 4, v3
	buffer_store_dword v2, off, s[0:3], s32 offset:80 ; 4-byte Folded Spill
	v_or_b32_e32 v2, 8, v3
	buffer_store_dword v2, off, s[0:3], s32 offset:84 ; 4-byte Folded Spill
	buffer_store_dword v3, off, s[0:3], s32 offset:76 ; 4-byte Folded Spill
	v_or_b32_e32 v2, 12, v3
	buffer_store_dword v2, off, s[0:3], s32 offset:88 ; 4-byte Folded Spill
	buffer_load_dword v2, off, s[0:3], s32 offset:92 ; 4-byte Folded Reload
	s_waitcnt vmcnt(0)
	v_lshlrev_b32_e32 v5, 5, v2
	buffer_store_dword v0, off, s[0:3], s32 offset:996 ; 4-byte Folded Spill
	v_lshlrev_b32_e32 v0, 2, v8
	v_lshl_or_b32 v0, v2, 7, v0
	buffer_store_dword v0, off, s[0:3], s32 offset:104 ; 4-byte Folded Spill
	buffer_load_dword v0, off, s[0:3], s32 offset:72 ; 4-byte Folded Reload
	s_waitcnt vmcnt(0)
	v_sub_u32_e32 v0, v8, v0
	v_add_u32_e32 v0, 1, v0
	buffer_store_dword v0, off, s[0:3], s32 offset:1256 ; 4-byte Folded Spill
	buffer_load_dword v0, off, s[0:3], s32 offset:1276 ; 4-byte Folded Reload
	s_waitcnt vmcnt(0)
	v_and_b32_e32 v0, 60, v0
	buffer_store_dword v8, off, s[0:3], s32 offset:1252 ; 4-byte Folded Spill
	buffer_load_dword v3, off, s[0:3], s32 offset:1280 ; 4-byte Folded Reload
	buffer_load_dword v4, off, s[0:3], s32 offset:1284 ; 4-byte Folded Reload
	s_waitcnt vmcnt(1)
	v_add_co_u32_e32 v0, vcc, v0, v3
	buffer_load_dword v3, off, s[0:3], s32 offset:1268 ; 4-byte Folded Reload
	s_waitcnt vmcnt(1)
	v_addc_co_u32_e32 v1, vcc, 0, v4, vcc
	s_waitcnt vmcnt(0)
	v_add_co_u32_e32 v3, vcc, v3, v0
	buffer_load_dword v0, off, s[0:3], s32 offset:1264 ; 4-byte Folded Reload
	s_waitcnt vmcnt(0)
	v_addc_co_u32_e32 v4, vcc, v0, v1, vcc
	buffer_store_dword v3, off, s[0:3], s32 offset:108 ; 4-byte Folded Spill
	s_nop 0
	buffer_store_dword v4, off, s[0:3], s32 offset:112 ; 4-byte Folded Spill
	v_mbcnt_hi_u32_b32 v0, -1, v7
	v_mov_b32_e32 v1, v5
	buffer_store_dword v0, off, s[0:3], s32 offset:1240 ; 4-byte Folded Spill
	v_mov_b32_e32 v0, 0xff7fffff
	v_mov_b32_e32 v4, v2
	;; [unrolled: 1-line block ×3, first 2 shown]
	buffer_store_dword v0, off, s[0:3], s32 offset:1228 ; 4-byte Folded Spill
	buffer_store_dword v1, off, s[0:3], s32 offset:64 ; 4-byte Folded Spill
	s_nop 0
	buffer_store_dword v2, off, s[0:3], s32 offset:68 ; 4-byte Folded Spill
	s_branch .LBB206_12
.LBB206_10:                             ;   in Loop: Header=BB206_12 Depth=1
	s_or_b64 exec, exec, s[26:27]
.LBB206_11:                             ;   in Loop: Header=BB206_12 Depth=1
	s_or_b64 exec, exec, s[10:11]
	s_waitcnt lgkmcnt(0)
	buffer_load_dword v1, off, s[0:3], s32 offset:116 ; 4-byte Folded Reload
	buffer_load_dword v4, off, s[0:3], s32 offset:144 ; 4-byte Folded Reload
	;; [unrolled: 1-line block ×3, first 2 shown]
	s_waitcnt vmcnt(2)
	v_add_u32_e32 v1, 64, v1
	s_waitcnt vmcnt(1)
	v_add_u32_e32 v4, 2, v4
	;; [unrolled: 2-line block ×3, first 2 shown]
	buffer_store_dword v0, off, s[0:3], s32 offset:104 ; 4-byte Folded Spill
	buffer_load_dword v0, off, s[0:3], s32 offset:96 ; 4-byte Folded Reload
	s_nop 0
	buffer_load_dword v2, off, s[0:3], s32 offset:108 ; 4-byte Folded Reload
	buffer_load_dword v3, off, s[0:3], s32 offset:112 ; 4-byte Folded Reload
	s_waitcnt vmcnt(2)
	v_cmp_ge_i32_e32 vcc, v4, v0
	s_or_b64 s[24:25], vcc, s[24:25]
	s_waitcnt vmcnt(1)
	v_add_co_u32_e32 v2, vcc, 8, v2
	s_waitcnt vmcnt(0)
	v_addc_co_u32_e32 v3, vcc, 0, v3, vcc
	buffer_store_dword v2, off, s[0:3], s32 offset:108 ; 4-byte Folded Spill
	s_nop 0
	buffer_store_dword v3, off, s[0:3], s32 offset:112 ; 4-byte Folded Spill
	s_andn2_b64 exec, exec, s[24:25]
	s_cbranch_execz .LBB206_787
.LBB206_12:                             ; =>This Inner Loop Header: Depth=1
	buffer_load_dword v0, off, s[0:3], s32 offset:136 ; 4-byte Folded Reload
	buffer_load_dword v3, off, s[0:3], s32 offset:128 ; 4-byte Folded Reload
	s_waitcnt vmcnt(1)
	v_mul_hi_u32 v0, v1, v0
	buffer_store_dword v4, off, s[0:3], s32 offset:144 ; 4-byte Folded Spill
	v_mov_b32_e32 v4, v1
	buffer_store_dword v4, off, s[0:3], s32 offset:116 ; 4-byte Folded Spill
	s_waitcnt vmcnt(2)
	v_mul_lo_u32 v1, v0, v3
	v_add_u32_e32 v2, 1, v0
	v_sub_u32_e32 v1, v4, v1
	v_cmp_ge_u32_e32 vcc, v1, v3
	v_cndmask_b32_e32 v0, v0, v2, vcc
	v_sub_u32_e32 v2, v1, v3
	v_cndmask_b32_e32 v1, v1, v2, vcc
	v_cmp_ge_u32_e32 vcc, v1, v3
	buffer_load_dword v1, off, s[0:3], s32 offset:132 ; 4-byte Folded Reload
	v_add_u32_e32 v2, 1, v0
	v_cndmask_b32_e32 v0, v0, v2, vcc
	s_waitcnt vmcnt(0)
	v_xor_b32_e32 v0, v0, v1
	v_sub_u32_e32 v0, v0, v1
	buffer_load_dword v1, off, s[0:3], s32 offset:120 ; 4-byte Folded Reload
	buffer_load_dword v2, off, s[0:3], s32 offset:124 ; 4-byte Folded Reload
	;; [unrolled: 1-line block ×4, first 2 shown]
	s_waitcnt vmcnt(3)
	v_add_u32_e32 v1, v0, v1
	s_waitcnt vmcnt(2)
	v_sub_u32_e32 v2, 0, v1
	v_max_i32_e32 v2, v1, v2
	s_waitcnt vmcnt(1)
	v_mul_hi_u32 v3, v2, v3
	v_ashrrev_i32_e32 v1, 31, v1
	s_waitcnt vmcnt(0)
	v_mul_lo_u32 v3, v3, v4
	v_sub_u32_e32 v2, v2, v3
	v_sub_u32_e32 v3, v2, v4
	v_cmp_ge_u32_e32 vcc, v2, v4
	v_cndmask_b32_e32 v2, v2, v3, vcc
	v_sub_u32_e32 v3, v2, v4
	v_cmp_ge_u32_e32 vcc, v2, v4
	v_cndmask_b32_e32 v2, v2, v3, vcc
	v_xor_b32_e32 v2, v2, v1
	v_sub_u32_e32 v1, v2, v1
	v_cmp_ne_u32_e32 vcc, 0, v1
	buffer_load_dword v1, off, s[0:3], s32 offset:140 ; 4-byte Folded Reload
	s_waitcnt vmcnt(0)
	v_cmp_le_i32_e64 s[10:11], v0, v1
	s_and_b64 s[10:11], vcc, s[10:11]
	s_and_saveexec_b64 s[26:27], s[10:11]
	s_xor_b64 s[10:11], exec, s[26:27]
	s_cbranch_execz .LBB206_16
; %bb.13:                               ;   in Loop: Header=BB206_12 Depth=1
	s_and_saveexec_b64 s[26:27], s[6:7]
	s_cbranch_execz .LBB206_15
; %bb.14:                               ;   in Loop: Header=BB206_12 Depth=1
	buffer_load_dword v0, off, s[0:3], s32 offset:104 ; 4-byte Folded Reload
	v_mov_b32_e32 v1, 0xff7fffff
	s_waitcnt vmcnt(0) lgkmcnt(0)
	v_add_u32_e32 v0, s21, v0
	ds_write_b32 v0, v1
.LBB206_15:                             ;   in Loop: Header=BB206_12 Depth=1
	s_or_b64 exec, exec, s[26:27]
.LBB206_16:                             ;   in Loop: Header=BB206_12 Depth=1
	s_andn2_saveexec_b64 s[10:11], s[10:11]
	s_cbranch_execz .LBB206_11
; %bb.17:                               ;   in Loop: Header=BB206_12 Depth=1
	buffer_load_dword v0, off, s[0:3], s32 offset:108 ; 4-byte Folded Reload
	buffer_load_dword v1, off, s[0:3], s32 offset:112 ; 4-byte Folded Reload
	s_waitcnt vmcnt(0)
	flat_load_dword v0, v[0:1]
	s_nop 0
	buffer_load_dword v1, off, s[0:3], s32 offset:988 ; 4-byte Folded Reload
	buffer_load_dword v2, off, s[0:3], s32 offset:1232 ; 4-byte Folded Reload
	;; [unrolled: 1-line block ×3, first 2 shown]
	s_waitcnt vmcnt(0) lgkmcnt(0)
	v_mad_i64_i32 v[0:1], s[26:27], v0, v1, v[2:3]
	buffer_load_dword v2, off, s[0:3], s32 offset:76 ; 4-byte Folded Reload
	s_waitcnt vmcnt(0)
	v_add_co_u32_e32 v2, vcc, v0, v2
	v_addc_co_u32_e32 v3, vcc, 0, v1, vcc
	flat_load_ushort v5, v[2:3]
	buffer_load_dword v6, off, s[0:3], s32 offset:1220 ; 4-byte Folded Reload
	buffer_load_dword v7, off, s[0:3], s32 offset:1224 ; 4-byte Folded Reload
	s_waitcnt vmcnt(0) lgkmcnt(0)
	v_and_b32_e32 v4, 0xffff, v5
	flat_load_dword v13, v[6:7]
	ds_read_b128 v[6:9], v10
	s_waitcnt lgkmcnt(0)
	buffer_store_dword v6, off, s[0:3], s32 offset:1168 ; 4-byte Folded Spill
	s_nop 0
	buffer_store_dword v7, off, s[0:3], s32 offset:1172 ; 4-byte Folded Spill
	buffer_store_dword v8, off, s[0:3], s32 offset:1176 ; 4-byte Folded Spill
	buffer_store_dword v9, off, s[0:3], s32 offset:1180 ; 4-byte Folded Spill
	ds_read_b128 v[6:9], v10 offset:16
	s_waitcnt lgkmcnt(0)
	buffer_store_dword v6, off, s[0:3], s32 offset:1152 ; 4-byte Folded Spill
	s_nop 0
	buffer_store_dword v7, off, s[0:3], s32 offset:1156 ; 4-byte Folded Spill
	buffer_store_dword v8, off, s[0:3], s32 offset:1160 ; 4-byte Folded Spill
	buffer_store_dword v9, off, s[0:3], s32 offset:1164 ; 4-byte Folded Spill
	ds_read_b128 v[6:9], v10 offset:32
	;; [unrolled: 7-line block ×7, first 2 shown]
	s_waitcnt lgkmcnt(0)
	buffer_store_dword v6, off, s[0:3], s32 offset:1056 ; 4-byte Folded Spill
	s_nop 0
	buffer_store_dword v7, off, s[0:3], s32 offset:1060 ; 4-byte Folded Spill
	buffer_store_dword v8, off, s[0:3], s32 offset:1064 ; 4-byte Folded Spill
	;; [unrolled: 1-line block ×3, first 2 shown]
	ds_read_b64 v[6:7], v10 offset:192
	s_waitcnt lgkmcnt(0)
	buffer_store_dword v6, off, s[0:3], s32 offset:1016 ; 4-byte Folded Spill
	s_nop 0
	buffer_store_dword v7, off, s[0:3], s32 offset:1020 ; 4-byte Folded Spill
	v_mov_b32_e32 v6, 0
	v_mov_b32_e32 v7, 0
	buffer_store_dword v6, off, s[0:3], s32 offset:156 ; 4-byte Folded Spill
	s_nop 0
	buffer_store_dword v7, off, s[0:3], s32 offset:160 ; 4-byte Folded Spill
	v_mov_b32_e32 v6, 0
	v_mov_b32_e32 v7, 0
	buffer_store_dword v6, off, s[0:3], s32 offset:980 ; 4-byte Folded Spill
	s_nop 0
	buffer_store_dword v7, off, s[0:3], s32 offset:984 ; 4-byte Folded Spill
	v_cmp_ne_u16_sdwa s[28:29], v5, v24 src0_sel:BYTE_0 src1_sel:DWORD
	ds_read_b128 v[5:8], v10 offset:128
	s_waitcnt lgkmcnt(0)
	buffer_store_dword v5, off, s[0:3], s32 offset:1040 ; 4-byte Folded Spill
	s_nop 0
	buffer_store_dword v6, off, s[0:3], s32 offset:1044 ; 4-byte Folded Spill
	buffer_store_dword v7, off, s[0:3], s32 offset:1048 ; 4-byte Folded Spill
	buffer_store_dword v8, off, s[0:3], s32 offset:1052 ; 4-byte Folded Spill
	ds_read_b128 v[5:8], v10 offset:144
	s_waitcnt lgkmcnt(0)
	buffer_store_dword v5, off, s[0:3], s32 offset:1024 ; 4-byte Folded Spill
	s_nop 0
	buffer_store_dword v6, off, s[0:3], s32 offset:1028 ; 4-byte Folded Spill
	buffer_store_dword v7, off, s[0:3], s32 offset:1032 ; 4-byte Folded Spill
	buffer_store_dword v8, off, s[0:3], s32 offset:1036 ; 4-byte Folded Spill
	;; [unrolled: 7-line block ×3, first 2 shown]
	ds_read_b128 v[26:29], v10 offset:176
	s_and_saveexec_b64 s[26:27], s[28:29]
	s_cbranch_execz .LBB206_23
; %bb.18:                               ;   in Loop: Header=BB206_12 Depth=1
	v_bfrev_b32_e32 v6, 1
	v_mov_b32_e32 v7, 0
	v_cmp_ne_u16_sdwa s[40:41], v4, s42 src0_sel:BYTE_0 src1_sel:DWORD
	s_and_saveexec_b64 s[28:29], s[40:41]
	s_cbranch_execz .LBB206_22
; %bb.19:                               ;   in Loop: Header=BB206_12 Depth=1
	v_and_b32_e32 v5, 0x7f, v4
	v_mov_b32_e32 v6, 0x7f800001
	v_mov_b32_e32 v7, 0
	v_cmp_ne_u32_e32 vcc, s43, v5
	s_and_saveexec_b64 s[40:41], vcc
	s_cbranch_execz .LBB206_21
; %bb.20:                               ;   in Loop: Header=BB206_12 Depth=1
	v_and_b32_e32 v9, 7, v4
	v_lshrrev_b32_e32 v12, 3, v5
	v_cmp_gt_u32_e32 vcc, 8, v5
	v_ffbh_u32_e32 v5, v9
	v_min_u32_e32 v5, 32, v5
	v_subrev_u32_e32 v7, 28, v5
	v_lshlrev_b64 v[7:8], v7, v[4:5]
	v_sub_u32_e32 v5, 29, v5
	v_and_b32_e32 v7, 7, v7
	v_cndmask_b32_e32 v5, v12, v5, vcc
	v_cndmask_b32_e32 v7, v9, v7, vcc
	v_bfrev_b32_e32 v6, 60
	v_lshlrev_b32_e32 v7, 20, v7
	v_and_b32_sdwa v8, sext(v4), s44 dst_sel:DWORD dst_unused:UNUSED_PAD src0_sel:BYTE_0 src1_sel:DWORD
	v_lshl_add_u32 v5, v5, 23, v6
	v_or3_b32 v6, v8, v5, v7
	v_mov_b32_e32 v7, v24
.LBB206_21:                             ;   in Loop: Header=BB206_12 Depth=1
	s_or_b64 exec, exec, s[40:41]
.LBB206_22:                             ;   in Loop: Header=BB206_12 Depth=1
	s_or_b64 exec, exec, s[28:29]
	buffer_store_dword v6, off, s[0:3], s32 offset:980 ; 4-byte Folded Spill
	s_nop 0
	buffer_store_dword v7, off, s[0:3], s32 offset:984 ; 4-byte Folded Spill
.LBB206_23:                             ;   in Loop: Header=BB206_12 Depth=1
	s_or_b64 exec, exec, s[26:27]
	v_cmp_ne_u16_sdwa s[28:29], v4, v24 src0_sel:BYTE_1 src1_sel:DWORD
	s_and_saveexec_b64 s[26:27], s[28:29]
	s_cbranch_execz .LBB206_29
; %bb.24:                               ;   in Loop: Header=BB206_12 Depth=1
	v_cmp_ne_u16_sdwa s[40:41], v4, s42 src0_sel:BYTE_1 src1_sel:DWORD
	buffer_store_dword v24, off, s[0:3], s32 offset:156 ; 4-byte Folded Spill
	s_nop 0
	buffer_store_dword v25, off, s[0:3], s32 offset:160 ; 4-byte Folded Spill
	s_and_saveexec_b64 s[28:29], s[40:41]
	s_cbranch_execz .LBB206_28
; %bb.25:                               ;   in Loop: Header=BB206_12 Depth=1
	buffer_load_dword v6, off, s[0:3], s32 offset:64 ; 4-byte Folded Reload
	buffer_load_dword v7, off, s[0:3], s32 offset:68 ; 4-byte Folded Reload
	v_and_b32_sdwa v5, v4, s43 dst_sel:DWORD dst_unused:UNUSED_PAD src0_sel:BYTE_1 src1_sel:DWORD
	v_cmp_ne_u32_e32 vcc, s43, v5
	s_waitcnt vmcnt(0)
	v_mov_b32_e32 v6, v24
	v_mov_b32_e32 v8, v7
	buffer_store_dword v7, off, s[0:3], s32 offset:64 ; 4-byte Folded Spill
	s_nop 0
	buffer_store_dword v8, off, s[0:3], s32 offset:68 ; 4-byte Folded Spill
	buffer_store_dword v6, off, s[0:3], s32 offset:156 ; 4-byte Folded Spill
	s_nop 0
	buffer_store_dword v7, off, s[0:3], s32 offset:160 ; 4-byte Folded Spill
	s_and_saveexec_b64 s[40:41], vcc
	s_cbranch_execz .LBB206_27
; %bb.26:                               ;   in Loop: Header=BB206_12 Depth=1
	v_mov_b32_e32 v6, 7
	v_and_b32_sdwa v7, v4, v6 dst_sel:DWORD dst_unused:UNUSED_PAD src0_sel:BYTE_1 src1_sel:DWORD
	v_lshrrev_b32_e32 v12, 3, v5
	v_cmp_gt_u32_e32 vcc, 8, v5
	v_ffbh_u32_e32 v5, v7
	v_min_u32_e32 v5, 32, v5
	v_mov_b32_e32 v8, v24
	v_subrev_u32_e32 v9, 28, v5
	v_lshlrev_b64 v[8:9], v9, v[7:8]
	v_sub_u32_e32 v5, 29, v5
	v_and_b32_e32 v8, 7, v8
	v_cndmask_b32_e32 v5, v12, v5, vcc
	v_bfrev_b32_e32 v6, 60
	v_cndmask_b32_e32 v7, v7, v8, vcc
	v_lshlrev_b32_e32 v4, 16, v4
	v_lshl_add_u32 v5, v5, 23, v6
	v_and_or_b32 v4, v4, s44, v5
	v_lshlrev_b32_e32 v5, 20, v7
	v_or_b32_e32 v5, v4, v5
	v_mov_b32_e32 v4, v24
	buffer_store_dword v4, off, s[0:3], s32 offset:156 ; 4-byte Folded Spill
	s_nop 0
	buffer_store_dword v5, off, s[0:3], s32 offset:160 ; 4-byte Folded Spill
.LBB206_27:                             ;   in Loop: Header=BB206_12 Depth=1
	s_or_b64 exec, exec, s[40:41]
.LBB206_28:                             ;   in Loop: Header=BB206_12 Depth=1
	s_or_b64 exec, exec, s[28:29]
.LBB206_29:                             ;   in Loop: Header=BB206_12 Depth=1
	s_or_b64 exec, exec, s[26:27]
	flat_load_ushort v5, v[2:3] offset:4
	s_waitcnt vmcnt(0) lgkmcnt(0)
	v_and_b32_e32 v4, 0xffff, v5
	v_cmp_ne_u16_sdwa s[28:29], v5, v24 src0_sel:BYTE_0 src1_sel:DWORD
	v_mov_b32_e32 v5, 0
	v_mov_b32_e32 v6, 0
	buffer_store_dword v5, off, s[0:3], s32 offset:172 ; 4-byte Folded Spill
	s_nop 0
	buffer_store_dword v6, off, s[0:3], s32 offset:176 ; 4-byte Folded Spill
	v_mov_b32_e32 v5, 0
	v_mov_b32_e32 v6, 0
	buffer_store_dword v5, off, s[0:3], s32 offset:164 ; 4-byte Folded Spill
	s_nop 0
	buffer_store_dword v6, off, s[0:3], s32 offset:168 ; 4-byte Folded Spill
	s_and_saveexec_b64 s[26:27], s[28:29]
	s_cbranch_execz .LBB206_35
; %bb.30:                               ;   in Loop: Header=BB206_12 Depth=1
	v_bfrev_b32_e32 v5, 1
	v_mov_b32_e32 v6, 0
	v_cmp_ne_u16_sdwa s[40:41], v4, s42 src0_sel:BYTE_0 src1_sel:DWORD
	buffer_store_dword v5, off, s[0:3], s32 offset:164 ; 4-byte Folded Spill
	s_nop 0
	buffer_store_dword v6, off, s[0:3], s32 offset:168 ; 4-byte Folded Spill
	s_and_saveexec_b64 s[28:29], s[40:41]
	s_cbranch_execz .LBB206_34
; %bb.31:                               ;   in Loop: Header=BB206_12 Depth=1
	v_and_b32_e32 v5, 0x7f, v4
	v_mov_b32_e32 v6, 0x7f800001
	v_mov_b32_e32 v7, 0
	v_cmp_ne_u32_e32 vcc, s43, v5
	buffer_store_dword v6, off, s[0:3], s32 offset:164 ; 4-byte Folded Spill
	s_nop 0
	buffer_store_dword v7, off, s[0:3], s32 offset:168 ; 4-byte Folded Spill
	s_and_saveexec_b64 s[40:41], vcc
	s_cbranch_execz .LBB206_33
; %bb.32:                               ;   in Loop: Header=BB206_12 Depth=1
	v_and_b32_e32 v9, 7, v4
	v_lshrrev_b32_e32 v12, 3, v5
	v_cmp_gt_u32_e32 vcc, 8, v5
	v_ffbh_u32_e32 v5, v9
	v_min_u32_e32 v5, 32, v5
	v_subrev_u32_e32 v7, 28, v5
	v_lshlrev_b64 v[7:8], v7, v[4:5]
	v_sub_u32_e32 v5, 29, v5
	v_and_b32_e32 v7, 7, v7
	v_cndmask_b32_e32 v5, v12, v5, vcc
	v_cndmask_b32_e32 v7, v9, v7, vcc
	v_bfrev_b32_e32 v6, 60
	v_lshlrev_b32_e32 v7, 20, v7
	v_and_b32_sdwa v8, sext(v4), s44 dst_sel:DWORD dst_unused:UNUSED_PAD src0_sel:BYTE_0 src1_sel:DWORD
	v_lshl_add_u32 v5, v5, 23, v6
	v_or3_b32 v5, v8, v5, v7
	v_mov_b32_e32 v6, v24
	buffer_store_dword v5, off, s[0:3], s32 offset:164 ; 4-byte Folded Spill
	s_nop 0
	buffer_store_dword v6, off, s[0:3], s32 offset:168 ; 4-byte Folded Spill
.LBB206_33:                             ;   in Loop: Header=BB206_12 Depth=1
	s_or_b64 exec, exec, s[40:41]
.LBB206_34:                             ;   in Loop: Header=BB206_12 Depth=1
	s_or_b64 exec, exec, s[28:29]
.LBB206_35:                             ;   in Loop: Header=BB206_12 Depth=1
	s_or_b64 exec, exec, s[26:27]
	v_cmp_ne_u16_sdwa s[28:29], v4, v24 src0_sel:BYTE_1 src1_sel:DWORD
	s_and_saveexec_b64 s[26:27], s[28:29]
	s_cbranch_execz .LBB206_41
; %bb.36:                               ;   in Loop: Header=BB206_12 Depth=1
	v_cmp_ne_u16_sdwa s[40:41], v4, s42 src0_sel:BYTE_1 src1_sel:DWORD
	buffer_store_dword v24, off, s[0:3], s32 offset:172 ; 4-byte Folded Spill
	s_nop 0
	buffer_store_dword v25, off, s[0:3], s32 offset:176 ; 4-byte Folded Spill
	s_and_saveexec_b64 s[28:29], s[40:41]
	s_cbranch_execz .LBB206_40
; %bb.37:                               ;   in Loop: Header=BB206_12 Depth=1
	buffer_load_dword v6, off, s[0:3], s32 offset:64 ; 4-byte Folded Reload
	buffer_load_dword v7, off, s[0:3], s32 offset:68 ; 4-byte Folded Reload
	v_and_b32_sdwa v5, v4, s43 dst_sel:DWORD dst_unused:UNUSED_PAD src0_sel:BYTE_1 src1_sel:DWORD
	v_cmp_ne_u32_e32 vcc, s43, v5
	s_waitcnt vmcnt(1)
	v_mov_b32_e32 v6, v24
	s_waitcnt vmcnt(0)
	v_mov_b32_e32 v8, v7
	buffer_store_dword v7, off, s[0:3], s32 offset:64 ; 4-byte Folded Spill
	s_nop 0
	buffer_store_dword v8, off, s[0:3], s32 offset:68 ; 4-byte Folded Spill
	buffer_store_dword v6, off, s[0:3], s32 offset:172 ; 4-byte Folded Spill
	s_nop 0
	buffer_store_dword v7, off, s[0:3], s32 offset:176 ; 4-byte Folded Spill
	s_and_saveexec_b64 s[40:41], vcc
	s_cbranch_execz .LBB206_39
; %bb.38:                               ;   in Loop: Header=BB206_12 Depth=1
	v_mov_b32_e32 v6, 7
	v_and_b32_sdwa v7, v4, v6 dst_sel:DWORD dst_unused:UNUSED_PAD src0_sel:BYTE_1 src1_sel:DWORD
	v_lshrrev_b32_e32 v12, 3, v5
	v_cmp_gt_u32_e32 vcc, 8, v5
	v_ffbh_u32_e32 v5, v7
	v_min_u32_e32 v5, 32, v5
	v_mov_b32_e32 v8, v24
	v_subrev_u32_e32 v9, 28, v5
	v_lshlrev_b64 v[8:9], v9, v[7:8]
	v_sub_u32_e32 v5, 29, v5
	v_and_b32_e32 v8, 7, v8
	v_cndmask_b32_e32 v5, v12, v5, vcc
	v_bfrev_b32_e32 v6, 60
	v_cndmask_b32_e32 v7, v7, v8, vcc
	v_lshlrev_b32_e32 v4, 16, v4
	v_lshl_add_u32 v5, v5, 23, v6
	v_and_or_b32 v4, v4, s44, v5
	v_lshlrev_b32_e32 v5, 20, v7
	v_or_b32_e32 v5, v4, v5
	v_mov_b32_e32 v4, v24
	buffer_store_dword v4, off, s[0:3], s32 offset:172 ; 4-byte Folded Spill
	s_nop 0
	buffer_store_dword v5, off, s[0:3], s32 offset:176 ; 4-byte Folded Spill
.LBB206_39:                             ;   in Loop: Header=BB206_12 Depth=1
	s_or_b64 exec, exec, s[40:41]
.LBB206_40:                             ;   in Loop: Header=BB206_12 Depth=1
	s_or_b64 exec, exec, s[28:29]
.LBB206_41:                             ;   in Loop: Header=BB206_12 Depth=1
	s_or_b64 exec, exec, s[26:27]
	flat_load_ushort v5, v[2:3] offset:8
	s_waitcnt vmcnt(0) lgkmcnt(0)
	v_and_b32_e32 v4, 0xffff, v5
	v_cmp_ne_u16_sdwa s[28:29], v5, v24 src0_sel:BYTE_0 src1_sel:DWORD
	v_mov_b32_e32 v5, 0
	v_mov_b32_e32 v6, 0
	buffer_store_dword v5, off, s[0:3], s32 offset:188 ; 4-byte Folded Spill
	s_nop 0
	buffer_store_dword v6, off, s[0:3], s32 offset:192 ; 4-byte Folded Spill
	v_mov_b32_e32 v5, 0
	v_mov_b32_e32 v6, 0
	buffer_store_dword v5, off, s[0:3], s32 offset:180 ; 4-byte Folded Spill
	s_nop 0
	buffer_store_dword v6, off, s[0:3], s32 offset:184 ; 4-byte Folded Spill
	s_and_saveexec_b64 s[26:27], s[28:29]
	s_cbranch_execz .LBB206_47
; %bb.42:                               ;   in Loop: Header=BB206_12 Depth=1
	v_bfrev_b32_e32 v5, 1
	v_mov_b32_e32 v6, 0
	v_cmp_ne_u16_sdwa s[40:41], v4, s42 src0_sel:BYTE_0 src1_sel:DWORD
	buffer_store_dword v5, off, s[0:3], s32 offset:180 ; 4-byte Folded Spill
	s_nop 0
	buffer_store_dword v6, off, s[0:3], s32 offset:184 ; 4-byte Folded Spill
	s_and_saveexec_b64 s[28:29], s[40:41]
	s_cbranch_execz .LBB206_46
; %bb.43:                               ;   in Loop: Header=BB206_12 Depth=1
	v_and_b32_e32 v5, 0x7f, v4
	v_mov_b32_e32 v6, 0x7f800001
	v_mov_b32_e32 v7, 0
	v_cmp_ne_u32_e32 vcc, s43, v5
	buffer_store_dword v6, off, s[0:3], s32 offset:180 ; 4-byte Folded Spill
	s_nop 0
	buffer_store_dword v7, off, s[0:3], s32 offset:184 ; 4-byte Folded Spill
	s_and_saveexec_b64 s[40:41], vcc
	s_cbranch_execz .LBB206_45
; %bb.44:                               ;   in Loop: Header=BB206_12 Depth=1
	v_and_b32_e32 v9, 7, v4
	v_lshrrev_b32_e32 v12, 3, v5
	v_cmp_gt_u32_e32 vcc, 8, v5
	v_ffbh_u32_e32 v5, v9
	v_min_u32_e32 v5, 32, v5
	v_subrev_u32_e32 v7, 28, v5
	v_lshlrev_b64 v[7:8], v7, v[4:5]
	v_sub_u32_e32 v5, 29, v5
	v_and_b32_e32 v7, 7, v7
	v_cndmask_b32_e32 v5, v12, v5, vcc
	v_cndmask_b32_e32 v7, v9, v7, vcc
	v_bfrev_b32_e32 v6, 60
	v_lshlrev_b32_e32 v7, 20, v7
	v_and_b32_sdwa v8, sext(v4), s44 dst_sel:DWORD dst_unused:UNUSED_PAD src0_sel:BYTE_0 src1_sel:DWORD
	v_lshl_add_u32 v5, v5, 23, v6
	v_or3_b32 v5, v8, v5, v7
	v_mov_b32_e32 v6, v24
	buffer_store_dword v5, off, s[0:3], s32 offset:180 ; 4-byte Folded Spill
	s_nop 0
	buffer_store_dword v6, off, s[0:3], s32 offset:184 ; 4-byte Folded Spill
.LBB206_45:                             ;   in Loop: Header=BB206_12 Depth=1
	s_or_b64 exec, exec, s[40:41]
.LBB206_46:                             ;   in Loop: Header=BB206_12 Depth=1
	s_or_b64 exec, exec, s[28:29]
.LBB206_47:                             ;   in Loop: Header=BB206_12 Depth=1
	s_or_b64 exec, exec, s[26:27]
	v_cmp_ne_u16_sdwa s[28:29], v4, v24 src0_sel:BYTE_1 src1_sel:DWORD
	s_and_saveexec_b64 s[26:27], s[28:29]
	s_cbranch_execz .LBB206_53
; %bb.48:                               ;   in Loop: Header=BB206_12 Depth=1
	v_cmp_ne_u16_sdwa s[40:41], v4, s42 src0_sel:BYTE_1 src1_sel:DWORD
	buffer_store_dword v24, off, s[0:3], s32 offset:188 ; 4-byte Folded Spill
	s_nop 0
	buffer_store_dword v25, off, s[0:3], s32 offset:192 ; 4-byte Folded Spill
	s_and_saveexec_b64 s[28:29], s[40:41]
	s_cbranch_execz .LBB206_52
; %bb.49:                               ;   in Loop: Header=BB206_12 Depth=1
	buffer_load_dword v6, off, s[0:3], s32 offset:64 ; 4-byte Folded Reload
	buffer_load_dword v7, off, s[0:3], s32 offset:68 ; 4-byte Folded Reload
	v_and_b32_sdwa v5, v4, s43 dst_sel:DWORD dst_unused:UNUSED_PAD src0_sel:BYTE_1 src1_sel:DWORD
	v_cmp_ne_u32_e32 vcc, s43, v5
	s_waitcnt vmcnt(1)
	v_mov_b32_e32 v6, v24
	s_waitcnt vmcnt(0)
	v_mov_b32_e32 v8, v7
	buffer_store_dword v7, off, s[0:3], s32 offset:64 ; 4-byte Folded Spill
	s_nop 0
	buffer_store_dword v8, off, s[0:3], s32 offset:68 ; 4-byte Folded Spill
	buffer_store_dword v6, off, s[0:3], s32 offset:188 ; 4-byte Folded Spill
	s_nop 0
	buffer_store_dword v7, off, s[0:3], s32 offset:192 ; 4-byte Folded Spill
	s_and_saveexec_b64 s[40:41], vcc
	s_cbranch_execz .LBB206_51
; %bb.50:                               ;   in Loop: Header=BB206_12 Depth=1
	v_mov_b32_e32 v6, 7
	v_and_b32_sdwa v7, v4, v6 dst_sel:DWORD dst_unused:UNUSED_PAD src0_sel:BYTE_1 src1_sel:DWORD
	v_lshrrev_b32_e32 v12, 3, v5
	v_cmp_gt_u32_e32 vcc, 8, v5
	v_ffbh_u32_e32 v5, v7
	v_min_u32_e32 v5, 32, v5
	v_mov_b32_e32 v8, v24
	v_subrev_u32_e32 v9, 28, v5
	v_lshlrev_b64 v[8:9], v9, v[7:8]
	v_sub_u32_e32 v5, 29, v5
	v_and_b32_e32 v8, 7, v8
	v_cndmask_b32_e32 v5, v12, v5, vcc
	v_bfrev_b32_e32 v6, 60
	v_cndmask_b32_e32 v7, v7, v8, vcc
	v_lshlrev_b32_e32 v4, 16, v4
	v_lshl_add_u32 v5, v5, 23, v6
	v_and_or_b32 v4, v4, s44, v5
	v_lshlrev_b32_e32 v5, 20, v7
	v_or_b32_e32 v5, v4, v5
	v_mov_b32_e32 v4, v24
	buffer_store_dword v4, off, s[0:3], s32 offset:188 ; 4-byte Folded Spill
	s_nop 0
	buffer_store_dword v5, off, s[0:3], s32 offset:192 ; 4-byte Folded Spill
.LBB206_51:                             ;   in Loop: Header=BB206_12 Depth=1
	s_or_b64 exec, exec, s[40:41]
.LBB206_52:                             ;   in Loop: Header=BB206_12 Depth=1
	s_or_b64 exec, exec, s[28:29]
.LBB206_53:                             ;   in Loop: Header=BB206_12 Depth=1
	s_or_b64 exec, exec, s[26:27]
	flat_load_ushort v5, v[2:3] offset:12
	s_waitcnt vmcnt(0) lgkmcnt(0)
	v_and_b32_e32 v4, 0xffff, v5
	v_cmp_ne_u16_sdwa s[28:29], v5, v24 src0_sel:BYTE_0 src1_sel:DWORD
	v_mov_b32_e32 v5, 0
	v_mov_b32_e32 v6, 0
	buffer_store_dword v5, off, s[0:3], s32 offset:204 ; 4-byte Folded Spill
	s_nop 0
	buffer_store_dword v6, off, s[0:3], s32 offset:208 ; 4-byte Folded Spill
	v_mov_b32_e32 v5, 0
	v_mov_b32_e32 v6, 0
	buffer_store_dword v5, off, s[0:3], s32 offset:196 ; 4-byte Folded Spill
	s_nop 0
	buffer_store_dword v6, off, s[0:3], s32 offset:200 ; 4-byte Folded Spill
	s_and_saveexec_b64 s[26:27], s[28:29]
	s_cbranch_execz .LBB206_59
; %bb.54:                               ;   in Loop: Header=BB206_12 Depth=1
	v_bfrev_b32_e32 v5, 1
	v_mov_b32_e32 v6, 0
	v_cmp_ne_u16_sdwa s[40:41], v4, s42 src0_sel:BYTE_0 src1_sel:DWORD
	buffer_store_dword v5, off, s[0:3], s32 offset:196 ; 4-byte Folded Spill
	s_nop 0
	buffer_store_dword v6, off, s[0:3], s32 offset:200 ; 4-byte Folded Spill
	s_and_saveexec_b64 s[28:29], s[40:41]
	s_cbranch_execz .LBB206_58
; %bb.55:                               ;   in Loop: Header=BB206_12 Depth=1
	v_and_b32_e32 v5, 0x7f, v4
	v_mov_b32_e32 v6, 0x7f800001
	v_mov_b32_e32 v7, 0
	v_cmp_ne_u32_e32 vcc, s43, v5
	buffer_store_dword v6, off, s[0:3], s32 offset:196 ; 4-byte Folded Spill
	s_nop 0
	buffer_store_dword v7, off, s[0:3], s32 offset:200 ; 4-byte Folded Spill
	s_and_saveexec_b64 s[40:41], vcc
	s_cbranch_execz .LBB206_57
; %bb.56:                               ;   in Loop: Header=BB206_12 Depth=1
	v_and_b32_e32 v9, 7, v4
	v_lshrrev_b32_e32 v12, 3, v5
	v_cmp_gt_u32_e32 vcc, 8, v5
	v_ffbh_u32_e32 v5, v9
	v_min_u32_e32 v5, 32, v5
	v_subrev_u32_e32 v7, 28, v5
	v_lshlrev_b64 v[7:8], v7, v[4:5]
	v_sub_u32_e32 v5, 29, v5
	v_and_b32_e32 v7, 7, v7
	v_cndmask_b32_e32 v5, v12, v5, vcc
	v_cndmask_b32_e32 v7, v9, v7, vcc
	v_bfrev_b32_e32 v6, 60
	v_lshlrev_b32_e32 v7, 20, v7
	v_and_b32_sdwa v8, sext(v4), s44 dst_sel:DWORD dst_unused:UNUSED_PAD src0_sel:BYTE_0 src1_sel:DWORD
	v_lshl_add_u32 v5, v5, 23, v6
	v_or3_b32 v5, v8, v5, v7
	v_mov_b32_e32 v6, v24
	buffer_store_dword v5, off, s[0:3], s32 offset:196 ; 4-byte Folded Spill
	s_nop 0
	buffer_store_dword v6, off, s[0:3], s32 offset:200 ; 4-byte Folded Spill
.LBB206_57:                             ;   in Loop: Header=BB206_12 Depth=1
	s_or_b64 exec, exec, s[40:41]
.LBB206_58:                             ;   in Loop: Header=BB206_12 Depth=1
	s_or_b64 exec, exec, s[28:29]
.LBB206_59:                             ;   in Loop: Header=BB206_12 Depth=1
	s_or_b64 exec, exec, s[26:27]
	v_cmp_ne_u16_sdwa s[28:29], v4, v24 src0_sel:BYTE_1 src1_sel:DWORD
	s_and_saveexec_b64 s[26:27], s[28:29]
	s_cbranch_execz .LBB206_65
; %bb.60:                               ;   in Loop: Header=BB206_12 Depth=1
	v_cmp_ne_u16_sdwa s[40:41], v4, s42 src0_sel:BYTE_1 src1_sel:DWORD
	buffer_store_dword v24, off, s[0:3], s32 offset:204 ; 4-byte Folded Spill
	s_nop 0
	buffer_store_dword v25, off, s[0:3], s32 offset:208 ; 4-byte Folded Spill
	s_and_saveexec_b64 s[28:29], s[40:41]
	s_cbranch_execz .LBB206_64
; %bb.61:                               ;   in Loop: Header=BB206_12 Depth=1
	buffer_load_dword v6, off, s[0:3], s32 offset:64 ; 4-byte Folded Reload
	buffer_load_dword v7, off, s[0:3], s32 offset:68 ; 4-byte Folded Reload
	v_and_b32_sdwa v5, v4, s43 dst_sel:DWORD dst_unused:UNUSED_PAD src0_sel:BYTE_1 src1_sel:DWORD
	v_cmp_ne_u32_e32 vcc, s43, v5
	s_waitcnt vmcnt(1)
	v_mov_b32_e32 v6, v24
	s_waitcnt vmcnt(0)
	v_mov_b32_e32 v8, v7
	buffer_store_dword v7, off, s[0:3], s32 offset:64 ; 4-byte Folded Spill
	s_nop 0
	buffer_store_dword v8, off, s[0:3], s32 offset:68 ; 4-byte Folded Spill
	buffer_store_dword v6, off, s[0:3], s32 offset:204 ; 4-byte Folded Spill
	s_nop 0
	buffer_store_dword v7, off, s[0:3], s32 offset:208 ; 4-byte Folded Spill
	s_and_saveexec_b64 s[40:41], vcc
	s_cbranch_execz .LBB206_63
; %bb.62:                               ;   in Loop: Header=BB206_12 Depth=1
	v_mov_b32_e32 v6, 7
	v_and_b32_sdwa v7, v4, v6 dst_sel:DWORD dst_unused:UNUSED_PAD src0_sel:BYTE_1 src1_sel:DWORD
	v_lshrrev_b32_e32 v12, 3, v5
	v_cmp_gt_u32_e32 vcc, 8, v5
	v_ffbh_u32_e32 v5, v7
	v_min_u32_e32 v5, 32, v5
	v_mov_b32_e32 v8, v24
	v_subrev_u32_e32 v9, 28, v5
	v_lshlrev_b64 v[8:9], v9, v[7:8]
	v_sub_u32_e32 v5, 29, v5
	v_and_b32_e32 v8, 7, v8
	v_cndmask_b32_e32 v5, v12, v5, vcc
	v_bfrev_b32_e32 v6, 60
	v_cndmask_b32_e32 v7, v7, v8, vcc
	v_lshlrev_b32_e32 v4, 16, v4
	v_lshl_add_u32 v5, v5, 23, v6
	v_and_or_b32 v4, v4, s44, v5
	v_lshlrev_b32_e32 v5, 20, v7
	v_or_b32_e32 v5, v4, v5
	v_mov_b32_e32 v4, v24
	buffer_store_dword v4, off, s[0:3], s32 offset:204 ; 4-byte Folded Spill
	s_nop 0
	buffer_store_dword v5, off, s[0:3], s32 offset:208 ; 4-byte Folded Spill
.LBB206_63:                             ;   in Loop: Header=BB206_12 Depth=1
	s_or_b64 exec, exec, s[40:41]
.LBB206_64:                             ;   in Loop: Header=BB206_12 Depth=1
	s_or_b64 exec, exec, s[28:29]
.LBB206_65:                             ;   in Loop: Header=BB206_12 Depth=1
	s_or_b64 exec, exec, s[26:27]
	flat_load_ushort v5, v[2:3] offset:512
	s_waitcnt vmcnt(0) lgkmcnt(0)
	v_and_b32_e32 v4, 0xffff, v5
	v_cmp_ne_u16_sdwa s[28:29], v5, v24 src0_sel:BYTE_0 src1_sel:DWORD
	v_mov_b32_e32 v5, 0
	v_mov_b32_e32 v6, 0
	buffer_store_dword v5, off, s[0:3], s32 offset:220 ; 4-byte Folded Spill
	s_nop 0
	buffer_store_dword v6, off, s[0:3], s32 offset:224 ; 4-byte Folded Spill
	v_mov_b32_e32 v5, 0
	v_mov_b32_e32 v6, 0
	buffer_store_dword v5, off, s[0:3], s32 offset:212 ; 4-byte Folded Spill
	s_nop 0
	buffer_store_dword v6, off, s[0:3], s32 offset:216 ; 4-byte Folded Spill
	s_and_saveexec_b64 s[26:27], s[28:29]
	s_cbranch_execz .LBB206_71
; %bb.66:                               ;   in Loop: Header=BB206_12 Depth=1
	v_bfrev_b32_e32 v5, 1
	v_mov_b32_e32 v6, 0
	v_cmp_ne_u16_sdwa s[40:41], v4, s42 src0_sel:BYTE_0 src1_sel:DWORD
	buffer_store_dword v5, off, s[0:3], s32 offset:212 ; 4-byte Folded Spill
	s_nop 0
	buffer_store_dword v6, off, s[0:3], s32 offset:216 ; 4-byte Folded Spill
	s_and_saveexec_b64 s[28:29], s[40:41]
	s_cbranch_execz .LBB206_70
; %bb.67:                               ;   in Loop: Header=BB206_12 Depth=1
	v_and_b32_e32 v5, 0x7f, v4
	v_mov_b32_e32 v6, 0x7f800001
	v_mov_b32_e32 v7, 0
	v_cmp_ne_u32_e32 vcc, s43, v5
	buffer_store_dword v6, off, s[0:3], s32 offset:212 ; 4-byte Folded Spill
	s_nop 0
	buffer_store_dword v7, off, s[0:3], s32 offset:216 ; 4-byte Folded Spill
	s_and_saveexec_b64 s[40:41], vcc
	s_cbranch_execz .LBB206_69
; %bb.68:                               ;   in Loop: Header=BB206_12 Depth=1
	v_and_b32_e32 v9, 7, v4
	v_lshrrev_b32_e32 v12, 3, v5
	v_cmp_gt_u32_e32 vcc, 8, v5
	v_ffbh_u32_e32 v5, v9
	v_min_u32_e32 v5, 32, v5
	v_subrev_u32_e32 v7, 28, v5
	v_lshlrev_b64 v[7:8], v7, v[4:5]
	v_sub_u32_e32 v5, 29, v5
	v_and_b32_e32 v7, 7, v7
	v_cndmask_b32_e32 v5, v12, v5, vcc
	v_cndmask_b32_e32 v7, v9, v7, vcc
	v_bfrev_b32_e32 v6, 60
	v_lshlrev_b32_e32 v7, 20, v7
	v_and_b32_sdwa v8, sext(v4), s44 dst_sel:DWORD dst_unused:UNUSED_PAD src0_sel:BYTE_0 src1_sel:DWORD
	v_lshl_add_u32 v5, v5, 23, v6
	v_or3_b32 v5, v8, v5, v7
	v_mov_b32_e32 v6, v24
	buffer_store_dword v5, off, s[0:3], s32 offset:212 ; 4-byte Folded Spill
	s_nop 0
	buffer_store_dword v6, off, s[0:3], s32 offset:216 ; 4-byte Folded Spill
.LBB206_69:                             ;   in Loop: Header=BB206_12 Depth=1
	s_or_b64 exec, exec, s[40:41]
.LBB206_70:                             ;   in Loop: Header=BB206_12 Depth=1
	s_or_b64 exec, exec, s[28:29]
.LBB206_71:                             ;   in Loop: Header=BB206_12 Depth=1
	s_or_b64 exec, exec, s[26:27]
	v_cmp_ne_u16_sdwa s[28:29], v4, v24 src0_sel:BYTE_1 src1_sel:DWORD
	s_and_saveexec_b64 s[26:27], s[28:29]
	s_cbranch_execz .LBB206_77
; %bb.72:                               ;   in Loop: Header=BB206_12 Depth=1
	v_cmp_ne_u16_sdwa s[40:41], v4, s42 src0_sel:BYTE_1 src1_sel:DWORD
	buffer_store_dword v24, off, s[0:3], s32 offset:220 ; 4-byte Folded Spill
	s_nop 0
	buffer_store_dword v25, off, s[0:3], s32 offset:224 ; 4-byte Folded Spill
	s_and_saveexec_b64 s[28:29], s[40:41]
	s_cbranch_execz .LBB206_76
; %bb.73:                               ;   in Loop: Header=BB206_12 Depth=1
	buffer_load_dword v6, off, s[0:3], s32 offset:64 ; 4-byte Folded Reload
	buffer_load_dword v7, off, s[0:3], s32 offset:68 ; 4-byte Folded Reload
	v_and_b32_sdwa v5, v4, s43 dst_sel:DWORD dst_unused:UNUSED_PAD src0_sel:BYTE_1 src1_sel:DWORD
	v_cmp_ne_u32_e32 vcc, s43, v5
	s_waitcnt vmcnt(1)
	v_mov_b32_e32 v6, v24
	s_waitcnt vmcnt(0)
	v_mov_b32_e32 v8, v7
	buffer_store_dword v7, off, s[0:3], s32 offset:64 ; 4-byte Folded Spill
	s_nop 0
	buffer_store_dword v8, off, s[0:3], s32 offset:68 ; 4-byte Folded Spill
	buffer_store_dword v6, off, s[0:3], s32 offset:220 ; 4-byte Folded Spill
	s_nop 0
	buffer_store_dword v7, off, s[0:3], s32 offset:224 ; 4-byte Folded Spill
	s_and_saveexec_b64 s[40:41], vcc
	s_cbranch_execz .LBB206_75
; %bb.74:                               ;   in Loop: Header=BB206_12 Depth=1
	v_mov_b32_e32 v6, 7
	v_and_b32_sdwa v7, v4, v6 dst_sel:DWORD dst_unused:UNUSED_PAD src0_sel:BYTE_1 src1_sel:DWORD
	v_lshrrev_b32_e32 v12, 3, v5
	v_cmp_gt_u32_e32 vcc, 8, v5
	v_ffbh_u32_e32 v5, v7
	v_min_u32_e32 v5, 32, v5
	v_mov_b32_e32 v8, v24
	v_subrev_u32_e32 v9, 28, v5
	v_lshlrev_b64 v[8:9], v9, v[7:8]
	v_sub_u32_e32 v5, 29, v5
	v_and_b32_e32 v8, 7, v8
	v_cndmask_b32_e32 v5, v12, v5, vcc
	v_bfrev_b32_e32 v6, 60
	v_cndmask_b32_e32 v7, v7, v8, vcc
	v_lshlrev_b32_e32 v4, 16, v4
	v_lshl_add_u32 v5, v5, 23, v6
	v_and_or_b32 v4, v4, s44, v5
	v_lshlrev_b32_e32 v5, 20, v7
	v_or_b32_e32 v5, v4, v5
	v_mov_b32_e32 v4, v24
	buffer_store_dword v4, off, s[0:3], s32 offset:220 ; 4-byte Folded Spill
	s_nop 0
	buffer_store_dword v5, off, s[0:3], s32 offset:224 ; 4-byte Folded Spill
.LBB206_75:                             ;   in Loop: Header=BB206_12 Depth=1
	s_or_b64 exec, exec, s[40:41]
.LBB206_76:                             ;   in Loop: Header=BB206_12 Depth=1
	s_or_b64 exec, exec, s[28:29]
.LBB206_77:                             ;   in Loop: Header=BB206_12 Depth=1
	s_or_b64 exec, exec, s[26:27]
	flat_load_ushort v5, v[2:3] offset:516
	s_waitcnt vmcnt(0) lgkmcnt(0)
	v_and_b32_e32 v4, 0xffff, v5
	v_cmp_ne_u16_sdwa s[28:29], v5, v24 src0_sel:BYTE_0 src1_sel:DWORD
	v_mov_b32_e32 v5, 0
	v_mov_b32_e32 v6, 0
	buffer_store_dword v5, off, s[0:3], s32 offset:236 ; 4-byte Folded Spill
	s_nop 0
	buffer_store_dword v6, off, s[0:3], s32 offset:240 ; 4-byte Folded Spill
	v_mov_b32_e32 v5, 0
	v_mov_b32_e32 v6, 0
	buffer_store_dword v5, off, s[0:3], s32 offset:228 ; 4-byte Folded Spill
	s_nop 0
	buffer_store_dword v6, off, s[0:3], s32 offset:232 ; 4-byte Folded Spill
	s_and_saveexec_b64 s[26:27], s[28:29]
	s_cbranch_execz .LBB206_83
; %bb.78:                               ;   in Loop: Header=BB206_12 Depth=1
	v_bfrev_b32_e32 v5, 1
	v_mov_b32_e32 v6, 0
	v_cmp_ne_u16_sdwa s[40:41], v4, s42 src0_sel:BYTE_0 src1_sel:DWORD
	buffer_store_dword v5, off, s[0:3], s32 offset:228 ; 4-byte Folded Spill
	s_nop 0
	buffer_store_dword v6, off, s[0:3], s32 offset:232 ; 4-byte Folded Spill
	s_and_saveexec_b64 s[28:29], s[40:41]
	s_cbranch_execz .LBB206_82
; %bb.79:                               ;   in Loop: Header=BB206_12 Depth=1
	v_and_b32_e32 v5, 0x7f, v4
	v_mov_b32_e32 v6, 0x7f800001
	v_mov_b32_e32 v7, 0
	v_cmp_ne_u32_e32 vcc, s43, v5
	buffer_store_dword v6, off, s[0:3], s32 offset:228 ; 4-byte Folded Spill
	s_nop 0
	buffer_store_dword v7, off, s[0:3], s32 offset:232 ; 4-byte Folded Spill
	s_and_saveexec_b64 s[40:41], vcc
	s_cbranch_execz .LBB206_81
; %bb.80:                               ;   in Loop: Header=BB206_12 Depth=1
	v_and_b32_e32 v9, 7, v4
	v_lshrrev_b32_e32 v12, 3, v5
	v_cmp_gt_u32_e32 vcc, 8, v5
	v_ffbh_u32_e32 v5, v9
	v_min_u32_e32 v5, 32, v5
	v_subrev_u32_e32 v7, 28, v5
	v_lshlrev_b64 v[7:8], v7, v[4:5]
	v_sub_u32_e32 v5, 29, v5
	v_and_b32_e32 v7, 7, v7
	v_cndmask_b32_e32 v5, v12, v5, vcc
	v_cndmask_b32_e32 v7, v9, v7, vcc
	v_bfrev_b32_e32 v6, 60
	v_lshlrev_b32_e32 v7, 20, v7
	v_and_b32_sdwa v8, sext(v4), s44 dst_sel:DWORD dst_unused:UNUSED_PAD src0_sel:BYTE_0 src1_sel:DWORD
	v_lshl_add_u32 v5, v5, 23, v6
	v_or3_b32 v5, v8, v5, v7
	v_mov_b32_e32 v6, v24
	buffer_store_dword v5, off, s[0:3], s32 offset:228 ; 4-byte Folded Spill
	s_nop 0
	buffer_store_dword v6, off, s[0:3], s32 offset:232 ; 4-byte Folded Spill
.LBB206_81:                             ;   in Loop: Header=BB206_12 Depth=1
	s_or_b64 exec, exec, s[40:41]
.LBB206_82:                             ;   in Loop: Header=BB206_12 Depth=1
	s_or_b64 exec, exec, s[28:29]
.LBB206_83:                             ;   in Loop: Header=BB206_12 Depth=1
	s_or_b64 exec, exec, s[26:27]
	v_cmp_ne_u16_sdwa s[28:29], v4, v24 src0_sel:BYTE_1 src1_sel:DWORD
	s_and_saveexec_b64 s[26:27], s[28:29]
	s_cbranch_execz .LBB206_89
; %bb.84:                               ;   in Loop: Header=BB206_12 Depth=1
	v_cmp_ne_u16_sdwa s[40:41], v4, s42 src0_sel:BYTE_1 src1_sel:DWORD
	buffer_store_dword v24, off, s[0:3], s32 offset:236 ; 4-byte Folded Spill
	s_nop 0
	buffer_store_dword v25, off, s[0:3], s32 offset:240 ; 4-byte Folded Spill
	s_and_saveexec_b64 s[28:29], s[40:41]
	s_cbranch_execz .LBB206_88
; %bb.85:                               ;   in Loop: Header=BB206_12 Depth=1
	buffer_load_dword v6, off, s[0:3], s32 offset:64 ; 4-byte Folded Reload
	buffer_load_dword v7, off, s[0:3], s32 offset:68 ; 4-byte Folded Reload
	v_and_b32_sdwa v5, v4, s43 dst_sel:DWORD dst_unused:UNUSED_PAD src0_sel:BYTE_1 src1_sel:DWORD
	v_cmp_ne_u32_e32 vcc, s43, v5
	s_waitcnt vmcnt(1)
	v_mov_b32_e32 v6, v24
	s_waitcnt vmcnt(0)
	v_mov_b32_e32 v8, v7
	buffer_store_dword v7, off, s[0:3], s32 offset:64 ; 4-byte Folded Spill
	s_nop 0
	buffer_store_dword v8, off, s[0:3], s32 offset:68 ; 4-byte Folded Spill
	buffer_store_dword v6, off, s[0:3], s32 offset:236 ; 4-byte Folded Spill
	s_nop 0
	buffer_store_dword v7, off, s[0:3], s32 offset:240 ; 4-byte Folded Spill
	s_and_saveexec_b64 s[40:41], vcc
	s_cbranch_execz .LBB206_87
; %bb.86:                               ;   in Loop: Header=BB206_12 Depth=1
	v_mov_b32_e32 v6, 7
	v_and_b32_sdwa v7, v4, v6 dst_sel:DWORD dst_unused:UNUSED_PAD src0_sel:BYTE_1 src1_sel:DWORD
	v_lshrrev_b32_e32 v12, 3, v5
	v_cmp_gt_u32_e32 vcc, 8, v5
	v_ffbh_u32_e32 v5, v7
	v_min_u32_e32 v5, 32, v5
	v_mov_b32_e32 v8, v24
	v_subrev_u32_e32 v9, 28, v5
	v_lshlrev_b64 v[8:9], v9, v[7:8]
	v_sub_u32_e32 v5, 29, v5
	v_and_b32_e32 v8, 7, v8
	v_cndmask_b32_e32 v5, v12, v5, vcc
	v_bfrev_b32_e32 v6, 60
	v_cndmask_b32_e32 v7, v7, v8, vcc
	v_lshlrev_b32_e32 v4, 16, v4
	v_lshl_add_u32 v5, v5, 23, v6
	v_and_or_b32 v4, v4, s44, v5
	v_lshlrev_b32_e32 v5, 20, v7
	v_or_b32_e32 v5, v4, v5
	v_mov_b32_e32 v4, v24
	buffer_store_dword v4, off, s[0:3], s32 offset:236 ; 4-byte Folded Spill
	s_nop 0
	buffer_store_dword v5, off, s[0:3], s32 offset:240 ; 4-byte Folded Spill
.LBB206_87:                             ;   in Loop: Header=BB206_12 Depth=1
	s_or_b64 exec, exec, s[40:41]
.LBB206_88:                             ;   in Loop: Header=BB206_12 Depth=1
	s_or_b64 exec, exec, s[28:29]
.LBB206_89:                             ;   in Loop: Header=BB206_12 Depth=1
	s_or_b64 exec, exec, s[26:27]
	flat_load_ushort v5, v[2:3] offset:520
	s_waitcnt vmcnt(0) lgkmcnt(0)
	v_and_b32_e32 v4, 0xffff, v5
	v_cmp_ne_u16_sdwa s[28:29], v5, v24 src0_sel:BYTE_0 src1_sel:DWORD
	v_mov_b32_e32 v5, 0
	v_mov_b32_e32 v6, 0
	buffer_store_dword v5, off, s[0:3], s32 offset:252 ; 4-byte Folded Spill
	s_nop 0
	buffer_store_dword v6, off, s[0:3], s32 offset:256 ; 4-byte Folded Spill
	v_mov_b32_e32 v5, 0
	v_mov_b32_e32 v6, 0
	buffer_store_dword v5, off, s[0:3], s32 offset:244 ; 4-byte Folded Spill
	s_nop 0
	buffer_store_dword v6, off, s[0:3], s32 offset:248 ; 4-byte Folded Spill
	s_and_saveexec_b64 s[26:27], s[28:29]
	s_cbranch_execz .LBB206_95
; %bb.90:                               ;   in Loop: Header=BB206_12 Depth=1
	v_bfrev_b32_e32 v5, 1
	v_mov_b32_e32 v6, 0
	v_cmp_ne_u16_sdwa s[40:41], v4, s42 src0_sel:BYTE_0 src1_sel:DWORD
	buffer_store_dword v5, off, s[0:3], s32 offset:244 ; 4-byte Folded Spill
	s_nop 0
	buffer_store_dword v6, off, s[0:3], s32 offset:248 ; 4-byte Folded Spill
	s_and_saveexec_b64 s[28:29], s[40:41]
	s_cbranch_execz .LBB206_94
; %bb.91:                               ;   in Loop: Header=BB206_12 Depth=1
	v_and_b32_e32 v5, 0x7f, v4
	v_mov_b32_e32 v6, 0x7f800001
	v_mov_b32_e32 v7, 0
	v_cmp_ne_u32_e32 vcc, s43, v5
	buffer_store_dword v6, off, s[0:3], s32 offset:244 ; 4-byte Folded Spill
	s_nop 0
	buffer_store_dword v7, off, s[0:3], s32 offset:248 ; 4-byte Folded Spill
	s_and_saveexec_b64 s[40:41], vcc
	s_cbranch_execz .LBB206_93
; %bb.92:                               ;   in Loop: Header=BB206_12 Depth=1
	v_and_b32_e32 v9, 7, v4
	v_lshrrev_b32_e32 v12, 3, v5
	v_cmp_gt_u32_e32 vcc, 8, v5
	v_ffbh_u32_e32 v5, v9
	v_min_u32_e32 v5, 32, v5
	v_subrev_u32_e32 v7, 28, v5
	v_lshlrev_b64 v[7:8], v7, v[4:5]
	v_sub_u32_e32 v5, 29, v5
	v_and_b32_e32 v7, 7, v7
	v_cndmask_b32_e32 v5, v12, v5, vcc
	v_cndmask_b32_e32 v7, v9, v7, vcc
	v_bfrev_b32_e32 v6, 60
	v_lshlrev_b32_e32 v7, 20, v7
	v_and_b32_sdwa v8, sext(v4), s44 dst_sel:DWORD dst_unused:UNUSED_PAD src0_sel:BYTE_0 src1_sel:DWORD
	v_lshl_add_u32 v5, v5, 23, v6
	v_or3_b32 v5, v8, v5, v7
	v_mov_b32_e32 v6, v24
	buffer_store_dword v5, off, s[0:3], s32 offset:244 ; 4-byte Folded Spill
	s_nop 0
	buffer_store_dword v6, off, s[0:3], s32 offset:248 ; 4-byte Folded Spill
.LBB206_93:                             ;   in Loop: Header=BB206_12 Depth=1
	s_or_b64 exec, exec, s[40:41]
.LBB206_94:                             ;   in Loop: Header=BB206_12 Depth=1
	s_or_b64 exec, exec, s[28:29]
.LBB206_95:                             ;   in Loop: Header=BB206_12 Depth=1
	s_or_b64 exec, exec, s[26:27]
	v_cmp_ne_u16_sdwa s[28:29], v4, v24 src0_sel:BYTE_1 src1_sel:DWORD
	s_and_saveexec_b64 s[26:27], s[28:29]
	s_cbranch_execz .LBB206_101
; %bb.96:                               ;   in Loop: Header=BB206_12 Depth=1
	v_cmp_ne_u16_sdwa s[40:41], v4, s42 src0_sel:BYTE_1 src1_sel:DWORD
	buffer_store_dword v24, off, s[0:3], s32 offset:252 ; 4-byte Folded Spill
	s_nop 0
	buffer_store_dword v25, off, s[0:3], s32 offset:256 ; 4-byte Folded Spill
	s_and_saveexec_b64 s[28:29], s[40:41]
	s_cbranch_execz .LBB206_100
; %bb.97:                               ;   in Loop: Header=BB206_12 Depth=1
	buffer_load_dword v6, off, s[0:3], s32 offset:64 ; 4-byte Folded Reload
	buffer_load_dword v7, off, s[0:3], s32 offset:68 ; 4-byte Folded Reload
	v_and_b32_sdwa v5, v4, s43 dst_sel:DWORD dst_unused:UNUSED_PAD src0_sel:BYTE_1 src1_sel:DWORD
	v_cmp_ne_u32_e32 vcc, s43, v5
	s_waitcnt vmcnt(1)
	v_mov_b32_e32 v6, v24
	s_waitcnt vmcnt(0)
	v_mov_b32_e32 v8, v7
	buffer_store_dword v7, off, s[0:3], s32 offset:64 ; 4-byte Folded Spill
	s_nop 0
	buffer_store_dword v8, off, s[0:3], s32 offset:68 ; 4-byte Folded Spill
	buffer_store_dword v6, off, s[0:3], s32 offset:252 ; 4-byte Folded Spill
	s_nop 0
	buffer_store_dword v7, off, s[0:3], s32 offset:256 ; 4-byte Folded Spill
	s_and_saveexec_b64 s[40:41], vcc
	s_cbranch_execz .LBB206_99
; %bb.98:                               ;   in Loop: Header=BB206_12 Depth=1
	v_mov_b32_e32 v6, 7
	v_and_b32_sdwa v7, v4, v6 dst_sel:DWORD dst_unused:UNUSED_PAD src0_sel:BYTE_1 src1_sel:DWORD
	v_lshrrev_b32_e32 v12, 3, v5
	v_cmp_gt_u32_e32 vcc, 8, v5
	v_ffbh_u32_e32 v5, v7
	v_min_u32_e32 v5, 32, v5
	v_mov_b32_e32 v8, v24
	v_subrev_u32_e32 v9, 28, v5
	v_lshlrev_b64 v[8:9], v9, v[7:8]
	v_sub_u32_e32 v5, 29, v5
	v_and_b32_e32 v8, 7, v8
	v_cndmask_b32_e32 v5, v12, v5, vcc
	v_bfrev_b32_e32 v6, 60
	v_cndmask_b32_e32 v7, v7, v8, vcc
	v_lshlrev_b32_e32 v4, 16, v4
	v_lshl_add_u32 v5, v5, 23, v6
	v_and_or_b32 v4, v4, s44, v5
	v_lshlrev_b32_e32 v5, 20, v7
	v_or_b32_e32 v5, v4, v5
	v_mov_b32_e32 v4, v24
	buffer_store_dword v4, off, s[0:3], s32 offset:252 ; 4-byte Folded Spill
	s_nop 0
	buffer_store_dword v5, off, s[0:3], s32 offset:256 ; 4-byte Folded Spill
.LBB206_99:                             ;   in Loop: Header=BB206_12 Depth=1
	s_or_b64 exec, exec, s[40:41]
.LBB206_100:                            ;   in Loop: Header=BB206_12 Depth=1
	s_or_b64 exec, exec, s[28:29]
.LBB206_101:                            ;   in Loop: Header=BB206_12 Depth=1
	s_or_b64 exec, exec, s[26:27]
	flat_load_ushort v5, v[2:3] offset:524
	s_waitcnt vmcnt(0) lgkmcnt(0)
	v_and_b32_e32 v4, 0xffff, v5
	v_cmp_ne_u16_sdwa s[28:29], v5, v24 src0_sel:BYTE_0 src1_sel:DWORD
	v_mov_b32_e32 v5, 0
	v_mov_b32_e32 v6, 0
	buffer_store_dword v5, off, s[0:3], s32 offset:268 ; 4-byte Folded Spill
	s_nop 0
	buffer_store_dword v6, off, s[0:3], s32 offset:272 ; 4-byte Folded Spill
	v_mov_b32_e32 v5, 0
	v_mov_b32_e32 v6, 0
	buffer_store_dword v5, off, s[0:3], s32 offset:260 ; 4-byte Folded Spill
	s_nop 0
	buffer_store_dword v6, off, s[0:3], s32 offset:264 ; 4-byte Folded Spill
	s_and_saveexec_b64 s[26:27], s[28:29]
	s_cbranch_execz .LBB206_107
; %bb.102:                              ;   in Loop: Header=BB206_12 Depth=1
	v_bfrev_b32_e32 v5, 1
	v_mov_b32_e32 v6, 0
	v_cmp_ne_u16_sdwa s[40:41], v4, s42 src0_sel:BYTE_0 src1_sel:DWORD
	buffer_store_dword v5, off, s[0:3], s32 offset:260 ; 4-byte Folded Spill
	s_nop 0
	buffer_store_dword v6, off, s[0:3], s32 offset:264 ; 4-byte Folded Spill
	s_and_saveexec_b64 s[28:29], s[40:41]
	s_cbranch_execz .LBB206_106
; %bb.103:                              ;   in Loop: Header=BB206_12 Depth=1
	v_and_b32_e32 v5, 0x7f, v4
	v_mov_b32_e32 v6, 0x7f800001
	v_mov_b32_e32 v7, 0
	v_cmp_ne_u32_e32 vcc, s43, v5
	buffer_store_dword v6, off, s[0:3], s32 offset:260 ; 4-byte Folded Spill
	s_nop 0
	buffer_store_dword v7, off, s[0:3], s32 offset:264 ; 4-byte Folded Spill
	s_and_saveexec_b64 s[40:41], vcc
	s_cbranch_execz .LBB206_105
; %bb.104:                              ;   in Loop: Header=BB206_12 Depth=1
	v_and_b32_e32 v9, 7, v4
	v_lshrrev_b32_e32 v12, 3, v5
	v_cmp_gt_u32_e32 vcc, 8, v5
	v_ffbh_u32_e32 v5, v9
	v_min_u32_e32 v5, 32, v5
	v_subrev_u32_e32 v7, 28, v5
	v_lshlrev_b64 v[7:8], v7, v[4:5]
	v_sub_u32_e32 v5, 29, v5
	v_and_b32_e32 v7, 7, v7
	v_cndmask_b32_e32 v5, v12, v5, vcc
	v_cndmask_b32_e32 v7, v9, v7, vcc
	v_bfrev_b32_e32 v6, 60
	v_lshlrev_b32_e32 v7, 20, v7
	v_and_b32_sdwa v8, sext(v4), s44 dst_sel:DWORD dst_unused:UNUSED_PAD src0_sel:BYTE_0 src1_sel:DWORD
	v_lshl_add_u32 v5, v5, 23, v6
	v_or3_b32 v5, v8, v5, v7
	v_mov_b32_e32 v6, v24
	buffer_store_dword v5, off, s[0:3], s32 offset:260 ; 4-byte Folded Spill
	s_nop 0
	buffer_store_dword v6, off, s[0:3], s32 offset:264 ; 4-byte Folded Spill
.LBB206_105:                            ;   in Loop: Header=BB206_12 Depth=1
	s_or_b64 exec, exec, s[40:41]
.LBB206_106:                            ;   in Loop: Header=BB206_12 Depth=1
	s_or_b64 exec, exec, s[28:29]
.LBB206_107:                            ;   in Loop: Header=BB206_12 Depth=1
	s_or_b64 exec, exec, s[26:27]
	v_cmp_ne_u16_sdwa s[28:29], v4, v24 src0_sel:BYTE_1 src1_sel:DWORD
	s_and_saveexec_b64 s[26:27], s[28:29]
	s_cbranch_execz .LBB206_113
; %bb.108:                              ;   in Loop: Header=BB206_12 Depth=1
	v_cmp_ne_u16_sdwa s[40:41], v4, s42 src0_sel:BYTE_1 src1_sel:DWORD
	buffer_store_dword v24, off, s[0:3], s32 offset:268 ; 4-byte Folded Spill
	s_nop 0
	buffer_store_dword v25, off, s[0:3], s32 offset:272 ; 4-byte Folded Spill
	s_and_saveexec_b64 s[28:29], s[40:41]
	s_cbranch_execz .LBB206_112
; %bb.109:                              ;   in Loop: Header=BB206_12 Depth=1
	buffer_load_dword v6, off, s[0:3], s32 offset:64 ; 4-byte Folded Reload
	buffer_load_dword v7, off, s[0:3], s32 offset:68 ; 4-byte Folded Reload
	v_and_b32_sdwa v5, v4, s43 dst_sel:DWORD dst_unused:UNUSED_PAD src0_sel:BYTE_1 src1_sel:DWORD
	v_cmp_ne_u32_e32 vcc, s43, v5
	s_waitcnt vmcnt(1)
	v_mov_b32_e32 v6, v24
	s_waitcnt vmcnt(0)
	v_mov_b32_e32 v8, v7
	buffer_store_dword v7, off, s[0:3], s32 offset:64 ; 4-byte Folded Spill
	s_nop 0
	buffer_store_dword v8, off, s[0:3], s32 offset:68 ; 4-byte Folded Spill
	buffer_store_dword v6, off, s[0:3], s32 offset:268 ; 4-byte Folded Spill
	s_nop 0
	buffer_store_dword v7, off, s[0:3], s32 offset:272 ; 4-byte Folded Spill
	s_and_saveexec_b64 s[40:41], vcc
	s_cbranch_execz .LBB206_111
; %bb.110:                              ;   in Loop: Header=BB206_12 Depth=1
	v_mov_b32_e32 v6, 7
	v_and_b32_sdwa v7, v4, v6 dst_sel:DWORD dst_unused:UNUSED_PAD src0_sel:BYTE_1 src1_sel:DWORD
	v_lshrrev_b32_e32 v12, 3, v5
	v_cmp_gt_u32_e32 vcc, 8, v5
	v_ffbh_u32_e32 v5, v7
	v_min_u32_e32 v5, 32, v5
	v_mov_b32_e32 v8, v24
	v_subrev_u32_e32 v9, 28, v5
	v_lshlrev_b64 v[8:9], v9, v[7:8]
	v_sub_u32_e32 v5, 29, v5
	v_and_b32_e32 v8, 7, v8
	v_cndmask_b32_e32 v5, v12, v5, vcc
	v_bfrev_b32_e32 v6, 60
	v_cndmask_b32_e32 v7, v7, v8, vcc
	v_lshlrev_b32_e32 v4, 16, v4
	v_lshl_add_u32 v5, v5, 23, v6
	v_and_or_b32 v4, v4, s44, v5
	v_lshlrev_b32_e32 v5, 20, v7
	v_or_b32_e32 v5, v4, v5
	v_mov_b32_e32 v4, v24
	buffer_store_dword v4, off, s[0:3], s32 offset:268 ; 4-byte Folded Spill
	s_nop 0
	buffer_store_dword v5, off, s[0:3], s32 offset:272 ; 4-byte Folded Spill
.LBB206_111:                            ;   in Loop: Header=BB206_12 Depth=1
	s_or_b64 exec, exec, s[40:41]
.LBB206_112:                            ;   in Loop: Header=BB206_12 Depth=1
	s_or_b64 exec, exec, s[28:29]
.LBB206_113:                            ;   in Loop: Header=BB206_12 Depth=1
	s_or_b64 exec, exec, s[26:27]
	flat_load_ushort v5, v[2:3] offset:1024
	s_waitcnt vmcnt(0) lgkmcnt(0)
	v_and_b32_e32 v4, 0xffff, v5
	v_cmp_ne_u16_sdwa s[28:29], v5, v24 src0_sel:BYTE_0 src1_sel:DWORD
	v_mov_b32_e32 v5, 0
	v_mov_b32_e32 v6, 0
	buffer_store_dword v5, off, s[0:3], s32 offset:284 ; 4-byte Folded Spill
	s_nop 0
	buffer_store_dword v6, off, s[0:3], s32 offset:288 ; 4-byte Folded Spill
	v_mov_b32_e32 v5, 0
	v_mov_b32_e32 v6, 0
	buffer_store_dword v5, off, s[0:3], s32 offset:276 ; 4-byte Folded Spill
	s_nop 0
	buffer_store_dword v6, off, s[0:3], s32 offset:280 ; 4-byte Folded Spill
	s_and_saveexec_b64 s[26:27], s[28:29]
	s_cbranch_execz .LBB206_119
; %bb.114:                              ;   in Loop: Header=BB206_12 Depth=1
	v_bfrev_b32_e32 v5, 1
	v_mov_b32_e32 v6, 0
	v_cmp_ne_u16_sdwa s[40:41], v4, s42 src0_sel:BYTE_0 src1_sel:DWORD
	buffer_store_dword v5, off, s[0:3], s32 offset:276 ; 4-byte Folded Spill
	s_nop 0
	buffer_store_dword v6, off, s[0:3], s32 offset:280 ; 4-byte Folded Spill
	s_and_saveexec_b64 s[28:29], s[40:41]
	s_cbranch_execz .LBB206_118
; %bb.115:                              ;   in Loop: Header=BB206_12 Depth=1
	v_and_b32_e32 v5, 0x7f, v4
	v_mov_b32_e32 v6, 0x7f800001
	v_mov_b32_e32 v7, 0
	v_cmp_ne_u32_e32 vcc, s43, v5
	buffer_store_dword v6, off, s[0:3], s32 offset:276 ; 4-byte Folded Spill
	s_nop 0
	buffer_store_dword v7, off, s[0:3], s32 offset:280 ; 4-byte Folded Spill
	s_and_saveexec_b64 s[40:41], vcc
	s_cbranch_execz .LBB206_117
; %bb.116:                              ;   in Loop: Header=BB206_12 Depth=1
	v_and_b32_e32 v9, 7, v4
	v_lshrrev_b32_e32 v12, 3, v5
	v_cmp_gt_u32_e32 vcc, 8, v5
	v_ffbh_u32_e32 v5, v9
	v_min_u32_e32 v5, 32, v5
	v_subrev_u32_e32 v7, 28, v5
	v_lshlrev_b64 v[7:8], v7, v[4:5]
	v_sub_u32_e32 v5, 29, v5
	v_and_b32_e32 v7, 7, v7
	v_cndmask_b32_e32 v5, v12, v5, vcc
	v_cndmask_b32_e32 v7, v9, v7, vcc
	v_bfrev_b32_e32 v6, 60
	v_lshlrev_b32_e32 v7, 20, v7
	v_and_b32_sdwa v8, sext(v4), s44 dst_sel:DWORD dst_unused:UNUSED_PAD src0_sel:BYTE_0 src1_sel:DWORD
	v_lshl_add_u32 v5, v5, 23, v6
	v_or3_b32 v5, v8, v5, v7
	v_mov_b32_e32 v6, v24
	buffer_store_dword v5, off, s[0:3], s32 offset:276 ; 4-byte Folded Spill
	s_nop 0
	buffer_store_dword v6, off, s[0:3], s32 offset:280 ; 4-byte Folded Spill
.LBB206_117:                            ;   in Loop: Header=BB206_12 Depth=1
	s_or_b64 exec, exec, s[40:41]
.LBB206_118:                            ;   in Loop: Header=BB206_12 Depth=1
	s_or_b64 exec, exec, s[28:29]
.LBB206_119:                            ;   in Loop: Header=BB206_12 Depth=1
	s_or_b64 exec, exec, s[26:27]
	v_cmp_ne_u16_sdwa s[28:29], v4, v24 src0_sel:BYTE_1 src1_sel:DWORD
	s_and_saveexec_b64 s[26:27], s[28:29]
	s_cbranch_execz .LBB206_125
; %bb.120:                              ;   in Loop: Header=BB206_12 Depth=1
	v_cmp_ne_u16_sdwa s[40:41], v4, s42 src0_sel:BYTE_1 src1_sel:DWORD
	buffer_store_dword v24, off, s[0:3], s32 offset:284 ; 4-byte Folded Spill
	s_nop 0
	buffer_store_dword v25, off, s[0:3], s32 offset:288 ; 4-byte Folded Spill
	s_and_saveexec_b64 s[28:29], s[40:41]
	s_cbranch_execz .LBB206_124
; %bb.121:                              ;   in Loop: Header=BB206_12 Depth=1
	buffer_load_dword v6, off, s[0:3], s32 offset:64 ; 4-byte Folded Reload
	buffer_load_dword v7, off, s[0:3], s32 offset:68 ; 4-byte Folded Reload
	v_and_b32_sdwa v5, v4, s43 dst_sel:DWORD dst_unused:UNUSED_PAD src0_sel:BYTE_1 src1_sel:DWORD
	v_cmp_ne_u32_e32 vcc, s43, v5
	s_waitcnt vmcnt(1)
	v_mov_b32_e32 v6, v24
	s_waitcnt vmcnt(0)
	v_mov_b32_e32 v8, v7
	buffer_store_dword v7, off, s[0:3], s32 offset:64 ; 4-byte Folded Spill
	s_nop 0
	buffer_store_dword v8, off, s[0:3], s32 offset:68 ; 4-byte Folded Spill
	buffer_store_dword v6, off, s[0:3], s32 offset:284 ; 4-byte Folded Spill
	s_nop 0
	buffer_store_dword v7, off, s[0:3], s32 offset:288 ; 4-byte Folded Spill
	s_and_saveexec_b64 s[40:41], vcc
	s_cbranch_execz .LBB206_123
; %bb.122:                              ;   in Loop: Header=BB206_12 Depth=1
	v_mov_b32_e32 v6, 7
	v_and_b32_sdwa v7, v4, v6 dst_sel:DWORD dst_unused:UNUSED_PAD src0_sel:BYTE_1 src1_sel:DWORD
	v_lshrrev_b32_e32 v12, 3, v5
	v_cmp_gt_u32_e32 vcc, 8, v5
	v_ffbh_u32_e32 v5, v7
	v_min_u32_e32 v5, 32, v5
	v_mov_b32_e32 v8, v24
	v_subrev_u32_e32 v9, 28, v5
	v_lshlrev_b64 v[8:9], v9, v[7:8]
	v_sub_u32_e32 v5, 29, v5
	v_and_b32_e32 v8, 7, v8
	v_cndmask_b32_e32 v5, v12, v5, vcc
	v_bfrev_b32_e32 v6, 60
	v_cndmask_b32_e32 v7, v7, v8, vcc
	v_lshlrev_b32_e32 v4, 16, v4
	v_lshl_add_u32 v5, v5, 23, v6
	v_and_or_b32 v4, v4, s44, v5
	v_lshlrev_b32_e32 v5, 20, v7
	v_or_b32_e32 v5, v4, v5
	v_mov_b32_e32 v4, v24
	buffer_store_dword v4, off, s[0:3], s32 offset:284 ; 4-byte Folded Spill
	s_nop 0
	buffer_store_dword v5, off, s[0:3], s32 offset:288 ; 4-byte Folded Spill
.LBB206_123:                            ;   in Loop: Header=BB206_12 Depth=1
	s_or_b64 exec, exec, s[40:41]
.LBB206_124:                            ;   in Loop: Header=BB206_12 Depth=1
	s_or_b64 exec, exec, s[28:29]
.LBB206_125:                            ;   in Loop: Header=BB206_12 Depth=1
	s_or_b64 exec, exec, s[26:27]
	flat_load_ushort v5, v[2:3] offset:1028
	s_waitcnt vmcnt(0) lgkmcnt(0)
	v_and_b32_e32 v4, 0xffff, v5
	v_cmp_ne_u16_sdwa s[28:29], v5, v24 src0_sel:BYTE_0 src1_sel:DWORD
	v_mov_b32_e32 v5, 0
	v_mov_b32_e32 v6, 0
	buffer_store_dword v5, off, s[0:3], s32 offset:300 ; 4-byte Folded Spill
	s_nop 0
	buffer_store_dword v6, off, s[0:3], s32 offset:304 ; 4-byte Folded Spill
	v_mov_b32_e32 v5, 0
	v_mov_b32_e32 v6, 0
	buffer_store_dword v5, off, s[0:3], s32 offset:292 ; 4-byte Folded Spill
	s_nop 0
	buffer_store_dword v6, off, s[0:3], s32 offset:296 ; 4-byte Folded Spill
	s_and_saveexec_b64 s[26:27], s[28:29]
	s_cbranch_execz .LBB206_131
; %bb.126:                              ;   in Loop: Header=BB206_12 Depth=1
	v_bfrev_b32_e32 v5, 1
	v_mov_b32_e32 v6, 0
	v_cmp_ne_u16_sdwa s[40:41], v4, s42 src0_sel:BYTE_0 src1_sel:DWORD
	buffer_store_dword v5, off, s[0:3], s32 offset:292 ; 4-byte Folded Spill
	s_nop 0
	buffer_store_dword v6, off, s[0:3], s32 offset:296 ; 4-byte Folded Spill
	s_and_saveexec_b64 s[28:29], s[40:41]
	s_cbranch_execz .LBB206_130
; %bb.127:                              ;   in Loop: Header=BB206_12 Depth=1
	v_and_b32_e32 v5, 0x7f, v4
	v_mov_b32_e32 v6, 0x7f800001
	v_mov_b32_e32 v7, 0
	v_cmp_ne_u32_e32 vcc, s43, v5
	buffer_store_dword v6, off, s[0:3], s32 offset:292 ; 4-byte Folded Spill
	s_nop 0
	buffer_store_dword v7, off, s[0:3], s32 offset:296 ; 4-byte Folded Spill
	s_and_saveexec_b64 s[40:41], vcc
	s_cbranch_execz .LBB206_129
; %bb.128:                              ;   in Loop: Header=BB206_12 Depth=1
	v_and_b32_e32 v9, 7, v4
	v_lshrrev_b32_e32 v12, 3, v5
	v_cmp_gt_u32_e32 vcc, 8, v5
	v_ffbh_u32_e32 v5, v9
	v_min_u32_e32 v5, 32, v5
	v_subrev_u32_e32 v7, 28, v5
	v_lshlrev_b64 v[7:8], v7, v[4:5]
	v_sub_u32_e32 v5, 29, v5
	v_and_b32_e32 v7, 7, v7
	v_cndmask_b32_e32 v5, v12, v5, vcc
	v_cndmask_b32_e32 v7, v9, v7, vcc
	v_bfrev_b32_e32 v6, 60
	v_lshlrev_b32_e32 v7, 20, v7
	v_and_b32_sdwa v8, sext(v4), s44 dst_sel:DWORD dst_unused:UNUSED_PAD src0_sel:BYTE_0 src1_sel:DWORD
	v_lshl_add_u32 v5, v5, 23, v6
	v_or3_b32 v5, v8, v5, v7
	v_mov_b32_e32 v6, v24
	buffer_store_dword v5, off, s[0:3], s32 offset:292 ; 4-byte Folded Spill
	s_nop 0
	buffer_store_dword v6, off, s[0:3], s32 offset:296 ; 4-byte Folded Spill
.LBB206_129:                            ;   in Loop: Header=BB206_12 Depth=1
	s_or_b64 exec, exec, s[40:41]
.LBB206_130:                            ;   in Loop: Header=BB206_12 Depth=1
	s_or_b64 exec, exec, s[28:29]
.LBB206_131:                            ;   in Loop: Header=BB206_12 Depth=1
	s_or_b64 exec, exec, s[26:27]
	v_cmp_ne_u16_sdwa s[28:29], v4, v24 src0_sel:BYTE_1 src1_sel:DWORD
	s_and_saveexec_b64 s[26:27], s[28:29]
	s_cbranch_execz .LBB206_137
; %bb.132:                              ;   in Loop: Header=BB206_12 Depth=1
	v_cmp_ne_u16_sdwa s[40:41], v4, s42 src0_sel:BYTE_1 src1_sel:DWORD
	buffer_store_dword v24, off, s[0:3], s32 offset:300 ; 4-byte Folded Spill
	s_nop 0
	buffer_store_dword v25, off, s[0:3], s32 offset:304 ; 4-byte Folded Spill
	s_and_saveexec_b64 s[28:29], s[40:41]
	s_cbranch_execz .LBB206_136
; %bb.133:                              ;   in Loop: Header=BB206_12 Depth=1
	buffer_load_dword v6, off, s[0:3], s32 offset:64 ; 4-byte Folded Reload
	buffer_load_dword v7, off, s[0:3], s32 offset:68 ; 4-byte Folded Reload
	v_and_b32_sdwa v5, v4, s43 dst_sel:DWORD dst_unused:UNUSED_PAD src0_sel:BYTE_1 src1_sel:DWORD
	v_cmp_ne_u32_e32 vcc, s43, v5
	s_waitcnt vmcnt(1)
	v_mov_b32_e32 v6, v24
	s_waitcnt vmcnt(0)
	v_mov_b32_e32 v8, v7
	buffer_store_dword v7, off, s[0:3], s32 offset:64 ; 4-byte Folded Spill
	s_nop 0
	buffer_store_dword v8, off, s[0:3], s32 offset:68 ; 4-byte Folded Spill
	buffer_store_dword v6, off, s[0:3], s32 offset:300 ; 4-byte Folded Spill
	s_nop 0
	buffer_store_dword v7, off, s[0:3], s32 offset:304 ; 4-byte Folded Spill
	s_and_saveexec_b64 s[40:41], vcc
	s_cbranch_execz .LBB206_135
; %bb.134:                              ;   in Loop: Header=BB206_12 Depth=1
	v_mov_b32_e32 v6, 7
	v_and_b32_sdwa v7, v4, v6 dst_sel:DWORD dst_unused:UNUSED_PAD src0_sel:BYTE_1 src1_sel:DWORD
	v_lshrrev_b32_e32 v12, 3, v5
	v_cmp_gt_u32_e32 vcc, 8, v5
	v_ffbh_u32_e32 v5, v7
	v_min_u32_e32 v5, 32, v5
	v_mov_b32_e32 v8, v24
	v_subrev_u32_e32 v9, 28, v5
	v_lshlrev_b64 v[8:9], v9, v[7:8]
	v_sub_u32_e32 v5, 29, v5
	v_and_b32_e32 v8, 7, v8
	v_cndmask_b32_e32 v5, v12, v5, vcc
	v_bfrev_b32_e32 v6, 60
	v_cndmask_b32_e32 v7, v7, v8, vcc
	v_lshlrev_b32_e32 v4, 16, v4
	v_lshl_add_u32 v5, v5, 23, v6
	v_and_or_b32 v4, v4, s44, v5
	v_lshlrev_b32_e32 v5, 20, v7
	v_or_b32_e32 v5, v4, v5
	v_mov_b32_e32 v4, v24
	buffer_store_dword v4, off, s[0:3], s32 offset:300 ; 4-byte Folded Spill
	s_nop 0
	buffer_store_dword v5, off, s[0:3], s32 offset:304 ; 4-byte Folded Spill
.LBB206_135:                            ;   in Loop: Header=BB206_12 Depth=1
	s_or_b64 exec, exec, s[40:41]
.LBB206_136:                            ;   in Loop: Header=BB206_12 Depth=1
	s_or_b64 exec, exec, s[28:29]
.LBB206_137:                            ;   in Loop: Header=BB206_12 Depth=1
	s_or_b64 exec, exec, s[26:27]
	flat_load_ushort v5, v[2:3] offset:1032
	s_waitcnt vmcnt(0) lgkmcnt(0)
	v_and_b32_e32 v4, 0xffff, v5
	v_cmp_ne_u16_sdwa s[28:29], v5, v24 src0_sel:BYTE_0 src1_sel:DWORD
	v_mov_b32_e32 v5, 0
	v_mov_b32_e32 v6, 0
	buffer_store_dword v5, off, s[0:3], s32 offset:316 ; 4-byte Folded Spill
	s_nop 0
	buffer_store_dword v6, off, s[0:3], s32 offset:320 ; 4-byte Folded Spill
	v_mov_b32_e32 v5, 0
	v_mov_b32_e32 v6, 0
	buffer_store_dword v5, off, s[0:3], s32 offset:308 ; 4-byte Folded Spill
	s_nop 0
	buffer_store_dword v6, off, s[0:3], s32 offset:312 ; 4-byte Folded Spill
	s_and_saveexec_b64 s[26:27], s[28:29]
	s_cbranch_execz .LBB206_143
; %bb.138:                              ;   in Loop: Header=BB206_12 Depth=1
	v_bfrev_b32_e32 v5, 1
	v_mov_b32_e32 v6, 0
	v_cmp_ne_u16_sdwa s[40:41], v4, s42 src0_sel:BYTE_0 src1_sel:DWORD
	buffer_store_dword v5, off, s[0:3], s32 offset:308 ; 4-byte Folded Spill
	s_nop 0
	buffer_store_dword v6, off, s[0:3], s32 offset:312 ; 4-byte Folded Spill
	s_and_saveexec_b64 s[28:29], s[40:41]
	s_cbranch_execz .LBB206_142
; %bb.139:                              ;   in Loop: Header=BB206_12 Depth=1
	v_and_b32_e32 v5, 0x7f, v4
	v_mov_b32_e32 v6, 0x7f800001
	v_mov_b32_e32 v7, 0
	v_cmp_ne_u32_e32 vcc, s43, v5
	buffer_store_dword v6, off, s[0:3], s32 offset:308 ; 4-byte Folded Spill
	s_nop 0
	buffer_store_dword v7, off, s[0:3], s32 offset:312 ; 4-byte Folded Spill
	s_and_saveexec_b64 s[40:41], vcc
	s_cbranch_execz .LBB206_141
; %bb.140:                              ;   in Loop: Header=BB206_12 Depth=1
	v_and_b32_e32 v9, 7, v4
	v_lshrrev_b32_e32 v12, 3, v5
	v_cmp_gt_u32_e32 vcc, 8, v5
	v_ffbh_u32_e32 v5, v9
	v_min_u32_e32 v5, 32, v5
	v_subrev_u32_e32 v7, 28, v5
	v_lshlrev_b64 v[7:8], v7, v[4:5]
	v_sub_u32_e32 v5, 29, v5
	v_and_b32_e32 v7, 7, v7
	v_cndmask_b32_e32 v5, v12, v5, vcc
	v_cndmask_b32_e32 v7, v9, v7, vcc
	v_bfrev_b32_e32 v6, 60
	v_lshlrev_b32_e32 v7, 20, v7
	v_and_b32_sdwa v8, sext(v4), s44 dst_sel:DWORD dst_unused:UNUSED_PAD src0_sel:BYTE_0 src1_sel:DWORD
	v_lshl_add_u32 v5, v5, 23, v6
	v_or3_b32 v5, v8, v5, v7
	v_mov_b32_e32 v6, v24
	buffer_store_dword v5, off, s[0:3], s32 offset:308 ; 4-byte Folded Spill
	s_nop 0
	buffer_store_dword v6, off, s[0:3], s32 offset:312 ; 4-byte Folded Spill
.LBB206_141:                            ;   in Loop: Header=BB206_12 Depth=1
	s_or_b64 exec, exec, s[40:41]
.LBB206_142:                            ;   in Loop: Header=BB206_12 Depth=1
	s_or_b64 exec, exec, s[28:29]
.LBB206_143:                            ;   in Loop: Header=BB206_12 Depth=1
	s_or_b64 exec, exec, s[26:27]
	v_cmp_ne_u16_sdwa s[28:29], v4, v24 src0_sel:BYTE_1 src1_sel:DWORD
	s_and_saveexec_b64 s[26:27], s[28:29]
	s_cbranch_execz .LBB206_149
; %bb.144:                              ;   in Loop: Header=BB206_12 Depth=1
	v_cmp_ne_u16_sdwa s[40:41], v4, s42 src0_sel:BYTE_1 src1_sel:DWORD
	buffer_store_dword v24, off, s[0:3], s32 offset:316 ; 4-byte Folded Spill
	s_nop 0
	buffer_store_dword v25, off, s[0:3], s32 offset:320 ; 4-byte Folded Spill
	s_and_saveexec_b64 s[28:29], s[40:41]
	s_cbranch_execz .LBB206_148
; %bb.145:                              ;   in Loop: Header=BB206_12 Depth=1
	buffer_load_dword v6, off, s[0:3], s32 offset:64 ; 4-byte Folded Reload
	buffer_load_dword v7, off, s[0:3], s32 offset:68 ; 4-byte Folded Reload
	v_and_b32_sdwa v5, v4, s43 dst_sel:DWORD dst_unused:UNUSED_PAD src0_sel:BYTE_1 src1_sel:DWORD
	v_cmp_ne_u32_e32 vcc, s43, v5
	s_waitcnt vmcnt(1)
	v_mov_b32_e32 v6, v24
	s_waitcnt vmcnt(0)
	v_mov_b32_e32 v8, v7
	buffer_store_dword v7, off, s[0:3], s32 offset:64 ; 4-byte Folded Spill
	s_nop 0
	buffer_store_dword v8, off, s[0:3], s32 offset:68 ; 4-byte Folded Spill
	buffer_store_dword v6, off, s[0:3], s32 offset:316 ; 4-byte Folded Spill
	s_nop 0
	buffer_store_dword v7, off, s[0:3], s32 offset:320 ; 4-byte Folded Spill
	s_and_saveexec_b64 s[40:41], vcc
	s_cbranch_execz .LBB206_147
; %bb.146:                              ;   in Loop: Header=BB206_12 Depth=1
	v_mov_b32_e32 v6, 7
	v_and_b32_sdwa v7, v4, v6 dst_sel:DWORD dst_unused:UNUSED_PAD src0_sel:BYTE_1 src1_sel:DWORD
	v_lshrrev_b32_e32 v12, 3, v5
	v_cmp_gt_u32_e32 vcc, 8, v5
	v_ffbh_u32_e32 v5, v7
	v_min_u32_e32 v5, 32, v5
	v_mov_b32_e32 v8, v24
	v_subrev_u32_e32 v9, 28, v5
	v_lshlrev_b64 v[8:9], v9, v[7:8]
	v_sub_u32_e32 v5, 29, v5
	v_and_b32_e32 v8, 7, v8
	v_cndmask_b32_e32 v5, v12, v5, vcc
	v_bfrev_b32_e32 v6, 60
	v_cndmask_b32_e32 v7, v7, v8, vcc
	v_lshlrev_b32_e32 v4, 16, v4
	v_lshl_add_u32 v5, v5, 23, v6
	v_and_or_b32 v4, v4, s44, v5
	v_lshlrev_b32_e32 v5, 20, v7
	v_or_b32_e32 v5, v4, v5
	v_mov_b32_e32 v4, v24
	buffer_store_dword v4, off, s[0:3], s32 offset:316 ; 4-byte Folded Spill
	s_nop 0
	buffer_store_dword v5, off, s[0:3], s32 offset:320 ; 4-byte Folded Spill
.LBB206_147:                            ;   in Loop: Header=BB206_12 Depth=1
	s_or_b64 exec, exec, s[40:41]
.LBB206_148:                            ;   in Loop: Header=BB206_12 Depth=1
	s_or_b64 exec, exec, s[28:29]
.LBB206_149:                            ;   in Loop: Header=BB206_12 Depth=1
	s_or_b64 exec, exec, s[26:27]
	flat_load_ushort v5, v[2:3] offset:1036
	s_waitcnt vmcnt(0) lgkmcnt(0)
	v_and_b32_e32 v4, 0xffff, v5
	v_cmp_ne_u16_sdwa s[28:29], v5, v24 src0_sel:BYTE_0 src1_sel:DWORD
	v_mov_b32_e32 v5, 0
	v_mov_b32_e32 v6, 0
	buffer_store_dword v5, off, s[0:3], s32 offset:332 ; 4-byte Folded Spill
	s_nop 0
	buffer_store_dword v6, off, s[0:3], s32 offset:336 ; 4-byte Folded Spill
	v_mov_b32_e32 v5, 0
	v_mov_b32_e32 v6, 0
	buffer_store_dword v5, off, s[0:3], s32 offset:324 ; 4-byte Folded Spill
	s_nop 0
	buffer_store_dword v6, off, s[0:3], s32 offset:328 ; 4-byte Folded Spill
	s_and_saveexec_b64 s[26:27], s[28:29]
	s_cbranch_execz .LBB206_155
; %bb.150:                              ;   in Loop: Header=BB206_12 Depth=1
	v_bfrev_b32_e32 v5, 1
	v_mov_b32_e32 v6, 0
	v_cmp_ne_u16_sdwa s[40:41], v4, s42 src0_sel:BYTE_0 src1_sel:DWORD
	buffer_store_dword v5, off, s[0:3], s32 offset:324 ; 4-byte Folded Spill
	s_nop 0
	buffer_store_dword v6, off, s[0:3], s32 offset:328 ; 4-byte Folded Spill
	s_and_saveexec_b64 s[28:29], s[40:41]
	s_cbranch_execz .LBB206_154
; %bb.151:                              ;   in Loop: Header=BB206_12 Depth=1
	v_and_b32_e32 v5, 0x7f, v4
	v_mov_b32_e32 v6, 0x7f800001
	v_mov_b32_e32 v7, 0
	v_cmp_ne_u32_e32 vcc, s43, v5
	buffer_store_dword v6, off, s[0:3], s32 offset:324 ; 4-byte Folded Spill
	s_nop 0
	buffer_store_dword v7, off, s[0:3], s32 offset:328 ; 4-byte Folded Spill
	s_and_saveexec_b64 s[40:41], vcc
	s_cbranch_execz .LBB206_153
; %bb.152:                              ;   in Loop: Header=BB206_12 Depth=1
	v_and_b32_e32 v9, 7, v4
	v_lshrrev_b32_e32 v12, 3, v5
	v_cmp_gt_u32_e32 vcc, 8, v5
	v_ffbh_u32_e32 v5, v9
	v_min_u32_e32 v5, 32, v5
	v_subrev_u32_e32 v7, 28, v5
	v_lshlrev_b64 v[7:8], v7, v[4:5]
	v_sub_u32_e32 v5, 29, v5
	v_and_b32_e32 v7, 7, v7
	v_cndmask_b32_e32 v5, v12, v5, vcc
	v_cndmask_b32_e32 v7, v9, v7, vcc
	v_bfrev_b32_e32 v6, 60
	v_lshlrev_b32_e32 v7, 20, v7
	v_and_b32_sdwa v8, sext(v4), s44 dst_sel:DWORD dst_unused:UNUSED_PAD src0_sel:BYTE_0 src1_sel:DWORD
	v_lshl_add_u32 v5, v5, 23, v6
	v_or3_b32 v5, v8, v5, v7
	v_mov_b32_e32 v6, v24
	buffer_store_dword v5, off, s[0:3], s32 offset:324 ; 4-byte Folded Spill
	s_nop 0
	buffer_store_dword v6, off, s[0:3], s32 offset:328 ; 4-byte Folded Spill
.LBB206_153:                            ;   in Loop: Header=BB206_12 Depth=1
	s_or_b64 exec, exec, s[40:41]
.LBB206_154:                            ;   in Loop: Header=BB206_12 Depth=1
	s_or_b64 exec, exec, s[28:29]
.LBB206_155:                            ;   in Loop: Header=BB206_12 Depth=1
	s_or_b64 exec, exec, s[26:27]
	v_cmp_ne_u16_sdwa s[28:29], v4, v24 src0_sel:BYTE_1 src1_sel:DWORD
	s_and_saveexec_b64 s[26:27], s[28:29]
	s_cbranch_execz .LBB206_161
; %bb.156:                              ;   in Loop: Header=BB206_12 Depth=1
	v_cmp_ne_u16_sdwa s[40:41], v4, s42 src0_sel:BYTE_1 src1_sel:DWORD
	buffer_store_dword v24, off, s[0:3], s32 offset:332 ; 4-byte Folded Spill
	s_nop 0
	buffer_store_dword v25, off, s[0:3], s32 offset:336 ; 4-byte Folded Spill
	s_and_saveexec_b64 s[28:29], s[40:41]
	s_cbranch_execz .LBB206_160
; %bb.157:                              ;   in Loop: Header=BB206_12 Depth=1
	buffer_load_dword v6, off, s[0:3], s32 offset:64 ; 4-byte Folded Reload
	buffer_load_dword v7, off, s[0:3], s32 offset:68 ; 4-byte Folded Reload
	v_and_b32_sdwa v5, v4, s43 dst_sel:DWORD dst_unused:UNUSED_PAD src0_sel:BYTE_1 src1_sel:DWORD
	v_cmp_ne_u32_e32 vcc, s43, v5
	s_waitcnt vmcnt(1)
	v_mov_b32_e32 v6, v24
	s_waitcnt vmcnt(0)
	v_mov_b32_e32 v8, v7
	buffer_store_dword v7, off, s[0:3], s32 offset:64 ; 4-byte Folded Spill
	s_nop 0
	buffer_store_dword v8, off, s[0:3], s32 offset:68 ; 4-byte Folded Spill
	buffer_store_dword v6, off, s[0:3], s32 offset:332 ; 4-byte Folded Spill
	s_nop 0
	buffer_store_dword v7, off, s[0:3], s32 offset:336 ; 4-byte Folded Spill
	s_and_saveexec_b64 s[40:41], vcc
	s_cbranch_execz .LBB206_159
; %bb.158:                              ;   in Loop: Header=BB206_12 Depth=1
	v_mov_b32_e32 v6, 7
	v_and_b32_sdwa v7, v4, v6 dst_sel:DWORD dst_unused:UNUSED_PAD src0_sel:BYTE_1 src1_sel:DWORD
	v_lshrrev_b32_e32 v12, 3, v5
	v_cmp_gt_u32_e32 vcc, 8, v5
	v_ffbh_u32_e32 v5, v7
	v_min_u32_e32 v5, 32, v5
	v_mov_b32_e32 v8, v24
	v_subrev_u32_e32 v9, 28, v5
	v_lshlrev_b64 v[8:9], v9, v[7:8]
	v_sub_u32_e32 v5, 29, v5
	v_and_b32_e32 v8, 7, v8
	v_cndmask_b32_e32 v5, v12, v5, vcc
	v_bfrev_b32_e32 v6, 60
	v_cndmask_b32_e32 v7, v7, v8, vcc
	v_lshlrev_b32_e32 v4, 16, v4
	v_lshl_add_u32 v5, v5, 23, v6
	v_and_or_b32 v4, v4, s44, v5
	v_lshlrev_b32_e32 v5, 20, v7
	v_or_b32_e32 v5, v4, v5
	v_mov_b32_e32 v4, v24
	buffer_store_dword v4, off, s[0:3], s32 offset:332 ; 4-byte Folded Spill
	s_nop 0
	buffer_store_dword v5, off, s[0:3], s32 offset:336 ; 4-byte Folded Spill
.LBB206_159:                            ;   in Loop: Header=BB206_12 Depth=1
	s_or_b64 exec, exec, s[40:41]
.LBB206_160:                            ;   in Loop: Header=BB206_12 Depth=1
	s_or_b64 exec, exec, s[28:29]
.LBB206_161:                            ;   in Loop: Header=BB206_12 Depth=1
	s_or_b64 exec, exec, s[26:27]
	flat_load_ushort v5, v[2:3] offset:1536
	s_waitcnt vmcnt(0) lgkmcnt(0)
	v_and_b32_e32 v4, 0xffff, v5
	v_cmp_ne_u16_sdwa s[28:29], v5, v24 src0_sel:BYTE_0 src1_sel:DWORD
	v_mov_b32_e32 v5, 0
	v_mov_b32_e32 v6, 0
	buffer_store_dword v5, off, s[0:3], s32 offset:348 ; 4-byte Folded Spill
	s_nop 0
	buffer_store_dword v6, off, s[0:3], s32 offset:352 ; 4-byte Folded Spill
	v_mov_b32_e32 v5, 0
	v_mov_b32_e32 v6, 0
	buffer_store_dword v5, off, s[0:3], s32 offset:340 ; 4-byte Folded Spill
	s_nop 0
	buffer_store_dword v6, off, s[0:3], s32 offset:344 ; 4-byte Folded Spill
	s_and_saveexec_b64 s[26:27], s[28:29]
	s_cbranch_execz .LBB206_167
; %bb.162:                              ;   in Loop: Header=BB206_12 Depth=1
	v_bfrev_b32_e32 v5, 1
	v_mov_b32_e32 v6, 0
	v_cmp_ne_u16_sdwa s[40:41], v4, s42 src0_sel:BYTE_0 src1_sel:DWORD
	buffer_store_dword v5, off, s[0:3], s32 offset:340 ; 4-byte Folded Spill
	s_nop 0
	buffer_store_dword v6, off, s[0:3], s32 offset:344 ; 4-byte Folded Spill
	s_and_saveexec_b64 s[28:29], s[40:41]
	s_cbranch_execz .LBB206_166
; %bb.163:                              ;   in Loop: Header=BB206_12 Depth=1
	v_and_b32_e32 v5, 0x7f, v4
	v_mov_b32_e32 v6, 0x7f800001
	v_mov_b32_e32 v7, 0
	v_cmp_ne_u32_e32 vcc, s43, v5
	buffer_store_dword v6, off, s[0:3], s32 offset:340 ; 4-byte Folded Spill
	s_nop 0
	buffer_store_dword v7, off, s[0:3], s32 offset:344 ; 4-byte Folded Spill
	s_and_saveexec_b64 s[40:41], vcc
	s_cbranch_execz .LBB206_165
; %bb.164:                              ;   in Loop: Header=BB206_12 Depth=1
	v_and_b32_e32 v9, 7, v4
	v_lshrrev_b32_e32 v12, 3, v5
	v_cmp_gt_u32_e32 vcc, 8, v5
	v_ffbh_u32_e32 v5, v9
	v_min_u32_e32 v5, 32, v5
	v_subrev_u32_e32 v7, 28, v5
	v_lshlrev_b64 v[7:8], v7, v[4:5]
	v_sub_u32_e32 v5, 29, v5
	v_and_b32_e32 v7, 7, v7
	v_cndmask_b32_e32 v5, v12, v5, vcc
	v_cndmask_b32_e32 v7, v9, v7, vcc
	v_bfrev_b32_e32 v6, 60
	v_lshlrev_b32_e32 v7, 20, v7
	v_and_b32_sdwa v8, sext(v4), s44 dst_sel:DWORD dst_unused:UNUSED_PAD src0_sel:BYTE_0 src1_sel:DWORD
	v_lshl_add_u32 v5, v5, 23, v6
	v_or3_b32 v5, v8, v5, v7
	v_mov_b32_e32 v6, v24
	buffer_store_dword v5, off, s[0:3], s32 offset:340 ; 4-byte Folded Spill
	s_nop 0
	buffer_store_dword v6, off, s[0:3], s32 offset:344 ; 4-byte Folded Spill
.LBB206_165:                            ;   in Loop: Header=BB206_12 Depth=1
	s_or_b64 exec, exec, s[40:41]
.LBB206_166:                            ;   in Loop: Header=BB206_12 Depth=1
	s_or_b64 exec, exec, s[28:29]
.LBB206_167:                            ;   in Loop: Header=BB206_12 Depth=1
	s_or_b64 exec, exec, s[26:27]
	v_cmp_ne_u16_sdwa s[28:29], v4, v24 src0_sel:BYTE_1 src1_sel:DWORD
	s_and_saveexec_b64 s[26:27], s[28:29]
	s_cbranch_execz .LBB206_173
; %bb.168:                              ;   in Loop: Header=BB206_12 Depth=1
	v_cmp_ne_u16_sdwa s[40:41], v4, s42 src0_sel:BYTE_1 src1_sel:DWORD
	buffer_store_dword v24, off, s[0:3], s32 offset:348 ; 4-byte Folded Spill
	s_nop 0
	buffer_store_dword v25, off, s[0:3], s32 offset:352 ; 4-byte Folded Spill
	s_and_saveexec_b64 s[28:29], s[40:41]
	s_cbranch_execz .LBB206_172
; %bb.169:                              ;   in Loop: Header=BB206_12 Depth=1
	buffer_load_dword v6, off, s[0:3], s32 offset:64 ; 4-byte Folded Reload
	buffer_load_dword v7, off, s[0:3], s32 offset:68 ; 4-byte Folded Reload
	v_and_b32_sdwa v5, v4, s43 dst_sel:DWORD dst_unused:UNUSED_PAD src0_sel:BYTE_1 src1_sel:DWORD
	v_cmp_ne_u32_e32 vcc, s43, v5
	s_waitcnt vmcnt(1)
	v_mov_b32_e32 v6, v24
	s_waitcnt vmcnt(0)
	v_mov_b32_e32 v8, v7
	buffer_store_dword v7, off, s[0:3], s32 offset:64 ; 4-byte Folded Spill
	s_nop 0
	buffer_store_dword v8, off, s[0:3], s32 offset:68 ; 4-byte Folded Spill
	buffer_store_dword v6, off, s[0:3], s32 offset:348 ; 4-byte Folded Spill
	s_nop 0
	buffer_store_dword v7, off, s[0:3], s32 offset:352 ; 4-byte Folded Spill
	s_and_saveexec_b64 s[40:41], vcc
	s_cbranch_execz .LBB206_171
; %bb.170:                              ;   in Loop: Header=BB206_12 Depth=1
	v_mov_b32_e32 v6, 7
	v_and_b32_sdwa v7, v4, v6 dst_sel:DWORD dst_unused:UNUSED_PAD src0_sel:BYTE_1 src1_sel:DWORD
	v_lshrrev_b32_e32 v12, 3, v5
	v_cmp_gt_u32_e32 vcc, 8, v5
	v_ffbh_u32_e32 v5, v7
	v_min_u32_e32 v5, 32, v5
	v_mov_b32_e32 v8, v24
	v_subrev_u32_e32 v9, 28, v5
	v_lshlrev_b64 v[8:9], v9, v[7:8]
	v_sub_u32_e32 v5, 29, v5
	v_and_b32_e32 v8, 7, v8
	v_cndmask_b32_e32 v5, v12, v5, vcc
	v_bfrev_b32_e32 v6, 60
	v_cndmask_b32_e32 v7, v7, v8, vcc
	v_lshlrev_b32_e32 v4, 16, v4
	v_lshl_add_u32 v5, v5, 23, v6
	v_and_or_b32 v4, v4, s44, v5
	v_lshlrev_b32_e32 v5, 20, v7
	v_or_b32_e32 v5, v4, v5
	v_mov_b32_e32 v4, v24
	buffer_store_dword v4, off, s[0:3], s32 offset:348 ; 4-byte Folded Spill
	s_nop 0
	buffer_store_dword v5, off, s[0:3], s32 offset:352 ; 4-byte Folded Spill
.LBB206_171:                            ;   in Loop: Header=BB206_12 Depth=1
	s_or_b64 exec, exec, s[40:41]
.LBB206_172:                            ;   in Loop: Header=BB206_12 Depth=1
	s_or_b64 exec, exec, s[28:29]
.LBB206_173:                            ;   in Loop: Header=BB206_12 Depth=1
	s_or_b64 exec, exec, s[26:27]
	flat_load_ushort v5, v[2:3] offset:1540
	s_waitcnt vmcnt(0) lgkmcnt(0)
	v_and_b32_e32 v4, 0xffff, v5
	v_cmp_ne_u16_sdwa s[28:29], v5, v24 src0_sel:BYTE_0 src1_sel:DWORD
	v_mov_b32_e32 v5, 0
	v_mov_b32_e32 v6, 0
	buffer_store_dword v5, off, s[0:3], s32 offset:364 ; 4-byte Folded Spill
	s_nop 0
	buffer_store_dword v6, off, s[0:3], s32 offset:368 ; 4-byte Folded Spill
	v_mov_b32_e32 v5, 0
	v_mov_b32_e32 v6, 0
	buffer_store_dword v5, off, s[0:3], s32 offset:356 ; 4-byte Folded Spill
	s_nop 0
	buffer_store_dword v6, off, s[0:3], s32 offset:360 ; 4-byte Folded Spill
	s_and_saveexec_b64 s[26:27], s[28:29]
	s_cbranch_execz .LBB206_179
; %bb.174:                              ;   in Loop: Header=BB206_12 Depth=1
	v_bfrev_b32_e32 v5, 1
	v_mov_b32_e32 v6, 0
	v_cmp_ne_u16_sdwa s[40:41], v4, s42 src0_sel:BYTE_0 src1_sel:DWORD
	buffer_store_dword v5, off, s[0:3], s32 offset:356 ; 4-byte Folded Spill
	s_nop 0
	buffer_store_dword v6, off, s[0:3], s32 offset:360 ; 4-byte Folded Spill
	s_and_saveexec_b64 s[28:29], s[40:41]
	s_cbranch_execz .LBB206_178
; %bb.175:                              ;   in Loop: Header=BB206_12 Depth=1
	v_and_b32_e32 v5, 0x7f, v4
	v_mov_b32_e32 v6, 0x7f800001
	v_mov_b32_e32 v7, 0
	v_cmp_ne_u32_e32 vcc, s43, v5
	buffer_store_dword v6, off, s[0:3], s32 offset:356 ; 4-byte Folded Spill
	s_nop 0
	buffer_store_dword v7, off, s[0:3], s32 offset:360 ; 4-byte Folded Spill
	s_and_saveexec_b64 s[40:41], vcc
	s_cbranch_execz .LBB206_177
; %bb.176:                              ;   in Loop: Header=BB206_12 Depth=1
	v_and_b32_e32 v9, 7, v4
	v_lshrrev_b32_e32 v12, 3, v5
	v_cmp_gt_u32_e32 vcc, 8, v5
	v_ffbh_u32_e32 v5, v9
	v_min_u32_e32 v5, 32, v5
	v_subrev_u32_e32 v7, 28, v5
	v_lshlrev_b64 v[7:8], v7, v[4:5]
	v_sub_u32_e32 v5, 29, v5
	v_and_b32_e32 v7, 7, v7
	v_cndmask_b32_e32 v5, v12, v5, vcc
	v_cndmask_b32_e32 v7, v9, v7, vcc
	v_bfrev_b32_e32 v6, 60
	v_lshlrev_b32_e32 v7, 20, v7
	v_and_b32_sdwa v8, sext(v4), s44 dst_sel:DWORD dst_unused:UNUSED_PAD src0_sel:BYTE_0 src1_sel:DWORD
	v_lshl_add_u32 v5, v5, 23, v6
	v_or3_b32 v5, v8, v5, v7
	v_mov_b32_e32 v6, v24
	buffer_store_dword v5, off, s[0:3], s32 offset:356 ; 4-byte Folded Spill
	s_nop 0
	buffer_store_dword v6, off, s[0:3], s32 offset:360 ; 4-byte Folded Spill
.LBB206_177:                            ;   in Loop: Header=BB206_12 Depth=1
	s_or_b64 exec, exec, s[40:41]
.LBB206_178:                            ;   in Loop: Header=BB206_12 Depth=1
	s_or_b64 exec, exec, s[28:29]
.LBB206_179:                            ;   in Loop: Header=BB206_12 Depth=1
	s_or_b64 exec, exec, s[26:27]
	v_cmp_ne_u16_sdwa s[28:29], v4, v24 src0_sel:BYTE_1 src1_sel:DWORD
	s_and_saveexec_b64 s[26:27], s[28:29]
	s_cbranch_execz .LBB206_185
; %bb.180:                              ;   in Loop: Header=BB206_12 Depth=1
	v_cmp_ne_u16_sdwa s[40:41], v4, s42 src0_sel:BYTE_1 src1_sel:DWORD
	buffer_store_dword v24, off, s[0:3], s32 offset:364 ; 4-byte Folded Spill
	s_nop 0
	buffer_store_dword v25, off, s[0:3], s32 offset:368 ; 4-byte Folded Spill
	s_and_saveexec_b64 s[28:29], s[40:41]
	s_cbranch_execz .LBB206_184
; %bb.181:                              ;   in Loop: Header=BB206_12 Depth=1
	buffer_load_dword v6, off, s[0:3], s32 offset:64 ; 4-byte Folded Reload
	buffer_load_dword v7, off, s[0:3], s32 offset:68 ; 4-byte Folded Reload
	v_and_b32_sdwa v5, v4, s43 dst_sel:DWORD dst_unused:UNUSED_PAD src0_sel:BYTE_1 src1_sel:DWORD
	v_cmp_ne_u32_e32 vcc, s43, v5
	s_waitcnt vmcnt(1)
	v_mov_b32_e32 v6, v24
	s_waitcnt vmcnt(0)
	v_mov_b32_e32 v8, v7
	buffer_store_dword v7, off, s[0:3], s32 offset:64 ; 4-byte Folded Spill
	s_nop 0
	buffer_store_dword v8, off, s[0:3], s32 offset:68 ; 4-byte Folded Spill
	buffer_store_dword v6, off, s[0:3], s32 offset:364 ; 4-byte Folded Spill
	s_nop 0
	buffer_store_dword v7, off, s[0:3], s32 offset:368 ; 4-byte Folded Spill
	s_and_saveexec_b64 s[40:41], vcc
	s_cbranch_execz .LBB206_183
; %bb.182:                              ;   in Loop: Header=BB206_12 Depth=1
	v_mov_b32_e32 v6, 7
	v_and_b32_sdwa v7, v4, v6 dst_sel:DWORD dst_unused:UNUSED_PAD src0_sel:BYTE_1 src1_sel:DWORD
	v_lshrrev_b32_e32 v12, 3, v5
	v_cmp_gt_u32_e32 vcc, 8, v5
	v_ffbh_u32_e32 v5, v7
	v_min_u32_e32 v5, 32, v5
	v_mov_b32_e32 v8, v24
	v_subrev_u32_e32 v9, 28, v5
	v_lshlrev_b64 v[8:9], v9, v[7:8]
	v_sub_u32_e32 v5, 29, v5
	v_and_b32_e32 v8, 7, v8
	v_cndmask_b32_e32 v5, v12, v5, vcc
	v_bfrev_b32_e32 v6, 60
	v_cndmask_b32_e32 v7, v7, v8, vcc
	v_lshlrev_b32_e32 v4, 16, v4
	v_lshl_add_u32 v5, v5, 23, v6
	v_and_or_b32 v4, v4, s44, v5
	v_lshlrev_b32_e32 v5, 20, v7
	v_or_b32_e32 v5, v4, v5
	v_mov_b32_e32 v4, v24
	buffer_store_dword v4, off, s[0:3], s32 offset:364 ; 4-byte Folded Spill
	s_nop 0
	buffer_store_dword v5, off, s[0:3], s32 offset:368 ; 4-byte Folded Spill
.LBB206_183:                            ;   in Loop: Header=BB206_12 Depth=1
	s_or_b64 exec, exec, s[40:41]
.LBB206_184:                            ;   in Loop: Header=BB206_12 Depth=1
	s_or_b64 exec, exec, s[28:29]
.LBB206_185:                            ;   in Loop: Header=BB206_12 Depth=1
	s_or_b64 exec, exec, s[26:27]
	flat_load_ushort v5, v[2:3] offset:1544
	s_waitcnt vmcnt(0) lgkmcnt(0)
	v_and_b32_e32 v4, 0xffff, v5
	v_cmp_ne_u16_sdwa s[28:29], v5, v24 src0_sel:BYTE_0 src1_sel:DWORD
	v_mov_b32_e32 v5, 0
	v_mov_b32_e32 v6, 0
	buffer_store_dword v5, off, s[0:3], s32 offset:380 ; 4-byte Folded Spill
	s_nop 0
	buffer_store_dword v6, off, s[0:3], s32 offset:384 ; 4-byte Folded Spill
	v_mov_b32_e32 v5, 0
	v_mov_b32_e32 v6, 0
	buffer_store_dword v5, off, s[0:3], s32 offset:372 ; 4-byte Folded Spill
	s_nop 0
	buffer_store_dword v6, off, s[0:3], s32 offset:376 ; 4-byte Folded Spill
	s_and_saveexec_b64 s[26:27], s[28:29]
	s_cbranch_execz .LBB206_191
; %bb.186:                              ;   in Loop: Header=BB206_12 Depth=1
	v_bfrev_b32_e32 v5, 1
	v_mov_b32_e32 v6, 0
	v_cmp_ne_u16_sdwa s[40:41], v4, s42 src0_sel:BYTE_0 src1_sel:DWORD
	buffer_store_dword v5, off, s[0:3], s32 offset:372 ; 4-byte Folded Spill
	s_nop 0
	buffer_store_dword v6, off, s[0:3], s32 offset:376 ; 4-byte Folded Spill
	s_and_saveexec_b64 s[28:29], s[40:41]
	s_cbranch_execz .LBB206_190
; %bb.187:                              ;   in Loop: Header=BB206_12 Depth=1
	v_and_b32_e32 v5, 0x7f, v4
	v_mov_b32_e32 v6, 0x7f800001
	v_mov_b32_e32 v7, 0
	v_cmp_ne_u32_e32 vcc, s43, v5
	buffer_store_dword v6, off, s[0:3], s32 offset:372 ; 4-byte Folded Spill
	s_nop 0
	buffer_store_dword v7, off, s[0:3], s32 offset:376 ; 4-byte Folded Spill
	s_and_saveexec_b64 s[40:41], vcc
	s_cbranch_execz .LBB206_189
; %bb.188:                              ;   in Loop: Header=BB206_12 Depth=1
	v_and_b32_e32 v9, 7, v4
	v_lshrrev_b32_e32 v12, 3, v5
	v_cmp_gt_u32_e32 vcc, 8, v5
	v_ffbh_u32_e32 v5, v9
	v_min_u32_e32 v5, 32, v5
	v_subrev_u32_e32 v7, 28, v5
	v_lshlrev_b64 v[7:8], v7, v[4:5]
	v_sub_u32_e32 v5, 29, v5
	v_and_b32_e32 v7, 7, v7
	v_cndmask_b32_e32 v5, v12, v5, vcc
	v_cndmask_b32_e32 v7, v9, v7, vcc
	v_bfrev_b32_e32 v6, 60
	v_lshlrev_b32_e32 v7, 20, v7
	v_and_b32_sdwa v8, sext(v4), s44 dst_sel:DWORD dst_unused:UNUSED_PAD src0_sel:BYTE_0 src1_sel:DWORD
	v_lshl_add_u32 v5, v5, 23, v6
	v_or3_b32 v5, v8, v5, v7
	v_mov_b32_e32 v6, v24
	buffer_store_dword v5, off, s[0:3], s32 offset:372 ; 4-byte Folded Spill
	s_nop 0
	buffer_store_dword v6, off, s[0:3], s32 offset:376 ; 4-byte Folded Spill
.LBB206_189:                            ;   in Loop: Header=BB206_12 Depth=1
	s_or_b64 exec, exec, s[40:41]
.LBB206_190:                            ;   in Loop: Header=BB206_12 Depth=1
	s_or_b64 exec, exec, s[28:29]
.LBB206_191:                            ;   in Loop: Header=BB206_12 Depth=1
	s_or_b64 exec, exec, s[26:27]
	v_cmp_ne_u16_sdwa s[28:29], v4, v24 src0_sel:BYTE_1 src1_sel:DWORD
	s_and_saveexec_b64 s[26:27], s[28:29]
	s_cbranch_execz .LBB206_197
; %bb.192:                              ;   in Loop: Header=BB206_12 Depth=1
	v_cmp_ne_u16_sdwa s[40:41], v4, s42 src0_sel:BYTE_1 src1_sel:DWORD
	buffer_store_dword v24, off, s[0:3], s32 offset:380 ; 4-byte Folded Spill
	s_nop 0
	buffer_store_dword v25, off, s[0:3], s32 offset:384 ; 4-byte Folded Spill
	s_and_saveexec_b64 s[28:29], s[40:41]
	s_cbranch_execz .LBB206_196
; %bb.193:                              ;   in Loop: Header=BB206_12 Depth=1
	buffer_load_dword v6, off, s[0:3], s32 offset:64 ; 4-byte Folded Reload
	buffer_load_dword v7, off, s[0:3], s32 offset:68 ; 4-byte Folded Reload
	v_and_b32_sdwa v5, v4, s43 dst_sel:DWORD dst_unused:UNUSED_PAD src0_sel:BYTE_1 src1_sel:DWORD
	v_cmp_ne_u32_e32 vcc, s43, v5
	s_waitcnt vmcnt(1)
	v_mov_b32_e32 v6, v24
	s_waitcnt vmcnt(0)
	v_mov_b32_e32 v8, v7
	buffer_store_dword v7, off, s[0:3], s32 offset:64 ; 4-byte Folded Spill
	s_nop 0
	buffer_store_dword v8, off, s[0:3], s32 offset:68 ; 4-byte Folded Spill
	buffer_store_dword v6, off, s[0:3], s32 offset:380 ; 4-byte Folded Spill
	s_nop 0
	buffer_store_dword v7, off, s[0:3], s32 offset:384 ; 4-byte Folded Spill
	s_and_saveexec_b64 s[40:41], vcc
	s_cbranch_execz .LBB206_195
; %bb.194:                              ;   in Loop: Header=BB206_12 Depth=1
	v_mov_b32_e32 v6, 7
	v_and_b32_sdwa v7, v4, v6 dst_sel:DWORD dst_unused:UNUSED_PAD src0_sel:BYTE_1 src1_sel:DWORD
	v_lshrrev_b32_e32 v12, 3, v5
	v_cmp_gt_u32_e32 vcc, 8, v5
	v_ffbh_u32_e32 v5, v7
	v_min_u32_e32 v5, 32, v5
	v_mov_b32_e32 v8, v24
	v_subrev_u32_e32 v9, 28, v5
	v_lshlrev_b64 v[8:9], v9, v[7:8]
	v_sub_u32_e32 v5, 29, v5
	v_and_b32_e32 v8, 7, v8
	v_cndmask_b32_e32 v5, v12, v5, vcc
	v_bfrev_b32_e32 v6, 60
	v_cndmask_b32_e32 v7, v7, v8, vcc
	v_lshlrev_b32_e32 v4, 16, v4
	v_lshl_add_u32 v5, v5, 23, v6
	v_and_or_b32 v4, v4, s44, v5
	v_lshlrev_b32_e32 v5, 20, v7
	v_or_b32_e32 v5, v4, v5
	v_mov_b32_e32 v4, v24
	buffer_store_dword v4, off, s[0:3], s32 offset:380 ; 4-byte Folded Spill
	s_nop 0
	buffer_store_dword v5, off, s[0:3], s32 offset:384 ; 4-byte Folded Spill
.LBB206_195:                            ;   in Loop: Header=BB206_12 Depth=1
	s_or_b64 exec, exec, s[40:41]
.LBB206_196:                            ;   in Loop: Header=BB206_12 Depth=1
	s_or_b64 exec, exec, s[28:29]
.LBB206_197:                            ;   in Loop: Header=BB206_12 Depth=1
	s_or_b64 exec, exec, s[26:27]
	flat_load_ushort v5, v[2:3] offset:1548
	s_waitcnt vmcnt(0) lgkmcnt(0)
	v_and_b32_e32 v4, 0xffff, v5
	v_cmp_ne_u16_sdwa s[28:29], v5, v24 src0_sel:BYTE_0 src1_sel:DWORD
	v_mov_b32_e32 v5, 0
	v_mov_b32_e32 v6, 0
	buffer_store_dword v5, off, s[0:3], s32 offset:396 ; 4-byte Folded Spill
	s_nop 0
	buffer_store_dword v6, off, s[0:3], s32 offset:400 ; 4-byte Folded Spill
	v_mov_b32_e32 v5, 0
	v_mov_b32_e32 v6, 0
	buffer_store_dword v5, off, s[0:3], s32 offset:388 ; 4-byte Folded Spill
	s_nop 0
	buffer_store_dword v6, off, s[0:3], s32 offset:392 ; 4-byte Folded Spill
	s_and_saveexec_b64 s[26:27], s[28:29]
	s_cbranch_execz .LBB206_203
; %bb.198:                              ;   in Loop: Header=BB206_12 Depth=1
	v_bfrev_b32_e32 v5, 1
	v_mov_b32_e32 v6, 0
	v_cmp_ne_u16_sdwa s[40:41], v4, s42 src0_sel:BYTE_0 src1_sel:DWORD
	buffer_store_dword v5, off, s[0:3], s32 offset:388 ; 4-byte Folded Spill
	s_nop 0
	buffer_store_dword v6, off, s[0:3], s32 offset:392 ; 4-byte Folded Spill
	s_and_saveexec_b64 s[28:29], s[40:41]
	s_cbranch_execz .LBB206_202
; %bb.199:                              ;   in Loop: Header=BB206_12 Depth=1
	v_and_b32_e32 v5, 0x7f, v4
	v_mov_b32_e32 v6, 0x7f800001
	v_mov_b32_e32 v7, 0
	v_cmp_ne_u32_e32 vcc, s43, v5
	buffer_store_dword v6, off, s[0:3], s32 offset:388 ; 4-byte Folded Spill
	s_nop 0
	buffer_store_dword v7, off, s[0:3], s32 offset:392 ; 4-byte Folded Spill
	s_and_saveexec_b64 s[40:41], vcc
	s_cbranch_execz .LBB206_201
; %bb.200:                              ;   in Loop: Header=BB206_12 Depth=1
	v_and_b32_e32 v9, 7, v4
	v_lshrrev_b32_e32 v12, 3, v5
	v_cmp_gt_u32_e32 vcc, 8, v5
	v_ffbh_u32_e32 v5, v9
	v_min_u32_e32 v5, 32, v5
	v_subrev_u32_e32 v7, 28, v5
	v_lshlrev_b64 v[7:8], v7, v[4:5]
	v_sub_u32_e32 v5, 29, v5
	v_and_b32_e32 v7, 7, v7
	v_cndmask_b32_e32 v5, v12, v5, vcc
	v_cndmask_b32_e32 v7, v9, v7, vcc
	v_bfrev_b32_e32 v6, 60
	v_lshlrev_b32_e32 v7, 20, v7
	v_and_b32_sdwa v8, sext(v4), s44 dst_sel:DWORD dst_unused:UNUSED_PAD src0_sel:BYTE_0 src1_sel:DWORD
	v_lshl_add_u32 v5, v5, 23, v6
	v_or3_b32 v5, v8, v5, v7
	v_mov_b32_e32 v6, v24
	buffer_store_dword v5, off, s[0:3], s32 offset:388 ; 4-byte Folded Spill
	s_nop 0
	buffer_store_dword v6, off, s[0:3], s32 offset:392 ; 4-byte Folded Spill
.LBB206_201:                            ;   in Loop: Header=BB206_12 Depth=1
	s_or_b64 exec, exec, s[40:41]
.LBB206_202:                            ;   in Loop: Header=BB206_12 Depth=1
	s_or_b64 exec, exec, s[28:29]
.LBB206_203:                            ;   in Loop: Header=BB206_12 Depth=1
	s_or_b64 exec, exec, s[26:27]
	v_cmp_ne_u16_sdwa s[28:29], v4, v24 src0_sel:BYTE_1 src1_sel:DWORD
	s_and_saveexec_b64 s[26:27], s[28:29]
	s_cbranch_execz .LBB206_209
; %bb.204:                              ;   in Loop: Header=BB206_12 Depth=1
	v_cmp_ne_u16_sdwa s[40:41], v4, s42 src0_sel:BYTE_1 src1_sel:DWORD
	buffer_store_dword v24, off, s[0:3], s32 offset:396 ; 4-byte Folded Spill
	s_nop 0
	buffer_store_dword v25, off, s[0:3], s32 offset:400 ; 4-byte Folded Spill
	s_and_saveexec_b64 s[28:29], s[40:41]
	s_cbranch_execz .LBB206_208
; %bb.205:                              ;   in Loop: Header=BB206_12 Depth=1
	buffer_load_dword v6, off, s[0:3], s32 offset:64 ; 4-byte Folded Reload
	buffer_load_dword v7, off, s[0:3], s32 offset:68 ; 4-byte Folded Reload
	v_and_b32_sdwa v5, v4, s43 dst_sel:DWORD dst_unused:UNUSED_PAD src0_sel:BYTE_1 src1_sel:DWORD
	v_cmp_ne_u32_e32 vcc, s43, v5
	s_waitcnt vmcnt(1)
	v_mov_b32_e32 v6, v24
	s_waitcnt vmcnt(0)
	v_mov_b32_e32 v8, v7
	buffer_store_dword v7, off, s[0:3], s32 offset:64 ; 4-byte Folded Spill
	s_nop 0
	buffer_store_dword v8, off, s[0:3], s32 offset:68 ; 4-byte Folded Spill
	buffer_store_dword v6, off, s[0:3], s32 offset:396 ; 4-byte Folded Spill
	s_nop 0
	buffer_store_dword v7, off, s[0:3], s32 offset:400 ; 4-byte Folded Spill
	s_and_saveexec_b64 s[40:41], vcc
	s_cbranch_execz .LBB206_207
; %bb.206:                              ;   in Loop: Header=BB206_12 Depth=1
	v_mov_b32_e32 v6, 7
	v_and_b32_sdwa v7, v4, v6 dst_sel:DWORD dst_unused:UNUSED_PAD src0_sel:BYTE_1 src1_sel:DWORD
	v_lshrrev_b32_e32 v12, 3, v5
	v_cmp_gt_u32_e32 vcc, 8, v5
	v_ffbh_u32_e32 v5, v7
	v_min_u32_e32 v5, 32, v5
	v_mov_b32_e32 v8, v24
	v_subrev_u32_e32 v9, 28, v5
	v_lshlrev_b64 v[8:9], v9, v[7:8]
	v_sub_u32_e32 v5, 29, v5
	v_and_b32_e32 v8, 7, v8
	v_cndmask_b32_e32 v5, v12, v5, vcc
	v_bfrev_b32_e32 v6, 60
	v_cndmask_b32_e32 v7, v7, v8, vcc
	v_lshlrev_b32_e32 v4, 16, v4
	v_lshl_add_u32 v5, v5, 23, v6
	v_and_or_b32 v4, v4, s44, v5
	v_lshlrev_b32_e32 v5, 20, v7
	v_or_b32_e32 v5, v4, v5
	v_mov_b32_e32 v4, v24
	buffer_store_dword v4, off, s[0:3], s32 offset:396 ; 4-byte Folded Spill
	s_nop 0
	buffer_store_dword v5, off, s[0:3], s32 offset:400 ; 4-byte Folded Spill
.LBB206_207:                            ;   in Loop: Header=BB206_12 Depth=1
	s_or_b64 exec, exec, s[40:41]
.LBB206_208:                            ;   in Loop: Header=BB206_12 Depth=1
	s_or_b64 exec, exec, s[28:29]
.LBB206_209:                            ;   in Loop: Header=BB206_12 Depth=1
	s_or_b64 exec, exec, s[26:27]
	flat_load_ushort v5, v[2:3] offset:2048
	s_waitcnt vmcnt(0) lgkmcnt(0)
	v_and_b32_e32 v4, 0xffff, v5
	v_cmp_ne_u16_sdwa s[28:29], v5, v24 src0_sel:BYTE_0 src1_sel:DWORD
	v_mov_b32_e32 v5, 0
	v_mov_b32_e32 v6, 0
	buffer_store_dword v5, off, s[0:3], s32 offset:412 ; 4-byte Folded Spill
	s_nop 0
	buffer_store_dword v6, off, s[0:3], s32 offset:416 ; 4-byte Folded Spill
	v_mov_b32_e32 v5, 0
	v_mov_b32_e32 v6, 0
	buffer_store_dword v5, off, s[0:3], s32 offset:404 ; 4-byte Folded Spill
	s_nop 0
	buffer_store_dword v6, off, s[0:3], s32 offset:408 ; 4-byte Folded Spill
	s_and_saveexec_b64 s[26:27], s[28:29]
	s_cbranch_execz .LBB206_215
; %bb.210:                              ;   in Loop: Header=BB206_12 Depth=1
	v_bfrev_b32_e32 v5, 1
	v_mov_b32_e32 v6, 0
	v_cmp_ne_u16_sdwa s[40:41], v4, s42 src0_sel:BYTE_0 src1_sel:DWORD
	buffer_store_dword v5, off, s[0:3], s32 offset:404 ; 4-byte Folded Spill
	s_nop 0
	buffer_store_dword v6, off, s[0:3], s32 offset:408 ; 4-byte Folded Spill
	s_and_saveexec_b64 s[28:29], s[40:41]
	s_cbranch_execz .LBB206_214
; %bb.211:                              ;   in Loop: Header=BB206_12 Depth=1
	v_and_b32_e32 v5, 0x7f, v4
	v_mov_b32_e32 v6, 0x7f800001
	v_mov_b32_e32 v7, 0
	v_cmp_ne_u32_e32 vcc, s43, v5
	buffer_store_dword v6, off, s[0:3], s32 offset:404 ; 4-byte Folded Spill
	s_nop 0
	buffer_store_dword v7, off, s[0:3], s32 offset:408 ; 4-byte Folded Spill
	s_and_saveexec_b64 s[40:41], vcc
	s_cbranch_execz .LBB206_213
; %bb.212:                              ;   in Loop: Header=BB206_12 Depth=1
	v_and_b32_e32 v9, 7, v4
	v_lshrrev_b32_e32 v12, 3, v5
	v_cmp_gt_u32_e32 vcc, 8, v5
	v_ffbh_u32_e32 v5, v9
	v_min_u32_e32 v5, 32, v5
	v_subrev_u32_e32 v7, 28, v5
	v_lshlrev_b64 v[7:8], v7, v[4:5]
	v_sub_u32_e32 v5, 29, v5
	v_and_b32_e32 v7, 7, v7
	v_cndmask_b32_e32 v5, v12, v5, vcc
	v_cndmask_b32_e32 v7, v9, v7, vcc
	v_bfrev_b32_e32 v6, 60
	v_lshlrev_b32_e32 v7, 20, v7
	v_and_b32_sdwa v8, sext(v4), s44 dst_sel:DWORD dst_unused:UNUSED_PAD src0_sel:BYTE_0 src1_sel:DWORD
	v_lshl_add_u32 v5, v5, 23, v6
	v_or3_b32 v5, v8, v5, v7
	v_mov_b32_e32 v6, v24
	buffer_store_dword v5, off, s[0:3], s32 offset:404 ; 4-byte Folded Spill
	s_nop 0
	buffer_store_dword v6, off, s[0:3], s32 offset:408 ; 4-byte Folded Spill
.LBB206_213:                            ;   in Loop: Header=BB206_12 Depth=1
	s_or_b64 exec, exec, s[40:41]
.LBB206_214:                            ;   in Loop: Header=BB206_12 Depth=1
	s_or_b64 exec, exec, s[28:29]
.LBB206_215:                            ;   in Loop: Header=BB206_12 Depth=1
	s_or_b64 exec, exec, s[26:27]
	v_cmp_ne_u16_sdwa s[28:29], v4, v24 src0_sel:BYTE_1 src1_sel:DWORD
	s_and_saveexec_b64 s[26:27], s[28:29]
	s_cbranch_execz .LBB206_221
; %bb.216:                              ;   in Loop: Header=BB206_12 Depth=1
	v_cmp_ne_u16_sdwa s[40:41], v4, s42 src0_sel:BYTE_1 src1_sel:DWORD
	buffer_store_dword v24, off, s[0:3], s32 offset:412 ; 4-byte Folded Spill
	s_nop 0
	buffer_store_dword v25, off, s[0:3], s32 offset:416 ; 4-byte Folded Spill
	s_and_saveexec_b64 s[28:29], s[40:41]
	s_cbranch_execz .LBB206_220
; %bb.217:                              ;   in Loop: Header=BB206_12 Depth=1
	buffer_load_dword v6, off, s[0:3], s32 offset:64 ; 4-byte Folded Reload
	buffer_load_dword v7, off, s[0:3], s32 offset:68 ; 4-byte Folded Reload
	v_and_b32_sdwa v5, v4, s43 dst_sel:DWORD dst_unused:UNUSED_PAD src0_sel:BYTE_1 src1_sel:DWORD
	v_cmp_ne_u32_e32 vcc, s43, v5
	s_waitcnt vmcnt(1)
	v_mov_b32_e32 v6, v24
	s_waitcnt vmcnt(0)
	v_mov_b32_e32 v8, v7
	buffer_store_dword v7, off, s[0:3], s32 offset:64 ; 4-byte Folded Spill
	s_nop 0
	buffer_store_dword v8, off, s[0:3], s32 offset:68 ; 4-byte Folded Spill
	buffer_store_dword v6, off, s[0:3], s32 offset:412 ; 4-byte Folded Spill
	s_nop 0
	buffer_store_dword v7, off, s[0:3], s32 offset:416 ; 4-byte Folded Spill
	s_and_saveexec_b64 s[40:41], vcc
	s_cbranch_execz .LBB206_219
; %bb.218:                              ;   in Loop: Header=BB206_12 Depth=1
	v_mov_b32_e32 v6, 7
	v_and_b32_sdwa v7, v4, v6 dst_sel:DWORD dst_unused:UNUSED_PAD src0_sel:BYTE_1 src1_sel:DWORD
	v_lshrrev_b32_e32 v12, 3, v5
	v_cmp_gt_u32_e32 vcc, 8, v5
	v_ffbh_u32_e32 v5, v7
	v_min_u32_e32 v5, 32, v5
	v_mov_b32_e32 v8, v24
	v_subrev_u32_e32 v9, 28, v5
	v_lshlrev_b64 v[8:9], v9, v[7:8]
	v_sub_u32_e32 v5, 29, v5
	v_and_b32_e32 v8, 7, v8
	v_cndmask_b32_e32 v5, v12, v5, vcc
	v_bfrev_b32_e32 v6, 60
	v_cndmask_b32_e32 v7, v7, v8, vcc
	v_lshlrev_b32_e32 v4, 16, v4
	v_lshl_add_u32 v5, v5, 23, v6
	v_and_or_b32 v4, v4, s44, v5
	v_lshlrev_b32_e32 v5, 20, v7
	v_or_b32_e32 v5, v4, v5
	v_mov_b32_e32 v4, v24
	buffer_store_dword v4, off, s[0:3], s32 offset:412 ; 4-byte Folded Spill
	s_nop 0
	buffer_store_dword v5, off, s[0:3], s32 offset:416 ; 4-byte Folded Spill
.LBB206_219:                            ;   in Loop: Header=BB206_12 Depth=1
	s_or_b64 exec, exec, s[40:41]
.LBB206_220:                            ;   in Loop: Header=BB206_12 Depth=1
	s_or_b64 exec, exec, s[28:29]
.LBB206_221:                            ;   in Loop: Header=BB206_12 Depth=1
	s_or_b64 exec, exec, s[26:27]
	flat_load_ushort v5, v[2:3] offset:2052
	s_waitcnt vmcnt(0) lgkmcnt(0)
	v_and_b32_e32 v4, 0xffff, v5
	v_cmp_ne_u16_sdwa s[28:29], v5, v24 src0_sel:BYTE_0 src1_sel:DWORD
	v_mov_b32_e32 v5, 0
	v_mov_b32_e32 v6, 0
	buffer_store_dword v5, off, s[0:3], s32 offset:428 ; 4-byte Folded Spill
	s_nop 0
	buffer_store_dword v6, off, s[0:3], s32 offset:432 ; 4-byte Folded Spill
	v_mov_b32_e32 v5, 0
	v_mov_b32_e32 v6, 0
	buffer_store_dword v5, off, s[0:3], s32 offset:420 ; 4-byte Folded Spill
	s_nop 0
	buffer_store_dword v6, off, s[0:3], s32 offset:424 ; 4-byte Folded Spill
	s_and_saveexec_b64 s[26:27], s[28:29]
	s_cbranch_execz .LBB206_227
; %bb.222:                              ;   in Loop: Header=BB206_12 Depth=1
	v_bfrev_b32_e32 v5, 1
	v_mov_b32_e32 v6, 0
	v_cmp_ne_u16_sdwa s[40:41], v4, s42 src0_sel:BYTE_0 src1_sel:DWORD
	buffer_store_dword v5, off, s[0:3], s32 offset:420 ; 4-byte Folded Spill
	s_nop 0
	buffer_store_dword v6, off, s[0:3], s32 offset:424 ; 4-byte Folded Spill
	s_and_saveexec_b64 s[28:29], s[40:41]
	s_cbranch_execz .LBB206_226
; %bb.223:                              ;   in Loop: Header=BB206_12 Depth=1
	v_and_b32_e32 v5, 0x7f, v4
	v_mov_b32_e32 v6, 0x7f800001
	v_mov_b32_e32 v7, 0
	v_cmp_ne_u32_e32 vcc, s43, v5
	buffer_store_dword v6, off, s[0:3], s32 offset:420 ; 4-byte Folded Spill
	s_nop 0
	buffer_store_dword v7, off, s[0:3], s32 offset:424 ; 4-byte Folded Spill
	s_and_saveexec_b64 s[40:41], vcc
	s_cbranch_execz .LBB206_225
; %bb.224:                              ;   in Loop: Header=BB206_12 Depth=1
	v_and_b32_e32 v9, 7, v4
	v_lshrrev_b32_e32 v12, 3, v5
	v_cmp_gt_u32_e32 vcc, 8, v5
	v_ffbh_u32_e32 v5, v9
	v_min_u32_e32 v5, 32, v5
	v_subrev_u32_e32 v7, 28, v5
	v_lshlrev_b64 v[7:8], v7, v[4:5]
	v_sub_u32_e32 v5, 29, v5
	v_and_b32_e32 v7, 7, v7
	v_cndmask_b32_e32 v5, v12, v5, vcc
	v_cndmask_b32_e32 v7, v9, v7, vcc
	v_bfrev_b32_e32 v6, 60
	v_lshlrev_b32_e32 v7, 20, v7
	v_and_b32_sdwa v8, sext(v4), s44 dst_sel:DWORD dst_unused:UNUSED_PAD src0_sel:BYTE_0 src1_sel:DWORD
	v_lshl_add_u32 v5, v5, 23, v6
	v_or3_b32 v5, v8, v5, v7
	v_mov_b32_e32 v6, v24
	buffer_store_dword v5, off, s[0:3], s32 offset:420 ; 4-byte Folded Spill
	s_nop 0
	buffer_store_dword v6, off, s[0:3], s32 offset:424 ; 4-byte Folded Spill
.LBB206_225:                            ;   in Loop: Header=BB206_12 Depth=1
	s_or_b64 exec, exec, s[40:41]
.LBB206_226:                            ;   in Loop: Header=BB206_12 Depth=1
	s_or_b64 exec, exec, s[28:29]
.LBB206_227:                            ;   in Loop: Header=BB206_12 Depth=1
	s_or_b64 exec, exec, s[26:27]
	v_cmp_ne_u16_sdwa s[28:29], v4, v24 src0_sel:BYTE_1 src1_sel:DWORD
	s_and_saveexec_b64 s[26:27], s[28:29]
	s_cbranch_execz .LBB206_233
; %bb.228:                              ;   in Loop: Header=BB206_12 Depth=1
	v_cmp_ne_u16_sdwa s[40:41], v4, s42 src0_sel:BYTE_1 src1_sel:DWORD
	buffer_store_dword v24, off, s[0:3], s32 offset:428 ; 4-byte Folded Spill
	s_nop 0
	buffer_store_dword v25, off, s[0:3], s32 offset:432 ; 4-byte Folded Spill
	s_and_saveexec_b64 s[28:29], s[40:41]
	s_cbranch_execz .LBB206_232
; %bb.229:                              ;   in Loop: Header=BB206_12 Depth=1
	buffer_load_dword v6, off, s[0:3], s32 offset:64 ; 4-byte Folded Reload
	buffer_load_dword v7, off, s[0:3], s32 offset:68 ; 4-byte Folded Reload
	v_and_b32_sdwa v5, v4, s43 dst_sel:DWORD dst_unused:UNUSED_PAD src0_sel:BYTE_1 src1_sel:DWORD
	v_cmp_ne_u32_e32 vcc, s43, v5
	s_waitcnt vmcnt(1)
	v_mov_b32_e32 v6, v24
	s_waitcnt vmcnt(0)
	v_mov_b32_e32 v8, v7
	buffer_store_dword v7, off, s[0:3], s32 offset:64 ; 4-byte Folded Spill
	s_nop 0
	buffer_store_dword v8, off, s[0:3], s32 offset:68 ; 4-byte Folded Spill
	buffer_store_dword v6, off, s[0:3], s32 offset:428 ; 4-byte Folded Spill
	s_nop 0
	buffer_store_dword v7, off, s[0:3], s32 offset:432 ; 4-byte Folded Spill
	s_and_saveexec_b64 s[40:41], vcc
	s_cbranch_execz .LBB206_231
; %bb.230:                              ;   in Loop: Header=BB206_12 Depth=1
	v_mov_b32_e32 v6, 7
	v_and_b32_sdwa v7, v4, v6 dst_sel:DWORD dst_unused:UNUSED_PAD src0_sel:BYTE_1 src1_sel:DWORD
	v_lshrrev_b32_e32 v12, 3, v5
	v_cmp_gt_u32_e32 vcc, 8, v5
	v_ffbh_u32_e32 v5, v7
	v_min_u32_e32 v5, 32, v5
	v_mov_b32_e32 v8, v24
	v_subrev_u32_e32 v9, 28, v5
	v_lshlrev_b64 v[8:9], v9, v[7:8]
	v_sub_u32_e32 v5, 29, v5
	v_and_b32_e32 v8, 7, v8
	v_cndmask_b32_e32 v5, v12, v5, vcc
	v_bfrev_b32_e32 v6, 60
	v_cndmask_b32_e32 v7, v7, v8, vcc
	v_lshlrev_b32_e32 v4, 16, v4
	v_lshl_add_u32 v5, v5, 23, v6
	v_and_or_b32 v4, v4, s44, v5
	v_lshlrev_b32_e32 v5, 20, v7
	v_or_b32_e32 v5, v4, v5
	v_mov_b32_e32 v4, v24
	buffer_store_dword v4, off, s[0:3], s32 offset:428 ; 4-byte Folded Spill
	s_nop 0
	buffer_store_dword v5, off, s[0:3], s32 offset:432 ; 4-byte Folded Spill
.LBB206_231:                            ;   in Loop: Header=BB206_12 Depth=1
	s_or_b64 exec, exec, s[40:41]
.LBB206_232:                            ;   in Loop: Header=BB206_12 Depth=1
	s_or_b64 exec, exec, s[28:29]
.LBB206_233:                            ;   in Loop: Header=BB206_12 Depth=1
	s_or_b64 exec, exec, s[26:27]
	flat_load_ushort v5, v[2:3] offset:2056
	s_waitcnt vmcnt(0) lgkmcnt(0)
	v_and_b32_e32 v4, 0xffff, v5
	v_cmp_ne_u16_sdwa s[28:29], v5, v24 src0_sel:BYTE_0 src1_sel:DWORD
	v_mov_b32_e32 v5, 0
	v_mov_b32_e32 v6, 0
	buffer_store_dword v5, off, s[0:3], s32 offset:444 ; 4-byte Folded Spill
	s_nop 0
	buffer_store_dword v6, off, s[0:3], s32 offset:448 ; 4-byte Folded Spill
	v_mov_b32_e32 v5, 0
	v_mov_b32_e32 v6, 0
	buffer_store_dword v5, off, s[0:3], s32 offset:436 ; 4-byte Folded Spill
	s_nop 0
	buffer_store_dword v6, off, s[0:3], s32 offset:440 ; 4-byte Folded Spill
	s_and_saveexec_b64 s[26:27], s[28:29]
	s_cbranch_execz .LBB206_239
; %bb.234:                              ;   in Loop: Header=BB206_12 Depth=1
	v_bfrev_b32_e32 v5, 1
	v_mov_b32_e32 v6, 0
	v_cmp_ne_u16_sdwa s[40:41], v4, s42 src0_sel:BYTE_0 src1_sel:DWORD
	buffer_store_dword v5, off, s[0:3], s32 offset:436 ; 4-byte Folded Spill
	s_nop 0
	buffer_store_dword v6, off, s[0:3], s32 offset:440 ; 4-byte Folded Spill
	s_and_saveexec_b64 s[28:29], s[40:41]
	s_cbranch_execz .LBB206_238
; %bb.235:                              ;   in Loop: Header=BB206_12 Depth=1
	v_and_b32_e32 v5, 0x7f, v4
	v_mov_b32_e32 v6, 0x7f800001
	v_mov_b32_e32 v7, 0
	v_cmp_ne_u32_e32 vcc, s43, v5
	buffer_store_dword v6, off, s[0:3], s32 offset:436 ; 4-byte Folded Spill
	s_nop 0
	buffer_store_dword v7, off, s[0:3], s32 offset:440 ; 4-byte Folded Spill
	s_and_saveexec_b64 s[40:41], vcc
	s_cbranch_execz .LBB206_237
; %bb.236:                              ;   in Loop: Header=BB206_12 Depth=1
	v_and_b32_e32 v9, 7, v4
	v_lshrrev_b32_e32 v12, 3, v5
	v_cmp_gt_u32_e32 vcc, 8, v5
	v_ffbh_u32_e32 v5, v9
	v_min_u32_e32 v5, 32, v5
	v_subrev_u32_e32 v7, 28, v5
	v_lshlrev_b64 v[7:8], v7, v[4:5]
	v_sub_u32_e32 v5, 29, v5
	v_and_b32_e32 v7, 7, v7
	v_cndmask_b32_e32 v5, v12, v5, vcc
	v_cndmask_b32_e32 v7, v9, v7, vcc
	v_bfrev_b32_e32 v6, 60
	v_lshlrev_b32_e32 v7, 20, v7
	v_and_b32_sdwa v8, sext(v4), s44 dst_sel:DWORD dst_unused:UNUSED_PAD src0_sel:BYTE_0 src1_sel:DWORD
	v_lshl_add_u32 v5, v5, 23, v6
	v_or3_b32 v5, v8, v5, v7
	v_mov_b32_e32 v6, v24
	buffer_store_dword v5, off, s[0:3], s32 offset:436 ; 4-byte Folded Spill
	s_nop 0
	buffer_store_dword v6, off, s[0:3], s32 offset:440 ; 4-byte Folded Spill
.LBB206_237:                            ;   in Loop: Header=BB206_12 Depth=1
	s_or_b64 exec, exec, s[40:41]
.LBB206_238:                            ;   in Loop: Header=BB206_12 Depth=1
	s_or_b64 exec, exec, s[28:29]
.LBB206_239:                            ;   in Loop: Header=BB206_12 Depth=1
	s_or_b64 exec, exec, s[26:27]
	v_cmp_ne_u16_sdwa s[28:29], v4, v24 src0_sel:BYTE_1 src1_sel:DWORD
	s_and_saveexec_b64 s[26:27], s[28:29]
	s_cbranch_execz .LBB206_245
; %bb.240:                              ;   in Loop: Header=BB206_12 Depth=1
	v_cmp_ne_u16_sdwa s[40:41], v4, s42 src0_sel:BYTE_1 src1_sel:DWORD
	buffer_store_dword v24, off, s[0:3], s32 offset:444 ; 4-byte Folded Spill
	s_nop 0
	buffer_store_dword v25, off, s[0:3], s32 offset:448 ; 4-byte Folded Spill
	s_and_saveexec_b64 s[28:29], s[40:41]
	s_cbranch_execz .LBB206_244
; %bb.241:                              ;   in Loop: Header=BB206_12 Depth=1
	buffer_load_dword v6, off, s[0:3], s32 offset:64 ; 4-byte Folded Reload
	buffer_load_dword v7, off, s[0:3], s32 offset:68 ; 4-byte Folded Reload
	v_and_b32_sdwa v5, v4, s43 dst_sel:DWORD dst_unused:UNUSED_PAD src0_sel:BYTE_1 src1_sel:DWORD
	v_cmp_ne_u32_e32 vcc, s43, v5
	s_waitcnt vmcnt(1)
	v_mov_b32_e32 v6, v24
	s_waitcnt vmcnt(0)
	v_mov_b32_e32 v8, v7
	buffer_store_dword v7, off, s[0:3], s32 offset:64 ; 4-byte Folded Spill
	s_nop 0
	buffer_store_dword v8, off, s[0:3], s32 offset:68 ; 4-byte Folded Spill
	buffer_store_dword v6, off, s[0:3], s32 offset:444 ; 4-byte Folded Spill
	s_nop 0
	buffer_store_dword v7, off, s[0:3], s32 offset:448 ; 4-byte Folded Spill
	s_and_saveexec_b64 s[40:41], vcc
	s_cbranch_execz .LBB206_243
; %bb.242:                              ;   in Loop: Header=BB206_12 Depth=1
	v_mov_b32_e32 v6, 7
	v_and_b32_sdwa v7, v4, v6 dst_sel:DWORD dst_unused:UNUSED_PAD src0_sel:BYTE_1 src1_sel:DWORD
	v_lshrrev_b32_e32 v12, 3, v5
	v_cmp_gt_u32_e32 vcc, 8, v5
	v_ffbh_u32_e32 v5, v7
	v_min_u32_e32 v5, 32, v5
	v_mov_b32_e32 v8, v24
	v_subrev_u32_e32 v9, 28, v5
	v_lshlrev_b64 v[8:9], v9, v[7:8]
	v_sub_u32_e32 v5, 29, v5
	v_and_b32_e32 v8, 7, v8
	v_cndmask_b32_e32 v5, v12, v5, vcc
	v_bfrev_b32_e32 v6, 60
	v_cndmask_b32_e32 v7, v7, v8, vcc
	v_lshlrev_b32_e32 v4, 16, v4
	v_lshl_add_u32 v5, v5, 23, v6
	v_and_or_b32 v4, v4, s44, v5
	v_lshlrev_b32_e32 v5, 20, v7
	v_or_b32_e32 v5, v4, v5
	v_mov_b32_e32 v4, v24
	buffer_store_dword v4, off, s[0:3], s32 offset:444 ; 4-byte Folded Spill
	s_nop 0
	buffer_store_dword v5, off, s[0:3], s32 offset:448 ; 4-byte Folded Spill
.LBB206_243:                            ;   in Loop: Header=BB206_12 Depth=1
	s_or_b64 exec, exec, s[40:41]
.LBB206_244:                            ;   in Loop: Header=BB206_12 Depth=1
	s_or_b64 exec, exec, s[28:29]
.LBB206_245:                            ;   in Loop: Header=BB206_12 Depth=1
	s_or_b64 exec, exec, s[26:27]
	flat_load_ushort v5, v[2:3] offset:2060
	s_waitcnt vmcnt(0) lgkmcnt(0)
	v_and_b32_e32 v4, 0xffff, v5
	v_cmp_ne_u16_sdwa s[28:29], v5, v24 src0_sel:BYTE_0 src1_sel:DWORD
	v_mov_b32_e32 v5, 0
	v_mov_b32_e32 v6, 0
	buffer_store_dword v5, off, s[0:3], s32 offset:460 ; 4-byte Folded Spill
	s_nop 0
	buffer_store_dword v6, off, s[0:3], s32 offset:464 ; 4-byte Folded Spill
	v_mov_b32_e32 v5, 0
	v_mov_b32_e32 v6, 0
	buffer_store_dword v5, off, s[0:3], s32 offset:452 ; 4-byte Folded Spill
	s_nop 0
	buffer_store_dword v6, off, s[0:3], s32 offset:456 ; 4-byte Folded Spill
	s_and_saveexec_b64 s[26:27], s[28:29]
	s_cbranch_execz .LBB206_251
; %bb.246:                              ;   in Loop: Header=BB206_12 Depth=1
	v_bfrev_b32_e32 v5, 1
	v_mov_b32_e32 v6, 0
	v_cmp_ne_u16_sdwa s[40:41], v4, s42 src0_sel:BYTE_0 src1_sel:DWORD
	buffer_store_dword v5, off, s[0:3], s32 offset:452 ; 4-byte Folded Spill
	s_nop 0
	buffer_store_dword v6, off, s[0:3], s32 offset:456 ; 4-byte Folded Spill
	s_and_saveexec_b64 s[28:29], s[40:41]
	s_cbranch_execz .LBB206_250
; %bb.247:                              ;   in Loop: Header=BB206_12 Depth=1
	v_and_b32_e32 v5, 0x7f, v4
	v_mov_b32_e32 v6, 0x7f800001
	v_mov_b32_e32 v7, 0
	v_cmp_ne_u32_e32 vcc, s43, v5
	buffer_store_dword v6, off, s[0:3], s32 offset:452 ; 4-byte Folded Spill
	s_nop 0
	buffer_store_dword v7, off, s[0:3], s32 offset:456 ; 4-byte Folded Spill
	s_and_saveexec_b64 s[40:41], vcc
	s_cbranch_execz .LBB206_249
; %bb.248:                              ;   in Loop: Header=BB206_12 Depth=1
	v_and_b32_e32 v9, 7, v4
	v_lshrrev_b32_e32 v12, 3, v5
	v_cmp_gt_u32_e32 vcc, 8, v5
	v_ffbh_u32_e32 v5, v9
	v_min_u32_e32 v5, 32, v5
	v_subrev_u32_e32 v7, 28, v5
	v_lshlrev_b64 v[7:8], v7, v[4:5]
	v_sub_u32_e32 v5, 29, v5
	v_and_b32_e32 v7, 7, v7
	v_cndmask_b32_e32 v5, v12, v5, vcc
	v_cndmask_b32_e32 v7, v9, v7, vcc
	v_bfrev_b32_e32 v6, 60
	v_lshlrev_b32_e32 v7, 20, v7
	v_and_b32_sdwa v8, sext(v4), s44 dst_sel:DWORD dst_unused:UNUSED_PAD src0_sel:BYTE_0 src1_sel:DWORD
	v_lshl_add_u32 v5, v5, 23, v6
	v_or3_b32 v5, v8, v5, v7
	v_mov_b32_e32 v6, v24
	buffer_store_dword v5, off, s[0:3], s32 offset:452 ; 4-byte Folded Spill
	s_nop 0
	buffer_store_dword v6, off, s[0:3], s32 offset:456 ; 4-byte Folded Spill
.LBB206_249:                            ;   in Loop: Header=BB206_12 Depth=1
	s_or_b64 exec, exec, s[40:41]
.LBB206_250:                            ;   in Loop: Header=BB206_12 Depth=1
	s_or_b64 exec, exec, s[28:29]
.LBB206_251:                            ;   in Loop: Header=BB206_12 Depth=1
	s_or_b64 exec, exec, s[26:27]
	v_cmp_ne_u16_sdwa s[28:29], v4, v24 src0_sel:BYTE_1 src1_sel:DWORD
	s_and_saveexec_b64 s[26:27], s[28:29]
	s_cbranch_execz .LBB206_257
; %bb.252:                              ;   in Loop: Header=BB206_12 Depth=1
	v_cmp_ne_u16_sdwa s[40:41], v4, s42 src0_sel:BYTE_1 src1_sel:DWORD
	buffer_store_dword v24, off, s[0:3], s32 offset:460 ; 4-byte Folded Spill
	s_nop 0
	buffer_store_dword v25, off, s[0:3], s32 offset:464 ; 4-byte Folded Spill
	s_and_saveexec_b64 s[28:29], s[40:41]
	s_cbranch_execz .LBB206_256
; %bb.253:                              ;   in Loop: Header=BB206_12 Depth=1
	buffer_load_dword v6, off, s[0:3], s32 offset:64 ; 4-byte Folded Reload
	buffer_load_dword v7, off, s[0:3], s32 offset:68 ; 4-byte Folded Reload
	v_and_b32_sdwa v5, v4, s43 dst_sel:DWORD dst_unused:UNUSED_PAD src0_sel:BYTE_1 src1_sel:DWORD
	v_cmp_ne_u32_e32 vcc, s43, v5
	s_waitcnt vmcnt(1)
	v_mov_b32_e32 v6, v24
	s_waitcnt vmcnt(0)
	v_mov_b32_e32 v8, v7
	buffer_store_dword v7, off, s[0:3], s32 offset:64 ; 4-byte Folded Spill
	s_nop 0
	buffer_store_dword v8, off, s[0:3], s32 offset:68 ; 4-byte Folded Spill
	buffer_store_dword v6, off, s[0:3], s32 offset:460 ; 4-byte Folded Spill
	s_nop 0
	buffer_store_dword v7, off, s[0:3], s32 offset:464 ; 4-byte Folded Spill
	s_and_saveexec_b64 s[40:41], vcc
	s_cbranch_execz .LBB206_255
; %bb.254:                              ;   in Loop: Header=BB206_12 Depth=1
	v_mov_b32_e32 v6, 7
	v_and_b32_sdwa v7, v4, v6 dst_sel:DWORD dst_unused:UNUSED_PAD src0_sel:BYTE_1 src1_sel:DWORD
	v_lshrrev_b32_e32 v12, 3, v5
	v_cmp_gt_u32_e32 vcc, 8, v5
	v_ffbh_u32_e32 v5, v7
	v_min_u32_e32 v5, 32, v5
	v_mov_b32_e32 v8, v24
	v_subrev_u32_e32 v9, 28, v5
	v_lshlrev_b64 v[8:9], v9, v[7:8]
	v_sub_u32_e32 v5, 29, v5
	v_and_b32_e32 v8, 7, v8
	v_cndmask_b32_e32 v5, v12, v5, vcc
	v_bfrev_b32_e32 v6, 60
	v_cndmask_b32_e32 v7, v7, v8, vcc
	v_lshlrev_b32_e32 v4, 16, v4
	v_lshl_add_u32 v5, v5, 23, v6
	v_and_or_b32 v4, v4, s44, v5
	v_lshlrev_b32_e32 v5, 20, v7
	v_or_b32_e32 v5, v4, v5
	v_mov_b32_e32 v4, v24
	buffer_store_dword v4, off, s[0:3], s32 offset:460 ; 4-byte Folded Spill
	s_nop 0
	buffer_store_dword v5, off, s[0:3], s32 offset:464 ; 4-byte Folded Spill
.LBB206_255:                            ;   in Loop: Header=BB206_12 Depth=1
	s_or_b64 exec, exec, s[40:41]
.LBB206_256:                            ;   in Loop: Header=BB206_12 Depth=1
	s_or_b64 exec, exec, s[28:29]
.LBB206_257:                            ;   in Loop: Header=BB206_12 Depth=1
	s_or_b64 exec, exec, s[26:27]
	flat_load_ushort v5, v[2:3] offset:2560
	s_waitcnt vmcnt(0) lgkmcnt(0)
	v_and_b32_e32 v4, 0xffff, v5
	v_cmp_ne_u16_sdwa s[28:29], v5, v24 src0_sel:BYTE_0 src1_sel:DWORD
	v_mov_b32_e32 v5, 0
	v_mov_b32_e32 v6, 0
	buffer_store_dword v5, off, s[0:3], s32 offset:476 ; 4-byte Folded Spill
	s_nop 0
	buffer_store_dword v6, off, s[0:3], s32 offset:480 ; 4-byte Folded Spill
	v_mov_b32_e32 v5, 0
	v_mov_b32_e32 v6, 0
	buffer_store_dword v5, off, s[0:3], s32 offset:468 ; 4-byte Folded Spill
	s_nop 0
	buffer_store_dword v6, off, s[0:3], s32 offset:472 ; 4-byte Folded Spill
	s_and_saveexec_b64 s[26:27], s[28:29]
	s_cbranch_execz .LBB206_263
; %bb.258:                              ;   in Loop: Header=BB206_12 Depth=1
	v_bfrev_b32_e32 v5, 1
	v_mov_b32_e32 v6, 0
	v_cmp_ne_u16_sdwa s[40:41], v4, s42 src0_sel:BYTE_0 src1_sel:DWORD
	buffer_store_dword v5, off, s[0:3], s32 offset:468 ; 4-byte Folded Spill
	s_nop 0
	buffer_store_dword v6, off, s[0:3], s32 offset:472 ; 4-byte Folded Spill
	s_and_saveexec_b64 s[28:29], s[40:41]
	s_cbranch_execz .LBB206_262
; %bb.259:                              ;   in Loop: Header=BB206_12 Depth=1
	v_and_b32_e32 v5, 0x7f, v4
	v_mov_b32_e32 v6, 0x7f800001
	v_mov_b32_e32 v7, 0
	v_cmp_ne_u32_e32 vcc, s43, v5
	buffer_store_dword v6, off, s[0:3], s32 offset:468 ; 4-byte Folded Spill
	s_nop 0
	buffer_store_dword v7, off, s[0:3], s32 offset:472 ; 4-byte Folded Spill
	s_and_saveexec_b64 s[40:41], vcc
	s_cbranch_execz .LBB206_261
; %bb.260:                              ;   in Loop: Header=BB206_12 Depth=1
	v_and_b32_e32 v9, 7, v4
	v_lshrrev_b32_e32 v12, 3, v5
	v_cmp_gt_u32_e32 vcc, 8, v5
	v_ffbh_u32_e32 v5, v9
	v_min_u32_e32 v5, 32, v5
	v_subrev_u32_e32 v7, 28, v5
	v_lshlrev_b64 v[7:8], v7, v[4:5]
	v_sub_u32_e32 v5, 29, v5
	v_and_b32_e32 v7, 7, v7
	v_cndmask_b32_e32 v5, v12, v5, vcc
	v_cndmask_b32_e32 v7, v9, v7, vcc
	v_bfrev_b32_e32 v6, 60
	v_lshlrev_b32_e32 v7, 20, v7
	v_and_b32_sdwa v8, sext(v4), s44 dst_sel:DWORD dst_unused:UNUSED_PAD src0_sel:BYTE_0 src1_sel:DWORD
	v_lshl_add_u32 v5, v5, 23, v6
	v_or3_b32 v5, v8, v5, v7
	v_mov_b32_e32 v6, v24
	buffer_store_dword v5, off, s[0:3], s32 offset:468 ; 4-byte Folded Spill
	s_nop 0
	buffer_store_dword v6, off, s[0:3], s32 offset:472 ; 4-byte Folded Spill
.LBB206_261:                            ;   in Loop: Header=BB206_12 Depth=1
	s_or_b64 exec, exec, s[40:41]
.LBB206_262:                            ;   in Loop: Header=BB206_12 Depth=1
	s_or_b64 exec, exec, s[28:29]
.LBB206_263:                            ;   in Loop: Header=BB206_12 Depth=1
	s_or_b64 exec, exec, s[26:27]
	v_cmp_ne_u16_sdwa s[28:29], v4, v24 src0_sel:BYTE_1 src1_sel:DWORD
	s_and_saveexec_b64 s[26:27], s[28:29]
	s_cbranch_execz .LBB206_269
; %bb.264:                              ;   in Loop: Header=BB206_12 Depth=1
	v_cmp_ne_u16_sdwa s[40:41], v4, s42 src0_sel:BYTE_1 src1_sel:DWORD
	buffer_store_dword v24, off, s[0:3], s32 offset:476 ; 4-byte Folded Spill
	s_nop 0
	buffer_store_dword v25, off, s[0:3], s32 offset:480 ; 4-byte Folded Spill
	s_and_saveexec_b64 s[28:29], s[40:41]
	s_cbranch_execz .LBB206_268
; %bb.265:                              ;   in Loop: Header=BB206_12 Depth=1
	buffer_load_dword v6, off, s[0:3], s32 offset:64 ; 4-byte Folded Reload
	buffer_load_dword v7, off, s[0:3], s32 offset:68 ; 4-byte Folded Reload
	v_and_b32_sdwa v5, v4, s43 dst_sel:DWORD dst_unused:UNUSED_PAD src0_sel:BYTE_1 src1_sel:DWORD
	v_cmp_ne_u32_e32 vcc, s43, v5
	s_waitcnt vmcnt(1)
	v_mov_b32_e32 v6, v24
	s_waitcnt vmcnt(0)
	v_mov_b32_e32 v8, v7
	buffer_store_dword v7, off, s[0:3], s32 offset:64 ; 4-byte Folded Spill
	s_nop 0
	buffer_store_dword v8, off, s[0:3], s32 offset:68 ; 4-byte Folded Spill
	buffer_store_dword v6, off, s[0:3], s32 offset:476 ; 4-byte Folded Spill
	s_nop 0
	buffer_store_dword v7, off, s[0:3], s32 offset:480 ; 4-byte Folded Spill
	s_and_saveexec_b64 s[40:41], vcc
	s_cbranch_execz .LBB206_267
; %bb.266:                              ;   in Loop: Header=BB206_12 Depth=1
	v_mov_b32_e32 v6, 7
	v_and_b32_sdwa v7, v4, v6 dst_sel:DWORD dst_unused:UNUSED_PAD src0_sel:BYTE_1 src1_sel:DWORD
	v_lshrrev_b32_e32 v12, 3, v5
	v_cmp_gt_u32_e32 vcc, 8, v5
	v_ffbh_u32_e32 v5, v7
	v_min_u32_e32 v5, 32, v5
	v_mov_b32_e32 v8, v24
	v_subrev_u32_e32 v9, 28, v5
	v_lshlrev_b64 v[8:9], v9, v[7:8]
	v_sub_u32_e32 v5, 29, v5
	v_and_b32_e32 v8, 7, v8
	v_cndmask_b32_e32 v5, v12, v5, vcc
	v_bfrev_b32_e32 v6, 60
	v_cndmask_b32_e32 v7, v7, v8, vcc
	v_lshlrev_b32_e32 v4, 16, v4
	v_lshl_add_u32 v5, v5, 23, v6
	v_and_or_b32 v4, v4, s44, v5
	v_lshlrev_b32_e32 v5, 20, v7
	v_or_b32_e32 v5, v4, v5
	v_mov_b32_e32 v4, v24
	buffer_store_dword v4, off, s[0:3], s32 offset:476 ; 4-byte Folded Spill
	s_nop 0
	buffer_store_dword v5, off, s[0:3], s32 offset:480 ; 4-byte Folded Spill
.LBB206_267:                            ;   in Loop: Header=BB206_12 Depth=1
	s_or_b64 exec, exec, s[40:41]
.LBB206_268:                            ;   in Loop: Header=BB206_12 Depth=1
	s_or_b64 exec, exec, s[28:29]
.LBB206_269:                            ;   in Loop: Header=BB206_12 Depth=1
	s_or_b64 exec, exec, s[26:27]
	flat_load_ushort v5, v[2:3] offset:2564
	s_waitcnt vmcnt(0) lgkmcnt(0)
	v_and_b32_e32 v4, 0xffff, v5
	v_cmp_ne_u16_sdwa s[28:29], v5, v24 src0_sel:BYTE_0 src1_sel:DWORD
	v_mov_b32_e32 v5, 0
	v_mov_b32_e32 v6, 0
	buffer_store_dword v5, off, s[0:3], s32 offset:492 ; 4-byte Folded Spill
	s_nop 0
	buffer_store_dword v6, off, s[0:3], s32 offset:496 ; 4-byte Folded Spill
	v_mov_b32_e32 v5, 0
	v_mov_b32_e32 v6, 0
	buffer_store_dword v5, off, s[0:3], s32 offset:484 ; 4-byte Folded Spill
	s_nop 0
	buffer_store_dword v6, off, s[0:3], s32 offset:488 ; 4-byte Folded Spill
	s_and_saveexec_b64 s[26:27], s[28:29]
	s_cbranch_execz .LBB206_275
; %bb.270:                              ;   in Loop: Header=BB206_12 Depth=1
	v_bfrev_b32_e32 v5, 1
	v_mov_b32_e32 v6, 0
	v_cmp_ne_u16_sdwa s[40:41], v4, s42 src0_sel:BYTE_0 src1_sel:DWORD
	buffer_store_dword v5, off, s[0:3], s32 offset:484 ; 4-byte Folded Spill
	s_nop 0
	buffer_store_dword v6, off, s[0:3], s32 offset:488 ; 4-byte Folded Spill
	s_and_saveexec_b64 s[28:29], s[40:41]
	s_cbranch_execz .LBB206_274
; %bb.271:                              ;   in Loop: Header=BB206_12 Depth=1
	v_and_b32_e32 v5, 0x7f, v4
	v_mov_b32_e32 v6, 0x7f800001
	v_mov_b32_e32 v7, 0
	v_cmp_ne_u32_e32 vcc, s43, v5
	buffer_store_dword v6, off, s[0:3], s32 offset:484 ; 4-byte Folded Spill
	s_nop 0
	buffer_store_dword v7, off, s[0:3], s32 offset:488 ; 4-byte Folded Spill
	s_and_saveexec_b64 s[40:41], vcc
	s_cbranch_execz .LBB206_273
; %bb.272:                              ;   in Loop: Header=BB206_12 Depth=1
	v_and_b32_e32 v9, 7, v4
	v_lshrrev_b32_e32 v12, 3, v5
	v_cmp_gt_u32_e32 vcc, 8, v5
	v_ffbh_u32_e32 v5, v9
	v_min_u32_e32 v5, 32, v5
	v_subrev_u32_e32 v7, 28, v5
	v_lshlrev_b64 v[7:8], v7, v[4:5]
	v_sub_u32_e32 v5, 29, v5
	v_and_b32_e32 v7, 7, v7
	v_cndmask_b32_e32 v5, v12, v5, vcc
	v_cndmask_b32_e32 v7, v9, v7, vcc
	v_bfrev_b32_e32 v6, 60
	v_lshlrev_b32_e32 v7, 20, v7
	v_and_b32_sdwa v8, sext(v4), s44 dst_sel:DWORD dst_unused:UNUSED_PAD src0_sel:BYTE_0 src1_sel:DWORD
	v_lshl_add_u32 v5, v5, 23, v6
	v_or3_b32 v5, v8, v5, v7
	v_mov_b32_e32 v6, v24
	buffer_store_dword v5, off, s[0:3], s32 offset:484 ; 4-byte Folded Spill
	s_nop 0
	buffer_store_dword v6, off, s[0:3], s32 offset:488 ; 4-byte Folded Spill
.LBB206_273:                            ;   in Loop: Header=BB206_12 Depth=1
	s_or_b64 exec, exec, s[40:41]
.LBB206_274:                            ;   in Loop: Header=BB206_12 Depth=1
	s_or_b64 exec, exec, s[28:29]
.LBB206_275:                            ;   in Loop: Header=BB206_12 Depth=1
	s_or_b64 exec, exec, s[26:27]
	v_cmp_ne_u16_sdwa s[28:29], v4, v24 src0_sel:BYTE_1 src1_sel:DWORD
	s_and_saveexec_b64 s[26:27], s[28:29]
	s_cbranch_execz .LBB206_281
; %bb.276:                              ;   in Loop: Header=BB206_12 Depth=1
	v_cmp_ne_u16_sdwa s[40:41], v4, s42 src0_sel:BYTE_1 src1_sel:DWORD
	buffer_store_dword v24, off, s[0:3], s32 offset:492 ; 4-byte Folded Spill
	s_nop 0
	buffer_store_dword v25, off, s[0:3], s32 offset:496 ; 4-byte Folded Spill
	s_and_saveexec_b64 s[28:29], s[40:41]
	s_cbranch_execz .LBB206_280
; %bb.277:                              ;   in Loop: Header=BB206_12 Depth=1
	buffer_load_dword v6, off, s[0:3], s32 offset:64 ; 4-byte Folded Reload
	buffer_load_dword v7, off, s[0:3], s32 offset:68 ; 4-byte Folded Reload
	v_and_b32_sdwa v5, v4, s43 dst_sel:DWORD dst_unused:UNUSED_PAD src0_sel:BYTE_1 src1_sel:DWORD
	v_cmp_ne_u32_e32 vcc, s43, v5
	s_waitcnt vmcnt(1)
	v_mov_b32_e32 v6, v24
	s_waitcnt vmcnt(0)
	v_mov_b32_e32 v8, v7
	buffer_store_dword v7, off, s[0:3], s32 offset:64 ; 4-byte Folded Spill
	s_nop 0
	buffer_store_dword v8, off, s[0:3], s32 offset:68 ; 4-byte Folded Spill
	buffer_store_dword v6, off, s[0:3], s32 offset:492 ; 4-byte Folded Spill
	s_nop 0
	buffer_store_dword v7, off, s[0:3], s32 offset:496 ; 4-byte Folded Spill
	s_and_saveexec_b64 s[40:41], vcc
	s_cbranch_execz .LBB206_279
; %bb.278:                              ;   in Loop: Header=BB206_12 Depth=1
	v_mov_b32_e32 v6, 7
	v_and_b32_sdwa v7, v4, v6 dst_sel:DWORD dst_unused:UNUSED_PAD src0_sel:BYTE_1 src1_sel:DWORD
	v_lshrrev_b32_e32 v12, 3, v5
	v_cmp_gt_u32_e32 vcc, 8, v5
	v_ffbh_u32_e32 v5, v7
	v_min_u32_e32 v5, 32, v5
	v_mov_b32_e32 v8, v24
	v_subrev_u32_e32 v9, 28, v5
	v_lshlrev_b64 v[8:9], v9, v[7:8]
	v_sub_u32_e32 v5, 29, v5
	v_and_b32_e32 v8, 7, v8
	v_cndmask_b32_e32 v5, v12, v5, vcc
	v_bfrev_b32_e32 v6, 60
	v_cndmask_b32_e32 v7, v7, v8, vcc
	v_lshlrev_b32_e32 v4, 16, v4
	v_lshl_add_u32 v5, v5, 23, v6
	v_and_or_b32 v4, v4, s44, v5
	v_lshlrev_b32_e32 v5, 20, v7
	v_or_b32_e32 v5, v4, v5
	v_mov_b32_e32 v4, v24
	buffer_store_dword v4, off, s[0:3], s32 offset:492 ; 4-byte Folded Spill
	s_nop 0
	buffer_store_dword v5, off, s[0:3], s32 offset:496 ; 4-byte Folded Spill
.LBB206_279:                            ;   in Loop: Header=BB206_12 Depth=1
	s_or_b64 exec, exec, s[40:41]
.LBB206_280:                            ;   in Loop: Header=BB206_12 Depth=1
	s_or_b64 exec, exec, s[28:29]
.LBB206_281:                            ;   in Loop: Header=BB206_12 Depth=1
	s_or_b64 exec, exec, s[26:27]
	flat_load_ushort v5, v[2:3] offset:2568
	s_waitcnt vmcnt(0) lgkmcnt(0)
	v_and_b32_e32 v4, 0xffff, v5
	v_cmp_ne_u16_sdwa s[28:29], v5, v24 src0_sel:BYTE_0 src1_sel:DWORD
	v_mov_b32_e32 v5, 0
	v_mov_b32_e32 v6, 0
	buffer_store_dword v5, off, s[0:3], s32 offset:508 ; 4-byte Folded Spill
	s_nop 0
	buffer_store_dword v6, off, s[0:3], s32 offset:512 ; 4-byte Folded Spill
	v_mov_b32_e32 v5, 0
	v_mov_b32_e32 v6, 0
	buffer_store_dword v5, off, s[0:3], s32 offset:500 ; 4-byte Folded Spill
	s_nop 0
	buffer_store_dword v6, off, s[0:3], s32 offset:504 ; 4-byte Folded Spill
	s_and_saveexec_b64 s[26:27], s[28:29]
	s_cbranch_execz .LBB206_287
; %bb.282:                              ;   in Loop: Header=BB206_12 Depth=1
	v_bfrev_b32_e32 v5, 1
	v_mov_b32_e32 v6, 0
	v_cmp_ne_u16_sdwa s[40:41], v4, s42 src0_sel:BYTE_0 src1_sel:DWORD
	buffer_store_dword v5, off, s[0:3], s32 offset:500 ; 4-byte Folded Spill
	s_nop 0
	buffer_store_dword v6, off, s[0:3], s32 offset:504 ; 4-byte Folded Spill
	s_and_saveexec_b64 s[28:29], s[40:41]
	s_cbranch_execz .LBB206_286
; %bb.283:                              ;   in Loop: Header=BB206_12 Depth=1
	v_and_b32_e32 v5, 0x7f, v4
	v_mov_b32_e32 v6, 0x7f800001
	v_mov_b32_e32 v7, 0
	v_cmp_ne_u32_e32 vcc, s43, v5
	buffer_store_dword v6, off, s[0:3], s32 offset:500 ; 4-byte Folded Spill
	s_nop 0
	buffer_store_dword v7, off, s[0:3], s32 offset:504 ; 4-byte Folded Spill
	s_and_saveexec_b64 s[40:41], vcc
	s_cbranch_execz .LBB206_285
; %bb.284:                              ;   in Loop: Header=BB206_12 Depth=1
	v_and_b32_e32 v9, 7, v4
	v_lshrrev_b32_e32 v12, 3, v5
	v_cmp_gt_u32_e32 vcc, 8, v5
	v_ffbh_u32_e32 v5, v9
	v_min_u32_e32 v5, 32, v5
	v_subrev_u32_e32 v7, 28, v5
	v_lshlrev_b64 v[7:8], v7, v[4:5]
	v_sub_u32_e32 v5, 29, v5
	v_and_b32_e32 v7, 7, v7
	v_cndmask_b32_e32 v5, v12, v5, vcc
	v_cndmask_b32_e32 v7, v9, v7, vcc
	v_bfrev_b32_e32 v6, 60
	v_lshlrev_b32_e32 v7, 20, v7
	v_and_b32_sdwa v8, sext(v4), s44 dst_sel:DWORD dst_unused:UNUSED_PAD src0_sel:BYTE_0 src1_sel:DWORD
	v_lshl_add_u32 v5, v5, 23, v6
	v_or3_b32 v5, v8, v5, v7
	v_mov_b32_e32 v6, v24
	buffer_store_dword v5, off, s[0:3], s32 offset:500 ; 4-byte Folded Spill
	s_nop 0
	buffer_store_dword v6, off, s[0:3], s32 offset:504 ; 4-byte Folded Spill
.LBB206_285:                            ;   in Loop: Header=BB206_12 Depth=1
	s_or_b64 exec, exec, s[40:41]
.LBB206_286:                            ;   in Loop: Header=BB206_12 Depth=1
	s_or_b64 exec, exec, s[28:29]
.LBB206_287:                            ;   in Loop: Header=BB206_12 Depth=1
	s_or_b64 exec, exec, s[26:27]
	v_cmp_ne_u16_sdwa s[28:29], v4, v24 src0_sel:BYTE_1 src1_sel:DWORD
	s_and_saveexec_b64 s[26:27], s[28:29]
	s_cbranch_execz .LBB206_293
; %bb.288:                              ;   in Loop: Header=BB206_12 Depth=1
	v_cmp_ne_u16_sdwa s[40:41], v4, s42 src0_sel:BYTE_1 src1_sel:DWORD
	buffer_store_dword v24, off, s[0:3], s32 offset:508 ; 4-byte Folded Spill
	s_nop 0
	buffer_store_dword v25, off, s[0:3], s32 offset:512 ; 4-byte Folded Spill
	s_and_saveexec_b64 s[28:29], s[40:41]
	s_cbranch_execz .LBB206_292
; %bb.289:                              ;   in Loop: Header=BB206_12 Depth=1
	buffer_load_dword v6, off, s[0:3], s32 offset:64 ; 4-byte Folded Reload
	buffer_load_dword v7, off, s[0:3], s32 offset:68 ; 4-byte Folded Reload
	v_and_b32_sdwa v5, v4, s43 dst_sel:DWORD dst_unused:UNUSED_PAD src0_sel:BYTE_1 src1_sel:DWORD
	v_cmp_ne_u32_e32 vcc, s43, v5
	s_waitcnt vmcnt(1)
	v_mov_b32_e32 v6, v24
	s_waitcnt vmcnt(0)
	v_mov_b32_e32 v8, v7
	buffer_store_dword v7, off, s[0:3], s32 offset:64 ; 4-byte Folded Spill
	s_nop 0
	buffer_store_dword v8, off, s[0:3], s32 offset:68 ; 4-byte Folded Spill
	buffer_store_dword v6, off, s[0:3], s32 offset:508 ; 4-byte Folded Spill
	s_nop 0
	buffer_store_dword v7, off, s[0:3], s32 offset:512 ; 4-byte Folded Spill
	s_and_saveexec_b64 s[40:41], vcc
	s_cbranch_execz .LBB206_291
; %bb.290:                              ;   in Loop: Header=BB206_12 Depth=1
	v_mov_b32_e32 v6, 7
	v_and_b32_sdwa v7, v4, v6 dst_sel:DWORD dst_unused:UNUSED_PAD src0_sel:BYTE_1 src1_sel:DWORD
	v_lshrrev_b32_e32 v12, 3, v5
	v_cmp_gt_u32_e32 vcc, 8, v5
	v_ffbh_u32_e32 v5, v7
	v_min_u32_e32 v5, 32, v5
	v_mov_b32_e32 v8, v24
	v_subrev_u32_e32 v9, 28, v5
	v_lshlrev_b64 v[8:9], v9, v[7:8]
	v_sub_u32_e32 v5, 29, v5
	v_and_b32_e32 v8, 7, v8
	v_cndmask_b32_e32 v5, v12, v5, vcc
	v_bfrev_b32_e32 v6, 60
	v_cndmask_b32_e32 v7, v7, v8, vcc
	v_lshlrev_b32_e32 v4, 16, v4
	v_lshl_add_u32 v5, v5, 23, v6
	v_and_or_b32 v4, v4, s44, v5
	v_lshlrev_b32_e32 v5, 20, v7
	v_or_b32_e32 v5, v4, v5
	v_mov_b32_e32 v4, v24
	buffer_store_dword v4, off, s[0:3], s32 offset:508 ; 4-byte Folded Spill
	s_nop 0
	buffer_store_dword v5, off, s[0:3], s32 offset:512 ; 4-byte Folded Spill
.LBB206_291:                            ;   in Loop: Header=BB206_12 Depth=1
	s_or_b64 exec, exec, s[40:41]
.LBB206_292:                            ;   in Loop: Header=BB206_12 Depth=1
	s_or_b64 exec, exec, s[28:29]
.LBB206_293:                            ;   in Loop: Header=BB206_12 Depth=1
	s_or_b64 exec, exec, s[26:27]
	flat_load_ushort v5, v[2:3] offset:2572
	s_waitcnt vmcnt(0) lgkmcnt(0)
	v_and_b32_e32 v4, 0xffff, v5
	v_cmp_ne_u16_sdwa s[28:29], v5, v24 src0_sel:BYTE_0 src1_sel:DWORD
	v_mov_b32_e32 v5, 0
	v_mov_b32_e32 v6, 0
	buffer_store_dword v5, off, s[0:3], s32 offset:524 ; 4-byte Folded Spill
	s_nop 0
	buffer_store_dword v6, off, s[0:3], s32 offset:528 ; 4-byte Folded Spill
	v_mov_b32_e32 v5, 0
	v_mov_b32_e32 v6, 0
	buffer_store_dword v5, off, s[0:3], s32 offset:516 ; 4-byte Folded Spill
	s_nop 0
	buffer_store_dword v6, off, s[0:3], s32 offset:520 ; 4-byte Folded Spill
	s_and_saveexec_b64 s[26:27], s[28:29]
	s_cbranch_execz .LBB206_299
; %bb.294:                              ;   in Loop: Header=BB206_12 Depth=1
	v_bfrev_b32_e32 v5, 1
	v_mov_b32_e32 v6, 0
	v_cmp_ne_u16_sdwa s[40:41], v4, s42 src0_sel:BYTE_0 src1_sel:DWORD
	buffer_store_dword v5, off, s[0:3], s32 offset:516 ; 4-byte Folded Spill
	s_nop 0
	buffer_store_dword v6, off, s[0:3], s32 offset:520 ; 4-byte Folded Spill
	s_and_saveexec_b64 s[28:29], s[40:41]
	s_cbranch_execz .LBB206_298
; %bb.295:                              ;   in Loop: Header=BB206_12 Depth=1
	v_and_b32_e32 v5, 0x7f, v4
	v_mov_b32_e32 v6, 0x7f800001
	v_mov_b32_e32 v7, 0
	v_cmp_ne_u32_e32 vcc, s43, v5
	buffer_store_dword v6, off, s[0:3], s32 offset:516 ; 4-byte Folded Spill
	s_nop 0
	buffer_store_dword v7, off, s[0:3], s32 offset:520 ; 4-byte Folded Spill
	s_and_saveexec_b64 s[40:41], vcc
	s_cbranch_execz .LBB206_297
; %bb.296:                              ;   in Loop: Header=BB206_12 Depth=1
	v_and_b32_e32 v9, 7, v4
	v_lshrrev_b32_e32 v12, 3, v5
	v_cmp_gt_u32_e32 vcc, 8, v5
	v_ffbh_u32_e32 v5, v9
	v_min_u32_e32 v5, 32, v5
	v_subrev_u32_e32 v7, 28, v5
	v_lshlrev_b64 v[7:8], v7, v[4:5]
	v_sub_u32_e32 v5, 29, v5
	v_and_b32_e32 v7, 7, v7
	v_cndmask_b32_e32 v5, v12, v5, vcc
	v_cndmask_b32_e32 v7, v9, v7, vcc
	v_bfrev_b32_e32 v6, 60
	v_lshlrev_b32_e32 v7, 20, v7
	v_and_b32_sdwa v8, sext(v4), s44 dst_sel:DWORD dst_unused:UNUSED_PAD src0_sel:BYTE_0 src1_sel:DWORD
	v_lshl_add_u32 v5, v5, 23, v6
	v_or3_b32 v5, v8, v5, v7
	v_mov_b32_e32 v6, v24
	buffer_store_dword v5, off, s[0:3], s32 offset:516 ; 4-byte Folded Spill
	s_nop 0
	buffer_store_dword v6, off, s[0:3], s32 offset:520 ; 4-byte Folded Spill
.LBB206_297:                            ;   in Loop: Header=BB206_12 Depth=1
	s_or_b64 exec, exec, s[40:41]
.LBB206_298:                            ;   in Loop: Header=BB206_12 Depth=1
	s_or_b64 exec, exec, s[28:29]
.LBB206_299:                            ;   in Loop: Header=BB206_12 Depth=1
	s_or_b64 exec, exec, s[26:27]
	v_cmp_ne_u16_sdwa s[28:29], v4, v24 src0_sel:BYTE_1 src1_sel:DWORD
	s_and_saveexec_b64 s[26:27], s[28:29]
	s_cbranch_execz .LBB206_305
; %bb.300:                              ;   in Loop: Header=BB206_12 Depth=1
	v_cmp_ne_u16_sdwa s[40:41], v4, s42 src0_sel:BYTE_1 src1_sel:DWORD
	buffer_store_dword v24, off, s[0:3], s32 offset:524 ; 4-byte Folded Spill
	s_nop 0
	buffer_store_dword v25, off, s[0:3], s32 offset:528 ; 4-byte Folded Spill
	s_and_saveexec_b64 s[28:29], s[40:41]
	s_cbranch_execz .LBB206_304
; %bb.301:                              ;   in Loop: Header=BB206_12 Depth=1
	buffer_load_dword v6, off, s[0:3], s32 offset:64 ; 4-byte Folded Reload
	buffer_load_dword v7, off, s[0:3], s32 offset:68 ; 4-byte Folded Reload
	v_and_b32_sdwa v5, v4, s43 dst_sel:DWORD dst_unused:UNUSED_PAD src0_sel:BYTE_1 src1_sel:DWORD
	v_cmp_ne_u32_e32 vcc, s43, v5
	s_waitcnt vmcnt(1)
	v_mov_b32_e32 v6, v24
	s_waitcnt vmcnt(0)
	v_mov_b32_e32 v8, v7
	buffer_store_dword v7, off, s[0:3], s32 offset:64 ; 4-byte Folded Spill
	s_nop 0
	buffer_store_dword v8, off, s[0:3], s32 offset:68 ; 4-byte Folded Spill
	buffer_store_dword v6, off, s[0:3], s32 offset:524 ; 4-byte Folded Spill
	s_nop 0
	buffer_store_dword v7, off, s[0:3], s32 offset:528 ; 4-byte Folded Spill
	s_and_saveexec_b64 s[40:41], vcc
	s_cbranch_execz .LBB206_303
; %bb.302:                              ;   in Loop: Header=BB206_12 Depth=1
	v_mov_b32_e32 v6, 7
	v_and_b32_sdwa v7, v4, v6 dst_sel:DWORD dst_unused:UNUSED_PAD src0_sel:BYTE_1 src1_sel:DWORD
	v_lshrrev_b32_e32 v12, 3, v5
	v_cmp_gt_u32_e32 vcc, 8, v5
	v_ffbh_u32_e32 v5, v7
	v_min_u32_e32 v5, 32, v5
	v_mov_b32_e32 v8, v24
	v_subrev_u32_e32 v9, 28, v5
	v_lshlrev_b64 v[8:9], v9, v[7:8]
	v_sub_u32_e32 v5, 29, v5
	v_and_b32_e32 v8, 7, v8
	v_cndmask_b32_e32 v5, v12, v5, vcc
	v_bfrev_b32_e32 v6, 60
	v_cndmask_b32_e32 v7, v7, v8, vcc
	v_lshlrev_b32_e32 v4, 16, v4
	v_lshl_add_u32 v5, v5, 23, v6
	v_and_or_b32 v4, v4, s44, v5
	v_lshlrev_b32_e32 v5, 20, v7
	v_or_b32_e32 v5, v4, v5
	v_mov_b32_e32 v4, v24
	buffer_store_dword v4, off, s[0:3], s32 offset:524 ; 4-byte Folded Spill
	s_nop 0
	buffer_store_dword v5, off, s[0:3], s32 offset:528 ; 4-byte Folded Spill
.LBB206_303:                            ;   in Loop: Header=BB206_12 Depth=1
	s_or_b64 exec, exec, s[40:41]
.LBB206_304:                            ;   in Loop: Header=BB206_12 Depth=1
	s_or_b64 exec, exec, s[28:29]
.LBB206_305:                            ;   in Loop: Header=BB206_12 Depth=1
	s_or_b64 exec, exec, s[26:27]
	flat_load_ushort v5, v[2:3] offset:3072
	s_waitcnt vmcnt(0) lgkmcnt(0)
	v_and_b32_e32 v4, 0xffff, v5
	v_cmp_ne_u16_sdwa s[28:29], v5, v24 src0_sel:BYTE_0 src1_sel:DWORD
	v_mov_b32_e32 v5, 0
	v_mov_b32_e32 v6, 0
	buffer_store_dword v5, off, s[0:3], s32 offset:540 ; 4-byte Folded Spill
	s_nop 0
	buffer_store_dword v6, off, s[0:3], s32 offset:544 ; 4-byte Folded Spill
	v_mov_b32_e32 v5, 0
	v_mov_b32_e32 v6, 0
	buffer_store_dword v5, off, s[0:3], s32 offset:532 ; 4-byte Folded Spill
	s_nop 0
	buffer_store_dword v6, off, s[0:3], s32 offset:536 ; 4-byte Folded Spill
	s_and_saveexec_b64 s[26:27], s[28:29]
	s_cbranch_execz .LBB206_311
; %bb.306:                              ;   in Loop: Header=BB206_12 Depth=1
	v_bfrev_b32_e32 v5, 1
	v_mov_b32_e32 v6, 0
	v_cmp_ne_u16_sdwa s[40:41], v4, s42 src0_sel:BYTE_0 src1_sel:DWORD
	buffer_store_dword v5, off, s[0:3], s32 offset:532 ; 4-byte Folded Spill
	s_nop 0
	buffer_store_dword v6, off, s[0:3], s32 offset:536 ; 4-byte Folded Spill
	s_and_saveexec_b64 s[28:29], s[40:41]
	s_cbranch_execz .LBB206_310
; %bb.307:                              ;   in Loop: Header=BB206_12 Depth=1
	v_and_b32_e32 v5, 0x7f, v4
	v_mov_b32_e32 v6, 0x7f800001
	v_mov_b32_e32 v7, 0
	v_cmp_ne_u32_e32 vcc, s43, v5
	buffer_store_dword v6, off, s[0:3], s32 offset:532 ; 4-byte Folded Spill
	s_nop 0
	buffer_store_dword v7, off, s[0:3], s32 offset:536 ; 4-byte Folded Spill
	s_and_saveexec_b64 s[40:41], vcc
	s_cbranch_execz .LBB206_309
; %bb.308:                              ;   in Loop: Header=BB206_12 Depth=1
	v_and_b32_e32 v9, 7, v4
	v_lshrrev_b32_e32 v12, 3, v5
	v_cmp_gt_u32_e32 vcc, 8, v5
	v_ffbh_u32_e32 v5, v9
	v_min_u32_e32 v5, 32, v5
	v_subrev_u32_e32 v7, 28, v5
	v_lshlrev_b64 v[7:8], v7, v[4:5]
	v_sub_u32_e32 v5, 29, v5
	v_and_b32_e32 v7, 7, v7
	v_cndmask_b32_e32 v5, v12, v5, vcc
	v_cndmask_b32_e32 v7, v9, v7, vcc
	v_bfrev_b32_e32 v6, 60
	v_lshlrev_b32_e32 v7, 20, v7
	v_and_b32_sdwa v8, sext(v4), s44 dst_sel:DWORD dst_unused:UNUSED_PAD src0_sel:BYTE_0 src1_sel:DWORD
	v_lshl_add_u32 v5, v5, 23, v6
	v_or3_b32 v5, v8, v5, v7
	v_mov_b32_e32 v6, v24
	buffer_store_dword v5, off, s[0:3], s32 offset:532 ; 4-byte Folded Spill
	s_nop 0
	buffer_store_dword v6, off, s[0:3], s32 offset:536 ; 4-byte Folded Spill
.LBB206_309:                            ;   in Loop: Header=BB206_12 Depth=1
	s_or_b64 exec, exec, s[40:41]
.LBB206_310:                            ;   in Loop: Header=BB206_12 Depth=1
	s_or_b64 exec, exec, s[28:29]
.LBB206_311:                            ;   in Loop: Header=BB206_12 Depth=1
	s_or_b64 exec, exec, s[26:27]
	v_cmp_ne_u16_sdwa s[28:29], v4, v24 src0_sel:BYTE_1 src1_sel:DWORD
	s_and_saveexec_b64 s[26:27], s[28:29]
	s_cbranch_execz .LBB206_317
; %bb.312:                              ;   in Loop: Header=BB206_12 Depth=1
	v_cmp_ne_u16_sdwa s[40:41], v4, s42 src0_sel:BYTE_1 src1_sel:DWORD
	buffer_store_dword v24, off, s[0:3], s32 offset:540 ; 4-byte Folded Spill
	s_nop 0
	buffer_store_dword v25, off, s[0:3], s32 offset:544 ; 4-byte Folded Spill
	s_and_saveexec_b64 s[28:29], s[40:41]
	s_cbranch_execz .LBB206_316
; %bb.313:                              ;   in Loop: Header=BB206_12 Depth=1
	buffer_load_dword v6, off, s[0:3], s32 offset:64 ; 4-byte Folded Reload
	buffer_load_dword v7, off, s[0:3], s32 offset:68 ; 4-byte Folded Reload
	v_and_b32_sdwa v5, v4, s43 dst_sel:DWORD dst_unused:UNUSED_PAD src0_sel:BYTE_1 src1_sel:DWORD
	v_cmp_ne_u32_e32 vcc, s43, v5
	s_waitcnt vmcnt(1)
	v_mov_b32_e32 v6, v24
	s_waitcnt vmcnt(0)
	v_mov_b32_e32 v8, v7
	buffer_store_dword v7, off, s[0:3], s32 offset:64 ; 4-byte Folded Spill
	s_nop 0
	buffer_store_dword v8, off, s[0:3], s32 offset:68 ; 4-byte Folded Spill
	buffer_store_dword v6, off, s[0:3], s32 offset:540 ; 4-byte Folded Spill
	s_nop 0
	buffer_store_dword v7, off, s[0:3], s32 offset:544 ; 4-byte Folded Spill
	s_and_saveexec_b64 s[40:41], vcc
	s_cbranch_execz .LBB206_315
; %bb.314:                              ;   in Loop: Header=BB206_12 Depth=1
	v_mov_b32_e32 v6, 7
	v_and_b32_sdwa v7, v4, v6 dst_sel:DWORD dst_unused:UNUSED_PAD src0_sel:BYTE_1 src1_sel:DWORD
	v_lshrrev_b32_e32 v12, 3, v5
	v_cmp_gt_u32_e32 vcc, 8, v5
	v_ffbh_u32_e32 v5, v7
	v_min_u32_e32 v5, 32, v5
	v_mov_b32_e32 v8, v24
	v_subrev_u32_e32 v9, 28, v5
	v_lshlrev_b64 v[8:9], v9, v[7:8]
	v_sub_u32_e32 v5, 29, v5
	v_and_b32_e32 v8, 7, v8
	v_cndmask_b32_e32 v5, v12, v5, vcc
	v_bfrev_b32_e32 v6, 60
	v_cndmask_b32_e32 v7, v7, v8, vcc
	v_lshlrev_b32_e32 v4, 16, v4
	v_lshl_add_u32 v5, v5, 23, v6
	v_and_or_b32 v4, v4, s44, v5
	v_lshlrev_b32_e32 v5, 20, v7
	v_or_b32_e32 v5, v4, v5
	v_mov_b32_e32 v4, v24
	buffer_store_dword v4, off, s[0:3], s32 offset:540 ; 4-byte Folded Spill
	s_nop 0
	buffer_store_dword v5, off, s[0:3], s32 offset:544 ; 4-byte Folded Spill
.LBB206_315:                            ;   in Loop: Header=BB206_12 Depth=1
	s_or_b64 exec, exec, s[40:41]
.LBB206_316:                            ;   in Loop: Header=BB206_12 Depth=1
	s_or_b64 exec, exec, s[28:29]
.LBB206_317:                            ;   in Loop: Header=BB206_12 Depth=1
	s_or_b64 exec, exec, s[26:27]
	flat_load_ushort v5, v[2:3] offset:3076
	s_waitcnt vmcnt(0) lgkmcnt(0)
	v_and_b32_e32 v4, 0xffff, v5
	v_cmp_ne_u16_sdwa s[28:29], v5, v24 src0_sel:BYTE_0 src1_sel:DWORD
	v_mov_b32_e32 v5, 0
	v_mov_b32_e32 v6, 0
	buffer_store_dword v5, off, s[0:3], s32 offset:556 ; 4-byte Folded Spill
	s_nop 0
	buffer_store_dword v6, off, s[0:3], s32 offset:560 ; 4-byte Folded Spill
	v_mov_b32_e32 v5, 0
	v_mov_b32_e32 v6, 0
	buffer_store_dword v5, off, s[0:3], s32 offset:548 ; 4-byte Folded Spill
	s_nop 0
	buffer_store_dword v6, off, s[0:3], s32 offset:552 ; 4-byte Folded Spill
	s_and_saveexec_b64 s[26:27], s[28:29]
	s_cbranch_execz .LBB206_323
; %bb.318:                              ;   in Loop: Header=BB206_12 Depth=1
	v_bfrev_b32_e32 v5, 1
	v_mov_b32_e32 v6, 0
	v_cmp_ne_u16_sdwa s[40:41], v4, s42 src0_sel:BYTE_0 src1_sel:DWORD
	buffer_store_dword v5, off, s[0:3], s32 offset:548 ; 4-byte Folded Spill
	s_nop 0
	buffer_store_dword v6, off, s[0:3], s32 offset:552 ; 4-byte Folded Spill
	s_and_saveexec_b64 s[28:29], s[40:41]
	s_cbranch_execz .LBB206_322
; %bb.319:                              ;   in Loop: Header=BB206_12 Depth=1
	v_and_b32_e32 v5, 0x7f, v4
	v_mov_b32_e32 v6, 0x7f800001
	v_mov_b32_e32 v7, 0
	v_cmp_ne_u32_e32 vcc, s43, v5
	buffer_store_dword v6, off, s[0:3], s32 offset:548 ; 4-byte Folded Spill
	s_nop 0
	buffer_store_dword v7, off, s[0:3], s32 offset:552 ; 4-byte Folded Spill
	s_and_saveexec_b64 s[40:41], vcc
	s_cbranch_execz .LBB206_321
; %bb.320:                              ;   in Loop: Header=BB206_12 Depth=1
	v_and_b32_e32 v9, 7, v4
	v_lshrrev_b32_e32 v12, 3, v5
	v_cmp_gt_u32_e32 vcc, 8, v5
	v_ffbh_u32_e32 v5, v9
	v_min_u32_e32 v5, 32, v5
	v_subrev_u32_e32 v7, 28, v5
	v_lshlrev_b64 v[7:8], v7, v[4:5]
	v_sub_u32_e32 v5, 29, v5
	v_and_b32_e32 v7, 7, v7
	v_cndmask_b32_e32 v5, v12, v5, vcc
	v_cndmask_b32_e32 v7, v9, v7, vcc
	v_bfrev_b32_e32 v6, 60
	v_lshlrev_b32_e32 v7, 20, v7
	v_and_b32_sdwa v8, sext(v4), s44 dst_sel:DWORD dst_unused:UNUSED_PAD src0_sel:BYTE_0 src1_sel:DWORD
	v_lshl_add_u32 v5, v5, 23, v6
	v_or3_b32 v5, v8, v5, v7
	v_mov_b32_e32 v6, v24
	buffer_store_dword v5, off, s[0:3], s32 offset:548 ; 4-byte Folded Spill
	s_nop 0
	buffer_store_dword v6, off, s[0:3], s32 offset:552 ; 4-byte Folded Spill
.LBB206_321:                            ;   in Loop: Header=BB206_12 Depth=1
	s_or_b64 exec, exec, s[40:41]
.LBB206_322:                            ;   in Loop: Header=BB206_12 Depth=1
	s_or_b64 exec, exec, s[28:29]
.LBB206_323:                            ;   in Loop: Header=BB206_12 Depth=1
	s_or_b64 exec, exec, s[26:27]
	v_cmp_ne_u16_sdwa s[28:29], v4, v24 src0_sel:BYTE_1 src1_sel:DWORD
	s_and_saveexec_b64 s[26:27], s[28:29]
	s_cbranch_execz .LBB206_329
; %bb.324:                              ;   in Loop: Header=BB206_12 Depth=1
	v_cmp_ne_u16_sdwa s[40:41], v4, s42 src0_sel:BYTE_1 src1_sel:DWORD
	buffer_store_dword v24, off, s[0:3], s32 offset:556 ; 4-byte Folded Spill
	s_nop 0
	buffer_store_dword v25, off, s[0:3], s32 offset:560 ; 4-byte Folded Spill
	s_and_saveexec_b64 s[28:29], s[40:41]
	s_cbranch_execz .LBB206_328
; %bb.325:                              ;   in Loop: Header=BB206_12 Depth=1
	buffer_load_dword v6, off, s[0:3], s32 offset:64 ; 4-byte Folded Reload
	buffer_load_dword v7, off, s[0:3], s32 offset:68 ; 4-byte Folded Reload
	v_and_b32_sdwa v5, v4, s43 dst_sel:DWORD dst_unused:UNUSED_PAD src0_sel:BYTE_1 src1_sel:DWORD
	v_cmp_ne_u32_e32 vcc, s43, v5
	s_waitcnt vmcnt(1)
	v_mov_b32_e32 v6, v24
	s_waitcnt vmcnt(0)
	v_mov_b32_e32 v8, v7
	buffer_store_dword v7, off, s[0:3], s32 offset:64 ; 4-byte Folded Spill
	s_nop 0
	buffer_store_dword v8, off, s[0:3], s32 offset:68 ; 4-byte Folded Spill
	buffer_store_dword v6, off, s[0:3], s32 offset:556 ; 4-byte Folded Spill
	s_nop 0
	buffer_store_dword v7, off, s[0:3], s32 offset:560 ; 4-byte Folded Spill
	s_and_saveexec_b64 s[40:41], vcc
	s_cbranch_execz .LBB206_327
; %bb.326:                              ;   in Loop: Header=BB206_12 Depth=1
	v_mov_b32_e32 v6, 7
	v_and_b32_sdwa v7, v4, v6 dst_sel:DWORD dst_unused:UNUSED_PAD src0_sel:BYTE_1 src1_sel:DWORD
	v_lshrrev_b32_e32 v12, 3, v5
	v_cmp_gt_u32_e32 vcc, 8, v5
	v_ffbh_u32_e32 v5, v7
	v_min_u32_e32 v5, 32, v5
	v_mov_b32_e32 v8, v24
	v_subrev_u32_e32 v9, 28, v5
	v_lshlrev_b64 v[8:9], v9, v[7:8]
	v_sub_u32_e32 v5, 29, v5
	v_and_b32_e32 v8, 7, v8
	v_cndmask_b32_e32 v5, v12, v5, vcc
	v_bfrev_b32_e32 v6, 60
	v_cndmask_b32_e32 v7, v7, v8, vcc
	v_lshlrev_b32_e32 v4, 16, v4
	v_lshl_add_u32 v5, v5, 23, v6
	v_and_or_b32 v4, v4, s44, v5
	v_lshlrev_b32_e32 v5, 20, v7
	v_or_b32_e32 v5, v4, v5
	v_mov_b32_e32 v4, v24
	buffer_store_dword v4, off, s[0:3], s32 offset:556 ; 4-byte Folded Spill
	s_nop 0
	buffer_store_dword v5, off, s[0:3], s32 offset:560 ; 4-byte Folded Spill
.LBB206_327:                            ;   in Loop: Header=BB206_12 Depth=1
	s_or_b64 exec, exec, s[40:41]
.LBB206_328:                            ;   in Loop: Header=BB206_12 Depth=1
	s_or_b64 exec, exec, s[28:29]
.LBB206_329:                            ;   in Loop: Header=BB206_12 Depth=1
	s_or_b64 exec, exec, s[26:27]
	flat_load_ushort v5, v[2:3] offset:3080
	s_waitcnt vmcnt(0) lgkmcnt(0)
	v_and_b32_e32 v4, 0xffff, v5
	v_cmp_ne_u16_sdwa s[28:29], v5, v24 src0_sel:BYTE_0 src1_sel:DWORD
	v_mov_b32_e32 v5, 0
	v_mov_b32_e32 v6, 0
	buffer_store_dword v5, off, s[0:3], s32 offset:572 ; 4-byte Folded Spill
	s_nop 0
	buffer_store_dword v6, off, s[0:3], s32 offset:576 ; 4-byte Folded Spill
	v_mov_b32_e32 v5, 0
	v_mov_b32_e32 v6, 0
	buffer_store_dword v5, off, s[0:3], s32 offset:564 ; 4-byte Folded Spill
	s_nop 0
	buffer_store_dword v6, off, s[0:3], s32 offset:568 ; 4-byte Folded Spill
	s_and_saveexec_b64 s[26:27], s[28:29]
	s_cbranch_execz .LBB206_335
; %bb.330:                              ;   in Loop: Header=BB206_12 Depth=1
	v_bfrev_b32_e32 v5, 1
	v_mov_b32_e32 v6, 0
	v_cmp_ne_u16_sdwa s[40:41], v4, s42 src0_sel:BYTE_0 src1_sel:DWORD
	buffer_store_dword v5, off, s[0:3], s32 offset:564 ; 4-byte Folded Spill
	s_nop 0
	buffer_store_dword v6, off, s[0:3], s32 offset:568 ; 4-byte Folded Spill
	s_and_saveexec_b64 s[28:29], s[40:41]
	s_cbranch_execz .LBB206_334
; %bb.331:                              ;   in Loop: Header=BB206_12 Depth=1
	v_and_b32_e32 v5, 0x7f, v4
	v_mov_b32_e32 v6, 0x7f800001
	v_mov_b32_e32 v7, 0
	v_cmp_ne_u32_e32 vcc, s43, v5
	buffer_store_dword v6, off, s[0:3], s32 offset:564 ; 4-byte Folded Spill
	s_nop 0
	buffer_store_dword v7, off, s[0:3], s32 offset:568 ; 4-byte Folded Spill
	s_and_saveexec_b64 s[40:41], vcc
	s_cbranch_execz .LBB206_333
; %bb.332:                              ;   in Loop: Header=BB206_12 Depth=1
	v_and_b32_e32 v9, 7, v4
	v_lshrrev_b32_e32 v12, 3, v5
	v_cmp_gt_u32_e32 vcc, 8, v5
	v_ffbh_u32_e32 v5, v9
	v_min_u32_e32 v5, 32, v5
	v_subrev_u32_e32 v7, 28, v5
	v_lshlrev_b64 v[7:8], v7, v[4:5]
	v_sub_u32_e32 v5, 29, v5
	v_and_b32_e32 v7, 7, v7
	v_cndmask_b32_e32 v5, v12, v5, vcc
	v_cndmask_b32_e32 v7, v9, v7, vcc
	v_bfrev_b32_e32 v6, 60
	v_lshlrev_b32_e32 v7, 20, v7
	v_and_b32_sdwa v8, sext(v4), s44 dst_sel:DWORD dst_unused:UNUSED_PAD src0_sel:BYTE_0 src1_sel:DWORD
	v_lshl_add_u32 v5, v5, 23, v6
	v_or3_b32 v5, v8, v5, v7
	v_mov_b32_e32 v6, v24
	buffer_store_dword v5, off, s[0:3], s32 offset:564 ; 4-byte Folded Spill
	s_nop 0
	buffer_store_dword v6, off, s[0:3], s32 offset:568 ; 4-byte Folded Spill
.LBB206_333:                            ;   in Loop: Header=BB206_12 Depth=1
	s_or_b64 exec, exec, s[40:41]
.LBB206_334:                            ;   in Loop: Header=BB206_12 Depth=1
	s_or_b64 exec, exec, s[28:29]
.LBB206_335:                            ;   in Loop: Header=BB206_12 Depth=1
	s_or_b64 exec, exec, s[26:27]
	v_cmp_ne_u16_sdwa s[28:29], v4, v24 src0_sel:BYTE_1 src1_sel:DWORD
	s_and_saveexec_b64 s[26:27], s[28:29]
	s_cbranch_execz .LBB206_341
; %bb.336:                              ;   in Loop: Header=BB206_12 Depth=1
	v_cmp_ne_u16_sdwa s[40:41], v4, s42 src0_sel:BYTE_1 src1_sel:DWORD
	buffer_store_dword v24, off, s[0:3], s32 offset:572 ; 4-byte Folded Spill
	s_nop 0
	buffer_store_dword v25, off, s[0:3], s32 offset:576 ; 4-byte Folded Spill
	s_and_saveexec_b64 s[28:29], s[40:41]
	s_cbranch_execz .LBB206_340
; %bb.337:                              ;   in Loop: Header=BB206_12 Depth=1
	buffer_load_dword v6, off, s[0:3], s32 offset:64 ; 4-byte Folded Reload
	buffer_load_dword v7, off, s[0:3], s32 offset:68 ; 4-byte Folded Reload
	v_and_b32_sdwa v5, v4, s43 dst_sel:DWORD dst_unused:UNUSED_PAD src0_sel:BYTE_1 src1_sel:DWORD
	v_cmp_ne_u32_e32 vcc, s43, v5
	s_waitcnt vmcnt(1)
	v_mov_b32_e32 v6, v24
	s_waitcnt vmcnt(0)
	v_mov_b32_e32 v8, v7
	buffer_store_dword v7, off, s[0:3], s32 offset:64 ; 4-byte Folded Spill
	s_nop 0
	buffer_store_dword v8, off, s[0:3], s32 offset:68 ; 4-byte Folded Spill
	buffer_store_dword v6, off, s[0:3], s32 offset:572 ; 4-byte Folded Spill
	s_nop 0
	buffer_store_dword v7, off, s[0:3], s32 offset:576 ; 4-byte Folded Spill
	s_and_saveexec_b64 s[40:41], vcc
	s_cbranch_execz .LBB206_339
; %bb.338:                              ;   in Loop: Header=BB206_12 Depth=1
	v_mov_b32_e32 v6, 7
	v_and_b32_sdwa v7, v4, v6 dst_sel:DWORD dst_unused:UNUSED_PAD src0_sel:BYTE_1 src1_sel:DWORD
	v_lshrrev_b32_e32 v12, 3, v5
	v_cmp_gt_u32_e32 vcc, 8, v5
	v_ffbh_u32_e32 v5, v7
	v_min_u32_e32 v5, 32, v5
	v_mov_b32_e32 v8, v24
	v_subrev_u32_e32 v9, 28, v5
	v_lshlrev_b64 v[8:9], v9, v[7:8]
	v_sub_u32_e32 v5, 29, v5
	v_and_b32_e32 v8, 7, v8
	v_cndmask_b32_e32 v5, v12, v5, vcc
	v_bfrev_b32_e32 v6, 60
	v_cndmask_b32_e32 v7, v7, v8, vcc
	v_lshlrev_b32_e32 v4, 16, v4
	v_lshl_add_u32 v5, v5, 23, v6
	v_and_or_b32 v4, v4, s44, v5
	v_lshlrev_b32_e32 v5, 20, v7
	v_or_b32_e32 v5, v4, v5
	v_mov_b32_e32 v4, v24
	buffer_store_dword v4, off, s[0:3], s32 offset:572 ; 4-byte Folded Spill
	s_nop 0
	buffer_store_dword v5, off, s[0:3], s32 offset:576 ; 4-byte Folded Spill
.LBB206_339:                            ;   in Loop: Header=BB206_12 Depth=1
	s_or_b64 exec, exec, s[40:41]
.LBB206_340:                            ;   in Loop: Header=BB206_12 Depth=1
	s_or_b64 exec, exec, s[28:29]
.LBB206_341:                            ;   in Loop: Header=BB206_12 Depth=1
	s_or_b64 exec, exec, s[26:27]
	flat_load_ushort v5, v[2:3] offset:3084
	s_waitcnt vmcnt(0) lgkmcnt(0)
	v_and_b32_e32 v4, 0xffff, v5
	v_cmp_ne_u16_sdwa s[28:29], v5, v24 src0_sel:BYTE_0 src1_sel:DWORD
	v_mov_b32_e32 v5, 0
	v_mov_b32_e32 v6, 0
	buffer_store_dword v5, off, s[0:3], s32 offset:588 ; 4-byte Folded Spill
	s_nop 0
	buffer_store_dword v6, off, s[0:3], s32 offset:592 ; 4-byte Folded Spill
	v_mov_b32_e32 v5, 0
	v_mov_b32_e32 v6, 0
	buffer_store_dword v5, off, s[0:3], s32 offset:580 ; 4-byte Folded Spill
	s_nop 0
	buffer_store_dword v6, off, s[0:3], s32 offset:584 ; 4-byte Folded Spill
	s_and_saveexec_b64 s[26:27], s[28:29]
	s_cbranch_execz .LBB206_347
; %bb.342:                              ;   in Loop: Header=BB206_12 Depth=1
	v_bfrev_b32_e32 v5, 1
	v_mov_b32_e32 v6, 0
	v_cmp_ne_u16_sdwa s[40:41], v4, s42 src0_sel:BYTE_0 src1_sel:DWORD
	buffer_store_dword v5, off, s[0:3], s32 offset:580 ; 4-byte Folded Spill
	s_nop 0
	buffer_store_dword v6, off, s[0:3], s32 offset:584 ; 4-byte Folded Spill
	s_and_saveexec_b64 s[28:29], s[40:41]
	s_cbranch_execz .LBB206_346
; %bb.343:                              ;   in Loop: Header=BB206_12 Depth=1
	v_and_b32_e32 v5, 0x7f, v4
	v_mov_b32_e32 v6, 0x7f800001
	v_mov_b32_e32 v7, 0
	v_cmp_ne_u32_e32 vcc, s43, v5
	buffer_store_dword v6, off, s[0:3], s32 offset:580 ; 4-byte Folded Spill
	s_nop 0
	buffer_store_dword v7, off, s[0:3], s32 offset:584 ; 4-byte Folded Spill
	s_and_saveexec_b64 s[40:41], vcc
	s_cbranch_execz .LBB206_345
; %bb.344:                              ;   in Loop: Header=BB206_12 Depth=1
	v_and_b32_e32 v9, 7, v4
	v_lshrrev_b32_e32 v12, 3, v5
	v_cmp_gt_u32_e32 vcc, 8, v5
	v_ffbh_u32_e32 v5, v9
	v_min_u32_e32 v5, 32, v5
	v_subrev_u32_e32 v7, 28, v5
	v_lshlrev_b64 v[7:8], v7, v[4:5]
	v_sub_u32_e32 v5, 29, v5
	v_and_b32_e32 v7, 7, v7
	v_cndmask_b32_e32 v5, v12, v5, vcc
	v_cndmask_b32_e32 v7, v9, v7, vcc
	v_bfrev_b32_e32 v6, 60
	v_lshlrev_b32_e32 v7, 20, v7
	v_and_b32_sdwa v8, sext(v4), s44 dst_sel:DWORD dst_unused:UNUSED_PAD src0_sel:BYTE_0 src1_sel:DWORD
	v_lshl_add_u32 v5, v5, 23, v6
	v_or3_b32 v5, v8, v5, v7
	v_mov_b32_e32 v6, v24
	buffer_store_dword v5, off, s[0:3], s32 offset:580 ; 4-byte Folded Spill
	s_nop 0
	buffer_store_dword v6, off, s[0:3], s32 offset:584 ; 4-byte Folded Spill
.LBB206_345:                            ;   in Loop: Header=BB206_12 Depth=1
	s_or_b64 exec, exec, s[40:41]
.LBB206_346:                            ;   in Loop: Header=BB206_12 Depth=1
	s_or_b64 exec, exec, s[28:29]
.LBB206_347:                            ;   in Loop: Header=BB206_12 Depth=1
	s_or_b64 exec, exec, s[26:27]
	v_cmp_ne_u16_sdwa s[28:29], v4, v24 src0_sel:BYTE_1 src1_sel:DWORD
	s_and_saveexec_b64 s[26:27], s[28:29]
	s_cbranch_execz .LBB206_353
; %bb.348:                              ;   in Loop: Header=BB206_12 Depth=1
	v_cmp_ne_u16_sdwa s[40:41], v4, s42 src0_sel:BYTE_1 src1_sel:DWORD
	buffer_store_dword v24, off, s[0:3], s32 offset:588 ; 4-byte Folded Spill
	s_nop 0
	buffer_store_dword v25, off, s[0:3], s32 offset:592 ; 4-byte Folded Spill
	s_and_saveexec_b64 s[28:29], s[40:41]
	s_cbranch_execz .LBB206_352
; %bb.349:                              ;   in Loop: Header=BB206_12 Depth=1
	buffer_load_dword v6, off, s[0:3], s32 offset:64 ; 4-byte Folded Reload
	buffer_load_dword v7, off, s[0:3], s32 offset:68 ; 4-byte Folded Reload
	v_and_b32_sdwa v5, v4, s43 dst_sel:DWORD dst_unused:UNUSED_PAD src0_sel:BYTE_1 src1_sel:DWORD
	v_cmp_ne_u32_e32 vcc, s43, v5
	s_waitcnt vmcnt(1)
	v_mov_b32_e32 v6, v24
	s_waitcnt vmcnt(0)
	v_mov_b32_e32 v8, v7
	buffer_store_dword v7, off, s[0:3], s32 offset:64 ; 4-byte Folded Spill
	s_nop 0
	buffer_store_dword v8, off, s[0:3], s32 offset:68 ; 4-byte Folded Spill
	buffer_store_dword v6, off, s[0:3], s32 offset:588 ; 4-byte Folded Spill
	s_nop 0
	buffer_store_dword v7, off, s[0:3], s32 offset:592 ; 4-byte Folded Spill
	s_and_saveexec_b64 s[40:41], vcc
	s_cbranch_execz .LBB206_351
; %bb.350:                              ;   in Loop: Header=BB206_12 Depth=1
	v_mov_b32_e32 v6, 7
	v_and_b32_sdwa v7, v4, v6 dst_sel:DWORD dst_unused:UNUSED_PAD src0_sel:BYTE_1 src1_sel:DWORD
	v_lshrrev_b32_e32 v12, 3, v5
	v_cmp_gt_u32_e32 vcc, 8, v5
	v_ffbh_u32_e32 v5, v7
	v_min_u32_e32 v5, 32, v5
	v_mov_b32_e32 v8, v24
	v_subrev_u32_e32 v9, 28, v5
	v_lshlrev_b64 v[8:9], v9, v[7:8]
	v_sub_u32_e32 v5, 29, v5
	v_and_b32_e32 v8, 7, v8
	v_cndmask_b32_e32 v5, v12, v5, vcc
	v_bfrev_b32_e32 v6, 60
	v_cndmask_b32_e32 v7, v7, v8, vcc
	v_lshlrev_b32_e32 v4, 16, v4
	v_lshl_add_u32 v5, v5, 23, v6
	v_and_or_b32 v4, v4, s44, v5
	v_lshlrev_b32_e32 v5, 20, v7
	v_or_b32_e32 v5, v4, v5
	v_mov_b32_e32 v4, v24
	buffer_store_dword v4, off, s[0:3], s32 offset:588 ; 4-byte Folded Spill
	s_nop 0
	buffer_store_dword v5, off, s[0:3], s32 offset:592 ; 4-byte Folded Spill
.LBB206_351:                            ;   in Loop: Header=BB206_12 Depth=1
	s_or_b64 exec, exec, s[40:41]
.LBB206_352:                            ;   in Loop: Header=BB206_12 Depth=1
	s_or_b64 exec, exec, s[28:29]
.LBB206_353:                            ;   in Loop: Header=BB206_12 Depth=1
	s_or_b64 exec, exec, s[26:27]
	flat_load_ushort v5, v[2:3] offset:3584
	s_waitcnt vmcnt(0) lgkmcnt(0)
	v_and_b32_e32 v4, 0xffff, v5
	v_cmp_ne_u16_sdwa s[28:29], v5, v24 src0_sel:BYTE_0 src1_sel:DWORD
	v_mov_b32_e32 v5, 0
	v_mov_b32_e32 v6, 0
	buffer_store_dword v5, off, s[0:3], s32 offset:604 ; 4-byte Folded Spill
	s_nop 0
	buffer_store_dword v6, off, s[0:3], s32 offset:608 ; 4-byte Folded Spill
	v_mov_b32_e32 v5, 0
	v_mov_b32_e32 v6, 0
	buffer_store_dword v5, off, s[0:3], s32 offset:596 ; 4-byte Folded Spill
	s_nop 0
	buffer_store_dword v6, off, s[0:3], s32 offset:600 ; 4-byte Folded Spill
	s_and_saveexec_b64 s[26:27], s[28:29]
	s_cbranch_execz .LBB206_359
; %bb.354:                              ;   in Loop: Header=BB206_12 Depth=1
	v_bfrev_b32_e32 v5, 1
	v_mov_b32_e32 v6, 0
	v_cmp_ne_u16_sdwa s[40:41], v4, s42 src0_sel:BYTE_0 src1_sel:DWORD
	buffer_store_dword v5, off, s[0:3], s32 offset:596 ; 4-byte Folded Spill
	s_nop 0
	buffer_store_dword v6, off, s[0:3], s32 offset:600 ; 4-byte Folded Spill
	s_and_saveexec_b64 s[28:29], s[40:41]
	s_cbranch_execz .LBB206_358
; %bb.355:                              ;   in Loop: Header=BB206_12 Depth=1
	v_and_b32_e32 v5, 0x7f, v4
	v_mov_b32_e32 v6, 0x7f800001
	v_mov_b32_e32 v7, 0
	v_cmp_ne_u32_e32 vcc, s43, v5
	buffer_store_dword v6, off, s[0:3], s32 offset:596 ; 4-byte Folded Spill
	s_nop 0
	buffer_store_dword v7, off, s[0:3], s32 offset:600 ; 4-byte Folded Spill
	s_and_saveexec_b64 s[40:41], vcc
	s_cbranch_execz .LBB206_357
; %bb.356:                              ;   in Loop: Header=BB206_12 Depth=1
	v_and_b32_e32 v9, 7, v4
	v_lshrrev_b32_e32 v12, 3, v5
	v_cmp_gt_u32_e32 vcc, 8, v5
	v_ffbh_u32_e32 v5, v9
	v_min_u32_e32 v5, 32, v5
	v_subrev_u32_e32 v7, 28, v5
	v_lshlrev_b64 v[7:8], v7, v[4:5]
	v_sub_u32_e32 v5, 29, v5
	v_and_b32_e32 v7, 7, v7
	v_cndmask_b32_e32 v5, v12, v5, vcc
	v_cndmask_b32_e32 v7, v9, v7, vcc
	v_bfrev_b32_e32 v6, 60
	v_lshlrev_b32_e32 v7, 20, v7
	v_and_b32_sdwa v8, sext(v4), s44 dst_sel:DWORD dst_unused:UNUSED_PAD src0_sel:BYTE_0 src1_sel:DWORD
	v_lshl_add_u32 v5, v5, 23, v6
	v_or3_b32 v5, v8, v5, v7
	v_mov_b32_e32 v6, v24
	buffer_store_dword v5, off, s[0:3], s32 offset:596 ; 4-byte Folded Spill
	s_nop 0
	buffer_store_dword v6, off, s[0:3], s32 offset:600 ; 4-byte Folded Spill
.LBB206_357:                            ;   in Loop: Header=BB206_12 Depth=1
	s_or_b64 exec, exec, s[40:41]
.LBB206_358:                            ;   in Loop: Header=BB206_12 Depth=1
	s_or_b64 exec, exec, s[28:29]
.LBB206_359:                            ;   in Loop: Header=BB206_12 Depth=1
	s_or_b64 exec, exec, s[26:27]
	v_cmp_ne_u16_sdwa s[28:29], v4, v24 src0_sel:BYTE_1 src1_sel:DWORD
	s_and_saveexec_b64 s[26:27], s[28:29]
	s_cbranch_execz .LBB206_365
; %bb.360:                              ;   in Loop: Header=BB206_12 Depth=1
	v_cmp_ne_u16_sdwa s[40:41], v4, s42 src0_sel:BYTE_1 src1_sel:DWORD
	buffer_store_dword v24, off, s[0:3], s32 offset:604 ; 4-byte Folded Spill
	s_nop 0
	buffer_store_dword v25, off, s[0:3], s32 offset:608 ; 4-byte Folded Spill
	s_and_saveexec_b64 s[28:29], s[40:41]
	s_cbranch_execz .LBB206_364
; %bb.361:                              ;   in Loop: Header=BB206_12 Depth=1
	buffer_load_dword v6, off, s[0:3], s32 offset:64 ; 4-byte Folded Reload
	buffer_load_dword v7, off, s[0:3], s32 offset:68 ; 4-byte Folded Reload
	v_and_b32_sdwa v5, v4, s43 dst_sel:DWORD dst_unused:UNUSED_PAD src0_sel:BYTE_1 src1_sel:DWORD
	v_cmp_ne_u32_e32 vcc, s43, v5
	s_waitcnt vmcnt(1)
	v_mov_b32_e32 v6, v24
	s_waitcnt vmcnt(0)
	v_mov_b32_e32 v8, v7
	buffer_store_dword v7, off, s[0:3], s32 offset:64 ; 4-byte Folded Spill
	s_nop 0
	buffer_store_dword v8, off, s[0:3], s32 offset:68 ; 4-byte Folded Spill
	buffer_store_dword v6, off, s[0:3], s32 offset:604 ; 4-byte Folded Spill
	s_nop 0
	buffer_store_dword v7, off, s[0:3], s32 offset:608 ; 4-byte Folded Spill
	s_and_saveexec_b64 s[40:41], vcc
	s_cbranch_execz .LBB206_363
; %bb.362:                              ;   in Loop: Header=BB206_12 Depth=1
	v_mov_b32_e32 v6, 7
	v_and_b32_sdwa v7, v4, v6 dst_sel:DWORD dst_unused:UNUSED_PAD src0_sel:BYTE_1 src1_sel:DWORD
	v_lshrrev_b32_e32 v12, 3, v5
	v_cmp_gt_u32_e32 vcc, 8, v5
	v_ffbh_u32_e32 v5, v7
	v_min_u32_e32 v5, 32, v5
	v_mov_b32_e32 v8, v24
	v_subrev_u32_e32 v9, 28, v5
	v_lshlrev_b64 v[8:9], v9, v[7:8]
	v_sub_u32_e32 v5, 29, v5
	v_and_b32_e32 v8, 7, v8
	v_cndmask_b32_e32 v5, v12, v5, vcc
	v_bfrev_b32_e32 v6, 60
	v_cndmask_b32_e32 v7, v7, v8, vcc
	v_lshlrev_b32_e32 v4, 16, v4
	v_lshl_add_u32 v5, v5, 23, v6
	v_and_or_b32 v4, v4, s44, v5
	v_lshlrev_b32_e32 v5, 20, v7
	v_or_b32_e32 v5, v4, v5
	v_mov_b32_e32 v4, v24
	buffer_store_dword v4, off, s[0:3], s32 offset:604 ; 4-byte Folded Spill
	s_nop 0
	buffer_store_dword v5, off, s[0:3], s32 offset:608 ; 4-byte Folded Spill
.LBB206_363:                            ;   in Loop: Header=BB206_12 Depth=1
	s_or_b64 exec, exec, s[40:41]
.LBB206_364:                            ;   in Loop: Header=BB206_12 Depth=1
	s_or_b64 exec, exec, s[28:29]
.LBB206_365:                            ;   in Loop: Header=BB206_12 Depth=1
	s_or_b64 exec, exec, s[26:27]
	flat_load_ushort v5, v[2:3] offset:3588
	s_waitcnt vmcnt(0) lgkmcnt(0)
	v_and_b32_e32 v4, 0xffff, v5
	v_cmp_ne_u16_sdwa s[28:29], v5, v24 src0_sel:BYTE_0 src1_sel:DWORD
	v_mov_b32_e32 v5, 0
	v_mov_b32_e32 v6, 0
	buffer_store_dword v5, off, s[0:3], s32 offset:620 ; 4-byte Folded Spill
	s_nop 0
	buffer_store_dword v6, off, s[0:3], s32 offset:624 ; 4-byte Folded Spill
	v_mov_b32_e32 v5, 0
	v_mov_b32_e32 v6, 0
	buffer_store_dword v5, off, s[0:3], s32 offset:612 ; 4-byte Folded Spill
	s_nop 0
	buffer_store_dword v6, off, s[0:3], s32 offset:616 ; 4-byte Folded Spill
	s_and_saveexec_b64 s[26:27], s[28:29]
	s_cbranch_execz .LBB206_371
; %bb.366:                              ;   in Loop: Header=BB206_12 Depth=1
	v_bfrev_b32_e32 v5, 1
	v_mov_b32_e32 v6, 0
	v_cmp_ne_u16_sdwa s[40:41], v4, s42 src0_sel:BYTE_0 src1_sel:DWORD
	buffer_store_dword v5, off, s[0:3], s32 offset:612 ; 4-byte Folded Spill
	s_nop 0
	buffer_store_dword v6, off, s[0:3], s32 offset:616 ; 4-byte Folded Spill
	s_and_saveexec_b64 s[28:29], s[40:41]
	s_cbranch_execz .LBB206_370
; %bb.367:                              ;   in Loop: Header=BB206_12 Depth=1
	v_and_b32_e32 v5, 0x7f, v4
	v_mov_b32_e32 v6, 0x7f800001
	v_mov_b32_e32 v7, 0
	v_cmp_ne_u32_e32 vcc, s43, v5
	buffer_store_dword v6, off, s[0:3], s32 offset:612 ; 4-byte Folded Spill
	s_nop 0
	buffer_store_dword v7, off, s[0:3], s32 offset:616 ; 4-byte Folded Spill
	s_and_saveexec_b64 s[40:41], vcc
	s_cbranch_execz .LBB206_369
; %bb.368:                              ;   in Loop: Header=BB206_12 Depth=1
	v_and_b32_e32 v9, 7, v4
	v_lshrrev_b32_e32 v12, 3, v5
	v_cmp_gt_u32_e32 vcc, 8, v5
	v_ffbh_u32_e32 v5, v9
	v_min_u32_e32 v5, 32, v5
	v_subrev_u32_e32 v7, 28, v5
	v_lshlrev_b64 v[7:8], v7, v[4:5]
	v_sub_u32_e32 v5, 29, v5
	v_and_b32_e32 v7, 7, v7
	v_cndmask_b32_e32 v5, v12, v5, vcc
	v_cndmask_b32_e32 v7, v9, v7, vcc
	v_bfrev_b32_e32 v6, 60
	v_lshlrev_b32_e32 v7, 20, v7
	v_and_b32_sdwa v8, sext(v4), s44 dst_sel:DWORD dst_unused:UNUSED_PAD src0_sel:BYTE_0 src1_sel:DWORD
	v_lshl_add_u32 v5, v5, 23, v6
	v_or3_b32 v5, v8, v5, v7
	v_mov_b32_e32 v6, v24
	buffer_store_dword v5, off, s[0:3], s32 offset:612 ; 4-byte Folded Spill
	s_nop 0
	buffer_store_dword v6, off, s[0:3], s32 offset:616 ; 4-byte Folded Spill
.LBB206_369:                            ;   in Loop: Header=BB206_12 Depth=1
	s_or_b64 exec, exec, s[40:41]
.LBB206_370:                            ;   in Loop: Header=BB206_12 Depth=1
	s_or_b64 exec, exec, s[28:29]
.LBB206_371:                            ;   in Loop: Header=BB206_12 Depth=1
	s_or_b64 exec, exec, s[26:27]
	v_cmp_ne_u16_sdwa s[28:29], v4, v24 src0_sel:BYTE_1 src1_sel:DWORD
	s_and_saveexec_b64 s[26:27], s[28:29]
	s_cbranch_execz .LBB206_377
; %bb.372:                              ;   in Loop: Header=BB206_12 Depth=1
	v_cmp_ne_u16_sdwa s[40:41], v4, s42 src0_sel:BYTE_1 src1_sel:DWORD
	buffer_store_dword v24, off, s[0:3], s32 offset:620 ; 4-byte Folded Spill
	s_nop 0
	buffer_store_dword v25, off, s[0:3], s32 offset:624 ; 4-byte Folded Spill
	s_and_saveexec_b64 s[28:29], s[40:41]
	s_cbranch_execz .LBB206_376
; %bb.373:                              ;   in Loop: Header=BB206_12 Depth=1
	buffer_load_dword v6, off, s[0:3], s32 offset:64 ; 4-byte Folded Reload
	buffer_load_dword v7, off, s[0:3], s32 offset:68 ; 4-byte Folded Reload
	v_and_b32_sdwa v5, v4, s43 dst_sel:DWORD dst_unused:UNUSED_PAD src0_sel:BYTE_1 src1_sel:DWORD
	v_cmp_ne_u32_e32 vcc, s43, v5
	s_waitcnt vmcnt(1)
	v_mov_b32_e32 v6, v24
	s_waitcnt vmcnt(0)
	v_mov_b32_e32 v8, v7
	buffer_store_dword v7, off, s[0:3], s32 offset:64 ; 4-byte Folded Spill
	s_nop 0
	buffer_store_dword v8, off, s[0:3], s32 offset:68 ; 4-byte Folded Spill
	buffer_store_dword v6, off, s[0:3], s32 offset:620 ; 4-byte Folded Spill
	s_nop 0
	buffer_store_dword v7, off, s[0:3], s32 offset:624 ; 4-byte Folded Spill
	s_and_saveexec_b64 s[40:41], vcc
	s_cbranch_execz .LBB206_375
; %bb.374:                              ;   in Loop: Header=BB206_12 Depth=1
	v_mov_b32_e32 v6, 7
	v_and_b32_sdwa v7, v4, v6 dst_sel:DWORD dst_unused:UNUSED_PAD src0_sel:BYTE_1 src1_sel:DWORD
	v_lshrrev_b32_e32 v12, 3, v5
	v_cmp_gt_u32_e32 vcc, 8, v5
	v_ffbh_u32_e32 v5, v7
	v_min_u32_e32 v5, 32, v5
	v_mov_b32_e32 v8, v24
	v_subrev_u32_e32 v9, 28, v5
	v_lshlrev_b64 v[8:9], v9, v[7:8]
	v_sub_u32_e32 v5, 29, v5
	v_and_b32_e32 v8, 7, v8
	v_cndmask_b32_e32 v5, v12, v5, vcc
	v_bfrev_b32_e32 v6, 60
	v_cndmask_b32_e32 v7, v7, v8, vcc
	v_lshlrev_b32_e32 v4, 16, v4
	v_lshl_add_u32 v5, v5, 23, v6
	v_and_or_b32 v4, v4, s44, v5
	v_lshlrev_b32_e32 v5, 20, v7
	v_or_b32_e32 v5, v4, v5
	v_mov_b32_e32 v4, v24
	buffer_store_dword v4, off, s[0:3], s32 offset:620 ; 4-byte Folded Spill
	s_nop 0
	buffer_store_dword v5, off, s[0:3], s32 offset:624 ; 4-byte Folded Spill
.LBB206_375:                            ;   in Loop: Header=BB206_12 Depth=1
	s_or_b64 exec, exec, s[40:41]
.LBB206_376:                            ;   in Loop: Header=BB206_12 Depth=1
	s_or_b64 exec, exec, s[28:29]
.LBB206_377:                            ;   in Loop: Header=BB206_12 Depth=1
	s_or_b64 exec, exec, s[26:27]
	flat_load_ushort v5, v[2:3] offset:3592
	s_waitcnt vmcnt(0) lgkmcnt(0)
	v_and_b32_e32 v4, 0xffff, v5
	v_cmp_ne_u16_sdwa s[28:29], v5, v24 src0_sel:BYTE_0 src1_sel:DWORD
	v_mov_b32_e32 v5, 0
	v_mov_b32_e32 v6, 0
	buffer_store_dword v5, off, s[0:3], s32 offset:636 ; 4-byte Folded Spill
	s_nop 0
	buffer_store_dword v6, off, s[0:3], s32 offset:640 ; 4-byte Folded Spill
	v_mov_b32_e32 v5, 0
	v_mov_b32_e32 v6, 0
	buffer_store_dword v5, off, s[0:3], s32 offset:628 ; 4-byte Folded Spill
	s_nop 0
	buffer_store_dword v6, off, s[0:3], s32 offset:632 ; 4-byte Folded Spill
	s_and_saveexec_b64 s[26:27], s[28:29]
	s_cbranch_execz .LBB206_383
; %bb.378:                              ;   in Loop: Header=BB206_12 Depth=1
	v_bfrev_b32_e32 v5, 1
	v_mov_b32_e32 v6, 0
	v_cmp_ne_u16_sdwa s[40:41], v4, s42 src0_sel:BYTE_0 src1_sel:DWORD
	buffer_store_dword v5, off, s[0:3], s32 offset:628 ; 4-byte Folded Spill
	s_nop 0
	buffer_store_dword v6, off, s[0:3], s32 offset:632 ; 4-byte Folded Spill
	s_and_saveexec_b64 s[28:29], s[40:41]
	s_cbranch_execz .LBB206_382
; %bb.379:                              ;   in Loop: Header=BB206_12 Depth=1
	v_and_b32_e32 v5, 0x7f, v4
	v_mov_b32_e32 v6, 0x7f800001
	v_mov_b32_e32 v7, 0
	v_cmp_ne_u32_e32 vcc, s43, v5
	buffer_store_dword v6, off, s[0:3], s32 offset:628 ; 4-byte Folded Spill
	s_nop 0
	buffer_store_dword v7, off, s[0:3], s32 offset:632 ; 4-byte Folded Spill
	s_and_saveexec_b64 s[40:41], vcc
	s_cbranch_execz .LBB206_381
; %bb.380:                              ;   in Loop: Header=BB206_12 Depth=1
	v_and_b32_e32 v9, 7, v4
	v_lshrrev_b32_e32 v12, 3, v5
	v_cmp_gt_u32_e32 vcc, 8, v5
	v_ffbh_u32_e32 v5, v9
	v_min_u32_e32 v5, 32, v5
	v_subrev_u32_e32 v7, 28, v5
	v_lshlrev_b64 v[7:8], v7, v[4:5]
	v_sub_u32_e32 v5, 29, v5
	v_and_b32_e32 v7, 7, v7
	v_cndmask_b32_e32 v5, v12, v5, vcc
	v_cndmask_b32_e32 v7, v9, v7, vcc
	v_bfrev_b32_e32 v6, 60
	v_lshlrev_b32_e32 v7, 20, v7
	v_and_b32_sdwa v8, sext(v4), s44 dst_sel:DWORD dst_unused:UNUSED_PAD src0_sel:BYTE_0 src1_sel:DWORD
	v_lshl_add_u32 v5, v5, 23, v6
	v_or3_b32 v5, v8, v5, v7
	v_mov_b32_e32 v6, v24
	buffer_store_dword v5, off, s[0:3], s32 offset:628 ; 4-byte Folded Spill
	s_nop 0
	buffer_store_dword v6, off, s[0:3], s32 offset:632 ; 4-byte Folded Spill
.LBB206_381:                            ;   in Loop: Header=BB206_12 Depth=1
	s_or_b64 exec, exec, s[40:41]
.LBB206_382:                            ;   in Loop: Header=BB206_12 Depth=1
	s_or_b64 exec, exec, s[28:29]
.LBB206_383:                            ;   in Loop: Header=BB206_12 Depth=1
	s_or_b64 exec, exec, s[26:27]
	v_cmp_ne_u16_sdwa s[28:29], v4, v24 src0_sel:BYTE_1 src1_sel:DWORD
	s_and_saveexec_b64 s[26:27], s[28:29]
	s_cbranch_execz .LBB206_389
; %bb.384:                              ;   in Loop: Header=BB206_12 Depth=1
	v_cmp_ne_u16_sdwa s[40:41], v4, s42 src0_sel:BYTE_1 src1_sel:DWORD
	buffer_store_dword v24, off, s[0:3], s32 offset:636 ; 4-byte Folded Spill
	s_nop 0
	buffer_store_dword v25, off, s[0:3], s32 offset:640 ; 4-byte Folded Spill
	s_and_saveexec_b64 s[28:29], s[40:41]
	s_cbranch_execz .LBB206_388
; %bb.385:                              ;   in Loop: Header=BB206_12 Depth=1
	buffer_load_dword v6, off, s[0:3], s32 offset:64 ; 4-byte Folded Reload
	buffer_load_dword v7, off, s[0:3], s32 offset:68 ; 4-byte Folded Reload
	v_and_b32_sdwa v5, v4, s43 dst_sel:DWORD dst_unused:UNUSED_PAD src0_sel:BYTE_1 src1_sel:DWORD
	v_cmp_ne_u32_e32 vcc, s43, v5
	s_waitcnt vmcnt(1)
	v_mov_b32_e32 v6, v24
	s_waitcnt vmcnt(0)
	v_mov_b32_e32 v8, v7
	buffer_store_dword v7, off, s[0:3], s32 offset:64 ; 4-byte Folded Spill
	s_nop 0
	buffer_store_dword v8, off, s[0:3], s32 offset:68 ; 4-byte Folded Spill
	buffer_store_dword v6, off, s[0:3], s32 offset:636 ; 4-byte Folded Spill
	s_nop 0
	buffer_store_dword v7, off, s[0:3], s32 offset:640 ; 4-byte Folded Spill
	s_and_saveexec_b64 s[40:41], vcc
	s_cbranch_execz .LBB206_387
; %bb.386:                              ;   in Loop: Header=BB206_12 Depth=1
	v_mov_b32_e32 v6, 7
	v_and_b32_sdwa v7, v4, v6 dst_sel:DWORD dst_unused:UNUSED_PAD src0_sel:BYTE_1 src1_sel:DWORD
	v_lshrrev_b32_e32 v12, 3, v5
	v_cmp_gt_u32_e32 vcc, 8, v5
	v_ffbh_u32_e32 v5, v7
	v_min_u32_e32 v5, 32, v5
	v_mov_b32_e32 v8, v24
	v_subrev_u32_e32 v9, 28, v5
	v_lshlrev_b64 v[8:9], v9, v[7:8]
	v_sub_u32_e32 v5, 29, v5
	v_and_b32_e32 v8, 7, v8
	v_cndmask_b32_e32 v5, v12, v5, vcc
	v_bfrev_b32_e32 v6, 60
	v_cndmask_b32_e32 v7, v7, v8, vcc
	v_lshlrev_b32_e32 v4, 16, v4
	v_lshl_add_u32 v5, v5, 23, v6
	v_and_or_b32 v4, v4, s44, v5
	v_lshlrev_b32_e32 v5, 20, v7
	v_or_b32_e32 v5, v4, v5
	v_mov_b32_e32 v4, v24
	buffer_store_dword v4, off, s[0:3], s32 offset:636 ; 4-byte Folded Spill
	s_nop 0
	buffer_store_dword v5, off, s[0:3], s32 offset:640 ; 4-byte Folded Spill
.LBB206_387:                            ;   in Loop: Header=BB206_12 Depth=1
	s_or_b64 exec, exec, s[40:41]
.LBB206_388:                            ;   in Loop: Header=BB206_12 Depth=1
	s_or_b64 exec, exec, s[28:29]
.LBB206_389:                            ;   in Loop: Header=BB206_12 Depth=1
	s_or_b64 exec, exec, s[26:27]
	flat_load_ushort v3, v[2:3] offset:3596
	s_waitcnt vmcnt(0) lgkmcnt(0)
	v_and_b32_e32 v2, 0xffff, v3
	v_cmp_ne_u16_sdwa s[28:29], v3, v24 src0_sel:BYTE_0 src1_sel:DWORD
	v_mov_b32_e32 v3, 0
	v_mov_b32_e32 v4, 0
	buffer_store_dword v3, off, s[0:3], s32 offset:652 ; 4-byte Folded Spill
	s_nop 0
	buffer_store_dword v4, off, s[0:3], s32 offset:656 ; 4-byte Folded Spill
	v_mov_b32_e32 v3, 0
	v_mov_b32_e32 v4, 0
	buffer_store_dword v3, off, s[0:3], s32 offset:644 ; 4-byte Folded Spill
	s_nop 0
	buffer_store_dword v4, off, s[0:3], s32 offset:648 ; 4-byte Folded Spill
	s_and_saveexec_b64 s[26:27], s[28:29]
	s_cbranch_execz .LBB206_395
; %bb.390:                              ;   in Loop: Header=BB206_12 Depth=1
	v_bfrev_b32_e32 v3, 1
	v_mov_b32_e32 v4, 0
	v_cmp_ne_u16_sdwa s[40:41], v2, s42 src0_sel:BYTE_0 src1_sel:DWORD
	buffer_store_dword v3, off, s[0:3], s32 offset:644 ; 4-byte Folded Spill
	s_nop 0
	buffer_store_dword v4, off, s[0:3], s32 offset:648 ; 4-byte Folded Spill
	s_and_saveexec_b64 s[28:29], s[40:41]
	s_cbranch_execz .LBB206_394
; %bb.391:                              ;   in Loop: Header=BB206_12 Depth=1
	v_and_b32_e32 v3, 0x7f, v2
	v_mov_b32_e32 v4, 0x7f800001
	v_mov_b32_e32 v5, 0
	v_cmp_ne_u32_e32 vcc, s43, v3
	buffer_store_dword v4, off, s[0:3], s32 offset:644 ; 4-byte Folded Spill
	s_nop 0
	buffer_store_dword v5, off, s[0:3], s32 offset:648 ; 4-byte Folded Spill
	s_and_saveexec_b64 s[40:41], vcc
	s_cbranch_execz .LBB206_393
; %bb.392:                              ;   in Loop: Header=BB206_12 Depth=1
	v_and_b32_e32 v5, 7, v2
	v_lshrrev_b32_e32 v7, 3, v3
	v_cmp_gt_u32_e32 vcc, 8, v3
	v_ffbh_u32_e32 v3, v5
	v_min_u32_e32 v8, 32, v3
	v_subrev_u32_e32 v3, 28, v8
	v_lshlrev_b64 v[3:4], v3, v[2:3]
	v_sub_u32_e32 v4, 29, v8
	v_and_b32_e32 v3, 7, v3
	v_cndmask_b32_e32 v4, v7, v4, vcc
	v_cndmask_b32_e32 v3, v5, v3, vcc
	v_bfrev_b32_e32 v6, 60
	v_lshlrev_b32_e32 v3, 20, v3
	v_and_b32_sdwa v5, sext(v2), s44 dst_sel:DWORD dst_unused:UNUSED_PAD src0_sel:BYTE_0 src1_sel:DWORD
	v_lshl_add_u32 v4, v4, 23, v6
	v_or3_b32 v3, v5, v4, v3
	v_mov_b32_e32 v4, v24
	buffer_store_dword v3, off, s[0:3], s32 offset:644 ; 4-byte Folded Spill
	s_nop 0
	buffer_store_dword v4, off, s[0:3], s32 offset:648 ; 4-byte Folded Spill
.LBB206_393:                            ;   in Loop: Header=BB206_12 Depth=1
	s_or_b64 exec, exec, s[40:41]
.LBB206_394:                            ;   in Loop: Header=BB206_12 Depth=1
	s_or_b64 exec, exec, s[28:29]
.LBB206_395:                            ;   in Loop: Header=BB206_12 Depth=1
	s_or_b64 exec, exec, s[26:27]
	v_cmp_ne_u16_sdwa s[28:29], v2, v24 src0_sel:BYTE_1 src1_sel:DWORD
	s_and_saveexec_b64 s[26:27], s[28:29]
	s_cbranch_execz .LBB206_401
; %bb.396:                              ;   in Loop: Header=BB206_12 Depth=1
	v_cmp_ne_u16_sdwa s[40:41], v2, s42 src0_sel:BYTE_1 src1_sel:DWORD
	buffer_store_dword v24, off, s[0:3], s32 offset:652 ; 4-byte Folded Spill
	s_nop 0
	buffer_store_dword v25, off, s[0:3], s32 offset:656 ; 4-byte Folded Spill
	s_and_saveexec_b64 s[28:29], s[40:41]
	s_cbranch_execz .LBB206_400
; %bb.397:                              ;   in Loop: Header=BB206_12 Depth=1
	buffer_load_dword v4, off, s[0:3], s32 offset:64 ; 4-byte Folded Reload
	buffer_load_dword v5, off, s[0:3], s32 offset:68 ; 4-byte Folded Reload
	v_and_b32_sdwa v3, v2, s43 dst_sel:DWORD dst_unused:UNUSED_PAD src0_sel:BYTE_1 src1_sel:DWORD
	v_cmp_ne_u32_e32 vcc, s43, v3
	s_waitcnt vmcnt(1)
	v_mov_b32_e32 v4, v24
	s_waitcnt vmcnt(0)
	v_mov_b32_e32 v6, v5
	buffer_store_dword v5, off, s[0:3], s32 offset:64 ; 4-byte Folded Spill
	s_nop 0
	buffer_store_dword v6, off, s[0:3], s32 offset:68 ; 4-byte Folded Spill
	buffer_store_dword v4, off, s[0:3], s32 offset:652 ; 4-byte Folded Spill
	s_nop 0
	buffer_store_dword v5, off, s[0:3], s32 offset:656 ; 4-byte Folded Spill
	s_and_saveexec_b64 s[40:41], vcc
	s_cbranch_execz .LBB206_399
; %bb.398:                              ;   in Loop: Header=BB206_12 Depth=1
	v_mov_b32_e32 v4, 7
	v_and_b32_sdwa v4, v2, v4 dst_sel:DWORD dst_unused:UNUSED_PAD src0_sel:BYTE_1 src1_sel:DWORD
	v_lshrrev_b32_e32 v9, 3, v3
	v_cmp_gt_u32_e32 vcc, 8, v3
	v_ffbh_u32_e32 v3, v4
	v_min_u32_e32 v3, 32, v3
	v_mov_b32_e32 v5, v24
	v_subrev_u32_e32 v7, 28, v3
	v_lshlrev_b64 v[7:8], v7, v[4:5]
	v_sub_u32_e32 v3, 29, v3
	v_and_b32_e32 v5, 7, v7
	v_cndmask_b32_e32 v3, v9, v3, vcc
	v_cndmask_b32_e32 v4, v4, v5, vcc
	v_bfrev_b32_e32 v5, 60
	v_lshlrev_b32_e32 v2, 16, v2
	v_lshl_add_u32 v3, v3, 23, v5
	v_and_or_b32 v2, v2, s44, v3
	v_lshlrev_b32_e32 v3, 20, v4
	v_or_b32_e32 v3, v2, v3
	v_mov_b32_e32 v2, v24
	buffer_store_dword v2, off, s[0:3], s32 offset:652 ; 4-byte Folded Spill
	s_nop 0
	buffer_store_dword v3, off, s[0:3], s32 offset:656 ; 4-byte Folded Spill
.LBB206_399:                            ;   in Loop: Header=BB206_12 Depth=1
	s_or_b64 exec, exec, s[40:41]
.LBB206_400:                            ;   in Loop: Header=BB206_12 Depth=1
	s_or_b64 exec, exec, s[28:29]
.LBB206_401:                            ;   in Loop: Header=BB206_12 Depth=1
	s_or_b64 exec, exec, s[26:27]
	buffer_load_dword v2, off, s[0:3], s32 offset:76 ; 4-byte Folded Reload
	v_add_co_u32_e32 v3, vcc, 0x1000, v0
	v_addc_co_u32_e32 v4, vcc, 0, v1, vcc
	s_waitcnt vmcnt(0)
	v_add_co_u32_e32 v7, vcc, v3, v2
	v_addc_co_u32_e32 v8, vcc, 0, v4, vcc
	flat_load_ushort v5, v[7:8]
	s_waitcnt vmcnt(0) lgkmcnt(0)
	v_and_b32_e32 v2, 0xffff, v5
	v_cmp_ne_u16_sdwa s[28:29], v5, v24 src0_sel:BYTE_0 src1_sel:DWORD
	v_mov_b32_e32 v5, 0
	v_mov_b32_e32 v6, 0
	buffer_store_dword v5, off, s[0:3], s32 offset:668 ; 4-byte Folded Spill
	s_nop 0
	buffer_store_dword v6, off, s[0:3], s32 offset:672 ; 4-byte Folded Spill
	v_mov_b32_e32 v5, 0
	v_mov_b32_e32 v6, 0
	buffer_store_dword v5, off, s[0:3], s32 offset:660 ; 4-byte Folded Spill
	s_nop 0
	buffer_store_dword v6, off, s[0:3], s32 offset:664 ; 4-byte Folded Spill
	s_and_saveexec_b64 s[26:27], s[28:29]
	s_cbranch_execz .LBB206_407
; %bb.402:                              ;   in Loop: Header=BB206_12 Depth=1
	v_bfrev_b32_e32 v5, 1
	v_mov_b32_e32 v6, 0
	v_cmp_ne_u16_sdwa s[40:41], v2, s42 src0_sel:BYTE_0 src1_sel:DWORD
	buffer_store_dword v5, off, s[0:3], s32 offset:660 ; 4-byte Folded Spill
	s_nop 0
	buffer_store_dword v6, off, s[0:3], s32 offset:664 ; 4-byte Folded Spill
	s_and_saveexec_b64 s[28:29], s[40:41]
	s_cbranch_execz .LBB206_406
; %bb.403:                              ;   in Loop: Header=BB206_12 Depth=1
	v_and_b32_e32 v5, 0x7f, v2
	v_mov_b32_e32 v6, 0x7f800001
	v_mov_b32_e32 v7, 0
	v_cmp_ne_u32_e32 vcc, s43, v5
	buffer_store_dword v6, off, s[0:3], s32 offset:660 ; 4-byte Folded Spill
	s_nop 0
	buffer_store_dword v7, off, s[0:3], s32 offset:664 ; 4-byte Folded Spill
	s_and_saveexec_b64 s[40:41], vcc
	s_cbranch_execz .LBB206_405
; %bb.404:                              ;   in Loop: Header=BB206_12 Depth=1
	v_and_b32_e32 v9, 7, v2
	v_lshrrev_b32_e32 v12, 3, v5
	v_cmp_gt_u32_e32 vcc, 8, v5
	v_ffbh_u32_e32 v5, v9
	v_min_u32_e32 v5, 32, v5
	v_subrev_u32_e32 v7, 28, v5
	v_lshlrev_b64 v[7:8], v7, v[2:3]
	v_sub_u32_e32 v5, 29, v5
	v_and_b32_e32 v7, 7, v7
	v_cndmask_b32_e32 v5, v12, v5, vcc
	v_cndmask_b32_e32 v7, v9, v7, vcc
	v_bfrev_b32_e32 v6, 60
	v_lshlrev_b32_e32 v7, 20, v7
	v_and_b32_sdwa v8, sext(v2), s44 dst_sel:DWORD dst_unused:UNUSED_PAD src0_sel:BYTE_0 src1_sel:DWORD
	v_lshl_add_u32 v5, v5, 23, v6
	v_or3_b32 v5, v8, v5, v7
	v_mov_b32_e32 v6, v24
	buffer_store_dword v5, off, s[0:3], s32 offset:660 ; 4-byte Folded Spill
	s_nop 0
	buffer_store_dword v6, off, s[0:3], s32 offset:664 ; 4-byte Folded Spill
.LBB206_405:                            ;   in Loop: Header=BB206_12 Depth=1
	s_or_b64 exec, exec, s[40:41]
.LBB206_406:                            ;   in Loop: Header=BB206_12 Depth=1
	s_or_b64 exec, exec, s[28:29]
.LBB206_407:                            ;   in Loop: Header=BB206_12 Depth=1
	s_or_b64 exec, exec, s[26:27]
	v_cmp_ne_u16_sdwa s[28:29], v2, v24 src0_sel:BYTE_1 src1_sel:DWORD
	s_and_saveexec_b64 s[26:27], s[28:29]
	s_cbranch_execz .LBB206_413
; %bb.408:                              ;   in Loop: Header=BB206_12 Depth=1
	v_cmp_ne_u16_sdwa s[40:41], v2, s42 src0_sel:BYTE_1 src1_sel:DWORD
	buffer_store_dword v24, off, s[0:3], s32 offset:668 ; 4-byte Folded Spill
	s_nop 0
	buffer_store_dword v25, off, s[0:3], s32 offset:672 ; 4-byte Folded Spill
	s_and_saveexec_b64 s[28:29], s[40:41]
	s_cbranch_execz .LBB206_412
; %bb.409:                              ;   in Loop: Header=BB206_12 Depth=1
	buffer_load_dword v6, off, s[0:3], s32 offset:64 ; 4-byte Folded Reload
	buffer_load_dword v7, off, s[0:3], s32 offset:68 ; 4-byte Folded Reload
	v_and_b32_sdwa v5, v2, s43 dst_sel:DWORD dst_unused:UNUSED_PAD src0_sel:BYTE_1 src1_sel:DWORD
	v_cmp_ne_u32_e32 vcc, s43, v5
	s_waitcnt vmcnt(1)
	v_mov_b32_e32 v6, v24
	s_waitcnt vmcnt(0)
	v_mov_b32_e32 v8, v7
	buffer_store_dword v7, off, s[0:3], s32 offset:64 ; 4-byte Folded Spill
	s_nop 0
	buffer_store_dword v8, off, s[0:3], s32 offset:68 ; 4-byte Folded Spill
	buffer_store_dword v6, off, s[0:3], s32 offset:668 ; 4-byte Folded Spill
	s_nop 0
	buffer_store_dword v7, off, s[0:3], s32 offset:672 ; 4-byte Folded Spill
	s_and_saveexec_b64 s[40:41], vcc
	s_cbranch_execz .LBB206_411
; %bb.410:                              ;   in Loop: Header=BB206_12 Depth=1
	v_mov_b32_e32 v6, 7
	v_and_b32_sdwa v7, v2, v6 dst_sel:DWORD dst_unused:UNUSED_PAD src0_sel:BYTE_1 src1_sel:DWORD
	v_lshrrev_b32_e32 v12, 3, v5
	v_cmp_gt_u32_e32 vcc, 8, v5
	v_ffbh_u32_e32 v5, v7
	v_min_u32_e32 v5, 32, v5
	v_mov_b32_e32 v8, v24
	v_subrev_u32_e32 v9, 28, v5
	v_lshlrev_b64 v[8:9], v9, v[7:8]
	v_sub_u32_e32 v5, 29, v5
	v_and_b32_e32 v8, 7, v8
	v_cndmask_b32_e32 v5, v12, v5, vcc
	v_bfrev_b32_e32 v6, 60
	v_cndmask_b32_e32 v7, v7, v8, vcc
	v_lshlrev_b32_e32 v2, 16, v2
	v_lshl_add_u32 v5, v5, 23, v6
	v_and_or_b32 v2, v2, s44, v5
	v_lshlrev_b32_e32 v5, 20, v7
	v_or_b32_e32 v6, v2, v5
	v_mov_b32_e32 v5, v24
	buffer_store_dword v5, off, s[0:3], s32 offset:668 ; 4-byte Folded Spill
	s_nop 0
	buffer_store_dword v6, off, s[0:3], s32 offset:672 ; 4-byte Folded Spill
.LBB206_411:                            ;   in Loop: Header=BB206_12 Depth=1
	s_or_b64 exec, exec, s[40:41]
.LBB206_412:                            ;   in Loop: Header=BB206_12 Depth=1
	s_or_b64 exec, exec, s[28:29]
.LBB206_413:                            ;   in Loop: Header=BB206_12 Depth=1
	s_or_b64 exec, exec, s[26:27]
	buffer_load_dword v2, off, s[0:3], s32 offset:80 ; 4-byte Folded Reload
	s_waitcnt vmcnt(0)
	v_add_co_u32_e32 v7, vcc, v3, v2
	v_addc_co_u32_e32 v8, vcc, 0, v4, vcc
	flat_load_ushort v5, v[7:8]
	s_waitcnt vmcnt(0) lgkmcnt(0)
	v_and_b32_e32 v2, 0xffff, v5
	v_cmp_ne_u16_sdwa s[28:29], v5, v24 src0_sel:BYTE_0 src1_sel:DWORD
	v_mov_b32_e32 v5, 0
	v_mov_b32_e32 v6, 0
	buffer_store_dword v5, off, s[0:3], s32 offset:684 ; 4-byte Folded Spill
	s_nop 0
	buffer_store_dword v6, off, s[0:3], s32 offset:688 ; 4-byte Folded Spill
	v_mov_b32_e32 v5, 0
	v_mov_b32_e32 v6, 0
	buffer_store_dword v5, off, s[0:3], s32 offset:676 ; 4-byte Folded Spill
	s_nop 0
	buffer_store_dword v6, off, s[0:3], s32 offset:680 ; 4-byte Folded Spill
	s_and_saveexec_b64 s[26:27], s[28:29]
	s_cbranch_execz .LBB206_419
; %bb.414:                              ;   in Loop: Header=BB206_12 Depth=1
	v_bfrev_b32_e32 v5, 1
	v_mov_b32_e32 v6, 0
	v_cmp_ne_u16_sdwa s[40:41], v2, s42 src0_sel:BYTE_0 src1_sel:DWORD
	buffer_store_dword v5, off, s[0:3], s32 offset:676 ; 4-byte Folded Spill
	s_nop 0
	buffer_store_dword v6, off, s[0:3], s32 offset:680 ; 4-byte Folded Spill
	s_and_saveexec_b64 s[28:29], s[40:41]
	s_cbranch_execz .LBB206_418
; %bb.415:                              ;   in Loop: Header=BB206_12 Depth=1
	v_and_b32_e32 v5, 0x7f, v2
	v_mov_b32_e32 v6, 0x7f800001
	v_mov_b32_e32 v7, 0
	v_cmp_ne_u32_e32 vcc, s43, v5
	buffer_store_dword v6, off, s[0:3], s32 offset:676 ; 4-byte Folded Spill
	s_nop 0
	buffer_store_dword v7, off, s[0:3], s32 offset:680 ; 4-byte Folded Spill
	s_and_saveexec_b64 s[40:41], vcc
	s_cbranch_execz .LBB206_417
; %bb.416:                              ;   in Loop: Header=BB206_12 Depth=1
	v_and_b32_e32 v9, 7, v2
	v_lshrrev_b32_e32 v12, 3, v5
	v_cmp_gt_u32_e32 vcc, 8, v5
	v_ffbh_u32_e32 v5, v9
	v_min_u32_e32 v5, 32, v5
	v_subrev_u32_e32 v7, 28, v5
	v_lshlrev_b64 v[7:8], v7, v[2:3]
	v_sub_u32_e32 v5, 29, v5
	v_and_b32_e32 v7, 7, v7
	v_cndmask_b32_e32 v5, v12, v5, vcc
	v_cndmask_b32_e32 v7, v9, v7, vcc
	v_bfrev_b32_e32 v6, 60
	v_lshlrev_b32_e32 v7, 20, v7
	v_and_b32_sdwa v8, sext(v2), s44 dst_sel:DWORD dst_unused:UNUSED_PAD src0_sel:BYTE_0 src1_sel:DWORD
	v_lshl_add_u32 v5, v5, 23, v6
	v_or3_b32 v5, v8, v5, v7
	v_mov_b32_e32 v6, v24
	buffer_store_dword v5, off, s[0:3], s32 offset:676 ; 4-byte Folded Spill
	s_nop 0
	buffer_store_dword v6, off, s[0:3], s32 offset:680 ; 4-byte Folded Spill
.LBB206_417:                            ;   in Loop: Header=BB206_12 Depth=1
	s_or_b64 exec, exec, s[40:41]
.LBB206_418:                            ;   in Loop: Header=BB206_12 Depth=1
	s_or_b64 exec, exec, s[28:29]
.LBB206_419:                            ;   in Loop: Header=BB206_12 Depth=1
	s_or_b64 exec, exec, s[26:27]
	v_cmp_ne_u16_sdwa s[28:29], v2, v24 src0_sel:BYTE_1 src1_sel:DWORD
	s_and_saveexec_b64 s[26:27], s[28:29]
	s_cbranch_execz .LBB206_425
; %bb.420:                              ;   in Loop: Header=BB206_12 Depth=1
	v_cmp_ne_u16_sdwa s[40:41], v2, s42 src0_sel:BYTE_1 src1_sel:DWORD
	buffer_store_dword v24, off, s[0:3], s32 offset:684 ; 4-byte Folded Spill
	s_nop 0
	buffer_store_dword v25, off, s[0:3], s32 offset:688 ; 4-byte Folded Spill
	s_and_saveexec_b64 s[28:29], s[40:41]
	s_cbranch_execz .LBB206_424
; %bb.421:                              ;   in Loop: Header=BB206_12 Depth=1
	buffer_load_dword v6, off, s[0:3], s32 offset:64 ; 4-byte Folded Reload
	buffer_load_dword v7, off, s[0:3], s32 offset:68 ; 4-byte Folded Reload
	v_and_b32_sdwa v5, v2, s43 dst_sel:DWORD dst_unused:UNUSED_PAD src0_sel:BYTE_1 src1_sel:DWORD
	v_cmp_ne_u32_e32 vcc, s43, v5
	s_waitcnt vmcnt(1)
	v_mov_b32_e32 v6, v24
	s_waitcnt vmcnt(0)
	v_mov_b32_e32 v8, v7
	buffer_store_dword v7, off, s[0:3], s32 offset:64 ; 4-byte Folded Spill
	s_nop 0
	buffer_store_dword v8, off, s[0:3], s32 offset:68 ; 4-byte Folded Spill
	buffer_store_dword v6, off, s[0:3], s32 offset:684 ; 4-byte Folded Spill
	s_nop 0
	buffer_store_dword v7, off, s[0:3], s32 offset:688 ; 4-byte Folded Spill
	s_and_saveexec_b64 s[40:41], vcc
	s_cbranch_execz .LBB206_423
; %bb.422:                              ;   in Loop: Header=BB206_12 Depth=1
	v_mov_b32_e32 v6, 7
	v_and_b32_sdwa v7, v2, v6 dst_sel:DWORD dst_unused:UNUSED_PAD src0_sel:BYTE_1 src1_sel:DWORD
	v_lshrrev_b32_e32 v12, 3, v5
	v_cmp_gt_u32_e32 vcc, 8, v5
	v_ffbh_u32_e32 v5, v7
	v_min_u32_e32 v5, 32, v5
	v_mov_b32_e32 v8, v24
	v_subrev_u32_e32 v9, 28, v5
	v_lshlrev_b64 v[8:9], v9, v[7:8]
	v_sub_u32_e32 v5, 29, v5
	v_and_b32_e32 v8, 7, v8
	v_cndmask_b32_e32 v5, v12, v5, vcc
	v_bfrev_b32_e32 v6, 60
	v_cndmask_b32_e32 v7, v7, v8, vcc
	v_lshlrev_b32_e32 v2, 16, v2
	v_lshl_add_u32 v5, v5, 23, v6
	v_and_or_b32 v2, v2, s44, v5
	v_lshlrev_b32_e32 v5, 20, v7
	v_or_b32_e32 v6, v2, v5
	v_mov_b32_e32 v5, v24
	buffer_store_dword v5, off, s[0:3], s32 offset:684 ; 4-byte Folded Spill
	s_nop 0
	buffer_store_dword v6, off, s[0:3], s32 offset:688 ; 4-byte Folded Spill
.LBB206_423:                            ;   in Loop: Header=BB206_12 Depth=1
	s_or_b64 exec, exec, s[40:41]
.LBB206_424:                            ;   in Loop: Header=BB206_12 Depth=1
	s_or_b64 exec, exec, s[28:29]
.LBB206_425:                            ;   in Loop: Header=BB206_12 Depth=1
	s_or_b64 exec, exec, s[26:27]
	buffer_load_dword v2, off, s[0:3], s32 offset:84 ; 4-byte Folded Reload
	s_waitcnt vmcnt(0)
	v_add_co_u32_e32 v7, vcc, v3, v2
	v_addc_co_u32_e32 v8, vcc, 0, v4, vcc
	flat_load_ushort v5, v[7:8]
	s_waitcnt vmcnt(0) lgkmcnt(0)
	v_and_b32_e32 v2, 0xffff, v5
	v_cmp_ne_u16_sdwa s[28:29], v5, v24 src0_sel:BYTE_0 src1_sel:DWORD
	v_mov_b32_e32 v5, 0
	v_mov_b32_e32 v6, 0
	buffer_store_dword v5, off, s[0:3], s32 offset:700 ; 4-byte Folded Spill
	s_nop 0
	buffer_store_dword v6, off, s[0:3], s32 offset:704 ; 4-byte Folded Spill
	v_mov_b32_e32 v5, 0
	v_mov_b32_e32 v6, 0
	buffer_store_dword v5, off, s[0:3], s32 offset:692 ; 4-byte Folded Spill
	s_nop 0
	buffer_store_dword v6, off, s[0:3], s32 offset:696 ; 4-byte Folded Spill
	s_and_saveexec_b64 s[26:27], s[28:29]
	s_cbranch_execz .LBB206_431
; %bb.426:                              ;   in Loop: Header=BB206_12 Depth=1
	v_bfrev_b32_e32 v5, 1
	v_mov_b32_e32 v6, 0
	v_cmp_ne_u16_sdwa s[40:41], v2, s42 src0_sel:BYTE_0 src1_sel:DWORD
	buffer_store_dword v5, off, s[0:3], s32 offset:692 ; 4-byte Folded Spill
	s_nop 0
	buffer_store_dword v6, off, s[0:3], s32 offset:696 ; 4-byte Folded Spill
	s_and_saveexec_b64 s[28:29], s[40:41]
	s_cbranch_execz .LBB206_430
; %bb.427:                              ;   in Loop: Header=BB206_12 Depth=1
	v_and_b32_e32 v5, 0x7f, v2
	v_mov_b32_e32 v6, 0x7f800001
	v_mov_b32_e32 v7, 0
	v_cmp_ne_u32_e32 vcc, s43, v5
	buffer_store_dword v6, off, s[0:3], s32 offset:692 ; 4-byte Folded Spill
	s_nop 0
	buffer_store_dword v7, off, s[0:3], s32 offset:696 ; 4-byte Folded Spill
	s_and_saveexec_b64 s[40:41], vcc
	s_cbranch_execz .LBB206_429
; %bb.428:                              ;   in Loop: Header=BB206_12 Depth=1
	v_and_b32_e32 v9, 7, v2
	v_lshrrev_b32_e32 v12, 3, v5
	v_cmp_gt_u32_e32 vcc, 8, v5
	v_ffbh_u32_e32 v5, v9
	v_min_u32_e32 v5, 32, v5
	v_subrev_u32_e32 v7, 28, v5
	v_lshlrev_b64 v[7:8], v7, v[2:3]
	v_sub_u32_e32 v5, 29, v5
	v_and_b32_e32 v7, 7, v7
	v_cndmask_b32_e32 v5, v12, v5, vcc
	v_cndmask_b32_e32 v7, v9, v7, vcc
	v_bfrev_b32_e32 v6, 60
	v_lshlrev_b32_e32 v7, 20, v7
	v_and_b32_sdwa v8, sext(v2), s44 dst_sel:DWORD dst_unused:UNUSED_PAD src0_sel:BYTE_0 src1_sel:DWORD
	v_lshl_add_u32 v5, v5, 23, v6
	v_or3_b32 v5, v8, v5, v7
	v_mov_b32_e32 v6, v24
	buffer_store_dword v5, off, s[0:3], s32 offset:692 ; 4-byte Folded Spill
	s_nop 0
	buffer_store_dword v6, off, s[0:3], s32 offset:696 ; 4-byte Folded Spill
.LBB206_429:                            ;   in Loop: Header=BB206_12 Depth=1
	s_or_b64 exec, exec, s[40:41]
.LBB206_430:                            ;   in Loop: Header=BB206_12 Depth=1
	s_or_b64 exec, exec, s[28:29]
.LBB206_431:                            ;   in Loop: Header=BB206_12 Depth=1
	s_or_b64 exec, exec, s[26:27]
	v_cmp_ne_u16_sdwa s[28:29], v2, v24 src0_sel:BYTE_1 src1_sel:DWORD
	s_and_saveexec_b64 s[26:27], s[28:29]
	s_cbranch_execz .LBB206_437
; %bb.432:                              ;   in Loop: Header=BB206_12 Depth=1
	v_cmp_ne_u16_sdwa s[40:41], v2, s42 src0_sel:BYTE_1 src1_sel:DWORD
	buffer_store_dword v24, off, s[0:3], s32 offset:700 ; 4-byte Folded Spill
	s_nop 0
	buffer_store_dword v25, off, s[0:3], s32 offset:704 ; 4-byte Folded Spill
	s_and_saveexec_b64 s[28:29], s[40:41]
	s_cbranch_execz .LBB206_436
; %bb.433:                              ;   in Loop: Header=BB206_12 Depth=1
	buffer_load_dword v6, off, s[0:3], s32 offset:64 ; 4-byte Folded Reload
	buffer_load_dword v7, off, s[0:3], s32 offset:68 ; 4-byte Folded Reload
	v_and_b32_sdwa v5, v2, s43 dst_sel:DWORD dst_unused:UNUSED_PAD src0_sel:BYTE_1 src1_sel:DWORD
	v_cmp_ne_u32_e32 vcc, s43, v5
	s_waitcnt vmcnt(1)
	v_mov_b32_e32 v6, v24
	s_waitcnt vmcnt(0)
	v_mov_b32_e32 v8, v7
	buffer_store_dword v7, off, s[0:3], s32 offset:64 ; 4-byte Folded Spill
	s_nop 0
	buffer_store_dword v8, off, s[0:3], s32 offset:68 ; 4-byte Folded Spill
	buffer_store_dword v6, off, s[0:3], s32 offset:700 ; 4-byte Folded Spill
	s_nop 0
	buffer_store_dword v7, off, s[0:3], s32 offset:704 ; 4-byte Folded Spill
	s_and_saveexec_b64 s[40:41], vcc
	s_cbranch_execz .LBB206_435
; %bb.434:                              ;   in Loop: Header=BB206_12 Depth=1
	v_mov_b32_e32 v6, 7
	v_and_b32_sdwa v7, v2, v6 dst_sel:DWORD dst_unused:UNUSED_PAD src0_sel:BYTE_1 src1_sel:DWORD
	v_lshrrev_b32_e32 v12, 3, v5
	v_cmp_gt_u32_e32 vcc, 8, v5
	v_ffbh_u32_e32 v5, v7
	v_min_u32_e32 v5, 32, v5
	v_mov_b32_e32 v8, v24
	v_subrev_u32_e32 v9, 28, v5
	v_lshlrev_b64 v[8:9], v9, v[7:8]
	v_sub_u32_e32 v5, 29, v5
	v_and_b32_e32 v8, 7, v8
	v_cndmask_b32_e32 v5, v12, v5, vcc
	v_bfrev_b32_e32 v6, 60
	v_cndmask_b32_e32 v7, v7, v8, vcc
	v_lshlrev_b32_e32 v2, 16, v2
	v_lshl_add_u32 v5, v5, 23, v6
	v_and_or_b32 v2, v2, s44, v5
	v_lshlrev_b32_e32 v5, 20, v7
	v_or_b32_e32 v6, v2, v5
	v_mov_b32_e32 v5, v24
	buffer_store_dword v5, off, s[0:3], s32 offset:700 ; 4-byte Folded Spill
	s_nop 0
	buffer_store_dword v6, off, s[0:3], s32 offset:704 ; 4-byte Folded Spill
.LBB206_435:                            ;   in Loop: Header=BB206_12 Depth=1
	s_or_b64 exec, exec, s[40:41]
.LBB206_436:                            ;   in Loop: Header=BB206_12 Depth=1
	s_or_b64 exec, exec, s[28:29]
.LBB206_437:                            ;   in Loop: Header=BB206_12 Depth=1
	s_or_b64 exec, exec, s[26:27]
	buffer_load_dword v2, off, s[0:3], s32 offset:88 ; 4-byte Folded Reload
	s_waitcnt vmcnt(0)
	v_add_co_u32_e32 v2, vcc, v3, v2
	v_addc_co_u32_e32 v3, vcc, 0, v4, vcc
	flat_load_ushort v3, v[2:3]
	s_waitcnt vmcnt(0) lgkmcnt(0)
	v_and_b32_e32 v2, 0xffff, v3
	v_cmp_ne_u16_sdwa s[28:29], v3, v24 src0_sel:BYTE_0 src1_sel:DWORD
	v_mov_b32_e32 v3, 0
	v_mov_b32_e32 v4, 0
	buffer_store_dword v3, off, s[0:3], s32 offset:716 ; 4-byte Folded Spill
	s_nop 0
	buffer_store_dword v4, off, s[0:3], s32 offset:720 ; 4-byte Folded Spill
	v_mov_b32_e32 v3, 0
	v_mov_b32_e32 v4, 0
	buffer_store_dword v3, off, s[0:3], s32 offset:708 ; 4-byte Folded Spill
	s_nop 0
	buffer_store_dword v4, off, s[0:3], s32 offset:712 ; 4-byte Folded Spill
	s_and_saveexec_b64 s[26:27], s[28:29]
	s_cbranch_execz .LBB206_443
; %bb.438:                              ;   in Loop: Header=BB206_12 Depth=1
	v_bfrev_b32_e32 v3, 1
	v_mov_b32_e32 v4, 0
	v_cmp_ne_u16_sdwa s[40:41], v2, s42 src0_sel:BYTE_0 src1_sel:DWORD
	buffer_store_dword v3, off, s[0:3], s32 offset:708 ; 4-byte Folded Spill
	s_nop 0
	buffer_store_dword v4, off, s[0:3], s32 offset:712 ; 4-byte Folded Spill
	s_and_saveexec_b64 s[28:29], s[40:41]
	s_cbranch_execz .LBB206_442
; %bb.439:                              ;   in Loop: Header=BB206_12 Depth=1
	v_and_b32_e32 v3, 0x7f, v2
	v_mov_b32_e32 v4, 0x7f800001
	v_mov_b32_e32 v5, 0
	v_cmp_ne_u32_e32 vcc, s43, v3
	buffer_store_dword v4, off, s[0:3], s32 offset:708 ; 4-byte Folded Spill
	s_nop 0
	buffer_store_dword v5, off, s[0:3], s32 offset:712 ; 4-byte Folded Spill
	s_and_saveexec_b64 s[40:41], vcc
	s_cbranch_execz .LBB206_441
; %bb.440:                              ;   in Loop: Header=BB206_12 Depth=1
	v_and_b32_e32 v5, 7, v2
	v_lshrrev_b32_e32 v7, 3, v3
	v_cmp_gt_u32_e32 vcc, 8, v3
	v_ffbh_u32_e32 v3, v5
	v_min_u32_e32 v8, 32, v3
	v_subrev_u32_e32 v3, 28, v8
	v_lshlrev_b64 v[3:4], v3, v[2:3]
	v_sub_u32_e32 v4, 29, v8
	v_and_b32_e32 v3, 7, v3
	v_cndmask_b32_e32 v4, v7, v4, vcc
	v_cndmask_b32_e32 v3, v5, v3, vcc
	v_bfrev_b32_e32 v6, 60
	v_lshlrev_b32_e32 v3, 20, v3
	v_and_b32_sdwa v5, sext(v2), s44 dst_sel:DWORD dst_unused:UNUSED_PAD src0_sel:BYTE_0 src1_sel:DWORD
	v_lshl_add_u32 v4, v4, 23, v6
	v_or3_b32 v3, v5, v4, v3
	v_mov_b32_e32 v4, v24
	buffer_store_dword v3, off, s[0:3], s32 offset:708 ; 4-byte Folded Spill
	s_nop 0
	buffer_store_dword v4, off, s[0:3], s32 offset:712 ; 4-byte Folded Spill
.LBB206_441:                            ;   in Loop: Header=BB206_12 Depth=1
	s_or_b64 exec, exec, s[40:41]
.LBB206_442:                            ;   in Loop: Header=BB206_12 Depth=1
	s_or_b64 exec, exec, s[28:29]
.LBB206_443:                            ;   in Loop: Header=BB206_12 Depth=1
	s_or_b64 exec, exec, s[26:27]
	v_cmp_ne_u16_sdwa s[28:29], v2, v24 src0_sel:BYTE_1 src1_sel:DWORD
	s_and_saveexec_b64 s[26:27], s[28:29]
	s_cbranch_execz .LBB206_449
; %bb.444:                              ;   in Loop: Header=BB206_12 Depth=1
	v_cmp_ne_u16_sdwa s[40:41], v2, s42 src0_sel:BYTE_1 src1_sel:DWORD
	buffer_store_dword v24, off, s[0:3], s32 offset:716 ; 4-byte Folded Spill
	s_nop 0
	buffer_store_dword v25, off, s[0:3], s32 offset:720 ; 4-byte Folded Spill
	s_and_saveexec_b64 s[28:29], s[40:41]
	s_cbranch_execz .LBB206_448
; %bb.445:                              ;   in Loop: Header=BB206_12 Depth=1
	buffer_load_dword v4, off, s[0:3], s32 offset:64 ; 4-byte Folded Reload
	buffer_load_dword v5, off, s[0:3], s32 offset:68 ; 4-byte Folded Reload
	v_and_b32_sdwa v3, v2, s43 dst_sel:DWORD dst_unused:UNUSED_PAD src0_sel:BYTE_1 src1_sel:DWORD
	v_cmp_ne_u32_e32 vcc, s43, v3
	s_waitcnt vmcnt(1)
	v_mov_b32_e32 v4, v24
	s_waitcnt vmcnt(0)
	v_mov_b32_e32 v6, v5
	buffer_store_dword v5, off, s[0:3], s32 offset:64 ; 4-byte Folded Spill
	s_nop 0
	buffer_store_dword v6, off, s[0:3], s32 offset:68 ; 4-byte Folded Spill
	buffer_store_dword v4, off, s[0:3], s32 offset:716 ; 4-byte Folded Spill
	s_nop 0
	buffer_store_dword v5, off, s[0:3], s32 offset:720 ; 4-byte Folded Spill
	s_and_saveexec_b64 s[40:41], vcc
	s_cbranch_execz .LBB206_447
; %bb.446:                              ;   in Loop: Header=BB206_12 Depth=1
	v_mov_b32_e32 v4, 7
	v_and_b32_sdwa v4, v2, v4 dst_sel:DWORD dst_unused:UNUSED_PAD src0_sel:BYTE_1 src1_sel:DWORD
	v_lshrrev_b32_e32 v9, 3, v3
	v_cmp_gt_u32_e32 vcc, 8, v3
	v_ffbh_u32_e32 v3, v4
	v_min_u32_e32 v3, 32, v3
	v_mov_b32_e32 v5, v24
	v_subrev_u32_e32 v7, 28, v3
	v_lshlrev_b64 v[7:8], v7, v[4:5]
	v_sub_u32_e32 v3, 29, v3
	v_and_b32_e32 v5, 7, v7
	v_cndmask_b32_e32 v3, v9, v3, vcc
	v_cndmask_b32_e32 v4, v4, v5, vcc
	v_bfrev_b32_e32 v5, 60
	v_lshlrev_b32_e32 v2, 16, v2
	v_lshl_add_u32 v3, v3, 23, v5
	v_and_or_b32 v2, v2, s44, v3
	v_lshlrev_b32_e32 v3, 20, v4
	v_or_b32_e32 v3, v2, v3
	v_mov_b32_e32 v2, v24
	buffer_store_dword v2, off, s[0:3], s32 offset:716 ; 4-byte Folded Spill
	s_nop 0
	buffer_store_dword v3, off, s[0:3], s32 offset:720 ; 4-byte Folded Spill
.LBB206_447:                            ;   in Loop: Header=BB206_12 Depth=1
	s_or_b64 exec, exec, s[40:41]
.LBB206_448:                            ;   in Loop: Header=BB206_12 Depth=1
	s_or_b64 exec, exec, s[28:29]
.LBB206_449:                            ;   in Loop: Header=BB206_12 Depth=1
	s_or_b64 exec, exec, s[26:27]
	buffer_load_dword v2, off, s[0:3], s32 offset:76 ; 4-byte Folded Reload
	v_add_co_u32_e32 v5, vcc, 0x1200, v0
	v_addc_co_u32_e32 v7, vcc, 0, v1, vcc
	s_waitcnt vmcnt(0)
	v_add_co_u32_e32 v2, vcc, v5, v2
	v_addc_co_u32_e32 v3, vcc, 0, v7, vcc
	flat_load_ushort v3, v[2:3]
	s_waitcnt vmcnt(0) lgkmcnt(0)
	v_and_b32_e32 v2, 0xffff, v3
	v_cmp_ne_u16_sdwa s[28:29], v3, v24 src0_sel:BYTE_0 src1_sel:DWORD
	v_mov_b32_e32 v3, 0
	v_mov_b32_e32 v4, 0
	buffer_store_dword v3, off, s[0:3], s32 offset:732 ; 4-byte Folded Spill
	s_nop 0
	buffer_store_dword v4, off, s[0:3], s32 offset:736 ; 4-byte Folded Spill
	v_mov_b32_e32 v3, 0
	v_mov_b32_e32 v4, 0
	buffer_store_dword v3, off, s[0:3], s32 offset:724 ; 4-byte Folded Spill
	s_nop 0
	buffer_store_dword v4, off, s[0:3], s32 offset:728 ; 4-byte Folded Spill
	s_and_saveexec_b64 s[26:27], s[28:29]
	s_cbranch_execz .LBB206_455
; %bb.450:                              ;   in Loop: Header=BB206_12 Depth=1
	v_bfrev_b32_e32 v3, 1
	v_mov_b32_e32 v4, 0
	v_cmp_ne_u16_sdwa s[40:41], v2, s42 src0_sel:BYTE_0 src1_sel:DWORD
	buffer_store_dword v3, off, s[0:3], s32 offset:724 ; 4-byte Folded Spill
	s_nop 0
	buffer_store_dword v4, off, s[0:3], s32 offset:728 ; 4-byte Folded Spill
	s_and_saveexec_b64 s[28:29], s[40:41]
	s_cbranch_execz .LBB206_454
; %bb.451:                              ;   in Loop: Header=BB206_12 Depth=1
	v_and_b32_e32 v3, 0x7f, v2
	v_mov_b32_e32 v8, 0x7f800001
	v_mov_b32_e32 v9, 0
	v_cmp_ne_u32_e32 vcc, s43, v3
	buffer_store_dword v8, off, s[0:3], s32 offset:724 ; 4-byte Folded Spill
	s_nop 0
	buffer_store_dword v9, off, s[0:3], s32 offset:728 ; 4-byte Folded Spill
	s_and_saveexec_b64 s[40:41], vcc
	s_cbranch_execz .LBB206_453
; %bb.452:                              ;   in Loop: Header=BB206_12 Depth=1
	v_and_b32_e32 v8, 7, v2
	v_lshrrev_b32_e32 v9, 3, v3
	v_cmp_gt_u32_e32 vcc, 8, v3
	v_ffbh_u32_e32 v3, v8
	v_min_u32_e32 v12, 32, v3
	v_subrev_u32_e32 v3, 28, v12
	v_lshlrev_b64 v[3:4], v3, v[2:3]
	v_sub_u32_e32 v4, 29, v12
	v_and_b32_e32 v3, 7, v3
	v_cndmask_b32_e32 v4, v9, v4, vcc
	v_cndmask_b32_e32 v3, v8, v3, vcc
	v_bfrev_b32_e32 v6, 60
	v_lshlrev_b32_e32 v3, 20, v3
	v_and_b32_sdwa v8, sext(v2), s44 dst_sel:DWORD dst_unused:UNUSED_PAD src0_sel:BYTE_0 src1_sel:DWORD
	v_lshl_add_u32 v4, v4, 23, v6
	v_or3_b32 v3, v8, v4, v3
	v_mov_b32_e32 v4, v24
	buffer_store_dword v3, off, s[0:3], s32 offset:724 ; 4-byte Folded Spill
	s_nop 0
	buffer_store_dword v4, off, s[0:3], s32 offset:728 ; 4-byte Folded Spill
.LBB206_453:                            ;   in Loop: Header=BB206_12 Depth=1
	s_or_b64 exec, exec, s[40:41]
.LBB206_454:                            ;   in Loop: Header=BB206_12 Depth=1
	s_or_b64 exec, exec, s[28:29]
.LBB206_455:                            ;   in Loop: Header=BB206_12 Depth=1
	s_or_b64 exec, exec, s[26:27]
	v_cmp_ne_u16_sdwa s[28:29], v2, v24 src0_sel:BYTE_1 src1_sel:DWORD
	s_and_saveexec_b64 s[26:27], s[28:29]
	s_cbranch_execz .LBB206_461
; %bb.456:                              ;   in Loop: Header=BB206_12 Depth=1
	v_cmp_ne_u16_sdwa s[40:41], v2, s42 src0_sel:BYTE_1 src1_sel:DWORD
	buffer_store_dword v24, off, s[0:3], s32 offset:732 ; 4-byte Folded Spill
	s_nop 0
	buffer_store_dword v25, off, s[0:3], s32 offset:736 ; 4-byte Folded Spill
	s_and_saveexec_b64 s[28:29], s[40:41]
	s_cbranch_execz .LBB206_460
; %bb.457:                              ;   in Loop: Header=BB206_12 Depth=1
	buffer_load_dword v8, off, s[0:3], s32 offset:64 ; 4-byte Folded Reload
	buffer_load_dword v9, off, s[0:3], s32 offset:68 ; 4-byte Folded Reload
	v_and_b32_sdwa v3, v2, s43 dst_sel:DWORD dst_unused:UNUSED_PAD src0_sel:BYTE_1 src1_sel:DWORD
	v_cmp_ne_u32_e32 vcc, s43, v3
	s_waitcnt vmcnt(1)
	v_mov_b32_e32 v8, v24
	s_waitcnt vmcnt(0)
	v_mov_b32_e32 v4, v9
	buffer_store_dword v3, off, s[0:3], s32 offset:64 ; 4-byte Folded Spill
	s_nop 0
	buffer_store_dword v4, off, s[0:3], s32 offset:68 ; 4-byte Folded Spill
	buffer_store_dword v8, off, s[0:3], s32 offset:732 ; 4-byte Folded Spill
	s_nop 0
	buffer_store_dword v9, off, s[0:3], s32 offset:736 ; 4-byte Folded Spill
	s_and_saveexec_b64 s[40:41], vcc
	s_cbranch_execz .LBB206_459
; %bb.458:                              ;   in Loop: Header=BB206_12 Depth=1
	v_mov_b32_e32 v4, 7
	v_and_b32_sdwa v8, v2, v4 dst_sel:DWORD dst_unused:UNUSED_PAD src0_sel:BYTE_1 src1_sel:DWORD
	v_lshrrev_b32_e32 v12, 3, v3
	v_cmp_gt_u32_e32 vcc, 8, v3
	v_ffbh_u32_e32 v3, v8
	v_min_u32_e32 v14, 32, v3
	v_mov_b32_e32 v9, v24
	v_subrev_u32_e32 v3, 28, v14
	v_lshlrev_b64 v[3:4], v3, v[8:9]
	v_sub_u32_e32 v4, 29, v14
	v_and_b32_e32 v3, 7, v3
	v_cndmask_b32_e32 v4, v12, v4, vcc
	v_bfrev_b32_e32 v6, 60
	v_cndmask_b32_e32 v3, v8, v3, vcc
	v_lshlrev_b32_e32 v2, 16, v2
	v_lshl_add_u32 v4, v4, 23, v6
	v_and_or_b32 v2, v2, s44, v4
	v_lshlrev_b32_e32 v3, 20, v3
	v_or_b32_e32 v3, v2, v3
	v_mov_b32_e32 v2, v24
	buffer_store_dword v2, off, s[0:3], s32 offset:732 ; 4-byte Folded Spill
	s_nop 0
	buffer_store_dword v3, off, s[0:3], s32 offset:736 ; 4-byte Folded Spill
.LBB206_459:                            ;   in Loop: Header=BB206_12 Depth=1
	s_or_b64 exec, exec, s[40:41]
.LBB206_460:                            ;   in Loop: Header=BB206_12 Depth=1
	s_or_b64 exec, exec, s[28:29]
.LBB206_461:                            ;   in Loop: Header=BB206_12 Depth=1
	s_or_b64 exec, exec, s[26:27]
	buffer_load_dword v2, off, s[0:3], s32 offset:80 ; 4-byte Folded Reload
	s_waitcnt vmcnt(0)
	v_add_co_u32_e32 v2, vcc, v5, v2
	v_addc_co_u32_e32 v3, vcc, 0, v7, vcc
	flat_load_ushort v3, v[2:3]
	s_waitcnt vmcnt(0) lgkmcnt(0)
	v_and_b32_e32 v2, 0xffff, v3
	v_cmp_ne_u16_sdwa s[28:29], v3, v24 src0_sel:BYTE_0 src1_sel:DWORD
	v_mov_b32_e32 v3, 0
	v_mov_b32_e32 v4, 0
	buffer_store_dword v3, off, s[0:3], s32 offset:748 ; 4-byte Folded Spill
	s_nop 0
	buffer_store_dword v4, off, s[0:3], s32 offset:752 ; 4-byte Folded Spill
	v_mov_b32_e32 v3, 0
	v_mov_b32_e32 v4, 0
	buffer_store_dword v3, off, s[0:3], s32 offset:740 ; 4-byte Folded Spill
	s_nop 0
	buffer_store_dword v4, off, s[0:3], s32 offset:744 ; 4-byte Folded Spill
	s_and_saveexec_b64 s[26:27], s[28:29]
	s_cbranch_execz .LBB206_467
; %bb.462:                              ;   in Loop: Header=BB206_12 Depth=1
	v_bfrev_b32_e32 v3, 1
	v_mov_b32_e32 v4, 0
	v_cmp_ne_u16_sdwa s[40:41], v2, s42 src0_sel:BYTE_0 src1_sel:DWORD
	buffer_store_dword v3, off, s[0:3], s32 offset:740 ; 4-byte Folded Spill
	s_nop 0
	buffer_store_dword v4, off, s[0:3], s32 offset:744 ; 4-byte Folded Spill
	s_and_saveexec_b64 s[28:29], s[40:41]
	s_cbranch_execz .LBB206_466
; %bb.463:                              ;   in Loop: Header=BB206_12 Depth=1
	v_and_b32_e32 v3, 0x7f, v2
	v_mov_b32_e32 v8, 0x7f800001
	v_mov_b32_e32 v9, 0
	v_cmp_ne_u32_e32 vcc, s43, v3
	buffer_store_dword v8, off, s[0:3], s32 offset:740 ; 4-byte Folded Spill
	s_nop 0
	buffer_store_dword v9, off, s[0:3], s32 offset:744 ; 4-byte Folded Spill
	s_and_saveexec_b64 s[40:41], vcc
	s_cbranch_execz .LBB206_465
; %bb.464:                              ;   in Loop: Header=BB206_12 Depth=1
	v_and_b32_e32 v8, 7, v2
	v_lshrrev_b32_e32 v9, 3, v3
	v_cmp_gt_u32_e32 vcc, 8, v3
	v_ffbh_u32_e32 v3, v8
	v_min_u32_e32 v12, 32, v3
	v_subrev_u32_e32 v3, 28, v12
	v_lshlrev_b64 v[3:4], v3, v[2:3]
	v_sub_u32_e32 v4, 29, v12
	v_and_b32_e32 v3, 7, v3
	v_cndmask_b32_e32 v4, v9, v4, vcc
	v_cndmask_b32_e32 v3, v8, v3, vcc
	v_bfrev_b32_e32 v6, 60
	v_lshlrev_b32_e32 v3, 20, v3
	v_and_b32_sdwa v8, sext(v2), s44 dst_sel:DWORD dst_unused:UNUSED_PAD src0_sel:BYTE_0 src1_sel:DWORD
	v_lshl_add_u32 v4, v4, 23, v6
	v_or3_b32 v3, v8, v4, v3
	v_mov_b32_e32 v4, v24
	buffer_store_dword v3, off, s[0:3], s32 offset:740 ; 4-byte Folded Spill
	s_nop 0
	buffer_store_dword v4, off, s[0:3], s32 offset:744 ; 4-byte Folded Spill
.LBB206_465:                            ;   in Loop: Header=BB206_12 Depth=1
	s_or_b64 exec, exec, s[40:41]
.LBB206_466:                            ;   in Loop: Header=BB206_12 Depth=1
	s_or_b64 exec, exec, s[28:29]
.LBB206_467:                            ;   in Loop: Header=BB206_12 Depth=1
	s_or_b64 exec, exec, s[26:27]
	v_cmp_ne_u16_sdwa s[28:29], v2, v24 src0_sel:BYTE_1 src1_sel:DWORD
	s_and_saveexec_b64 s[26:27], s[28:29]
	s_cbranch_execz .LBB206_473
; %bb.468:                              ;   in Loop: Header=BB206_12 Depth=1
	v_cmp_ne_u16_sdwa s[40:41], v2, s42 src0_sel:BYTE_1 src1_sel:DWORD
	buffer_store_dword v24, off, s[0:3], s32 offset:748 ; 4-byte Folded Spill
	s_nop 0
	buffer_store_dword v25, off, s[0:3], s32 offset:752 ; 4-byte Folded Spill
	s_and_saveexec_b64 s[28:29], s[40:41]
	s_cbranch_execz .LBB206_472
; %bb.469:                              ;   in Loop: Header=BB206_12 Depth=1
	buffer_load_dword v8, off, s[0:3], s32 offset:64 ; 4-byte Folded Reload
	buffer_load_dword v9, off, s[0:3], s32 offset:68 ; 4-byte Folded Reload
	v_and_b32_sdwa v3, v2, s43 dst_sel:DWORD dst_unused:UNUSED_PAD src0_sel:BYTE_1 src1_sel:DWORD
	v_cmp_ne_u32_e32 vcc, s43, v3
	s_waitcnt vmcnt(1)
	v_mov_b32_e32 v8, v24
	s_waitcnt vmcnt(0)
	v_mov_b32_e32 v4, v9
	buffer_store_dword v3, off, s[0:3], s32 offset:64 ; 4-byte Folded Spill
	s_nop 0
	buffer_store_dword v4, off, s[0:3], s32 offset:68 ; 4-byte Folded Spill
	buffer_store_dword v8, off, s[0:3], s32 offset:748 ; 4-byte Folded Spill
	s_nop 0
	buffer_store_dword v9, off, s[0:3], s32 offset:752 ; 4-byte Folded Spill
	s_and_saveexec_b64 s[40:41], vcc
	s_cbranch_execz .LBB206_471
; %bb.470:                              ;   in Loop: Header=BB206_12 Depth=1
	v_mov_b32_e32 v4, 7
	v_and_b32_sdwa v8, v2, v4 dst_sel:DWORD dst_unused:UNUSED_PAD src0_sel:BYTE_1 src1_sel:DWORD
	v_lshrrev_b32_e32 v12, 3, v3
	v_cmp_gt_u32_e32 vcc, 8, v3
	v_ffbh_u32_e32 v3, v8
	v_min_u32_e32 v14, 32, v3
	v_mov_b32_e32 v9, v24
	v_subrev_u32_e32 v3, 28, v14
	v_lshlrev_b64 v[3:4], v3, v[8:9]
	v_sub_u32_e32 v4, 29, v14
	v_and_b32_e32 v3, 7, v3
	v_cndmask_b32_e32 v4, v12, v4, vcc
	v_bfrev_b32_e32 v6, 60
	v_cndmask_b32_e32 v3, v8, v3, vcc
	v_lshlrev_b32_e32 v2, 16, v2
	v_lshl_add_u32 v4, v4, 23, v6
	v_and_or_b32 v2, v2, s44, v4
	v_lshlrev_b32_e32 v3, 20, v3
	v_or_b32_e32 v3, v2, v3
	v_mov_b32_e32 v2, v24
	buffer_store_dword v2, off, s[0:3], s32 offset:748 ; 4-byte Folded Spill
	s_nop 0
	buffer_store_dword v3, off, s[0:3], s32 offset:752 ; 4-byte Folded Spill
.LBB206_471:                            ;   in Loop: Header=BB206_12 Depth=1
	s_or_b64 exec, exec, s[40:41]
.LBB206_472:                            ;   in Loop: Header=BB206_12 Depth=1
	s_or_b64 exec, exec, s[28:29]
.LBB206_473:                            ;   in Loop: Header=BB206_12 Depth=1
	s_or_b64 exec, exec, s[26:27]
	buffer_load_dword v2, off, s[0:3], s32 offset:84 ; 4-byte Folded Reload
	s_waitcnt vmcnt(0)
	v_add_co_u32_e32 v2, vcc, v5, v2
	v_addc_co_u32_e32 v3, vcc, 0, v7, vcc
	flat_load_ushort v2, v[2:3]
	s_waitcnt vmcnt(0) lgkmcnt(0)
	v_and_b32_e32 v4, 0xffff, v2
	v_cmp_ne_u16_sdwa s[28:29], v2, v24 src0_sel:BYTE_0 src1_sel:DWORD
	v_mov_b32_e32 v2, 0
	v_mov_b32_e32 v3, 0
	buffer_store_dword v2, off, s[0:3], s32 offset:764 ; 4-byte Folded Spill
	s_nop 0
	buffer_store_dword v3, off, s[0:3], s32 offset:768 ; 4-byte Folded Spill
	v_mov_b32_e32 v2, 0
	v_mov_b32_e32 v3, 0
	buffer_store_dword v2, off, s[0:3], s32 offset:756 ; 4-byte Folded Spill
	s_nop 0
	buffer_store_dword v3, off, s[0:3], s32 offset:760 ; 4-byte Folded Spill
	s_and_saveexec_b64 s[26:27], s[28:29]
	s_cbranch_execz .LBB206_479
; %bb.474:                              ;   in Loop: Header=BB206_12 Depth=1
	v_bfrev_b32_e32 v2, 1
	v_mov_b32_e32 v3, 0
	v_cmp_ne_u16_sdwa s[40:41], v4, s42 src0_sel:BYTE_0 src1_sel:DWORD
	buffer_store_dword v2, off, s[0:3], s32 offset:756 ; 4-byte Folded Spill
	s_nop 0
	buffer_store_dword v3, off, s[0:3], s32 offset:760 ; 4-byte Folded Spill
	s_and_saveexec_b64 s[28:29], s[40:41]
	s_cbranch_execz .LBB206_478
; %bb.475:                              ;   in Loop: Header=BB206_12 Depth=1
	v_and_b32_e32 v8, 0x7f, v4
	v_mov_b32_e32 v2, 0x7f800001
	v_mov_b32_e32 v3, 0
	v_cmp_ne_u32_e32 vcc, s43, v8
	buffer_store_dword v2, off, s[0:3], s32 offset:756 ; 4-byte Folded Spill
	s_nop 0
	buffer_store_dword v3, off, s[0:3], s32 offset:760 ; 4-byte Folded Spill
	s_and_saveexec_b64 s[40:41], vcc
	s_cbranch_execz .LBB206_477
; %bb.476:                              ;   in Loop: Header=BB206_12 Depth=1
	v_and_b32_e32 v9, 7, v4
	v_ffbh_u32_e32 v2, v9
	v_lshrrev_b32_e32 v12, 3, v8
	v_cmp_gt_u32_e32 vcc, 8, v8
	v_min_u32_e32 v8, 32, v2
	v_subrev_u32_e32 v2, 28, v8
	v_lshlrev_b64 v[2:3], v2, v[4:5]
	v_sub_u32_e32 v3, 29, v8
	v_and_b32_e32 v2, 7, v2
	v_cndmask_b32_e32 v3, v12, v3, vcc
	v_cndmask_b32_e32 v2, v9, v2, vcc
	v_bfrev_b32_e32 v6, 60
	v_lshlrev_b32_e32 v2, 20, v2
	v_and_b32_sdwa v8, sext(v4), s44 dst_sel:DWORD dst_unused:UNUSED_PAD src0_sel:BYTE_0 src1_sel:DWORD
	v_lshl_add_u32 v3, v3, 23, v6
	v_or3_b32 v2, v8, v3, v2
	v_mov_b32_e32 v3, v24
	buffer_store_dword v2, off, s[0:3], s32 offset:756 ; 4-byte Folded Spill
	s_nop 0
	buffer_store_dword v3, off, s[0:3], s32 offset:760 ; 4-byte Folded Spill
.LBB206_477:                            ;   in Loop: Header=BB206_12 Depth=1
	s_or_b64 exec, exec, s[40:41]
.LBB206_478:                            ;   in Loop: Header=BB206_12 Depth=1
	s_or_b64 exec, exec, s[28:29]
.LBB206_479:                            ;   in Loop: Header=BB206_12 Depth=1
	s_or_b64 exec, exec, s[26:27]
	v_cmp_ne_u16_sdwa s[28:29], v4, v24 src0_sel:BYTE_1 src1_sel:DWORD
	s_and_saveexec_b64 s[26:27], s[28:29]
	s_cbranch_execz .LBB206_485
; %bb.480:                              ;   in Loop: Header=BB206_12 Depth=1
	v_cmp_ne_u16_sdwa s[40:41], v4, s42 src0_sel:BYTE_1 src1_sel:DWORD
	buffer_store_dword v24, off, s[0:3], s32 offset:764 ; 4-byte Folded Spill
	s_nop 0
	buffer_store_dword v25, off, s[0:3], s32 offset:768 ; 4-byte Folded Spill
	s_and_saveexec_b64 s[28:29], s[40:41]
	s_cbranch_execz .LBB206_484
; %bb.481:                              ;   in Loop: Header=BB206_12 Depth=1
	buffer_load_dword v2, off, s[0:3], s32 offset:64 ; 4-byte Folded Reload
	buffer_load_dword v3, off, s[0:3], s32 offset:68 ; 4-byte Folded Reload
	v_and_b32_sdwa v8, v4, s43 dst_sel:DWORD dst_unused:UNUSED_PAD src0_sel:BYTE_1 src1_sel:DWORD
	v_cmp_ne_u32_e32 vcc, s43, v8
	s_waitcnt vmcnt(1)
	v_mov_b32_e32 v2, v24
	s_waitcnt vmcnt(0)
	v_mov_b32_e32 v6, v3
	buffer_store_dword v5, off, s[0:3], s32 offset:64 ; 4-byte Folded Spill
	s_nop 0
	buffer_store_dword v6, off, s[0:3], s32 offset:68 ; 4-byte Folded Spill
	buffer_store_dword v2, off, s[0:3], s32 offset:764 ; 4-byte Folded Spill
	s_nop 0
	buffer_store_dword v3, off, s[0:3], s32 offset:768 ; 4-byte Folded Spill
	s_and_saveexec_b64 s[40:41], vcc
	s_cbranch_execz .LBB206_483
; %bb.482:                              ;   in Loop: Header=BB206_12 Depth=1
	v_mov_b32_e32 v2, 7
	v_and_b32_sdwa v2, v4, v2 dst_sel:DWORD dst_unused:UNUSED_PAD src0_sel:BYTE_1 src1_sel:DWORD
	v_lshrrev_b32_e32 v12, 3, v8
	v_cmp_gt_u32_e32 vcc, 8, v8
	v_ffbh_u32_e32 v8, v2
	v_min_u32_e32 v14, 32, v8
	v_mov_b32_e32 v3, v24
	v_subrev_u32_e32 v8, 28, v14
	v_lshlrev_b64 v[8:9], v8, v[2:3]
	v_sub_u32_e32 v3, 29, v14
	v_and_b32_e32 v8, 7, v8
	v_cndmask_b32_e32 v3, v12, v3, vcc
	v_bfrev_b32_e32 v6, 60
	v_cndmask_b32_e32 v2, v2, v8, vcc
	v_lshlrev_b32_e32 v4, 16, v4
	v_lshl_add_u32 v3, v3, 23, v6
	v_and_or_b32 v3, v4, s44, v3
	v_lshlrev_b32_e32 v2, 20, v2
	v_or_b32_e32 v3, v3, v2
	v_mov_b32_e32 v2, v24
	buffer_store_dword v2, off, s[0:3], s32 offset:764 ; 4-byte Folded Spill
	s_nop 0
	buffer_store_dword v3, off, s[0:3], s32 offset:768 ; 4-byte Folded Spill
.LBB206_483:                            ;   in Loop: Header=BB206_12 Depth=1
	s_or_b64 exec, exec, s[40:41]
.LBB206_484:                            ;   in Loop: Header=BB206_12 Depth=1
	s_or_b64 exec, exec, s[28:29]
.LBB206_485:                            ;   in Loop: Header=BB206_12 Depth=1
	s_or_b64 exec, exec, s[26:27]
	buffer_load_dword v2, off, s[0:3], s32 offset:88 ; 4-byte Folded Reload
	s_waitcnt vmcnt(0)
	v_add_co_u32_e32 v2, vcc, v5, v2
	v_addc_co_u32_e32 v3, vcc, 0, v7, vcc
	flat_load_ushort v2, v[2:3]
	s_waitcnt vmcnt(0) lgkmcnt(0)
	v_and_b32_e32 v4, 0xffff, v2
	v_cmp_ne_u16_sdwa s[28:29], v2, v24 src0_sel:BYTE_0 src1_sel:DWORD
	v_mov_b32_e32 v2, 0
	v_mov_b32_e32 v3, 0
	buffer_store_dword v2, off, s[0:3], s32 offset:780 ; 4-byte Folded Spill
	s_nop 0
	buffer_store_dword v3, off, s[0:3], s32 offset:784 ; 4-byte Folded Spill
	v_mov_b32_e32 v2, 0
	v_mov_b32_e32 v3, 0
	buffer_store_dword v2, off, s[0:3], s32 offset:772 ; 4-byte Folded Spill
	s_nop 0
	buffer_store_dword v3, off, s[0:3], s32 offset:776 ; 4-byte Folded Spill
	s_and_saveexec_b64 s[26:27], s[28:29]
	s_cbranch_execz .LBB206_491
; %bb.486:                              ;   in Loop: Header=BB206_12 Depth=1
	v_bfrev_b32_e32 v2, 1
	v_mov_b32_e32 v3, 0
	v_cmp_ne_u16_sdwa s[40:41], v4, s42 src0_sel:BYTE_0 src1_sel:DWORD
	buffer_store_dword v2, off, s[0:3], s32 offset:772 ; 4-byte Folded Spill
	s_nop 0
	buffer_store_dword v3, off, s[0:3], s32 offset:776 ; 4-byte Folded Spill
	s_and_saveexec_b64 s[28:29], s[40:41]
	s_cbranch_execz .LBB206_490
; %bb.487:                              ;   in Loop: Header=BB206_12 Depth=1
	v_and_b32_e32 v5, 0x7f, v4
	v_mov_b32_e32 v2, 0x7f800001
	v_mov_b32_e32 v3, 0
	v_cmp_ne_u32_e32 vcc, s43, v5
	buffer_store_dword v2, off, s[0:3], s32 offset:772 ; 4-byte Folded Spill
	s_nop 0
	buffer_store_dword v3, off, s[0:3], s32 offset:776 ; 4-byte Folded Spill
	s_and_saveexec_b64 s[40:41], vcc
	s_cbranch_execz .LBB206_489
; %bb.488:                              ;   in Loop: Header=BB206_12 Depth=1
	v_and_b32_e32 v7, 7, v4
	v_ffbh_u32_e32 v2, v7
	v_lshrrev_b32_e32 v8, 3, v5
	v_cmp_gt_u32_e32 vcc, 8, v5
	v_min_u32_e32 v5, 32, v2
	v_subrev_u32_e32 v2, 28, v5
	v_lshlrev_b64 v[2:3], v2, v[4:5]
	v_sub_u32_e32 v3, 29, v5
	v_and_b32_e32 v2, 7, v2
	v_cndmask_b32_e32 v3, v8, v3, vcc
	v_cndmask_b32_e32 v2, v7, v2, vcc
	v_bfrev_b32_e32 v6, 60
	v_lshlrev_b32_e32 v2, 20, v2
	v_and_b32_sdwa v5, sext(v4), s44 dst_sel:DWORD dst_unused:UNUSED_PAD src0_sel:BYTE_0 src1_sel:DWORD
	v_lshl_add_u32 v3, v3, 23, v6
	v_or3_b32 v2, v5, v3, v2
	v_mov_b32_e32 v3, v24
	buffer_store_dword v2, off, s[0:3], s32 offset:772 ; 4-byte Folded Spill
	s_nop 0
	buffer_store_dword v3, off, s[0:3], s32 offset:776 ; 4-byte Folded Spill
.LBB206_489:                            ;   in Loop: Header=BB206_12 Depth=1
	s_or_b64 exec, exec, s[40:41]
.LBB206_490:                            ;   in Loop: Header=BB206_12 Depth=1
	s_or_b64 exec, exec, s[28:29]
.LBB206_491:                            ;   in Loop: Header=BB206_12 Depth=1
	s_or_b64 exec, exec, s[26:27]
	v_cmp_ne_u16_sdwa s[28:29], v4, v24 src0_sel:BYTE_1 src1_sel:DWORD
	s_and_saveexec_b64 s[26:27], s[28:29]
	s_cbranch_execz .LBB206_497
; %bb.492:                              ;   in Loop: Header=BB206_12 Depth=1
	v_cmp_ne_u16_sdwa s[40:41], v4, s42 src0_sel:BYTE_1 src1_sel:DWORD
	buffer_store_dword v24, off, s[0:3], s32 offset:780 ; 4-byte Folded Spill
	s_nop 0
	buffer_store_dword v25, off, s[0:3], s32 offset:784 ; 4-byte Folded Spill
	s_and_saveexec_b64 s[28:29], s[40:41]
	s_cbranch_execz .LBB206_496
; %bb.493:                              ;   in Loop: Header=BB206_12 Depth=1
	buffer_load_dword v2, off, s[0:3], s32 offset:64 ; 4-byte Folded Reload
	buffer_load_dword v3, off, s[0:3], s32 offset:68 ; 4-byte Folded Reload
	v_and_b32_sdwa v5, v4, s43 dst_sel:DWORD dst_unused:UNUSED_PAD src0_sel:BYTE_1 src1_sel:DWORD
	v_cmp_ne_u32_e32 vcc, s43, v5
	s_waitcnt vmcnt(1)
	v_mov_b32_e32 v2, v24
	s_waitcnt vmcnt(0)
	v_mov_b32_e32 v6, v3
	buffer_store_dword v5, off, s[0:3], s32 offset:64 ; 4-byte Folded Spill
	s_nop 0
	buffer_store_dword v6, off, s[0:3], s32 offset:68 ; 4-byte Folded Spill
	buffer_store_dword v2, off, s[0:3], s32 offset:780 ; 4-byte Folded Spill
	s_nop 0
	buffer_store_dword v3, off, s[0:3], s32 offset:784 ; 4-byte Folded Spill
	s_and_saveexec_b64 s[40:41], vcc
	s_cbranch_execz .LBB206_495
; %bb.494:                              ;   in Loop: Header=BB206_12 Depth=1
	v_mov_b32_e32 v2, 7
	v_and_b32_sdwa v2, v4, v2 dst_sel:DWORD dst_unused:UNUSED_PAD src0_sel:BYTE_1 src1_sel:DWORD
	v_lshrrev_b32_e32 v9, 3, v5
	v_cmp_gt_u32_e32 vcc, 8, v5
	v_ffbh_u32_e32 v5, v2
	v_min_u32_e32 v5, 32, v5
	v_mov_b32_e32 v3, v24
	v_subrev_u32_e32 v7, 28, v5
	v_lshlrev_b64 v[7:8], v7, v[2:3]
	v_sub_u32_e32 v3, 29, v5
	v_and_b32_e32 v5, 7, v7
	v_cndmask_b32_e32 v3, v9, v3, vcc
	v_cndmask_b32_e32 v2, v2, v5, vcc
	v_bfrev_b32_e32 v5, 60
	v_lshlrev_b32_e32 v4, 16, v4
	v_lshl_add_u32 v3, v3, 23, v5
	v_and_or_b32 v3, v4, s44, v3
	v_lshlrev_b32_e32 v2, 20, v2
	v_or_b32_e32 v3, v3, v2
	v_mov_b32_e32 v2, v24
	buffer_store_dword v2, off, s[0:3], s32 offset:780 ; 4-byte Folded Spill
	s_nop 0
	buffer_store_dword v3, off, s[0:3], s32 offset:784 ; 4-byte Folded Spill
.LBB206_495:                            ;   in Loop: Header=BB206_12 Depth=1
	s_or_b64 exec, exec, s[40:41]
.LBB206_496:                            ;   in Loop: Header=BB206_12 Depth=1
	s_or_b64 exec, exec, s[28:29]
.LBB206_497:                            ;   in Loop: Header=BB206_12 Depth=1
	s_or_b64 exec, exec, s[26:27]
	buffer_load_dword v2, off, s[0:3], s32 offset:76 ; 4-byte Folded Reload
	v_add_co_u32_e32 v5, vcc, 0x1400, v0
	v_addc_co_u32_e32 v7, vcc, 0, v1, vcc
	v_mov_b32_e32 v16, 0
	v_mov_b32_e32 v17, 0
	s_waitcnt vmcnt(0)
	v_add_co_u32_e32 v2, vcc, v5, v2
	v_addc_co_u32_e32 v3, vcc, 0, v7, vcc
	flat_load_ushort v2, v[2:3]
	s_waitcnt vmcnt(0) lgkmcnt(0)
	v_and_b32_e32 v4, 0xffff, v2
	v_cmp_ne_u16_sdwa s[28:29], v2, v24 src0_sel:BYTE_0 src1_sel:DWORD
	v_mov_b32_e32 v2, 0
	v_mov_b32_e32 v3, 0
	buffer_store_dword v2, off, s[0:3], s32 offset:148 ; 4-byte Folded Spill
	s_nop 0
	buffer_store_dword v3, off, s[0:3], s32 offset:152 ; 4-byte Folded Spill
	s_and_saveexec_b64 s[26:27], s[28:29]
	s_cbranch_execz .LBB206_503
; %bb.498:                              ;   in Loop: Header=BB206_12 Depth=1
	v_bfrev_b32_e32 v2, 1
	v_mov_b32_e32 v3, 0
	v_cmp_ne_u16_sdwa s[40:41], v4, s42 src0_sel:BYTE_0 src1_sel:DWORD
	buffer_store_dword v2, off, s[0:3], s32 offset:148 ; 4-byte Folded Spill
	s_nop 0
	buffer_store_dword v3, off, s[0:3], s32 offset:152 ; 4-byte Folded Spill
	s_and_saveexec_b64 s[28:29], s[40:41]
	s_cbranch_execz .LBB206_502
; %bb.499:                              ;   in Loop: Header=BB206_12 Depth=1
	v_and_b32_e32 v8, 0x7f, v4
	v_mov_b32_e32 v2, 0x7f800001
	v_mov_b32_e32 v3, 0
	v_cmp_ne_u32_e32 vcc, s43, v8
	buffer_store_dword v2, off, s[0:3], s32 offset:148 ; 4-byte Folded Spill
	s_nop 0
	buffer_store_dword v3, off, s[0:3], s32 offset:152 ; 4-byte Folded Spill
	s_and_saveexec_b64 s[40:41], vcc
	s_cbranch_execz .LBB206_501
; %bb.500:                              ;   in Loop: Header=BB206_12 Depth=1
	v_and_b32_e32 v9, 7, v4
	v_ffbh_u32_e32 v2, v9
	v_lshrrev_b32_e32 v12, 3, v8
	v_cmp_gt_u32_e32 vcc, 8, v8
	v_min_u32_e32 v8, 32, v2
	v_subrev_u32_e32 v2, 28, v8
	v_lshlrev_b64 v[2:3], v2, v[4:5]
	v_sub_u32_e32 v3, 29, v8
	v_and_b32_e32 v2, 7, v2
	v_cndmask_b32_e32 v3, v12, v3, vcc
	v_cndmask_b32_e32 v2, v9, v2, vcc
	v_bfrev_b32_e32 v6, 60
	v_lshlrev_b32_e32 v2, 20, v2
	v_and_b32_sdwa v8, sext(v4), s44 dst_sel:DWORD dst_unused:UNUSED_PAD src0_sel:BYTE_0 src1_sel:DWORD
	v_lshl_add_u32 v3, v3, 23, v6
	v_or3_b32 v2, v8, v3, v2
	v_mov_b32_e32 v3, v24
	buffer_store_dword v2, off, s[0:3], s32 offset:148 ; 4-byte Folded Spill
	s_nop 0
	buffer_store_dword v3, off, s[0:3], s32 offset:152 ; 4-byte Folded Spill
.LBB206_501:                            ;   in Loop: Header=BB206_12 Depth=1
	s_or_b64 exec, exec, s[40:41]
.LBB206_502:                            ;   in Loop: Header=BB206_12 Depth=1
	s_or_b64 exec, exec, s[28:29]
.LBB206_503:                            ;   in Loop: Header=BB206_12 Depth=1
	s_or_b64 exec, exec, s[26:27]
	v_cmp_ne_u16_sdwa s[28:29], v4, v24 src0_sel:BYTE_1 src1_sel:DWORD
	s_and_saveexec_b64 s[26:27], s[28:29]
	s_cbranch_execz .LBB206_509
; %bb.504:                              ;   in Loop: Header=BB206_12 Depth=1
	v_mov_b32_e32 v16, v24
	v_cmp_ne_u16_sdwa s[40:41], v4, s42 src0_sel:BYTE_1 src1_sel:DWORD
	v_mov_b32_e32 v17, v25
	s_and_saveexec_b64 s[28:29], s[40:41]
	s_cbranch_execz .LBB206_508
; %bb.505:                              ;   in Loop: Header=BB206_12 Depth=1
	buffer_load_dword v2, off, s[0:3], s32 offset:64 ; 4-byte Folded Reload
	buffer_load_dword v3, off, s[0:3], s32 offset:68 ; 4-byte Folded Reload
	v_and_b32_sdwa v8, v4, s43 dst_sel:DWORD dst_unused:UNUSED_PAD src0_sel:BYTE_1 src1_sel:DWORD
	s_waitcnt vmcnt(1)
	v_mov_b32_e32 v2, v24
	v_cmp_ne_u32_e32 vcc, s43, v8
	s_waitcnt vmcnt(0)
	v_mov_b32_e32 v17, v3
	v_mov_b32_e32 v6, v3
	;; [unrolled: 1-line block ×3, first 2 shown]
	buffer_store_dword v5, off, s[0:3], s32 offset:64 ; 4-byte Folded Spill
	s_nop 0
	buffer_store_dword v6, off, s[0:3], s32 offset:68 ; 4-byte Folded Spill
	s_and_saveexec_b64 s[40:41], vcc
	s_cbranch_execz .LBB206_507
; %bb.506:                              ;   in Loop: Header=BB206_12 Depth=1
	v_mov_b32_e32 v2, 7
	v_and_b32_sdwa v2, v4, v2 dst_sel:DWORD dst_unused:UNUSED_PAD src0_sel:BYTE_1 src1_sel:DWORD
	v_lshrrev_b32_e32 v12, 3, v8
	v_cmp_gt_u32_e32 vcc, 8, v8
	v_ffbh_u32_e32 v8, v2
	v_min_u32_e32 v14, 32, v8
	v_mov_b32_e32 v3, v24
	v_subrev_u32_e32 v8, 28, v14
	v_lshlrev_b64 v[8:9], v8, v[2:3]
	v_sub_u32_e32 v3, 29, v14
	v_and_b32_e32 v8, 7, v8
	v_cndmask_b32_e32 v3, v12, v3, vcc
	v_bfrev_b32_e32 v6, 60
	v_cndmask_b32_e32 v2, v2, v8, vcc
	v_lshlrev_b32_e32 v4, 16, v4
	v_lshl_add_u32 v3, v3, 23, v6
	v_and_or_b32 v3, v4, s44, v3
	v_lshlrev_b32_e32 v2, 20, v2
	v_or_b32_e32 v17, v3, v2
	v_mov_b32_e32 v16, v24
.LBB206_507:                            ;   in Loop: Header=BB206_12 Depth=1
	s_or_b64 exec, exec, s[40:41]
.LBB206_508:                            ;   in Loop: Header=BB206_12 Depth=1
	s_or_b64 exec, exec, s[28:29]
.LBB206_509:                            ;   in Loop: Header=BB206_12 Depth=1
	s_or_b64 exec, exec, s[26:27]
	buffer_load_dword v2, off, s[0:3], s32 offset:80 ; 4-byte Folded Reload
	s_waitcnt vmcnt(0)
	v_add_co_u32_e32 v2, vcc, v5, v2
	v_addc_co_u32_e32 v3, vcc, 0, v7, vcc
	flat_load_ushort v2, v[2:3]
	s_waitcnt vmcnt(0) lgkmcnt(0)
	v_and_b32_e32 v4, 0xffff, v2
	v_cmp_ne_u16_sdwa s[28:29], v2, v24 src0_sel:BYTE_0 src1_sel:DWORD
	v_mov_b32_e32 v2, 0
	v_mov_b32_e32 v3, 0
	buffer_store_dword v2, off, s[0:3], s32 offset:796 ; 4-byte Folded Spill
	s_nop 0
	buffer_store_dword v3, off, s[0:3], s32 offset:800 ; 4-byte Folded Spill
	v_mov_b32_e32 v2, 0
	v_mov_b32_e32 v3, 0
	buffer_store_dword v2, off, s[0:3], s32 offset:788 ; 4-byte Folded Spill
	s_nop 0
	buffer_store_dword v3, off, s[0:3], s32 offset:792 ; 4-byte Folded Spill
	s_and_saveexec_b64 s[26:27], s[28:29]
	s_cbranch_execz .LBB206_515
; %bb.510:                              ;   in Loop: Header=BB206_12 Depth=1
	v_bfrev_b32_e32 v2, 1
	v_mov_b32_e32 v3, 0
	v_cmp_ne_u16_sdwa s[40:41], v4, s42 src0_sel:BYTE_0 src1_sel:DWORD
	buffer_store_dword v2, off, s[0:3], s32 offset:788 ; 4-byte Folded Spill
	s_nop 0
	buffer_store_dword v3, off, s[0:3], s32 offset:792 ; 4-byte Folded Spill
	s_and_saveexec_b64 s[28:29], s[40:41]
	s_cbranch_execz .LBB206_514
; %bb.511:                              ;   in Loop: Header=BB206_12 Depth=1
	v_and_b32_e32 v8, 0x7f, v4
	v_mov_b32_e32 v2, 0x7f800001
	v_mov_b32_e32 v3, 0
	v_cmp_ne_u32_e32 vcc, s43, v8
	buffer_store_dword v2, off, s[0:3], s32 offset:788 ; 4-byte Folded Spill
	s_nop 0
	buffer_store_dword v3, off, s[0:3], s32 offset:792 ; 4-byte Folded Spill
	s_and_saveexec_b64 s[40:41], vcc
	s_cbranch_execz .LBB206_513
; %bb.512:                              ;   in Loop: Header=BB206_12 Depth=1
	v_and_b32_e32 v9, 7, v4
	v_ffbh_u32_e32 v2, v9
	v_lshrrev_b32_e32 v12, 3, v8
	v_cmp_gt_u32_e32 vcc, 8, v8
	v_min_u32_e32 v8, 32, v2
	v_subrev_u32_e32 v2, 28, v8
	v_lshlrev_b64 v[2:3], v2, v[4:5]
	v_sub_u32_e32 v3, 29, v8
	v_and_b32_e32 v2, 7, v2
	v_cndmask_b32_e32 v3, v12, v3, vcc
	v_cndmask_b32_e32 v2, v9, v2, vcc
	v_bfrev_b32_e32 v6, 60
	v_lshlrev_b32_e32 v2, 20, v2
	v_and_b32_sdwa v8, sext(v4), s44 dst_sel:DWORD dst_unused:UNUSED_PAD src0_sel:BYTE_0 src1_sel:DWORD
	v_lshl_add_u32 v3, v3, 23, v6
	v_or3_b32 v2, v8, v3, v2
	v_mov_b32_e32 v3, v24
	buffer_store_dword v2, off, s[0:3], s32 offset:788 ; 4-byte Folded Spill
	s_nop 0
	buffer_store_dword v3, off, s[0:3], s32 offset:792 ; 4-byte Folded Spill
.LBB206_513:                            ;   in Loop: Header=BB206_12 Depth=1
	s_or_b64 exec, exec, s[40:41]
.LBB206_514:                            ;   in Loop: Header=BB206_12 Depth=1
	s_or_b64 exec, exec, s[28:29]
.LBB206_515:                            ;   in Loop: Header=BB206_12 Depth=1
	s_or_b64 exec, exec, s[26:27]
	v_cmp_ne_u16_sdwa s[28:29], v4, v24 src0_sel:BYTE_1 src1_sel:DWORD
	s_and_saveexec_b64 s[26:27], s[28:29]
	s_cbranch_execz .LBB206_521
; %bb.516:                              ;   in Loop: Header=BB206_12 Depth=1
	v_cmp_ne_u16_sdwa s[40:41], v4, s42 src0_sel:BYTE_1 src1_sel:DWORD
	buffer_store_dword v24, off, s[0:3], s32 offset:796 ; 4-byte Folded Spill
	s_nop 0
	buffer_store_dword v25, off, s[0:3], s32 offset:800 ; 4-byte Folded Spill
	s_and_saveexec_b64 s[28:29], s[40:41]
	s_cbranch_execz .LBB206_520
; %bb.517:                              ;   in Loop: Header=BB206_12 Depth=1
	buffer_load_dword v2, off, s[0:3], s32 offset:64 ; 4-byte Folded Reload
	buffer_load_dword v3, off, s[0:3], s32 offset:68 ; 4-byte Folded Reload
	v_and_b32_sdwa v8, v4, s43 dst_sel:DWORD dst_unused:UNUSED_PAD src0_sel:BYTE_1 src1_sel:DWORD
	v_cmp_ne_u32_e32 vcc, s43, v8
	s_waitcnt vmcnt(1)
	v_mov_b32_e32 v2, v24
	s_waitcnt vmcnt(0)
	v_mov_b32_e32 v6, v3
	buffer_store_dword v5, off, s[0:3], s32 offset:64 ; 4-byte Folded Spill
	s_nop 0
	buffer_store_dword v6, off, s[0:3], s32 offset:68 ; 4-byte Folded Spill
	buffer_store_dword v2, off, s[0:3], s32 offset:796 ; 4-byte Folded Spill
	s_nop 0
	buffer_store_dword v3, off, s[0:3], s32 offset:800 ; 4-byte Folded Spill
	s_and_saveexec_b64 s[40:41], vcc
	s_cbranch_execz .LBB206_519
; %bb.518:                              ;   in Loop: Header=BB206_12 Depth=1
	v_mov_b32_e32 v2, 7
	v_and_b32_sdwa v2, v4, v2 dst_sel:DWORD dst_unused:UNUSED_PAD src0_sel:BYTE_1 src1_sel:DWORD
	v_lshrrev_b32_e32 v12, 3, v8
	v_cmp_gt_u32_e32 vcc, 8, v8
	v_ffbh_u32_e32 v8, v2
	v_min_u32_e32 v14, 32, v8
	v_mov_b32_e32 v3, v24
	v_subrev_u32_e32 v8, 28, v14
	v_lshlrev_b64 v[8:9], v8, v[2:3]
	v_sub_u32_e32 v3, 29, v14
	v_and_b32_e32 v8, 7, v8
	v_cndmask_b32_e32 v3, v12, v3, vcc
	v_bfrev_b32_e32 v6, 60
	v_cndmask_b32_e32 v2, v2, v8, vcc
	v_lshlrev_b32_e32 v4, 16, v4
	v_lshl_add_u32 v3, v3, 23, v6
	v_and_or_b32 v3, v4, s44, v3
	v_lshlrev_b32_e32 v2, 20, v2
	v_or_b32_e32 v3, v3, v2
	v_mov_b32_e32 v2, v24
	buffer_store_dword v2, off, s[0:3], s32 offset:796 ; 4-byte Folded Spill
	s_nop 0
	buffer_store_dword v3, off, s[0:3], s32 offset:800 ; 4-byte Folded Spill
.LBB206_519:                            ;   in Loop: Header=BB206_12 Depth=1
	s_or_b64 exec, exec, s[40:41]
.LBB206_520:                            ;   in Loop: Header=BB206_12 Depth=1
	s_or_b64 exec, exec, s[28:29]
.LBB206_521:                            ;   in Loop: Header=BB206_12 Depth=1
	s_or_b64 exec, exec, s[26:27]
	buffer_load_dword v2, off, s[0:3], s32 offset:84 ; 4-byte Folded Reload
	v_mov_b32_e32 v18, 0
	v_mov_b32_e32 v19, 0
	s_waitcnt vmcnt(0)
	v_add_co_u32_e32 v2, vcc, v5, v2
	v_addc_co_u32_e32 v3, vcc, 0, v7, vcc
	flat_load_ushort v2, v[2:3]
	s_waitcnt vmcnt(0) lgkmcnt(0)
	v_and_b32_e32 v4, 0xffff, v2
	v_cmp_ne_u16_sdwa s[28:29], v2, v24 src0_sel:BYTE_0 src1_sel:DWORD
	v_mov_b32_e32 v2, 0
	v_mov_b32_e32 v3, 0
	buffer_store_dword v2, off, s[0:3], s32 offset:804 ; 4-byte Folded Spill
	s_nop 0
	buffer_store_dword v3, off, s[0:3], s32 offset:808 ; 4-byte Folded Spill
	s_and_saveexec_b64 s[26:27], s[28:29]
	s_cbranch_execz .LBB206_527
; %bb.522:                              ;   in Loop: Header=BB206_12 Depth=1
	v_bfrev_b32_e32 v18, 1
	v_mov_b32_e32 v19, 0
	v_cmp_ne_u16_sdwa s[40:41], v4, s42 src0_sel:BYTE_0 src1_sel:DWORD
	s_and_saveexec_b64 s[28:29], s[40:41]
	s_cbranch_execz .LBB206_526
; %bb.523:                              ;   in Loop: Header=BB206_12 Depth=1
	v_and_b32_e32 v8, 0x7f, v4
	v_mov_b32_e32 v18, 0x7f800001
	v_mov_b32_e32 v19, 0
	v_cmp_ne_u32_e32 vcc, s43, v8
	s_and_saveexec_b64 s[40:41], vcc
	s_cbranch_execz .LBB206_525
; %bb.524:                              ;   in Loop: Header=BB206_12 Depth=1
	v_and_b32_e32 v9, 7, v4
	v_ffbh_u32_e32 v2, v9
	v_lshrrev_b32_e32 v12, 3, v8
	v_cmp_gt_u32_e32 vcc, 8, v8
	v_min_u32_e32 v8, 32, v2
	v_subrev_u32_e32 v2, 28, v8
	v_lshlrev_b64 v[2:3], v2, v[4:5]
	v_sub_u32_e32 v3, 29, v8
	v_and_b32_e32 v2, 7, v2
	v_cndmask_b32_e32 v3, v12, v3, vcc
	v_cndmask_b32_e32 v2, v9, v2, vcc
	v_bfrev_b32_e32 v6, 60
	v_lshlrev_b32_e32 v2, 20, v2
	v_and_b32_sdwa v8, sext(v4), s44 dst_sel:DWORD dst_unused:UNUSED_PAD src0_sel:BYTE_0 src1_sel:DWORD
	v_lshl_add_u32 v3, v3, 23, v6
	v_or3_b32 v18, v8, v3, v2
	v_mov_b32_e32 v19, v24
.LBB206_525:                            ;   in Loop: Header=BB206_12 Depth=1
	s_or_b64 exec, exec, s[40:41]
.LBB206_526:                            ;   in Loop: Header=BB206_12 Depth=1
	s_or_b64 exec, exec, s[28:29]
.LBB206_527:                            ;   in Loop: Header=BB206_12 Depth=1
	s_or_b64 exec, exec, s[26:27]
	v_cmp_ne_u16_sdwa s[28:29], v4, v24 src0_sel:BYTE_1 src1_sel:DWORD
	s_and_saveexec_b64 s[26:27], s[28:29]
	s_cbranch_execz .LBB206_533
; %bb.528:                              ;   in Loop: Header=BB206_12 Depth=1
	v_cmp_ne_u16_sdwa s[40:41], v4, s42 src0_sel:BYTE_1 src1_sel:DWORD
	buffer_store_dword v24, off, s[0:3], s32 offset:804 ; 4-byte Folded Spill
	s_nop 0
	buffer_store_dword v25, off, s[0:3], s32 offset:808 ; 4-byte Folded Spill
	s_and_saveexec_b64 s[28:29], s[40:41]
	s_cbranch_execz .LBB206_532
; %bb.529:                              ;   in Loop: Header=BB206_12 Depth=1
	buffer_load_dword v2, off, s[0:3], s32 offset:64 ; 4-byte Folded Reload
	buffer_load_dword v3, off, s[0:3], s32 offset:68 ; 4-byte Folded Reload
	v_and_b32_sdwa v8, v4, s43 dst_sel:DWORD dst_unused:UNUSED_PAD src0_sel:BYTE_1 src1_sel:DWORD
	v_cmp_ne_u32_e32 vcc, s43, v8
	s_waitcnt vmcnt(1)
	v_mov_b32_e32 v2, v24
	s_waitcnt vmcnt(0)
	v_mov_b32_e32 v6, v3
	buffer_store_dword v5, off, s[0:3], s32 offset:64 ; 4-byte Folded Spill
	s_nop 0
	buffer_store_dword v6, off, s[0:3], s32 offset:68 ; 4-byte Folded Spill
	buffer_store_dword v2, off, s[0:3], s32 offset:804 ; 4-byte Folded Spill
	s_nop 0
	buffer_store_dword v3, off, s[0:3], s32 offset:808 ; 4-byte Folded Spill
	s_and_saveexec_b64 s[40:41], vcc
	s_cbranch_execz .LBB206_531
; %bb.530:                              ;   in Loop: Header=BB206_12 Depth=1
	v_mov_b32_e32 v2, 7
	v_and_b32_sdwa v2, v4, v2 dst_sel:DWORD dst_unused:UNUSED_PAD src0_sel:BYTE_1 src1_sel:DWORD
	v_lshrrev_b32_e32 v12, 3, v8
	v_cmp_gt_u32_e32 vcc, 8, v8
	v_ffbh_u32_e32 v8, v2
	v_min_u32_e32 v14, 32, v8
	v_mov_b32_e32 v3, v24
	v_subrev_u32_e32 v8, 28, v14
	v_lshlrev_b64 v[8:9], v8, v[2:3]
	v_sub_u32_e32 v3, 29, v14
	v_and_b32_e32 v8, 7, v8
	v_cndmask_b32_e32 v3, v12, v3, vcc
	v_bfrev_b32_e32 v6, 60
	v_cndmask_b32_e32 v2, v2, v8, vcc
	v_lshlrev_b32_e32 v4, 16, v4
	v_lshl_add_u32 v3, v3, 23, v6
	v_and_or_b32 v3, v4, s44, v3
	v_lshlrev_b32_e32 v2, 20, v2
	v_or_b32_e32 v3, v3, v2
	v_mov_b32_e32 v2, v24
	buffer_store_dword v2, off, s[0:3], s32 offset:804 ; 4-byte Folded Spill
	s_nop 0
	buffer_store_dword v3, off, s[0:3], s32 offset:808 ; 4-byte Folded Spill
.LBB206_531:                            ;   in Loop: Header=BB206_12 Depth=1
	s_or_b64 exec, exec, s[40:41]
.LBB206_532:                            ;   in Loop: Header=BB206_12 Depth=1
	s_or_b64 exec, exec, s[28:29]
.LBB206_533:                            ;   in Loop: Header=BB206_12 Depth=1
	s_or_b64 exec, exec, s[26:27]
	buffer_load_dword v2, off, s[0:3], s32 offset:88 ; 4-byte Folded Reload
	s_waitcnt vmcnt(0)
	v_add_co_u32_e32 v2, vcc, v5, v2
	v_addc_co_u32_e32 v3, vcc, 0, v7, vcc
	flat_load_ushort v2, v[2:3]
	s_waitcnt vmcnt(0) lgkmcnt(0)
	v_and_b32_e32 v4, 0xffff, v2
	v_cmp_ne_u16_sdwa s[28:29], v2, v24 src0_sel:BYTE_0 src1_sel:DWORD
	v_mov_b32_e32 v2, 0
	v_mov_b32_e32 v3, 0
	buffer_store_dword v2, off, s[0:3], s32 offset:820 ; 4-byte Folded Spill
	s_nop 0
	buffer_store_dword v3, off, s[0:3], s32 offset:824 ; 4-byte Folded Spill
	v_mov_b32_e32 v2, 0
	v_mov_b32_e32 v3, 0
	buffer_store_dword v2, off, s[0:3], s32 offset:812 ; 4-byte Folded Spill
	s_nop 0
	buffer_store_dword v3, off, s[0:3], s32 offset:816 ; 4-byte Folded Spill
	s_and_saveexec_b64 s[26:27], s[28:29]
	s_cbranch_execz .LBB206_539
; %bb.534:                              ;   in Loop: Header=BB206_12 Depth=1
	v_bfrev_b32_e32 v2, 1
	v_mov_b32_e32 v3, 0
	v_cmp_ne_u16_sdwa s[40:41], v4, s42 src0_sel:BYTE_0 src1_sel:DWORD
	buffer_store_dword v2, off, s[0:3], s32 offset:812 ; 4-byte Folded Spill
	s_nop 0
	buffer_store_dword v3, off, s[0:3], s32 offset:816 ; 4-byte Folded Spill
	s_and_saveexec_b64 s[28:29], s[40:41]
	s_cbranch_execz .LBB206_538
; %bb.535:                              ;   in Loop: Header=BB206_12 Depth=1
	v_and_b32_e32 v5, 0x7f, v4
	v_mov_b32_e32 v2, 0x7f800001
	v_mov_b32_e32 v3, 0
	v_cmp_ne_u32_e32 vcc, s43, v5
	buffer_store_dword v2, off, s[0:3], s32 offset:812 ; 4-byte Folded Spill
	s_nop 0
	buffer_store_dword v3, off, s[0:3], s32 offset:816 ; 4-byte Folded Spill
	s_and_saveexec_b64 s[40:41], vcc
	s_cbranch_execz .LBB206_537
; %bb.536:                              ;   in Loop: Header=BB206_12 Depth=1
	v_and_b32_e32 v7, 7, v4
	v_ffbh_u32_e32 v2, v7
	v_lshrrev_b32_e32 v8, 3, v5
	v_cmp_gt_u32_e32 vcc, 8, v5
	v_min_u32_e32 v5, 32, v2
	v_subrev_u32_e32 v2, 28, v5
	v_lshlrev_b64 v[2:3], v2, v[4:5]
	v_sub_u32_e32 v3, 29, v5
	v_and_b32_e32 v2, 7, v2
	v_cndmask_b32_e32 v3, v8, v3, vcc
	v_cndmask_b32_e32 v2, v7, v2, vcc
	v_bfrev_b32_e32 v6, 60
	v_lshlrev_b32_e32 v2, 20, v2
	v_and_b32_sdwa v5, sext(v4), s44 dst_sel:DWORD dst_unused:UNUSED_PAD src0_sel:BYTE_0 src1_sel:DWORD
	v_lshl_add_u32 v3, v3, 23, v6
	v_or3_b32 v2, v5, v3, v2
	v_mov_b32_e32 v3, v24
	buffer_store_dword v2, off, s[0:3], s32 offset:812 ; 4-byte Folded Spill
	s_nop 0
	buffer_store_dword v3, off, s[0:3], s32 offset:816 ; 4-byte Folded Spill
.LBB206_537:                            ;   in Loop: Header=BB206_12 Depth=1
	s_or_b64 exec, exec, s[40:41]
.LBB206_538:                            ;   in Loop: Header=BB206_12 Depth=1
	s_or_b64 exec, exec, s[28:29]
.LBB206_539:                            ;   in Loop: Header=BB206_12 Depth=1
	s_or_b64 exec, exec, s[26:27]
	v_cmp_ne_u16_sdwa s[28:29], v4, v24 src0_sel:BYTE_1 src1_sel:DWORD
	s_and_saveexec_b64 s[26:27], s[28:29]
	s_cbranch_execz .LBB206_545
; %bb.540:                              ;   in Loop: Header=BB206_12 Depth=1
	v_cmp_ne_u16_sdwa s[40:41], v4, s42 src0_sel:BYTE_1 src1_sel:DWORD
	buffer_store_dword v24, off, s[0:3], s32 offset:820 ; 4-byte Folded Spill
	s_nop 0
	buffer_store_dword v25, off, s[0:3], s32 offset:824 ; 4-byte Folded Spill
	s_and_saveexec_b64 s[28:29], s[40:41]
	s_cbranch_execz .LBB206_544
; %bb.541:                              ;   in Loop: Header=BB206_12 Depth=1
	buffer_load_dword v2, off, s[0:3], s32 offset:64 ; 4-byte Folded Reload
	buffer_load_dword v3, off, s[0:3], s32 offset:68 ; 4-byte Folded Reload
	v_and_b32_sdwa v5, v4, s43 dst_sel:DWORD dst_unused:UNUSED_PAD src0_sel:BYTE_1 src1_sel:DWORD
	v_cmp_ne_u32_e32 vcc, s43, v5
	s_waitcnt vmcnt(1)
	v_mov_b32_e32 v2, v24
	s_waitcnt vmcnt(0)
	v_mov_b32_e32 v6, v3
	buffer_store_dword v5, off, s[0:3], s32 offset:64 ; 4-byte Folded Spill
	s_nop 0
	buffer_store_dword v6, off, s[0:3], s32 offset:68 ; 4-byte Folded Spill
	buffer_store_dword v2, off, s[0:3], s32 offset:820 ; 4-byte Folded Spill
	s_nop 0
	buffer_store_dword v3, off, s[0:3], s32 offset:824 ; 4-byte Folded Spill
	s_and_saveexec_b64 s[40:41], vcc
	s_cbranch_execz .LBB206_543
; %bb.542:                              ;   in Loop: Header=BB206_12 Depth=1
	v_mov_b32_e32 v2, 7
	v_and_b32_sdwa v2, v4, v2 dst_sel:DWORD dst_unused:UNUSED_PAD src0_sel:BYTE_1 src1_sel:DWORD
	v_lshrrev_b32_e32 v9, 3, v5
	v_cmp_gt_u32_e32 vcc, 8, v5
	v_ffbh_u32_e32 v5, v2
	v_min_u32_e32 v5, 32, v5
	v_mov_b32_e32 v3, v24
	v_subrev_u32_e32 v7, 28, v5
	v_lshlrev_b64 v[7:8], v7, v[2:3]
	v_sub_u32_e32 v3, 29, v5
	v_and_b32_e32 v5, 7, v7
	v_cndmask_b32_e32 v3, v9, v3, vcc
	v_cndmask_b32_e32 v2, v2, v5, vcc
	v_bfrev_b32_e32 v5, 60
	v_lshlrev_b32_e32 v4, 16, v4
	v_lshl_add_u32 v3, v3, 23, v5
	v_and_or_b32 v3, v4, s44, v3
	v_lshlrev_b32_e32 v2, 20, v2
	v_or_b32_e32 v3, v3, v2
	v_mov_b32_e32 v2, v24
	buffer_store_dword v2, off, s[0:3], s32 offset:820 ; 4-byte Folded Spill
	s_nop 0
	buffer_store_dword v3, off, s[0:3], s32 offset:824 ; 4-byte Folded Spill
.LBB206_543:                            ;   in Loop: Header=BB206_12 Depth=1
	s_or_b64 exec, exec, s[40:41]
.LBB206_544:                            ;   in Loop: Header=BB206_12 Depth=1
	s_or_b64 exec, exec, s[28:29]
.LBB206_545:                            ;   in Loop: Header=BB206_12 Depth=1
	s_or_b64 exec, exec, s[26:27]
	buffer_load_dword v2, off, s[0:3], s32 offset:76 ; 4-byte Folded Reload
	v_add_co_u32_e32 v5, vcc, 0x1600, v0
	v_addc_co_u32_e32 v7, vcc, 0, v1, vcc
	s_waitcnt vmcnt(0)
	v_add_co_u32_e32 v2, vcc, v5, v2
	v_addc_co_u32_e32 v3, vcc, 0, v7, vcc
	flat_load_ushort v2, v[2:3]
	s_waitcnt vmcnt(0) lgkmcnt(0)
	v_and_b32_e32 v4, 0xffff, v2
	v_cmp_ne_u16_sdwa s[28:29], v2, v24 src0_sel:BYTE_0 src1_sel:DWORD
	v_mov_b32_e32 v2, 0
	v_mov_b32_e32 v3, 0
	buffer_store_dword v2, off, s[0:3], s32 offset:836 ; 4-byte Folded Spill
	s_nop 0
	buffer_store_dword v3, off, s[0:3], s32 offset:840 ; 4-byte Folded Spill
	v_mov_b32_e32 v2, 0
	v_mov_b32_e32 v3, 0
	buffer_store_dword v2, off, s[0:3], s32 offset:828 ; 4-byte Folded Spill
	s_nop 0
	buffer_store_dword v3, off, s[0:3], s32 offset:832 ; 4-byte Folded Spill
	s_and_saveexec_b64 s[26:27], s[28:29]
	s_cbranch_execz .LBB206_551
; %bb.546:                              ;   in Loop: Header=BB206_12 Depth=1
	v_bfrev_b32_e32 v2, 1
	v_mov_b32_e32 v3, 0
	v_cmp_ne_u16_sdwa s[40:41], v4, s42 src0_sel:BYTE_0 src1_sel:DWORD
	buffer_store_dword v2, off, s[0:3], s32 offset:828 ; 4-byte Folded Spill
	s_nop 0
	buffer_store_dword v3, off, s[0:3], s32 offset:832 ; 4-byte Folded Spill
	s_and_saveexec_b64 s[28:29], s[40:41]
	s_cbranch_execz .LBB206_550
; %bb.547:                              ;   in Loop: Header=BB206_12 Depth=1
	v_and_b32_e32 v8, 0x7f, v4
	v_mov_b32_e32 v2, 0x7f800001
	v_mov_b32_e32 v3, 0
	v_cmp_ne_u32_e32 vcc, s43, v8
	buffer_store_dword v2, off, s[0:3], s32 offset:828 ; 4-byte Folded Spill
	s_nop 0
	buffer_store_dword v3, off, s[0:3], s32 offset:832 ; 4-byte Folded Spill
	s_and_saveexec_b64 s[40:41], vcc
	s_cbranch_execz .LBB206_549
; %bb.548:                              ;   in Loop: Header=BB206_12 Depth=1
	v_and_b32_e32 v9, 7, v4
	v_ffbh_u32_e32 v2, v9
	v_lshrrev_b32_e32 v12, 3, v8
	v_cmp_gt_u32_e32 vcc, 8, v8
	v_min_u32_e32 v8, 32, v2
	v_subrev_u32_e32 v2, 28, v8
	v_lshlrev_b64 v[2:3], v2, v[4:5]
	v_sub_u32_e32 v3, 29, v8
	v_and_b32_e32 v2, 7, v2
	v_cndmask_b32_e32 v3, v12, v3, vcc
	v_cndmask_b32_e32 v2, v9, v2, vcc
	v_bfrev_b32_e32 v6, 60
	v_lshlrev_b32_e32 v2, 20, v2
	v_and_b32_sdwa v8, sext(v4), s44 dst_sel:DWORD dst_unused:UNUSED_PAD src0_sel:BYTE_0 src1_sel:DWORD
	v_lshl_add_u32 v3, v3, 23, v6
	v_or3_b32 v2, v8, v3, v2
	v_mov_b32_e32 v3, v24
	buffer_store_dword v2, off, s[0:3], s32 offset:828 ; 4-byte Folded Spill
	s_nop 0
	buffer_store_dword v3, off, s[0:3], s32 offset:832 ; 4-byte Folded Spill
.LBB206_549:                            ;   in Loop: Header=BB206_12 Depth=1
	s_or_b64 exec, exec, s[40:41]
.LBB206_550:                            ;   in Loop: Header=BB206_12 Depth=1
	s_or_b64 exec, exec, s[28:29]
.LBB206_551:                            ;   in Loop: Header=BB206_12 Depth=1
	s_or_b64 exec, exec, s[26:27]
	v_cmp_ne_u16_sdwa s[28:29], v4, v24 src0_sel:BYTE_1 src1_sel:DWORD
	s_and_saveexec_b64 s[26:27], s[28:29]
	s_cbranch_execz .LBB206_557
; %bb.552:                              ;   in Loop: Header=BB206_12 Depth=1
	v_cmp_ne_u16_sdwa s[40:41], v4, s42 src0_sel:BYTE_1 src1_sel:DWORD
	buffer_store_dword v24, off, s[0:3], s32 offset:836 ; 4-byte Folded Spill
	s_nop 0
	buffer_store_dword v25, off, s[0:3], s32 offset:840 ; 4-byte Folded Spill
	s_and_saveexec_b64 s[28:29], s[40:41]
	s_cbranch_execz .LBB206_556
; %bb.553:                              ;   in Loop: Header=BB206_12 Depth=1
	buffer_load_dword v2, off, s[0:3], s32 offset:64 ; 4-byte Folded Reload
	buffer_load_dword v3, off, s[0:3], s32 offset:68 ; 4-byte Folded Reload
	v_and_b32_sdwa v8, v4, s43 dst_sel:DWORD dst_unused:UNUSED_PAD src0_sel:BYTE_1 src1_sel:DWORD
	v_cmp_ne_u32_e32 vcc, s43, v8
	s_waitcnt vmcnt(1)
	v_mov_b32_e32 v2, v24
	s_waitcnt vmcnt(0)
	v_mov_b32_e32 v6, v3
	buffer_store_dword v5, off, s[0:3], s32 offset:64 ; 4-byte Folded Spill
	s_nop 0
	buffer_store_dword v6, off, s[0:3], s32 offset:68 ; 4-byte Folded Spill
	buffer_store_dword v2, off, s[0:3], s32 offset:836 ; 4-byte Folded Spill
	s_nop 0
	buffer_store_dword v3, off, s[0:3], s32 offset:840 ; 4-byte Folded Spill
	s_and_saveexec_b64 s[40:41], vcc
	s_cbranch_execz .LBB206_555
; %bb.554:                              ;   in Loop: Header=BB206_12 Depth=1
	v_mov_b32_e32 v2, 7
	v_and_b32_sdwa v2, v4, v2 dst_sel:DWORD dst_unused:UNUSED_PAD src0_sel:BYTE_1 src1_sel:DWORD
	v_lshrrev_b32_e32 v12, 3, v8
	v_cmp_gt_u32_e32 vcc, 8, v8
	v_ffbh_u32_e32 v8, v2
	v_min_u32_e32 v14, 32, v8
	v_mov_b32_e32 v3, v24
	v_subrev_u32_e32 v8, 28, v14
	v_lshlrev_b64 v[8:9], v8, v[2:3]
	v_sub_u32_e32 v3, 29, v14
	v_and_b32_e32 v8, 7, v8
	v_cndmask_b32_e32 v3, v12, v3, vcc
	v_bfrev_b32_e32 v6, 60
	v_cndmask_b32_e32 v2, v2, v8, vcc
	v_lshlrev_b32_e32 v4, 16, v4
	v_lshl_add_u32 v3, v3, 23, v6
	v_and_or_b32 v3, v4, s44, v3
	v_lshlrev_b32_e32 v2, 20, v2
	v_or_b32_e32 v3, v3, v2
	v_mov_b32_e32 v2, v24
	buffer_store_dword v2, off, s[0:3], s32 offset:836 ; 4-byte Folded Spill
	s_nop 0
	buffer_store_dword v3, off, s[0:3], s32 offset:840 ; 4-byte Folded Spill
.LBB206_555:                            ;   in Loop: Header=BB206_12 Depth=1
	s_or_b64 exec, exec, s[40:41]
.LBB206_556:                            ;   in Loop: Header=BB206_12 Depth=1
	s_or_b64 exec, exec, s[28:29]
.LBB206_557:                            ;   in Loop: Header=BB206_12 Depth=1
	s_or_b64 exec, exec, s[26:27]
	buffer_load_dword v2, off, s[0:3], s32 offset:80 ; 4-byte Folded Reload
	s_waitcnt vmcnt(0)
	v_add_co_u32_e32 v2, vcc, v5, v2
	v_addc_co_u32_e32 v3, vcc, 0, v7, vcc
	flat_load_ushort v2, v[2:3]
	s_waitcnt vmcnt(0) lgkmcnt(0)
	v_and_b32_e32 v4, 0xffff, v2
	v_cmp_ne_u16_sdwa s[28:29], v2, v24 src0_sel:BYTE_0 src1_sel:DWORD
	v_mov_b32_e32 v2, 0
	v_mov_b32_e32 v3, 0
	buffer_store_dword v2, off, s[0:3], s32 offset:852 ; 4-byte Folded Spill
	s_nop 0
	buffer_store_dword v3, off, s[0:3], s32 offset:856 ; 4-byte Folded Spill
	v_mov_b32_e32 v2, 0
	v_mov_b32_e32 v3, 0
	buffer_store_dword v2, off, s[0:3], s32 offset:844 ; 4-byte Folded Spill
	s_nop 0
	buffer_store_dword v3, off, s[0:3], s32 offset:848 ; 4-byte Folded Spill
	s_and_saveexec_b64 s[26:27], s[28:29]
	s_cbranch_execz .LBB206_563
; %bb.558:                              ;   in Loop: Header=BB206_12 Depth=1
	v_bfrev_b32_e32 v2, 1
	v_mov_b32_e32 v3, 0
	v_cmp_ne_u16_sdwa s[40:41], v4, s42 src0_sel:BYTE_0 src1_sel:DWORD
	buffer_store_dword v2, off, s[0:3], s32 offset:844 ; 4-byte Folded Spill
	s_nop 0
	buffer_store_dword v3, off, s[0:3], s32 offset:848 ; 4-byte Folded Spill
	s_and_saveexec_b64 s[28:29], s[40:41]
	s_cbranch_execz .LBB206_562
; %bb.559:                              ;   in Loop: Header=BB206_12 Depth=1
	v_and_b32_e32 v8, 0x7f, v4
	v_mov_b32_e32 v2, 0x7f800001
	v_mov_b32_e32 v3, 0
	v_cmp_ne_u32_e32 vcc, s43, v8
	buffer_store_dword v2, off, s[0:3], s32 offset:844 ; 4-byte Folded Spill
	s_nop 0
	buffer_store_dword v3, off, s[0:3], s32 offset:848 ; 4-byte Folded Spill
	s_and_saveexec_b64 s[40:41], vcc
	s_cbranch_execz .LBB206_561
; %bb.560:                              ;   in Loop: Header=BB206_12 Depth=1
	v_and_b32_e32 v9, 7, v4
	v_ffbh_u32_e32 v2, v9
	v_lshrrev_b32_e32 v12, 3, v8
	v_cmp_gt_u32_e32 vcc, 8, v8
	v_min_u32_e32 v8, 32, v2
	v_subrev_u32_e32 v2, 28, v8
	v_lshlrev_b64 v[2:3], v2, v[4:5]
	v_sub_u32_e32 v3, 29, v8
	v_and_b32_e32 v2, 7, v2
	v_cndmask_b32_e32 v3, v12, v3, vcc
	v_cndmask_b32_e32 v2, v9, v2, vcc
	v_bfrev_b32_e32 v6, 60
	v_lshlrev_b32_e32 v2, 20, v2
	v_and_b32_sdwa v8, sext(v4), s44 dst_sel:DWORD dst_unused:UNUSED_PAD src0_sel:BYTE_0 src1_sel:DWORD
	v_lshl_add_u32 v3, v3, 23, v6
	v_or3_b32 v2, v8, v3, v2
	v_mov_b32_e32 v3, v24
	buffer_store_dword v2, off, s[0:3], s32 offset:844 ; 4-byte Folded Spill
	s_nop 0
	buffer_store_dword v3, off, s[0:3], s32 offset:848 ; 4-byte Folded Spill
.LBB206_561:                            ;   in Loop: Header=BB206_12 Depth=1
	s_or_b64 exec, exec, s[40:41]
.LBB206_562:                            ;   in Loop: Header=BB206_12 Depth=1
	s_or_b64 exec, exec, s[28:29]
.LBB206_563:                            ;   in Loop: Header=BB206_12 Depth=1
	s_or_b64 exec, exec, s[26:27]
	v_cmp_ne_u16_sdwa s[28:29], v4, v24 src0_sel:BYTE_1 src1_sel:DWORD
	s_and_saveexec_b64 s[26:27], s[28:29]
	s_cbranch_execz .LBB206_569
; %bb.564:                              ;   in Loop: Header=BB206_12 Depth=1
	v_cmp_ne_u16_sdwa s[40:41], v4, s42 src0_sel:BYTE_1 src1_sel:DWORD
	buffer_store_dword v24, off, s[0:3], s32 offset:852 ; 4-byte Folded Spill
	s_nop 0
	buffer_store_dword v25, off, s[0:3], s32 offset:856 ; 4-byte Folded Spill
	s_and_saveexec_b64 s[28:29], s[40:41]
	s_cbranch_execz .LBB206_568
; %bb.565:                              ;   in Loop: Header=BB206_12 Depth=1
	buffer_load_dword v2, off, s[0:3], s32 offset:64 ; 4-byte Folded Reload
	buffer_load_dword v3, off, s[0:3], s32 offset:68 ; 4-byte Folded Reload
	v_and_b32_sdwa v8, v4, s43 dst_sel:DWORD dst_unused:UNUSED_PAD src0_sel:BYTE_1 src1_sel:DWORD
	v_cmp_ne_u32_e32 vcc, s43, v8
	s_waitcnt vmcnt(1)
	v_mov_b32_e32 v2, v24
	s_waitcnt vmcnt(0)
	v_mov_b32_e32 v6, v3
	buffer_store_dword v5, off, s[0:3], s32 offset:64 ; 4-byte Folded Spill
	s_nop 0
	buffer_store_dword v6, off, s[0:3], s32 offset:68 ; 4-byte Folded Spill
	buffer_store_dword v2, off, s[0:3], s32 offset:852 ; 4-byte Folded Spill
	s_nop 0
	buffer_store_dword v3, off, s[0:3], s32 offset:856 ; 4-byte Folded Spill
	s_and_saveexec_b64 s[40:41], vcc
	s_cbranch_execz .LBB206_567
; %bb.566:                              ;   in Loop: Header=BB206_12 Depth=1
	v_mov_b32_e32 v2, 7
	v_and_b32_sdwa v2, v4, v2 dst_sel:DWORD dst_unused:UNUSED_PAD src0_sel:BYTE_1 src1_sel:DWORD
	v_lshrrev_b32_e32 v12, 3, v8
	v_cmp_gt_u32_e32 vcc, 8, v8
	v_ffbh_u32_e32 v8, v2
	v_min_u32_e32 v14, 32, v8
	v_mov_b32_e32 v3, v24
	v_subrev_u32_e32 v8, 28, v14
	v_lshlrev_b64 v[8:9], v8, v[2:3]
	v_sub_u32_e32 v3, 29, v14
	v_and_b32_e32 v8, 7, v8
	v_cndmask_b32_e32 v3, v12, v3, vcc
	v_bfrev_b32_e32 v6, 60
	v_cndmask_b32_e32 v2, v2, v8, vcc
	v_lshlrev_b32_e32 v4, 16, v4
	v_lshl_add_u32 v3, v3, 23, v6
	v_and_or_b32 v3, v4, s44, v3
	v_lshlrev_b32_e32 v2, 20, v2
	v_or_b32_e32 v3, v3, v2
	v_mov_b32_e32 v2, v24
	buffer_store_dword v2, off, s[0:3], s32 offset:852 ; 4-byte Folded Spill
	s_nop 0
	buffer_store_dword v3, off, s[0:3], s32 offset:856 ; 4-byte Folded Spill
.LBB206_567:                            ;   in Loop: Header=BB206_12 Depth=1
	s_or_b64 exec, exec, s[40:41]
.LBB206_568:                            ;   in Loop: Header=BB206_12 Depth=1
	s_or_b64 exec, exec, s[28:29]
.LBB206_569:                            ;   in Loop: Header=BB206_12 Depth=1
	s_or_b64 exec, exec, s[26:27]
	buffer_load_dword v2, off, s[0:3], s32 offset:84 ; 4-byte Folded Reload
	s_waitcnt vmcnt(0)
	v_add_co_u32_e32 v2, vcc, v5, v2
	v_addc_co_u32_e32 v3, vcc, 0, v7, vcc
	flat_load_ushort v2, v[2:3]
	s_waitcnt vmcnt(0) lgkmcnt(0)
	v_and_b32_e32 v4, 0xffff, v2
	v_cmp_ne_u16_sdwa s[28:29], v2, v24 src0_sel:BYTE_0 src1_sel:DWORD
	v_mov_b32_e32 v2, 0
	v_mov_b32_e32 v3, 0
	buffer_store_dword v2, off, s[0:3], s32 offset:868 ; 4-byte Folded Spill
	s_nop 0
	buffer_store_dword v3, off, s[0:3], s32 offset:872 ; 4-byte Folded Spill
	v_mov_b32_e32 v2, 0
	v_mov_b32_e32 v3, 0
	buffer_store_dword v2, off, s[0:3], s32 offset:860 ; 4-byte Folded Spill
	s_nop 0
	buffer_store_dword v3, off, s[0:3], s32 offset:864 ; 4-byte Folded Spill
	s_and_saveexec_b64 s[26:27], s[28:29]
	s_cbranch_execz .LBB206_575
; %bb.570:                              ;   in Loop: Header=BB206_12 Depth=1
	v_bfrev_b32_e32 v2, 1
	v_mov_b32_e32 v3, 0
	v_cmp_ne_u16_sdwa s[40:41], v4, s42 src0_sel:BYTE_0 src1_sel:DWORD
	buffer_store_dword v2, off, s[0:3], s32 offset:860 ; 4-byte Folded Spill
	s_nop 0
	buffer_store_dword v3, off, s[0:3], s32 offset:864 ; 4-byte Folded Spill
	s_and_saveexec_b64 s[28:29], s[40:41]
	s_cbranch_execz .LBB206_574
; %bb.571:                              ;   in Loop: Header=BB206_12 Depth=1
	v_and_b32_e32 v8, 0x7f, v4
	v_mov_b32_e32 v2, 0x7f800001
	v_mov_b32_e32 v3, 0
	v_cmp_ne_u32_e32 vcc, s43, v8
	buffer_store_dword v2, off, s[0:3], s32 offset:860 ; 4-byte Folded Spill
	s_nop 0
	buffer_store_dword v3, off, s[0:3], s32 offset:864 ; 4-byte Folded Spill
	s_and_saveexec_b64 s[40:41], vcc
	s_cbranch_execz .LBB206_573
; %bb.572:                              ;   in Loop: Header=BB206_12 Depth=1
	v_and_b32_e32 v9, 7, v4
	v_ffbh_u32_e32 v2, v9
	v_lshrrev_b32_e32 v12, 3, v8
	v_cmp_gt_u32_e32 vcc, 8, v8
	v_min_u32_e32 v8, 32, v2
	v_subrev_u32_e32 v2, 28, v8
	v_lshlrev_b64 v[2:3], v2, v[4:5]
	v_sub_u32_e32 v3, 29, v8
	v_and_b32_e32 v2, 7, v2
	v_cndmask_b32_e32 v3, v12, v3, vcc
	v_cndmask_b32_e32 v2, v9, v2, vcc
	v_bfrev_b32_e32 v6, 60
	v_lshlrev_b32_e32 v2, 20, v2
	v_and_b32_sdwa v8, sext(v4), s44 dst_sel:DWORD dst_unused:UNUSED_PAD src0_sel:BYTE_0 src1_sel:DWORD
	v_lshl_add_u32 v3, v3, 23, v6
	v_or3_b32 v2, v8, v3, v2
	v_mov_b32_e32 v3, v24
	buffer_store_dword v2, off, s[0:3], s32 offset:860 ; 4-byte Folded Spill
	s_nop 0
	buffer_store_dword v3, off, s[0:3], s32 offset:864 ; 4-byte Folded Spill
.LBB206_573:                            ;   in Loop: Header=BB206_12 Depth=1
	s_or_b64 exec, exec, s[40:41]
.LBB206_574:                            ;   in Loop: Header=BB206_12 Depth=1
	s_or_b64 exec, exec, s[28:29]
.LBB206_575:                            ;   in Loop: Header=BB206_12 Depth=1
	s_or_b64 exec, exec, s[26:27]
	v_cmp_ne_u16_sdwa s[28:29], v4, v24 src0_sel:BYTE_1 src1_sel:DWORD
	s_and_saveexec_b64 s[26:27], s[28:29]
	s_cbranch_execz .LBB206_581
; %bb.576:                              ;   in Loop: Header=BB206_12 Depth=1
	v_cmp_ne_u16_sdwa s[40:41], v4, s42 src0_sel:BYTE_1 src1_sel:DWORD
	buffer_store_dword v24, off, s[0:3], s32 offset:868 ; 4-byte Folded Spill
	s_nop 0
	buffer_store_dword v25, off, s[0:3], s32 offset:872 ; 4-byte Folded Spill
	s_and_saveexec_b64 s[28:29], s[40:41]
	s_cbranch_execz .LBB206_580
; %bb.577:                              ;   in Loop: Header=BB206_12 Depth=1
	buffer_load_dword v2, off, s[0:3], s32 offset:64 ; 4-byte Folded Reload
	buffer_load_dword v3, off, s[0:3], s32 offset:68 ; 4-byte Folded Reload
	v_and_b32_sdwa v8, v4, s43 dst_sel:DWORD dst_unused:UNUSED_PAD src0_sel:BYTE_1 src1_sel:DWORD
	v_cmp_ne_u32_e32 vcc, s43, v8
	s_waitcnt vmcnt(1)
	v_mov_b32_e32 v2, v24
	s_waitcnt vmcnt(0)
	v_mov_b32_e32 v6, v3
	buffer_store_dword v5, off, s[0:3], s32 offset:64 ; 4-byte Folded Spill
	s_nop 0
	buffer_store_dword v6, off, s[0:3], s32 offset:68 ; 4-byte Folded Spill
	buffer_store_dword v2, off, s[0:3], s32 offset:868 ; 4-byte Folded Spill
	s_nop 0
	buffer_store_dword v3, off, s[0:3], s32 offset:872 ; 4-byte Folded Spill
	s_and_saveexec_b64 s[40:41], vcc
	s_cbranch_execz .LBB206_579
; %bb.578:                              ;   in Loop: Header=BB206_12 Depth=1
	v_mov_b32_e32 v2, 7
	v_and_b32_sdwa v2, v4, v2 dst_sel:DWORD dst_unused:UNUSED_PAD src0_sel:BYTE_1 src1_sel:DWORD
	v_lshrrev_b32_e32 v12, 3, v8
	v_cmp_gt_u32_e32 vcc, 8, v8
	v_ffbh_u32_e32 v8, v2
	v_min_u32_e32 v14, 32, v8
	v_mov_b32_e32 v3, v24
	v_subrev_u32_e32 v8, 28, v14
	v_lshlrev_b64 v[8:9], v8, v[2:3]
	v_sub_u32_e32 v3, 29, v14
	v_and_b32_e32 v8, 7, v8
	v_cndmask_b32_e32 v3, v12, v3, vcc
	v_bfrev_b32_e32 v6, 60
	v_cndmask_b32_e32 v2, v2, v8, vcc
	v_lshlrev_b32_e32 v4, 16, v4
	v_lshl_add_u32 v3, v3, 23, v6
	v_and_or_b32 v3, v4, s44, v3
	v_lshlrev_b32_e32 v2, 20, v2
	v_or_b32_e32 v3, v3, v2
	v_mov_b32_e32 v2, v24
	buffer_store_dword v2, off, s[0:3], s32 offset:868 ; 4-byte Folded Spill
	s_nop 0
	buffer_store_dword v3, off, s[0:3], s32 offset:872 ; 4-byte Folded Spill
.LBB206_579:                            ;   in Loop: Header=BB206_12 Depth=1
	s_or_b64 exec, exec, s[40:41]
.LBB206_580:                            ;   in Loop: Header=BB206_12 Depth=1
	s_or_b64 exec, exec, s[28:29]
.LBB206_581:                            ;   in Loop: Header=BB206_12 Depth=1
	s_or_b64 exec, exec, s[26:27]
	buffer_load_dword v2, off, s[0:3], s32 offset:88 ; 4-byte Folded Reload
	s_waitcnt vmcnt(0)
	v_add_co_u32_e32 v2, vcc, v5, v2
	v_addc_co_u32_e32 v3, vcc, 0, v7, vcc
	flat_load_ushort v2, v[2:3]
	s_waitcnt vmcnt(0) lgkmcnt(0)
	v_and_b32_e32 v4, 0xffff, v2
	v_cmp_ne_u16_sdwa s[28:29], v2, v24 src0_sel:BYTE_0 src1_sel:DWORD
	v_mov_b32_e32 v2, 0
	v_mov_b32_e32 v3, 0
	buffer_store_dword v2, off, s[0:3], s32 offset:884 ; 4-byte Folded Spill
	s_nop 0
	buffer_store_dword v3, off, s[0:3], s32 offset:888 ; 4-byte Folded Spill
	v_mov_b32_e32 v2, 0
	v_mov_b32_e32 v3, 0
	buffer_store_dword v2, off, s[0:3], s32 offset:876 ; 4-byte Folded Spill
	s_nop 0
	buffer_store_dword v3, off, s[0:3], s32 offset:880 ; 4-byte Folded Spill
	s_and_saveexec_b64 s[26:27], s[28:29]
	s_cbranch_execz .LBB206_587
; %bb.582:                              ;   in Loop: Header=BB206_12 Depth=1
	v_bfrev_b32_e32 v2, 1
	v_mov_b32_e32 v3, 0
	v_cmp_ne_u16_sdwa s[40:41], v4, s42 src0_sel:BYTE_0 src1_sel:DWORD
	buffer_store_dword v2, off, s[0:3], s32 offset:876 ; 4-byte Folded Spill
	s_nop 0
	buffer_store_dword v3, off, s[0:3], s32 offset:880 ; 4-byte Folded Spill
	s_and_saveexec_b64 s[28:29], s[40:41]
	s_cbranch_execz .LBB206_586
; %bb.583:                              ;   in Loop: Header=BB206_12 Depth=1
	v_and_b32_e32 v5, 0x7f, v4
	v_mov_b32_e32 v2, 0x7f800001
	v_mov_b32_e32 v3, 0
	v_cmp_ne_u32_e32 vcc, s43, v5
	buffer_store_dword v2, off, s[0:3], s32 offset:876 ; 4-byte Folded Spill
	s_nop 0
	buffer_store_dword v3, off, s[0:3], s32 offset:880 ; 4-byte Folded Spill
	s_and_saveexec_b64 s[40:41], vcc
	s_cbranch_execz .LBB206_585
; %bb.584:                              ;   in Loop: Header=BB206_12 Depth=1
	v_and_b32_e32 v7, 7, v4
	v_ffbh_u32_e32 v2, v7
	v_lshrrev_b32_e32 v8, 3, v5
	v_cmp_gt_u32_e32 vcc, 8, v5
	v_min_u32_e32 v5, 32, v2
	v_subrev_u32_e32 v2, 28, v5
	v_lshlrev_b64 v[2:3], v2, v[4:5]
	v_sub_u32_e32 v3, 29, v5
	v_and_b32_e32 v2, 7, v2
	v_cndmask_b32_e32 v3, v8, v3, vcc
	v_cndmask_b32_e32 v2, v7, v2, vcc
	v_bfrev_b32_e32 v6, 60
	v_lshlrev_b32_e32 v2, 20, v2
	v_and_b32_sdwa v5, sext(v4), s44 dst_sel:DWORD dst_unused:UNUSED_PAD src0_sel:BYTE_0 src1_sel:DWORD
	v_lshl_add_u32 v3, v3, 23, v6
	v_or3_b32 v2, v5, v3, v2
	v_mov_b32_e32 v3, v24
	buffer_store_dword v2, off, s[0:3], s32 offset:876 ; 4-byte Folded Spill
	s_nop 0
	buffer_store_dword v3, off, s[0:3], s32 offset:880 ; 4-byte Folded Spill
.LBB206_585:                            ;   in Loop: Header=BB206_12 Depth=1
	s_or_b64 exec, exec, s[40:41]
.LBB206_586:                            ;   in Loop: Header=BB206_12 Depth=1
	s_or_b64 exec, exec, s[28:29]
.LBB206_587:                            ;   in Loop: Header=BB206_12 Depth=1
	s_or_b64 exec, exec, s[26:27]
	v_cmp_ne_u16_sdwa s[28:29], v4, v24 src0_sel:BYTE_1 src1_sel:DWORD
	s_and_saveexec_b64 s[26:27], s[28:29]
	s_cbranch_execz .LBB206_593
; %bb.588:                              ;   in Loop: Header=BB206_12 Depth=1
	v_cmp_ne_u16_sdwa s[40:41], v4, s42 src0_sel:BYTE_1 src1_sel:DWORD
	buffer_store_dword v24, off, s[0:3], s32 offset:884 ; 4-byte Folded Spill
	s_nop 0
	buffer_store_dword v25, off, s[0:3], s32 offset:888 ; 4-byte Folded Spill
	s_and_saveexec_b64 s[28:29], s[40:41]
	s_cbranch_execz .LBB206_592
; %bb.589:                              ;   in Loop: Header=BB206_12 Depth=1
	buffer_load_dword v2, off, s[0:3], s32 offset:64 ; 4-byte Folded Reload
	buffer_load_dword v3, off, s[0:3], s32 offset:68 ; 4-byte Folded Reload
	v_and_b32_sdwa v5, v4, s43 dst_sel:DWORD dst_unused:UNUSED_PAD src0_sel:BYTE_1 src1_sel:DWORD
	v_cmp_ne_u32_e32 vcc, s43, v5
	s_waitcnt vmcnt(1)
	v_mov_b32_e32 v2, v24
	s_waitcnt vmcnt(0)
	v_mov_b32_e32 v6, v3
	buffer_store_dword v5, off, s[0:3], s32 offset:64 ; 4-byte Folded Spill
	s_nop 0
	buffer_store_dword v6, off, s[0:3], s32 offset:68 ; 4-byte Folded Spill
	buffer_store_dword v2, off, s[0:3], s32 offset:884 ; 4-byte Folded Spill
	s_nop 0
	buffer_store_dword v3, off, s[0:3], s32 offset:888 ; 4-byte Folded Spill
	s_and_saveexec_b64 s[40:41], vcc
	s_cbranch_execz .LBB206_591
; %bb.590:                              ;   in Loop: Header=BB206_12 Depth=1
	v_mov_b32_e32 v2, 7
	v_and_b32_sdwa v2, v4, v2 dst_sel:DWORD dst_unused:UNUSED_PAD src0_sel:BYTE_1 src1_sel:DWORD
	v_lshrrev_b32_e32 v9, 3, v5
	v_cmp_gt_u32_e32 vcc, 8, v5
	v_ffbh_u32_e32 v5, v2
	v_min_u32_e32 v5, 32, v5
	v_mov_b32_e32 v3, v24
	v_subrev_u32_e32 v7, 28, v5
	v_lshlrev_b64 v[7:8], v7, v[2:3]
	v_sub_u32_e32 v3, 29, v5
	v_and_b32_e32 v5, 7, v7
	v_cndmask_b32_e32 v3, v9, v3, vcc
	v_cndmask_b32_e32 v2, v2, v5, vcc
	v_bfrev_b32_e32 v5, 60
	v_lshlrev_b32_e32 v4, 16, v4
	v_lshl_add_u32 v3, v3, 23, v5
	v_and_or_b32 v3, v4, s44, v3
	v_lshlrev_b32_e32 v2, 20, v2
	v_or_b32_e32 v3, v3, v2
	v_mov_b32_e32 v2, v24
	buffer_store_dword v2, off, s[0:3], s32 offset:884 ; 4-byte Folded Spill
	s_nop 0
	buffer_store_dword v3, off, s[0:3], s32 offset:888 ; 4-byte Folded Spill
.LBB206_591:                            ;   in Loop: Header=BB206_12 Depth=1
	s_or_b64 exec, exec, s[40:41]
.LBB206_592:                            ;   in Loop: Header=BB206_12 Depth=1
	s_or_b64 exec, exec, s[28:29]
.LBB206_593:                            ;   in Loop: Header=BB206_12 Depth=1
	s_or_b64 exec, exec, s[26:27]
	buffer_load_dword v2, off, s[0:3], s32 offset:76 ; 4-byte Folded Reload
	v_add_co_u32_e32 v5, vcc, 0x1800, v0
	v_addc_co_u32_e32 v7, vcc, 0, v1, vcc
	s_waitcnt vmcnt(0)
	v_add_co_u32_e32 v2, vcc, v5, v2
	v_addc_co_u32_e32 v3, vcc, 0, v7, vcc
	flat_load_ushort v2, v[2:3]
	s_waitcnt vmcnt(0) lgkmcnt(0)
	v_and_b32_e32 v4, 0xffff, v2
	v_cmp_ne_u16_sdwa s[28:29], v2, v24 src0_sel:BYTE_0 src1_sel:DWORD
	v_mov_b32_e32 v2, 0
	v_mov_b32_e32 v3, 0
	buffer_store_dword v2, off, s[0:3], s32 offset:900 ; 4-byte Folded Spill
	s_nop 0
	buffer_store_dword v3, off, s[0:3], s32 offset:904 ; 4-byte Folded Spill
	v_mov_b32_e32 v2, 0
	v_mov_b32_e32 v3, 0
	buffer_store_dword v2, off, s[0:3], s32 offset:892 ; 4-byte Folded Spill
	s_nop 0
	buffer_store_dword v3, off, s[0:3], s32 offset:896 ; 4-byte Folded Spill
	s_and_saveexec_b64 s[26:27], s[28:29]
	s_cbranch_execz .LBB206_599
; %bb.594:                              ;   in Loop: Header=BB206_12 Depth=1
	v_bfrev_b32_e32 v2, 1
	v_mov_b32_e32 v3, 0
	v_cmp_ne_u16_sdwa s[40:41], v4, s42 src0_sel:BYTE_0 src1_sel:DWORD
	buffer_store_dword v2, off, s[0:3], s32 offset:892 ; 4-byte Folded Spill
	s_nop 0
	buffer_store_dword v3, off, s[0:3], s32 offset:896 ; 4-byte Folded Spill
	s_and_saveexec_b64 s[28:29], s[40:41]
	s_cbranch_execz .LBB206_598
; %bb.595:                              ;   in Loop: Header=BB206_12 Depth=1
	v_and_b32_e32 v8, 0x7f, v4
	v_mov_b32_e32 v2, 0x7f800001
	v_mov_b32_e32 v3, 0
	v_cmp_ne_u32_e32 vcc, s43, v8
	buffer_store_dword v2, off, s[0:3], s32 offset:892 ; 4-byte Folded Spill
	s_nop 0
	buffer_store_dword v3, off, s[0:3], s32 offset:896 ; 4-byte Folded Spill
	s_and_saveexec_b64 s[40:41], vcc
	s_cbranch_execz .LBB206_597
; %bb.596:                              ;   in Loop: Header=BB206_12 Depth=1
	v_and_b32_e32 v9, 7, v4
	v_ffbh_u32_e32 v2, v9
	v_lshrrev_b32_e32 v12, 3, v8
	v_cmp_gt_u32_e32 vcc, 8, v8
	v_min_u32_e32 v8, 32, v2
	v_subrev_u32_e32 v2, 28, v8
	v_lshlrev_b64 v[2:3], v2, v[4:5]
	v_sub_u32_e32 v3, 29, v8
	v_and_b32_e32 v2, 7, v2
	v_cndmask_b32_e32 v3, v12, v3, vcc
	v_cndmask_b32_e32 v2, v9, v2, vcc
	v_bfrev_b32_e32 v6, 60
	v_lshlrev_b32_e32 v2, 20, v2
	v_and_b32_sdwa v8, sext(v4), s44 dst_sel:DWORD dst_unused:UNUSED_PAD src0_sel:BYTE_0 src1_sel:DWORD
	v_lshl_add_u32 v3, v3, 23, v6
	v_or3_b32 v2, v8, v3, v2
	v_mov_b32_e32 v3, v24
	buffer_store_dword v2, off, s[0:3], s32 offset:892 ; 4-byte Folded Spill
	s_nop 0
	buffer_store_dword v3, off, s[0:3], s32 offset:896 ; 4-byte Folded Spill
.LBB206_597:                            ;   in Loop: Header=BB206_12 Depth=1
	s_or_b64 exec, exec, s[40:41]
.LBB206_598:                            ;   in Loop: Header=BB206_12 Depth=1
	s_or_b64 exec, exec, s[28:29]
.LBB206_599:                            ;   in Loop: Header=BB206_12 Depth=1
	s_or_b64 exec, exec, s[26:27]
	v_cmp_ne_u16_sdwa s[28:29], v4, v24 src0_sel:BYTE_1 src1_sel:DWORD
	s_and_saveexec_b64 s[26:27], s[28:29]
	s_cbranch_execz .LBB206_605
; %bb.600:                              ;   in Loop: Header=BB206_12 Depth=1
	v_cmp_ne_u16_sdwa s[40:41], v4, s42 src0_sel:BYTE_1 src1_sel:DWORD
	buffer_store_dword v24, off, s[0:3], s32 offset:900 ; 4-byte Folded Spill
	s_nop 0
	buffer_store_dword v25, off, s[0:3], s32 offset:904 ; 4-byte Folded Spill
	s_and_saveexec_b64 s[28:29], s[40:41]
	s_cbranch_execz .LBB206_604
; %bb.601:                              ;   in Loop: Header=BB206_12 Depth=1
	buffer_load_dword v2, off, s[0:3], s32 offset:64 ; 4-byte Folded Reload
	buffer_load_dword v3, off, s[0:3], s32 offset:68 ; 4-byte Folded Reload
	v_and_b32_sdwa v8, v4, s43 dst_sel:DWORD dst_unused:UNUSED_PAD src0_sel:BYTE_1 src1_sel:DWORD
	v_cmp_ne_u32_e32 vcc, s43, v8
	s_waitcnt vmcnt(1)
	v_mov_b32_e32 v2, v24
	s_waitcnt vmcnt(0)
	v_mov_b32_e32 v6, v3
	buffer_store_dword v5, off, s[0:3], s32 offset:64 ; 4-byte Folded Spill
	s_nop 0
	buffer_store_dword v6, off, s[0:3], s32 offset:68 ; 4-byte Folded Spill
	buffer_store_dword v2, off, s[0:3], s32 offset:900 ; 4-byte Folded Spill
	s_nop 0
	buffer_store_dword v3, off, s[0:3], s32 offset:904 ; 4-byte Folded Spill
	s_and_saveexec_b64 s[40:41], vcc
	s_cbranch_execz .LBB206_603
; %bb.602:                              ;   in Loop: Header=BB206_12 Depth=1
	v_mov_b32_e32 v2, 7
	v_and_b32_sdwa v2, v4, v2 dst_sel:DWORD dst_unused:UNUSED_PAD src0_sel:BYTE_1 src1_sel:DWORD
	v_lshrrev_b32_e32 v12, 3, v8
	v_cmp_gt_u32_e32 vcc, 8, v8
	v_ffbh_u32_e32 v8, v2
	v_min_u32_e32 v14, 32, v8
	v_mov_b32_e32 v3, v24
	v_subrev_u32_e32 v8, 28, v14
	v_lshlrev_b64 v[8:9], v8, v[2:3]
	v_sub_u32_e32 v3, 29, v14
	v_and_b32_e32 v8, 7, v8
	v_cndmask_b32_e32 v3, v12, v3, vcc
	v_bfrev_b32_e32 v6, 60
	v_cndmask_b32_e32 v2, v2, v8, vcc
	v_lshlrev_b32_e32 v4, 16, v4
	v_lshl_add_u32 v3, v3, 23, v6
	v_and_or_b32 v3, v4, s44, v3
	v_lshlrev_b32_e32 v2, 20, v2
	v_or_b32_e32 v3, v3, v2
	v_mov_b32_e32 v2, v24
	buffer_store_dword v2, off, s[0:3], s32 offset:900 ; 4-byte Folded Spill
	s_nop 0
	buffer_store_dword v3, off, s[0:3], s32 offset:904 ; 4-byte Folded Spill
.LBB206_603:                            ;   in Loop: Header=BB206_12 Depth=1
	s_or_b64 exec, exec, s[40:41]
.LBB206_604:                            ;   in Loop: Header=BB206_12 Depth=1
	s_or_b64 exec, exec, s[28:29]
.LBB206_605:                            ;   in Loop: Header=BB206_12 Depth=1
	s_or_b64 exec, exec, s[26:27]
	buffer_load_dword v2, off, s[0:3], s32 offset:80 ; 4-byte Folded Reload
	s_waitcnt vmcnt(0)
	v_add_co_u32_e32 v2, vcc, v5, v2
	v_addc_co_u32_e32 v3, vcc, 0, v7, vcc
	flat_load_ushort v2, v[2:3]
	s_waitcnt vmcnt(0) lgkmcnt(0)
	v_and_b32_e32 v4, 0xffff, v2
	v_cmp_ne_u16_sdwa s[28:29], v2, v24 src0_sel:BYTE_0 src1_sel:DWORD
	v_mov_b32_e32 v2, 0
	v_mov_b32_e32 v3, 0
	buffer_store_dword v2, off, s[0:3], s32 offset:916 ; 4-byte Folded Spill
	s_nop 0
	buffer_store_dword v3, off, s[0:3], s32 offset:920 ; 4-byte Folded Spill
	v_mov_b32_e32 v2, 0
	v_mov_b32_e32 v3, 0
	buffer_store_dword v2, off, s[0:3], s32 offset:908 ; 4-byte Folded Spill
	s_nop 0
	buffer_store_dword v3, off, s[0:3], s32 offset:912 ; 4-byte Folded Spill
	s_and_saveexec_b64 s[26:27], s[28:29]
	s_cbranch_execz .LBB206_611
; %bb.606:                              ;   in Loop: Header=BB206_12 Depth=1
	v_bfrev_b32_e32 v2, 1
	v_mov_b32_e32 v3, 0
	v_cmp_ne_u16_sdwa s[40:41], v4, s42 src0_sel:BYTE_0 src1_sel:DWORD
	buffer_store_dword v2, off, s[0:3], s32 offset:908 ; 4-byte Folded Spill
	s_nop 0
	buffer_store_dword v3, off, s[0:3], s32 offset:912 ; 4-byte Folded Spill
	s_and_saveexec_b64 s[28:29], s[40:41]
	s_cbranch_execz .LBB206_610
; %bb.607:                              ;   in Loop: Header=BB206_12 Depth=1
	v_and_b32_e32 v8, 0x7f, v4
	v_mov_b32_e32 v2, 0x7f800001
	v_mov_b32_e32 v3, 0
	v_cmp_ne_u32_e32 vcc, s43, v8
	buffer_store_dword v2, off, s[0:3], s32 offset:908 ; 4-byte Folded Spill
	s_nop 0
	buffer_store_dword v3, off, s[0:3], s32 offset:912 ; 4-byte Folded Spill
	s_and_saveexec_b64 s[40:41], vcc
	s_cbranch_execz .LBB206_609
; %bb.608:                              ;   in Loop: Header=BB206_12 Depth=1
	v_and_b32_e32 v9, 7, v4
	v_ffbh_u32_e32 v2, v9
	v_lshrrev_b32_e32 v12, 3, v8
	v_cmp_gt_u32_e32 vcc, 8, v8
	v_min_u32_e32 v8, 32, v2
	v_subrev_u32_e32 v2, 28, v8
	v_lshlrev_b64 v[2:3], v2, v[4:5]
	v_sub_u32_e32 v3, 29, v8
	v_and_b32_e32 v2, 7, v2
	v_cndmask_b32_e32 v3, v12, v3, vcc
	v_cndmask_b32_e32 v2, v9, v2, vcc
	v_bfrev_b32_e32 v6, 60
	v_lshlrev_b32_e32 v2, 20, v2
	v_and_b32_sdwa v8, sext(v4), s44 dst_sel:DWORD dst_unused:UNUSED_PAD src0_sel:BYTE_0 src1_sel:DWORD
	v_lshl_add_u32 v3, v3, 23, v6
	v_or3_b32 v2, v8, v3, v2
	v_mov_b32_e32 v3, v24
	buffer_store_dword v2, off, s[0:3], s32 offset:908 ; 4-byte Folded Spill
	s_nop 0
	buffer_store_dword v3, off, s[0:3], s32 offset:912 ; 4-byte Folded Spill
.LBB206_609:                            ;   in Loop: Header=BB206_12 Depth=1
	s_or_b64 exec, exec, s[40:41]
.LBB206_610:                            ;   in Loop: Header=BB206_12 Depth=1
	s_or_b64 exec, exec, s[28:29]
.LBB206_611:                            ;   in Loop: Header=BB206_12 Depth=1
	s_or_b64 exec, exec, s[26:27]
	v_cmp_ne_u16_sdwa s[28:29], v4, v24 src0_sel:BYTE_1 src1_sel:DWORD
	s_and_saveexec_b64 s[26:27], s[28:29]
	s_cbranch_execz .LBB206_617
; %bb.612:                              ;   in Loop: Header=BB206_12 Depth=1
	v_cmp_ne_u16_sdwa s[40:41], v4, s42 src0_sel:BYTE_1 src1_sel:DWORD
	buffer_store_dword v24, off, s[0:3], s32 offset:916 ; 4-byte Folded Spill
	s_nop 0
	buffer_store_dword v25, off, s[0:3], s32 offset:920 ; 4-byte Folded Spill
	s_and_saveexec_b64 s[28:29], s[40:41]
	s_cbranch_execz .LBB206_616
; %bb.613:                              ;   in Loop: Header=BB206_12 Depth=1
	buffer_load_dword v2, off, s[0:3], s32 offset:64 ; 4-byte Folded Reload
	buffer_load_dword v3, off, s[0:3], s32 offset:68 ; 4-byte Folded Reload
	v_and_b32_sdwa v8, v4, s43 dst_sel:DWORD dst_unused:UNUSED_PAD src0_sel:BYTE_1 src1_sel:DWORD
	v_cmp_ne_u32_e32 vcc, s43, v8
	s_waitcnt vmcnt(1)
	v_mov_b32_e32 v2, v24
	s_waitcnt vmcnt(0)
	v_mov_b32_e32 v6, v3
	buffer_store_dword v5, off, s[0:3], s32 offset:64 ; 4-byte Folded Spill
	s_nop 0
	buffer_store_dword v6, off, s[0:3], s32 offset:68 ; 4-byte Folded Spill
	buffer_store_dword v2, off, s[0:3], s32 offset:916 ; 4-byte Folded Spill
	s_nop 0
	buffer_store_dword v3, off, s[0:3], s32 offset:920 ; 4-byte Folded Spill
	s_and_saveexec_b64 s[40:41], vcc
	s_cbranch_execz .LBB206_615
; %bb.614:                              ;   in Loop: Header=BB206_12 Depth=1
	v_mov_b32_e32 v2, 7
	v_and_b32_sdwa v2, v4, v2 dst_sel:DWORD dst_unused:UNUSED_PAD src0_sel:BYTE_1 src1_sel:DWORD
	v_lshrrev_b32_e32 v12, 3, v8
	v_cmp_gt_u32_e32 vcc, 8, v8
	v_ffbh_u32_e32 v8, v2
	v_min_u32_e32 v14, 32, v8
	v_mov_b32_e32 v3, v24
	v_subrev_u32_e32 v8, 28, v14
	v_lshlrev_b64 v[8:9], v8, v[2:3]
	v_sub_u32_e32 v3, 29, v14
	v_and_b32_e32 v8, 7, v8
	v_cndmask_b32_e32 v3, v12, v3, vcc
	v_bfrev_b32_e32 v6, 60
	v_cndmask_b32_e32 v2, v2, v8, vcc
	v_lshlrev_b32_e32 v4, 16, v4
	v_lshl_add_u32 v3, v3, 23, v6
	v_and_or_b32 v3, v4, s44, v3
	v_lshlrev_b32_e32 v2, 20, v2
	v_or_b32_e32 v3, v3, v2
	v_mov_b32_e32 v2, v24
	buffer_store_dword v2, off, s[0:3], s32 offset:916 ; 4-byte Folded Spill
	s_nop 0
	buffer_store_dword v3, off, s[0:3], s32 offset:920 ; 4-byte Folded Spill
.LBB206_615:                            ;   in Loop: Header=BB206_12 Depth=1
	s_or_b64 exec, exec, s[40:41]
.LBB206_616:                            ;   in Loop: Header=BB206_12 Depth=1
	s_or_b64 exec, exec, s[28:29]
.LBB206_617:                            ;   in Loop: Header=BB206_12 Depth=1
	s_or_b64 exec, exec, s[26:27]
	buffer_load_dword v2, off, s[0:3], s32 offset:84 ; 4-byte Folded Reload
	s_waitcnt vmcnt(0)
	v_add_co_u32_e32 v2, vcc, v5, v2
	v_addc_co_u32_e32 v3, vcc, 0, v7, vcc
	flat_load_ushort v2, v[2:3]
	s_waitcnt vmcnt(0) lgkmcnt(0)
	v_and_b32_e32 v4, 0xffff, v2
	v_cmp_ne_u16_sdwa s[28:29], v2, v24 src0_sel:BYTE_0 src1_sel:DWORD
	v_mov_b32_e32 v2, 0
	v_mov_b32_e32 v3, 0
	buffer_store_dword v2, off, s[0:3], s32 offset:932 ; 4-byte Folded Spill
	s_nop 0
	buffer_store_dword v3, off, s[0:3], s32 offset:936 ; 4-byte Folded Spill
	v_mov_b32_e32 v2, 0
	v_mov_b32_e32 v3, 0
	buffer_store_dword v2, off, s[0:3], s32 offset:924 ; 4-byte Folded Spill
	s_nop 0
	buffer_store_dword v3, off, s[0:3], s32 offset:928 ; 4-byte Folded Spill
	s_and_saveexec_b64 s[26:27], s[28:29]
	s_cbranch_execz .LBB206_623
; %bb.618:                              ;   in Loop: Header=BB206_12 Depth=1
	v_bfrev_b32_e32 v2, 1
	v_mov_b32_e32 v3, 0
	v_cmp_ne_u16_sdwa s[40:41], v4, s42 src0_sel:BYTE_0 src1_sel:DWORD
	buffer_store_dword v2, off, s[0:3], s32 offset:924 ; 4-byte Folded Spill
	s_nop 0
	buffer_store_dword v3, off, s[0:3], s32 offset:928 ; 4-byte Folded Spill
	s_and_saveexec_b64 s[28:29], s[40:41]
	s_cbranch_execz .LBB206_622
; %bb.619:                              ;   in Loop: Header=BB206_12 Depth=1
	v_and_b32_e32 v8, 0x7f, v4
	v_mov_b32_e32 v2, 0x7f800001
	v_mov_b32_e32 v3, 0
	v_cmp_ne_u32_e32 vcc, s43, v8
	buffer_store_dword v2, off, s[0:3], s32 offset:924 ; 4-byte Folded Spill
	s_nop 0
	buffer_store_dword v3, off, s[0:3], s32 offset:928 ; 4-byte Folded Spill
	s_and_saveexec_b64 s[40:41], vcc
	s_cbranch_execz .LBB206_621
; %bb.620:                              ;   in Loop: Header=BB206_12 Depth=1
	v_and_b32_e32 v9, 7, v4
	v_ffbh_u32_e32 v2, v9
	v_lshrrev_b32_e32 v12, 3, v8
	v_cmp_gt_u32_e32 vcc, 8, v8
	v_min_u32_e32 v8, 32, v2
	v_subrev_u32_e32 v2, 28, v8
	v_lshlrev_b64 v[2:3], v2, v[4:5]
	v_sub_u32_e32 v3, 29, v8
	v_and_b32_e32 v2, 7, v2
	v_cndmask_b32_e32 v3, v12, v3, vcc
	v_cndmask_b32_e32 v2, v9, v2, vcc
	v_bfrev_b32_e32 v6, 60
	v_lshlrev_b32_e32 v2, 20, v2
	v_and_b32_sdwa v8, sext(v4), s44 dst_sel:DWORD dst_unused:UNUSED_PAD src0_sel:BYTE_0 src1_sel:DWORD
	v_lshl_add_u32 v3, v3, 23, v6
	v_or3_b32 v2, v8, v3, v2
	v_mov_b32_e32 v3, v24
	buffer_store_dword v2, off, s[0:3], s32 offset:924 ; 4-byte Folded Spill
	s_nop 0
	buffer_store_dword v3, off, s[0:3], s32 offset:928 ; 4-byte Folded Spill
.LBB206_621:                            ;   in Loop: Header=BB206_12 Depth=1
	s_or_b64 exec, exec, s[40:41]
.LBB206_622:                            ;   in Loop: Header=BB206_12 Depth=1
	s_or_b64 exec, exec, s[28:29]
.LBB206_623:                            ;   in Loop: Header=BB206_12 Depth=1
	s_or_b64 exec, exec, s[26:27]
	v_cmp_ne_u16_sdwa s[28:29], v4, v24 src0_sel:BYTE_1 src1_sel:DWORD
	s_and_saveexec_b64 s[26:27], s[28:29]
	s_cbranch_execz .LBB206_629
; %bb.624:                              ;   in Loop: Header=BB206_12 Depth=1
	v_cmp_ne_u16_sdwa s[40:41], v4, s42 src0_sel:BYTE_1 src1_sel:DWORD
	buffer_store_dword v24, off, s[0:3], s32 offset:932 ; 4-byte Folded Spill
	s_nop 0
	buffer_store_dword v25, off, s[0:3], s32 offset:936 ; 4-byte Folded Spill
	s_and_saveexec_b64 s[28:29], s[40:41]
	s_cbranch_execz .LBB206_628
; %bb.625:                              ;   in Loop: Header=BB206_12 Depth=1
	buffer_load_dword v2, off, s[0:3], s32 offset:64 ; 4-byte Folded Reload
	buffer_load_dword v3, off, s[0:3], s32 offset:68 ; 4-byte Folded Reload
	v_and_b32_sdwa v8, v4, s43 dst_sel:DWORD dst_unused:UNUSED_PAD src0_sel:BYTE_1 src1_sel:DWORD
	v_cmp_ne_u32_e32 vcc, s43, v8
	s_waitcnt vmcnt(1)
	v_mov_b32_e32 v2, v24
	s_waitcnt vmcnt(0)
	v_mov_b32_e32 v6, v3
	buffer_store_dword v5, off, s[0:3], s32 offset:64 ; 4-byte Folded Spill
	s_nop 0
	buffer_store_dword v6, off, s[0:3], s32 offset:68 ; 4-byte Folded Spill
	buffer_store_dword v2, off, s[0:3], s32 offset:932 ; 4-byte Folded Spill
	s_nop 0
	buffer_store_dword v3, off, s[0:3], s32 offset:936 ; 4-byte Folded Spill
	s_and_saveexec_b64 s[40:41], vcc
	s_cbranch_execz .LBB206_627
; %bb.626:                              ;   in Loop: Header=BB206_12 Depth=1
	v_mov_b32_e32 v2, 7
	v_and_b32_sdwa v2, v4, v2 dst_sel:DWORD dst_unused:UNUSED_PAD src0_sel:BYTE_1 src1_sel:DWORD
	v_lshrrev_b32_e32 v12, 3, v8
	v_cmp_gt_u32_e32 vcc, 8, v8
	v_ffbh_u32_e32 v8, v2
	v_min_u32_e32 v14, 32, v8
	v_mov_b32_e32 v3, v24
	v_subrev_u32_e32 v8, 28, v14
	v_lshlrev_b64 v[8:9], v8, v[2:3]
	v_sub_u32_e32 v3, 29, v14
	v_and_b32_e32 v8, 7, v8
	v_cndmask_b32_e32 v3, v12, v3, vcc
	v_bfrev_b32_e32 v6, 60
	v_cndmask_b32_e32 v2, v2, v8, vcc
	v_lshlrev_b32_e32 v4, 16, v4
	v_lshl_add_u32 v3, v3, 23, v6
	v_and_or_b32 v3, v4, s44, v3
	v_lshlrev_b32_e32 v2, 20, v2
	v_or_b32_e32 v3, v3, v2
	v_mov_b32_e32 v2, v24
	buffer_store_dword v2, off, s[0:3], s32 offset:932 ; 4-byte Folded Spill
	s_nop 0
	buffer_store_dword v3, off, s[0:3], s32 offset:936 ; 4-byte Folded Spill
.LBB206_627:                            ;   in Loop: Header=BB206_12 Depth=1
	s_or_b64 exec, exec, s[40:41]
.LBB206_628:                            ;   in Loop: Header=BB206_12 Depth=1
	s_or_b64 exec, exec, s[28:29]
.LBB206_629:                            ;   in Loop: Header=BB206_12 Depth=1
	s_or_b64 exec, exec, s[26:27]
	buffer_load_dword v2, off, s[0:3], s32 offset:88 ; 4-byte Folded Reload
	s_waitcnt vmcnt(0)
	v_add_co_u32_e32 v2, vcc, v5, v2
	v_addc_co_u32_e32 v3, vcc, 0, v7, vcc
	flat_load_ushort v2, v[2:3]
	s_waitcnt vmcnt(0) lgkmcnt(0)
	v_and_b32_e32 v4, 0xffff, v2
	v_cmp_ne_u16_sdwa s[28:29], v2, v24 src0_sel:BYTE_0 src1_sel:DWORD
	v_mov_b32_e32 v2, 0
	v_mov_b32_e32 v3, 0
	buffer_store_dword v2, off, s[0:3], s32 offset:948 ; 4-byte Folded Spill
	s_nop 0
	buffer_store_dword v3, off, s[0:3], s32 offset:952 ; 4-byte Folded Spill
	v_mov_b32_e32 v2, 0
	v_mov_b32_e32 v3, 0
	buffer_store_dword v2, off, s[0:3], s32 offset:940 ; 4-byte Folded Spill
	s_nop 0
	buffer_store_dword v3, off, s[0:3], s32 offset:944 ; 4-byte Folded Spill
	s_and_saveexec_b64 s[26:27], s[28:29]
	s_cbranch_execz .LBB206_635
; %bb.630:                              ;   in Loop: Header=BB206_12 Depth=1
	v_bfrev_b32_e32 v2, 1
	v_mov_b32_e32 v3, 0
	v_cmp_ne_u16_sdwa s[40:41], v4, s42 src0_sel:BYTE_0 src1_sel:DWORD
	buffer_store_dword v2, off, s[0:3], s32 offset:940 ; 4-byte Folded Spill
	s_nop 0
	buffer_store_dword v3, off, s[0:3], s32 offset:944 ; 4-byte Folded Spill
	s_and_saveexec_b64 s[28:29], s[40:41]
	s_cbranch_execz .LBB206_634
; %bb.631:                              ;   in Loop: Header=BB206_12 Depth=1
	v_and_b32_e32 v5, 0x7f, v4
	v_mov_b32_e32 v2, 0x7f800001
	v_mov_b32_e32 v3, 0
	v_cmp_ne_u32_e32 vcc, s43, v5
	buffer_store_dword v2, off, s[0:3], s32 offset:940 ; 4-byte Folded Spill
	s_nop 0
	buffer_store_dword v3, off, s[0:3], s32 offset:944 ; 4-byte Folded Spill
	s_and_saveexec_b64 s[40:41], vcc
	s_cbranch_execz .LBB206_633
; %bb.632:                              ;   in Loop: Header=BB206_12 Depth=1
	v_and_b32_e32 v7, 7, v4
	v_ffbh_u32_e32 v2, v7
	v_lshrrev_b32_e32 v8, 3, v5
	v_cmp_gt_u32_e32 vcc, 8, v5
	v_min_u32_e32 v5, 32, v2
	v_subrev_u32_e32 v2, 28, v5
	v_lshlrev_b64 v[2:3], v2, v[4:5]
	v_sub_u32_e32 v3, 29, v5
	v_and_b32_e32 v2, 7, v2
	v_cndmask_b32_e32 v3, v8, v3, vcc
	v_cndmask_b32_e32 v2, v7, v2, vcc
	v_bfrev_b32_e32 v6, 60
	v_lshlrev_b32_e32 v2, 20, v2
	v_and_b32_sdwa v5, sext(v4), s44 dst_sel:DWORD dst_unused:UNUSED_PAD src0_sel:BYTE_0 src1_sel:DWORD
	v_lshl_add_u32 v3, v3, 23, v6
	v_or3_b32 v2, v5, v3, v2
	v_mov_b32_e32 v3, v24
	buffer_store_dword v2, off, s[0:3], s32 offset:940 ; 4-byte Folded Spill
	s_nop 0
	buffer_store_dword v3, off, s[0:3], s32 offset:944 ; 4-byte Folded Spill
.LBB206_633:                            ;   in Loop: Header=BB206_12 Depth=1
	s_or_b64 exec, exec, s[40:41]
.LBB206_634:                            ;   in Loop: Header=BB206_12 Depth=1
	s_or_b64 exec, exec, s[28:29]
.LBB206_635:                            ;   in Loop: Header=BB206_12 Depth=1
	s_or_b64 exec, exec, s[26:27]
	v_cmp_ne_u16_sdwa s[28:29], v4, v24 src0_sel:BYTE_1 src1_sel:DWORD
	s_and_saveexec_b64 s[26:27], s[28:29]
	s_cbranch_execz .LBB206_641
; %bb.636:                              ;   in Loop: Header=BB206_12 Depth=1
	v_cmp_ne_u16_sdwa s[40:41], v4, s42 src0_sel:BYTE_1 src1_sel:DWORD
	buffer_store_dword v24, off, s[0:3], s32 offset:948 ; 4-byte Folded Spill
	s_nop 0
	buffer_store_dword v25, off, s[0:3], s32 offset:952 ; 4-byte Folded Spill
	s_and_saveexec_b64 s[28:29], s[40:41]
	s_cbranch_execz .LBB206_640
; %bb.637:                              ;   in Loop: Header=BB206_12 Depth=1
	buffer_load_dword v2, off, s[0:3], s32 offset:64 ; 4-byte Folded Reload
	buffer_load_dword v3, off, s[0:3], s32 offset:68 ; 4-byte Folded Reload
	v_and_b32_sdwa v5, v4, s43 dst_sel:DWORD dst_unused:UNUSED_PAD src0_sel:BYTE_1 src1_sel:DWORD
	v_cmp_ne_u32_e32 vcc, s43, v5
	s_waitcnt vmcnt(1)
	v_mov_b32_e32 v2, v24
	s_waitcnt vmcnt(0)
	v_mov_b32_e32 v6, v3
	buffer_store_dword v5, off, s[0:3], s32 offset:64 ; 4-byte Folded Spill
	s_nop 0
	buffer_store_dword v6, off, s[0:3], s32 offset:68 ; 4-byte Folded Spill
	buffer_store_dword v2, off, s[0:3], s32 offset:948 ; 4-byte Folded Spill
	s_nop 0
	buffer_store_dword v3, off, s[0:3], s32 offset:952 ; 4-byte Folded Spill
	s_and_saveexec_b64 s[40:41], vcc
	s_cbranch_execz .LBB206_639
; %bb.638:                              ;   in Loop: Header=BB206_12 Depth=1
	v_mov_b32_e32 v2, 7
	v_and_b32_sdwa v2, v4, v2 dst_sel:DWORD dst_unused:UNUSED_PAD src0_sel:BYTE_1 src1_sel:DWORD
	v_lshrrev_b32_e32 v9, 3, v5
	v_cmp_gt_u32_e32 vcc, 8, v5
	v_ffbh_u32_e32 v5, v2
	v_min_u32_e32 v5, 32, v5
	v_mov_b32_e32 v3, v24
	v_subrev_u32_e32 v7, 28, v5
	v_lshlrev_b64 v[7:8], v7, v[2:3]
	v_sub_u32_e32 v3, 29, v5
	v_and_b32_e32 v5, 7, v7
	v_cndmask_b32_e32 v3, v9, v3, vcc
	v_cndmask_b32_e32 v2, v2, v5, vcc
	v_bfrev_b32_e32 v5, 60
	v_lshlrev_b32_e32 v4, 16, v4
	v_lshl_add_u32 v3, v3, 23, v5
	v_and_or_b32 v3, v4, s44, v3
	v_lshlrev_b32_e32 v2, 20, v2
	v_or_b32_e32 v3, v3, v2
	v_mov_b32_e32 v2, v24
	buffer_store_dword v2, off, s[0:3], s32 offset:948 ; 4-byte Folded Spill
	s_nop 0
	buffer_store_dword v3, off, s[0:3], s32 offset:952 ; 4-byte Folded Spill
.LBB206_639:                            ;   in Loop: Header=BB206_12 Depth=1
	s_or_b64 exec, exec, s[40:41]
.LBB206_640:                            ;   in Loop: Header=BB206_12 Depth=1
	s_or_b64 exec, exec, s[28:29]
.LBB206_641:                            ;   in Loop: Header=BB206_12 Depth=1
	s_or_b64 exec, exec, s[26:27]
	buffer_load_dword v2, off, s[0:3], s32 offset:76 ; 4-byte Folded Reload
	v_add_co_u32_e32 v5, vcc, 0x1a00, v0
	v_addc_co_u32_e32 v7, vcc, 0, v1, vcc
	s_waitcnt vmcnt(0)
	v_add_co_u32_e32 v2, vcc, v5, v2
	v_addc_co_u32_e32 v3, vcc, 0, v7, vcc
	flat_load_ushort v2, v[2:3]
	s_waitcnt vmcnt(0) lgkmcnt(0)
	v_and_b32_e32 v4, 0xffff, v2
	v_cmp_ne_u16_sdwa s[28:29], v2, v24 src0_sel:BYTE_0 src1_sel:DWORD
	v_mov_b32_e32 v2, 0
	v_mov_b32_e32 v3, 0
	buffer_store_dword v2, off, s[0:3], s32 offset:964 ; 4-byte Folded Spill
	s_nop 0
	buffer_store_dword v3, off, s[0:3], s32 offset:968 ; 4-byte Folded Spill
	v_mov_b32_e32 v2, 0
	v_mov_b32_e32 v3, 0
	buffer_store_dword v2, off, s[0:3], s32 offset:956 ; 4-byte Folded Spill
	s_nop 0
	buffer_store_dword v3, off, s[0:3], s32 offset:960 ; 4-byte Folded Spill
	s_and_saveexec_b64 s[26:27], s[28:29]
	s_cbranch_execz .LBB206_647
; %bb.642:                              ;   in Loop: Header=BB206_12 Depth=1
	v_bfrev_b32_e32 v2, 1
	v_mov_b32_e32 v3, 0
	v_cmp_ne_u16_sdwa s[40:41], v4, s42 src0_sel:BYTE_0 src1_sel:DWORD
	buffer_store_dword v2, off, s[0:3], s32 offset:956 ; 4-byte Folded Spill
	s_nop 0
	buffer_store_dword v3, off, s[0:3], s32 offset:960 ; 4-byte Folded Spill
	s_and_saveexec_b64 s[28:29], s[40:41]
	s_cbranch_execz .LBB206_646
; %bb.643:                              ;   in Loop: Header=BB206_12 Depth=1
	v_and_b32_e32 v8, 0x7f, v4
	v_mov_b32_e32 v2, 0x7f800001
	v_mov_b32_e32 v3, 0
	v_cmp_ne_u32_e32 vcc, s43, v8
	buffer_store_dword v2, off, s[0:3], s32 offset:956 ; 4-byte Folded Spill
	s_nop 0
	buffer_store_dword v3, off, s[0:3], s32 offset:960 ; 4-byte Folded Spill
	s_and_saveexec_b64 s[40:41], vcc
	s_cbranch_execz .LBB206_645
; %bb.644:                              ;   in Loop: Header=BB206_12 Depth=1
	v_and_b32_e32 v9, 7, v4
	v_ffbh_u32_e32 v2, v9
	v_lshrrev_b32_e32 v12, 3, v8
	v_cmp_gt_u32_e32 vcc, 8, v8
	v_min_u32_e32 v8, 32, v2
	v_subrev_u32_e32 v2, 28, v8
	v_lshlrev_b64 v[2:3], v2, v[4:5]
	v_sub_u32_e32 v3, 29, v8
	v_and_b32_e32 v2, 7, v2
	v_cndmask_b32_e32 v3, v12, v3, vcc
	v_cndmask_b32_e32 v2, v9, v2, vcc
	v_bfrev_b32_e32 v6, 60
	v_lshlrev_b32_e32 v2, 20, v2
	v_and_b32_sdwa v8, sext(v4), s44 dst_sel:DWORD dst_unused:UNUSED_PAD src0_sel:BYTE_0 src1_sel:DWORD
	v_lshl_add_u32 v3, v3, 23, v6
	v_or3_b32 v2, v8, v3, v2
	v_mov_b32_e32 v3, v24
	buffer_store_dword v2, off, s[0:3], s32 offset:956 ; 4-byte Folded Spill
	s_nop 0
	buffer_store_dword v3, off, s[0:3], s32 offset:960 ; 4-byte Folded Spill
.LBB206_645:                            ;   in Loop: Header=BB206_12 Depth=1
	s_or_b64 exec, exec, s[40:41]
.LBB206_646:                            ;   in Loop: Header=BB206_12 Depth=1
	s_or_b64 exec, exec, s[28:29]
.LBB206_647:                            ;   in Loop: Header=BB206_12 Depth=1
	s_or_b64 exec, exec, s[26:27]
	v_cmp_ne_u16_sdwa s[28:29], v4, v24 src0_sel:BYTE_1 src1_sel:DWORD
	s_and_saveexec_b64 s[26:27], s[28:29]
	s_cbranch_execz .LBB206_653
; %bb.648:                              ;   in Loop: Header=BB206_12 Depth=1
	v_cmp_ne_u16_sdwa s[40:41], v4, s42 src0_sel:BYTE_1 src1_sel:DWORD
	buffer_store_dword v24, off, s[0:3], s32 offset:964 ; 4-byte Folded Spill
	s_nop 0
	buffer_store_dword v25, off, s[0:3], s32 offset:968 ; 4-byte Folded Spill
	s_and_saveexec_b64 s[28:29], s[40:41]
	s_cbranch_execz .LBB206_652
; %bb.649:                              ;   in Loop: Header=BB206_12 Depth=1
	buffer_load_dword v2, off, s[0:3], s32 offset:64 ; 4-byte Folded Reload
	buffer_load_dword v3, off, s[0:3], s32 offset:68 ; 4-byte Folded Reload
	v_and_b32_sdwa v8, v4, s43 dst_sel:DWORD dst_unused:UNUSED_PAD src0_sel:BYTE_1 src1_sel:DWORD
	v_cmp_ne_u32_e32 vcc, s43, v8
	s_waitcnt vmcnt(1)
	v_mov_b32_e32 v2, v24
	s_waitcnt vmcnt(0)
	v_mov_b32_e32 v6, v3
	buffer_store_dword v5, off, s[0:3], s32 offset:64 ; 4-byte Folded Spill
	s_nop 0
	buffer_store_dword v6, off, s[0:3], s32 offset:68 ; 4-byte Folded Spill
	buffer_store_dword v2, off, s[0:3], s32 offset:964 ; 4-byte Folded Spill
	s_nop 0
	buffer_store_dword v3, off, s[0:3], s32 offset:968 ; 4-byte Folded Spill
	s_and_saveexec_b64 s[40:41], vcc
	s_cbranch_execz .LBB206_651
; %bb.650:                              ;   in Loop: Header=BB206_12 Depth=1
	v_mov_b32_e32 v2, 7
	v_and_b32_sdwa v2, v4, v2 dst_sel:DWORD dst_unused:UNUSED_PAD src0_sel:BYTE_1 src1_sel:DWORD
	v_lshrrev_b32_e32 v12, 3, v8
	v_cmp_gt_u32_e32 vcc, 8, v8
	v_ffbh_u32_e32 v8, v2
	v_min_u32_e32 v14, 32, v8
	v_mov_b32_e32 v3, v24
	v_subrev_u32_e32 v8, 28, v14
	v_lshlrev_b64 v[8:9], v8, v[2:3]
	v_sub_u32_e32 v3, 29, v14
	v_and_b32_e32 v8, 7, v8
	v_cndmask_b32_e32 v3, v12, v3, vcc
	v_bfrev_b32_e32 v6, 60
	v_cndmask_b32_e32 v2, v2, v8, vcc
	v_lshlrev_b32_e32 v4, 16, v4
	v_lshl_add_u32 v3, v3, 23, v6
	v_and_or_b32 v3, v4, s44, v3
	v_lshlrev_b32_e32 v2, 20, v2
	v_or_b32_e32 v3, v3, v2
	v_mov_b32_e32 v2, v24
	buffer_store_dword v2, off, s[0:3], s32 offset:964 ; 4-byte Folded Spill
	s_nop 0
	buffer_store_dword v3, off, s[0:3], s32 offset:968 ; 4-byte Folded Spill
.LBB206_651:                            ;   in Loop: Header=BB206_12 Depth=1
	s_or_b64 exec, exec, s[40:41]
.LBB206_652:                            ;   in Loop: Header=BB206_12 Depth=1
	s_or_b64 exec, exec, s[28:29]
.LBB206_653:                            ;   in Loop: Header=BB206_12 Depth=1
	s_or_b64 exec, exec, s[26:27]
	buffer_load_dword v2, off, s[0:3], s32 offset:80 ; 4-byte Folded Reload
	v_mov_b32_e32 v20, 0
	v_mov_b32_e32 v21, 0
	s_waitcnt vmcnt(0)
	v_add_co_u32_e32 v2, vcc, v5, v2
	v_addc_co_u32_e32 v3, vcc, 0, v7, vcc
	flat_load_ushort v2, v[2:3]
	s_waitcnt vmcnt(0) lgkmcnt(0)
	v_and_b32_e32 v4, 0xffff, v2
	v_cmp_ne_u16_sdwa s[28:29], v2, v24 src0_sel:BYTE_0 src1_sel:DWORD
	v_mov_b32_e32 v2, 0
	v_mov_b32_e32 v3, 0
	buffer_store_dword v2, off, s[0:3], s32 offset:972 ; 4-byte Folded Spill
	s_nop 0
	buffer_store_dword v3, off, s[0:3], s32 offset:976 ; 4-byte Folded Spill
	s_and_saveexec_b64 s[26:27], s[28:29]
	s_cbranch_execz .LBB206_659
; %bb.654:                              ;   in Loop: Header=BB206_12 Depth=1
	v_bfrev_b32_e32 v2, 1
	v_mov_b32_e32 v3, 0
	v_cmp_ne_u16_sdwa s[40:41], v4, s42 src0_sel:BYTE_0 src1_sel:DWORD
	buffer_store_dword v2, off, s[0:3], s32 offset:972 ; 4-byte Folded Spill
	s_nop 0
	buffer_store_dword v3, off, s[0:3], s32 offset:976 ; 4-byte Folded Spill
	s_and_saveexec_b64 s[28:29], s[40:41]
	s_cbranch_execz .LBB206_658
; %bb.655:                              ;   in Loop: Header=BB206_12 Depth=1
	v_and_b32_e32 v8, 0x7f, v4
	v_mov_b32_e32 v2, 0x7f800001
	v_mov_b32_e32 v3, 0
	v_cmp_ne_u32_e32 vcc, s43, v8
	buffer_store_dword v2, off, s[0:3], s32 offset:972 ; 4-byte Folded Spill
	s_nop 0
	buffer_store_dword v3, off, s[0:3], s32 offset:976 ; 4-byte Folded Spill
	s_and_saveexec_b64 s[40:41], vcc
	s_cbranch_execz .LBB206_657
; %bb.656:                              ;   in Loop: Header=BB206_12 Depth=1
	v_and_b32_e32 v9, 7, v4
	v_ffbh_u32_e32 v2, v9
	v_lshrrev_b32_e32 v12, 3, v8
	v_cmp_gt_u32_e32 vcc, 8, v8
	v_min_u32_e32 v8, 32, v2
	v_subrev_u32_e32 v2, 28, v8
	v_lshlrev_b64 v[2:3], v2, v[4:5]
	v_sub_u32_e32 v3, 29, v8
	v_and_b32_e32 v2, 7, v2
	v_cndmask_b32_e32 v3, v12, v3, vcc
	v_cndmask_b32_e32 v2, v9, v2, vcc
	v_bfrev_b32_e32 v6, 60
	v_lshlrev_b32_e32 v2, 20, v2
	v_and_b32_sdwa v8, sext(v4), s44 dst_sel:DWORD dst_unused:UNUSED_PAD src0_sel:BYTE_0 src1_sel:DWORD
	v_lshl_add_u32 v3, v3, 23, v6
	v_or3_b32 v2, v8, v3, v2
	v_mov_b32_e32 v3, v24
	buffer_store_dword v2, off, s[0:3], s32 offset:972 ; 4-byte Folded Spill
	s_nop 0
	buffer_store_dword v3, off, s[0:3], s32 offset:976 ; 4-byte Folded Spill
.LBB206_657:                            ;   in Loop: Header=BB206_12 Depth=1
	s_or_b64 exec, exec, s[40:41]
.LBB206_658:                            ;   in Loop: Header=BB206_12 Depth=1
	s_or_b64 exec, exec, s[28:29]
.LBB206_659:                            ;   in Loop: Header=BB206_12 Depth=1
	s_or_b64 exec, exec, s[26:27]
	v_cmp_ne_u16_sdwa s[28:29], v4, v24 src0_sel:BYTE_1 src1_sel:DWORD
	s_and_saveexec_b64 s[26:27], s[28:29]
	s_cbranch_execz .LBB206_665
; %bb.660:                              ;   in Loop: Header=BB206_12 Depth=1
	v_mov_b32_e32 v20, v24
	v_cmp_ne_u16_sdwa s[40:41], v4, s42 src0_sel:BYTE_1 src1_sel:DWORD
	v_mov_b32_e32 v21, v25
	s_and_saveexec_b64 s[28:29], s[40:41]
	s_cbranch_execz .LBB206_664
; %bb.661:                              ;   in Loop: Header=BB206_12 Depth=1
	buffer_load_dword v20, off, s[0:3], s32 offset:64 ; 4-byte Folded Reload
	buffer_load_dword v21, off, s[0:3], s32 offset:68 ; 4-byte Folded Reload
	v_and_b32_sdwa v8, v4, s43 dst_sel:DWORD dst_unused:UNUSED_PAD src0_sel:BYTE_1 src1_sel:DWORD
	v_cmp_ne_u32_e32 vcc, s43, v8
	s_waitcnt vmcnt(1)
	v_mov_b32_e32 v20, v24
	s_waitcnt vmcnt(0)
	v_mov_b32_e32 v2, v21
	buffer_store_dword v1, off, s[0:3], s32 offset:64 ; 4-byte Folded Spill
	s_nop 0
	buffer_store_dword v2, off, s[0:3], s32 offset:68 ; 4-byte Folded Spill
	s_and_saveexec_b64 s[40:41], vcc
	s_cbranch_execz .LBB206_663
; %bb.662:                              ;   in Loop: Header=BB206_12 Depth=1
	v_mov_b32_e32 v2, 7
	v_and_b32_sdwa v2, v4, v2 dst_sel:DWORD dst_unused:UNUSED_PAD src0_sel:BYTE_1 src1_sel:DWORD
	v_lshrrev_b32_e32 v12, 3, v8
	v_cmp_gt_u32_e32 vcc, 8, v8
	v_ffbh_u32_e32 v8, v2
	v_min_u32_e32 v14, 32, v8
	v_mov_b32_e32 v3, v24
	v_subrev_u32_e32 v8, 28, v14
	v_lshlrev_b64 v[8:9], v8, v[2:3]
	v_sub_u32_e32 v3, 29, v14
	v_and_b32_e32 v8, 7, v8
	v_cndmask_b32_e32 v3, v12, v3, vcc
	v_bfrev_b32_e32 v6, 60
	v_cndmask_b32_e32 v2, v2, v8, vcc
	v_lshlrev_b32_e32 v4, 16, v4
	v_lshl_add_u32 v3, v3, 23, v6
	v_and_or_b32 v3, v4, s44, v3
	v_lshlrev_b32_e32 v2, 20, v2
	v_or_b32_e32 v21, v3, v2
	v_mov_b32_e32 v20, v24
.LBB206_663:                            ;   in Loop: Header=BB206_12 Depth=1
	s_or_b64 exec, exec, s[40:41]
.LBB206_664:                            ;   in Loop: Header=BB206_12 Depth=1
	s_or_b64 exec, exec, s[28:29]
.LBB206_665:                            ;   in Loop: Header=BB206_12 Depth=1
	s_or_b64 exec, exec, s[26:27]
	buffer_load_dword v2, off, s[0:3], s32 offset:84 ; 4-byte Folded Reload
	v_mov_b32_e32 v35, 0
	v_mov_b32_e32 v33, 0
	;; [unrolled: 1-line block ×4, first 2 shown]
	s_waitcnt vmcnt(0)
	v_add_co_u32_e32 v2, vcc, v5, v2
	v_addc_co_u32_e32 v3, vcc, 0, v7, vcc
	flat_load_ushort v2, v[2:3]
	s_waitcnt vmcnt(0) lgkmcnt(0)
	v_and_b32_e32 v4, 0xffff, v2
	v_cmp_ne_u16_sdwa s[28:29], v2, v24 src0_sel:BYTE_0 src1_sel:DWORD
	s_and_saveexec_b64 s[26:27], s[28:29]
	s_cbranch_execz .LBB206_671
; %bb.666:                              ;   in Loop: Header=BB206_12 Depth=1
	v_bfrev_b32_e32 v33, 1
	v_mov_b32_e32 v34, 0
	v_cmp_ne_u16_sdwa s[40:41], v4, s42 src0_sel:BYTE_0 src1_sel:DWORD
	s_and_saveexec_b64 s[28:29], s[40:41]
	s_cbranch_execz .LBB206_670
; %bb.667:                              ;   in Loop: Header=BB206_12 Depth=1
	v_and_b32_e32 v8, 0x7f, v4
	v_mov_b32_e32 v33, 0x7f800001
	v_mov_b32_e32 v34, 0
	v_cmp_ne_u32_e32 vcc, s43, v8
	s_and_saveexec_b64 s[40:41], vcc
	s_cbranch_execz .LBB206_669
; %bb.668:                              ;   in Loop: Header=BB206_12 Depth=1
	v_and_b32_e32 v9, 7, v4
	v_ffbh_u32_e32 v2, v9
	v_lshrrev_b32_e32 v12, 3, v8
	v_cmp_gt_u32_e32 vcc, 8, v8
	v_min_u32_e32 v8, 32, v2
	v_subrev_u32_e32 v2, 28, v8
	v_lshlrev_b64 v[2:3], v2, v[4:5]
	v_sub_u32_e32 v3, 29, v8
	v_and_b32_e32 v2, 7, v2
	v_cndmask_b32_e32 v3, v12, v3, vcc
	v_cndmask_b32_e32 v2, v9, v2, vcc
	v_bfrev_b32_e32 v6, 60
	v_lshlrev_b32_e32 v2, 20, v2
	v_and_b32_sdwa v8, sext(v4), s44 dst_sel:DWORD dst_unused:UNUSED_PAD src0_sel:BYTE_0 src1_sel:DWORD
	v_lshl_add_u32 v3, v3, 23, v6
	v_or3_b32 v33, v8, v3, v2
	v_mov_b32_e32 v34, v24
.LBB206_669:                            ;   in Loop: Header=BB206_12 Depth=1
	s_or_b64 exec, exec, s[40:41]
.LBB206_670:                            ;   in Loop: Header=BB206_12 Depth=1
	s_or_b64 exec, exec, s[28:29]
.LBB206_671:                            ;   in Loop: Header=BB206_12 Depth=1
	s_or_b64 exec, exec, s[26:27]
	v_cmp_ne_u16_sdwa s[28:29], v4, v24 src0_sel:BYTE_1 src1_sel:DWORD
	s_and_saveexec_b64 s[26:27], s[28:29]
	s_cbranch_execz .LBB206_677
; %bb.672:                              ;   in Loop: Header=BB206_12 Depth=1
	v_mov_b32_e32 v36, v25
	v_cmp_ne_u16_sdwa s[40:41], v4, s42 src0_sel:BYTE_1 src1_sel:DWORD
	v_mov_b32_e32 v35, v24
	s_and_saveexec_b64 s[28:29], s[40:41]
	s_cbranch_execz .LBB206_676
; %bb.673:                              ;   in Loop: Header=BB206_12 Depth=1
	buffer_load_dword v35, off, s[0:3], s32 offset:64 ; 4-byte Folded Reload
	buffer_load_dword v36, off, s[0:3], s32 offset:68 ; 4-byte Folded Reload
	v_and_b32_sdwa v8, v4, s43 dst_sel:DWORD dst_unused:UNUSED_PAD src0_sel:BYTE_1 src1_sel:DWORD
	v_cmp_ne_u32_e32 vcc, s43, v8
	s_waitcnt vmcnt(1)
	v_mov_b32_e32 v35, v24
	s_waitcnt vmcnt(0)
	v_mov_b32_e32 v2, v36
	buffer_store_dword v1, off, s[0:3], s32 offset:64 ; 4-byte Folded Spill
	s_nop 0
	buffer_store_dword v2, off, s[0:3], s32 offset:68 ; 4-byte Folded Spill
	s_and_saveexec_b64 s[40:41], vcc
	s_cbranch_execz .LBB206_675
; %bb.674:                              ;   in Loop: Header=BB206_12 Depth=1
	v_mov_b32_e32 v2, 7
	v_and_b32_sdwa v2, v4, v2 dst_sel:DWORD dst_unused:UNUSED_PAD src0_sel:BYTE_1 src1_sel:DWORD
	v_lshrrev_b32_e32 v12, 3, v8
	v_cmp_gt_u32_e32 vcc, 8, v8
	v_ffbh_u32_e32 v8, v2
	v_min_u32_e32 v14, 32, v8
	v_mov_b32_e32 v3, v24
	v_subrev_u32_e32 v8, 28, v14
	v_lshlrev_b64 v[8:9], v8, v[2:3]
	v_sub_u32_e32 v3, 29, v14
	v_and_b32_e32 v8, 7, v8
	v_cndmask_b32_e32 v3, v12, v3, vcc
	v_bfrev_b32_e32 v6, 60
	v_cndmask_b32_e32 v2, v2, v8, vcc
	v_lshlrev_b32_e32 v4, 16, v4
	v_lshl_add_u32 v3, v3, 23, v6
	v_and_or_b32 v3, v4, s44, v3
	v_lshlrev_b32_e32 v2, 20, v2
	v_or_b32_e32 v36, v3, v2
	v_mov_b32_e32 v35, v24
.LBB206_675:                            ;   in Loop: Header=BB206_12 Depth=1
	s_or_b64 exec, exec, s[40:41]
.LBB206_676:                            ;   in Loop: Header=BB206_12 Depth=1
	s_or_b64 exec, exec, s[28:29]
.LBB206_677:                            ;   in Loop: Header=BB206_12 Depth=1
	s_or_b64 exec, exec, s[26:27]
	buffer_load_dword v2, off, s[0:3], s32 offset:88 ; 4-byte Folded Reload
	v_mov_b32_e32 v48, 0
	v_mov_b32_e32 v37, 0
	;; [unrolled: 1-line block ×4, first 2 shown]
	s_waitcnt vmcnt(0)
	v_add_co_u32_e32 v2, vcc, v5, v2
	v_addc_co_u32_e32 v3, vcc, 0, v7, vcc
	flat_load_ushort v2, v[2:3]
	s_waitcnt vmcnt(0) lgkmcnt(0)
	v_and_b32_e32 v4, 0xffff, v2
	v_cmp_ne_u16_sdwa s[28:29], v2, v24 src0_sel:BYTE_0 src1_sel:DWORD
	s_and_saveexec_b64 s[26:27], s[28:29]
	s_cbranch_execz .LBB206_683
; %bb.678:                              ;   in Loop: Header=BB206_12 Depth=1
	v_bfrev_b32_e32 v37, 1
	v_mov_b32_e32 v38, 0
	v_cmp_ne_u16_sdwa s[40:41], v4, s42 src0_sel:BYTE_0 src1_sel:DWORD
	s_and_saveexec_b64 s[28:29], s[40:41]
	s_cbranch_execz .LBB206_682
; %bb.679:                              ;   in Loop: Header=BB206_12 Depth=1
	v_and_b32_e32 v5, 0x7f, v4
	v_mov_b32_e32 v37, 0x7f800001
	v_mov_b32_e32 v38, 0
	v_cmp_ne_u32_e32 vcc, s43, v5
	s_and_saveexec_b64 s[40:41], vcc
	s_cbranch_execz .LBB206_681
; %bb.680:                              ;   in Loop: Header=BB206_12 Depth=1
	v_and_b32_e32 v7, 7, v4
	v_ffbh_u32_e32 v2, v7
	v_lshrrev_b32_e32 v8, 3, v5
	v_cmp_gt_u32_e32 vcc, 8, v5
	v_min_u32_e32 v5, 32, v2
	v_subrev_u32_e32 v2, 28, v5
	v_lshlrev_b64 v[2:3], v2, v[4:5]
	v_sub_u32_e32 v3, 29, v5
	v_and_b32_e32 v2, 7, v2
	v_cndmask_b32_e32 v3, v8, v3, vcc
	v_cndmask_b32_e32 v2, v7, v2, vcc
	v_bfrev_b32_e32 v6, 60
	v_lshlrev_b32_e32 v2, 20, v2
	v_and_b32_sdwa v5, sext(v4), s44 dst_sel:DWORD dst_unused:UNUSED_PAD src0_sel:BYTE_0 src1_sel:DWORD
	v_lshl_add_u32 v3, v3, 23, v6
	v_or3_b32 v37, v5, v3, v2
	v_mov_b32_e32 v38, v24
.LBB206_681:                            ;   in Loop: Header=BB206_12 Depth=1
	s_or_b64 exec, exec, s[40:41]
.LBB206_682:                            ;   in Loop: Header=BB206_12 Depth=1
	s_or_b64 exec, exec, s[28:29]
.LBB206_683:                            ;   in Loop: Header=BB206_12 Depth=1
	s_or_b64 exec, exec, s[26:27]
	v_cmp_ne_u16_sdwa s[28:29], v4, v24 src0_sel:BYTE_1 src1_sel:DWORD
	s_and_saveexec_b64 s[26:27], s[28:29]
	s_cbranch_execz .LBB206_689
; %bb.684:                              ;   in Loop: Header=BB206_12 Depth=1
	v_mov_b32_e32 v49, v25
	v_cmp_ne_u16_sdwa s[40:41], v4, s42 src0_sel:BYTE_1 src1_sel:DWORD
	v_mov_b32_e32 v48, v24
	s_and_saveexec_b64 s[28:29], s[40:41]
	s_cbranch_execz .LBB206_688
; %bb.685:                              ;   in Loop: Header=BB206_12 Depth=1
	buffer_load_dword v48, off, s[0:3], s32 offset:64 ; 4-byte Folded Reload
	buffer_load_dword v49, off, s[0:3], s32 offset:68 ; 4-byte Folded Reload
	v_and_b32_sdwa v5, v4, s43 dst_sel:DWORD dst_unused:UNUSED_PAD src0_sel:BYTE_1 src1_sel:DWORD
	v_cmp_ne_u32_e32 vcc, s43, v5
	s_waitcnt vmcnt(1)
	v_mov_b32_e32 v48, v24
	s_waitcnt vmcnt(0)
	v_mov_b32_e32 v2, v49
	buffer_store_dword v1, off, s[0:3], s32 offset:64 ; 4-byte Folded Spill
	s_nop 0
	buffer_store_dword v2, off, s[0:3], s32 offset:68 ; 4-byte Folded Spill
	s_and_saveexec_b64 s[40:41], vcc
	s_cbranch_execz .LBB206_687
; %bb.686:                              ;   in Loop: Header=BB206_12 Depth=1
	v_mov_b32_e32 v2, 7
	v_and_b32_sdwa v2, v4, v2 dst_sel:DWORD dst_unused:UNUSED_PAD src0_sel:BYTE_1 src1_sel:DWORD
	v_lshrrev_b32_e32 v9, 3, v5
	v_cmp_gt_u32_e32 vcc, 8, v5
	v_ffbh_u32_e32 v5, v2
	v_min_u32_e32 v5, 32, v5
	v_mov_b32_e32 v3, v24
	v_subrev_u32_e32 v7, 28, v5
	v_lshlrev_b64 v[7:8], v7, v[2:3]
	v_sub_u32_e32 v3, 29, v5
	v_and_b32_e32 v5, 7, v7
	v_cndmask_b32_e32 v3, v9, v3, vcc
	v_cndmask_b32_e32 v2, v2, v5, vcc
	v_bfrev_b32_e32 v5, 60
	v_lshlrev_b32_e32 v4, 16, v4
	v_lshl_add_u32 v3, v3, 23, v5
	v_and_or_b32 v3, v4, s44, v3
	v_lshlrev_b32_e32 v2, 20, v2
	v_or_b32_e32 v49, v3, v2
	v_mov_b32_e32 v48, v24
.LBB206_687:                            ;   in Loop: Header=BB206_12 Depth=1
	s_or_b64 exec, exec, s[40:41]
.LBB206_688:                            ;   in Loop: Header=BB206_12 Depth=1
	s_or_b64 exec, exec, s[28:29]
.LBB206_689:                            ;   in Loop: Header=BB206_12 Depth=1
	s_or_b64 exec, exec, s[26:27]
	buffer_load_dword v2, off, s[0:3], s32 offset:76 ; 4-byte Folded Reload
	v_add_co_u32_e32 v5, vcc, 0x1c00, v0
	v_addc_co_u32_e32 v7, vcc, 0, v1, vcc
	v_mov_b32_e32 v52, 0
	v_mov_b32_e32 v50, 0
	;; [unrolled: 1-line block ×4, first 2 shown]
	s_waitcnt vmcnt(0)
	v_add_co_u32_e32 v2, vcc, v5, v2
	v_addc_co_u32_e32 v3, vcc, 0, v7, vcc
	flat_load_ushort v2, v[2:3]
	s_waitcnt vmcnt(0) lgkmcnt(0)
	v_and_b32_e32 v4, 0xffff, v2
	v_cmp_ne_u16_sdwa s[28:29], v2, v24 src0_sel:BYTE_0 src1_sel:DWORD
	s_and_saveexec_b64 s[26:27], s[28:29]
	s_cbranch_execz .LBB206_695
; %bb.690:                              ;   in Loop: Header=BB206_12 Depth=1
	v_bfrev_b32_e32 v50, 1
	v_mov_b32_e32 v51, 0
	v_cmp_ne_u16_sdwa s[40:41], v4, s42 src0_sel:BYTE_0 src1_sel:DWORD
	s_and_saveexec_b64 s[28:29], s[40:41]
	s_cbranch_execz .LBB206_694
; %bb.691:                              ;   in Loop: Header=BB206_12 Depth=1
	v_and_b32_e32 v8, 0x7f, v4
	v_mov_b32_e32 v50, 0x7f800001
	v_mov_b32_e32 v51, 0
	v_cmp_ne_u32_e32 vcc, s43, v8
	s_and_saveexec_b64 s[40:41], vcc
	s_cbranch_execz .LBB206_693
; %bb.692:                              ;   in Loop: Header=BB206_12 Depth=1
	v_and_b32_e32 v9, 7, v4
	v_ffbh_u32_e32 v2, v9
	v_lshrrev_b32_e32 v12, 3, v8
	v_cmp_gt_u32_e32 vcc, 8, v8
	v_min_u32_e32 v8, 32, v2
	v_subrev_u32_e32 v2, 28, v8
	v_lshlrev_b64 v[2:3], v2, v[4:5]
	v_sub_u32_e32 v3, 29, v8
	v_and_b32_e32 v2, 7, v2
	v_cndmask_b32_e32 v3, v12, v3, vcc
	v_cndmask_b32_e32 v2, v9, v2, vcc
	v_bfrev_b32_e32 v6, 60
	v_lshlrev_b32_e32 v2, 20, v2
	v_and_b32_sdwa v8, sext(v4), s44 dst_sel:DWORD dst_unused:UNUSED_PAD src0_sel:BYTE_0 src1_sel:DWORD
	v_lshl_add_u32 v3, v3, 23, v6
	v_or3_b32 v50, v8, v3, v2
	v_mov_b32_e32 v51, v24
.LBB206_693:                            ;   in Loop: Header=BB206_12 Depth=1
	s_or_b64 exec, exec, s[40:41]
.LBB206_694:                            ;   in Loop: Header=BB206_12 Depth=1
	s_or_b64 exec, exec, s[28:29]
.LBB206_695:                            ;   in Loop: Header=BB206_12 Depth=1
	s_or_b64 exec, exec, s[26:27]
	v_cmp_ne_u16_sdwa s[28:29], v4, v24 src0_sel:BYTE_1 src1_sel:DWORD
	s_and_saveexec_b64 s[26:27], s[28:29]
	s_cbranch_execz .LBB206_701
; %bb.696:                              ;   in Loop: Header=BB206_12 Depth=1
	v_mov_b32_e32 v53, v25
	v_cmp_ne_u16_sdwa s[40:41], v4, s42 src0_sel:BYTE_1 src1_sel:DWORD
	v_mov_b32_e32 v52, v24
	s_and_saveexec_b64 s[28:29], s[40:41]
	s_cbranch_execz .LBB206_700
; %bb.697:                              ;   in Loop: Header=BB206_12 Depth=1
	buffer_load_dword v52, off, s[0:3], s32 offset:64 ; 4-byte Folded Reload
	buffer_load_dword v53, off, s[0:3], s32 offset:68 ; 4-byte Folded Reload
	v_and_b32_sdwa v8, v4, s43 dst_sel:DWORD dst_unused:UNUSED_PAD src0_sel:BYTE_1 src1_sel:DWORD
	v_cmp_ne_u32_e32 vcc, s43, v8
	s_waitcnt vmcnt(1)
	v_mov_b32_e32 v52, v24
	s_waitcnt vmcnt(0)
	v_mov_b32_e32 v2, v53
	buffer_store_dword v1, off, s[0:3], s32 offset:64 ; 4-byte Folded Spill
	s_nop 0
	buffer_store_dword v2, off, s[0:3], s32 offset:68 ; 4-byte Folded Spill
	s_and_saveexec_b64 s[40:41], vcc
	s_cbranch_execz .LBB206_699
; %bb.698:                              ;   in Loop: Header=BB206_12 Depth=1
	v_mov_b32_e32 v2, 7
	v_and_b32_sdwa v2, v4, v2 dst_sel:DWORD dst_unused:UNUSED_PAD src0_sel:BYTE_1 src1_sel:DWORD
	v_lshrrev_b32_e32 v12, 3, v8
	v_cmp_gt_u32_e32 vcc, 8, v8
	v_ffbh_u32_e32 v8, v2
	v_min_u32_e32 v14, 32, v8
	v_mov_b32_e32 v3, v24
	v_subrev_u32_e32 v8, 28, v14
	v_lshlrev_b64 v[8:9], v8, v[2:3]
	v_sub_u32_e32 v3, 29, v14
	v_and_b32_e32 v8, 7, v8
	v_cndmask_b32_e32 v3, v12, v3, vcc
	v_bfrev_b32_e32 v6, 60
	v_cndmask_b32_e32 v2, v2, v8, vcc
	v_lshlrev_b32_e32 v4, 16, v4
	v_lshl_add_u32 v3, v3, 23, v6
	v_and_or_b32 v3, v4, s44, v3
	v_lshlrev_b32_e32 v2, 20, v2
	v_or_b32_e32 v53, v3, v2
	v_mov_b32_e32 v52, v24
.LBB206_699:                            ;   in Loop: Header=BB206_12 Depth=1
	s_or_b64 exec, exec, s[40:41]
.LBB206_700:                            ;   in Loop: Header=BB206_12 Depth=1
	s_or_b64 exec, exec, s[28:29]
.LBB206_701:                            ;   in Loop: Header=BB206_12 Depth=1
	s_or_b64 exec, exec, s[26:27]
	buffer_load_dword v2, off, s[0:3], s32 offset:80 ; 4-byte Folded Reload
	v_mov_b32_e32 v39, 0
	v_mov_b32_e32 v54, 0
	;; [unrolled: 1-line block ×4, first 2 shown]
	s_waitcnt vmcnt(0)
	v_add_co_u32_e32 v2, vcc, v5, v2
	v_addc_co_u32_e32 v3, vcc, 0, v7, vcc
	flat_load_ushort v2, v[2:3]
	s_waitcnt vmcnt(0) lgkmcnt(0)
	v_and_b32_e32 v4, 0xffff, v2
	v_cmp_ne_u16_sdwa s[28:29], v2, v24 src0_sel:BYTE_0 src1_sel:DWORD
	s_and_saveexec_b64 s[26:27], s[28:29]
	s_cbranch_execz .LBB206_707
; %bb.702:                              ;   in Loop: Header=BB206_12 Depth=1
	v_bfrev_b32_e32 v54, 1
	v_mov_b32_e32 v55, 0
	v_cmp_ne_u16_sdwa s[40:41], v4, s42 src0_sel:BYTE_0 src1_sel:DWORD
	s_and_saveexec_b64 s[28:29], s[40:41]
	s_cbranch_execz .LBB206_706
; %bb.703:                              ;   in Loop: Header=BB206_12 Depth=1
	v_and_b32_e32 v8, 0x7f, v4
	v_mov_b32_e32 v54, 0x7f800001
	v_mov_b32_e32 v55, 0
	v_cmp_ne_u32_e32 vcc, s43, v8
	s_and_saveexec_b64 s[40:41], vcc
	s_cbranch_execz .LBB206_705
; %bb.704:                              ;   in Loop: Header=BB206_12 Depth=1
	v_and_b32_e32 v9, 7, v4
	v_ffbh_u32_e32 v2, v9
	v_lshrrev_b32_e32 v12, 3, v8
	v_cmp_gt_u32_e32 vcc, 8, v8
	v_min_u32_e32 v8, 32, v2
	v_subrev_u32_e32 v2, 28, v8
	v_lshlrev_b64 v[2:3], v2, v[4:5]
	v_sub_u32_e32 v3, 29, v8
	v_and_b32_e32 v2, 7, v2
	v_cndmask_b32_e32 v3, v12, v3, vcc
	v_cndmask_b32_e32 v2, v9, v2, vcc
	v_bfrev_b32_e32 v6, 60
	v_lshlrev_b32_e32 v2, 20, v2
	v_and_b32_sdwa v8, sext(v4), s44 dst_sel:DWORD dst_unused:UNUSED_PAD src0_sel:BYTE_0 src1_sel:DWORD
	v_lshl_add_u32 v3, v3, 23, v6
	v_or3_b32 v54, v8, v3, v2
	v_mov_b32_e32 v55, v24
.LBB206_705:                            ;   in Loop: Header=BB206_12 Depth=1
	s_or_b64 exec, exec, s[40:41]
.LBB206_706:                            ;   in Loop: Header=BB206_12 Depth=1
	s_or_b64 exec, exec, s[28:29]
.LBB206_707:                            ;   in Loop: Header=BB206_12 Depth=1
	s_or_b64 exec, exec, s[26:27]
	v_cmp_ne_u16_sdwa s[28:29], v4, v24 src0_sel:BYTE_1 src1_sel:DWORD
	s_and_saveexec_b64 s[26:27], s[28:29]
	s_cbranch_execz .LBB206_713
; %bb.708:                              ;   in Loop: Header=BB206_12 Depth=1
	v_mov_b32_e32 v40, v25
	v_cmp_ne_u16_sdwa s[40:41], v4, s42 src0_sel:BYTE_1 src1_sel:DWORD
	v_mov_b32_e32 v39, v24
	s_and_saveexec_b64 s[28:29], s[40:41]
	s_cbranch_execz .LBB206_712
; %bb.709:                              ;   in Loop: Header=BB206_12 Depth=1
	buffer_load_dword v39, off, s[0:3], s32 offset:64 ; 4-byte Folded Reload
	buffer_load_dword v40, off, s[0:3], s32 offset:68 ; 4-byte Folded Reload
	v_and_b32_sdwa v8, v4, s43 dst_sel:DWORD dst_unused:UNUSED_PAD src0_sel:BYTE_1 src1_sel:DWORD
	v_cmp_ne_u32_e32 vcc, s43, v8
	s_waitcnt vmcnt(1)
	v_mov_b32_e32 v39, v24
	s_waitcnt vmcnt(0)
	v_mov_b32_e32 v2, v40
	buffer_store_dword v1, off, s[0:3], s32 offset:64 ; 4-byte Folded Spill
	s_nop 0
	buffer_store_dword v2, off, s[0:3], s32 offset:68 ; 4-byte Folded Spill
	s_and_saveexec_b64 s[40:41], vcc
	s_cbranch_execz .LBB206_711
; %bb.710:                              ;   in Loop: Header=BB206_12 Depth=1
	v_mov_b32_e32 v2, 7
	v_and_b32_sdwa v2, v4, v2 dst_sel:DWORD dst_unused:UNUSED_PAD src0_sel:BYTE_1 src1_sel:DWORD
	v_lshrrev_b32_e32 v12, 3, v8
	v_cmp_gt_u32_e32 vcc, 8, v8
	v_ffbh_u32_e32 v8, v2
	v_min_u32_e32 v14, 32, v8
	v_mov_b32_e32 v3, v24
	v_subrev_u32_e32 v8, 28, v14
	v_lshlrev_b64 v[8:9], v8, v[2:3]
	v_sub_u32_e32 v3, 29, v14
	v_and_b32_e32 v8, 7, v8
	v_cndmask_b32_e32 v3, v12, v3, vcc
	v_bfrev_b32_e32 v6, 60
	v_cndmask_b32_e32 v2, v2, v8, vcc
	v_lshlrev_b32_e32 v4, 16, v4
	v_lshl_add_u32 v3, v3, 23, v6
	v_and_or_b32 v3, v4, s44, v3
	v_lshlrev_b32_e32 v2, 20, v2
	v_or_b32_e32 v40, v3, v2
	v_mov_b32_e32 v39, v24
.LBB206_711:                            ;   in Loop: Header=BB206_12 Depth=1
	s_or_b64 exec, exec, s[40:41]
.LBB206_712:                            ;   in Loop: Header=BB206_12 Depth=1
	s_or_b64 exec, exec, s[28:29]
.LBB206_713:                            ;   in Loop: Header=BB206_12 Depth=1
	s_or_b64 exec, exec, s[26:27]
	buffer_load_dword v2, off, s[0:3], s32 offset:84 ; 4-byte Folded Reload
	v_mov_b32_e32 v22, 0
	v_mov_b32_e32 v41, 0
	v_mov_b32_e32 v23, 0
	v_mov_b32_e32 v42, 0
	s_waitcnt vmcnt(0)
	v_add_co_u32_e32 v2, vcc, v5, v2
	v_addc_co_u32_e32 v3, vcc, 0, v7, vcc
	flat_load_ushort v2, v[2:3]
	s_waitcnt vmcnt(0) lgkmcnt(0)
	v_and_b32_e32 v4, 0xffff, v2
	v_cmp_ne_u16_sdwa s[28:29], v2, v24 src0_sel:BYTE_0 src1_sel:DWORD
	s_and_saveexec_b64 s[26:27], s[28:29]
	s_cbranch_execz .LBB206_719
; %bb.714:                              ;   in Loop: Header=BB206_12 Depth=1
	v_bfrev_b32_e32 v41, 1
	v_mov_b32_e32 v42, 0
	v_cmp_ne_u16_sdwa s[40:41], v4, s42 src0_sel:BYTE_0 src1_sel:DWORD
	s_and_saveexec_b64 s[28:29], s[40:41]
	s_cbranch_execz .LBB206_718
; %bb.715:                              ;   in Loop: Header=BB206_12 Depth=1
	v_and_b32_e32 v8, 0x7f, v4
	v_mov_b32_e32 v41, 0x7f800001
	v_mov_b32_e32 v42, 0
	v_cmp_ne_u32_e32 vcc, s43, v8
	s_and_saveexec_b64 s[40:41], vcc
	s_cbranch_execz .LBB206_717
; %bb.716:                              ;   in Loop: Header=BB206_12 Depth=1
	v_and_b32_e32 v9, 7, v4
	v_ffbh_u32_e32 v2, v9
	v_lshrrev_b32_e32 v12, 3, v8
	v_cmp_gt_u32_e32 vcc, 8, v8
	v_min_u32_e32 v8, 32, v2
	v_subrev_u32_e32 v2, 28, v8
	v_lshlrev_b64 v[2:3], v2, v[4:5]
	v_sub_u32_e32 v3, 29, v8
	v_and_b32_e32 v2, 7, v2
	v_cndmask_b32_e32 v3, v12, v3, vcc
	v_cndmask_b32_e32 v2, v9, v2, vcc
	v_bfrev_b32_e32 v6, 60
	v_lshlrev_b32_e32 v2, 20, v2
	v_and_b32_sdwa v8, sext(v4), s44 dst_sel:DWORD dst_unused:UNUSED_PAD src0_sel:BYTE_0 src1_sel:DWORD
	v_lshl_add_u32 v3, v3, 23, v6
	v_or3_b32 v41, v8, v3, v2
	v_mov_b32_e32 v42, v24
.LBB206_717:                            ;   in Loop: Header=BB206_12 Depth=1
	s_or_b64 exec, exec, s[40:41]
.LBB206_718:                            ;   in Loop: Header=BB206_12 Depth=1
	s_or_b64 exec, exec, s[28:29]
.LBB206_719:                            ;   in Loop: Header=BB206_12 Depth=1
	s_or_b64 exec, exec, s[26:27]
	v_cmp_ne_u16_sdwa s[28:29], v4, v24 src0_sel:BYTE_1 src1_sel:DWORD
	s_and_saveexec_b64 s[26:27], s[28:29]
	s_cbranch_execz .LBB206_725
; %bb.720:                              ;   in Loop: Header=BB206_12 Depth=1
	v_mov_b32_e32 v22, v24
	v_cmp_ne_u16_sdwa s[40:41], v4, s42 src0_sel:BYTE_1 src1_sel:DWORD
	v_mov_b32_e32 v23, v25
	s_and_saveexec_b64 s[28:29], s[40:41]
	s_cbranch_execz .LBB206_724
; %bb.721:                              ;   in Loop: Header=BB206_12 Depth=1
	buffer_load_dword v22, off, s[0:3], s32 offset:64 ; 4-byte Folded Reload
	buffer_load_dword v23, off, s[0:3], s32 offset:68 ; 4-byte Folded Reload
	v_and_b32_sdwa v8, v4, s43 dst_sel:DWORD dst_unused:UNUSED_PAD src0_sel:BYTE_1 src1_sel:DWORD
	v_cmp_ne_u32_e32 vcc, s43, v8
	s_waitcnt vmcnt(1)
	v_mov_b32_e32 v22, v24
	s_waitcnt vmcnt(0)
	v_mov_b32_e32 v2, v23
	buffer_store_dword v1, off, s[0:3], s32 offset:64 ; 4-byte Folded Spill
	s_nop 0
	buffer_store_dword v2, off, s[0:3], s32 offset:68 ; 4-byte Folded Spill
	s_and_saveexec_b64 s[40:41], vcc
	s_cbranch_execz .LBB206_723
; %bb.722:                              ;   in Loop: Header=BB206_12 Depth=1
	v_mov_b32_e32 v2, 7
	v_and_b32_sdwa v2, v4, v2 dst_sel:DWORD dst_unused:UNUSED_PAD src0_sel:BYTE_1 src1_sel:DWORD
	v_lshrrev_b32_e32 v12, 3, v8
	v_cmp_gt_u32_e32 vcc, 8, v8
	v_ffbh_u32_e32 v8, v2
	v_min_u32_e32 v14, 32, v8
	v_mov_b32_e32 v3, v24
	v_subrev_u32_e32 v8, 28, v14
	v_lshlrev_b64 v[8:9], v8, v[2:3]
	v_sub_u32_e32 v3, 29, v14
	v_and_b32_e32 v8, 7, v8
	v_cndmask_b32_e32 v3, v12, v3, vcc
	v_bfrev_b32_e32 v6, 60
	v_cndmask_b32_e32 v2, v2, v8, vcc
	v_lshlrev_b32_e32 v4, 16, v4
	v_lshl_add_u32 v3, v3, 23, v6
	v_and_or_b32 v3, v4, s44, v3
	v_lshlrev_b32_e32 v2, 20, v2
	v_or_b32_e32 v23, v3, v2
	v_mov_b32_e32 v22, v24
.LBB206_723:                            ;   in Loop: Header=BB206_12 Depth=1
	s_or_b64 exec, exec, s[40:41]
.LBB206_724:                            ;   in Loop: Header=BB206_12 Depth=1
	s_or_b64 exec, exec, s[28:29]
.LBB206_725:                            ;   in Loop: Header=BB206_12 Depth=1
	s_or_b64 exec, exec, s[26:27]
	buffer_load_dword v2, off, s[0:3], s32 offset:88 ; 4-byte Folded Reload
	v_mov_b32_e32 v45, 0
	v_mov_b32_e32 v43, 0
	;; [unrolled: 1-line block ×4, first 2 shown]
	s_waitcnt vmcnt(0)
	v_add_co_u32_e32 v2, vcc, v5, v2
	v_addc_co_u32_e32 v3, vcc, 0, v7, vcc
	flat_load_ushort v2, v[2:3]
	s_waitcnt vmcnt(0) lgkmcnt(0)
	v_and_b32_e32 v4, 0xffff, v2
	v_cmp_ne_u16_sdwa s[28:29], v2, v24 src0_sel:BYTE_0 src1_sel:DWORD
	s_and_saveexec_b64 s[26:27], s[28:29]
	s_cbranch_execz .LBB206_731
; %bb.726:                              ;   in Loop: Header=BB206_12 Depth=1
	v_bfrev_b32_e32 v43, 1
	v_mov_b32_e32 v44, 0
	v_cmp_ne_u16_sdwa s[40:41], v4, s42 src0_sel:BYTE_0 src1_sel:DWORD
	s_and_saveexec_b64 s[28:29], s[40:41]
	s_cbranch_execz .LBB206_730
; %bb.727:                              ;   in Loop: Header=BB206_12 Depth=1
	v_and_b32_e32 v5, 0x7f, v4
	v_mov_b32_e32 v43, 0x7f800001
	v_mov_b32_e32 v44, 0
	v_cmp_ne_u32_e32 vcc, s43, v5
	s_and_saveexec_b64 s[40:41], vcc
	s_cbranch_execz .LBB206_729
; %bb.728:                              ;   in Loop: Header=BB206_12 Depth=1
	v_and_b32_e32 v7, 7, v4
	v_ffbh_u32_e32 v2, v7
	v_lshrrev_b32_e32 v8, 3, v5
	v_cmp_gt_u32_e32 vcc, 8, v5
	v_min_u32_e32 v5, 32, v2
	v_subrev_u32_e32 v2, 28, v5
	v_lshlrev_b64 v[2:3], v2, v[4:5]
	v_sub_u32_e32 v3, 29, v5
	v_and_b32_e32 v2, 7, v2
	v_cndmask_b32_e32 v3, v8, v3, vcc
	v_cndmask_b32_e32 v2, v7, v2, vcc
	v_bfrev_b32_e32 v6, 60
	v_lshlrev_b32_e32 v2, 20, v2
	v_and_b32_sdwa v5, sext(v4), s44 dst_sel:DWORD dst_unused:UNUSED_PAD src0_sel:BYTE_0 src1_sel:DWORD
	v_lshl_add_u32 v3, v3, 23, v6
	v_or3_b32 v43, v5, v3, v2
	v_mov_b32_e32 v44, v24
.LBB206_729:                            ;   in Loop: Header=BB206_12 Depth=1
	s_or_b64 exec, exec, s[40:41]
.LBB206_730:                            ;   in Loop: Header=BB206_12 Depth=1
	s_or_b64 exec, exec, s[28:29]
.LBB206_731:                            ;   in Loop: Header=BB206_12 Depth=1
	s_or_b64 exec, exec, s[26:27]
	v_cmp_ne_u16_sdwa s[28:29], v4, v24 src0_sel:BYTE_1 src1_sel:DWORD
	s_and_saveexec_b64 s[26:27], s[28:29]
	s_cbranch_execz .LBB206_737
; %bb.732:                              ;   in Loop: Header=BB206_12 Depth=1
	v_mov_b32_e32 v46, v25
	v_cmp_ne_u16_sdwa s[40:41], v4, s42 src0_sel:BYTE_1 src1_sel:DWORD
	v_mov_b32_e32 v45, v24
	s_and_saveexec_b64 s[28:29], s[40:41]
	s_cbranch_execz .LBB206_736
; %bb.733:                              ;   in Loop: Header=BB206_12 Depth=1
	buffer_load_dword v45, off, s[0:3], s32 offset:64 ; 4-byte Folded Reload
	buffer_load_dword v46, off, s[0:3], s32 offset:68 ; 4-byte Folded Reload
	v_and_b32_sdwa v5, v4, s43 dst_sel:DWORD dst_unused:UNUSED_PAD src0_sel:BYTE_1 src1_sel:DWORD
	v_cmp_ne_u32_e32 vcc, s43, v5
	s_waitcnt vmcnt(1)
	v_mov_b32_e32 v45, v24
	s_waitcnt vmcnt(0)
	v_mov_b32_e32 v2, v46
	buffer_store_dword v1, off, s[0:3], s32 offset:64 ; 4-byte Folded Spill
	s_nop 0
	buffer_store_dword v2, off, s[0:3], s32 offset:68 ; 4-byte Folded Spill
	s_and_saveexec_b64 s[40:41], vcc
	s_cbranch_execz .LBB206_735
; %bb.734:                              ;   in Loop: Header=BB206_12 Depth=1
	v_mov_b32_e32 v2, 7
	v_and_b32_sdwa v2, v4, v2 dst_sel:DWORD dst_unused:UNUSED_PAD src0_sel:BYTE_1 src1_sel:DWORD
	v_lshrrev_b32_e32 v9, 3, v5
	v_cmp_gt_u32_e32 vcc, 8, v5
	v_ffbh_u32_e32 v5, v2
	v_min_u32_e32 v5, 32, v5
	v_mov_b32_e32 v3, v24
	v_subrev_u32_e32 v7, 28, v5
	v_lshlrev_b64 v[7:8], v7, v[2:3]
	v_sub_u32_e32 v3, 29, v5
	v_and_b32_e32 v5, 7, v7
	v_cndmask_b32_e32 v3, v9, v3, vcc
	v_cndmask_b32_e32 v2, v2, v5, vcc
	v_bfrev_b32_e32 v5, 60
	v_lshlrev_b32_e32 v4, 16, v4
	v_lshl_add_u32 v3, v3, 23, v5
	v_and_or_b32 v3, v4, s44, v3
	v_lshlrev_b32_e32 v2, 20, v2
	v_or_b32_e32 v46, v3, v2
	v_mov_b32_e32 v45, v24
.LBB206_735:                            ;   in Loop: Header=BB206_12 Depth=1
	s_or_b64 exec, exec, s[40:41]
.LBB206_736:                            ;   in Loop: Header=BB206_12 Depth=1
	s_or_b64 exec, exec, s[28:29]
.LBB206_737:                            ;   in Loop: Header=BB206_12 Depth=1
	s_or_b64 exec, exec, s[26:27]
	v_add_co_u32_e32 v5, vcc, 0x1e00, v0
	buffer_load_dword v0, off, s[0:3], s32 offset:76 ; 4-byte Folded Reload
	v_addc_co_u32_e32 v9, vcc, 0, v1, vcc
	v_mov_b32_e32 v56, 0
	v_mov_b32_e32 v57, 0
	s_waitcnt vmcnt(0)
	v_add_co_u32_e32 v0, vcc, v5, v0
	v_addc_co_u32_e32 v1, vcc, 0, v9, vcc
	flat_load_ushort v0, v[0:1]
	s_waitcnt vmcnt(0) lgkmcnt(0)
	v_and_b32_e32 v4, 0xffff, v0
	v_cmp_ne_u16_sdwa s[28:29], v0, v24 src0_sel:BYTE_0 src1_sel:DWORD
	v_mov_b32_e32 v0, 0
	v_mov_b32_e32 v1, 0
	s_and_saveexec_b64 s[26:27], s[28:29]
	s_cbranch_execz .LBB206_743
; %bb.738:                              ;   in Loop: Header=BB206_12 Depth=1
	v_bfrev_b32_e32 v0, 1
	v_mov_b32_e32 v1, 0
	v_cmp_ne_u16_sdwa s[40:41], v4, s42 src0_sel:BYTE_0 src1_sel:DWORD
	s_and_saveexec_b64 s[28:29], s[40:41]
	s_cbranch_execz .LBB206_742
; %bb.739:                              ;   in Loop: Header=BB206_12 Depth=1
	v_and_b32_e32 v7, 0x7f, v4
	v_mov_b32_e32 v0, 0x7f800001
	v_mov_b32_e32 v1, 0
	v_cmp_ne_u32_e32 vcc, s43, v7
	s_and_saveexec_b64 s[40:41], vcc
	s_cbranch_execz .LBB206_741
; %bb.740:                              ;   in Loop: Header=BB206_12 Depth=1
	v_and_b32_e32 v2, 7, v4
	v_ffbh_u32_e32 v0, v2
	v_lshrrev_b32_e32 v3, 3, v7
	v_cmp_gt_u32_e32 vcc, 8, v7
	v_min_u32_e32 v7, 32, v0
	v_subrev_u32_e32 v0, 28, v7
	v_lshlrev_b64 v[0:1], v0, v[4:5]
	v_sub_u32_e32 v1, 29, v7
	v_and_b32_e32 v0, 7, v0
	v_cndmask_b32_e32 v1, v3, v1, vcc
	v_cndmask_b32_e32 v0, v2, v0, vcc
	v_bfrev_b32_e32 v3, 60
	v_lshlrev_b32_e32 v0, 20, v0
	v_and_b32_sdwa v2, sext(v4), s44 dst_sel:DWORD dst_unused:UNUSED_PAD src0_sel:BYTE_0 src1_sel:DWORD
	v_lshl_add_u32 v1, v1, 23, v3
	v_or3_b32 v0, v2, v1, v0
	v_mov_b32_e32 v1, v24
.LBB206_741:                            ;   in Loop: Header=BB206_12 Depth=1
	s_or_b64 exec, exec, s[40:41]
.LBB206_742:                            ;   in Loop: Header=BB206_12 Depth=1
	s_or_b64 exec, exec, s[28:29]
.LBB206_743:                            ;   in Loop: Header=BB206_12 Depth=1
	s_or_b64 exec, exec, s[26:27]
	v_cmp_ne_u16_sdwa s[28:29], v4, v24 src0_sel:BYTE_1 src1_sel:DWORD
	s_and_saveexec_b64 s[26:27], s[28:29]
	s_cbranch_execz .LBB206_749
; %bb.744:                              ;   in Loop: Header=BB206_12 Depth=1
	v_mov_b32_e32 v57, v25
	v_cmp_ne_u16_sdwa s[40:41], v4, s42 src0_sel:BYTE_1 src1_sel:DWORD
	v_mov_b32_e32 v56, v24
	s_and_saveexec_b64 s[28:29], s[40:41]
	s_cbranch_execz .LBB206_748
; %bb.745:                              ;   in Loop: Header=BB206_12 Depth=1
	buffer_load_dword v56, off, s[0:3], s32 offset:64 ; 4-byte Folded Reload
	buffer_load_dword v57, off, s[0:3], s32 offset:68 ; 4-byte Folded Reload
	v_and_b32_sdwa v7, v4, s43 dst_sel:DWORD dst_unused:UNUSED_PAD src0_sel:BYTE_1 src1_sel:DWORD
	v_cmp_ne_u32_e32 vcc, s43, v7
	s_waitcnt vmcnt(1)
	v_mov_b32_e32 v56, v24
	s_waitcnt vmcnt(0)
	v_mov_b32_e32 v2, v57
	buffer_store_dword v1, off, s[0:3], s32 offset:64 ; 4-byte Folded Spill
	s_nop 0
	buffer_store_dword v2, off, s[0:3], s32 offset:68 ; 4-byte Folded Spill
	s_and_saveexec_b64 s[40:41], vcc
	s_cbranch_execz .LBB206_747
; %bb.746:                              ;   in Loop: Header=BB206_12 Depth=1
	v_mov_b32_e32 v2, 7
	v_and_b32_sdwa v2, v4, v2 dst_sel:DWORD dst_unused:UNUSED_PAD src0_sel:BYTE_1 src1_sel:DWORD
	v_lshrrev_b32_e32 v12, 3, v7
	v_cmp_gt_u32_e32 vcc, 8, v7
	v_ffbh_u32_e32 v7, v2
	v_min_u32_e32 v14, 32, v7
	v_mov_b32_e32 v3, v24
	v_subrev_u32_e32 v7, 28, v14
	v_lshlrev_b64 v[7:8], v7, v[2:3]
	v_sub_u32_e32 v3, 29, v14
	v_and_b32_e32 v7, 7, v7
	v_cndmask_b32_e32 v3, v12, v3, vcc
	v_bfrev_b32_e32 v6, 60
	v_cndmask_b32_e32 v2, v2, v7, vcc
	v_lshlrev_b32_e32 v4, 16, v4
	v_lshl_add_u32 v3, v3, 23, v6
	v_and_or_b32 v3, v4, s44, v3
	v_lshlrev_b32_e32 v2, 20, v2
	v_or_b32_e32 v57, v3, v2
	v_mov_b32_e32 v56, v24
.LBB206_747:                            ;   in Loop: Header=BB206_12 Depth=1
	s_or_b64 exec, exec, s[40:41]
.LBB206_748:                            ;   in Loop: Header=BB206_12 Depth=1
	s_or_b64 exec, exec, s[28:29]
.LBB206_749:                            ;   in Loop: Header=BB206_12 Depth=1
	s_or_b64 exec, exec, s[26:27]
	buffer_load_dword v2, off, s[0:3], s32 offset:80 ; 4-byte Folded Reload
	v_mov_b32_e32 v60, 0
	v_mov_b32_e32 v58, 0
	;; [unrolled: 1-line block ×4, first 2 shown]
	s_waitcnt vmcnt(0)
	v_add_co_u32_e32 v2, vcc, v5, v2
	v_addc_co_u32_e32 v3, vcc, 0, v9, vcc
	flat_load_ushort v2, v[2:3]
	s_waitcnt vmcnt(0) lgkmcnt(0)
	v_and_b32_e32 v4, 0xffff, v2
	v_cmp_ne_u16_sdwa s[28:29], v2, v24 src0_sel:BYTE_0 src1_sel:DWORD
	s_and_saveexec_b64 s[26:27], s[28:29]
	s_cbranch_execz .LBB206_755
; %bb.750:                              ;   in Loop: Header=BB206_12 Depth=1
	v_bfrev_b32_e32 v58, 1
	v_mov_b32_e32 v59, 0
	v_cmp_ne_u16_sdwa s[40:41], v4, s42 src0_sel:BYTE_0 src1_sel:DWORD
	s_and_saveexec_b64 s[28:29], s[40:41]
	s_cbranch_execz .LBB206_754
; %bb.751:                              ;   in Loop: Header=BB206_12 Depth=1
	v_and_b32_e32 v7, 0x7f, v4
	v_mov_b32_e32 v58, 0x7f800001
	v_mov_b32_e32 v59, 0
	v_cmp_ne_u32_e32 vcc, s43, v7
	s_and_saveexec_b64 s[40:41], vcc
	s_cbranch_execz .LBB206_753
; %bb.752:                              ;   in Loop: Header=BB206_12 Depth=1
	v_and_b32_e32 v8, 7, v4
	v_ffbh_u32_e32 v2, v8
	v_lshrrev_b32_e32 v12, 3, v7
	v_cmp_gt_u32_e32 vcc, 8, v7
	v_min_u32_e32 v7, 32, v2
	v_subrev_u32_e32 v2, 28, v7
	v_lshlrev_b64 v[2:3], v2, v[4:5]
	v_sub_u32_e32 v3, 29, v7
	v_and_b32_e32 v2, 7, v2
	v_cndmask_b32_e32 v3, v12, v3, vcc
	v_cndmask_b32_e32 v2, v8, v2, vcc
	v_bfrev_b32_e32 v6, 60
	v_lshlrev_b32_e32 v2, 20, v2
	v_and_b32_sdwa v7, sext(v4), s44 dst_sel:DWORD dst_unused:UNUSED_PAD src0_sel:BYTE_0 src1_sel:DWORD
	v_lshl_add_u32 v3, v3, 23, v6
	v_or3_b32 v58, v7, v3, v2
	v_mov_b32_e32 v59, v24
.LBB206_753:                            ;   in Loop: Header=BB206_12 Depth=1
	s_or_b64 exec, exec, s[40:41]
.LBB206_754:                            ;   in Loop: Header=BB206_12 Depth=1
	s_or_b64 exec, exec, s[28:29]
.LBB206_755:                            ;   in Loop: Header=BB206_12 Depth=1
	s_or_b64 exec, exec, s[26:27]
	v_cmp_ne_u16_sdwa s[28:29], v4, v24 src0_sel:BYTE_1 src1_sel:DWORD
	s_and_saveexec_b64 s[26:27], s[28:29]
	s_cbranch_execz .LBB206_761
; %bb.756:                              ;   in Loop: Header=BB206_12 Depth=1
	v_mov_b32_e32 v61, v25
	v_cmp_ne_u16_sdwa s[40:41], v4, s42 src0_sel:BYTE_1 src1_sel:DWORD
	v_mov_b32_e32 v60, v24
	s_and_saveexec_b64 s[28:29], s[40:41]
	s_cbranch_execz .LBB206_760
; %bb.757:                              ;   in Loop: Header=BB206_12 Depth=1
	buffer_load_dword v60, off, s[0:3], s32 offset:64 ; 4-byte Folded Reload
	buffer_load_dword v61, off, s[0:3], s32 offset:68 ; 4-byte Folded Reload
	v_and_b32_sdwa v7, v4, s43 dst_sel:DWORD dst_unused:UNUSED_PAD src0_sel:BYTE_1 src1_sel:DWORD
	v_cmp_ne_u32_e32 vcc, s43, v7
	s_waitcnt vmcnt(1)
	v_mov_b32_e32 v60, v24
	s_waitcnt vmcnt(0)
	v_mov_b32_e32 v2, v61
	buffer_store_dword v1, off, s[0:3], s32 offset:64 ; 4-byte Folded Spill
	s_nop 0
	buffer_store_dword v2, off, s[0:3], s32 offset:68 ; 4-byte Folded Spill
	s_and_saveexec_b64 s[40:41], vcc
	s_cbranch_execz .LBB206_759
; %bb.758:                              ;   in Loop: Header=BB206_12 Depth=1
	v_mov_b32_e32 v2, 7
	v_and_b32_sdwa v2, v4, v2 dst_sel:DWORD dst_unused:UNUSED_PAD src0_sel:BYTE_1 src1_sel:DWORD
	v_lshrrev_b32_e32 v12, 3, v7
	v_cmp_gt_u32_e32 vcc, 8, v7
	v_ffbh_u32_e32 v7, v2
	v_min_u32_e32 v14, 32, v7
	v_mov_b32_e32 v3, v24
	v_subrev_u32_e32 v7, 28, v14
	v_lshlrev_b64 v[7:8], v7, v[2:3]
	v_sub_u32_e32 v3, 29, v14
	v_and_b32_e32 v7, 7, v7
	v_cndmask_b32_e32 v3, v12, v3, vcc
	v_bfrev_b32_e32 v6, 60
	v_cndmask_b32_e32 v2, v2, v7, vcc
	v_lshlrev_b32_e32 v4, 16, v4
	v_lshl_add_u32 v3, v3, 23, v6
	v_and_or_b32 v3, v4, s44, v3
	v_lshlrev_b32_e32 v2, 20, v2
	v_or_b32_e32 v61, v3, v2
	v_mov_b32_e32 v60, v24
.LBB206_759:                            ;   in Loop: Header=BB206_12 Depth=1
	s_or_b64 exec, exec, s[40:41]
.LBB206_760:                            ;   in Loop: Header=BB206_12 Depth=1
	s_or_b64 exec, exec, s[28:29]
.LBB206_761:                            ;   in Loop: Header=BB206_12 Depth=1
	s_or_b64 exec, exec, s[26:27]
	buffer_load_dword v2, off, s[0:3], s32 offset:84 ; 4-byte Folded Reload
	v_mov_b32_e32 v7, 0
	v_mov_b32_e32 v62, 0
	;; [unrolled: 1-line block ×4, first 2 shown]
	s_waitcnt vmcnt(0)
	v_add_co_u32_e32 v2, vcc, v5, v2
	v_addc_co_u32_e32 v3, vcc, 0, v9, vcc
	flat_load_ushort v2, v[2:3]
	s_waitcnt vmcnt(0) lgkmcnt(0)
	v_and_b32_e32 v4, 0xffff, v2
	v_cmp_ne_u16_sdwa s[28:29], v2, v24 src0_sel:BYTE_0 src1_sel:DWORD
	s_and_saveexec_b64 s[26:27], s[28:29]
	s_cbranch_execz .LBB206_767
; %bb.762:                              ;   in Loop: Header=BB206_12 Depth=1
	v_bfrev_b32_e32 v62, 1
	v_mov_b32_e32 v63, 0
	v_cmp_ne_u16_sdwa s[40:41], v4, s42 src0_sel:BYTE_0 src1_sel:DWORD
	s_and_saveexec_b64 s[28:29], s[40:41]
	s_cbranch_execz .LBB206_766
; %bb.763:                              ;   in Loop: Header=BB206_12 Depth=1
	v_and_b32_e32 v12, 0x7f, v4
	v_mov_b32_e32 v62, 0x7f800001
	v_mov_b32_e32 v63, 0
	v_cmp_ne_u32_e32 vcc, s43, v12
	s_and_saveexec_b64 s[40:41], vcc
	s_cbranch_execz .LBB206_765
; %bb.764:                              ;   in Loop: Header=BB206_12 Depth=1
	v_and_b32_e32 v14, 7, v4
	v_ffbh_u32_e32 v2, v14
	v_lshrrev_b32_e32 v15, 3, v12
	v_cmp_gt_u32_e32 vcc, 8, v12
	v_min_u32_e32 v12, 32, v2
	v_subrev_u32_e32 v2, 28, v12
	v_lshlrev_b64 v[2:3], v2, v[4:5]
	v_sub_u32_e32 v3, 29, v12
	v_and_b32_e32 v2, 7, v2
	v_cndmask_b32_e32 v3, v15, v3, vcc
	v_cndmask_b32_e32 v2, v14, v2, vcc
	v_bfrev_b32_e32 v6, 60
	v_lshlrev_b32_e32 v2, 20, v2
	v_and_b32_sdwa v12, sext(v4), s44 dst_sel:DWORD dst_unused:UNUSED_PAD src0_sel:BYTE_0 src1_sel:DWORD
	v_lshl_add_u32 v3, v3, 23, v6
	v_or3_b32 v62, v12, v3, v2
	v_mov_b32_e32 v63, v24
.LBB206_765:                            ;   in Loop: Header=BB206_12 Depth=1
	s_or_b64 exec, exec, s[40:41]
.LBB206_766:                            ;   in Loop: Header=BB206_12 Depth=1
	s_or_b64 exec, exec, s[28:29]
.LBB206_767:                            ;   in Loop: Header=BB206_12 Depth=1
	s_or_b64 exec, exec, s[26:27]
	v_cmp_ne_u16_sdwa s[28:29], v4, v24 src0_sel:BYTE_1 src1_sel:DWORD
	s_and_saveexec_b64 s[26:27], s[28:29]
	s_cbranch_execz .LBB206_773
; %bb.768:                              ;   in Loop: Header=BB206_12 Depth=1
	v_mov_b32_e32 v7, v24
	v_cmp_ne_u16_sdwa s[40:41], v4, s42 src0_sel:BYTE_1 src1_sel:DWORD
	v_mov_b32_e32 v8, v25
	s_and_saveexec_b64 s[28:29], s[40:41]
	s_cbranch_execz .LBB206_772
; %bb.769:                              ;   in Loop: Header=BB206_12 Depth=1
	buffer_load_dword v7, off, s[0:3], s32 offset:64 ; 4-byte Folded Reload
	buffer_load_dword v8, off, s[0:3], s32 offset:68 ; 4-byte Folded Reload
	v_mov_b32_e32 v31, v19
	v_mov_b32_e32 v30, v18
	v_and_b32_sdwa v18, v4, s43 dst_sel:DWORD dst_unused:UNUSED_PAD src0_sel:BYTE_1 src1_sel:DWORD
	v_cmp_ne_u32_e32 vcc, s43, v18
	s_waitcnt vmcnt(1)
	v_mov_b32_e32 v7, v24
	s_waitcnt vmcnt(0)
	v_mov_b32_e32 v2, v8
	buffer_store_dword v1, off, s[0:3], s32 offset:64 ; 4-byte Folded Spill
	s_nop 0
	buffer_store_dword v2, off, s[0:3], s32 offset:68 ; 4-byte Folded Spill
	s_and_saveexec_b64 s[40:41], vcc
	s_cbranch_execz .LBB206_771
; %bb.770:                              ;   in Loop: Header=BB206_12 Depth=1
	v_mov_b32_e32 v2, 7
	v_and_b32_sdwa v2, v4, v2 dst_sel:DWORD dst_unused:UNUSED_PAD src0_sel:BYTE_1 src1_sel:DWORD
	v_ffbh_u32_e32 v7, v2
	v_min_u32_e32 v14, 32, v7
	v_mov_b32_e32 v3, v24
	v_subrev_u32_e32 v7, 28, v14
	v_lshlrev_b64 v[7:8], v7, v[2:3]
	v_lshrrev_b32_e32 v12, 3, v18
	v_cmp_gt_u32_e32 vcc, 8, v18
	v_sub_u32_e32 v3, 29, v14
	v_and_b32_e32 v7, 7, v7
	v_cndmask_b32_e32 v3, v12, v3, vcc
	v_bfrev_b32_e32 v6, 60
	v_cndmask_b32_e32 v2, v2, v7, vcc
	v_lshlrev_b32_e32 v4, 16, v4
	v_lshl_add_u32 v3, v3, 23, v6
	v_and_or_b32 v3, v4, s44, v3
	v_lshlrev_b32_e32 v2, 20, v2
	v_or_b32_e32 v8, v3, v2
	v_mov_b32_e32 v7, v24
.LBB206_771:                            ;   in Loop: Header=BB206_12 Depth=1
	s_or_b64 exec, exec, s[40:41]
	v_mov_b32_e32 v18, v30
	v_mov_b32_e32 v19, v31
.LBB206_772:                            ;   in Loop: Header=BB206_12 Depth=1
	s_or_b64 exec, exec, s[28:29]
.LBB206_773:                            ;   in Loop: Header=BB206_12 Depth=1
	s_or_b64 exec, exec, s[26:27]
	buffer_load_dword v2, off, s[0:3], s32 offset:88 ; 4-byte Folded Reload
	v_mov_b32_e32 v14, 0
	v_mov_b32_e32 v15, 0
	s_waitcnt vmcnt(0)
	v_add_co_u32_e32 v2, vcc, v5, v2
	v_addc_co_u32_e32 v3, vcc, 0, v9, vcc
	flat_load_ushort v2, v[2:3]
	s_waitcnt vmcnt(0) lgkmcnt(0)
	v_and_b32_e32 v4, 0xffff, v2
	v_cmp_ne_u16_sdwa s[28:29], v2, v24 src0_sel:BYTE_0 src1_sel:DWORD
	v_mov_b32_e32 v2, 0
	v_mov_b32_e32 v3, 0
	s_and_saveexec_b64 s[26:27], s[28:29]
	s_cbranch_execz .LBB206_779
; %bb.774:                              ;   in Loop: Header=BB206_12 Depth=1
	v_bfrev_b32_e32 v2, 1
	v_mov_b32_e32 v3, 0
	v_cmp_ne_u16_sdwa s[40:41], v4, s42 src0_sel:BYTE_0 src1_sel:DWORD
	s_and_saveexec_b64 s[28:29], s[40:41]
	s_cbranch_execz .LBB206_778
; %bb.775:                              ;   in Loop: Header=BB206_12 Depth=1
	v_and_b32_e32 v5, 0x7f, v4
	v_mov_b32_e32 v2, 0x7f800001
	v_mov_b32_e32 v3, 0
	v_cmp_ne_u32_e32 vcc, s43, v5
	s_and_saveexec_b64 s[40:41], vcc
	s_cbranch_execz .LBB206_777
; %bb.776:                              ;   in Loop: Header=BB206_12 Depth=1
	v_and_b32_e32 v9, 7, v4
	v_ffbh_u32_e32 v2, v9
	v_lshrrev_b32_e32 v12, 3, v5
	v_cmp_gt_u32_e32 vcc, 8, v5
	v_min_u32_e32 v5, 32, v2
	v_subrev_u32_e32 v2, 28, v5
	v_lshlrev_b64 v[2:3], v2, v[4:5]
	v_sub_u32_e32 v3, 29, v5
	v_and_b32_e32 v2, 7, v2
	v_cndmask_b32_e32 v3, v12, v3, vcc
	v_cndmask_b32_e32 v2, v9, v2, vcc
	v_bfrev_b32_e32 v6, 60
	v_lshlrev_b32_e32 v2, 20, v2
	v_and_b32_sdwa v5, sext(v4), s44 dst_sel:DWORD dst_unused:UNUSED_PAD src0_sel:BYTE_0 src1_sel:DWORD
	v_lshl_add_u32 v3, v3, 23, v6
	v_or3_b32 v2, v5, v3, v2
	v_mov_b32_e32 v3, v24
.LBB206_777:                            ;   in Loop: Header=BB206_12 Depth=1
	s_or_b64 exec, exec, s[40:41]
.LBB206_778:                            ;   in Loop: Header=BB206_12 Depth=1
	s_or_b64 exec, exec, s[28:29]
.LBB206_779:                            ;   in Loop: Header=BB206_12 Depth=1
	s_or_b64 exec, exec, s[26:27]
	v_cmp_ne_u16_sdwa s[28:29], v4, v24 src0_sel:BYTE_1 src1_sel:DWORD
	buffer_store_dword v2, off, s[0:3], s32 offset:1192 ; 4-byte Folded Spill
	s_nop 0
	buffer_store_dword v3, off, s[0:3], s32 offset:1196 ; 4-byte Folded Spill
	buffer_store_dword v16, off, s[0:3], s32 offset:1184 ; 4-byte Folded Spill
	s_nop 0
	buffer_store_dword v17, off, s[0:3], s32 offset:1188 ; 4-byte Folded Spill
	s_and_saveexec_b64 s[26:27], s[28:29]
	s_cbranch_execz .LBB206_785
; %bb.780:                              ;   in Loop: Header=BB206_12 Depth=1
	v_mov_b32_e32 v14, v24
	v_cmp_ne_u16_sdwa s[40:41], v4, s42 src0_sel:BYTE_1 src1_sel:DWORD
	v_mov_b32_e32 v15, v25
	s_and_saveexec_b64 s[28:29], s[40:41]
	s_cbranch_execz .LBB206_784
; %bb.781:                              ;   in Loop: Header=BB206_12 Depth=1
	v_mov_b32_e32 v16, v18
	v_mov_b32_e32 v17, v19
	buffer_load_dword v2, off, s[0:3], s32 offset:148 ; 4-byte Folded Reload
	buffer_load_dword v3, off, s[0:3], s32 offset:152 ; 4-byte Folded Reload
	;; [unrolled: 1-line block ×4, first 2 shown]
	s_waitcnt vmcnt(1)
	v_mov_b32_e32 v18, v24
	v_and_b32_sdwa v5, v4, s43 dst_sel:DWORD dst_unused:UNUSED_PAD src0_sel:BYTE_1 src1_sel:DWORD
	v_cmp_ne_u32_e32 vcc, s43, v5
	s_waitcnt vmcnt(0)
	v_mov_b32_e32 v14, v18
	v_mov_b32_e32 v2, v19
	;; [unrolled: 1-line block ×3, first 2 shown]
	buffer_store_dword v1, off, s[0:3], s32 offset:64 ; 4-byte Folded Spill
	s_nop 0
	buffer_store_dword v2, off, s[0:3], s32 offset:68 ; 4-byte Folded Spill
	s_and_saveexec_b64 s[40:41], vcc
	s_cbranch_execz .LBB206_783
; %bb.782:                              ;   in Loop: Header=BB206_12 Depth=1
	v_mov_b32_e32 v2, 7
	v_and_b32_sdwa v2, v4, v2 dst_sel:DWORD dst_unused:UNUSED_PAD src0_sel:BYTE_1 src1_sel:DWORD
	v_lshrrev_b32_e32 v9, 3, v5
	v_cmp_gt_u32_e32 vcc, 8, v5
	v_ffbh_u32_e32 v5, v2
	v_min_u32_e32 v5, 32, v5
	v_mov_b32_e32 v3, v24
	v_subrev_u32_e32 v12, 28, v5
	v_lshlrev_b64 v[14:15], v12, v[2:3]
	v_sub_u32_e32 v3, 29, v5
	v_and_b32_e32 v5, 7, v14
	v_cndmask_b32_e32 v3, v9, v3, vcc
	v_cndmask_b32_e32 v2, v2, v5, vcc
	v_bfrev_b32_e32 v5, 60
	v_lshlrev_b32_e32 v4, 16, v4
	v_lshl_add_u32 v3, v3, 23, v5
	v_and_or_b32 v3, v4, s44, v3
	v_lshlrev_b32_e32 v2, 20, v2
	v_or_b32_e32 v15, v3, v2
	v_mov_b32_e32 v14, v24
.LBB206_783:                            ;   in Loop: Header=BB206_12 Depth=1
	s_or_b64 exec, exec, s[40:41]
	v_mov_b32_e32 v19, v17
	v_mov_b32_e32 v18, v16
.LBB206_784:                            ;   in Loop: Header=BB206_12 Depth=1
	s_or_b64 exec, exec, s[28:29]
.LBB206_785:                            ;   in Loop: Header=BB206_12 Depth=1
	s_or_b64 exec, exec, s[26:27]
	buffer_store_dword v14, off, s[0:3], s32 offset:1200 ; 4-byte Folded Spill
	s_nop 0
	buffer_store_dword v15, off, s[0:3], s32 offset:1204 ; 4-byte Folded Spill
	buffer_load_dword v3, off, s[0:3], s32 offset:164 ; 4-byte Folded Reload
	buffer_load_dword v4, off, s[0:3], s32 offset:168 ; 4-byte Folded Reload
	;; [unrolled: 1-line block ×4, first 2 shown]
	v_mov_b32_e32 v31, v13
	v_or_b32_e32 v33, v35, v33
	v_or_b32_e32 v37, v48, v37
	;; [unrolled: 1-line block ×9, first 2 shown]
	v_mul_f32_e32 v7, v31, v7
	v_mul_f32_e32 v8, v31, v8
	s_waitcnt vmcnt(1)
	v_or_b32_e32 v3, v5, v3
	s_waitcnt vmcnt(0)
	v_or_b32_e32 v2, v6, v4
	buffer_load_dword v5, off, s[0:3], s32 offset:156 ; 4-byte Folded Reload
	buffer_load_dword v6, off, s[0:3], s32 offset:160 ; 4-byte Folded Reload
	;; [unrolled: 1-line block ×4, first 2 shown]
	v_mul_f32_e32 v3, v13, v3
	v_mul_f32_e32 v2, v31, v2
	s_waitcnt vmcnt(1)
	v_or_b32_e32 v5, v5, v11
	v_mul_f32_e32 v5, v13, v5
	buffer_load_dword v13, off, s[0:3], s32 offset:1168 ; 4-byte Folded Reload
	buffer_load_dword v14, off, s[0:3], s32 offset:1172 ; 4-byte Folded Reload
	;; [unrolled: 1-line block ×4, first 2 shown]
	s_waitcnt vmcnt(4)
	v_or_b32_e32 v4, v6, v12
	s_waitcnt vmcnt(1)
	v_mul_f32_e32 v12, v15, v3
	v_mul_f32_e32 v3, v31, v4
	s_waitcnt vmcnt(0)
	v_mul_f32_e32 v9, v16, v2
	v_fmac_f32_e32 v12, v13, v5
	v_fmac_f32_e32 v9, v14, v3
	buffer_load_dword v3, off, s[0:3], s32 offset:196 ; 4-byte Folded Reload
	buffer_load_dword v4, off, s[0:3], s32 offset:200 ; 4-byte Folded Reload
	;; [unrolled: 1-line block ×4, first 2 shown]
	s_waitcnt vmcnt(1)
	v_or_b32_e32 v3, v5, v3
	s_waitcnt vmcnt(0)
	v_or_b32_e32 v2, v6, v4
	buffer_load_dword v5, off, s[0:3], s32 offset:180 ; 4-byte Folded Reload
	buffer_load_dword v6, off, s[0:3], s32 offset:184 ; 4-byte Folded Reload
	buffer_load_dword v13, off, s[0:3], s32 offset:188 ; 4-byte Folded Reload
	buffer_load_dword v14, off, s[0:3], s32 offset:192 ; 4-byte Folded Reload
	v_mul_f32_e32 v3, v31, v3
	v_mul_f32_e32 v2, v31, v2
	s_waitcnt vmcnt(1)
	v_or_b32_e32 v5, v13, v5
	s_waitcnt vmcnt(0)
	v_or_b32_e32 v4, v14, v6
	buffer_load_dword v13, off, s[0:3], s32 offset:1152 ; 4-byte Folded Reload
	buffer_load_dword v14, off, s[0:3], s32 offset:1156 ; 4-byte Folded Reload
	buffer_load_dword v15, off, s[0:3], s32 offset:1160 ; 4-byte Folded Reload
	buffer_load_dword v16, off, s[0:3], s32 offset:1164 ; 4-byte Folded Reload
	v_mul_f32_e32 v5, v31, v5
	v_mul_f32_e32 v4, v31, v4
	s_waitcnt vmcnt(3)
	v_fmac_f32_e32 v12, v13, v5
	s_waitcnt vmcnt(2)
	v_fmac_f32_e32 v9, v14, v4
	s_waitcnt vmcnt(1)
	v_fmac_f32_e32 v12, v15, v3
	buffer_load_dword v3, off, s[0:3], s32 offset:228 ; 4-byte Folded Reload
	buffer_load_dword v4, off, s[0:3], s32 offset:232 ; 4-byte Folded Reload
	buffer_load_dword v5, off, s[0:3], s32 offset:236 ; 4-byte Folded Reload
	buffer_load_dword v6, off, s[0:3], s32 offset:240 ; 4-byte Folded Reload
	s_waitcnt vmcnt(4)
	v_fmac_f32_e32 v9, v16, v2
	s_waitcnt vmcnt(1)
	v_or_b32_e32 v3, v5, v3
	s_waitcnt vmcnt(0)
	v_or_b32_e32 v2, v6, v4
	buffer_load_dword v5, off, s[0:3], s32 offset:212 ; 4-byte Folded Reload
	buffer_load_dword v6, off, s[0:3], s32 offset:216 ; 4-byte Folded Reload
	buffer_load_dword v13, off, s[0:3], s32 offset:220 ; 4-byte Folded Reload
	buffer_load_dword v14, off, s[0:3], s32 offset:224 ; 4-byte Folded Reload
	v_mul_f32_e32 v3, v31, v3
	v_mul_f32_e32 v2, v31, v2
	s_waitcnt vmcnt(1)
	v_or_b32_e32 v5, v13, v5
	s_waitcnt vmcnt(0)
	v_or_b32_e32 v4, v14, v6
	buffer_load_dword v13, off, s[0:3], s32 offset:1136 ; 4-byte Folded Reload
	buffer_load_dword v14, off, s[0:3], s32 offset:1140 ; 4-byte Folded Reload
	buffer_load_dword v15, off, s[0:3], s32 offset:1144 ; 4-byte Folded Reload
	buffer_load_dword v16, off, s[0:3], s32 offset:1148 ; 4-byte Folded Reload
	v_mul_f32_e32 v5, v31, v5
	v_mul_f32_e32 v4, v31, v4
	s_waitcnt vmcnt(3)
	v_fmac_f32_e32 v12, v13, v5
	s_waitcnt vmcnt(2)
	v_fmac_f32_e32 v9, v14, v4
	s_waitcnt vmcnt(1)
	v_fmac_f32_e32 v12, v15, v3
	buffer_load_dword v3, off, s[0:3], s32 offset:260 ; 4-byte Folded Reload
	buffer_load_dword v4, off, s[0:3], s32 offset:264 ; 4-byte Folded Reload
	buffer_load_dword v5, off, s[0:3], s32 offset:268 ; 4-byte Folded Reload
	buffer_load_dword v6, off, s[0:3], s32 offset:272 ; 4-byte Folded Reload
	s_waitcnt vmcnt(4)
	v_fmac_f32_e32 v9, v16, v2
	;; [unrolled: 32-line block ×10, first 2 shown]
	s_waitcnt vmcnt(1)
	v_or_b32_e32 v3, v5, v3
	s_waitcnt vmcnt(0)
	v_or_b32_e32 v2, v6, v4
	buffer_load_dword v5, off, s[0:3], s32 offset:500 ; 4-byte Folded Reload
	buffer_load_dword v6, off, s[0:3], s32 offset:504 ; 4-byte Folded Reload
	;; [unrolled: 1-line block ×4, first 2 shown]
	v_mul_f32_e32 v3, v31, v3
	v_mul_f32_e32 v2, v31, v2
	s_waitcnt vmcnt(1)
	v_or_b32_e32 v5, v13, v5
	s_waitcnt vmcnt(0)
	v_or_b32_e32 v4, v14, v6
	v_mul_f32_e32 v5, v31, v5
	v_mul_f32_e32 v4, v31, v4
	v_fmac_f32_e32 v12, v26, v5
	v_fmac_f32_e32 v9, v27, v4
	;; [unrolled: 1-line block ×4, first 2 shown]
	buffer_load_dword v2, off, s[0:3], s32 offset:564 ; 4-byte Folded Reload
	buffer_load_dword v3, off, s[0:3], s32 offset:568 ; 4-byte Folded Reload
	;; [unrolled: 1-line block ×4, first 2 shown]
	s_waitcnt vmcnt(1)
	v_or_b32_e32 v28, v4, v2
	s_waitcnt vmcnt(0)
	v_or_b32_e32 v27, v5, v3
	buffer_load_dword v2, off, s[0:3], s32 offset:548 ; 4-byte Folded Reload
	buffer_load_dword v3, off, s[0:3], s32 offset:552 ; 4-byte Folded Reload
	buffer_load_dword v4, off, s[0:3], s32 offset:556 ; 4-byte Folded Reload
	buffer_load_dword v5, off, s[0:3], s32 offset:560 ; 4-byte Folded Reload
	s_waitcnt vmcnt(1)
	v_or_b32_e32 v2, v4, v2
	s_waitcnt vmcnt(0)
	v_or_b32_e32 v29, v5, v3
	buffer_load_dword v4, off, s[0:3], s32 offset:532 ; 4-byte Folded Reload
	buffer_load_dword v5, off, s[0:3], s32 offset:536 ; 4-byte Folded Reload
	;; [unrolled: 1-line block ×4, first 2 shown]
	v_mul_f32_e32 v30, v31, v2
	s_waitcnt vmcnt(1)
	v_or_b32_e32 v4, v13, v4
	s_waitcnt vmcnt(0)
	v_or_b32_e32 v3, v14, v5
	buffer_load_dword v5, off, s[0:3], s32 offset:1016 ; 4-byte Folded Reload
	buffer_load_dword v6, off, s[0:3], s32 offset:1020 ; 4-byte Folded Reload
	v_mul_f32_e32 v4, v31, v4
	v_mul_f32_e32 v3, v31, v3
	s_waitcnt vmcnt(1)
	v_fmac_f32_e32 v12, v5, v4
	s_waitcnt vmcnt(0)
	v_fmac_f32_e32 v9, v6, v3
	ds_read2_b64 v[2:5], v10 offset0:25 offset1:26
	ds_read2_b64 v[14:17], v10 offset0:27 offset1:28
	s_waitcnt lgkmcnt(1)
	v_fmac_f32_e32 v12, v2, v30
	v_mul_f32_e32 v2, v31, v29
	v_fmac_f32_e32 v9, v3, v2
	v_mul_f32_e32 v2, v31, v28
	;; [unrolled: 2-line block ×3, first 2 shown]
	v_fmac_f32_e32 v9, v5, v2
	buffer_load_dword v3, off, s[0:3], s32 offset:596 ; 4-byte Folded Reload
	buffer_load_dword v4, off, s[0:3], s32 offset:600 ; 4-byte Folded Reload
	;; [unrolled: 1-line block ×4, first 2 shown]
	s_waitcnt vmcnt(1)
	v_or_b32_e32 v3, v5, v3
	s_waitcnt vmcnt(0)
	v_or_b32_e32 v2, v6, v4
	buffer_load_dword v5, off, s[0:3], s32 offset:580 ; 4-byte Folded Reload
	buffer_load_dword v6, off, s[0:3], s32 offset:584 ; 4-byte Folded Reload
	;; [unrolled: 1-line block ×4, first 2 shown]
	v_mul_f32_e32 v3, v31, v3
	v_mul_f32_e32 v2, v31, v2
	s_waitcnt vmcnt(1)
	v_or_b32_e32 v5, v26, v5
	s_waitcnt vmcnt(0)
	v_or_b32_e32 v4, v27, v6
	v_mul_f32_e32 v5, v31, v5
	v_mul_f32_e32 v4, v31, v4
	s_waitcnt lgkmcnt(0)
	v_fmac_f32_e32 v12, v14, v5
	v_fmac_f32_e32 v9, v15, v4
	v_fmac_f32_e32 v12, v16, v3
	v_fmac_f32_e32 v9, v17, v2
	buffer_load_dword v2, off, s[0:3], s32 offset:628 ; 4-byte Folded Reload
	buffer_load_dword v3, off, s[0:3], s32 offset:632 ; 4-byte Folded Reload
	;; [unrolled: 1-line block ×4, first 2 shown]
	s_waitcnt vmcnt(1)
	v_or_b32_e32 v28, v4, v2
	s_waitcnt vmcnt(0)
	v_or_b32_e32 v27, v5, v3
	buffer_load_dword v2, off, s[0:3], s32 offset:612 ; 4-byte Folded Reload
	buffer_load_dword v3, off, s[0:3], s32 offset:616 ; 4-byte Folded Reload
	;; [unrolled: 1-line block ×4, first 2 shown]
	s_waitcnt vmcnt(1)
	v_or_b32_e32 v2, v4, v2
	s_waitcnt vmcnt(0)
	v_or_b32_e32 v29, v5, v3
	v_mul_f32_e32 v30, v31, v2
	ds_read2_b64 v[2:5], v10 offset0:29 offset1:30
	ds_read2_b64 v[14:17], v10 offset0:31 offset1:32
	s_waitcnt lgkmcnt(1)
	v_fmac_f32_e32 v12, v2, v30
	v_mul_f32_e32 v2, v31, v29
	v_fmac_f32_e32 v9, v3, v2
	v_mul_f32_e32 v2, v31, v28
	;; [unrolled: 2-line block ×3, first 2 shown]
	v_fmac_f32_e32 v9, v5, v2
	buffer_load_dword v3, off, s[0:3], s32 offset:660 ; 4-byte Folded Reload
	buffer_load_dword v4, off, s[0:3], s32 offset:664 ; 4-byte Folded Reload
	;; [unrolled: 1-line block ×4, first 2 shown]
	s_waitcnt vmcnt(1)
	v_or_b32_e32 v3, v5, v3
	s_waitcnt vmcnt(0)
	v_or_b32_e32 v2, v6, v4
	buffer_load_dword v5, off, s[0:3], s32 offset:644 ; 4-byte Folded Reload
	buffer_load_dword v6, off, s[0:3], s32 offset:648 ; 4-byte Folded Reload
	;; [unrolled: 1-line block ×4, first 2 shown]
	v_mul_f32_e32 v3, v31, v3
	v_mul_f32_e32 v2, v31, v2
	s_waitcnt vmcnt(1)
	v_or_b32_e32 v5, v26, v5
	s_waitcnt vmcnt(0)
	v_or_b32_e32 v4, v27, v6
	v_mul_f32_e32 v5, v31, v5
	v_mul_f32_e32 v4, v31, v4
	s_waitcnt lgkmcnt(0)
	v_fmac_f32_e32 v12, v14, v5
	v_fmac_f32_e32 v9, v15, v4
	;; [unrolled: 1-line block ×4, first 2 shown]
	buffer_load_dword v2, off, s[0:3], s32 offset:692 ; 4-byte Folded Reload
	buffer_load_dword v3, off, s[0:3], s32 offset:696 ; 4-byte Folded Reload
	;; [unrolled: 1-line block ×4, first 2 shown]
	s_waitcnt vmcnt(1)
	v_or_b32_e32 v28, v4, v2
	s_waitcnt vmcnt(0)
	v_or_b32_e32 v27, v5, v3
	buffer_load_dword v2, off, s[0:3], s32 offset:676 ; 4-byte Folded Reload
	buffer_load_dword v3, off, s[0:3], s32 offset:680 ; 4-byte Folded Reload
	;; [unrolled: 1-line block ×4, first 2 shown]
	s_waitcnt vmcnt(1)
	v_or_b32_e32 v2, v4, v2
	s_waitcnt vmcnt(0)
	v_or_b32_e32 v29, v5, v3
	v_mul_f32_e32 v30, v31, v2
	ds_read2_b64 v[2:5], v10 offset0:33 offset1:34
	ds_read2_b64 v[14:17], v10 offset0:35 offset1:36
	s_waitcnt lgkmcnt(1)
	v_fmac_f32_e32 v12, v2, v30
	v_mul_f32_e32 v2, v31, v29
	v_fmac_f32_e32 v9, v3, v2
	v_mul_f32_e32 v2, v31, v28
	;; [unrolled: 2-line block ×3, first 2 shown]
	v_fmac_f32_e32 v9, v5, v2
	buffer_load_dword v3, off, s[0:3], s32 offset:724 ; 4-byte Folded Reload
	buffer_load_dword v4, off, s[0:3], s32 offset:728 ; 4-byte Folded Reload
	;; [unrolled: 1-line block ×4, first 2 shown]
	s_waitcnt vmcnt(1)
	v_or_b32_e32 v3, v5, v3
	s_waitcnt vmcnt(0)
	v_or_b32_e32 v2, v6, v4
	buffer_load_dword v5, off, s[0:3], s32 offset:708 ; 4-byte Folded Reload
	buffer_load_dword v6, off, s[0:3], s32 offset:712 ; 4-byte Folded Reload
	;; [unrolled: 1-line block ×4, first 2 shown]
	v_mul_f32_e32 v3, v31, v3
	v_mul_f32_e32 v2, v31, v2
	s_waitcnt vmcnt(1)
	v_or_b32_e32 v5, v26, v5
	s_waitcnt vmcnt(0)
	v_or_b32_e32 v4, v27, v6
	v_mul_f32_e32 v5, v31, v5
	v_mul_f32_e32 v4, v31, v4
	s_waitcnt lgkmcnt(0)
	v_fmac_f32_e32 v12, v14, v5
	v_fmac_f32_e32 v9, v15, v4
	;; [unrolled: 1-line block ×4, first 2 shown]
	buffer_load_dword v2, off, s[0:3], s32 offset:756 ; 4-byte Folded Reload
	buffer_load_dword v3, off, s[0:3], s32 offset:760 ; 4-byte Folded Reload
	;; [unrolled: 1-line block ×4, first 2 shown]
	v_mov_b32_e32 v6, v10
	s_waitcnt vmcnt(1)
	v_or_b32_e32 v28, v4, v2
	s_waitcnt vmcnt(0)
	v_or_b32_e32 v27, v5, v3
	buffer_load_dword v2, off, s[0:3], s32 offset:740 ; 4-byte Folded Reload
	buffer_load_dword v3, off, s[0:3], s32 offset:744 ; 4-byte Folded Reload
	;; [unrolled: 1-line block ×4, first 2 shown]
	s_waitcnt vmcnt(1)
	v_or_b32_e32 v2, v4, v2
	s_waitcnt vmcnt(0)
	v_or_b32_e32 v29, v5, v3
	v_mul_f32_e32 v30, v31, v2
	ds_read2_b64 v[14:17], v10 offset0:37 offset1:38
	ds_read2_b64 v[2:5], v10 offset0:39 offset1:40
	s_waitcnt lgkmcnt(1)
	v_fmac_f32_e32 v12, v14, v30
	v_mul_f32_e32 v14, v31, v29
	v_fmac_f32_e32 v9, v15, v14
	v_mul_f32_e32 v14, v31, v28
	;; [unrolled: 2-line block ×3, first 2 shown]
	v_fmac_f32_e32 v9, v17, v14
	v_or_b32_e32 v16, v57, v1
	v_or_b32_e32 v17, v56, v0
	buffer_load_dword v0, off, s[0:3], s32 offset:972 ; 4-byte Folded Reload
	buffer_load_dword v1, off, s[0:3], s32 offset:976 ; 4-byte Folded Reload
	v_or_b32_e32 v30, v39, v54
	v_or_b32_e32 v39, v53, v51
	;; [unrolled: 1-line block ×7, first 2 shown]
	s_waitcnt vmcnt(1)
	v_or_b32_e32 v35, v20, v0
	s_waitcnt vmcnt(0)
	v_or_b32_e32 v32, v21, v1
	buffer_load_dword v0, off, s[0:3], s32 offset:956 ; 4-byte Folded Reload
	buffer_load_dword v1, off, s[0:3], s32 offset:960 ; 4-byte Folded Reload
	buffer_load_dword v20, off, s[0:3], s32 offset:964 ; 4-byte Folded Reload
	buffer_load_dword v21, off, s[0:3], s32 offset:968 ; 4-byte Folded Reload
	s_waitcnt vmcnt(1)
	v_or_b32_e32 v48, v20, v0
	s_waitcnt vmcnt(0)
	v_or_b32_e32 v36, v21, v1
	buffer_load_dword v0, off, s[0:3], s32 offset:940 ; 4-byte Folded Reload
	buffer_load_dword v1, off, s[0:3], s32 offset:944 ; 4-byte Folded Reload
	buffer_load_dword v20, off, s[0:3], s32 offset:948 ; 4-byte Folded Reload
	buffer_load_dword v21, off, s[0:3], s32 offset:952 ; 4-byte Folded Reload
	;; [unrolled: 8-line block ×10, first 2 shown]
	s_waitcnt vmcnt(1)
	v_or_b32_e32 v60, v20, v0
	s_waitcnt vmcnt(0)
	v_or_b32_e32 v59, v21, v1
	buffer_load_dword v0, off, s[0:3], s32 offset:804 ; 4-byte Folded Reload
	buffer_load_dword v1, off, s[0:3], s32 offset:808 ; 4-byte Folded Reload
	s_waitcnt vmcnt(1)
	v_or_b32_e32 v62, v0, v18
	s_waitcnt vmcnt(0)
	v_or_b32_e32 v61, v1, v19
	buffer_load_dword v0, off, s[0:3], s32 offset:788 ; 4-byte Folded Reload
	buffer_load_dword v1, off, s[0:3], s32 offset:792 ; 4-byte Folded Reload
	;; [unrolled: 1-line block ×6, first 2 shown]
	s_waitcnt vmcnt(1)
	v_or_b32_e32 v10, v18, v0
	s_waitcnt vmcnt(0)
	v_or_b32_e32 v63, v19, v1
	buffer_load_dword v0, off, s[0:3], s32 offset:1184 ; 4-byte Folded Reload
	buffer_load_dword v1, off, s[0:3], s32 offset:1188 ; 4-byte Folded Reload
	s_waitcnt vmcnt(1)
	v_or_b32_e32 v26, v0, v20
	s_waitcnt vmcnt(0)
	v_or_b32_e32 v11, v1, v21
	buffer_load_dword v0, off, s[0:3], s32 offset:772 ; 4-byte Folded Reload
	buffer_load_dword v1, off, s[0:3], s32 offset:776 ; 4-byte Folded Reload
	;; [unrolled: 1-line block ×4, first 2 shown]
	s_waitcnt vmcnt(1)
	v_or_b32_e32 v13, v18, v0
	s_waitcnt vmcnt(0)
	v_or_b32_e32 v47, v19, v1
	buffer_load_dword v18, off, s[0:3], s32 offset:1192 ; 4-byte Folded Reload
	buffer_load_dword v19, off, s[0:3], s32 offset:1196 ; 4-byte Folded Reload
	;; [unrolled: 1-line block ×4, first 2 shown]
	v_mul_f32_e32 v13, v31, v13
	buffer_store_dword v7, off, s[0:3], s32 offset:156 ; 4-byte Folded Spill
	v_mul_f32_e32 v7, v31, v14
	buffer_store_dword v7, off, s[0:3], s32 offset:164 ; 4-byte Folded Spill
	v_mul_f32_e32 v7, v31, v15
	buffer_store_dword v7, off, s[0:3], s32 offset:172 ; 4-byte Folded Spill
	v_mul_f32_e32 v7, v31, v16
	buffer_store_dword v7, off, s[0:3], s32 offset:180 ; 4-byte Folded Spill
	v_mul_f32_e32 v15, v31, v17
	v_mul_f32_e32 v17, v31, v28
	;; [unrolled: 1-line block ×3, first 2 shown]
	buffer_store_dword v8, off, s[0:3], s32 offset:148 ; 4-byte Folded Spill
	v_mul_f32_e32 v16, v31, v27
	v_mul_f32_e32 v14, v31, v22
	;; [unrolled: 1-line block ×30, first 2 shown]
	s_waitcnt lgkmcnt(0)
	v_fmac_f32_e32 v12, v2, v13
	v_fmac_f32_e32 v9, v3, v26
	;; [unrolled: 1-line block ×4, first 2 shown]
	ds_read2_b64 v[2:5], v6 offset0:43 offset1:44
	v_mov_b32_e32 v10, v6
	s_waitcnt vmcnt(6)
	v_or_b32_e32 v1, v20, v18
	buffer_load_dword v20, off, s[0:3], s32 offset:1240 ; 4-byte Folded Reload
	s_waitcnt vmcnt(6)
	v_or_b32_e32 v0, v21, v19
	v_mul_f32_e32 v37, v31, v0
	v_mul_f32_e32 v21, v31, v32
	;; [unrolled: 1-line block ×8, first 2 shown]
	ds_read2_b64 v[60:63], v6 offset0:41 offset1:42
	v_mul_f32_e32 v1, v31, v1
	s_waitcnt lgkmcnt(0)
	v_fmac_f32_e32 v12, v60, v59
	v_fmac_f32_e32 v9, v61, v58
	;; [unrolled: 1-line block ×4, first 2 shown]
	ds_read2_b64 v[56:59], v6 offset0:45 offset1:46
	v_fmac_f32_e32 v12, v2, v46
	v_fmac_f32_e32 v9, v3, v45
	v_fmac_f32_e32 v12, v4, v44
	v_fmac_f32_e32 v9, v5, v43
	ds_read2_b64 v[2:5], v6 offset0:47 offset1:48
	s_waitcnt lgkmcnt(1)
	v_fmac_f32_e32 v12, v56, v42
	v_fmac_f32_e32 v9, v57, v41
	v_fmac_f32_e32 v12, v58, v40
	v_fmac_f32_e32 v9, v59, v55
	ds_read2_b64 v[40:43], v6 offset0:49 offset1:50
	s_waitcnt lgkmcnt(1)
	;; [unrolled: 6-line block ×5, first 2 shown]
	v_fmac_f32_e32 v12, v51, v32
	v_fmac_f32_e32 v9, v52, v21
	;; [unrolled: 1-line block ×4, first 2 shown]
	s_waitcnt lgkmcnt(0)
	v_fmac_f32_e32 v12, v2, v28
	v_fmac_f32_e32 v9, v3, v27
	v_fmac_f32_e32 v9, v5, v22
	s_waitcnt vmcnt(0)
	v_and_b32_e32 v18, 64, v20
	v_add_u32_e32 v18, 64, v18
	v_xor_b32_e32 v19, 1, v20
	v_cmp_lt_i32_e32 vcc, v19, v18
	v_cndmask_b32_e32 v0, v20, v19, vcc
	v_mul_f32_e32 v18, v31, v23
	v_mul_f32_e32 v23, v31, v50
	v_lshlrev_b32_e32 v50, 2, v0
	buffer_load_dword v0, off, s[0:3], s32 offset:180 ; 4-byte Folded Reload
	ds_read2_b64 v[28:31], v6 offset0:57 offset1:58
	v_fmac_f32_e32 v12, v4, v23
	ds_read2_b64 v[2:5], v6 offset0:59 offset1:60
	s_waitcnt lgkmcnt(1)
	v_fmac_f32_e32 v9, v29, v8
	v_fmac_f32_e32 v9, v31, v18
	s_waitcnt lgkmcnt(0)
	v_fmac_f32_e32 v9, v3, v16
	v_fmac_f32_e32 v12, v28, v7
	;; [unrolled: 1-line block ×4, first 2 shown]
	ds_read2_b64 v[17:20], v6 offset0:61 offset1:62
	ds_read_b64 v[2:3], v6 offset:504
	v_fmac_f32_e32 v12, v4, v15
	s_waitcnt vmcnt(0)
	v_fmac_f32_e32 v9, v5, v0
	buffer_load_dword v0, off, s[0:3], s32 offset:172 ; 4-byte Folded Reload
	s_waitcnt vmcnt(0) lgkmcnt(1)
	v_fmac_f32_e32 v12, v17, v0
	buffer_load_dword v0, off, s[0:3], s32 offset:164 ; 4-byte Folded Reload
	s_waitcnt vmcnt(0)
	v_fmac_f32_e32 v9, v18, v0
	buffer_load_dword v0, off, s[0:3], s32 offset:156 ; 4-byte Folded Reload
	s_waitcnt vmcnt(0)
	v_fmac_f32_e32 v12, v19, v0
	buffer_load_dword v0, off, s[0:3], s32 offset:148 ; 4-byte Folded Reload
	s_waitcnt lgkmcnt(0)
	v_fmac_f32_e32 v12, v2, v1
	s_waitcnt vmcnt(0)
	v_fmac_f32_e32 v9, v20, v0
	v_fmac_f32_e32 v9, v3, v37
	v_add_f32_e32 v0, v12, v9
	ds_bpermute_b32 v1, v50, v0
	s_and_saveexec_b64 s[26:27], s[6:7]
	s_cbranch_execz .LBB206_10
; %bb.786:                              ;   in Loop: Header=BB206_12 Depth=1
	buffer_load_dword v4, off, s[0:3], s32 offset:116 ; 4-byte Folded Reload
	buffer_load_dword v2, off, s[0:3], s32 offset:1256 ; 4-byte Folded Reload
	;; [unrolled: 1-line block ×3, first 2 shown]
	s_waitcnt lgkmcnt(0)
	v_add_f32_e32 v0, v0, v1
	s_load_dword s28, s[22:23], 0x0
	buffer_load_dword v1, off, s[0:3], s32 offset:1248 ; 4-byte Folded Reload
	s_waitcnt vmcnt(2)
	v_add_u32_e32 v2, v2, v4
	s_waitcnt vmcnt(1)
	v_add_u32_e32 v3, v3, v4
	buffer_load_dword v4, off, s[0:3], s32 offset:1244 ; 4-byte Folded Reload
	v_cvt_f32_i32_e32 v2, v2
	s_waitcnt vmcnt(0)
	v_mul_f32_e32 v2, v4, v2
	v_cndmask_b32_e64 v2, 0, v2, s[8:9]
	buffer_load_dword v4, off, s[0:3], s32 offset:104 ; 4-byte Folded Reload
	v_fmac_f32_e32 v2, v1, v0
	buffer_load_dword v1, off, s[0:3], s32 offset:1228 ; 4-byte Folded Reload
	buffer_load_dword v0, off, s[0:3], s32 offset:72 ; 4-byte Folded Reload
	s_waitcnt vmcnt(2) lgkmcnt(0)
	v_add_u32_e32 v4, s28, v4
	s_waitcnt vmcnt(0)
	v_cmp_lt_i32_e32 vcc, v3, v0
	v_cndmask_b32_e32 v0, 0, v2, vcc
	ds_write_b32 v4, v0
	v_max_f32_e32 v0, v1, v1
	v_max_f32_e32 v0, v0, v2
	v_cndmask_b32_e32 v1, v1, v0, vcc
	buffer_store_dword v1, off, s[0:3], s32 offset:1228 ; 4-byte Folded Spill
	s_branch .LBB206_10
.LBB206_787:
	s_or_b64 exec, exec, s[24:25]
	buffer_load_dword v12, off, s[0:3], s32 offset:1304 ; 4-byte Folded Reload
	buffer_load_dword v13, off, s[0:3], s32 offset:1308 ; 4-byte Folded Reload
	;; [unrolled: 1-line block ×4, first 2 shown]
	v_mbcnt_lo_u32_b32 v0, -1, 0
.LBB206_788:
	s_or_b64 exec, exec, s[12:13]
	v_mbcnt_hi_u32_b32 v0, -1, v0
	v_and_b32_e32 v1, 64, v0
	v_add_u32_e32 v7, 64, v1
	v_xor_b32_e32 v2, 32, v0
	v_cmp_lt_i32_e32 vcc, v2, v7
	v_cndmask_b32_e32 v2, v0, v2, vcc
	v_lshlrev_b32_e32 v2, 2, v2
	s_waitcnt vmcnt(0)
	ds_bpermute_b32 v3, v2, v10
	v_xor_b32_e32 v5, 16, v0
	v_max_f32_e32 v4, v10, v10
	v_cmp_lt_i32_e32 vcc, v5, v7
	v_xor_b32_e32 v6, 8, v0
	s_waitcnt lgkmcnt(0)
	v_max_f32_e32 v3, v3, v3
	v_max_f32_e32 v4, v4, v3
	v_cndmask_b32_e32 v3, v0, v5, vcc
	v_lshlrev_b32_e32 v3, 2, v3
	ds_bpermute_b32 v5, v3, v4
	v_cmp_lt_i32_e32 vcc, v6, v7
	v_xor_b32_e32 v8, 4, v0
	s_lshr_b32 s19, s19, 16
	s_waitcnt lgkmcnt(0)
	v_max_f32_e32 v5, v5, v5
	v_max_f32_e32 v5, v4, v5
	v_cndmask_b32_e32 v4, v0, v6, vcc
	v_lshlrev_b32_e32 v4, 2, v4
	ds_bpermute_b32 v6, v4, v5
	v_cmp_lt_i32_e32 vcc, v8, v7
	s_waitcnt lgkmcnt(0)
	v_max_f32_e32 v6, v6, v6
	v_max_f32_e32 v5, v5, v6
	v_cndmask_b32_e32 v6, v0, v8, vcc
	v_lshlrev_b32_e32 v25, 2, v6
	ds_bpermute_b32 v6, v25, v5
	v_xor_b32_e32 v8, 2, v0
	v_cmp_lt_i32_e32 vcc, v8, v7
	s_waitcnt lgkmcnt(0)
	v_max_f32_e32 v6, v6, v6
	v_max_f32_e32 v6, v5, v6
	v_cndmask_b32_e32 v5, v0, v8, vcc
	v_lshlrev_b32_e32 v5, 2, v5
	buffer_store_dword v5, off, s[0:3], s32 offset:1168 ; 4-byte Folded Spill
	ds_bpermute_b32 v8, v5, v6
	buffer_load_dword v5, off, s[0:3], s32 offset:1208 ; 4-byte Folded Reload
	s_waitcnt vmcnt(0)
	v_and_b32_e32 v15, 63, v5
	buffer_load_dword v5, off, s[0:3], s32 offset:92 ; 4-byte Folded Reload
	v_cmp_eq_u32_e32 vcc, 0, v15
	s_waitcnt vmcnt(0)
	v_lshlrev_b32_e32 v5, 2, v5
	s_and_saveexec_b64 s[6:7], vcc
	s_cbranch_execz .LBB206_790
; %bb.789:
	s_waitcnt lgkmcnt(0)
	v_max_f32_e32 v8, v8, v8
	v_max_f32_e32 v6, v6, v6
	;; [unrolled: 1-line block ×3, first 2 shown]
	ds_write_b32 v5, v6 offset:1024
.LBB206_790:
	s_or_b64 exec, exec, s[6:7]
	v_cmp_gt_u32_e64 s[6:7], 2, v15
	s_waitcnt lgkmcnt(0)
	v_mov_b32_e32 v8, 0xff7fffff
	v_lshlrev_b32_e32 v6, 2, v15
	s_barrier
	s_and_saveexec_b64 s[8:9], s[6:7]
; %bb.791:
	ds_read_b32 v8, v6 offset:1024
; %bb.792:
	s_or_b64 exec, exec, s[8:9]
	v_xor_b32_e32 v9, 1, v0
	v_cmp_lt_i32_e64 s[8:9], v9, v7
	v_cndmask_b32_e64 v7, v0, v9, s[8:9]
	v_lshlrev_b32_e32 v9, 2, v7
	s_waitcnt lgkmcnt(0)
	ds_bpermute_b32 v7, v9, v8
	v_max_f32_e32 v8, v8, v8
	v_lshlrev_b32_e32 v1, 2, v1
	s_waitcnt lgkmcnt(0)
	v_max_f32_e32 v7, v7, v7
	v_max_f32_e32 v7, v8, v7
	ds_bpermute_b32 v7, v1, v7
	buffer_load_dword v1, off, s[0:3], s32 offset:96 ; 4-byte Folded Reload
	buffer_load_dword v8, off, s[0:3], s32 offset:72 ; 4-byte Folded Reload
	s_waitcnt vmcnt(1)
	v_lshlrev_b32_e32 v1, 5, v1
	s_waitcnt vmcnt(0)
	v_min_i32_e32 v1, v1, v8
	buffer_load_dword v8, off, s[0:3], s32 offset:1208 ; 4-byte Folded Reload
	s_waitcnt vmcnt(0)
	v_cmp_lt_i32_e64 s[8:9], v8, v1
	v_mov_b32_e32 v8, 0
	s_and_saveexec_b64 s[12:13], s[8:9]
	s_cbranch_execz .LBB206_796
; %bb.793:
	buffer_load_dword v10, off, s[0:3], s32 offset:1208 ; 4-byte Folded Reload
	s_ashr_i32 s21, s20, 31
	s_lshl_b64 s[10:11], s[20:21], 2
	s_getpc_b64 s[22:23]
	s_add_u32 s22, s22, llvm.amdgcn.dynlds.offset.table@rel32@lo+4
	s_addc_u32 s23, s23, llvm.amdgcn.dynlds.offset.table@rel32@hi+12
	s_add_u32 s10, s22, s10
	s_addc_u32 s11, s23, s11
	s_load_dword s10, s[10:11], 0x0
	v_mov_b32_e32 v16, v9
	v_mov_b32_e32 v8, 0
	s_mov_b64 s[22:23], 0
	s_waitcnt vmcnt(0) lgkmcnt(0)
	v_lshl_add_u32 v9, v10, 2, s10
.LBB206_794:                            ; =>This Inner Loop Header: Depth=1
	ds_read_b32 v11, v9
	v_add_u32_e32 v10, 0x80, v10
	v_cmp_ge_i32_e64 s[10:11], v10, v1
	s_or_b64 s[22:23], s[10:11], s[22:23]
	s_waitcnt lgkmcnt(0)
	v_sub_f32_e32 v11, v11, v7
	v_mul_f32_e32 v11, 0x3fb8aa3b, v11
	v_exp_f32_e32 v11, v11
	ds_write_b32 v9, v11
	v_add_f32_e32 v8, v8, v11
	v_add_u32_e32 v9, 0x200, v9
	s_andn2_b64 exec, exec, s[22:23]
	s_cbranch_execnz .LBB206_794
; %bb.795:
	s_or_b64 exec, exec, s[22:23]
	v_mov_b32_e32 v9, v16
.LBB206_796:
	s_or_b64 exec, exec, s[12:13]
	ds_bpermute_b32 v2, v2, v8
	s_waitcnt lgkmcnt(0)
	v_add_f32_e32 v2, v8, v2
	ds_bpermute_b32 v3, v3, v2
	s_waitcnt lgkmcnt(0)
	v_add_f32_e32 v2, v2, v3
	;; [unrolled: 3-line block ×4, first 2 shown]
	buffer_load_dword v3, off, s[0:3], s32 offset:1168 ; 4-byte Folded Reload
	s_waitcnt vmcnt(0)
	ds_bpermute_b32 v3, v3, v2
	s_waitcnt lgkmcnt(0)
	v_add_f32_e32 v2, v2, v3
	ds_bpermute_b32 v3, v9, v2
	s_waitcnt lgkmcnt(0)
	v_add_f32_e32 v2, v2, v3
	s_and_saveexec_b64 s[10:11], vcc
; %bb.797:
	ds_write_b32 v5, v2 offset:1032
; %bb.798:
	s_or_b64 exec, exec, s[10:11]
	s_waitcnt lgkmcnt(0)
	s_barrier
	s_and_saveexec_b64 s[10:11], s[6:7]
; %bb.799:
	ds_read_b32 v2, v6 offset:1032
; %bb.800:
	s_or_b64 exec, exec, s[10:11]
	s_waitcnt lgkmcnt(0)
	ds_bpermute_b32 v3, v9, v2
	v_lshlrev_b32_e32 v0, 2, v0
	v_and_b32_e32 v0, 0x100, v0
	s_waitcnt lgkmcnt(0)
	v_add_f32_e32 v2, v2, v3
	ds_bpermute_b32 v0, v0, v2
	s_and_saveexec_b64 s[6:7], s[8:9]
	s_cbranch_execz .LBB206_803
; %bb.801:
	s_waitcnt lgkmcnt(0)
	v_add_f32_e32 v2, 0x358637bd, v0
	v_div_scale_f32 v0, s[8:9], v2, v2, 1.0
	v_div_scale_f32 v3, vcc, 1.0, v2, 1.0
	s_ashr_i32 s21, s20, 31
	s_getpc_b64 s[8:9]
	s_add_u32 s8, s8, llvm.amdgcn.dynlds.offset.table@rel32@lo+4
	s_addc_u32 s9, s9, llvm.amdgcn.dynlds.offset.table@rel32@hi+12
	s_lshl_b64 s[10:11], s[20:21], 2
	s_add_u32 s8, s8, s10
	s_addc_u32 s9, s9, s11
	s_load_dword s10, s[8:9], 0x0
	s_mov_b64 s[8:9], 0
	v_rcp_f32_e32 v4, v0
	v_fma_f32 v5, -v0, v4, 1.0
	v_fmac_f32_e32 v4, v5, v4
	v_mul_f32_e32 v5, v3, v4
	v_fma_f32 v6, -v0, v5, v3
	v_fmac_f32_e32 v5, v6, v4
	v_fma_f32 v0, -v0, v5, v3
	v_div_fmas_f32 v3, v0, v4, v5
	buffer_load_dword v4, off, s[0:3], s32 offset:1208 ; 4-byte Folded Reload
	v_div_fixup_f32 v2, v3, v2, 1.0
	s_waitcnt vmcnt(0) lgkmcnt(0)
	v_lshl_add_u32 v0, v4, 2, s10
	v_mov_b32_e32 v3, v4
.LBB206_802:                            ; =>This Inner Loop Header: Depth=1
	ds_read_b32 v4, v0
	v_add_u32_e32 v3, 0x80, v3
	v_cmp_ge_i32_e32 vcc, v3, v1
	s_or_b64 s[8:9], vcc, s[8:9]
	s_waitcnt lgkmcnt(0)
	v_mul_f32_e32 v4, v2, v4
	ds_write_b32 v0, v4
	v_add_u32_e32 v0, 0x200, v0
	s_andn2_b64 exec, exec, s[8:9]
	s_cbranch_execnz .LBB206_802
.LBB206_803:
	s_or_b64 exec, exec, s[6:7]
	s_waitcnt lgkmcnt(0)
	s_barrier
	s_and_saveexec_b64 s[6:7], s[4:5]
	s_xor_b64 s[4:5], exec, s[6:7]
	s_cbranch_execz .LBB206_805
; %bb.804:
                                        ; implicit-def: $vgpr0
                                        ; kill: killed $vgpr0
	s_ashr_i32 s21, s20, 31
                                        ; implicit-def: $vgpr0
                                        ; kill: killed $vgpr0
                                        ; implicit-def: $vgpr12
                                        ; implicit-def: $vgpr13
                                        ; implicit-def: $vgpr14
                                        ; implicit-def: $vgpr0
                                        ; kill: killed $vgpr0
                                        ; implicit-def: $vgpr0
	buffer_store_dword v0, off, s[0:3], s32 offset:120 ; 4-byte Folded Spill
	s_nop 0
	buffer_store_dword v1, off, s[0:3], s32 offset:124 ; 4-byte Folded Spill
                                        ; implicit-def: $vgpr0
                                        ; kill: killed $vgpr0
                                        ; implicit-def: $vgpr0
                                        ; kill: killed $vgpr0
	;; [unrolled: 2-line block ×9, first 2 shown]
                                        ; implicit-def: $vgpr0_vgpr1
                                        ; kill: killed $vgpr0_vgpr1
                                        ; implicit-def: $vgpr0
                                        ; kill: killed $vgpr0
                                        ; implicit-def: $vgpr0
                                        ; kill: killed $vgpr0
                                        ; implicit-def: $vgpr0
                                        ; kill: killed $vgpr0
                                        ; implicit-def: $vgpr0_vgpr1
                                        ; kill: killed $vgpr0_vgpr1
                                        ; implicit-def: $vgpr0
                                        ; kill: killed $vgpr0
.LBB206_805:
	s_or_saveexec_b64 s[6:7], s[4:5]
	buffer_load_dword v2, off, s[0:3], s32 offset:1208 ; 4-byte Folded Reload
	v_mov_b32_e32 v0, s20
	buffer_store_dword v15, off, s[0:3], s32 offset:1192 ; 4-byte Folded Spill
	v_mov_b32_e32 v3, 0
	v_mov_b32_e32 v1, s21
	;; [unrolled: 1-line block ×12, first 2 shown]
	s_waitcnt vmcnt(1)
	v_and_b32_e32 v2, 7, v2
	buffer_store_dword v2, off, s[0:3], s32 offset:1184 ; 4-byte Folded Spill
	v_mov_b32_e32 v2, 0
	buffer_store_dword v2, off, s[0:3], s32 offset:948 ; 4-byte Folded Spill
	v_mov_b32_e32 v2, 0
	;; [unrolled: 2-line block ×21, first 2 shown]
	buffer_store_dword v2, off, s[0:3], s32 offset:788 ; 4-byte Folded Spill
	s_xor_b64 exec, exec, s[6:7]
	s_cbranch_execz .LBB206_1643
; %bb.806:
	buffer_store_dword v9, off, s[0:3], s32 offset:1220 ; 4-byte Folded Spill
	buffer_store_dword v25, off, s[0:3], s32 offset:1200 ; 4-byte Folded Spill
	buffer_load_dword v0, off, s[0:3], s32 offset:1260 ; 4-byte Folded Reload
	buffer_load_dword v2, off, s[0:3], s32 offset:1272 ; 4-byte Folded Reload
	v_mov_b32_e32 v8, 0
	s_ashr_i32 s21, s20, 31
	s_getpc_b64 s[4:5]
	s_add_u32 s4, s4, llvm.amdgcn.dynlds.offset.table@rel32@lo+4
	s_addc_u32 s5, s5, llvm.amdgcn.dynlds.offset.table@rel32@hi+12
	s_lshl_b64 s[8:9], s[20:21], 2
	s_add_u32 s8, s4, s8
	s_addc_u32 s9, s5, s9
	s_mov_b64 s[10:11], 0
	s_movk_i32 s28, 0x80
	s_movk_i32 s29, 0x7f
	s_brev_b32 s40, 1
	s_mov_b32 s41, 0xffffff
	v_bfrev_b32_e32 v27, 60
	v_bfrev_b32_e32 v9, 1
	v_mov_b32_e32 v38, v8
	v_mov_b32_e32 v28, v8
	;; [unrolled: 1-line block ×6, first 2 shown]
	s_waitcnt vmcnt(1)
	v_max_i32_e32 v3, v0, v14
	s_waitcnt vmcnt(0)
	v_and_b32_e32 v1, 28, v2
	buffer_store_dword v1, off, s[0:3], s32 offset:1088 ; 4-byte Folded Spill
	buffer_load_dword v1, off, s[0:3], s32 offset:1300 ; 4-byte Folded Reload
	v_cvt_f32_u32_e32 v0, v3
	v_rcp_iflag_f32_e32 v0, v0
	v_mul_f32_e32 v0, 0x4f7ffffe, v0
	v_cvt_u32_f32_e32 v0, v0
	s_waitcnt vmcnt(0)
	v_add_co_u32_e32 v4, vcc, v1, v12
	buffer_load_dword v1, off, s[0:3], s32 offset:1296 ; 4-byte Folded Reload
	s_waitcnt vmcnt(0)
	v_addc_co_u32_e32 v5, vcc, v1, v13, vcc
	v_and_b32_e32 v1, 0xfc, v2
	buffer_store_dword v4, off, s[0:3], s32 offset:1104 ; 4-byte Folded Spill
	s_nop 0
	buffer_store_dword v5, off, s[0:3], s32 offset:1108 ; 4-byte Folded Spill
	buffer_store_dword v1, off, s[0:3], s32 offset:1120 ; 4-byte Folded Spill
	v_sub_u32_e32 v1, 0, v3
	v_mul_lo_u32 v1, v1, v0
	buffer_store_dword v3, off, s[0:3], s32 offset:996 ; 4-byte Folded Spill
	v_or_b32_e32 v3, 0xf00, v2
	v_or_b32_e32 v2, 0x1f00, v2
	v_mul_hi_u32 v1, v0, v1
	buffer_store_dword v3, off, s[0:3], s32 offset:1136 ; 4-byte Folded Spill
	buffer_store_dword v2, off, s[0:3], s32 offset:1152 ; 4-byte Folded Spill
	v_mov_b32_e32 v13, 0x7f800001
	v_add_u32_e32 v0, v0, v1
	buffer_store_dword v0, off, s[0:3], s32 offset:1000 ; 4-byte Folded Spill
	buffer_load_dword v0, off, s[0:3], s32 offset:1184 ; 4-byte Folded Reload
	s_nop 0
	buffer_load_dword v1, off, s[0:3], s32 offset:92 ; 4-byte Folded Reload
	s_waitcnt vmcnt(1)
	v_lshlrev_b32_e32 v0, 4, v0
	s_waitcnt vmcnt(0)
	v_lshl_or_b32 v25, v1, 7, v0
	buffer_load_dword v0, off, s[0:3], s32 offset:1276 ; 4-byte Folded Reload
	buffer_load_dword v1, off, s[0:3], s32 offset:1280 ; 4-byte Folded Reload
	buffer_load_dword v2, off, s[0:3], s32 offset:1284 ; 4-byte Folded Reload
	s_waitcnt vmcnt(2)
	v_and_b32_e32 v0, 60, v0
	s_waitcnt vmcnt(1)
	v_add_co_u32_e32 v0, vcc, v0, v1
	s_waitcnt vmcnt(0)
	v_addc_co_u32_e32 v1, vcc, 0, v2, vcc
	buffer_load_dword v2, off, s[0:3], s32 offset:1268 ; 4-byte Folded Reload
	s_waitcnt vmcnt(0)
	v_add_co_u32_e32 v10, vcc, v2, v0
	buffer_load_dword v0, off, s[0:3], s32 offset:1264 ; 4-byte Folded Reload
	s_waitcnt vmcnt(0)
	v_addc_co_u32_e32 v11, vcc, v0, v1, vcc
	v_mov_b32_e32 v0, v8
	buffer_store_dword v0, off, s[0:3], s32 offset:788 ; 4-byte Folded Spill
	buffer_store_dword v0, off, s[0:3], s32 offset:796 ; 4-byte Folded Spill
	;; [unrolled: 1-line block ×26, first 2 shown]
	buffer_load_dword v4, off, s[0:3], s32 offset:100 ; 4-byte Folded Reload
	s_branch .LBB206_809
.LBB206_807:                            ;   in Loop: Header=BB206_809 Depth=1
	s_or_b64 exec, exec, s[22:23]
	buffer_load_dword v16, off, s[0:3], s32 offset:788 ; 4-byte Folded Reload
	buffer_load_dword v17, off, s[0:3], s32 offset:796 ; 4-byte Folded Reload
	;; [unrolled: 1-line block ×3, first 2 shown]
	v_mul_f32_e32 v15, v3, v62
	v_fmac_f32_e32 v15, v2, v60
	v_fmac_f32_e32 v15, v4, v61
	;; [unrolled: 1-line block ×3, first 2 shown]
	v_add_f32_e32 v28, v28, v15
	v_mul_f32_e32 v15, v3, v59
	v_fmac_f32_e32 v15, v2, v58
	v_fmac_f32_e32 v15, v4, v24
	;; [unrolled: 1-line block ×3, first 2 shown]
	buffer_load_dword v38, off, s[0:3], s32 offset:1016 ; 4-byte Folded Reload
	s_waitcnt vmcnt(3)
	v_add_f32_e32 v16, v16, v15
	buffer_store_dword v16, off, s[0:3], s32 offset:788 ; 4-byte Folded Spill
	buffer_load_dword v16, off, s[0:3], s32 offset:1024 ; 4-byte Folded Reload
	v_mul_f32_e32 v15, v3, v57
	v_fmac_f32_e32 v15, v2, v47
	v_fmac_f32_e32 v15, v4, v56
	;; [unrolled: 1-line block ×3, first 2 shown]
	s_waitcnt vmcnt(0)
	v_add_f32_e32 v16, v16, v15
	v_mul_f32_e32 v15, v3, v45
	v_fmac_f32_e32 v15, v2, v43
	v_fmac_f32_e32 v15, v4, v44
	;; [unrolled: 1-line block ×3, first 2 shown]
	buffer_load_dword v6, off, s[0:3], s32 offset:1040 ; 4-byte Folded Reload
	s_waitcnt vmcnt(0)
	v_add_f32_e32 v15, v6, v15
	v_mul_f32_e32 v6, v3, v42
	v_fmac_f32_e32 v6, v2, v40
	v_fmac_f32_e32 v6, v4, v41
	v_fmac_f32_e32 v6, v5, v55
	v_add_f32_e32 v17, v17, v6
	buffer_store_dword v17, off, s[0:3], s32 offset:796 ; 4-byte Folded Spill
	buffer_load_dword v17, off, s[0:3], s32 offset:1056 ; 4-byte Folded Reload
	v_mul_f32_e32 v6, v3, v54
	v_fmac_f32_e32 v6, v2, v52
	v_fmac_f32_e32 v6, v4, v53
	;; [unrolled: 1-line block ×3, first 2 shown]
	s_waitcnt vmcnt(0)
	v_add_f32_e32 v17, v17, v6
	v_mul_f32_e32 v6, v3, v50
	v_fmac_f32_e32 v6, v2, v48
	v_fmac_f32_e32 v6, v4, v49
	v_fmac_f32_e32 v6, v5, v39
	v_add_f32_e32 v18, v18, v6
	buffer_store_dword v18, off, s[0:3], s32 offset:804 ; 4-byte Folded Spill
	buffer_load_dword v18, off, s[0:3], s32 offset:1072 ; 4-byte Folded Reload
	v_mul_f32_e32 v6, v3, v34
	v_fmac_f32_e32 v6, v2, v33
	v_fmac_f32_e32 v6, v4, v29
	;; [unrolled: 1-line block ×3, first 2 shown]
	s_waitcnt vmcnt(0)
	v_add_f32_e32 v18, v18, v6
	v_mul_f32_e32 v6, v3, v31
	v_fmac_f32_e32 v6, v2, v63
	v_fmac_f32_e32 v6, v4, v7
	buffer_load_dword v7, off, s[0:3], s32 offset:780 ; 4-byte Folded Reload
	s_waitcnt vmcnt(0)
	v_fmac_f32_e32 v6, v5, v7
	buffer_load_dword v7, off, s[0:3], s32 offset:812 ; 4-byte Folded Reload
	s_waitcnt vmcnt(0)
	v_add_f32_e32 v7, v7, v6
	buffer_load_dword v6, off, s[0:3], s32 offset:772 ; 4-byte Folded Reload
	s_nop 0
	buffer_store_dword v7, off, s[0:3], s32 offset:812 ; 4-byte Folded Spill
	buffer_load_dword v7, off, s[0:3], s32 offset:756 ; 4-byte Folded Reload
	s_waitcnt vmcnt(2)
	v_mul_f32_e32 v6, v3, v6
	s_waitcnt vmcnt(0)
	v_fmac_f32_e32 v6, v2, v7
	buffer_load_dword v7, off, s[0:3], s32 offset:764 ; 4-byte Folded Reload
	s_waitcnt vmcnt(0)
	v_fmac_f32_e32 v6, v4, v7
	buffer_load_dword v7, off, s[0:3], s32 offset:748 ; 4-byte Folded Reload
	s_waitcnt vmcnt(0)
	v_fmac_f32_e32 v6, v5, v7
	buffer_load_dword v7, off, s[0:3], s32 offset:820 ; 4-byte Folded Reload
	s_waitcnt vmcnt(0)
	v_add_f32_e32 v7, v7, v6
	buffer_load_dword v6, off, s[0:3], s32 offset:740 ; 4-byte Folded Reload
	s_nop 0
	buffer_store_dword v7, off, s[0:3], s32 offset:820 ; 4-byte Folded Spill
	buffer_load_dword v7, off, s[0:3], s32 offset:724 ; 4-byte Folded Reload
	s_waitcnt vmcnt(2)
	v_mul_f32_e32 v6, v3, v6
	s_waitcnt vmcnt(0)
	v_fmac_f32_e32 v6, v2, v7
	buffer_load_dword v7, off, s[0:3], s32 offset:732 ; 4-byte Folded Reload
	s_waitcnt vmcnt(0)
	;; [unrolled: 17-line block ×21, first 2 shown]
	v_fmac_f32_e32 v6, v4, v7
	buffer_load_dword v7, off, s[0:3], s32 offset:88 ; 4-byte Folded Reload
	s_waitcnt vmcnt(0)
	v_fmac_f32_e32 v6, v5, v7
	buffer_load_dword v7, off, s[0:3], s32 offset:948 ; 4-byte Folded Reload
	s_waitcnt vmcnt(0)
	v_add_f32_e32 v7, v7, v6
	buffer_load_dword v6, off, s[0:3], s32 offset:84 ; 4-byte Folded Reload
	s_nop 0
	buffer_store_dword v7, off, s[0:3], s32 offset:948 ; 4-byte Folded Spill
	buffer_load_dword v7, off, s[0:3], s32 offset:76 ; 4-byte Folded Reload
	s_waitcnt vmcnt(2)
	v_mul_f32_e32 v6, v3, v6
	v_mul_f32_e32 v3, v3, v14
	v_fmac_f32_e32 v3, v2, v1
	s_waitcnt vmcnt(0)
	v_fmac_f32_e32 v6, v2, v7
	buffer_load_dword v7, off, s[0:3], s32 offset:80 ; 4-byte Folded Reload
	v_fmac_f32_e32 v3, v4, v12
	v_fmac_f32_e32 v3, v5, v0
	v_add_f32_e32 v38, v38, v3
	s_waitcnt vmcnt(0)
	v_fmac_f32_e32 v6, v4, v7
	buffer_load_dword v7, off, s[0:3], s32 offset:64 ; 4-byte Folded Reload
	s_waitcnt vmcnt(0)
	v_fmac_f32_e32 v6, v5, v7
	buffer_load_dword v7, off, s[0:3], s32 offset:992 ; 4-byte Folded Reload
	s_waitcnt vmcnt(0)
	v_add_f32_e32 v7, v7, v6
	buffer_store_dword v7, off, s[0:3], s32 offset:992 ; 4-byte Folded Spill
.LBB206_808:                            ;   in Loop: Header=BB206_809 Depth=1
	s_or_b64 exec, exec, s[12:13]
	buffer_load_dword v1, off, s[0:3], s32 offset:92 ; 4-byte Folded Reload
	buffer_load_dword v4, off, s[0:3], s32 offset:100 ; 4-byte Folded Reload
	;; [unrolled: 1-line block ×3, first 2 shown]
	v_add_u32_e32 v25, 0x100, v25
	s_waitcnt vmcnt(2)
	v_add_u32_e32 v1, 2, v1
	s_waitcnt vmcnt(1)
	;; [unrolled: 2-line block ×3, first 2 shown]
	v_cmp_ge_i32_e32 vcc, v1, v0
	s_or_b64 s[10:11], vcc, s[10:11]
	v_add_co_u32_e32 v10, vcc, 8, v10
	v_addc_co_u32_e32 v11, vcc, 0, v11, vcc
	buffer_store_dword v1, off, s[0:3], s32 offset:92 ; 4-byte Folded Spill
	s_andn2_b64 exec, exec, s[10:11]
	s_cbranch_execz .LBB206_1642
.LBB206_809:                            ; =>This Inner Loop Header: Depth=1
	buffer_load_dword v0, off, s[0:3], s32 offset:136 ; 4-byte Folded Reload
	buffer_load_dword v3, off, s[0:3], s32 offset:128 ; 4-byte Folded Reload
	s_waitcnt vmcnt(1)
	v_mul_hi_u32 v0, v4, v0
	buffer_store_dword v4, off, s[0:3], s32 offset:100 ; 4-byte Folded Spill
	s_waitcnt vmcnt(1)
	v_mul_lo_u32 v1, v0, v3
	v_add_u32_e32 v2, 1, v0
	v_sub_u32_e32 v1, v4, v1
	v_cmp_ge_u32_e32 vcc, v1, v3
	v_cndmask_b32_e32 v0, v0, v2, vcc
	v_sub_u32_e32 v2, v1, v3
	v_cndmask_b32_e32 v1, v1, v2, vcc
	v_cmp_ge_u32_e32 vcc, v1, v3
	buffer_load_dword v1, off, s[0:3], s32 offset:132 ; 4-byte Folded Reload
	v_add_u32_e32 v2, 1, v0
	v_cndmask_b32_e32 v0, v0, v2, vcc
	s_waitcnt vmcnt(0)
	v_xor_b32_e32 v0, v0, v1
	v_sub_u32_e32 v0, v0, v1
	buffer_load_dword v1, off, s[0:3], s32 offset:120 ; 4-byte Folded Reload
	buffer_load_dword v2, off, s[0:3], s32 offset:124 ; 4-byte Folded Reload
	;; [unrolled: 1-line block ×4, first 2 shown]
	s_waitcnt vmcnt(3)
	v_add_u32_e32 v1, v0, v1
	s_waitcnt vmcnt(2)
	v_sub_u32_e32 v2, 0, v1
	v_max_i32_e32 v2, v1, v2
	s_waitcnt vmcnt(1)
	v_mul_hi_u32 v3, v2, v3
	v_ashrrev_i32_e32 v1, 31, v1
	s_waitcnt vmcnt(0)
	v_mul_lo_u32 v3, v3, v4
	v_sub_u32_e32 v2, v2, v3
	v_sub_u32_e32 v3, v2, v4
	v_cmp_ge_u32_e32 vcc, v2, v4
	v_cndmask_b32_e32 v2, v2, v3, vcc
	v_sub_u32_e32 v3, v2, v4
	v_cmp_ge_u32_e32 vcc, v2, v4
	v_cndmask_b32_e32 v2, v2, v3, vcc
	v_xor_b32_e32 v2, v2, v1
	v_sub_u32_e32 v1, v2, v1
	v_cmp_eq_u32_e32 vcc, 0, v1
	buffer_load_dword v1, off, s[0:3], s32 offset:140 ; 4-byte Folded Reload
	s_waitcnt vmcnt(0)
	v_cmp_gt_i32_e64 s[4:5], v0, v1
	s_or_b64 s[4:5], vcc, s[4:5]
	s_and_saveexec_b64 s[12:13], s[4:5]
	s_cbranch_execz .LBB206_808
; %bb.810:                              ;   in Loop: Header=BB206_809 Depth=1
	buffer_store_dword v18, off, s[0:3], s32 offset:1072 ; 4-byte Folded Spill
	buffer_store_dword v17, off, s[0:3], s32 offset:1056 ; 4-byte Folded Spill
	;; [unrolled: 1-line block ×5, first 2 shown]
	flat_load_dword v0, v[10:11]
	buffer_load_dword v1, off, s[0:3], s32 offset:988 ; 4-byte Folded Reload
	buffer_load_dword v2, off, s[0:3], s32 offset:1104 ; 4-byte Folded Reload
	;; [unrolled: 1-line block ×3, first 2 shown]
	v_mov_b32_e32 v19, 0
	v_mov_b32_e32 v17, 0
	;; [unrolled: 1-line block ×4, first 2 shown]
	s_waitcnt vmcnt(0) lgkmcnt(0)
	v_mad_i64_i32 v[0:1], s[4:5], v0, v1, v[2:3]
	buffer_load_dword v2, off, s[0:3], s32 offset:1120 ; 4-byte Folded Reload
	s_waitcnt vmcnt(0)
	v_add_co_u32_e32 v14, vcc, v0, v2
	v_addc_co_u32_e32 v15, vcc, 0, v1, vcc
	flat_load_dword v16, v[14:15]
	buffer_load_dword v2, off, s[0:3], s32 offset:1212 ; 4-byte Folded Reload
	buffer_load_dword v3, off, s[0:3], s32 offset:1216 ; 4-byte Folded Reload
	s_load_dword s4, s[8:9], 0x0
	s_waitcnt vmcnt(0) lgkmcnt(0)
	v_cmp_ne_u16_sdwa s[22:23], v16, v8 src0_sel:BYTE_0 src1_sel:DWORD
	flat_load_dword v30, v[2:3]
	v_add_u32_e32 v2, s4, v25
	ds_read_b128 v[2:5], v2
	s_and_saveexec_b64 s[4:5], s[22:23]
	s_cbranch_execz .LBB206_816
; %bb.811:                              ;   in Loop: Header=BB206_809 Depth=1
	v_bfrev_b32_e32 v17, 1
	v_mov_b32_e32 v18, 0
	v_cmp_ne_u16_sdwa s[24:25], v16, s28 src0_sel:BYTE_0 src1_sel:DWORD
	s_and_saveexec_b64 s[22:23], s[24:25]
	s_cbranch_execz .LBB206_815
; %bb.812:                              ;   in Loop: Header=BB206_809 Depth=1
	v_and_b32_e32 v6, 0x7f, v16
	v_mov_b32_e32 v17, 0x7f800001
	v_mov_b32_e32 v18, 0
	v_cmp_ne_u32_e32 vcc, s29, v6
	s_and_saveexec_b64 s[24:25], vcc
	s_cbranch_execz .LBB206_814
; %bb.813:                              ;   in Loop: Header=BB206_809 Depth=1
	v_and_b32_e32 v12, 7, v16
	v_lshrrev_b32_e32 v17, 3, v6
	v_cmp_gt_u32_e32 vcc, 8, v6
	v_ffbh_u32_e32 v6, v12
	v_min_u32_e32 v18, 32, v6
	v_subrev_u32_e32 v6, 28, v18
	v_lshlrev_b64 v[6:7], v6, v[16:17]
	v_sub_u32_e32 v7, 29, v18
	v_and_b32_e32 v6, 7, v6
	v_cndmask_b32_e32 v7, v17, v7, vcc
	v_cndmask_b32_e32 v6, v12, v6, vcc
	v_lshlrev_b32_e32 v6, 20, v6
	v_and_b32_sdwa v12, sext(v16), s40 dst_sel:DWORD dst_unused:UNUSED_PAD src0_sel:BYTE_0 src1_sel:DWORD
	v_lshl_add_u32 v7, v7, 23, v27
	v_or3_b32 v17, v12, v7, v6
	v_mov_b32_e32 v18, v8
.LBB206_814:                            ;   in Loop: Header=BB206_809 Depth=1
	s_or_b64 exec, exec, s[24:25]
.LBB206_815:                            ;   in Loop: Header=BB206_809 Depth=1
	s_or_b64 exec, exec, s[22:23]
.LBB206_816:                            ;   in Loop: Header=BB206_809 Depth=1
	s_or_b64 exec, exec, s[4:5]
	v_cmp_ne_u16_sdwa s[22:23], v16, v8 src0_sel:BYTE_1 src1_sel:DWORD
	s_and_saveexec_b64 s[4:5], s[22:23]
	s_cbranch_execz .LBB206_822
; %bb.817:                              ;   in Loop: Header=BB206_809 Depth=1
	v_mov_b32_e32 v20, v9
	v_cmp_ne_u16_sdwa s[24:25], v16, s28 src0_sel:BYTE_1 src1_sel:DWORD
	v_mov_b32_e32 v19, v8
	s_and_saveexec_b64 s[22:23], s[24:25]
	s_cbranch_execz .LBB206_821
; %bb.818:                              ;   in Loop: Header=BB206_809 Depth=1
	v_and_b32_sdwa v6, v16, s29 dst_sel:DWORD dst_unused:UNUSED_PAD src0_sel:BYTE_1 src1_sel:DWORD
	v_mov_b32_e32 v12, v8
	v_mov_b32_e32 v20, v13
	v_cmp_ne_u32_e32 vcc, s29, v6
	v_mov_b32_e32 v19, v12
	s_and_saveexec_b64 s[24:25], vcc
	s_cbranch_execz .LBB206_820
; %bb.819:                              ;   in Loop: Header=BB206_809 Depth=1
	v_mov_b32_e32 v7, 7
	v_and_b32_sdwa v19, v16, v7 dst_sel:DWORD dst_unused:UNUSED_PAD src0_sel:BYTE_1 src1_sel:DWORD
	v_lshrrev_b32_e32 v12, 3, v6
	v_cmp_gt_u32_e32 vcc, 8, v6
	v_ffbh_u32_e32 v6, v19
	v_min_u32_e32 v21, 32, v6
	v_mov_b32_e32 v20, v8
	v_subrev_u32_e32 v6, 28, v21
	v_lshlrev_b64 v[6:7], v6, v[19:20]
	v_sub_u32_e32 v7, 29, v21
	v_and_b32_e32 v6, 7, v6
	v_cndmask_b32_e32 v7, v12, v7, vcc
	v_cndmask_b32_e32 v6, v19, v6, vcc
	v_lshlrev_b32_e32 v12, 16, v16
	v_lshl_add_u32 v7, v7, 23, v27
	v_and_or_b32 v7, v12, s40, v7
	v_lshlrev_b32_e32 v6, 20, v6
	v_or_b32_e32 v20, v7, v6
	v_mov_b32_e32 v19, v8
.LBB206_820:                            ;   in Loop: Header=BB206_809 Depth=1
	s_or_b64 exec, exec, s[24:25]
.LBB206_821:                            ;   in Loop: Header=BB206_809 Depth=1
	s_or_b64 exec, exec, s[22:23]
.LBB206_822:                            ;   in Loop: Header=BB206_809 Depth=1
	s_or_b64 exec, exec, s[4:5]
	v_lshrrev_b32_e32 v12, 16, v16
	v_mov_b32_e32 v23, 0
	v_mov_b32_e32 v21, 0
	;; [unrolled: 1-line block ×4, first 2 shown]
	v_cmp_ne_u16_sdwa s[22:23], v12, v8 src0_sel:BYTE_0 src1_sel:DWORD
	s_and_saveexec_b64 s[4:5], s[22:23]
	s_cbranch_execz .LBB206_828
; %bb.823:                              ;   in Loop: Header=BB206_809 Depth=1
	v_bfrev_b32_e32 v21, 1
	v_mov_b32_e32 v22, 0
	v_cmp_ne_u16_sdwa s[24:25], v12, s28 src0_sel:BYTE_0 src1_sel:DWORD
	s_and_saveexec_b64 s[22:23], s[24:25]
	s_cbranch_execz .LBB206_827
; %bb.824:                              ;   in Loop: Header=BB206_809 Depth=1
	v_bfe_u32 v6, v16, 16, 7
	v_mov_b32_e32 v21, 0x7f800001
	v_mov_b32_e32 v22, 0
	v_cmp_ne_u32_e32 vcc, s29, v6
	s_and_saveexec_b64 s[24:25], vcc
	s_cbranch_execz .LBB206_826
; %bb.825:                              ;   in Loop: Header=BB206_809 Depth=1
	v_and_b32_e32 v21, 7, v12
	v_lshrrev_b32_e32 v22, 3, v6
	v_cmp_gt_u32_e32 vcc, 8, v6
	v_ffbh_u32_e32 v6, v21
	v_min_u32_e32 v26, 32, v6
	v_subrev_u32_e32 v6, 28, v26
	v_lshlrev_b64 v[6:7], v6, v[12:13]
	v_sub_u32_e32 v7, 29, v26
	v_and_b32_e32 v6, 7, v6
	v_cndmask_b32_e32 v7, v22, v7, vcc
	v_cndmask_b32_e32 v6, v21, v6, vcc
	v_lshlrev_b32_e32 v6, 20, v6
	v_and_b32_sdwa v12, sext(v12), s40 dst_sel:DWORD dst_unused:UNUSED_PAD src0_sel:BYTE_0 src1_sel:DWORD
	v_lshl_add_u32 v7, v7, 23, v27
	v_or3_b32 v21, v12, v7, v6
	v_mov_b32_e32 v22, v8
.LBB206_826:                            ;   in Loop: Header=BB206_809 Depth=1
	s_or_b64 exec, exec, s[24:25]
.LBB206_827:                            ;   in Loop: Header=BB206_809 Depth=1
	s_or_b64 exec, exec, s[22:23]
.LBB206_828:                            ;   in Loop: Header=BB206_809 Depth=1
	s_or_b64 exec, exec, s[4:5]
	v_cmp_lt_u32_e32 vcc, s41, v16
	s_and_saveexec_b64 s[4:5], vcc
	s_cbranch_execz .LBB206_834
; %bb.829:                              ;   in Loop: Header=BB206_809 Depth=1
	v_mov_b32_e32 v24, v9
	v_cmp_ne_u32_sdwa s[24:25], v16, s28 src0_sel:BYTE_3 src1_sel:DWORD
	v_mov_b32_e32 v23, v8
	s_and_saveexec_b64 s[22:23], s[24:25]
	s_cbranch_execz .LBB206_833
; %bb.830:                              ;   in Loop: Header=BB206_809 Depth=1
	v_bfe_u32 v6, v16, 24, 7
	v_mov_b32_e32 v12, v8
	v_mov_b32_e32 v24, v13
	v_cmp_ne_u32_e32 vcc, s29, v6
	v_mov_b32_e32 v23, v12
	s_and_saveexec_b64 s[24:25], vcc
	s_cbranch_execz .LBB206_832
; %bb.831:                              ;   in Loop: Header=BB206_809 Depth=1
	v_mov_b32_e32 v7, 7
	v_and_b32_sdwa v23, v16, v7 dst_sel:DWORD dst_unused:UNUSED_PAD src0_sel:BYTE_3 src1_sel:DWORD
	v_lshrrev_b32_e32 v12, 3, v6
	v_cmp_gt_u32_e32 vcc, 8, v6
	v_ffbh_u32_e32 v6, v23
	v_min_u32_e32 v26, 32, v6
	v_mov_b32_e32 v24, v8
	v_subrev_u32_e32 v6, 28, v26
	v_lshlrev_b64 v[6:7], v6, v[23:24]
	v_sub_u32_e32 v7, 29, v26
	v_and_b32_e32 v6, 7, v6
	v_cndmask_b32_e32 v7, v12, v7, vcc
	v_mov_b32_e32 v12, 24
	v_cndmask_b32_e32 v6, v23, v6, vcc
	v_lshlrev_b32_sdwa v12, v12, v16 dst_sel:DWORD dst_unused:UNUSED_PAD src0_sel:DWORD src1_sel:BYTE_3
	v_lshl_add_u32 v7, v7, 23, v27
	v_and_or_b32 v7, v12, s40, v7
	v_lshlrev_b32_e32 v6, 20, v6
	v_or_b32_e32 v24, v7, v6
	v_mov_b32_e32 v23, v8
.LBB206_832:                            ;   in Loop: Header=BB206_809 Depth=1
	s_or_b64 exec, exec, s[24:25]
.LBB206_833:                            ;   in Loop: Header=BB206_809 Depth=1
	s_or_b64 exec, exec, s[22:23]
.LBB206_834:                            ;   in Loop: Header=BB206_809 Depth=1
	s_or_b64 exec, exec, s[4:5]
	buffer_load_dword v6, off, s[0:3], s32 offset:100 ; 4-byte Folded Reload
	buffer_load_dword v7, off, s[0:3], s32 offset:1088 ; 4-byte Folded Reload
	s_waitcnt vmcnt(0)
	v_add_u32_e32 v35, v7, v6
	buffer_load_dword v6, off, s[0:3], s32 offset:96 ; 4-byte Folded Reload
	buffer_load_dword v7, off, s[0:3], s32 offset:92 ; 4-byte Folded Reload
	v_add_u32_e32 v38, 1, v35
	v_add_u32_e32 v37, 2, v35
	;; [unrolled: 1-line block ×3, first 2 shown]
	s_waitcnt vmcnt(0)
	v_add_u32_e32 v6, -1, v6
	v_cmp_eq_u32_e64 s[4:5], v6, v7
	v_or_b32_e32 v6, v20, v18
	v_or_b32_e32 v7, v19, v17
	s_waitcnt lgkmcnt(0)
	v_mul_f32_e32 v6, v30, v6
	buffer_store_dword v6, off, s[0:3], s32 offset:84 ; 4-byte Folded Spill
	v_mul_f32_e32 v6, v30, v7
	buffer_store_dword v6, off, s[0:3], s32 offset:76 ; 4-byte Folded Spill
	v_or_b32_e32 v6, v24, v22
	v_or_b32_e32 v7, v23, v21
	v_mul_f32_e32 v7, v30, v7
	v_mul_f32_e32 v6, v30, v6
	buffer_store_dword v7, off, s[0:3], s32 offset:80 ; 4-byte Folded Spill
	buffer_store_dword v6, off, s[0:3], s32 offset:64 ; 4-byte Folded Spill
	s_and_saveexec_b64 s[22:23], s[4:5]
	s_cbranch_execz .LBB206_836
; %bb.835:                              ;   in Loop: Header=BB206_809 Depth=1
	buffer_load_dword v6, off, s[0:3], s32 offset:72 ; 4-byte Folded Reload
	buffer_load_dword v7, off, s[0:3], s32 offset:76 ; 4-byte Folded Reload
	s_waitcnt vmcnt(1)
	v_cmp_lt_i32_e32 vcc, v35, v6
	s_waitcnt vmcnt(0)
	v_cndmask_b32_e32 v7, 0, v7, vcc
	buffer_store_dword v7, off, s[0:3], s32 offset:76 ; 4-byte Folded Spill
	buffer_load_dword v7, off, s[0:3], s32 offset:84 ; 4-byte Folded Reload
	v_cmp_lt_i32_e32 vcc, v38, v6
	s_waitcnt vmcnt(0)
	v_cndmask_b32_e32 v7, 0, v7, vcc
	buffer_store_dword v7, off, s[0:3], s32 offset:84 ; 4-byte Folded Spill
	buffer_load_dword v7, off, s[0:3], s32 offset:80 ; 4-byte Folded Reload
	v_cmp_lt_i32_e32 vcc, v37, v6
	s_waitcnt vmcnt(0)
	v_cndmask_b32_e32 v7, 0, v7, vcc
	v_cmp_lt_i32_e32 vcc, v36, v6
	buffer_load_dword v6, off, s[0:3], s32 offset:64 ; 4-byte Folded Reload
	s_waitcnt vmcnt(0)
	v_cndmask_b32_e32 v6, 0, v6, vcc
	buffer_store_dword v7, off, s[0:3], s32 offset:80 ; 4-byte Folded Spill
	buffer_store_dword v6, off, s[0:3], s32 offset:64 ; 4-byte Folded Spill
.LBB206_836:                            ;   in Loop: Header=BB206_809 Depth=1
	s_or_b64 exec, exec, s[22:23]
	flat_load_dword v16, v[14:15] offset:256
	v_mov_b32_e32 v19, 0
	v_mov_b32_e32 v17, 0
	;; [unrolled: 1-line block ×4, first 2 shown]
	s_waitcnt vmcnt(0) lgkmcnt(0)
	v_cmp_ne_u16_sdwa s[24:25], v16, v8 src0_sel:BYTE_0 src1_sel:DWORD
	s_and_saveexec_b64 s[22:23], s[24:25]
	s_cbranch_execz .LBB206_842
; %bb.837:                              ;   in Loop: Header=BB206_809 Depth=1
	v_bfrev_b32_e32 v17, 1
	v_mov_b32_e32 v18, 0
	v_cmp_ne_u16_sdwa s[26:27], v16, s28 src0_sel:BYTE_0 src1_sel:DWORD
	s_and_saveexec_b64 s[24:25], s[26:27]
	s_cbranch_execz .LBB206_841
; %bb.838:                              ;   in Loop: Header=BB206_809 Depth=1
	v_and_b32_e32 v6, 0x7f, v16
	v_mov_b32_e32 v17, 0x7f800001
	v_mov_b32_e32 v18, 0
	v_cmp_ne_u32_e32 vcc, s29, v6
	s_and_saveexec_b64 s[26:27], vcc
	s_cbranch_execz .LBB206_840
; %bb.839:                              ;   in Loop: Header=BB206_809 Depth=1
	v_and_b32_e32 v12, 7, v16
	v_lshrrev_b32_e32 v17, 3, v6
	v_cmp_gt_u32_e32 vcc, 8, v6
	v_ffbh_u32_e32 v6, v12
	v_min_u32_e32 v18, 32, v6
	v_subrev_u32_e32 v6, 28, v18
	v_lshlrev_b64 v[6:7], v6, v[16:17]
	v_sub_u32_e32 v7, 29, v18
	v_and_b32_e32 v6, 7, v6
	v_cndmask_b32_e32 v7, v17, v7, vcc
	v_cndmask_b32_e32 v6, v12, v6, vcc
	v_lshlrev_b32_e32 v6, 20, v6
	v_and_b32_sdwa v12, sext(v16), s40 dst_sel:DWORD dst_unused:UNUSED_PAD src0_sel:BYTE_0 src1_sel:DWORD
	v_lshl_add_u32 v7, v7, 23, v27
	v_or3_b32 v17, v12, v7, v6
	v_mov_b32_e32 v18, v8
.LBB206_840:                            ;   in Loop: Header=BB206_809 Depth=1
	s_or_b64 exec, exec, s[26:27]
.LBB206_841:                            ;   in Loop: Header=BB206_809 Depth=1
	s_or_b64 exec, exec, s[24:25]
.LBB206_842:                            ;   in Loop: Header=BB206_809 Depth=1
	s_or_b64 exec, exec, s[22:23]
	v_cmp_ne_u16_sdwa s[24:25], v16, v8 src0_sel:BYTE_1 src1_sel:DWORD
	s_and_saveexec_b64 s[22:23], s[24:25]
	s_cbranch_execz .LBB206_848
; %bb.843:                              ;   in Loop: Header=BB206_809 Depth=1
	v_mov_b32_e32 v20, v9
	v_cmp_ne_u16_sdwa s[26:27], v16, s28 src0_sel:BYTE_1 src1_sel:DWORD
	v_mov_b32_e32 v19, v8
	s_and_saveexec_b64 s[24:25], s[26:27]
	s_cbranch_execz .LBB206_847
; %bb.844:                              ;   in Loop: Header=BB206_809 Depth=1
	v_and_b32_sdwa v6, v16, s29 dst_sel:DWORD dst_unused:UNUSED_PAD src0_sel:BYTE_1 src1_sel:DWORD
	v_mov_b32_e32 v12, v8
	v_mov_b32_e32 v20, v13
	v_cmp_ne_u32_e32 vcc, s29, v6
	v_mov_b32_e32 v19, v12
	s_and_saveexec_b64 s[26:27], vcc
	s_cbranch_execz .LBB206_846
; %bb.845:                              ;   in Loop: Header=BB206_809 Depth=1
	v_mov_b32_e32 v7, 7
	v_and_b32_sdwa v19, v16, v7 dst_sel:DWORD dst_unused:UNUSED_PAD src0_sel:BYTE_1 src1_sel:DWORD
	v_lshrrev_b32_e32 v12, 3, v6
	v_cmp_gt_u32_e32 vcc, 8, v6
	v_ffbh_u32_e32 v6, v19
	v_min_u32_e32 v21, 32, v6
	v_mov_b32_e32 v20, v8
	v_subrev_u32_e32 v6, 28, v21
	v_lshlrev_b64 v[6:7], v6, v[19:20]
	v_sub_u32_e32 v7, 29, v21
	v_and_b32_e32 v6, 7, v6
	v_cndmask_b32_e32 v7, v12, v7, vcc
	v_cndmask_b32_e32 v6, v19, v6, vcc
	v_lshlrev_b32_e32 v12, 16, v16
	v_lshl_add_u32 v7, v7, 23, v27
	v_and_or_b32 v7, v12, s40, v7
	v_lshlrev_b32_e32 v6, 20, v6
	v_or_b32_e32 v20, v7, v6
	v_mov_b32_e32 v19, v8
.LBB206_846:                            ;   in Loop: Header=BB206_809 Depth=1
	s_or_b64 exec, exec, s[26:27]
.LBB206_847:                            ;   in Loop: Header=BB206_809 Depth=1
	s_or_b64 exec, exec, s[24:25]
.LBB206_848:                            ;   in Loop: Header=BB206_809 Depth=1
	s_or_b64 exec, exec, s[22:23]
	v_lshrrev_b32_e32 v12, 16, v16
	v_mov_b32_e32 v23, 0
	v_mov_b32_e32 v21, 0
	;; [unrolled: 1-line block ×4, first 2 shown]
	v_cmp_ne_u16_sdwa s[24:25], v12, v8 src0_sel:BYTE_0 src1_sel:DWORD
	s_and_saveexec_b64 s[22:23], s[24:25]
	s_cbranch_execz .LBB206_854
; %bb.849:                              ;   in Loop: Header=BB206_809 Depth=1
	v_bfrev_b32_e32 v21, 1
	v_mov_b32_e32 v22, 0
	v_cmp_ne_u16_sdwa s[26:27], v12, s28 src0_sel:BYTE_0 src1_sel:DWORD
	s_and_saveexec_b64 s[24:25], s[26:27]
	s_cbranch_execz .LBB206_853
; %bb.850:                              ;   in Loop: Header=BB206_809 Depth=1
	v_bfe_u32 v6, v16, 16, 7
	v_mov_b32_e32 v21, 0x7f800001
	v_mov_b32_e32 v22, 0
	v_cmp_ne_u32_e32 vcc, s29, v6
	s_and_saveexec_b64 s[26:27], vcc
	s_cbranch_execz .LBB206_852
; %bb.851:                              ;   in Loop: Header=BB206_809 Depth=1
	v_and_b32_e32 v21, 7, v12
	v_lshrrev_b32_e32 v22, 3, v6
	v_cmp_gt_u32_e32 vcc, 8, v6
	v_ffbh_u32_e32 v6, v21
	v_min_u32_e32 v26, 32, v6
	v_subrev_u32_e32 v6, 28, v26
	v_lshlrev_b64 v[6:7], v6, v[12:13]
	v_sub_u32_e32 v7, 29, v26
	v_and_b32_e32 v6, 7, v6
	v_cndmask_b32_e32 v7, v22, v7, vcc
	v_cndmask_b32_e32 v6, v21, v6, vcc
	v_lshlrev_b32_e32 v6, 20, v6
	v_and_b32_sdwa v12, sext(v12), s40 dst_sel:DWORD dst_unused:UNUSED_PAD src0_sel:BYTE_0 src1_sel:DWORD
	v_lshl_add_u32 v7, v7, 23, v27
	v_or3_b32 v21, v12, v7, v6
	v_mov_b32_e32 v22, v8
.LBB206_852:                            ;   in Loop: Header=BB206_809 Depth=1
	s_or_b64 exec, exec, s[26:27]
.LBB206_853:                            ;   in Loop: Header=BB206_809 Depth=1
	s_or_b64 exec, exec, s[24:25]
.LBB206_854:                            ;   in Loop: Header=BB206_809 Depth=1
	s_or_b64 exec, exec, s[22:23]
	v_cmp_lt_u32_e32 vcc, s41, v16
	s_and_saveexec_b64 s[22:23], vcc
	s_cbranch_execz .LBB206_860
; %bb.855:                              ;   in Loop: Header=BB206_809 Depth=1
	v_mov_b32_e32 v24, v9
	v_cmp_ne_u32_sdwa s[26:27], v16, s28 src0_sel:BYTE_3 src1_sel:DWORD
	v_mov_b32_e32 v23, v8
	s_and_saveexec_b64 s[24:25], s[26:27]
	s_cbranch_execz .LBB206_859
; %bb.856:                              ;   in Loop: Header=BB206_809 Depth=1
	v_bfe_u32 v6, v16, 24, 7
	v_mov_b32_e32 v12, v8
	v_mov_b32_e32 v24, v13
	v_cmp_ne_u32_e32 vcc, s29, v6
	v_mov_b32_e32 v23, v12
	s_and_saveexec_b64 s[26:27], vcc
	s_cbranch_execz .LBB206_858
; %bb.857:                              ;   in Loop: Header=BB206_809 Depth=1
	v_mov_b32_e32 v7, 7
	v_and_b32_sdwa v23, v16, v7 dst_sel:DWORD dst_unused:UNUSED_PAD src0_sel:BYTE_3 src1_sel:DWORD
	v_lshrrev_b32_e32 v12, 3, v6
	v_cmp_gt_u32_e32 vcc, 8, v6
	v_ffbh_u32_e32 v6, v23
	v_min_u32_e32 v26, 32, v6
	v_mov_b32_e32 v24, v8
	v_subrev_u32_e32 v6, 28, v26
	v_lshlrev_b64 v[6:7], v6, v[23:24]
	v_sub_u32_e32 v7, 29, v26
	v_and_b32_e32 v6, 7, v6
	v_cndmask_b32_e32 v7, v12, v7, vcc
	v_mov_b32_e32 v12, 24
	v_cndmask_b32_e32 v6, v23, v6, vcc
	v_lshlrev_b32_sdwa v12, v12, v16 dst_sel:DWORD dst_unused:UNUSED_PAD src0_sel:DWORD src1_sel:BYTE_3
	v_lshl_add_u32 v7, v7, 23, v27
	v_and_or_b32 v7, v12, s40, v7
	v_lshlrev_b32_e32 v6, 20, v6
	v_or_b32_e32 v24, v7, v6
	v_mov_b32_e32 v23, v8
.LBB206_858:                            ;   in Loop: Header=BB206_809 Depth=1
	s_or_b64 exec, exec, s[26:27]
.LBB206_859:                            ;   in Loop: Header=BB206_809 Depth=1
	s_or_b64 exec, exec, s[24:25]
.LBB206_860:                            ;   in Loop: Header=BB206_809 Depth=1
	s_or_b64 exec, exec, s[22:23]
	v_or_b32_e32 v6, v20, v18
	v_or_b32_e32 v7, v19, v17
	v_mul_f32_e32 v6, v30, v6
	buffer_store_dword v6, off, s[0:3], s32 offset:116 ; 4-byte Folded Spill
	v_mul_f32_e32 v6, v30, v7
	buffer_store_dword v6, off, s[0:3], s32 offset:104 ; 4-byte Folded Spill
	v_or_b32_e32 v6, v24, v22
	v_or_b32_e32 v7, v23, v21
	v_mul_f32_e32 v7, v30, v7
	v_mul_f32_e32 v6, v30, v6
	buffer_store_dword v7, off, s[0:3], s32 offset:108 ; 4-byte Folded Spill
	buffer_store_dword v6, off, s[0:3], s32 offset:88 ; 4-byte Folded Spill
	s_and_saveexec_b64 s[22:23], s[4:5]
	s_cbranch_execz .LBB206_862
; %bb.861:                              ;   in Loop: Header=BB206_809 Depth=1
	buffer_load_dword v6, off, s[0:3], s32 offset:72 ; 4-byte Folded Reload
	buffer_load_dword v7, off, s[0:3], s32 offset:104 ; 4-byte Folded Reload
	s_waitcnt vmcnt(1)
	v_cmp_lt_i32_e32 vcc, v35, v6
	s_waitcnt vmcnt(0)
	v_cndmask_b32_e32 v7, 0, v7, vcc
	buffer_store_dword v7, off, s[0:3], s32 offset:104 ; 4-byte Folded Spill
	buffer_load_dword v7, off, s[0:3], s32 offset:116 ; 4-byte Folded Reload
	v_cmp_lt_i32_e32 vcc, v38, v6
	s_waitcnt vmcnt(0)
	v_cndmask_b32_e32 v7, 0, v7, vcc
	buffer_store_dword v7, off, s[0:3], s32 offset:116 ; 4-byte Folded Spill
	buffer_load_dword v7, off, s[0:3], s32 offset:108 ; 4-byte Folded Reload
	v_cmp_lt_i32_e32 vcc, v37, v6
	s_waitcnt vmcnt(0)
	v_cndmask_b32_e32 v7, 0, v7, vcc
	v_cmp_lt_i32_e32 vcc, v36, v6
	buffer_load_dword v6, off, s[0:3], s32 offset:88 ; 4-byte Folded Reload
	s_waitcnt vmcnt(0)
	v_cndmask_b32_e32 v6, 0, v6, vcc
	buffer_store_dword v7, off, s[0:3], s32 offset:108 ; 4-byte Folded Spill
	buffer_store_dword v6, off, s[0:3], s32 offset:88 ; 4-byte Folded Spill
.LBB206_862:                            ;   in Loop: Header=BB206_809 Depth=1
	s_or_b64 exec, exec, s[22:23]
	flat_load_dword v16, v[14:15] offset:512
	v_mov_b32_e32 v19, 0
	v_mov_b32_e32 v17, 0
	;; [unrolled: 1-line block ×4, first 2 shown]
	s_waitcnt vmcnt(0) lgkmcnt(0)
	v_cmp_ne_u16_sdwa s[24:25], v16, v8 src0_sel:BYTE_0 src1_sel:DWORD
	s_and_saveexec_b64 s[22:23], s[24:25]
	s_cbranch_execz .LBB206_868
; %bb.863:                              ;   in Loop: Header=BB206_809 Depth=1
	v_bfrev_b32_e32 v17, 1
	v_mov_b32_e32 v18, 0
	v_cmp_ne_u16_sdwa s[26:27], v16, s28 src0_sel:BYTE_0 src1_sel:DWORD
	s_and_saveexec_b64 s[24:25], s[26:27]
	s_cbranch_execz .LBB206_867
; %bb.864:                              ;   in Loop: Header=BB206_809 Depth=1
	v_and_b32_e32 v6, 0x7f, v16
	v_mov_b32_e32 v17, 0x7f800001
	v_mov_b32_e32 v18, 0
	v_cmp_ne_u32_e32 vcc, s29, v6
	s_and_saveexec_b64 s[26:27], vcc
	s_cbranch_execz .LBB206_866
; %bb.865:                              ;   in Loop: Header=BB206_809 Depth=1
	v_and_b32_e32 v12, 7, v16
	v_lshrrev_b32_e32 v17, 3, v6
	v_cmp_gt_u32_e32 vcc, 8, v6
	v_ffbh_u32_e32 v6, v12
	v_min_u32_e32 v18, 32, v6
	v_subrev_u32_e32 v6, 28, v18
	v_lshlrev_b64 v[6:7], v6, v[16:17]
	v_sub_u32_e32 v7, 29, v18
	v_and_b32_e32 v6, 7, v6
	v_cndmask_b32_e32 v7, v17, v7, vcc
	v_cndmask_b32_e32 v6, v12, v6, vcc
	v_lshlrev_b32_e32 v6, 20, v6
	v_and_b32_sdwa v12, sext(v16), s40 dst_sel:DWORD dst_unused:UNUSED_PAD src0_sel:BYTE_0 src1_sel:DWORD
	v_lshl_add_u32 v7, v7, 23, v27
	v_or3_b32 v17, v12, v7, v6
	v_mov_b32_e32 v18, v8
.LBB206_866:                            ;   in Loop: Header=BB206_809 Depth=1
	s_or_b64 exec, exec, s[26:27]
.LBB206_867:                            ;   in Loop: Header=BB206_809 Depth=1
	s_or_b64 exec, exec, s[24:25]
.LBB206_868:                            ;   in Loop: Header=BB206_809 Depth=1
	s_or_b64 exec, exec, s[22:23]
	v_cmp_ne_u16_sdwa s[24:25], v16, v8 src0_sel:BYTE_1 src1_sel:DWORD
	s_and_saveexec_b64 s[22:23], s[24:25]
	s_cbranch_execz .LBB206_874
; %bb.869:                              ;   in Loop: Header=BB206_809 Depth=1
	v_mov_b32_e32 v20, v9
	v_cmp_ne_u16_sdwa s[26:27], v16, s28 src0_sel:BYTE_1 src1_sel:DWORD
	v_mov_b32_e32 v19, v8
	s_and_saveexec_b64 s[24:25], s[26:27]
	s_cbranch_execz .LBB206_873
; %bb.870:                              ;   in Loop: Header=BB206_809 Depth=1
	v_and_b32_sdwa v6, v16, s29 dst_sel:DWORD dst_unused:UNUSED_PAD src0_sel:BYTE_1 src1_sel:DWORD
	v_mov_b32_e32 v12, v8
	v_mov_b32_e32 v20, v13
	v_cmp_ne_u32_e32 vcc, s29, v6
	v_mov_b32_e32 v19, v12
	s_and_saveexec_b64 s[26:27], vcc
	s_cbranch_execz .LBB206_872
; %bb.871:                              ;   in Loop: Header=BB206_809 Depth=1
	v_mov_b32_e32 v7, 7
	v_and_b32_sdwa v19, v16, v7 dst_sel:DWORD dst_unused:UNUSED_PAD src0_sel:BYTE_1 src1_sel:DWORD
	v_lshrrev_b32_e32 v12, 3, v6
	v_cmp_gt_u32_e32 vcc, 8, v6
	v_ffbh_u32_e32 v6, v19
	v_min_u32_e32 v21, 32, v6
	v_mov_b32_e32 v20, v8
	v_subrev_u32_e32 v6, 28, v21
	v_lshlrev_b64 v[6:7], v6, v[19:20]
	v_sub_u32_e32 v7, 29, v21
	v_and_b32_e32 v6, 7, v6
	v_cndmask_b32_e32 v7, v12, v7, vcc
	v_cndmask_b32_e32 v6, v19, v6, vcc
	v_lshlrev_b32_e32 v12, 16, v16
	v_lshl_add_u32 v7, v7, 23, v27
	v_and_or_b32 v7, v12, s40, v7
	v_lshlrev_b32_e32 v6, 20, v6
	v_or_b32_e32 v20, v7, v6
	v_mov_b32_e32 v19, v8
.LBB206_872:                            ;   in Loop: Header=BB206_809 Depth=1
	s_or_b64 exec, exec, s[26:27]
.LBB206_873:                            ;   in Loop: Header=BB206_809 Depth=1
	s_or_b64 exec, exec, s[24:25]
.LBB206_874:                            ;   in Loop: Header=BB206_809 Depth=1
	s_or_b64 exec, exec, s[22:23]
	v_lshrrev_b32_e32 v12, 16, v16
	v_mov_b32_e32 v23, 0
	v_mov_b32_e32 v21, 0
	;; [unrolled: 1-line block ×4, first 2 shown]
	v_cmp_ne_u16_sdwa s[24:25], v12, v8 src0_sel:BYTE_0 src1_sel:DWORD
	s_and_saveexec_b64 s[22:23], s[24:25]
	s_cbranch_execz .LBB206_880
; %bb.875:                              ;   in Loop: Header=BB206_809 Depth=1
	v_bfrev_b32_e32 v21, 1
	v_mov_b32_e32 v22, 0
	v_cmp_ne_u16_sdwa s[26:27], v12, s28 src0_sel:BYTE_0 src1_sel:DWORD
	s_and_saveexec_b64 s[24:25], s[26:27]
	s_cbranch_execz .LBB206_879
; %bb.876:                              ;   in Loop: Header=BB206_809 Depth=1
	v_bfe_u32 v6, v16, 16, 7
	v_mov_b32_e32 v21, 0x7f800001
	v_mov_b32_e32 v22, 0
	v_cmp_ne_u32_e32 vcc, s29, v6
	s_and_saveexec_b64 s[26:27], vcc
	s_cbranch_execz .LBB206_878
; %bb.877:                              ;   in Loop: Header=BB206_809 Depth=1
	v_and_b32_e32 v21, 7, v12
	v_lshrrev_b32_e32 v22, 3, v6
	v_cmp_gt_u32_e32 vcc, 8, v6
	v_ffbh_u32_e32 v6, v21
	v_min_u32_e32 v26, 32, v6
	v_subrev_u32_e32 v6, 28, v26
	v_lshlrev_b64 v[6:7], v6, v[12:13]
	v_sub_u32_e32 v7, 29, v26
	v_and_b32_e32 v6, 7, v6
	v_cndmask_b32_e32 v7, v22, v7, vcc
	v_cndmask_b32_e32 v6, v21, v6, vcc
	v_lshlrev_b32_e32 v6, 20, v6
	v_and_b32_sdwa v12, sext(v12), s40 dst_sel:DWORD dst_unused:UNUSED_PAD src0_sel:BYTE_0 src1_sel:DWORD
	v_lshl_add_u32 v7, v7, 23, v27
	v_or3_b32 v21, v12, v7, v6
	v_mov_b32_e32 v22, v8
.LBB206_878:                            ;   in Loop: Header=BB206_809 Depth=1
	s_or_b64 exec, exec, s[26:27]
.LBB206_879:                            ;   in Loop: Header=BB206_809 Depth=1
	s_or_b64 exec, exec, s[24:25]
.LBB206_880:                            ;   in Loop: Header=BB206_809 Depth=1
	s_or_b64 exec, exec, s[22:23]
	v_cmp_lt_u32_e32 vcc, s41, v16
	s_and_saveexec_b64 s[22:23], vcc
	s_cbranch_execz .LBB206_886
; %bb.881:                              ;   in Loop: Header=BB206_809 Depth=1
	v_mov_b32_e32 v24, v9
	v_cmp_ne_u32_sdwa s[26:27], v16, s28 src0_sel:BYTE_3 src1_sel:DWORD
	v_mov_b32_e32 v23, v8
	s_and_saveexec_b64 s[24:25], s[26:27]
	s_cbranch_execz .LBB206_885
; %bb.882:                              ;   in Loop: Header=BB206_809 Depth=1
	v_bfe_u32 v6, v16, 24, 7
	v_mov_b32_e32 v12, v8
	v_mov_b32_e32 v24, v13
	v_cmp_ne_u32_e32 vcc, s29, v6
	v_mov_b32_e32 v23, v12
	s_and_saveexec_b64 s[26:27], vcc
	s_cbranch_execz .LBB206_884
; %bb.883:                              ;   in Loop: Header=BB206_809 Depth=1
	v_mov_b32_e32 v7, 7
	v_and_b32_sdwa v23, v16, v7 dst_sel:DWORD dst_unused:UNUSED_PAD src0_sel:BYTE_3 src1_sel:DWORD
	v_lshrrev_b32_e32 v12, 3, v6
	v_cmp_gt_u32_e32 vcc, 8, v6
	v_ffbh_u32_e32 v6, v23
	v_min_u32_e32 v26, 32, v6
	v_mov_b32_e32 v24, v8
	v_subrev_u32_e32 v6, 28, v26
	v_lshlrev_b64 v[6:7], v6, v[23:24]
	v_sub_u32_e32 v7, 29, v26
	v_and_b32_e32 v6, 7, v6
	v_cndmask_b32_e32 v7, v12, v7, vcc
	v_mov_b32_e32 v12, 24
	v_cndmask_b32_e32 v6, v23, v6, vcc
	v_lshlrev_b32_sdwa v12, v12, v16 dst_sel:DWORD dst_unused:UNUSED_PAD src0_sel:DWORD src1_sel:BYTE_3
	v_lshl_add_u32 v7, v7, 23, v27
	v_and_or_b32 v7, v12, s40, v7
	v_lshlrev_b32_e32 v6, 20, v6
	v_or_b32_e32 v24, v7, v6
	v_mov_b32_e32 v23, v8
.LBB206_884:                            ;   in Loop: Header=BB206_809 Depth=1
	s_or_b64 exec, exec, s[26:27]
.LBB206_885:                            ;   in Loop: Header=BB206_809 Depth=1
	s_or_b64 exec, exec, s[24:25]
.LBB206_886:                            ;   in Loop: Header=BB206_809 Depth=1
	s_or_b64 exec, exec, s[22:23]
	v_or_b32_e32 v6, v20, v18
	v_or_b32_e32 v7, v19, v17
	v_mul_f32_e32 v6, v30, v6
	buffer_store_dword v6, off, s[0:3], s32 offset:164 ; 4-byte Folded Spill
	v_mul_f32_e32 v6, v30, v7
	buffer_store_dword v6, off, s[0:3], s32 offset:148 ; 4-byte Folded Spill
	v_or_b32_e32 v6, v24, v22
	v_or_b32_e32 v7, v23, v21
	v_mul_f32_e32 v7, v30, v7
	v_mul_f32_e32 v6, v30, v6
	buffer_store_dword v7, off, s[0:3], s32 offset:156 ; 4-byte Folded Spill
	buffer_store_dword v6, off, s[0:3], s32 offset:144 ; 4-byte Folded Spill
	s_and_saveexec_b64 s[22:23], s[4:5]
	s_cbranch_execz .LBB206_888
; %bb.887:                              ;   in Loop: Header=BB206_809 Depth=1
	buffer_load_dword v6, off, s[0:3], s32 offset:72 ; 4-byte Folded Reload
	buffer_load_dword v7, off, s[0:3], s32 offset:148 ; 4-byte Folded Reload
	s_waitcnt vmcnt(1)
	v_cmp_lt_i32_e32 vcc, v35, v6
	s_waitcnt vmcnt(0)
	v_cndmask_b32_e32 v7, 0, v7, vcc
	buffer_store_dword v7, off, s[0:3], s32 offset:148 ; 4-byte Folded Spill
	buffer_load_dword v7, off, s[0:3], s32 offset:164 ; 4-byte Folded Reload
	v_cmp_lt_i32_e32 vcc, v38, v6
	s_waitcnt vmcnt(0)
	v_cndmask_b32_e32 v7, 0, v7, vcc
	buffer_store_dword v7, off, s[0:3], s32 offset:164 ; 4-byte Folded Spill
	buffer_load_dword v7, off, s[0:3], s32 offset:156 ; 4-byte Folded Reload
	v_cmp_lt_i32_e32 vcc, v37, v6
	s_waitcnt vmcnt(0)
	v_cndmask_b32_e32 v7, 0, v7, vcc
	v_cmp_lt_i32_e32 vcc, v36, v6
	buffer_load_dword v6, off, s[0:3], s32 offset:144 ; 4-byte Folded Reload
	s_waitcnt vmcnt(0)
	v_cndmask_b32_e32 v6, 0, v6, vcc
	buffer_store_dword v7, off, s[0:3], s32 offset:156 ; 4-byte Folded Spill
	buffer_store_dword v6, off, s[0:3], s32 offset:144 ; 4-byte Folded Spill
.LBB206_888:                            ;   in Loop: Header=BB206_809 Depth=1
	s_or_b64 exec, exec, s[22:23]
	flat_load_dword v16, v[14:15] offset:768
	v_mov_b32_e32 v19, 0
	v_mov_b32_e32 v17, 0
	v_mov_b32_e32 v20, 0
	v_mov_b32_e32 v18, 0
	s_waitcnt vmcnt(0) lgkmcnt(0)
	v_cmp_ne_u16_sdwa s[24:25], v16, v8 src0_sel:BYTE_0 src1_sel:DWORD
	s_and_saveexec_b64 s[22:23], s[24:25]
	s_cbranch_execz .LBB206_894
; %bb.889:                              ;   in Loop: Header=BB206_809 Depth=1
	v_bfrev_b32_e32 v17, 1
	v_mov_b32_e32 v18, 0
	v_cmp_ne_u16_sdwa s[26:27], v16, s28 src0_sel:BYTE_0 src1_sel:DWORD
	s_and_saveexec_b64 s[24:25], s[26:27]
	s_cbranch_execz .LBB206_893
; %bb.890:                              ;   in Loop: Header=BB206_809 Depth=1
	v_and_b32_e32 v6, 0x7f, v16
	v_mov_b32_e32 v17, 0x7f800001
	v_mov_b32_e32 v18, 0
	v_cmp_ne_u32_e32 vcc, s29, v6
	s_and_saveexec_b64 s[26:27], vcc
	s_cbranch_execz .LBB206_892
; %bb.891:                              ;   in Loop: Header=BB206_809 Depth=1
	v_and_b32_e32 v12, 7, v16
	v_lshrrev_b32_e32 v17, 3, v6
	v_cmp_gt_u32_e32 vcc, 8, v6
	v_ffbh_u32_e32 v6, v12
	v_min_u32_e32 v18, 32, v6
	v_subrev_u32_e32 v6, 28, v18
	v_lshlrev_b64 v[6:7], v6, v[16:17]
	v_sub_u32_e32 v7, 29, v18
	v_and_b32_e32 v6, 7, v6
	v_cndmask_b32_e32 v7, v17, v7, vcc
	v_cndmask_b32_e32 v6, v12, v6, vcc
	v_lshlrev_b32_e32 v6, 20, v6
	v_and_b32_sdwa v12, sext(v16), s40 dst_sel:DWORD dst_unused:UNUSED_PAD src0_sel:BYTE_0 src1_sel:DWORD
	v_lshl_add_u32 v7, v7, 23, v27
	v_or3_b32 v17, v12, v7, v6
	v_mov_b32_e32 v18, v8
.LBB206_892:                            ;   in Loop: Header=BB206_809 Depth=1
	s_or_b64 exec, exec, s[26:27]
.LBB206_893:                            ;   in Loop: Header=BB206_809 Depth=1
	s_or_b64 exec, exec, s[24:25]
.LBB206_894:                            ;   in Loop: Header=BB206_809 Depth=1
	s_or_b64 exec, exec, s[22:23]
	v_cmp_ne_u16_sdwa s[24:25], v16, v8 src0_sel:BYTE_1 src1_sel:DWORD
	s_and_saveexec_b64 s[22:23], s[24:25]
	s_cbranch_execz .LBB206_900
; %bb.895:                              ;   in Loop: Header=BB206_809 Depth=1
	v_mov_b32_e32 v20, v9
	v_cmp_ne_u16_sdwa s[26:27], v16, s28 src0_sel:BYTE_1 src1_sel:DWORD
	v_mov_b32_e32 v19, v8
	s_and_saveexec_b64 s[24:25], s[26:27]
	s_cbranch_execz .LBB206_899
; %bb.896:                              ;   in Loop: Header=BB206_809 Depth=1
	v_and_b32_sdwa v6, v16, s29 dst_sel:DWORD dst_unused:UNUSED_PAD src0_sel:BYTE_1 src1_sel:DWORD
	v_mov_b32_e32 v12, v8
	v_mov_b32_e32 v20, v13
	v_cmp_ne_u32_e32 vcc, s29, v6
	v_mov_b32_e32 v19, v12
	s_and_saveexec_b64 s[26:27], vcc
	s_cbranch_execz .LBB206_898
; %bb.897:                              ;   in Loop: Header=BB206_809 Depth=1
	v_mov_b32_e32 v7, 7
	v_and_b32_sdwa v19, v16, v7 dst_sel:DWORD dst_unused:UNUSED_PAD src0_sel:BYTE_1 src1_sel:DWORD
	v_lshrrev_b32_e32 v12, 3, v6
	v_cmp_gt_u32_e32 vcc, 8, v6
	v_ffbh_u32_e32 v6, v19
	v_min_u32_e32 v21, 32, v6
	v_mov_b32_e32 v20, v8
	v_subrev_u32_e32 v6, 28, v21
	v_lshlrev_b64 v[6:7], v6, v[19:20]
	v_sub_u32_e32 v7, 29, v21
	v_and_b32_e32 v6, 7, v6
	v_cndmask_b32_e32 v7, v12, v7, vcc
	v_cndmask_b32_e32 v6, v19, v6, vcc
	v_lshlrev_b32_e32 v12, 16, v16
	v_lshl_add_u32 v7, v7, 23, v27
	v_and_or_b32 v7, v12, s40, v7
	v_lshlrev_b32_e32 v6, 20, v6
	v_or_b32_e32 v20, v7, v6
	v_mov_b32_e32 v19, v8
.LBB206_898:                            ;   in Loop: Header=BB206_809 Depth=1
	s_or_b64 exec, exec, s[26:27]
.LBB206_899:                            ;   in Loop: Header=BB206_809 Depth=1
	s_or_b64 exec, exec, s[24:25]
.LBB206_900:                            ;   in Loop: Header=BB206_809 Depth=1
	s_or_b64 exec, exec, s[22:23]
	v_lshrrev_b32_e32 v12, 16, v16
	v_mov_b32_e32 v23, 0
	v_mov_b32_e32 v21, 0
	;; [unrolled: 1-line block ×4, first 2 shown]
	v_cmp_ne_u16_sdwa s[24:25], v12, v8 src0_sel:BYTE_0 src1_sel:DWORD
	s_and_saveexec_b64 s[22:23], s[24:25]
	s_cbranch_execz .LBB206_906
; %bb.901:                              ;   in Loop: Header=BB206_809 Depth=1
	v_bfrev_b32_e32 v21, 1
	v_mov_b32_e32 v22, 0
	v_cmp_ne_u16_sdwa s[26:27], v12, s28 src0_sel:BYTE_0 src1_sel:DWORD
	s_and_saveexec_b64 s[24:25], s[26:27]
	s_cbranch_execz .LBB206_905
; %bb.902:                              ;   in Loop: Header=BB206_809 Depth=1
	v_bfe_u32 v6, v16, 16, 7
	v_mov_b32_e32 v21, 0x7f800001
	v_mov_b32_e32 v22, 0
	v_cmp_ne_u32_e32 vcc, s29, v6
	s_and_saveexec_b64 s[26:27], vcc
	s_cbranch_execz .LBB206_904
; %bb.903:                              ;   in Loop: Header=BB206_809 Depth=1
	v_and_b32_e32 v21, 7, v12
	v_lshrrev_b32_e32 v22, 3, v6
	v_cmp_gt_u32_e32 vcc, 8, v6
	v_ffbh_u32_e32 v6, v21
	v_min_u32_e32 v26, 32, v6
	v_subrev_u32_e32 v6, 28, v26
	v_lshlrev_b64 v[6:7], v6, v[12:13]
	v_sub_u32_e32 v7, 29, v26
	v_and_b32_e32 v6, 7, v6
	v_cndmask_b32_e32 v7, v22, v7, vcc
	v_cndmask_b32_e32 v6, v21, v6, vcc
	v_lshlrev_b32_e32 v6, 20, v6
	v_and_b32_sdwa v12, sext(v12), s40 dst_sel:DWORD dst_unused:UNUSED_PAD src0_sel:BYTE_0 src1_sel:DWORD
	v_lshl_add_u32 v7, v7, 23, v27
	v_or3_b32 v21, v12, v7, v6
	v_mov_b32_e32 v22, v8
.LBB206_904:                            ;   in Loop: Header=BB206_809 Depth=1
	s_or_b64 exec, exec, s[26:27]
.LBB206_905:                            ;   in Loop: Header=BB206_809 Depth=1
	s_or_b64 exec, exec, s[24:25]
.LBB206_906:                            ;   in Loop: Header=BB206_809 Depth=1
	s_or_b64 exec, exec, s[22:23]
	v_cmp_lt_u32_e32 vcc, s41, v16
	s_and_saveexec_b64 s[22:23], vcc
	s_cbranch_execz .LBB206_912
; %bb.907:                              ;   in Loop: Header=BB206_809 Depth=1
	v_mov_b32_e32 v24, v9
	v_cmp_ne_u32_sdwa s[26:27], v16, s28 src0_sel:BYTE_3 src1_sel:DWORD
	v_mov_b32_e32 v23, v8
	s_and_saveexec_b64 s[24:25], s[26:27]
	s_cbranch_execz .LBB206_911
; %bb.908:                              ;   in Loop: Header=BB206_809 Depth=1
	v_bfe_u32 v6, v16, 24, 7
	v_mov_b32_e32 v12, v8
	v_mov_b32_e32 v24, v13
	v_cmp_ne_u32_e32 vcc, s29, v6
	v_mov_b32_e32 v23, v12
	s_and_saveexec_b64 s[26:27], vcc
	s_cbranch_execz .LBB206_910
; %bb.909:                              ;   in Loop: Header=BB206_809 Depth=1
	v_mov_b32_e32 v7, 7
	v_and_b32_sdwa v23, v16, v7 dst_sel:DWORD dst_unused:UNUSED_PAD src0_sel:BYTE_3 src1_sel:DWORD
	v_lshrrev_b32_e32 v12, 3, v6
	v_cmp_gt_u32_e32 vcc, 8, v6
	v_ffbh_u32_e32 v6, v23
	v_min_u32_e32 v26, 32, v6
	v_mov_b32_e32 v24, v8
	v_subrev_u32_e32 v6, 28, v26
	v_lshlrev_b64 v[6:7], v6, v[23:24]
	v_sub_u32_e32 v7, 29, v26
	v_and_b32_e32 v6, 7, v6
	v_cndmask_b32_e32 v7, v12, v7, vcc
	v_mov_b32_e32 v12, 24
	v_cndmask_b32_e32 v6, v23, v6, vcc
	v_lshlrev_b32_sdwa v12, v12, v16 dst_sel:DWORD dst_unused:UNUSED_PAD src0_sel:DWORD src1_sel:BYTE_3
	v_lshl_add_u32 v7, v7, 23, v27
	v_and_or_b32 v7, v12, s40, v7
	v_lshlrev_b32_e32 v6, 20, v6
	v_or_b32_e32 v24, v7, v6
	v_mov_b32_e32 v23, v8
.LBB206_910:                            ;   in Loop: Header=BB206_809 Depth=1
	s_or_b64 exec, exec, s[26:27]
.LBB206_911:                            ;   in Loop: Header=BB206_809 Depth=1
	s_or_b64 exec, exec, s[24:25]
.LBB206_912:                            ;   in Loop: Header=BB206_809 Depth=1
	s_or_b64 exec, exec, s[22:23]
	v_or_b32_e32 v6, v20, v18
	v_or_b32_e32 v7, v19, v17
	v_mul_f32_e32 v6, v30, v6
	buffer_store_dword v6, off, s[0:3], s32 offset:196 ; 4-byte Folded Spill
	v_mul_f32_e32 v6, v30, v7
	buffer_store_dword v6, off, s[0:3], s32 offset:180 ; 4-byte Folded Spill
	v_or_b32_e32 v6, v24, v22
	v_or_b32_e32 v7, v23, v21
	v_mul_f32_e32 v7, v30, v7
	v_mul_f32_e32 v6, v30, v6
	buffer_store_dword v7, off, s[0:3], s32 offset:188 ; 4-byte Folded Spill
	buffer_store_dword v6, off, s[0:3], s32 offset:172 ; 4-byte Folded Spill
	s_and_saveexec_b64 s[22:23], s[4:5]
	s_cbranch_execz .LBB206_914
; %bb.913:                              ;   in Loop: Header=BB206_809 Depth=1
	buffer_load_dword v6, off, s[0:3], s32 offset:72 ; 4-byte Folded Reload
	buffer_load_dword v7, off, s[0:3], s32 offset:180 ; 4-byte Folded Reload
	s_waitcnt vmcnt(1)
	v_cmp_lt_i32_e32 vcc, v35, v6
	s_waitcnt vmcnt(0)
	v_cndmask_b32_e32 v7, 0, v7, vcc
	buffer_store_dword v7, off, s[0:3], s32 offset:180 ; 4-byte Folded Spill
	buffer_load_dword v7, off, s[0:3], s32 offset:196 ; 4-byte Folded Reload
	v_cmp_lt_i32_e32 vcc, v38, v6
	s_waitcnt vmcnt(0)
	v_cndmask_b32_e32 v7, 0, v7, vcc
	buffer_store_dword v7, off, s[0:3], s32 offset:196 ; 4-byte Folded Spill
	buffer_load_dword v7, off, s[0:3], s32 offset:188 ; 4-byte Folded Reload
	v_cmp_lt_i32_e32 vcc, v37, v6
	s_waitcnt vmcnt(0)
	v_cndmask_b32_e32 v7, 0, v7, vcc
	v_cmp_lt_i32_e32 vcc, v36, v6
	buffer_load_dword v6, off, s[0:3], s32 offset:172 ; 4-byte Folded Reload
	s_waitcnt vmcnt(0)
	v_cndmask_b32_e32 v6, 0, v6, vcc
	buffer_store_dword v7, off, s[0:3], s32 offset:188 ; 4-byte Folded Spill
	buffer_store_dword v6, off, s[0:3], s32 offset:172 ; 4-byte Folded Spill
.LBB206_914:                            ;   in Loop: Header=BB206_809 Depth=1
	s_or_b64 exec, exec, s[22:23]
	flat_load_dword v16, v[14:15] offset:1024
	v_mov_b32_e32 v19, 0
	v_mov_b32_e32 v17, 0
	;; [unrolled: 1-line block ×4, first 2 shown]
	s_waitcnt vmcnt(0) lgkmcnt(0)
	v_cmp_ne_u16_sdwa s[24:25], v16, v8 src0_sel:BYTE_0 src1_sel:DWORD
	s_and_saveexec_b64 s[22:23], s[24:25]
	s_cbranch_execz .LBB206_920
; %bb.915:                              ;   in Loop: Header=BB206_809 Depth=1
	v_bfrev_b32_e32 v17, 1
	v_mov_b32_e32 v18, 0
	v_cmp_ne_u16_sdwa s[26:27], v16, s28 src0_sel:BYTE_0 src1_sel:DWORD
	s_and_saveexec_b64 s[24:25], s[26:27]
	s_cbranch_execz .LBB206_919
; %bb.916:                              ;   in Loop: Header=BB206_809 Depth=1
	v_and_b32_e32 v6, 0x7f, v16
	v_mov_b32_e32 v17, 0x7f800001
	v_mov_b32_e32 v18, 0
	v_cmp_ne_u32_e32 vcc, s29, v6
	s_and_saveexec_b64 s[26:27], vcc
	s_cbranch_execz .LBB206_918
; %bb.917:                              ;   in Loop: Header=BB206_809 Depth=1
	v_and_b32_e32 v12, 7, v16
	v_lshrrev_b32_e32 v17, 3, v6
	v_cmp_gt_u32_e32 vcc, 8, v6
	v_ffbh_u32_e32 v6, v12
	v_min_u32_e32 v18, 32, v6
	v_subrev_u32_e32 v6, 28, v18
	v_lshlrev_b64 v[6:7], v6, v[16:17]
	v_sub_u32_e32 v7, 29, v18
	v_and_b32_e32 v6, 7, v6
	v_cndmask_b32_e32 v7, v17, v7, vcc
	v_cndmask_b32_e32 v6, v12, v6, vcc
	v_lshlrev_b32_e32 v6, 20, v6
	v_and_b32_sdwa v12, sext(v16), s40 dst_sel:DWORD dst_unused:UNUSED_PAD src0_sel:BYTE_0 src1_sel:DWORD
	v_lshl_add_u32 v7, v7, 23, v27
	v_or3_b32 v17, v12, v7, v6
	v_mov_b32_e32 v18, v8
.LBB206_918:                            ;   in Loop: Header=BB206_809 Depth=1
	s_or_b64 exec, exec, s[26:27]
.LBB206_919:                            ;   in Loop: Header=BB206_809 Depth=1
	s_or_b64 exec, exec, s[24:25]
.LBB206_920:                            ;   in Loop: Header=BB206_809 Depth=1
	s_or_b64 exec, exec, s[22:23]
	v_cmp_ne_u16_sdwa s[24:25], v16, v8 src0_sel:BYTE_1 src1_sel:DWORD
	s_and_saveexec_b64 s[22:23], s[24:25]
	s_cbranch_execz .LBB206_926
; %bb.921:                              ;   in Loop: Header=BB206_809 Depth=1
	v_mov_b32_e32 v20, v9
	v_cmp_ne_u16_sdwa s[26:27], v16, s28 src0_sel:BYTE_1 src1_sel:DWORD
	v_mov_b32_e32 v19, v8
	s_and_saveexec_b64 s[24:25], s[26:27]
	s_cbranch_execz .LBB206_925
; %bb.922:                              ;   in Loop: Header=BB206_809 Depth=1
	v_and_b32_sdwa v6, v16, s29 dst_sel:DWORD dst_unused:UNUSED_PAD src0_sel:BYTE_1 src1_sel:DWORD
	v_mov_b32_e32 v12, v8
	v_mov_b32_e32 v20, v13
	v_cmp_ne_u32_e32 vcc, s29, v6
	v_mov_b32_e32 v19, v12
	s_and_saveexec_b64 s[26:27], vcc
	s_cbranch_execz .LBB206_924
; %bb.923:                              ;   in Loop: Header=BB206_809 Depth=1
	v_mov_b32_e32 v7, 7
	v_and_b32_sdwa v19, v16, v7 dst_sel:DWORD dst_unused:UNUSED_PAD src0_sel:BYTE_1 src1_sel:DWORD
	v_lshrrev_b32_e32 v12, 3, v6
	v_cmp_gt_u32_e32 vcc, 8, v6
	v_ffbh_u32_e32 v6, v19
	v_min_u32_e32 v21, 32, v6
	v_mov_b32_e32 v20, v8
	v_subrev_u32_e32 v6, 28, v21
	v_lshlrev_b64 v[6:7], v6, v[19:20]
	v_sub_u32_e32 v7, 29, v21
	v_and_b32_e32 v6, 7, v6
	v_cndmask_b32_e32 v7, v12, v7, vcc
	v_cndmask_b32_e32 v6, v19, v6, vcc
	v_lshlrev_b32_e32 v12, 16, v16
	v_lshl_add_u32 v7, v7, 23, v27
	v_and_or_b32 v7, v12, s40, v7
	v_lshlrev_b32_e32 v6, 20, v6
	v_or_b32_e32 v20, v7, v6
	v_mov_b32_e32 v19, v8
.LBB206_924:                            ;   in Loop: Header=BB206_809 Depth=1
	s_or_b64 exec, exec, s[26:27]
.LBB206_925:                            ;   in Loop: Header=BB206_809 Depth=1
	s_or_b64 exec, exec, s[24:25]
.LBB206_926:                            ;   in Loop: Header=BB206_809 Depth=1
	s_or_b64 exec, exec, s[22:23]
	v_lshrrev_b32_e32 v12, 16, v16
	v_mov_b32_e32 v23, 0
	v_mov_b32_e32 v21, 0
	;; [unrolled: 1-line block ×4, first 2 shown]
	v_cmp_ne_u16_sdwa s[24:25], v12, v8 src0_sel:BYTE_0 src1_sel:DWORD
	s_and_saveexec_b64 s[22:23], s[24:25]
	s_cbranch_execz .LBB206_932
; %bb.927:                              ;   in Loop: Header=BB206_809 Depth=1
	v_bfrev_b32_e32 v21, 1
	v_mov_b32_e32 v22, 0
	v_cmp_ne_u16_sdwa s[26:27], v12, s28 src0_sel:BYTE_0 src1_sel:DWORD
	s_and_saveexec_b64 s[24:25], s[26:27]
	s_cbranch_execz .LBB206_931
; %bb.928:                              ;   in Loop: Header=BB206_809 Depth=1
	v_bfe_u32 v6, v16, 16, 7
	v_mov_b32_e32 v21, 0x7f800001
	v_mov_b32_e32 v22, 0
	v_cmp_ne_u32_e32 vcc, s29, v6
	s_and_saveexec_b64 s[26:27], vcc
	s_cbranch_execz .LBB206_930
; %bb.929:                              ;   in Loop: Header=BB206_809 Depth=1
	v_and_b32_e32 v21, 7, v12
	v_lshrrev_b32_e32 v22, 3, v6
	v_cmp_gt_u32_e32 vcc, 8, v6
	v_ffbh_u32_e32 v6, v21
	v_min_u32_e32 v26, 32, v6
	v_subrev_u32_e32 v6, 28, v26
	v_lshlrev_b64 v[6:7], v6, v[12:13]
	v_sub_u32_e32 v7, 29, v26
	v_and_b32_e32 v6, 7, v6
	v_cndmask_b32_e32 v7, v22, v7, vcc
	v_cndmask_b32_e32 v6, v21, v6, vcc
	v_lshlrev_b32_e32 v6, 20, v6
	v_and_b32_sdwa v12, sext(v12), s40 dst_sel:DWORD dst_unused:UNUSED_PAD src0_sel:BYTE_0 src1_sel:DWORD
	v_lshl_add_u32 v7, v7, 23, v27
	v_or3_b32 v21, v12, v7, v6
	v_mov_b32_e32 v22, v8
.LBB206_930:                            ;   in Loop: Header=BB206_809 Depth=1
	s_or_b64 exec, exec, s[26:27]
.LBB206_931:                            ;   in Loop: Header=BB206_809 Depth=1
	s_or_b64 exec, exec, s[24:25]
.LBB206_932:                            ;   in Loop: Header=BB206_809 Depth=1
	s_or_b64 exec, exec, s[22:23]
	v_cmp_lt_u32_e32 vcc, s41, v16
	s_and_saveexec_b64 s[22:23], vcc
	s_cbranch_execz .LBB206_938
; %bb.933:                              ;   in Loop: Header=BB206_809 Depth=1
	v_mov_b32_e32 v24, v9
	v_cmp_ne_u32_sdwa s[26:27], v16, s28 src0_sel:BYTE_3 src1_sel:DWORD
	v_mov_b32_e32 v23, v8
	s_and_saveexec_b64 s[24:25], s[26:27]
	s_cbranch_execz .LBB206_937
; %bb.934:                              ;   in Loop: Header=BB206_809 Depth=1
	v_bfe_u32 v6, v16, 24, 7
	v_mov_b32_e32 v12, v8
	v_mov_b32_e32 v24, v13
	v_cmp_ne_u32_e32 vcc, s29, v6
	v_mov_b32_e32 v23, v12
	s_and_saveexec_b64 s[26:27], vcc
	s_cbranch_execz .LBB206_936
; %bb.935:                              ;   in Loop: Header=BB206_809 Depth=1
	v_mov_b32_e32 v7, 7
	v_and_b32_sdwa v23, v16, v7 dst_sel:DWORD dst_unused:UNUSED_PAD src0_sel:BYTE_3 src1_sel:DWORD
	v_lshrrev_b32_e32 v12, 3, v6
	v_cmp_gt_u32_e32 vcc, 8, v6
	v_ffbh_u32_e32 v6, v23
	v_min_u32_e32 v26, 32, v6
	v_mov_b32_e32 v24, v8
	v_subrev_u32_e32 v6, 28, v26
	v_lshlrev_b64 v[6:7], v6, v[23:24]
	v_sub_u32_e32 v7, 29, v26
	v_and_b32_e32 v6, 7, v6
	v_cndmask_b32_e32 v7, v12, v7, vcc
	v_mov_b32_e32 v12, 24
	v_cndmask_b32_e32 v6, v23, v6, vcc
	v_lshlrev_b32_sdwa v12, v12, v16 dst_sel:DWORD dst_unused:UNUSED_PAD src0_sel:DWORD src1_sel:BYTE_3
	v_lshl_add_u32 v7, v7, 23, v27
	v_and_or_b32 v7, v12, s40, v7
	v_lshlrev_b32_e32 v6, 20, v6
	v_or_b32_e32 v24, v7, v6
	v_mov_b32_e32 v23, v8
.LBB206_936:                            ;   in Loop: Header=BB206_809 Depth=1
	s_or_b64 exec, exec, s[26:27]
.LBB206_937:                            ;   in Loop: Header=BB206_809 Depth=1
	s_or_b64 exec, exec, s[24:25]
.LBB206_938:                            ;   in Loop: Header=BB206_809 Depth=1
	s_or_b64 exec, exec, s[22:23]
	v_or_b32_e32 v6, v20, v18
	v_or_b32_e32 v7, v19, v17
	v_mul_f32_e32 v6, v30, v6
	buffer_store_dword v6, off, s[0:3], s32 offset:228 ; 4-byte Folded Spill
	v_mul_f32_e32 v6, v30, v7
	buffer_store_dword v6, off, s[0:3], s32 offset:212 ; 4-byte Folded Spill
	v_or_b32_e32 v6, v24, v22
	v_or_b32_e32 v7, v23, v21
	v_mul_f32_e32 v7, v30, v7
	v_mul_f32_e32 v6, v30, v6
	buffer_store_dword v7, off, s[0:3], s32 offset:220 ; 4-byte Folded Spill
	buffer_store_dword v6, off, s[0:3], s32 offset:204 ; 4-byte Folded Spill
	s_and_saveexec_b64 s[22:23], s[4:5]
	s_cbranch_execz .LBB206_940
; %bb.939:                              ;   in Loop: Header=BB206_809 Depth=1
	buffer_load_dword v6, off, s[0:3], s32 offset:72 ; 4-byte Folded Reload
	buffer_load_dword v7, off, s[0:3], s32 offset:212 ; 4-byte Folded Reload
	s_waitcnt vmcnt(1)
	v_cmp_lt_i32_e32 vcc, v35, v6
	s_waitcnt vmcnt(0)
	v_cndmask_b32_e32 v7, 0, v7, vcc
	buffer_store_dword v7, off, s[0:3], s32 offset:212 ; 4-byte Folded Spill
	buffer_load_dword v7, off, s[0:3], s32 offset:228 ; 4-byte Folded Reload
	v_cmp_lt_i32_e32 vcc, v38, v6
	s_waitcnt vmcnt(0)
	v_cndmask_b32_e32 v7, 0, v7, vcc
	buffer_store_dword v7, off, s[0:3], s32 offset:228 ; 4-byte Folded Spill
	buffer_load_dword v7, off, s[0:3], s32 offset:220 ; 4-byte Folded Reload
	v_cmp_lt_i32_e32 vcc, v37, v6
	s_waitcnt vmcnt(0)
	v_cndmask_b32_e32 v7, 0, v7, vcc
	v_cmp_lt_i32_e32 vcc, v36, v6
	buffer_load_dword v6, off, s[0:3], s32 offset:204 ; 4-byte Folded Reload
	s_waitcnt vmcnt(0)
	v_cndmask_b32_e32 v6, 0, v6, vcc
	buffer_store_dword v7, off, s[0:3], s32 offset:220 ; 4-byte Folded Spill
	buffer_store_dword v6, off, s[0:3], s32 offset:204 ; 4-byte Folded Spill
.LBB206_940:                            ;   in Loop: Header=BB206_809 Depth=1
	s_or_b64 exec, exec, s[22:23]
	flat_load_dword v16, v[14:15] offset:1280
	v_mov_b32_e32 v19, 0
	v_mov_b32_e32 v17, 0
	;; [unrolled: 1-line block ×4, first 2 shown]
	s_waitcnt vmcnt(0) lgkmcnt(0)
	v_cmp_ne_u16_sdwa s[24:25], v16, v8 src0_sel:BYTE_0 src1_sel:DWORD
	s_and_saveexec_b64 s[22:23], s[24:25]
	s_cbranch_execz .LBB206_946
; %bb.941:                              ;   in Loop: Header=BB206_809 Depth=1
	v_bfrev_b32_e32 v17, 1
	v_mov_b32_e32 v18, 0
	v_cmp_ne_u16_sdwa s[26:27], v16, s28 src0_sel:BYTE_0 src1_sel:DWORD
	s_and_saveexec_b64 s[24:25], s[26:27]
	s_cbranch_execz .LBB206_945
; %bb.942:                              ;   in Loop: Header=BB206_809 Depth=1
	v_and_b32_e32 v6, 0x7f, v16
	v_mov_b32_e32 v17, 0x7f800001
	v_mov_b32_e32 v18, 0
	v_cmp_ne_u32_e32 vcc, s29, v6
	s_and_saveexec_b64 s[26:27], vcc
	s_cbranch_execz .LBB206_944
; %bb.943:                              ;   in Loop: Header=BB206_809 Depth=1
	v_and_b32_e32 v12, 7, v16
	v_lshrrev_b32_e32 v17, 3, v6
	v_cmp_gt_u32_e32 vcc, 8, v6
	v_ffbh_u32_e32 v6, v12
	v_min_u32_e32 v18, 32, v6
	v_subrev_u32_e32 v6, 28, v18
	v_lshlrev_b64 v[6:7], v6, v[16:17]
	v_sub_u32_e32 v7, 29, v18
	v_and_b32_e32 v6, 7, v6
	v_cndmask_b32_e32 v7, v17, v7, vcc
	v_cndmask_b32_e32 v6, v12, v6, vcc
	v_lshlrev_b32_e32 v6, 20, v6
	v_and_b32_sdwa v12, sext(v16), s40 dst_sel:DWORD dst_unused:UNUSED_PAD src0_sel:BYTE_0 src1_sel:DWORD
	v_lshl_add_u32 v7, v7, 23, v27
	v_or3_b32 v17, v12, v7, v6
	v_mov_b32_e32 v18, v8
.LBB206_944:                            ;   in Loop: Header=BB206_809 Depth=1
	s_or_b64 exec, exec, s[26:27]
.LBB206_945:                            ;   in Loop: Header=BB206_809 Depth=1
	s_or_b64 exec, exec, s[24:25]
.LBB206_946:                            ;   in Loop: Header=BB206_809 Depth=1
	s_or_b64 exec, exec, s[22:23]
	v_cmp_ne_u16_sdwa s[24:25], v16, v8 src0_sel:BYTE_1 src1_sel:DWORD
	s_and_saveexec_b64 s[22:23], s[24:25]
	s_cbranch_execz .LBB206_952
; %bb.947:                              ;   in Loop: Header=BB206_809 Depth=1
	v_mov_b32_e32 v20, v9
	v_cmp_ne_u16_sdwa s[26:27], v16, s28 src0_sel:BYTE_1 src1_sel:DWORD
	v_mov_b32_e32 v19, v8
	s_and_saveexec_b64 s[24:25], s[26:27]
	s_cbranch_execz .LBB206_951
; %bb.948:                              ;   in Loop: Header=BB206_809 Depth=1
	v_and_b32_sdwa v6, v16, s29 dst_sel:DWORD dst_unused:UNUSED_PAD src0_sel:BYTE_1 src1_sel:DWORD
	v_mov_b32_e32 v12, v8
	v_mov_b32_e32 v20, v13
	v_cmp_ne_u32_e32 vcc, s29, v6
	v_mov_b32_e32 v19, v12
	s_and_saveexec_b64 s[26:27], vcc
	s_cbranch_execz .LBB206_950
; %bb.949:                              ;   in Loop: Header=BB206_809 Depth=1
	v_mov_b32_e32 v7, 7
	v_and_b32_sdwa v19, v16, v7 dst_sel:DWORD dst_unused:UNUSED_PAD src0_sel:BYTE_1 src1_sel:DWORD
	v_lshrrev_b32_e32 v12, 3, v6
	v_cmp_gt_u32_e32 vcc, 8, v6
	v_ffbh_u32_e32 v6, v19
	v_min_u32_e32 v21, 32, v6
	v_mov_b32_e32 v20, v8
	v_subrev_u32_e32 v6, 28, v21
	v_lshlrev_b64 v[6:7], v6, v[19:20]
	v_sub_u32_e32 v7, 29, v21
	v_and_b32_e32 v6, 7, v6
	v_cndmask_b32_e32 v7, v12, v7, vcc
	v_cndmask_b32_e32 v6, v19, v6, vcc
	v_lshlrev_b32_e32 v12, 16, v16
	v_lshl_add_u32 v7, v7, 23, v27
	v_and_or_b32 v7, v12, s40, v7
	v_lshlrev_b32_e32 v6, 20, v6
	v_or_b32_e32 v20, v7, v6
	v_mov_b32_e32 v19, v8
.LBB206_950:                            ;   in Loop: Header=BB206_809 Depth=1
	s_or_b64 exec, exec, s[26:27]
.LBB206_951:                            ;   in Loop: Header=BB206_809 Depth=1
	s_or_b64 exec, exec, s[24:25]
.LBB206_952:                            ;   in Loop: Header=BB206_809 Depth=1
	s_or_b64 exec, exec, s[22:23]
	v_lshrrev_b32_e32 v12, 16, v16
	v_mov_b32_e32 v23, 0
	v_mov_b32_e32 v21, 0
	;; [unrolled: 1-line block ×4, first 2 shown]
	v_cmp_ne_u16_sdwa s[24:25], v12, v8 src0_sel:BYTE_0 src1_sel:DWORD
	s_and_saveexec_b64 s[22:23], s[24:25]
	s_cbranch_execz .LBB206_958
; %bb.953:                              ;   in Loop: Header=BB206_809 Depth=1
	v_bfrev_b32_e32 v21, 1
	v_mov_b32_e32 v22, 0
	v_cmp_ne_u16_sdwa s[26:27], v12, s28 src0_sel:BYTE_0 src1_sel:DWORD
	s_and_saveexec_b64 s[24:25], s[26:27]
	s_cbranch_execz .LBB206_957
; %bb.954:                              ;   in Loop: Header=BB206_809 Depth=1
	v_bfe_u32 v6, v16, 16, 7
	v_mov_b32_e32 v21, 0x7f800001
	v_mov_b32_e32 v22, 0
	v_cmp_ne_u32_e32 vcc, s29, v6
	s_and_saveexec_b64 s[26:27], vcc
	s_cbranch_execz .LBB206_956
; %bb.955:                              ;   in Loop: Header=BB206_809 Depth=1
	v_and_b32_e32 v21, 7, v12
	v_lshrrev_b32_e32 v22, 3, v6
	v_cmp_gt_u32_e32 vcc, 8, v6
	v_ffbh_u32_e32 v6, v21
	v_min_u32_e32 v26, 32, v6
	v_subrev_u32_e32 v6, 28, v26
	v_lshlrev_b64 v[6:7], v6, v[12:13]
	v_sub_u32_e32 v7, 29, v26
	v_and_b32_e32 v6, 7, v6
	v_cndmask_b32_e32 v7, v22, v7, vcc
	v_cndmask_b32_e32 v6, v21, v6, vcc
	v_lshlrev_b32_e32 v6, 20, v6
	v_and_b32_sdwa v12, sext(v12), s40 dst_sel:DWORD dst_unused:UNUSED_PAD src0_sel:BYTE_0 src1_sel:DWORD
	v_lshl_add_u32 v7, v7, 23, v27
	v_or3_b32 v21, v12, v7, v6
	v_mov_b32_e32 v22, v8
.LBB206_956:                            ;   in Loop: Header=BB206_809 Depth=1
	s_or_b64 exec, exec, s[26:27]
.LBB206_957:                            ;   in Loop: Header=BB206_809 Depth=1
	s_or_b64 exec, exec, s[24:25]
.LBB206_958:                            ;   in Loop: Header=BB206_809 Depth=1
	s_or_b64 exec, exec, s[22:23]
	v_cmp_lt_u32_e32 vcc, s41, v16
	s_and_saveexec_b64 s[22:23], vcc
	s_cbranch_execz .LBB206_964
; %bb.959:                              ;   in Loop: Header=BB206_809 Depth=1
	v_mov_b32_e32 v24, v9
	v_cmp_ne_u32_sdwa s[26:27], v16, s28 src0_sel:BYTE_3 src1_sel:DWORD
	v_mov_b32_e32 v23, v8
	s_and_saveexec_b64 s[24:25], s[26:27]
	s_cbranch_execz .LBB206_963
; %bb.960:                              ;   in Loop: Header=BB206_809 Depth=1
	v_bfe_u32 v6, v16, 24, 7
	v_mov_b32_e32 v12, v8
	v_mov_b32_e32 v24, v13
	v_cmp_ne_u32_e32 vcc, s29, v6
	v_mov_b32_e32 v23, v12
	s_and_saveexec_b64 s[26:27], vcc
	s_cbranch_execz .LBB206_962
; %bb.961:                              ;   in Loop: Header=BB206_809 Depth=1
	v_mov_b32_e32 v7, 7
	v_and_b32_sdwa v23, v16, v7 dst_sel:DWORD dst_unused:UNUSED_PAD src0_sel:BYTE_3 src1_sel:DWORD
	v_lshrrev_b32_e32 v12, 3, v6
	v_cmp_gt_u32_e32 vcc, 8, v6
	v_ffbh_u32_e32 v6, v23
	v_min_u32_e32 v26, 32, v6
	v_mov_b32_e32 v24, v8
	v_subrev_u32_e32 v6, 28, v26
	v_lshlrev_b64 v[6:7], v6, v[23:24]
	v_sub_u32_e32 v7, 29, v26
	v_and_b32_e32 v6, 7, v6
	v_cndmask_b32_e32 v7, v12, v7, vcc
	v_mov_b32_e32 v12, 24
	v_cndmask_b32_e32 v6, v23, v6, vcc
	v_lshlrev_b32_sdwa v12, v12, v16 dst_sel:DWORD dst_unused:UNUSED_PAD src0_sel:DWORD src1_sel:BYTE_3
	v_lshl_add_u32 v7, v7, 23, v27
	v_and_or_b32 v7, v12, s40, v7
	v_lshlrev_b32_e32 v6, 20, v6
	v_or_b32_e32 v24, v7, v6
	v_mov_b32_e32 v23, v8
.LBB206_962:                            ;   in Loop: Header=BB206_809 Depth=1
	s_or_b64 exec, exec, s[26:27]
.LBB206_963:                            ;   in Loop: Header=BB206_809 Depth=1
	s_or_b64 exec, exec, s[24:25]
.LBB206_964:                            ;   in Loop: Header=BB206_809 Depth=1
	s_or_b64 exec, exec, s[22:23]
	v_or_b32_e32 v6, v20, v18
	v_or_b32_e32 v7, v19, v17
	v_mul_f32_e32 v6, v30, v6
	buffer_store_dword v6, off, s[0:3], s32 offset:260 ; 4-byte Folded Spill
	v_mul_f32_e32 v6, v30, v7
	buffer_store_dword v6, off, s[0:3], s32 offset:244 ; 4-byte Folded Spill
	v_or_b32_e32 v6, v24, v22
	v_or_b32_e32 v7, v23, v21
	v_mul_f32_e32 v7, v30, v7
	v_mul_f32_e32 v6, v30, v6
	buffer_store_dword v7, off, s[0:3], s32 offset:252 ; 4-byte Folded Spill
	buffer_store_dword v6, off, s[0:3], s32 offset:236 ; 4-byte Folded Spill
	s_and_saveexec_b64 s[22:23], s[4:5]
	s_cbranch_execz .LBB206_966
; %bb.965:                              ;   in Loop: Header=BB206_809 Depth=1
	buffer_load_dword v6, off, s[0:3], s32 offset:72 ; 4-byte Folded Reload
	buffer_load_dword v7, off, s[0:3], s32 offset:244 ; 4-byte Folded Reload
	s_waitcnt vmcnt(1)
	v_cmp_lt_i32_e32 vcc, v35, v6
	s_waitcnt vmcnt(0)
	v_cndmask_b32_e32 v7, 0, v7, vcc
	buffer_store_dword v7, off, s[0:3], s32 offset:244 ; 4-byte Folded Spill
	buffer_load_dword v7, off, s[0:3], s32 offset:260 ; 4-byte Folded Reload
	v_cmp_lt_i32_e32 vcc, v38, v6
	s_waitcnt vmcnt(0)
	v_cndmask_b32_e32 v7, 0, v7, vcc
	buffer_store_dword v7, off, s[0:3], s32 offset:260 ; 4-byte Folded Spill
	buffer_load_dword v7, off, s[0:3], s32 offset:252 ; 4-byte Folded Reload
	v_cmp_lt_i32_e32 vcc, v37, v6
	s_waitcnt vmcnt(0)
	v_cndmask_b32_e32 v7, 0, v7, vcc
	v_cmp_lt_i32_e32 vcc, v36, v6
	buffer_load_dword v6, off, s[0:3], s32 offset:236 ; 4-byte Folded Reload
	s_waitcnt vmcnt(0)
	v_cndmask_b32_e32 v6, 0, v6, vcc
	buffer_store_dword v7, off, s[0:3], s32 offset:252 ; 4-byte Folded Spill
	buffer_store_dword v6, off, s[0:3], s32 offset:236 ; 4-byte Folded Spill
.LBB206_966:                            ;   in Loop: Header=BB206_809 Depth=1
	s_or_b64 exec, exec, s[22:23]
	flat_load_dword v16, v[14:15] offset:1536
	v_mov_b32_e32 v19, 0
	v_mov_b32_e32 v17, 0
	;; [unrolled: 1-line block ×4, first 2 shown]
	s_waitcnt vmcnt(0) lgkmcnt(0)
	v_cmp_ne_u16_sdwa s[24:25], v16, v8 src0_sel:BYTE_0 src1_sel:DWORD
	s_and_saveexec_b64 s[22:23], s[24:25]
	s_cbranch_execz .LBB206_972
; %bb.967:                              ;   in Loop: Header=BB206_809 Depth=1
	v_bfrev_b32_e32 v17, 1
	v_mov_b32_e32 v18, 0
	v_cmp_ne_u16_sdwa s[26:27], v16, s28 src0_sel:BYTE_0 src1_sel:DWORD
	s_and_saveexec_b64 s[24:25], s[26:27]
	s_cbranch_execz .LBB206_971
; %bb.968:                              ;   in Loop: Header=BB206_809 Depth=1
	v_and_b32_e32 v6, 0x7f, v16
	v_mov_b32_e32 v17, 0x7f800001
	v_mov_b32_e32 v18, 0
	v_cmp_ne_u32_e32 vcc, s29, v6
	s_and_saveexec_b64 s[26:27], vcc
	s_cbranch_execz .LBB206_970
; %bb.969:                              ;   in Loop: Header=BB206_809 Depth=1
	v_and_b32_e32 v12, 7, v16
	v_lshrrev_b32_e32 v17, 3, v6
	v_cmp_gt_u32_e32 vcc, 8, v6
	v_ffbh_u32_e32 v6, v12
	v_min_u32_e32 v18, 32, v6
	v_subrev_u32_e32 v6, 28, v18
	v_lshlrev_b64 v[6:7], v6, v[16:17]
	v_sub_u32_e32 v7, 29, v18
	v_and_b32_e32 v6, 7, v6
	v_cndmask_b32_e32 v7, v17, v7, vcc
	v_cndmask_b32_e32 v6, v12, v6, vcc
	v_lshlrev_b32_e32 v6, 20, v6
	v_and_b32_sdwa v12, sext(v16), s40 dst_sel:DWORD dst_unused:UNUSED_PAD src0_sel:BYTE_0 src1_sel:DWORD
	v_lshl_add_u32 v7, v7, 23, v27
	v_or3_b32 v17, v12, v7, v6
	v_mov_b32_e32 v18, v8
.LBB206_970:                            ;   in Loop: Header=BB206_809 Depth=1
	s_or_b64 exec, exec, s[26:27]
.LBB206_971:                            ;   in Loop: Header=BB206_809 Depth=1
	s_or_b64 exec, exec, s[24:25]
.LBB206_972:                            ;   in Loop: Header=BB206_809 Depth=1
	s_or_b64 exec, exec, s[22:23]
	v_cmp_ne_u16_sdwa s[24:25], v16, v8 src0_sel:BYTE_1 src1_sel:DWORD
	s_and_saveexec_b64 s[22:23], s[24:25]
	s_cbranch_execz .LBB206_978
; %bb.973:                              ;   in Loop: Header=BB206_809 Depth=1
	v_mov_b32_e32 v20, v9
	v_cmp_ne_u16_sdwa s[26:27], v16, s28 src0_sel:BYTE_1 src1_sel:DWORD
	v_mov_b32_e32 v19, v8
	s_and_saveexec_b64 s[24:25], s[26:27]
	s_cbranch_execz .LBB206_977
; %bb.974:                              ;   in Loop: Header=BB206_809 Depth=1
	v_and_b32_sdwa v6, v16, s29 dst_sel:DWORD dst_unused:UNUSED_PAD src0_sel:BYTE_1 src1_sel:DWORD
	v_mov_b32_e32 v12, v8
	v_mov_b32_e32 v20, v13
	v_cmp_ne_u32_e32 vcc, s29, v6
	v_mov_b32_e32 v19, v12
	s_and_saveexec_b64 s[26:27], vcc
	s_cbranch_execz .LBB206_976
; %bb.975:                              ;   in Loop: Header=BB206_809 Depth=1
	v_mov_b32_e32 v7, 7
	v_and_b32_sdwa v19, v16, v7 dst_sel:DWORD dst_unused:UNUSED_PAD src0_sel:BYTE_1 src1_sel:DWORD
	v_lshrrev_b32_e32 v12, 3, v6
	v_cmp_gt_u32_e32 vcc, 8, v6
	v_ffbh_u32_e32 v6, v19
	v_min_u32_e32 v21, 32, v6
	v_mov_b32_e32 v20, v8
	v_subrev_u32_e32 v6, 28, v21
	v_lshlrev_b64 v[6:7], v6, v[19:20]
	v_sub_u32_e32 v7, 29, v21
	v_and_b32_e32 v6, 7, v6
	v_cndmask_b32_e32 v7, v12, v7, vcc
	v_cndmask_b32_e32 v6, v19, v6, vcc
	v_lshlrev_b32_e32 v12, 16, v16
	v_lshl_add_u32 v7, v7, 23, v27
	v_and_or_b32 v7, v12, s40, v7
	v_lshlrev_b32_e32 v6, 20, v6
	v_or_b32_e32 v20, v7, v6
	v_mov_b32_e32 v19, v8
.LBB206_976:                            ;   in Loop: Header=BB206_809 Depth=1
	s_or_b64 exec, exec, s[26:27]
.LBB206_977:                            ;   in Loop: Header=BB206_809 Depth=1
	s_or_b64 exec, exec, s[24:25]
.LBB206_978:                            ;   in Loop: Header=BB206_809 Depth=1
	s_or_b64 exec, exec, s[22:23]
	v_lshrrev_b32_e32 v12, 16, v16
	v_mov_b32_e32 v23, 0
	v_mov_b32_e32 v21, 0
	;; [unrolled: 1-line block ×4, first 2 shown]
	v_cmp_ne_u16_sdwa s[24:25], v12, v8 src0_sel:BYTE_0 src1_sel:DWORD
	s_and_saveexec_b64 s[22:23], s[24:25]
	s_cbranch_execz .LBB206_984
; %bb.979:                              ;   in Loop: Header=BB206_809 Depth=1
	v_bfrev_b32_e32 v21, 1
	v_mov_b32_e32 v22, 0
	v_cmp_ne_u16_sdwa s[26:27], v12, s28 src0_sel:BYTE_0 src1_sel:DWORD
	s_and_saveexec_b64 s[24:25], s[26:27]
	s_cbranch_execz .LBB206_983
; %bb.980:                              ;   in Loop: Header=BB206_809 Depth=1
	v_bfe_u32 v6, v16, 16, 7
	v_mov_b32_e32 v21, 0x7f800001
	v_mov_b32_e32 v22, 0
	v_cmp_ne_u32_e32 vcc, s29, v6
	s_and_saveexec_b64 s[26:27], vcc
	s_cbranch_execz .LBB206_982
; %bb.981:                              ;   in Loop: Header=BB206_809 Depth=1
	v_and_b32_e32 v21, 7, v12
	v_lshrrev_b32_e32 v22, 3, v6
	v_cmp_gt_u32_e32 vcc, 8, v6
	v_ffbh_u32_e32 v6, v21
	v_min_u32_e32 v26, 32, v6
	v_subrev_u32_e32 v6, 28, v26
	v_lshlrev_b64 v[6:7], v6, v[12:13]
	v_sub_u32_e32 v7, 29, v26
	v_and_b32_e32 v6, 7, v6
	v_cndmask_b32_e32 v7, v22, v7, vcc
	v_cndmask_b32_e32 v6, v21, v6, vcc
	v_lshlrev_b32_e32 v6, 20, v6
	v_and_b32_sdwa v12, sext(v12), s40 dst_sel:DWORD dst_unused:UNUSED_PAD src0_sel:BYTE_0 src1_sel:DWORD
	v_lshl_add_u32 v7, v7, 23, v27
	v_or3_b32 v21, v12, v7, v6
	v_mov_b32_e32 v22, v8
.LBB206_982:                            ;   in Loop: Header=BB206_809 Depth=1
	s_or_b64 exec, exec, s[26:27]
.LBB206_983:                            ;   in Loop: Header=BB206_809 Depth=1
	s_or_b64 exec, exec, s[24:25]
.LBB206_984:                            ;   in Loop: Header=BB206_809 Depth=1
	s_or_b64 exec, exec, s[22:23]
	v_cmp_lt_u32_e32 vcc, s41, v16
	s_and_saveexec_b64 s[22:23], vcc
	s_cbranch_execz .LBB206_990
; %bb.985:                              ;   in Loop: Header=BB206_809 Depth=1
	v_mov_b32_e32 v24, v9
	v_cmp_ne_u32_sdwa s[26:27], v16, s28 src0_sel:BYTE_3 src1_sel:DWORD
	v_mov_b32_e32 v23, v8
	s_and_saveexec_b64 s[24:25], s[26:27]
	s_cbranch_execz .LBB206_989
; %bb.986:                              ;   in Loop: Header=BB206_809 Depth=1
	v_bfe_u32 v6, v16, 24, 7
	v_mov_b32_e32 v12, v8
	v_mov_b32_e32 v24, v13
	v_cmp_ne_u32_e32 vcc, s29, v6
	v_mov_b32_e32 v23, v12
	s_and_saveexec_b64 s[26:27], vcc
	s_cbranch_execz .LBB206_988
; %bb.987:                              ;   in Loop: Header=BB206_809 Depth=1
	v_mov_b32_e32 v7, 7
	v_and_b32_sdwa v23, v16, v7 dst_sel:DWORD dst_unused:UNUSED_PAD src0_sel:BYTE_3 src1_sel:DWORD
	v_lshrrev_b32_e32 v12, 3, v6
	v_cmp_gt_u32_e32 vcc, 8, v6
	v_ffbh_u32_e32 v6, v23
	v_min_u32_e32 v26, 32, v6
	v_mov_b32_e32 v24, v8
	v_subrev_u32_e32 v6, 28, v26
	v_lshlrev_b64 v[6:7], v6, v[23:24]
	v_sub_u32_e32 v7, 29, v26
	v_and_b32_e32 v6, 7, v6
	v_cndmask_b32_e32 v7, v12, v7, vcc
	v_mov_b32_e32 v12, 24
	v_cndmask_b32_e32 v6, v23, v6, vcc
	v_lshlrev_b32_sdwa v12, v12, v16 dst_sel:DWORD dst_unused:UNUSED_PAD src0_sel:DWORD src1_sel:BYTE_3
	v_lshl_add_u32 v7, v7, 23, v27
	v_and_or_b32 v7, v12, s40, v7
	v_lshlrev_b32_e32 v6, 20, v6
	v_or_b32_e32 v24, v7, v6
	v_mov_b32_e32 v23, v8
.LBB206_988:                            ;   in Loop: Header=BB206_809 Depth=1
	s_or_b64 exec, exec, s[26:27]
.LBB206_989:                            ;   in Loop: Header=BB206_809 Depth=1
	s_or_b64 exec, exec, s[24:25]
.LBB206_990:                            ;   in Loop: Header=BB206_809 Depth=1
	s_or_b64 exec, exec, s[22:23]
	v_or_b32_e32 v6, v20, v18
	v_or_b32_e32 v7, v19, v17
	v_mul_f32_e32 v6, v30, v6
	buffer_store_dword v6, off, s[0:3], s32 offset:292 ; 4-byte Folded Spill
	v_mul_f32_e32 v6, v30, v7
	buffer_store_dword v6, off, s[0:3], s32 offset:276 ; 4-byte Folded Spill
	v_or_b32_e32 v6, v24, v22
	v_or_b32_e32 v7, v23, v21
	v_mul_f32_e32 v7, v30, v7
	v_mul_f32_e32 v6, v30, v6
	buffer_store_dword v7, off, s[0:3], s32 offset:284 ; 4-byte Folded Spill
	buffer_store_dword v6, off, s[0:3], s32 offset:268 ; 4-byte Folded Spill
	s_and_saveexec_b64 s[22:23], s[4:5]
	s_cbranch_execz .LBB206_992
; %bb.991:                              ;   in Loop: Header=BB206_809 Depth=1
	buffer_load_dword v6, off, s[0:3], s32 offset:72 ; 4-byte Folded Reload
	buffer_load_dword v7, off, s[0:3], s32 offset:276 ; 4-byte Folded Reload
	s_waitcnt vmcnt(1)
	v_cmp_lt_i32_e32 vcc, v35, v6
	s_waitcnt vmcnt(0)
	v_cndmask_b32_e32 v7, 0, v7, vcc
	buffer_store_dword v7, off, s[0:3], s32 offset:276 ; 4-byte Folded Spill
	buffer_load_dword v7, off, s[0:3], s32 offset:292 ; 4-byte Folded Reload
	v_cmp_lt_i32_e32 vcc, v38, v6
	s_waitcnt vmcnt(0)
	v_cndmask_b32_e32 v7, 0, v7, vcc
	buffer_store_dword v7, off, s[0:3], s32 offset:292 ; 4-byte Folded Spill
	buffer_load_dword v7, off, s[0:3], s32 offset:284 ; 4-byte Folded Reload
	v_cmp_lt_i32_e32 vcc, v37, v6
	s_waitcnt vmcnt(0)
	v_cndmask_b32_e32 v7, 0, v7, vcc
	v_cmp_lt_i32_e32 vcc, v36, v6
	buffer_load_dword v6, off, s[0:3], s32 offset:268 ; 4-byte Folded Reload
	s_waitcnt vmcnt(0)
	v_cndmask_b32_e32 v6, 0, v6, vcc
	buffer_store_dword v7, off, s[0:3], s32 offset:284 ; 4-byte Folded Spill
	buffer_store_dword v6, off, s[0:3], s32 offset:268 ; 4-byte Folded Spill
.LBB206_992:                            ;   in Loop: Header=BB206_809 Depth=1
	s_or_b64 exec, exec, s[22:23]
	flat_load_dword v16, v[14:15] offset:1792
	v_mov_b32_e32 v19, 0
	v_mov_b32_e32 v17, 0
	;; [unrolled: 1-line block ×4, first 2 shown]
	s_waitcnt vmcnt(0) lgkmcnt(0)
	v_cmp_ne_u16_sdwa s[24:25], v16, v8 src0_sel:BYTE_0 src1_sel:DWORD
	s_and_saveexec_b64 s[22:23], s[24:25]
	s_cbranch_execz .LBB206_998
; %bb.993:                              ;   in Loop: Header=BB206_809 Depth=1
	v_bfrev_b32_e32 v17, 1
	v_mov_b32_e32 v18, 0
	v_cmp_ne_u16_sdwa s[26:27], v16, s28 src0_sel:BYTE_0 src1_sel:DWORD
	s_and_saveexec_b64 s[24:25], s[26:27]
	s_cbranch_execz .LBB206_997
; %bb.994:                              ;   in Loop: Header=BB206_809 Depth=1
	v_and_b32_e32 v6, 0x7f, v16
	v_mov_b32_e32 v17, 0x7f800001
	v_mov_b32_e32 v18, 0
	v_cmp_ne_u32_e32 vcc, s29, v6
	s_and_saveexec_b64 s[26:27], vcc
	s_cbranch_execz .LBB206_996
; %bb.995:                              ;   in Loop: Header=BB206_809 Depth=1
	v_and_b32_e32 v12, 7, v16
	v_lshrrev_b32_e32 v17, 3, v6
	v_cmp_gt_u32_e32 vcc, 8, v6
	v_ffbh_u32_e32 v6, v12
	v_min_u32_e32 v18, 32, v6
	v_subrev_u32_e32 v6, 28, v18
	v_lshlrev_b64 v[6:7], v6, v[16:17]
	v_sub_u32_e32 v7, 29, v18
	v_and_b32_e32 v6, 7, v6
	v_cndmask_b32_e32 v7, v17, v7, vcc
	v_cndmask_b32_e32 v6, v12, v6, vcc
	v_lshlrev_b32_e32 v6, 20, v6
	v_and_b32_sdwa v12, sext(v16), s40 dst_sel:DWORD dst_unused:UNUSED_PAD src0_sel:BYTE_0 src1_sel:DWORD
	v_lshl_add_u32 v7, v7, 23, v27
	v_or3_b32 v17, v12, v7, v6
	v_mov_b32_e32 v18, v8
.LBB206_996:                            ;   in Loop: Header=BB206_809 Depth=1
	s_or_b64 exec, exec, s[26:27]
.LBB206_997:                            ;   in Loop: Header=BB206_809 Depth=1
	s_or_b64 exec, exec, s[24:25]
.LBB206_998:                            ;   in Loop: Header=BB206_809 Depth=1
	s_or_b64 exec, exec, s[22:23]
	v_cmp_ne_u16_sdwa s[24:25], v16, v8 src0_sel:BYTE_1 src1_sel:DWORD
	s_and_saveexec_b64 s[22:23], s[24:25]
	s_cbranch_execz .LBB206_1004
; %bb.999:                              ;   in Loop: Header=BB206_809 Depth=1
	v_mov_b32_e32 v20, v9
	v_cmp_ne_u16_sdwa s[26:27], v16, s28 src0_sel:BYTE_1 src1_sel:DWORD
	v_mov_b32_e32 v19, v8
	s_and_saveexec_b64 s[24:25], s[26:27]
	s_cbranch_execz .LBB206_1003
; %bb.1000:                             ;   in Loop: Header=BB206_809 Depth=1
	v_and_b32_sdwa v6, v16, s29 dst_sel:DWORD dst_unused:UNUSED_PAD src0_sel:BYTE_1 src1_sel:DWORD
	v_mov_b32_e32 v12, v8
	v_mov_b32_e32 v20, v13
	v_cmp_ne_u32_e32 vcc, s29, v6
	v_mov_b32_e32 v19, v12
	s_and_saveexec_b64 s[26:27], vcc
	s_cbranch_execz .LBB206_1002
; %bb.1001:                             ;   in Loop: Header=BB206_809 Depth=1
	v_mov_b32_e32 v7, 7
	v_and_b32_sdwa v19, v16, v7 dst_sel:DWORD dst_unused:UNUSED_PAD src0_sel:BYTE_1 src1_sel:DWORD
	v_lshrrev_b32_e32 v12, 3, v6
	v_cmp_gt_u32_e32 vcc, 8, v6
	v_ffbh_u32_e32 v6, v19
	v_min_u32_e32 v21, 32, v6
	v_mov_b32_e32 v20, v8
	v_subrev_u32_e32 v6, 28, v21
	v_lshlrev_b64 v[6:7], v6, v[19:20]
	v_sub_u32_e32 v7, 29, v21
	v_and_b32_e32 v6, 7, v6
	v_cndmask_b32_e32 v7, v12, v7, vcc
	v_cndmask_b32_e32 v6, v19, v6, vcc
	v_lshlrev_b32_e32 v12, 16, v16
	v_lshl_add_u32 v7, v7, 23, v27
	v_and_or_b32 v7, v12, s40, v7
	v_lshlrev_b32_e32 v6, 20, v6
	v_or_b32_e32 v20, v7, v6
	v_mov_b32_e32 v19, v8
.LBB206_1002:                           ;   in Loop: Header=BB206_809 Depth=1
	s_or_b64 exec, exec, s[26:27]
.LBB206_1003:                           ;   in Loop: Header=BB206_809 Depth=1
	s_or_b64 exec, exec, s[24:25]
.LBB206_1004:                           ;   in Loop: Header=BB206_809 Depth=1
	s_or_b64 exec, exec, s[22:23]
	v_lshrrev_b32_e32 v12, 16, v16
	v_mov_b32_e32 v23, 0
	v_mov_b32_e32 v21, 0
	;; [unrolled: 1-line block ×4, first 2 shown]
	v_cmp_ne_u16_sdwa s[24:25], v12, v8 src0_sel:BYTE_0 src1_sel:DWORD
	s_and_saveexec_b64 s[22:23], s[24:25]
	s_cbranch_execz .LBB206_1010
; %bb.1005:                             ;   in Loop: Header=BB206_809 Depth=1
	v_bfrev_b32_e32 v21, 1
	v_mov_b32_e32 v22, 0
	v_cmp_ne_u16_sdwa s[26:27], v12, s28 src0_sel:BYTE_0 src1_sel:DWORD
	s_and_saveexec_b64 s[24:25], s[26:27]
	s_cbranch_execz .LBB206_1009
; %bb.1006:                             ;   in Loop: Header=BB206_809 Depth=1
	v_bfe_u32 v6, v16, 16, 7
	v_mov_b32_e32 v21, 0x7f800001
	v_mov_b32_e32 v22, 0
	v_cmp_ne_u32_e32 vcc, s29, v6
	s_and_saveexec_b64 s[26:27], vcc
	s_cbranch_execz .LBB206_1008
; %bb.1007:                             ;   in Loop: Header=BB206_809 Depth=1
	v_and_b32_e32 v21, 7, v12
	v_lshrrev_b32_e32 v22, 3, v6
	v_cmp_gt_u32_e32 vcc, 8, v6
	v_ffbh_u32_e32 v6, v21
	v_min_u32_e32 v26, 32, v6
	v_subrev_u32_e32 v6, 28, v26
	v_lshlrev_b64 v[6:7], v6, v[12:13]
	v_sub_u32_e32 v7, 29, v26
	v_and_b32_e32 v6, 7, v6
	v_cndmask_b32_e32 v7, v22, v7, vcc
	v_cndmask_b32_e32 v6, v21, v6, vcc
	v_lshlrev_b32_e32 v6, 20, v6
	v_and_b32_sdwa v12, sext(v12), s40 dst_sel:DWORD dst_unused:UNUSED_PAD src0_sel:BYTE_0 src1_sel:DWORD
	v_lshl_add_u32 v7, v7, 23, v27
	v_or3_b32 v21, v12, v7, v6
	v_mov_b32_e32 v22, v8
.LBB206_1008:                           ;   in Loop: Header=BB206_809 Depth=1
	s_or_b64 exec, exec, s[26:27]
.LBB206_1009:                           ;   in Loop: Header=BB206_809 Depth=1
	s_or_b64 exec, exec, s[24:25]
.LBB206_1010:                           ;   in Loop: Header=BB206_809 Depth=1
	s_or_b64 exec, exec, s[22:23]
	v_cmp_lt_u32_e32 vcc, s41, v16
	s_and_saveexec_b64 s[22:23], vcc
	s_cbranch_execz .LBB206_1016
; %bb.1011:                             ;   in Loop: Header=BB206_809 Depth=1
	v_mov_b32_e32 v24, v9
	v_cmp_ne_u32_sdwa s[26:27], v16, s28 src0_sel:BYTE_3 src1_sel:DWORD
	v_mov_b32_e32 v23, v8
	s_and_saveexec_b64 s[24:25], s[26:27]
	s_cbranch_execz .LBB206_1015
; %bb.1012:                             ;   in Loop: Header=BB206_809 Depth=1
	v_bfe_u32 v6, v16, 24, 7
	v_mov_b32_e32 v12, v8
	v_mov_b32_e32 v24, v13
	v_cmp_ne_u32_e32 vcc, s29, v6
	v_mov_b32_e32 v23, v12
	s_and_saveexec_b64 s[26:27], vcc
	s_cbranch_execz .LBB206_1014
; %bb.1013:                             ;   in Loop: Header=BB206_809 Depth=1
	v_mov_b32_e32 v7, 7
	v_and_b32_sdwa v23, v16, v7 dst_sel:DWORD dst_unused:UNUSED_PAD src0_sel:BYTE_3 src1_sel:DWORD
	v_lshrrev_b32_e32 v12, 3, v6
	v_cmp_gt_u32_e32 vcc, 8, v6
	v_ffbh_u32_e32 v6, v23
	v_min_u32_e32 v26, 32, v6
	v_mov_b32_e32 v24, v8
	v_subrev_u32_e32 v6, 28, v26
	v_lshlrev_b64 v[6:7], v6, v[23:24]
	v_sub_u32_e32 v7, 29, v26
	v_and_b32_e32 v6, 7, v6
	v_cndmask_b32_e32 v7, v12, v7, vcc
	v_mov_b32_e32 v12, 24
	v_cndmask_b32_e32 v6, v23, v6, vcc
	v_lshlrev_b32_sdwa v12, v12, v16 dst_sel:DWORD dst_unused:UNUSED_PAD src0_sel:DWORD src1_sel:BYTE_3
	v_lshl_add_u32 v7, v7, 23, v27
	v_and_or_b32 v7, v12, s40, v7
	v_lshlrev_b32_e32 v6, 20, v6
	v_or_b32_e32 v24, v7, v6
	v_mov_b32_e32 v23, v8
.LBB206_1014:                           ;   in Loop: Header=BB206_809 Depth=1
	s_or_b64 exec, exec, s[26:27]
.LBB206_1015:                           ;   in Loop: Header=BB206_809 Depth=1
	s_or_b64 exec, exec, s[24:25]
.LBB206_1016:                           ;   in Loop: Header=BB206_809 Depth=1
	s_or_b64 exec, exec, s[22:23]
	v_or_b32_e32 v6, v20, v18
	v_or_b32_e32 v7, v19, v17
	v_mul_f32_e32 v6, v30, v6
	buffer_store_dword v6, off, s[0:3], s32 offset:324 ; 4-byte Folded Spill
	v_mul_f32_e32 v6, v30, v7
	buffer_store_dword v6, off, s[0:3], s32 offset:308 ; 4-byte Folded Spill
	v_or_b32_e32 v6, v24, v22
	v_or_b32_e32 v7, v23, v21
	v_mul_f32_e32 v7, v30, v7
	v_mul_f32_e32 v6, v30, v6
	buffer_store_dword v7, off, s[0:3], s32 offset:316 ; 4-byte Folded Spill
	buffer_store_dword v6, off, s[0:3], s32 offset:300 ; 4-byte Folded Spill
	s_and_saveexec_b64 s[22:23], s[4:5]
	s_cbranch_execz .LBB206_1018
; %bb.1017:                             ;   in Loop: Header=BB206_809 Depth=1
	buffer_load_dword v6, off, s[0:3], s32 offset:72 ; 4-byte Folded Reload
	buffer_load_dword v7, off, s[0:3], s32 offset:308 ; 4-byte Folded Reload
	s_waitcnt vmcnt(1)
	v_cmp_lt_i32_e32 vcc, v35, v6
	s_waitcnt vmcnt(0)
	v_cndmask_b32_e32 v7, 0, v7, vcc
	buffer_store_dword v7, off, s[0:3], s32 offset:308 ; 4-byte Folded Spill
	buffer_load_dword v7, off, s[0:3], s32 offset:324 ; 4-byte Folded Reload
	v_cmp_lt_i32_e32 vcc, v38, v6
	s_waitcnt vmcnt(0)
	v_cndmask_b32_e32 v7, 0, v7, vcc
	buffer_store_dword v7, off, s[0:3], s32 offset:324 ; 4-byte Folded Spill
	buffer_load_dword v7, off, s[0:3], s32 offset:316 ; 4-byte Folded Reload
	v_cmp_lt_i32_e32 vcc, v37, v6
	s_waitcnt vmcnt(0)
	v_cndmask_b32_e32 v7, 0, v7, vcc
	v_cmp_lt_i32_e32 vcc, v36, v6
	buffer_load_dword v6, off, s[0:3], s32 offset:300 ; 4-byte Folded Reload
	s_waitcnt vmcnt(0)
	v_cndmask_b32_e32 v6, 0, v6, vcc
	buffer_store_dword v7, off, s[0:3], s32 offset:316 ; 4-byte Folded Spill
	buffer_store_dword v6, off, s[0:3], s32 offset:300 ; 4-byte Folded Spill
.LBB206_1018:                           ;   in Loop: Header=BB206_809 Depth=1
	s_or_b64 exec, exec, s[22:23]
	flat_load_dword v16, v[14:15] offset:2048
	v_mov_b32_e32 v19, 0
	v_mov_b32_e32 v17, 0
	;; [unrolled: 1-line block ×4, first 2 shown]
	s_waitcnt vmcnt(0) lgkmcnt(0)
	v_cmp_ne_u16_sdwa s[24:25], v16, v8 src0_sel:BYTE_0 src1_sel:DWORD
	s_and_saveexec_b64 s[22:23], s[24:25]
	s_cbranch_execz .LBB206_1024
; %bb.1019:                             ;   in Loop: Header=BB206_809 Depth=1
	v_bfrev_b32_e32 v17, 1
	v_mov_b32_e32 v18, 0
	v_cmp_ne_u16_sdwa s[26:27], v16, s28 src0_sel:BYTE_0 src1_sel:DWORD
	s_and_saveexec_b64 s[24:25], s[26:27]
	s_cbranch_execz .LBB206_1023
; %bb.1020:                             ;   in Loop: Header=BB206_809 Depth=1
	v_and_b32_e32 v6, 0x7f, v16
	v_mov_b32_e32 v17, 0x7f800001
	v_mov_b32_e32 v18, 0
	v_cmp_ne_u32_e32 vcc, s29, v6
	s_and_saveexec_b64 s[26:27], vcc
	s_cbranch_execz .LBB206_1022
; %bb.1021:                             ;   in Loop: Header=BB206_809 Depth=1
	v_and_b32_e32 v12, 7, v16
	v_lshrrev_b32_e32 v17, 3, v6
	v_cmp_gt_u32_e32 vcc, 8, v6
	v_ffbh_u32_e32 v6, v12
	v_min_u32_e32 v18, 32, v6
	v_subrev_u32_e32 v6, 28, v18
	v_lshlrev_b64 v[6:7], v6, v[16:17]
	v_sub_u32_e32 v7, 29, v18
	v_and_b32_e32 v6, 7, v6
	v_cndmask_b32_e32 v7, v17, v7, vcc
	v_cndmask_b32_e32 v6, v12, v6, vcc
	v_lshlrev_b32_e32 v6, 20, v6
	v_and_b32_sdwa v12, sext(v16), s40 dst_sel:DWORD dst_unused:UNUSED_PAD src0_sel:BYTE_0 src1_sel:DWORD
	v_lshl_add_u32 v7, v7, 23, v27
	v_or3_b32 v17, v12, v7, v6
	v_mov_b32_e32 v18, v8
.LBB206_1022:                           ;   in Loop: Header=BB206_809 Depth=1
	s_or_b64 exec, exec, s[26:27]
.LBB206_1023:                           ;   in Loop: Header=BB206_809 Depth=1
	s_or_b64 exec, exec, s[24:25]
.LBB206_1024:                           ;   in Loop: Header=BB206_809 Depth=1
	s_or_b64 exec, exec, s[22:23]
	v_cmp_ne_u16_sdwa s[24:25], v16, v8 src0_sel:BYTE_1 src1_sel:DWORD
	s_and_saveexec_b64 s[22:23], s[24:25]
	s_cbranch_execz .LBB206_1030
; %bb.1025:                             ;   in Loop: Header=BB206_809 Depth=1
	v_mov_b32_e32 v20, v9
	v_cmp_ne_u16_sdwa s[26:27], v16, s28 src0_sel:BYTE_1 src1_sel:DWORD
	v_mov_b32_e32 v19, v8
	s_and_saveexec_b64 s[24:25], s[26:27]
	s_cbranch_execz .LBB206_1029
; %bb.1026:                             ;   in Loop: Header=BB206_809 Depth=1
	v_and_b32_sdwa v6, v16, s29 dst_sel:DWORD dst_unused:UNUSED_PAD src0_sel:BYTE_1 src1_sel:DWORD
	v_mov_b32_e32 v12, v8
	v_mov_b32_e32 v20, v13
	v_cmp_ne_u32_e32 vcc, s29, v6
	v_mov_b32_e32 v19, v12
	s_and_saveexec_b64 s[26:27], vcc
	s_cbranch_execz .LBB206_1028
; %bb.1027:                             ;   in Loop: Header=BB206_809 Depth=1
	v_mov_b32_e32 v7, 7
	v_and_b32_sdwa v19, v16, v7 dst_sel:DWORD dst_unused:UNUSED_PAD src0_sel:BYTE_1 src1_sel:DWORD
	v_lshrrev_b32_e32 v12, 3, v6
	v_cmp_gt_u32_e32 vcc, 8, v6
	v_ffbh_u32_e32 v6, v19
	v_min_u32_e32 v21, 32, v6
	v_mov_b32_e32 v20, v8
	v_subrev_u32_e32 v6, 28, v21
	v_lshlrev_b64 v[6:7], v6, v[19:20]
	v_sub_u32_e32 v7, 29, v21
	v_and_b32_e32 v6, 7, v6
	v_cndmask_b32_e32 v7, v12, v7, vcc
	v_cndmask_b32_e32 v6, v19, v6, vcc
	v_lshlrev_b32_e32 v12, 16, v16
	v_lshl_add_u32 v7, v7, 23, v27
	v_and_or_b32 v7, v12, s40, v7
	v_lshlrev_b32_e32 v6, 20, v6
	v_or_b32_e32 v20, v7, v6
	v_mov_b32_e32 v19, v8
.LBB206_1028:                           ;   in Loop: Header=BB206_809 Depth=1
	s_or_b64 exec, exec, s[26:27]
.LBB206_1029:                           ;   in Loop: Header=BB206_809 Depth=1
	s_or_b64 exec, exec, s[24:25]
.LBB206_1030:                           ;   in Loop: Header=BB206_809 Depth=1
	s_or_b64 exec, exec, s[22:23]
	v_lshrrev_b32_e32 v12, 16, v16
	v_mov_b32_e32 v23, 0
	v_mov_b32_e32 v21, 0
	;; [unrolled: 1-line block ×4, first 2 shown]
	v_cmp_ne_u16_sdwa s[24:25], v12, v8 src0_sel:BYTE_0 src1_sel:DWORD
	s_and_saveexec_b64 s[22:23], s[24:25]
	s_cbranch_execz .LBB206_1036
; %bb.1031:                             ;   in Loop: Header=BB206_809 Depth=1
	v_bfrev_b32_e32 v21, 1
	v_mov_b32_e32 v22, 0
	v_cmp_ne_u16_sdwa s[26:27], v12, s28 src0_sel:BYTE_0 src1_sel:DWORD
	s_and_saveexec_b64 s[24:25], s[26:27]
	s_cbranch_execz .LBB206_1035
; %bb.1032:                             ;   in Loop: Header=BB206_809 Depth=1
	v_bfe_u32 v6, v16, 16, 7
	v_mov_b32_e32 v21, 0x7f800001
	v_mov_b32_e32 v22, 0
	v_cmp_ne_u32_e32 vcc, s29, v6
	s_and_saveexec_b64 s[26:27], vcc
	s_cbranch_execz .LBB206_1034
; %bb.1033:                             ;   in Loop: Header=BB206_809 Depth=1
	v_and_b32_e32 v21, 7, v12
	v_lshrrev_b32_e32 v22, 3, v6
	v_cmp_gt_u32_e32 vcc, 8, v6
	v_ffbh_u32_e32 v6, v21
	v_min_u32_e32 v26, 32, v6
	v_subrev_u32_e32 v6, 28, v26
	v_lshlrev_b64 v[6:7], v6, v[12:13]
	v_sub_u32_e32 v7, 29, v26
	v_and_b32_e32 v6, 7, v6
	v_cndmask_b32_e32 v7, v22, v7, vcc
	v_cndmask_b32_e32 v6, v21, v6, vcc
	v_lshlrev_b32_e32 v6, 20, v6
	v_and_b32_sdwa v12, sext(v12), s40 dst_sel:DWORD dst_unused:UNUSED_PAD src0_sel:BYTE_0 src1_sel:DWORD
	v_lshl_add_u32 v7, v7, 23, v27
	v_or3_b32 v21, v12, v7, v6
	v_mov_b32_e32 v22, v8
.LBB206_1034:                           ;   in Loop: Header=BB206_809 Depth=1
	s_or_b64 exec, exec, s[26:27]
.LBB206_1035:                           ;   in Loop: Header=BB206_809 Depth=1
	s_or_b64 exec, exec, s[24:25]
.LBB206_1036:                           ;   in Loop: Header=BB206_809 Depth=1
	s_or_b64 exec, exec, s[22:23]
	v_cmp_lt_u32_e32 vcc, s41, v16
	s_and_saveexec_b64 s[22:23], vcc
	s_cbranch_execz .LBB206_1042
; %bb.1037:                             ;   in Loop: Header=BB206_809 Depth=1
	v_mov_b32_e32 v24, v9
	v_cmp_ne_u32_sdwa s[26:27], v16, s28 src0_sel:BYTE_3 src1_sel:DWORD
	v_mov_b32_e32 v23, v8
	s_and_saveexec_b64 s[24:25], s[26:27]
	s_cbranch_execz .LBB206_1041
; %bb.1038:                             ;   in Loop: Header=BB206_809 Depth=1
	v_bfe_u32 v6, v16, 24, 7
	v_mov_b32_e32 v12, v8
	v_mov_b32_e32 v24, v13
	v_cmp_ne_u32_e32 vcc, s29, v6
	v_mov_b32_e32 v23, v12
	s_and_saveexec_b64 s[26:27], vcc
	s_cbranch_execz .LBB206_1040
; %bb.1039:                             ;   in Loop: Header=BB206_809 Depth=1
	v_mov_b32_e32 v7, 7
	v_and_b32_sdwa v23, v16, v7 dst_sel:DWORD dst_unused:UNUSED_PAD src0_sel:BYTE_3 src1_sel:DWORD
	v_lshrrev_b32_e32 v12, 3, v6
	v_cmp_gt_u32_e32 vcc, 8, v6
	v_ffbh_u32_e32 v6, v23
	v_min_u32_e32 v26, 32, v6
	v_mov_b32_e32 v24, v8
	v_subrev_u32_e32 v6, 28, v26
	v_lshlrev_b64 v[6:7], v6, v[23:24]
	v_sub_u32_e32 v7, 29, v26
	v_and_b32_e32 v6, 7, v6
	v_cndmask_b32_e32 v7, v12, v7, vcc
	v_mov_b32_e32 v12, 24
	v_cndmask_b32_e32 v6, v23, v6, vcc
	v_lshlrev_b32_sdwa v12, v12, v16 dst_sel:DWORD dst_unused:UNUSED_PAD src0_sel:DWORD src1_sel:BYTE_3
	v_lshl_add_u32 v7, v7, 23, v27
	v_and_or_b32 v7, v12, s40, v7
	v_lshlrev_b32_e32 v6, 20, v6
	v_or_b32_e32 v24, v7, v6
	v_mov_b32_e32 v23, v8
.LBB206_1040:                           ;   in Loop: Header=BB206_809 Depth=1
	s_or_b64 exec, exec, s[26:27]
.LBB206_1041:                           ;   in Loop: Header=BB206_809 Depth=1
	s_or_b64 exec, exec, s[24:25]
.LBB206_1042:                           ;   in Loop: Header=BB206_809 Depth=1
	s_or_b64 exec, exec, s[22:23]
	v_or_b32_e32 v6, v20, v18
	v_or_b32_e32 v7, v19, v17
	v_mul_f32_e32 v6, v30, v6
	buffer_store_dword v6, off, s[0:3], s32 offset:356 ; 4-byte Folded Spill
	v_mul_f32_e32 v6, v30, v7
	buffer_store_dword v6, off, s[0:3], s32 offset:340 ; 4-byte Folded Spill
	v_or_b32_e32 v6, v24, v22
	v_or_b32_e32 v7, v23, v21
	v_mul_f32_e32 v7, v30, v7
	v_mul_f32_e32 v6, v30, v6
	buffer_store_dword v7, off, s[0:3], s32 offset:348 ; 4-byte Folded Spill
	buffer_store_dword v6, off, s[0:3], s32 offset:332 ; 4-byte Folded Spill
	s_and_saveexec_b64 s[22:23], s[4:5]
	s_cbranch_execz .LBB206_1044
; %bb.1043:                             ;   in Loop: Header=BB206_809 Depth=1
	buffer_load_dword v6, off, s[0:3], s32 offset:72 ; 4-byte Folded Reload
	buffer_load_dword v7, off, s[0:3], s32 offset:340 ; 4-byte Folded Reload
	s_waitcnt vmcnt(1)
	v_cmp_lt_i32_e32 vcc, v35, v6
	s_waitcnt vmcnt(0)
	v_cndmask_b32_e32 v7, 0, v7, vcc
	buffer_store_dword v7, off, s[0:3], s32 offset:340 ; 4-byte Folded Spill
	buffer_load_dword v7, off, s[0:3], s32 offset:356 ; 4-byte Folded Reload
	v_cmp_lt_i32_e32 vcc, v38, v6
	s_waitcnt vmcnt(0)
	v_cndmask_b32_e32 v7, 0, v7, vcc
	buffer_store_dword v7, off, s[0:3], s32 offset:356 ; 4-byte Folded Spill
	buffer_load_dword v7, off, s[0:3], s32 offset:348 ; 4-byte Folded Reload
	v_cmp_lt_i32_e32 vcc, v37, v6
	s_waitcnt vmcnt(0)
	v_cndmask_b32_e32 v7, 0, v7, vcc
	v_cmp_lt_i32_e32 vcc, v36, v6
	buffer_load_dword v6, off, s[0:3], s32 offset:332 ; 4-byte Folded Reload
	s_waitcnt vmcnt(0)
	v_cndmask_b32_e32 v6, 0, v6, vcc
	buffer_store_dword v7, off, s[0:3], s32 offset:348 ; 4-byte Folded Spill
	buffer_store_dword v6, off, s[0:3], s32 offset:332 ; 4-byte Folded Spill
.LBB206_1044:                           ;   in Loop: Header=BB206_809 Depth=1
	s_or_b64 exec, exec, s[22:23]
	flat_load_dword v16, v[14:15] offset:2304
	v_mov_b32_e32 v19, 0
	v_mov_b32_e32 v17, 0
	;; [unrolled: 1-line block ×4, first 2 shown]
	s_waitcnt vmcnt(0) lgkmcnt(0)
	v_cmp_ne_u16_sdwa s[24:25], v16, v8 src0_sel:BYTE_0 src1_sel:DWORD
	s_and_saveexec_b64 s[22:23], s[24:25]
	s_cbranch_execz .LBB206_1050
; %bb.1045:                             ;   in Loop: Header=BB206_809 Depth=1
	v_bfrev_b32_e32 v17, 1
	v_mov_b32_e32 v18, 0
	v_cmp_ne_u16_sdwa s[26:27], v16, s28 src0_sel:BYTE_0 src1_sel:DWORD
	s_and_saveexec_b64 s[24:25], s[26:27]
	s_cbranch_execz .LBB206_1049
; %bb.1046:                             ;   in Loop: Header=BB206_809 Depth=1
	v_and_b32_e32 v6, 0x7f, v16
	v_mov_b32_e32 v17, 0x7f800001
	v_mov_b32_e32 v18, 0
	v_cmp_ne_u32_e32 vcc, s29, v6
	s_and_saveexec_b64 s[26:27], vcc
	s_cbranch_execz .LBB206_1048
; %bb.1047:                             ;   in Loop: Header=BB206_809 Depth=1
	v_and_b32_e32 v12, 7, v16
	v_lshrrev_b32_e32 v17, 3, v6
	v_cmp_gt_u32_e32 vcc, 8, v6
	v_ffbh_u32_e32 v6, v12
	v_min_u32_e32 v18, 32, v6
	v_subrev_u32_e32 v6, 28, v18
	v_lshlrev_b64 v[6:7], v6, v[16:17]
	v_sub_u32_e32 v7, 29, v18
	v_and_b32_e32 v6, 7, v6
	v_cndmask_b32_e32 v7, v17, v7, vcc
	v_cndmask_b32_e32 v6, v12, v6, vcc
	v_lshlrev_b32_e32 v6, 20, v6
	v_and_b32_sdwa v12, sext(v16), s40 dst_sel:DWORD dst_unused:UNUSED_PAD src0_sel:BYTE_0 src1_sel:DWORD
	v_lshl_add_u32 v7, v7, 23, v27
	v_or3_b32 v17, v12, v7, v6
	v_mov_b32_e32 v18, v8
.LBB206_1048:                           ;   in Loop: Header=BB206_809 Depth=1
	s_or_b64 exec, exec, s[26:27]
.LBB206_1049:                           ;   in Loop: Header=BB206_809 Depth=1
	s_or_b64 exec, exec, s[24:25]
.LBB206_1050:                           ;   in Loop: Header=BB206_809 Depth=1
	s_or_b64 exec, exec, s[22:23]
	v_cmp_ne_u16_sdwa s[24:25], v16, v8 src0_sel:BYTE_1 src1_sel:DWORD
	s_and_saveexec_b64 s[22:23], s[24:25]
	s_cbranch_execz .LBB206_1056
; %bb.1051:                             ;   in Loop: Header=BB206_809 Depth=1
	v_mov_b32_e32 v20, v9
	v_cmp_ne_u16_sdwa s[26:27], v16, s28 src0_sel:BYTE_1 src1_sel:DWORD
	v_mov_b32_e32 v19, v8
	s_and_saveexec_b64 s[24:25], s[26:27]
	s_cbranch_execz .LBB206_1055
; %bb.1052:                             ;   in Loop: Header=BB206_809 Depth=1
	v_and_b32_sdwa v6, v16, s29 dst_sel:DWORD dst_unused:UNUSED_PAD src0_sel:BYTE_1 src1_sel:DWORD
	v_mov_b32_e32 v12, v8
	v_mov_b32_e32 v20, v13
	v_cmp_ne_u32_e32 vcc, s29, v6
	v_mov_b32_e32 v19, v12
	s_and_saveexec_b64 s[26:27], vcc
	s_cbranch_execz .LBB206_1054
; %bb.1053:                             ;   in Loop: Header=BB206_809 Depth=1
	v_mov_b32_e32 v7, 7
	v_and_b32_sdwa v19, v16, v7 dst_sel:DWORD dst_unused:UNUSED_PAD src0_sel:BYTE_1 src1_sel:DWORD
	v_lshrrev_b32_e32 v12, 3, v6
	v_cmp_gt_u32_e32 vcc, 8, v6
	v_ffbh_u32_e32 v6, v19
	v_min_u32_e32 v21, 32, v6
	v_mov_b32_e32 v20, v8
	v_subrev_u32_e32 v6, 28, v21
	v_lshlrev_b64 v[6:7], v6, v[19:20]
	v_sub_u32_e32 v7, 29, v21
	v_and_b32_e32 v6, 7, v6
	v_cndmask_b32_e32 v7, v12, v7, vcc
	v_cndmask_b32_e32 v6, v19, v6, vcc
	v_lshlrev_b32_e32 v12, 16, v16
	v_lshl_add_u32 v7, v7, 23, v27
	v_and_or_b32 v7, v12, s40, v7
	v_lshlrev_b32_e32 v6, 20, v6
	v_or_b32_e32 v20, v7, v6
	v_mov_b32_e32 v19, v8
.LBB206_1054:                           ;   in Loop: Header=BB206_809 Depth=1
	s_or_b64 exec, exec, s[26:27]
.LBB206_1055:                           ;   in Loop: Header=BB206_809 Depth=1
	s_or_b64 exec, exec, s[24:25]
.LBB206_1056:                           ;   in Loop: Header=BB206_809 Depth=1
	s_or_b64 exec, exec, s[22:23]
	v_lshrrev_b32_e32 v12, 16, v16
	v_mov_b32_e32 v23, 0
	v_mov_b32_e32 v21, 0
	;; [unrolled: 1-line block ×4, first 2 shown]
	v_cmp_ne_u16_sdwa s[24:25], v12, v8 src0_sel:BYTE_0 src1_sel:DWORD
	s_and_saveexec_b64 s[22:23], s[24:25]
	s_cbranch_execz .LBB206_1062
; %bb.1057:                             ;   in Loop: Header=BB206_809 Depth=1
	v_bfrev_b32_e32 v21, 1
	v_mov_b32_e32 v22, 0
	v_cmp_ne_u16_sdwa s[26:27], v12, s28 src0_sel:BYTE_0 src1_sel:DWORD
	s_and_saveexec_b64 s[24:25], s[26:27]
	s_cbranch_execz .LBB206_1061
; %bb.1058:                             ;   in Loop: Header=BB206_809 Depth=1
	v_bfe_u32 v6, v16, 16, 7
	v_mov_b32_e32 v21, 0x7f800001
	v_mov_b32_e32 v22, 0
	v_cmp_ne_u32_e32 vcc, s29, v6
	s_and_saveexec_b64 s[26:27], vcc
	s_cbranch_execz .LBB206_1060
; %bb.1059:                             ;   in Loop: Header=BB206_809 Depth=1
	v_and_b32_e32 v21, 7, v12
	v_lshrrev_b32_e32 v22, 3, v6
	v_cmp_gt_u32_e32 vcc, 8, v6
	v_ffbh_u32_e32 v6, v21
	v_min_u32_e32 v26, 32, v6
	v_subrev_u32_e32 v6, 28, v26
	v_lshlrev_b64 v[6:7], v6, v[12:13]
	v_sub_u32_e32 v7, 29, v26
	v_and_b32_e32 v6, 7, v6
	v_cndmask_b32_e32 v7, v22, v7, vcc
	v_cndmask_b32_e32 v6, v21, v6, vcc
	v_lshlrev_b32_e32 v6, 20, v6
	v_and_b32_sdwa v12, sext(v12), s40 dst_sel:DWORD dst_unused:UNUSED_PAD src0_sel:BYTE_0 src1_sel:DWORD
	v_lshl_add_u32 v7, v7, 23, v27
	v_or3_b32 v21, v12, v7, v6
	v_mov_b32_e32 v22, v8
.LBB206_1060:                           ;   in Loop: Header=BB206_809 Depth=1
	s_or_b64 exec, exec, s[26:27]
.LBB206_1061:                           ;   in Loop: Header=BB206_809 Depth=1
	s_or_b64 exec, exec, s[24:25]
.LBB206_1062:                           ;   in Loop: Header=BB206_809 Depth=1
	s_or_b64 exec, exec, s[22:23]
	v_cmp_lt_u32_e32 vcc, s41, v16
	s_and_saveexec_b64 s[22:23], vcc
	s_cbranch_execz .LBB206_1068
; %bb.1063:                             ;   in Loop: Header=BB206_809 Depth=1
	v_mov_b32_e32 v24, v9
	v_cmp_ne_u32_sdwa s[26:27], v16, s28 src0_sel:BYTE_3 src1_sel:DWORD
	v_mov_b32_e32 v23, v8
	s_and_saveexec_b64 s[24:25], s[26:27]
	s_cbranch_execz .LBB206_1067
; %bb.1064:                             ;   in Loop: Header=BB206_809 Depth=1
	v_bfe_u32 v6, v16, 24, 7
	v_mov_b32_e32 v12, v8
	v_mov_b32_e32 v24, v13
	v_cmp_ne_u32_e32 vcc, s29, v6
	v_mov_b32_e32 v23, v12
	s_and_saveexec_b64 s[26:27], vcc
	s_cbranch_execz .LBB206_1066
; %bb.1065:                             ;   in Loop: Header=BB206_809 Depth=1
	v_mov_b32_e32 v7, 7
	v_and_b32_sdwa v23, v16, v7 dst_sel:DWORD dst_unused:UNUSED_PAD src0_sel:BYTE_3 src1_sel:DWORD
	v_lshrrev_b32_e32 v12, 3, v6
	v_cmp_gt_u32_e32 vcc, 8, v6
	v_ffbh_u32_e32 v6, v23
	v_min_u32_e32 v26, 32, v6
	v_mov_b32_e32 v24, v8
	v_subrev_u32_e32 v6, 28, v26
	v_lshlrev_b64 v[6:7], v6, v[23:24]
	v_sub_u32_e32 v7, 29, v26
	v_and_b32_e32 v6, 7, v6
	v_cndmask_b32_e32 v7, v12, v7, vcc
	v_mov_b32_e32 v12, 24
	v_cndmask_b32_e32 v6, v23, v6, vcc
	v_lshlrev_b32_sdwa v12, v12, v16 dst_sel:DWORD dst_unused:UNUSED_PAD src0_sel:DWORD src1_sel:BYTE_3
	v_lshl_add_u32 v7, v7, 23, v27
	v_and_or_b32 v7, v12, s40, v7
	v_lshlrev_b32_e32 v6, 20, v6
	v_or_b32_e32 v24, v7, v6
	v_mov_b32_e32 v23, v8
.LBB206_1066:                           ;   in Loop: Header=BB206_809 Depth=1
	s_or_b64 exec, exec, s[26:27]
.LBB206_1067:                           ;   in Loop: Header=BB206_809 Depth=1
	s_or_b64 exec, exec, s[24:25]
.LBB206_1068:                           ;   in Loop: Header=BB206_809 Depth=1
	s_or_b64 exec, exec, s[22:23]
	v_or_b32_e32 v6, v20, v18
	v_or_b32_e32 v7, v19, v17
	v_mul_f32_e32 v6, v30, v6
	buffer_store_dword v6, off, s[0:3], s32 offset:388 ; 4-byte Folded Spill
	v_mul_f32_e32 v6, v30, v7
	buffer_store_dword v6, off, s[0:3], s32 offset:372 ; 4-byte Folded Spill
	v_or_b32_e32 v6, v24, v22
	v_or_b32_e32 v7, v23, v21
	v_mul_f32_e32 v7, v30, v7
	v_mul_f32_e32 v6, v30, v6
	buffer_store_dword v7, off, s[0:3], s32 offset:380 ; 4-byte Folded Spill
	buffer_store_dword v6, off, s[0:3], s32 offset:364 ; 4-byte Folded Spill
	s_and_saveexec_b64 s[22:23], s[4:5]
	s_cbranch_execz .LBB206_1070
; %bb.1069:                             ;   in Loop: Header=BB206_809 Depth=1
	buffer_load_dword v6, off, s[0:3], s32 offset:72 ; 4-byte Folded Reload
	buffer_load_dword v7, off, s[0:3], s32 offset:372 ; 4-byte Folded Reload
	s_waitcnt vmcnt(1)
	v_cmp_lt_i32_e32 vcc, v35, v6
	s_waitcnt vmcnt(0)
	v_cndmask_b32_e32 v7, 0, v7, vcc
	buffer_store_dword v7, off, s[0:3], s32 offset:372 ; 4-byte Folded Spill
	buffer_load_dword v7, off, s[0:3], s32 offset:388 ; 4-byte Folded Reload
	v_cmp_lt_i32_e32 vcc, v38, v6
	s_waitcnt vmcnt(0)
	v_cndmask_b32_e32 v7, 0, v7, vcc
	buffer_store_dword v7, off, s[0:3], s32 offset:388 ; 4-byte Folded Spill
	buffer_load_dword v7, off, s[0:3], s32 offset:380 ; 4-byte Folded Reload
	v_cmp_lt_i32_e32 vcc, v37, v6
	s_waitcnt vmcnt(0)
	v_cndmask_b32_e32 v7, 0, v7, vcc
	v_cmp_lt_i32_e32 vcc, v36, v6
	buffer_load_dword v6, off, s[0:3], s32 offset:364 ; 4-byte Folded Reload
	s_waitcnt vmcnt(0)
	v_cndmask_b32_e32 v6, 0, v6, vcc
	buffer_store_dword v7, off, s[0:3], s32 offset:380 ; 4-byte Folded Spill
	buffer_store_dword v6, off, s[0:3], s32 offset:364 ; 4-byte Folded Spill
.LBB206_1070:                           ;   in Loop: Header=BB206_809 Depth=1
	s_or_b64 exec, exec, s[22:23]
	flat_load_dword v16, v[14:15] offset:2560
	v_mov_b32_e32 v19, 0
	v_mov_b32_e32 v17, 0
	;; [unrolled: 1-line block ×4, first 2 shown]
	s_waitcnt vmcnt(0) lgkmcnt(0)
	v_cmp_ne_u16_sdwa s[24:25], v16, v8 src0_sel:BYTE_0 src1_sel:DWORD
	s_and_saveexec_b64 s[22:23], s[24:25]
	s_cbranch_execz .LBB206_1076
; %bb.1071:                             ;   in Loop: Header=BB206_809 Depth=1
	v_bfrev_b32_e32 v17, 1
	v_mov_b32_e32 v18, 0
	v_cmp_ne_u16_sdwa s[26:27], v16, s28 src0_sel:BYTE_0 src1_sel:DWORD
	s_and_saveexec_b64 s[24:25], s[26:27]
	s_cbranch_execz .LBB206_1075
; %bb.1072:                             ;   in Loop: Header=BB206_809 Depth=1
	v_and_b32_e32 v6, 0x7f, v16
	v_mov_b32_e32 v17, 0x7f800001
	v_mov_b32_e32 v18, 0
	v_cmp_ne_u32_e32 vcc, s29, v6
	s_and_saveexec_b64 s[26:27], vcc
	s_cbranch_execz .LBB206_1074
; %bb.1073:                             ;   in Loop: Header=BB206_809 Depth=1
	v_and_b32_e32 v12, 7, v16
	v_lshrrev_b32_e32 v17, 3, v6
	v_cmp_gt_u32_e32 vcc, 8, v6
	v_ffbh_u32_e32 v6, v12
	v_min_u32_e32 v18, 32, v6
	v_subrev_u32_e32 v6, 28, v18
	v_lshlrev_b64 v[6:7], v6, v[16:17]
	v_sub_u32_e32 v7, 29, v18
	v_and_b32_e32 v6, 7, v6
	v_cndmask_b32_e32 v7, v17, v7, vcc
	v_cndmask_b32_e32 v6, v12, v6, vcc
	v_lshlrev_b32_e32 v6, 20, v6
	v_and_b32_sdwa v12, sext(v16), s40 dst_sel:DWORD dst_unused:UNUSED_PAD src0_sel:BYTE_0 src1_sel:DWORD
	v_lshl_add_u32 v7, v7, 23, v27
	v_or3_b32 v17, v12, v7, v6
	v_mov_b32_e32 v18, v8
.LBB206_1074:                           ;   in Loop: Header=BB206_809 Depth=1
	s_or_b64 exec, exec, s[26:27]
.LBB206_1075:                           ;   in Loop: Header=BB206_809 Depth=1
	s_or_b64 exec, exec, s[24:25]
.LBB206_1076:                           ;   in Loop: Header=BB206_809 Depth=1
	s_or_b64 exec, exec, s[22:23]
	v_cmp_ne_u16_sdwa s[24:25], v16, v8 src0_sel:BYTE_1 src1_sel:DWORD
	s_and_saveexec_b64 s[22:23], s[24:25]
	s_cbranch_execz .LBB206_1082
; %bb.1077:                             ;   in Loop: Header=BB206_809 Depth=1
	v_mov_b32_e32 v20, v9
	v_cmp_ne_u16_sdwa s[26:27], v16, s28 src0_sel:BYTE_1 src1_sel:DWORD
	v_mov_b32_e32 v19, v8
	s_and_saveexec_b64 s[24:25], s[26:27]
	s_cbranch_execz .LBB206_1081
; %bb.1078:                             ;   in Loop: Header=BB206_809 Depth=1
	v_and_b32_sdwa v6, v16, s29 dst_sel:DWORD dst_unused:UNUSED_PAD src0_sel:BYTE_1 src1_sel:DWORD
	v_mov_b32_e32 v12, v8
	v_mov_b32_e32 v20, v13
	v_cmp_ne_u32_e32 vcc, s29, v6
	v_mov_b32_e32 v19, v12
	s_and_saveexec_b64 s[26:27], vcc
	s_cbranch_execz .LBB206_1080
; %bb.1079:                             ;   in Loop: Header=BB206_809 Depth=1
	v_mov_b32_e32 v7, 7
	v_and_b32_sdwa v19, v16, v7 dst_sel:DWORD dst_unused:UNUSED_PAD src0_sel:BYTE_1 src1_sel:DWORD
	v_lshrrev_b32_e32 v12, 3, v6
	v_cmp_gt_u32_e32 vcc, 8, v6
	v_ffbh_u32_e32 v6, v19
	v_min_u32_e32 v21, 32, v6
	v_mov_b32_e32 v20, v8
	v_subrev_u32_e32 v6, 28, v21
	v_lshlrev_b64 v[6:7], v6, v[19:20]
	v_sub_u32_e32 v7, 29, v21
	v_and_b32_e32 v6, 7, v6
	v_cndmask_b32_e32 v7, v12, v7, vcc
	v_cndmask_b32_e32 v6, v19, v6, vcc
	v_lshlrev_b32_e32 v12, 16, v16
	v_lshl_add_u32 v7, v7, 23, v27
	v_and_or_b32 v7, v12, s40, v7
	v_lshlrev_b32_e32 v6, 20, v6
	v_or_b32_e32 v20, v7, v6
	v_mov_b32_e32 v19, v8
.LBB206_1080:                           ;   in Loop: Header=BB206_809 Depth=1
	s_or_b64 exec, exec, s[26:27]
.LBB206_1081:                           ;   in Loop: Header=BB206_809 Depth=1
	s_or_b64 exec, exec, s[24:25]
.LBB206_1082:                           ;   in Loop: Header=BB206_809 Depth=1
	s_or_b64 exec, exec, s[22:23]
	v_lshrrev_b32_e32 v12, 16, v16
	v_mov_b32_e32 v23, 0
	v_mov_b32_e32 v21, 0
	;; [unrolled: 1-line block ×4, first 2 shown]
	v_cmp_ne_u16_sdwa s[24:25], v12, v8 src0_sel:BYTE_0 src1_sel:DWORD
	s_and_saveexec_b64 s[22:23], s[24:25]
	s_cbranch_execz .LBB206_1088
; %bb.1083:                             ;   in Loop: Header=BB206_809 Depth=1
	v_bfrev_b32_e32 v21, 1
	v_mov_b32_e32 v22, 0
	v_cmp_ne_u16_sdwa s[26:27], v12, s28 src0_sel:BYTE_0 src1_sel:DWORD
	s_and_saveexec_b64 s[24:25], s[26:27]
	s_cbranch_execz .LBB206_1087
; %bb.1084:                             ;   in Loop: Header=BB206_809 Depth=1
	v_bfe_u32 v6, v16, 16, 7
	v_mov_b32_e32 v21, 0x7f800001
	v_mov_b32_e32 v22, 0
	v_cmp_ne_u32_e32 vcc, s29, v6
	s_and_saveexec_b64 s[26:27], vcc
	s_cbranch_execz .LBB206_1086
; %bb.1085:                             ;   in Loop: Header=BB206_809 Depth=1
	v_and_b32_e32 v21, 7, v12
	v_lshrrev_b32_e32 v22, 3, v6
	v_cmp_gt_u32_e32 vcc, 8, v6
	v_ffbh_u32_e32 v6, v21
	v_min_u32_e32 v26, 32, v6
	v_subrev_u32_e32 v6, 28, v26
	v_lshlrev_b64 v[6:7], v6, v[12:13]
	v_sub_u32_e32 v7, 29, v26
	v_and_b32_e32 v6, 7, v6
	v_cndmask_b32_e32 v7, v22, v7, vcc
	v_cndmask_b32_e32 v6, v21, v6, vcc
	v_lshlrev_b32_e32 v6, 20, v6
	v_and_b32_sdwa v12, sext(v12), s40 dst_sel:DWORD dst_unused:UNUSED_PAD src0_sel:BYTE_0 src1_sel:DWORD
	v_lshl_add_u32 v7, v7, 23, v27
	v_or3_b32 v21, v12, v7, v6
	v_mov_b32_e32 v22, v8
.LBB206_1086:                           ;   in Loop: Header=BB206_809 Depth=1
	s_or_b64 exec, exec, s[26:27]
.LBB206_1087:                           ;   in Loop: Header=BB206_809 Depth=1
	s_or_b64 exec, exec, s[24:25]
.LBB206_1088:                           ;   in Loop: Header=BB206_809 Depth=1
	s_or_b64 exec, exec, s[22:23]
	v_cmp_lt_u32_e32 vcc, s41, v16
	s_and_saveexec_b64 s[22:23], vcc
	s_cbranch_execz .LBB206_1094
; %bb.1089:                             ;   in Loop: Header=BB206_809 Depth=1
	v_mov_b32_e32 v24, v9
	v_cmp_ne_u32_sdwa s[26:27], v16, s28 src0_sel:BYTE_3 src1_sel:DWORD
	v_mov_b32_e32 v23, v8
	s_and_saveexec_b64 s[24:25], s[26:27]
	s_cbranch_execz .LBB206_1093
; %bb.1090:                             ;   in Loop: Header=BB206_809 Depth=1
	v_bfe_u32 v6, v16, 24, 7
	v_mov_b32_e32 v12, v8
	v_mov_b32_e32 v24, v13
	v_cmp_ne_u32_e32 vcc, s29, v6
	v_mov_b32_e32 v23, v12
	s_and_saveexec_b64 s[26:27], vcc
	s_cbranch_execz .LBB206_1092
; %bb.1091:                             ;   in Loop: Header=BB206_809 Depth=1
	v_mov_b32_e32 v7, 7
	v_and_b32_sdwa v23, v16, v7 dst_sel:DWORD dst_unused:UNUSED_PAD src0_sel:BYTE_3 src1_sel:DWORD
	v_lshrrev_b32_e32 v12, 3, v6
	v_cmp_gt_u32_e32 vcc, 8, v6
	v_ffbh_u32_e32 v6, v23
	v_min_u32_e32 v26, 32, v6
	v_mov_b32_e32 v24, v8
	v_subrev_u32_e32 v6, 28, v26
	v_lshlrev_b64 v[6:7], v6, v[23:24]
	v_sub_u32_e32 v7, 29, v26
	v_and_b32_e32 v6, 7, v6
	v_cndmask_b32_e32 v7, v12, v7, vcc
	v_mov_b32_e32 v12, 24
	v_cndmask_b32_e32 v6, v23, v6, vcc
	v_lshlrev_b32_sdwa v12, v12, v16 dst_sel:DWORD dst_unused:UNUSED_PAD src0_sel:DWORD src1_sel:BYTE_3
	v_lshl_add_u32 v7, v7, 23, v27
	v_and_or_b32 v7, v12, s40, v7
	v_lshlrev_b32_e32 v6, 20, v6
	v_or_b32_e32 v24, v7, v6
	v_mov_b32_e32 v23, v8
.LBB206_1092:                           ;   in Loop: Header=BB206_809 Depth=1
	s_or_b64 exec, exec, s[26:27]
.LBB206_1093:                           ;   in Loop: Header=BB206_809 Depth=1
	s_or_b64 exec, exec, s[24:25]
.LBB206_1094:                           ;   in Loop: Header=BB206_809 Depth=1
	s_or_b64 exec, exec, s[22:23]
	v_or_b32_e32 v6, v20, v18
	v_or_b32_e32 v7, v19, v17
	v_mul_f32_e32 v6, v30, v6
	buffer_store_dword v6, off, s[0:3], s32 offset:420 ; 4-byte Folded Spill
	v_mul_f32_e32 v6, v30, v7
	buffer_store_dword v6, off, s[0:3], s32 offset:404 ; 4-byte Folded Spill
	v_or_b32_e32 v6, v24, v22
	v_or_b32_e32 v7, v23, v21
	v_mul_f32_e32 v7, v30, v7
	v_mul_f32_e32 v6, v30, v6
	buffer_store_dword v7, off, s[0:3], s32 offset:412 ; 4-byte Folded Spill
	buffer_store_dword v6, off, s[0:3], s32 offset:396 ; 4-byte Folded Spill
	s_and_saveexec_b64 s[22:23], s[4:5]
	s_cbranch_execz .LBB206_1096
; %bb.1095:                             ;   in Loop: Header=BB206_809 Depth=1
	buffer_load_dword v6, off, s[0:3], s32 offset:72 ; 4-byte Folded Reload
	buffer_load_dword v7, off, s[0:3], s32 offset:404 ; 4-byte Folded Reload
	s_waitcnt vmcnt(1)
	v_cmp_lt_i32_e32 vcc, v35, v6
	s_waitcnt vmcnt(0)
	v_cndmask_b32_e32 v7, 0, v7, vcc
	buffer_store_dword v7, off, s[0:3], s32 offset:404 ; 4-byte Folded Spill
	buffer_load_dword v7, off, s[0:3], s32 offset:420 ; 4-byte Folded Reload
	v_cmp_lt_i32_e32 vcc, v38, v6
	s_waitcnt vmcnt(0)
	v_cndmask_b32_e32 v7, 0, v7, vcc
	buffer_store_dword v7, off, s[0:3], s32 offset:420 ; 4-byte Folded Spill
	buffer_load_dword v7, off, s[0:3], s32 offset:412 ; 4-byte Folded Reload
	v_cmp_lt_i32_e32 vcc, v37, v6
	s_waitcnt vmcnt(0)
	v_cndmask_b32_e32 v7, 0, v7, vcc
	v_cmp_lt_i32_e32 vcc, v36, v6
	buffer_load_dword v6, off, s[0:3], s32 offset:396 ; 4-byte Folded Reload
	s_waitcnt vmcnt(0)
	v_cndmask_b32_e32 v6, 0, v6, vcc
	buffer_store_dword v7, off, s[0:3], s32 offset:412 ; 4-byte Folded Spill
	buffer_store_dword v6, off, s[0:3], s32 offset:396 ; 4-byte Folded Spill
.LBB206_1096:                           ;   in Loop: Header=BB206_809 Depth=1
	s_or_b64 exec, exec, s[22:23]
	flat_load_dword v16, v[14:15] offset:2816
	v_mov_b32_e32 v19, 0
	v_mov_b32_e32 v17, 0
	;; [unrolled: 1-line block ×4, first 2 shown]
	s_waitcnt vmcnt(0) lgkmcnt(0)
	v_cmp_ne_u16_sdwa s[24:25], v16, v8 src0_sel:BYTE_0 src1_sel:DWORD
	s_and_saveexec_b64 s[22:23], s[24:25]
	s_cbranch_execz .LBB206_1102
; %bb.1097:                             ;   in Loop: Header=BB206_809 Depth=1
	v_bfrev_b32_e32 v17, 1
	v_mov_b32_e32 v18, 0
	v_cmp_ne_u16_sdwa s[26:27], v16, s28 src0_sel:BYTE_0 src1_sel:DWORD
	s_and_saveexec_b64 s[24:25], s[26:27]
	s_cbranch_execz .LBB206_1101
; %bb.1098:                             ;   in Loop: Header=BB206_809 Depth=1
	v_and_b32_e32 v6, 0x7f, v16
	v_mov_b32_e32 v17, 0x7f800001
	v_mov_b32_e32 v18, 0
	v_cmp_ne_u32_e32 vcc, s29, v6
	s_and_saveexec_b64 s[26:27], vcc
	s_cbranch_execz .LBB206_1100
; %bb.1099:                             ;   in Loop: Header=BB206_809 Depth=1
	v_and_b32_e32 v12, 7, v16
	v_lshrrev_b32_e32 v17, 3, v6
	v_cmp_gt_u32_e32 vcc, 8, v6
	v_ffbh_u32_e32 v6, v12
	v_min_u32_e32 v18, 32, v6
	v_subrev_u32_e32 v6, 28, v18
	v_lshlrev_b64 v[6:7], v6, v[16:17]
	v_sub_u32_e32 v7, 29, v18
	v_and_b32_e32 v6, 7, v6
	v_cndmask_b32_e32 v7, v17, v7, vcc
	v_cndmask_b32_e32 v6, v12, v6, vcc
	v_lshlrev_b32_e32 v6, 20, v6
	v_and_b32_sdwa v12, sext(v16), s40 dst_sel:DWORD dst_unused:UNUSED_PAD src0_sel:BYTE_0 src1_sel:DWORD
	v_lshl_add_u32 v7, v7, 23, v27
	v_or3_b32 v17, v12, v7, v6
	v_mov_b32_e32 v18, v8
.LBB206_1100:                           ;   in Loop: Header=BB206_809 Depth=1
	s_or_b64 exec, exec, s[26:27]
.LBB206_1101:                           ;   in Loop: Header=BB206_809 Depth=1
	s_or_b64 exec, exec, s[24:25]
.LBB206_1102:                           ;   in Loop: Header=BB206_809 Depth=1
	s_or_b64 exec, exec, s[22:23]
	v_cmp_ne_u16_sdwa s[24:25], v16, v8 src0_sel:BYTE_1 src1_sel:DWORD
	s_and_saveexec_b64 s[22:23], s[24:25]
	s_cbranch_execz .LBB206_1108
; %bb.1103:                             ;   in Loop: Header=BB206_809 Depth=1
	v_mov_b32_e32 v20, v9
	v_cmp_ne_u16_sdwa s[26:27], v16, s28 src0_sel:BYTE_1 src1_sel:DWORD
	v_mov_b32_e32 v19, v8
	s_and_saveexec_b64 s[24:25], s[26:27]
	s_cbranch_execz .LBB206_1107
; %bb.1104:                             ;   in Loop: Header=BB206_809 Depth=1
	v_and_b32_sdwa v6, v16, s29 dst_sel:DWORD dst_unused:UNUSED_PAD src0_sel:BYTE_1 src1_sel:DWORD
	v_mov_b32_e32 v12, v8
	v_mov_b32_e32 v20, v13
	v_cmp_ne_u32_e32 vcc, s29, v6
	v_mov_b32_e32 v19, v12
	s_and_saveexec_b64 s[26:27], vcc
	s_cbranch_execz .LBB206_1106
; %bb.1105:                             ;   in Loop: Header=BB206_809 Depth=1
	v_mov_b32_e32 v7, 7
	v_and_b32_sdwa v19, v16, v7 dst_sel:DWORD dst_unused:UNUSED_PAD src0_sel:BYTE_1 src1_sel:DWORD
	v_lshrrev_b32_e32 v12, 3, v6
	v_cmp_gt_u32_e32 vcc, 8, v6
	v_ffbh_u32_e32 v6, v19
	v_min_u32_e32 v21, 32, v6
	v_mov_b32_e32 v20, v8
	v_subrev_u32_e32 v6, 28, v21
	v_lshlrev_b64 v[6:7], v6, v[19:20]
	v_sub_u32_e32 v7, 29, v21
	v_and_b32_e32 v6, 7, v6
	v_cndmask_b32_e32 v7, v12, v7, vcc
	v_cndmask_b32_e32 v6, v19, v6, vcc
	v_lshlrev_b32_e32 v12, 16, v16
	v_lshl_add_u32 v7, v7, 23, v27
	v_and_or_b32 v7, v12, s40, v7
	v_lshlrev_b32_e32 v6, 20, v6
	v_or_b32_e32 v20, v7, v6
	v_mov_b32_e32 v19, v8
.LBB206_1106:                           ;   in Loop: Header=BB206_809 Depth=1
	s_or_b64 exec, exec, s[26:27]
.LBB206_1107:                           ;   in Loop: Header=BB206_809 Depth=1
	s_or_b64 exec, exec, s[24:25]
.LBB206_1108:                           ;   in Loop: Header=BB206_809 Depth=1
	s_or_b64 exec, exec, s[22:23]
	v_lshrrev_b32_e32 v12, 16, v16
	v_mov_b32_e32 v23, 0
	v_mov_b32_e32 v21, 0
	;; [unrolled: 1-line block ×4, first 2 shown]
	v_cmp_ne_u16_sdwa s[24:25], v12, v8 src0_sel:BYTE_0 src1_sel:DWORD
	s_and_saveexec_b64 s[22:23], s[24:25]
	s_cbranch_execz .LBB206_1114
; %bb.1109:                             ;   in Loop: Header=BB206_809 Depth=1
	v_bfrev_b32_e32 v21, 1
	v_mov_b32_e32 v22, 0
	v_cmp_ne_u16_sdwa s[26:27], v12, s28 src0_sel:BYTE_0 src1_sel:DWORD
	s_and_saveexec_b64 s[24:25], s[26:27]
	s_cbranch_execz .LBB206_1113
; %bb.1110:                             ;   in Loop: Header=BB206_809 Depth=1
	v_bfe_u32 v6, v16, 16, 7
	v_mov_b32_e32 v21, 0x7f800001
	v_mov_b32_e32 v22, 0
	v_cmp_ne_u32_e32 vcc, s29, v6
	s_and_saveexec_b64 s[26:27], vcc
	s_cbranch_execz .LBB206_1112
; %bb.1111:                             ;   in Loop: Header=BB206_809 Depth=1
	v_and_b32_e32 v21, 7, v12
	v_lshrrev_b32_e32 v22, 3, v6
	v_cmp_gt_u32_e32 vcc, 8, v6
	v_ffbh_u32_e32 v6, v21
	v_min_u32_e32 v26, 32, v6
	v_subrev_u32_e32 v6, 28, v26
	v_lshlrev_b64 v[6:7], v6, v[12:13]
	v_sub_u32_e32 v7, 29, v26
	v_and_b32_e32 v6, 7, v6
	v_cndmask_b32_e32 v7, v22, v7, vcc
	v_cndmask_b32_e32 v6, v21, v6, vcc
	v_lshlrev_b32_e32 v6, 20, v6
	v_and_b32_sdwa v12, sext(v12), s40 dst_sel:DWORD dst_unused:UNUSED_PAD src0_sel:BYTE_0 src1_sel:DWORD
	v_lshl_add_u32 v7, v7, 23, v27
	v_or3_b32 v21, v12, v7, v6
	v_mov_b32_e32 v22, v8
.LBB206_1112:                           ;   in Loop: Header=BB206_809 Depth=1
	s_or_b64 exec, exec, s[26:27]
.LBB206_1113:                           ;   in Loop: Header=BB206_809 Depth=1
	s_or_b64 exec, exec, s[24:25]
.LBB206_1114:                           ;   in Loop: Header=BB206_809 Depth=1
	s_or_b64 exec, exec, s[22:23]
	v_cmp_lt_u32_e32 vcc, s41, v16
	s_and_saveexec_b64 s[22:23], vcc
	s_cbranch_execz .LBB206_1120
; %bb.1115:                             ;   in Loop: Header=BB206_809 Depth=1
	v_mov_b32_e32 v24, v9
	v_cmp_ne_u32_sdwa s[26:27], v16, s28 src0_sel:BYTE_3 src1_sel:DWORD
	v_mov_b32_e32 v23, v8
	s_and_saveexec_b64 s[24:25], s[26:27]
	s_cbranch_execz .LBB206_1119
; %bb.1116:                             ;   in Loop: Header=BB206_809 Depth=1
	v_bfe_u32 v6, v16, 24, 7
	v_mov_b32_e32 v12, v8
	v_mov_b32_e32 v24, v13
	v_cmp_ne_u32_e32 vcc, s29, v6
	v_mov_b32_e32 v23, v12
	s_and_saveexec_b64 s[26:27], vcc
	s_cbranch_execz .LBB206_1118
; %bb.1117:                             ;   in Loop: Header=BB206_809 Depth=1
	v_mov_b32_e32 v7, 7
	v_and_b32_sdwa v23, v16, v7 dst_sel:DWORD dst_unused:UNUSED_PAD src0_sel:BYTE_3 src1_sel:DWORD
	v_lshrrev_b32_e32 v12, 3, v6
	v_cmp_gt_u32_e32 vcc, 8, v6
	v_ffbh_u32_e32 v6, v23
	v_min_u32_e32 v26, 32, v6
	v_mov_b32_e32 v24, v8
	v_subrev_u32_e32 v6, 28, v26
	v_lshlrev_b64 v[6:7], v6, v[23:24]
	v_sub_u32_e32 v7, 29, v26
	v_and_b32_e32 v6, 7, v6
	v_cndmask_b32_e32 v7, v12, v7, vcc
	v_mov_b32_e32 v12, 24
	v_cndmask_b32_e32 v6, v23, v6, vcc
	v_lshlrev_b32_sdwa v12, v12, v16 dst_sel:DWORD dst_unused:UNUSED_PAD src0_sel:DWORD src1_sel:BYTE_3
	v_lshl_add_u32 v7, v7, 23, v27
	v_and_or_b32 v7, v12, s40, v7
	v_lshlrev_b32_e32 v6, 20, v6
	v_or_b32_e32 v24, v7, v6
	v_mov_b32_e32 v23, v8
.LBB206_1118:                           ;   in Loop: Header=BB206_809 Depth=1
	s_or_b64 exec, exec, s[26:27]
.LBB206_1119:                           ;   in Loop: Header=BB206_809 Depth=1
	s_or_b64 exec, exec, s[24:25]
.LBB206_1120:                           ;   in Loop: Header=BB206_809 Depth=1
	s_or_b64 exec, exec, s[22:23]
	v_or_b32_e32 v6, v20, v18
	v_or_b32_e32 v7, v19, v17
	v_mul_f32_e32 v6, v30, v6
	buffer_store_dword v6, off, s[0:3], s32 offset:452 ; 4-byte Folded Spill
	v_mul_f32_e32 v6, v30, v7
	buffer_store_dword v6, off, s[0:3], s32 offset:436 ; 4-byte Folded Spill
	v_or_b32_e32 v6, v24, v22
	v_or_b32_e32 v7, v23, v21
	v_mul_f32_e32 v7, v30, v7
	v_mul_f32_e32 v6, v30, v6
	buffer_store_dword v7, off, s[0:3], s32 offset:444 ; 4-byte Folded Spill
	buffer_store_dword v6, off, s[0:3], s32 offset:428 ; 4-byte Folded Spill
	s_and_saveexec_b64 s[22:23], s[4:5]
	s_cbranch_execz .LBB206_1122
; %bb.1121:                             ;   in Loop: Header=BB206_809 Depth=1
	buffer_load_dword v6, off, s[0:3], s32 offset:72 ; 4-byte Folded Reload
	buffer_load_dword v7, off, s[0:3], s32 offset:436 ; 4-byte Folded Reload
	s_waitcnt vmcnt(1)
	v_cmp_lt_i32_e32 vcc, v35, v6
	s_waitcnt vmcnt(0)
	v_cndmask_b32_e32 v7, 0, v7, vcc
	buffer_store_dword v7, off, s[0:3], s32 offset:436 ; 4-byte Folded Spill
	buffer_load_dword v7, off, s[0:3], s32 offset:452 ; 4-byte Folded Reload
	v_cmp_lt_i32_e32 vcc, v38, v6
	s_waitcnt vmcnt(0)
	v_cndmask_b32_e32 v7, 0, v7, vcc
	buffer_store_dword v7, off, s[0:3], s32 offset:452 ; 4-byte Folded Spill
	buffer_load_dword v7, off, s[0:3], s32 offset:444 ; 4-byte Folded Reload
	v_cmp_lt_i32_e32 vcc, v37, v6
	s_waitcnt vmcnt(0)
	v_cndmask_b32_e32 v7, 0, v7, vcc
	v_cmp_lt_i32_e32 vcc, v36, v6
	buffer_load_dword v6, off, s[0:3], s32 offset:428 ; 4-byte Folded Reload
	s_waitcnt vmcnt(0)
	v_cndmask_b32_e32 v6, 0, v6, vcc
	buffer_store_dword v7, off, s[0:3], s32 offset:444 ; 4-byte Folded Spill
	buffer_store_dword v6, off, s[0:3], s32 offset:428 ; 4-byte Folded Spill
.LBB206_1122:                           ;   in Loop: Header=BB206_809 Depth=1
	s_or_b64 exec, exec, s[22:23]
	flat_load_dword v16, v[14:15] offset:3072
	v_mov_b32_e32 v19, 0
	v_mov_b32_e32 v17, 0
	;; [unrolled: 1-line block ×4, first 2 shown]
	s_waitcnt vmcnt(0) lgkmcnt(0)
	v_cmp_ne_u16_sdwa s[24:25], v16, v8 src0_sel:BYTE_0 src1_sel:DWORD
	s_and_saveexec_b64 s[22:23], s[24:25]
	s_cbranch_execz .LBB206_1128
; %bb.1123:                             ;   in Loop: Header=BB206_809 Depth=1
	v_bfrev_b32_e32 v17, 1
	v_mov_b32_e32 v18, 0
	v_cmp_ne_u16_sdwa s[26:27], v16, s28 src0_sel:BYTE_0 src1_sel:DWORD
	s_and_saveexec_b64 s[24:25], s[26:27]
	s_cbranch_execz .LBB206_1127
; %bb.1124:                             ;   in Loop: Header=BB206_809 Depth=1
	v_and_b32_e32 v6, 0x7f, v16
	v_mov_b32_e32 v17, 0x7f800001
	v_mov_b32_e32 v18, 0
	v_cmp_ne_u32_e32 vcc, s29, v6
	s_and_saveexec_b64 s[26:27], vcc
	s_cbranch_execz .LBB206_1126
; %bb.1125:                             ;   in Loop: Header=BB206_809 Depth=1
	v_and_b32_e32 v12, 7, v16
	v_lshrrev_b32_e32 v17, 3, v6
	v_cmp_gt_u32_e32 vcc, 8, v6
	v_ffbh_u32_e32 v6, v12
	v_min_u32_e32 v18, 32, v6
	v_subrev_u32_e32 v6, 28, v18
	v_lshlrev_b64 v[6:7], v6, v[16:17]
	v_sub_u32_e32 v7, 29, v18
	v_and_b32_e32 v6, 7, v6
	v_cndmask_b32_e32 v7, v17, v7, vcc
	v_cndmask_b32_e32 v6, v12, v6, vcc
	v_lshlrev_b32_e32 v6, 20, v6
	v_and_b32_sdwa v12, sext(v16), s40 dst_sel:DWORD dst_unused:UNUSED_PAD src0_sel:BYTE_0 src1_sel:DWORD
	v_lshl_add_u32 v7, v7, 23, v27
	v_or3_b32 v17, v12, v7, v6
	v_mov_b32_e32 v18, v8
.LBB206_1126:                           ;   in Loop: Header=BB206_809 Depth=1
	s_or_b64 exec, exec, s[26:27]
.LBB206_1127:                           ;   in Loop: Header=BB206_809 Depth=1
	s_or_b64 exec, exec, s[24:25]
.LBB206_1128:                           ;   in Loop: Header=BB206_809 Depth=1
	s_or_b64 exec, exec, s[22:23]
	v_cmp_ne_u16_sdwa s[24:25], v16, v8 src0_sel:BYTE_1 src1_sel:DWORD
	s_and_saveexec_b64 s[22:23], s[24:25]
	s_cbranch_execz .LBB206_1134
; %bb.1129:                             ;   in Loop: Header=BB206_809 Depth=1
	v_mov_b32_e32 v20, v9
	v_cmp_ne_u16_sdwa s[26:27], v16, s28 src0_sel:BYTE_1 src1_sel:DWORD
	v_mov_b32_e32 v19, v8
	s_and_saveexec_b64 s[24:25], s[26:27]
	s_cbranch_execz .LBB206_1133
; %bb.1130:                             ;   in Loop: Header=BB206_809 Depth=1
	v_and_b32_sdwa v6, v16, s29 dst_sel:DWORD dst_unused:UNUSED_PAD src0_sel:BYTE_1 src1_sel:DWORD
	v_mov_b32_e32 v12, v8
	v_mov_b32_e32 v20, v13
	v_cmp_ne_u32_e32 vcc, s29, v6
	v_mov_b32_e32 v19, v12
	s_and_saveexec_b64 s[26:27], vcc
	s_cbranch_execz .LBB206_1132
; %bb.1131:                             ;   in Loop: Header=BB206_809 Depth=1
	v_mov_b32_e32 v7, 7
	v_and_b32_sdwa v19, v16, v7 dst_sel:DWORD dst_unused:UNUSED_PAD src0_sel:BYTE_1 src1_sel:DWORD
	v_lshrrev_b32_e32 v12, 3, v6
	v_cmp_gt_u32_e32 vcc, 8, v6
	v_ffbh_u32_e32 v6, v19
	v_min_u32_e32 v21, 32, v6
	v_mov_b32_e32 v20, v8
	v_subrev_u32_e32 v6, 28, v21
	v_lshlrev_b64 v[6:7], v6, v[19:20]
	v_sub_u32_e32 v7, 29, v21
	v_and_b32_e32 v6, 7, v6
	v_cndmask_b32_e32 v7, v12, v7, vcc
	v_cndmask_b32_e32 v6, v19, v6, vcc
	v_lshlrev_b32_e32 v12, 16, v16
	v_lshl_add_u32 v7, v7, 23, v27
	v_and_or_b32 v7, v12, s40, v7
	v_lshlrev_b32_e32 v6, 20, v6
	v_or_b32_e32 v20, v7, v6
	v_mov_b32_e32 v19, v8
.LBB206_1132:                           ;   in Loop: Header=BB206_809 Depth=1
	s_or_b64 exec, exec, s[26:27]
.LBB206_1133:                           ;   in Loop: Header=BB206_809 Depth=1
	s_or_b64 exec, exec, s[24:25]
.LBB206_1134:                           ;   in Loop: Header=BB206_809 Depth=1
	s_or_b64 exec, exec, s[22:23]
	v_lshrrev_b32_e32 v12, 16, v16
	v_mov_b32_e32 v23, 0
	v_mov_b32_e32 v21, 0
	;; [unrolled: 1-line block ×4, first 2 shown]
	v_cmp_ne_u16_sdwa s[24:25], v12, v8 src0_sel:BYTE_0 src1_sel:DWORD
	s_and_saveexec_b64 s[22:23], s[24:25]
	s_cbranch_execz .LBB206_1140
; %bb.1135:                             ;   in Loop: Header=BB206_809 Depth=1
	v_bfrev_b32_e32 v21, 1
	v_mov_b32_e32 v22, 0
	v_cmp_ne_u16_sdwa s[26:27], v12, s28 src0_sel:BYTE_0 src1_sel:DWORD
	s_and_saveexec_b64 s[24:25], s[26:27]
	s_cbranch_execz .LBB206_1139
; %bb.1136:                             ;   in Loop: Header=BB206_809 Depth=1
	v_bfe_u32 v6, v16, 16, 7
	v_mov_b32_e32 v21, 0x7f800001
	v_mov_b32_e32 v22, 0
	v_cmp_ne_u32_e32 vcc, s29, v6
	s_and_saveexec_b64 s[26:27], vcc
	s_cbranch_execz .LBB206_1138
; %bb.1137:                             ;   in Loop: Header=BB206_809 Depth=1
	v_and_b32_e32 v21, 7, v12
	v_lshrrev_b32_e32 v22, 3, v6
	v_cmp_gt_u32_e32 vcc, 8, v6
	v_ffbh_u32_e32 v6, v21
	v_min_u32_e32 v26, 32, v6
	v_subrev_u32_e32 v6, 28, v26
	v_lshlrev_b64 v[6:7], v6, v[12:13]
	v_sub_u32_e32 v7, 29, v26
	v_and_b32_e32 v6, 7, v6
	v_cndmask_b32_e32 v7, v22, v7, vcc
	v_cndmask_b32_e32 v6, v21, v6, vcc
	v_lshlrev_b32_e32 v6, 20, v6
	v_and_b32_sdwa v12, sext(v12), s40 dst_sel:DWORD dst_unused:UNUSED_PAD src0_sel:BYTE_0 src1_sel:DWORD
	v_lshl_add_u32 v7, v7, 23, v27
	v_or3_b32 v21, v12, v7, v6
	v_mov_b32_e32 v22, v8
.LBB206_1138:                           ;   in Loop: Header=BB206_809 Depth=1
	s_or_b64 exec, exec, s[26:27]
.LBB206_1139:                           ;   in Loop: Header=BB206_809 Depth=1
	s_or_b64 exec, exec, s[24:25]
.LBB206_1140:                           ;   in Loop: Header=BB206_809 Depth=1
	s_or_b64 exec, exec, s[22:23]
	v_cmp_lt_u32_e32 vcc, s41, v16
	s_and_saveexec_b64 s[22:23], vcc
	s_cbranch_execz .LBB206_1146
; %bb.1141:                             ;   in Loop: Header=BB206_809 Depth=1
	v_mov_b32_e32 v24, v9
	v_cmp_ne_u32_sdwa s[26:27], v16, s28 src0_sel:BYTE_3 src1_sel:DWORD
	v_mov_b32_e32 v23, v8
	s_and_saveexec_b64 s[24:25], s[26:27]
	s_cbranch_execz .LBB206_1145
; %bb.1142:                             ;   in Loop: Header=BB206_809 Depth=1
	v_bfe_u32 v6, v16, 24, 7
	v_mov_b32_e32 v12, v8
	v_mov_b32_e32 v24, v13
	v_cmp_ne_u32_e32 vcc, s29, v6
	v_mov_b32_e32 v23, v12
	s_and_saveexec_b64 s[26:27], vcc
	s_cbranch_execz .LBB206_1144
; %bb.1143:                             ;   in Loop: Header=BB206_809 Depth=1
	v_mov_b32_e32 v7, 7
	v_and_b32_sdwa v23, v16, v7 dst_sel:DWORD dst_unused:UNUSED_PAD src0_sel:BYTE_3 src1_sel:DWORD
	v_lshrrev_b32_e32 v12, 3, v6
	v_cmp_gt_u32_e32 vcc, 8, v6
	v_ffbh_u32_e32 v6, v23
	v_min_u32_e32 v26, 32, v6
	v_mov_b32_e32 v24, v8
	v_subrev_u32_e32 v6, 28, v26
	v_lshlrev_b64 v[6:7], v6, v[23:24]
	v_sub_u32_e32 v7, 29, v26
	v_and_b32_e32 v6, 7, v6
	v_cndmask_b32_e32 v7, v12, v7, vcc
	v_mov_b32_e32 v12, 24
	v_cndmask_b32_e32 v6, v23, v6, vcc
	v_lshlrev_b32_sdwa v12, v12, v16 dst_sel:DWORD dst_unused:UNUSED_PAD src0_sel:DWORD src1_sel:BYTE_3
	v_lshl_add_u32 v7, v7, 23, v27
	v_and_or_b32 v7, v12, s40, v7
	v_lshlrev_b32_e32 v6, 20, v6
	v_or_b32_e32 v24, v7, v6
	v_mov_b32_e32 v23, v8
.LBB206_1144:                           ;   in Loop: Header=BB206_809 Depth=1
	s_or_b64 exec, exec, s[26:27]
.LBB206_1145:                           ;   in Loop: Header=BB206_809 Depth=1
	s_or_b64 exec, exec, s[24:25]
.LBB206_1146:                           ;   in Loop: Header=BB206_809 Depth=1
	s_or_b64 exec, exec, s[22:23]
	v_or_b32_e32 v6, v20, v18
	v_or_b32_e32 v7, v19, v17
	v_mul_f32_e32 v6, v30, v6
	buffer_store_dword v6, off, s[0:3], s32 offset:484 ; 4-byte Folded Spill
	v_mul_f32_e32 v6, v30, v7
	buffer_store_dword v6, off, s[0:3], s32 offset:468 ; 4-byte Folded Spill
	v_or_b32_e32 v6, v24, v22
	v_or_b32_e32 v7, v23, v21
	v_mul_f32_e32 v7, v30, v7
	v_mul_f32_e32 v6, v30, v6
	buffer_store_dword v7, off, s[0:3], s32 offset:476 ; 4-byte Folded Spill
	buffer_store_dword v6, off, s[0:3], s32 offset:460 ; 4-byte Folded Spill
	s_and_saveexec_b64 s[22:23], s[4:5]
	s_cbranch_execz .LBB206_1148
; %bb.1147:                             ;   in Loop: Header=BB206_809 Depth=1
	buffer_load_dword v6, off, s[0:3], s32 offset:72 ; 4-byte Folded Reload
	buffer_load_dword v7, off, s[0:3], s32 offset:468 ; 4-byte Folded Reload
	s_waitcnt vmcnt(1)
	v_cmp_lt_i32_e32 vcc, v35, v6
	s_waitcnt vmcnt(0)
	v_cndmask_b32_e32 v7, 0, v7, vcc
	buffer_store_dword v7, off, s[0:3], s32 offset:468 ; 4-byte Folded Spill
	buffer_load_dword v7, off, s[0:3], s32 offset:484 ; 4-byte Folded Reload
	v_cmp_lt_i32_e32 vcc, v38, v6
	s_waitcnt vmcnt(0)
	v_cndmask_b32_e32 v7, 0, v7, vcc
	buffer_store_dword v7, off, s[0:3], s32 offset:484 ; 4-byte Folded Spill
	buffer_load_dword v7, off, s[0:3], s32 offset:476 ; 4-byte Folded Reload
	v_cmp_lt_i32_e32 vcc, v37, v6
	s_waitcnt vmcnt(0)
	v_cndmask_b32_e32 v7, 0, v7, vcc
	v_cmp_lt_i32_e32 vcc, v36, v6
	buffer_load_dword v6, off, s[0:3], s32 offset:460 ; 4-byte Folded Reload
	s_waitcnt vmcnt(0)
	v_cndmask_b32_e32 v6, 0, v6, vcc
	buffer_store_dword v7, off, s[0:3], s32 offset:476 ; 4-byte Folded Spill
	buffer_store_dword v6, off, s[0:3], s32 offset:460 ; 4-byte Folded Spill
.LBB206_1148:                           ;   in Loop: Header=BB206_809 Depth=1
	s_or_b64 exec, exec, s[22:23]
	flat_load_dword v16, v[14:15] offset:3328
	v_mov_b32_e32 v19, 0
	v_mov_b32_e32 v17, 0
	;; [unrolled: 1-line block ×4, first 2 shown]
	s_waitcnt vmcnt(0) lgkmcnt(0)
	v_cmp_ne_u16_sdwa s[24:25], v16, v8 src0_sel:BYTE_0 src1_sel:DWORD
	s_and_saveexec_b64 s[22:23], s[24:25]
	s_cbranch_execz .LBB206_1154
; %bb.1149:                             ;   in Loop: Header=BB206_809 Depth=1
	v_bfrev_b32_e32 v17, 1
	v_mov_b32_e32 v18, 0
	v_cmp_ne_u16_sdwa s[26:27], v16, s28 src0_sel:BYTE_0 src1_sel:DWORD
	s_and_saveexec_b64 s[24:25], s[26:27]
	s_cbranch_execz .LBB206_1153
; %bb.1150:                             ;   in Loop: Header=BB206_809 Depth=1
	v_and_b32_e32 v6, 0x7f, v16
	v_mov_b32_e32 v17, 0x7f800001
	v_mov_b32_e32 v18, 0
	v_cmp_ne_u32_e32 vcc, s29, v6
	s_and_saveexec_b64 s[26:27], vcc
	s_cbranch_execz .LBB206_1152
; %bb.1151:                             ;   in Loop: Header=BB206_809 Depth=1
	v_and_b32_e32 v12, 7, v16
	v_lshrrev_b32_e32 v17, 3, v6
	v_cmp_gt_u32_e32 vcc, 8, v6
	v_ffbh_u32_e32 v6, v12
	v_min_u32_e32 v18, 32, v6
	v_subrev_u32_e32 v6, 28, v18
	v_lshlrev_b64 v[6:7], v6, v[16:17]
	v_sub_u32_e32 v7, 29, v18
	v_and_b32_e32 v6, 7, v6
	v_cndmask_b32_e32 v7, v17, v7, vcc
	v_cndmask_b32_e32 v6, v12, v6, vcc
	v_lshlrev_b32_e32 v6, 20, v6
	v_and_b32_sdwa v12, sext(v16), s40 dst_sel:DWORD dst_unused:UNUSED_PAD src0_sel:BYTE_0 src1_sel:DWORD
	v_lshl_add_u32 v7, v7, 23, v27
	v_or3_b32 v17, v12, v7, v6
	v_mov_b32_e32 v18, v8
.LBB206_1152:                           ;   in Loop: Header=BB206_809 Depth=1
	s_or_b64 exec, exec, s[26:27]
.LBB206_1153:                           ;   in Loop: Header=BB206_809 Depth=1
	s_or_b64 exec, exec, s[24:25]
.LBB206_1154:                           ;   in Loop: Header=BB206_809 Depth=1
	s_or_b64 exec, exec, s[22:23]
	v_cmp_ne_u16_sdwa s[24:25], v16, v8 src0_sel:BYTE_1 src1_sel:DWORD
	s_and_saveexec_b64 s[22:23], s[24:25]
	s_cbranch_execz .LBB206_1160
; %bb.1155:                             ;   in Loop: Header=BB206_809 Depth=1
	v_mov_b32_e32 v20, v9
	v_cmp_ne_u16_sdwa s[26:27], v16, s28 src0_sel:BYTE_1 src1_sel:DWORD
	v_mov_b32_e32 v19, v8
	s_and_saveexec_b64 s[24:25], s[26:27]
	s_cbranch_execz .LBB206_1159
; %bb.1156:                             ;   in Loop: Header=BB206_809 Depth=1
	v_and_b32_sdwa v6, v16, s29 dst_sel:DWORD dst_unused:UNUSED_PAD src0_sel:BYTE_1 src1_sel:DWORD
	v_mov_b32_e32 v12, v8
	v_mov_b32_e32 v20, v13
	v_cmp_ne_u32_e32 vcc, s29, v6
	v_mov_b32_e32 v19, v12
	s_and_saveexec_b64 s[26:27], vcc
	s_cbranch_execz .LBB206_1158
; %bb.1157:                             ;   in Loop: Header=BB206_809 Depth=1
	v_mov_b32_e32 v7, 7
	v_and_b32_sdwa v19, v16, v7 dst_sel:DWORD dst_unused:UNUSED_PAD src0_sel:BYTE_1 src1_sel:DWORD
	v_lshrrev_b32_e32 v12, 3, v6
	v_cmp_gt_u32_e32 vcc, 8, v6
	v_ffbh_u32_e32 v6, v19
	v_min_u32_e32 v21, 32, v6
	v_mov_b32_e32 v20, v8
	v_subrev_u32_e32 v6, 28, v21
	v_lshlrev_b64 v[6:7], v6, v[19:20]
	v_sub_u32_e32 v7, 29, v21
	v_and_b32_e32 v6, 7, v6
	v_cndmask_b32_e32 v7, v12, v7, vcc
	v_cndmask_b32_e32 v6, v19, v6, vcc
	v_lshlrev_b32_e32 v12, 16, v16
	v_lshl_add_u32 v7, v7, 23, v27
	v_and_or_b32 v7, v12, s40, v7
	v_lshlrev_b32_e32 v6, 20, v6
	v_or_b32_e32 v20, v7, v6
	v_mov_b32_e32 v19, v8
.LBB206_1158:                           ;   in Loop: Header=BB206_809 Depth=1
	s_or_b64 exec, exec, s[26:27]
.LBB206_1159:                           ;   in Loop: Header=BB206_809 Depth=1
	s_or_b64 exec, exec, s[24:25]
.LBB206_1160:                           ;   in Loop: Header=BB206_809 Depth=1
	s_or_b64 exec, exec, s[22:23]
	v_lshrrev_b32_e32 v12, 16, v16
	v_mov_b32_e32 v23, 0
	v_mov_b32_e32 v21, 0
	;; [unrolled: 1-line block ×4, first 2 shown]
	v_cmp_ne_u16_sdwa s[24:25], v12, v8 src0_sel:BYTE_0 src1_sel:DWORD
	s_and_saveexec_b64 s[22:23], s[24:25]
	s_cbranch_execz .LBB206_1166
; %bb.1161:                             ;   in Loop: Header=BB206_809 Depth=1
	v_bfrev_b32_e32 v21, 1
	v_mov_b32_e32 v22, 0
	v_cmp_ne_u16_sdwa s[26:27], v12, s28 src0_sel:BYTE_0 src1_sel:DWORD
	s_and_saveexec_b64 s[24:25], s[26:27]
	s_cbranch_execz .LBB206_1165
; %bb.1162:                             ;   in Loop: Header=BB206_809 Depth=1
	v_bfe_u32 v6, v16, 16, 7
	v_mov_b32_e32 v21, 0x7f800001
	v_mov_b32_e32 v22, 0
	v_cmp_ne_u32_e32 vcc, s29, v6
	s_and_saveexec_b64 s[26:27], vcc
	s_cbranch_execz .LBB206_1164
; %bb.1163:                             ;   in Loop: Header=BB206_809 Depth=1
	v_and_b32_e32 v21, 7, v12
	v_lshrrev_b32_e32 v22, 3, v6
	v_cmp_gt_u32_e32 vcc, 8, v6
	v_ffbh_u32_e32 v6, v21
	v_min_u32_e32 v26, 32, v6
	v_subrev_u32_e32 v6, 28, v26
	v_lshlrev_b64 v[6:7], v6, v[12:13]
	v_sub_u32_e32 v7, 29, v26
	v_and_b32_e32 v6, 7, v6
	v_cndmask_b32_e32 v7, v22, v7, vcc
	v_cndmask_b32_e32 v6, v21, v6, vcc
	v_lshlrev_b32_e32 v6, 20, v6
	v_and_b32_sdwa v12, sext(v12), s40 dst_sel:DWORD dst_unused:UNUSED_PAD src0_sel:BYTE_0 src1_sel:DWORD
	v_lshl_add_u32 v7, v7, 23, v27
	v_or3_b32 v21, v12, v7, v6
	v_mov_b32_e32 v22, v8
.LBB206_1164:                           ;   in Loop: Header=BB206_809 Depth=1
	s_or_b64 exec, exec, s[26:27]
.LBB206_1165:                           ;   in Loop: Header=BB206_809 Depth=1
	s_or_b64 exec, exec, s[24:25]
.LBB206_1166:                           ;   in Loop: Header=BB206_809 Depth=1
	s_or_b64 exec, exec, s[22:23]
	v_cmp_lt_u32_e32 vcc, s41, v16
	s_and_saveexec_b64 s[22:23], vcc
	s_cbranch_execz .LBB206_1172
; %bb.1167:                             ;   in Loop: Header=BB206_809 Depth=1
	v_mov_b32_e32 v24, v9
	v_cmp_ne_u32_sdwa s[26:27], v16, s28 src0_sel:BYTE_3 src1_sel:DWORD
	v_mov_b32_e32 v23, v8
	s_and_saveexec_b64 s[24:25], s[26:27]
	s_cbranch_execz .LBB206_1171
; %bb.1168:                             ;   in Loop: Header=BB206_809 Depth=1
	v_bfe_u32 v6, v16, 24, 7
	v_mov_b32_e32 v12, v8
	v_mov_b32_e32 v24, v13
	v_cmp_ne_u32_e32 vcc, s29, v6
	v_mov_b32_e32 v23, v12
	s_and_saveexec_b64 s[26:27], vcc
	s_cbranch_execz .LBB206_1170
; %bb.1169:                             ;   in Loop: Header=BB206_809 Depth=1
	v_mov_b32_e32 v7, 7
	v_and_b32_sdwa v23, v16, v7 dst_sel:DWORD dst_unused:UNUSED_PAD src0_sel:BYTE_3 src1_sel:DWORD
	v_lshrrev_b32_e32 v12, 3, v6
	v_cmp_gt_u32_e32 vcc, 8, v6
	v_ffbh_u32_e32 v6, v23
	v_min_u32_e32 v26, 32, v6
	v_mov_b32_e32 v24, v8
	v_subrev_u32_e32 v6, 28, v26
	v_lshlrev_b64 v[6:7], v6, v[23:24]
	v_sub_u32_e32 v7, 29, v26
	v_and_b32_e32 v6, 7, v6
	v_cndmask_b32_e32 v7, v12, v7, vcc
	v_mov_b32_e32 v12, 24
	v_cndmask_b32_e32 v6, v23, v6, vcc
	v_lshlrev_b32_sdwa v12, v12, v16 dst_sel:DWORD dst_unused:UNUSED_PAD src0_sel:DWORD src1_sel:BYTE_3
	v_lshl_add_u32 v7, v7, 23, v27
	v_and_or_b32 v7, v12, s40, v7
	v_lshlrev_b32_e32 v6, 20, v6
	v_or_b32_e32 v24, v7, v6
	v_mov_b32_e32 v23, v8
.LBB206_1170:                           ;   in Loop: Header=BB206_809 Depth=1
	s_or_b64 exec, exec, s[26:27]
.LBB206_1171:                           ;   in Loop: Header=BB206_809 Depth=1
	s_or_b64 exec, exec, s[24:25]
.LBB206_1172:                           ;   in Loop: Header=BB206_809 Depth=1
	s_or_b64 exec, exec, s[22:23]
	v_or_b32_e32 v6, v20, v18
	v_or_b32_e32 v7, v19, v17
	v_mul_f32_e32 v6, v30, v6
	buffer_store_dword v6, off, s[0:3], s32 offset:516 ; 4-byte Folded Spill
	v_mul_f32_e32 v6, v30, v7
	buffer_store_dword v6, off, s[0:3], s32 offset:500 ; 4-byte Folded Spill
	v_or_b32_e32 v6, v24, v22
	v_or_b32_e32 v7, v23, v21
	v_mul_f32_e32 v7, v30, v7
	v_mul_f32_e32 v6, v30, v6
	buffer_store_dword v7, off, s[0:3], s32 offset:508 ; 4-byte Folded Spill
	buffer_store_dword v6, off, s[0:3], s32 offset:492 ; 4-byte Folded Spill
	s_and_saveexec_b64 s[22:23], s[4:5]
	s_cbranch_execz .LBB206_1174
; %bb.1173:                             ;   in Loop: Header=BB206_809 Depth=1
	buffer_load_dword v6, off, s[0:3], s32 offset:72 ; 4-byte Folded Reload
	buffer_load_dword v7, off, s[0:3], s32 offset:500 ; 4-byte Folded Reload
	s_waitcnt vmcnt(1)
	v_cmp_lt_i32_e32 vcc, v35, v6
	s_waitcnt vmcnt(0)
	v_cndmask_b32_e32 v7, 0, v7, vcc
	buffer_store_dword v7, off, s[0:3], s32 offset:500 ; 4-byte Folded Spill
	buffer_load_dword v7, off, s[0:3], s32 offset:516 ; 4-byte Folded Reload
	v_cmp_lt_i32_e32 vcc, v38, v6
	s_waitcnt vmcnt(0)
	v_cndmask_b32_e32 v7, 0, v7, vcc
	buffer_store_dword v7, off, s[0:3], s32 offset:516 ; 4-byte Folded Spill
	buffer_load_dword v7, off, s[0:3], s32 offset:508 ; 4-byte Folded Reload
	v_cmp_lt_i32_e32 vcc, v37, v6
	s_waitcnt vmcnt(0)
	v_cndmask_b32_e32 v7, 0, v7, vcc
	v_cmp_lt_i32_e32 vcc, v36, v6
	buffer_load_dword v6, off, s[0:3], s32 offset:492 ; 4-byte Folded Reload
	s_waitcnt vmcnt(0)
	v_cndmask_b32_e32 v6, 0, v6, vcc
	buffer_store_dword v7, off, s[0:3], s32 offset:508 ; 4-byte Folded Spill
	buffer_store_dword v6, off, s[0:3], s32 offset:492 ; 4-byte Folded Spill
.LBB206_1174:                           ;   in Loop: Header=BB206_809 Depth=1
	s_or_b64 exec, exec, s[22:23]
	flat_load_dword v16, v[14:15] offset:3584
	v_mov_b32_e32 v19, 0
	v_mov_b32_e32 v17, 0
	v_mov_b32_e32 v20, 0
	v_mov_b32_e32 v18, 0
	s_waitcnt vmcnt(0) lgkmcnt(0)
	v_cmp_ne_u16_sdwa s[24:25], v16, v8 src0_sel:BYTE_0 src1_sel:DWORD
	s_and_saveexec_b64 s[22:23], s[24:25]
	s_cbranch_execz .LBB206_1180
; %bb.1175:                             ;   in Loop: Header=BB206_809 Depth=1
	v_bfrev_b32_e32 v17, 1
	v_mov_b32_e32 v18, 0
	v_cmp_ne_u16_sdwa s[26:27], v16, s28 src0_sel:BYTE_0 src1_sel:DWORD
	s_and_saveexec_b64 s[24:25], s[26:27]
	s_cbranch_execz .LBB206_1179
; %bb.1176:                             ;   in Loop: Header=BB206_809 Depth=1
	v_and_b32_e32 v6, 0x7f, v16
	v_mov_b32_e32 v17, 0x7f800001
	v_mov_b32_e32 v18, 0
	v_cmp_ne_u32_e32 vcc, s29, v6
	s_and_saveexec_b64 s[26:27], vcc
	s_cbranch_execz .LBB206_1178
; %bb.1177:                             ;   in Loop: Header=BB206_809 Depth=1
	v_and_b32_e32 v12, 7, v16
	v_lshrrev_b32_e32 v17, 3, v6
	v_cmp_gt_u32_e32 vcc, 8, v6
	v_ffbh_u32_e32 v6, v12
	v_min_u32_e32 v18, 32, v6
	v_subrev_u32_e32 v6, 28, v18
	v_lshlrev_b64 v[6:7], v6, v[16:17]
	v_sub_u32_e32 v7, 29, v18
	v_and_b32_e32 v6, 7, v6
	v_cndmask_b32_e32 v7, v17, v7, vcc
	v_cndmask_b32_e32 v6, v12, v6, vcc
	v_lshlrev_b32_e32 v6, 20, v6
	v_and_b32_sdwa v12, sext(v16), s40 dst_sel:DWORD dst_unused:UNUSED_PAD src0_sel:BYTE_0 src1_sel:DWORD
	v_lshl_add_u32 v7, v7, 23, v27
	v_or3_b32 v17, v12, v7, v6
	v_mov_b32_e32 v18, v8
.LBB206_1178:                           ;   in Loop: Header=BB206_809 Depth=1
	s_or_b64 exec, exec, s[26:27]
.LBB206_1179:                           ;   in Loop: Header=BB206_809 Depth=1
	s_or_b64 exec, exec, s[24:25]
.LBB206_1180:                           ;   in Loop: Header=BB206_809 Depth=1
	s_or_b64 exec, exec, s[22:23]
	v_cmp_ne_u16_sdwa s[24:25], v16, v8 src0_sel:BYTE_1 src1_sel:DWORD
	s_and_saveexec_b64 s[22:23], s[24:25]
	s_cbranch_execz .LBB206_1186
; %bb.1181:                             ;   in Loop: Header=BB206_809 Depth=1
	v_mov_b32_e32 v20, v9
	v_cmp_ne_u16_sdwa s[26:27], v16, s28 src0_sel:BYTE_1 src1_sel:DWORD
	v_mov_b32_e32 v19, v8
	s_and_saveexec_b64 s[24:25], s[26:27]
	s_cbranch_execz .LBB206_1185
; %bb.1182:                             ;   in Loop: Header=BB206_809 Depth=1
	v_and_b32_sdwa v6, v16, s29 dst_sel:DWORD dst_unused:UNUSED_PAD src0_sel:BYTE_1 src1_sel:DWORD
	v_mov_b32_e32 v12, v8
	v_mov_b32_e32 v20, v13
	v_cmp_ne_u32_e32 vcc, s29, v6
	v_mov_b32_e32 v19, v12
	s_and_saveexec_b64 s[26:27], vcc
	s_cbranch_execz .LBB206_1184
; %bb.1183:                             ;   in Loop: Header=BB206_809 Depth=1
	v_mov_b32_e32 v7, 7
	v_and_b32_sdwa v19, v16, v7 dst_sel:DWORD dst_unused:UNUSED_PAD src0_sel:BYTE_1 src1_sel:DWORD
	v_lshrrev_b32_e32 v12, 3, v6
	v_cmp_gt_u32_e32 vcc, 8, v6
	v_ffbh_u32_e32 v6, v19
	v_min_u32_e32 v21, 32, v6
	v_mov_b32_e32 v20, v8
	v_subrev_u32_e32 v6, 28, v21
	v_lshlrev_b64 v[6:7], v6, v[19:20]
	v_sub_u32_e32 v7, 29, v21
	v_and_b32_e32 v6, 7, v6
	v_cndmask_b32_e32 v7, v12, v7, vcc
	v_cndmask_b32_e32 v6, v19, v6, vcc
	v_lshlrev_b32_e32 v12, 16, v16
	v_lshl_add_u32 v7, v7, 23, v27
	v_and_or_b32 v7, v12, s40, v7
	v_lshlrev_b32_e32 v6, 20, v6
	v_or_b32_e32 v20, v7, v6
	v_mov_b32_e32 v19, v8
.LBB206_1184:                           ;   in Loop: Header=BB206_809 Depth=1
	s_or_b64 exec, exec, s[26:27]
.LBB206_1185:                           ;   in Loop: Header=BB206_809 Depth=1
	s_or_b64 exec, exec, s[24:25]
.LBB206_1186:                           ;   in Loop: Header=BB206_809 Depth=1
	s_or_b64 exec, exec, s[22:23]
	v_lshrrev_b32_e32 v12, 16, v16
	v_mov_b32_e32 v23, 0
	v_mov_b32_e32 v21, 0
	v_mov_b32_e32 v24, 0
	v_mov_b32_e32 v22, 0
	v_cmp_ne_u16_sdwa s[24:25], v12, v8 src0_sel:BYTE_0 src1_sel:DWORD
	s_and_saveexec_b64 s[22:23], s[24:25]
	s_cbranch_execz .LBB206_1192
; %bb.1187:                             ;   in Loop: Header=BB206_809 Depth=1
	v_bfrev_b32_e32 v21, 1
	v_mov_b32_e32 v22, 0
	v_cmp_ne_u16_sdwa s[26:27], v12, s28 src0_sel:BYTE_0 src1_sel:DWORD
	s_and_saveexec_b64 s[24:25], s[26:27]
	s_cbranch_execz .LBB206_1191
; %bb.1188:                             ;   in Loop: Header=BB206_809 Depth=1
	v_bfe_u32 v6, v16, 16, 7
	v_mov_b32_e32 v21, 0x7f800001
	v_mov_b32_e32 v22, 0
	v_cmp_ne_u32_e32 vcc, s29, v6
	s_and_saveexec_b64 s[26:27], vcc
	s_cbranch_execz .LBB206_1190
; %bb.1189:                             ;   in Loop: Header=BB206_809 Depth=1
	v_and_b32_e32 v21, 7, v12
	v_lshrrev_b32_e32 v22, 3, v6
	v_cmp_gt_u32_e32 vcc, 8, v6
	v_ffbh_u32_e32 v6, v21
	v_min_u32_e32 v26, 32, v6
	v_subrev_u32_e32 v6, 28, v26
	v_lshlrev_b64 v[6:7], v6, v[12:13]
	v_sub_u32_e32 v7, 29, v26
	v_and_b32_e32 v6, 7, v6
	v_cndmask_b32_e32 v7, v22, v7, vcc
	v_cndmask_b32_e32 v6, v21, v6, vcc
	v_lshlrev_b32_e32 v6, 20, v6
	v_and_b32_sdwa v12, sext(v12), s40 dst_sel:DWORD dst_unused:UNUSED_PAD src0_sel:BYTE_0 src1_sel:DWORD
	v_lshl_add_u32 v7, v7, 23, v27
	v_or3_b32 v21, v12, v7, v6
	v_mov_b32_e32 v22, v8
.LBB206_1190:                           ;   in Loop: Header=BB206_809 Depth=1
	s_or_b64 exec, exec, s[26:27]
.LBB206_1191:                           ;   in Loop: Header=BB206_809 Depth=1
	s_or_b64 exec, exec, s[24:25]
.LBB206_1192:                           ;   in Loop: Header=BB206_809 Depth=1
	s_or_b64 exec, exec, s[22:23]
	v_cmp_lt_u32_e32 vcc, s41, v16
	s_and_saveexec_b64 s[22:23], vcc
	s_cbranch_execz .LBB206_1198
; %bb.1193:                             ;   in Loop: Header=BB206_809 Depth=1
	v_mov_b32_e32 v24, v9
	v_cmp_ne_u32_sdwa s[26:27], v16, s28 src0_sel:BYTE_3 src1_sel:DWORD
	v_mov_b32_e32 v23, v8
	s_and_saveexec_b64 s[24:25], s[26:27]
	s_cbranch_execz .LBB206_1197
; %bb.1194:                             ;   in Loop: Header=BB206_809 Depth=1
	v_bfe_u32 v6, v16, 24, 7
	v_mov_b32_e32 v12, v8
	v_mov_b32_e32 v24, v13
	v_cmp_ne_u32_e32 vcc, s29, v6
	v_mov_b32_e32 v23, v12
	s_and_saveexec_b64 s[26:27], vcc
	s_cbranch_execz .LBB206_1196
; %bb.1195:                             ;   in Loop: Header=BB206_809 Depth=1
	v_mov_b32_e32 v7, 7
	v_and_b32_sdwa v23, v16, v7 dst_sel:DWORD dst_unused:UNUSED_PAD src0_sel:BYTE_3 src1_sel:DWORD
	v_lshrrev_b32_e32 v12, 3, v6
	v_cmp_gt_u32_e32 vcc, 8, v6
	v_ffbh_u32_e32 v6, v23
	v_min_u32_e32 v26, 32, v6
	v_mov_b32_e32 v24, v8
	v_subrev_u32_e32 v6, 28, v26
	v_lshlrev_b64 v[6:7], v6, v[23:24]
	v_sub_u32_e32 v7, 29, v26
	v_and_b32_e32 v6, 7, v6
	v_cndmask_b32_e32 v7, v12, v7, vcc
	v_mov_b32_e32 v12, 24
	v_cndmask_b32_e32 v6, v23, v6, vcc
	v_lshlrev_b32_sdwa v12, v12, v16 dst_sel:DWORD dst_unused:UNUSED_PAD src0_sel:DWORD src1_sel:BYTE_3
	v_lshl_add_u32 v7, v7, 23, v27
	v_and_or_b32 v7, v12, s40, v7
	v_lshlrev_b32_e32 v6, 20, v6
	v_or_b32_e32 v24, v7, v6
	v_mov_b32_e32 v23, v8
.LBB206_1196:                           ;   in Loop: Header=BB206_809 Depth=1
	s_or_b64 exec, exec, s[26:27]
.LBB206_1197:                           ;   in Loop: Header=BB206_809 Depth=1
	s_or_b64 exec, exec, s[24:25]
.LBB206_1198:                           ;   in Loop: Header=BB206_809 Depth=1
	s_or_b64 exec, exec, s[22:23]
	v_or_b32_e32 v6, v20, v18
	v_or_b32_e32 v7, v19, v17
	v_mul_f32_e32 v6, v30, v6
	buffer_store_dword v6, off, s[0:3], s32 offset:548 ; 4-byte Folded Spill
	v_mul_f32_e32 v6, v30, v7
	buffer_store_dword v6, off, s[0:3], s32 offset:532 ; 4-byte Folded Spill
	v_or_b32_e32 v6, v24, v22
	v_or_b32_e32 v7, v23, v21
	v_mul_f32_e32 v7, v30, v7
	v_mul_f32_e32 v6, v30, v6
	buffer_store_dword v7, off, s[0:3], s32 offset:540 ; 4-byte Folded Spill
	buffer_store_dword v6, off, s[0:3], s32 offset:524 ; 4-byte Folded Spill
	s_and_saveexec_b64 s[22:23], s[4:5]
	s_cbranch_execz .LBB206_1200
; %bb.1199:                             ;   in Loop: Header=BB206_809 Depth=1
	buffer_load_dword v6, off, s[0:3], s32 offset:72 ; 4-byte Folded Reload
	buffer_load_dword v7, off, s[0:3], s32 offset:532 ; 4-byte Folded Reload
	s_waitcnt vmcnt(1)
	v_cmp_lt_i32_e32 vcc, v35, v6
	s_waitcnt vmcnt(0)
	v_cndmask_b32_e32 v7, 0, v7, vcc
	buffer_store_dword v7, off, s[0:3], s32 offset:532 ; 4-byte Folded Spill
	buffer_load_dword v7, off, s[0:3], s32 offset:548 ; 4-byte Folded Reload
	v_cmp_lt_i32_e32 vcc, v38, v6
	s_waitcnt vmcnt(0)
	v_cndmask_b32_e32 v7, 0, v7, vcc
	buffer_store_dword v7, off, s[0:3], s32 offset:548 ; 4-byte Folded Spill
	buffer_load_dword v7, off, s[0:3], s32 offset:540 ; 4-byte Folded Reload
	v_cmp_lt_i32_e32 vcc, v37, v6
	s_waitcnt vmcnt(0)
	v_cndmask_b32_e32 v7, 0, v7, vcc
	v_cmp_lt_i32_e32 vcc, v36, v6
	buffer_load_dword v6, off, s[0:3], s32 offset:524 ; 4-byte Folded Reload
	s_waitcnt vmcnt(0)
	v_cndmask_b32_e32 v6, 0, v6, vcc
	buffer_store_dword v7, off, s[0:3], s32 offset:540 ; 4-byte Folded Spill
	buffer_store_dword v6, off, s[0:3], s32 offset:524 ; 4-byte Folded Spill
.LBB206_1200:                           ;   in Loop: Header=BB206_809 Depth=1
	s_or_b64 exec, exec, s[22:23]
	buffer_load_dword v6, off, s[0:3], s32 offset:1136 ; 4-byte Folded Reload
	v_mov_b32_e32 v19, 0
	v_mov_b32_e32 v17, 0
	;; [unrolled: 1-line block ×4, first 2 shown]
	s_waitcnt vmcnt(0)
	v_add_co_u32_e32 v6, vcc, v0, v6
	v_addc_co_u32_e32 v7, vcc, 0, v1, vcc
	flat_load_dword v16, v[6:7]
	s_waitcnt vmcnt(0) lgkmcnt(0)
	v_cmp_ne_u16_sdwa s[24:25], v16, v8 src0_sel:BYTE_0 src1_sel:DWORD
	s_and_saveexec_b64 s[22:23], s[24:25]
	s_cbranch_execz .LBB206_1206
; %bb.1201:                             ;   in Loop: Header=BB206_809 Depth=1
	v_bfrev_b32_e32 v17, 1
	v_mov_b32_e32 v18, 0
	v_cmp_ne_u16_sdwa s[26:27], v16, s28 src0_sel:BYTE_0 src1_sel:DWORD
	s_and_saveexec_b64 s[24:25], s[26:27]
	s_cbranch_execz .LBB206_1205
; %bb.1202:                             ;   in Loop: Header=BB206_809 Depth=1
	v_and_b32_e32 v6, 0x7f, v16
	v_mov_b32_e32 v17, 0x7f800001
	v_mov_b32_e32 v18, 0
	v_cmp_ne_u32_e32 vcc, s29, v6
	s_and_saveexec_b64 s[26:27], vcc
	s_cbranch_execz .LBB206_1204
; %bb.1203:                             ;   in Loop: Header=BB206_809 Depth=1
	v_and_b32_e32 v12, 7, v16
	v_lshrrev_b32_e32 v17, 3, v6
	v_cmp_gt_u32_e32 vcc, 8, v6
	v_ffbh_u32_e32 v6, v12
	v_min_u32_e32 v18, 32, v6
	v_subrev_u32_e32 v6, 28, v18
	v_lshlrev_b64 v[6:7], v6, v[16:17]
	v_sub_u32_e32 v7, 29, v18
	v_and_b32_e32 v6, 7, v6
	v_cndmask_b32_e32 v7, v17, v7, vcc
	v_cndmask_b32_e32 v6, v12, v6, vcc
	v_lshlrev_b32_e32 v6, 20, v6
	v_and_b32_sdwa v12, sext(v16), s40 dst_sel:DWORD dst_unused:UNUSED_PAD src0_sel:BYTE_0 src1_sel:DWORD
	v_lshl_add_u32 v7, v7, 23, v27
	v_or3_b32 v17, v12, v7, v6
	v_mov_b32_e32 v18, v8
.LBB206_1204:                           ;   in Loop: Header=BB206_809 Depth=1
	s_or_b64 exec, exec, s[26:27]
.LBB206_1205:                           ;   in Loop: Header=BB206_809 Depth=1
	s_or_b64 exec, exec, s[24:25]
.LBB206_1206:                           ;   in Loop: Header=BB206_809 Depth=1
	s_or_b64 exec, exec, s[22:23]
	v_cmp_ne_u16_sdwa s[24:25], v16, v8 src0_sel:BYTE_1 src1_sel:DWORD
	s_and_saveexec_b64 s[22:23], s[24:25]
	s_cbranch_execz .LBB206_1212
; %bb.1207:                             ;   in Loop: Header=BB206_809 Depth=1
	v_mov_b32_e32 v20, v9
	v_cmp_ne_u16_sdwa s[26:27], v16, s28 src0_sel:BYTE_1 src1_sel:DWORD
	v_mov_b32_e32 v19, v8
	s_and_saveexec_b64 s[24:25], s[26:27]
	s_cbranch_execz .LBB206_1211
; %bb.1208:                             ;   in Loop: Header=BB206_809 Depth=1
	v_and_b32_sdwa v6, v16, s29 dst_sel:DWORD dst_unused:UNUSED_PAD src0_sel:BYTE_1 src1_sel:DWORD
	v_mov_b32_e32 v12, v8
	v_mov_b32_e32 v20, v13
	v_cmp_ne_u32_e32 vcc, s29, v6
	v_mov_b32_e32 v19, v12
	s_and_saveexec_b64 s[26:27], vcc
	s_cbranch_execz .LBB206_1210
; %bb.1209:                             ;   in Loop: Header=BB206_809 Depth=1
	v_mov_b32_e32 v7, 7
	v_and_b32_sdwa v19, v16, v7 dst_sel:DWORD dst_unused:UNUSED_PAD src0_sel:BYTE_1 src1_sel:DWORD
	v_lshrrev_b32_e32 v12, 3, v6
	v_cmp_gt_u32_e32 vcc, 8, v6
	v_ffbh_u32_e32 v6, v19
	v_min_u32_e32 v21, 32, v6
	v_mov_b32_e32 v20, v8
	v_subrev_u32_e32 v6, 28, v21
	v_lshlrev_b64 v[6:7], v6, v[19:20]
	v_sub_u32_e32 v7, 29, v21
	v_and_b32_e32 v6, 7, v6
	v_cndmask_b32_e32 v7, v12, v7, vcc
	v_cndmask_b32_e32 v6, v19, v6, vcc
	v_lshlrev_b32_e32 v12, 16, v16
	v_lshl_add_u32 v7, v7, 23, v27
	v_and_or_b32 v7, v12, s40, v7
	v_lshlrev_b32_e32 v6, 20, v6
	v_or_b32_e32 v20, v7, v6
	v_mov_b32_e32 v19, v8
.LBB206_1210:                           ;   in Loop: Header=BB206_809 Depth=1
	s_or_b64 exec, exec, s[26:27]
.LBB206_1211:                           ;   in Loop: Header=BB206_809 Depth=1
	s_or_b64 exec, exec, s[24:25]
.LBB206_1212:                           ;   in Loop: Header=BB206_809 Depth=1
	s_or_b64 exec, exec, s[22:23]
	v_lshrrev_b32_e32 v12, 16, v16
	v_mov_b32_e32 v23, 0
	v_mov_b32_e32 v21, 0
	;; [unrolled: 1-line block ×4, first 2 shown]
	v_cmp_ne_u16_sdwa s[24:25], v12, v8 src0_sel:BYTE_0 src1_sel:DWORD
	s_and_saveexec_b64 s[22:23], s[24:25]
	s_cbranch_execz .LBB206_1218
; %bb.1213:                             ;   in Loop: Header=BB206_809 Depth=1
	v_bfrev_b32_e32 v21, 1
	v_mov_b32_e32 v22, 0
	v_cmp_ne_u16_sdwa s[26:27], v12, s28 src0_sel:BYTE_0 src1_sel:DWORD
	s_and_saveexec_b64 s[24:25], s[26:27]
	s_cbranch_execz .LBB206_1217
; %bb.1214:                             ;   in Loop: Header=BB206_809 Depth=1
	v_bfe_u32 v6, v16, 16, 7
	v_mov_b32_e32 v21, 0x7f800001
	v_mov_b32_e32 v22, 0
	v_cmp_ne_u32_e32 vcc, s29, v6
	s_and_saveexec_b64 s[26:27], vcc
	s_cbranch_execz .LBB206_1216
; %bb.1215:                             ;   in Loop: Header=BB206_809 Depth=1
	v_and_b32_e32 v21, 7, v12
	v_lshrrev_b32_e32 v22, 3, v6
	v_cmp_gt_u32_e32 vcc, 8, v6
	v_ffbh_u32_e32 v6, v21
	v_min_u32_e32 v26, 32, v6
	v_subrev_u32_e32 v6, 28, v26
	v_lshlrev_b64 v[6:7], v6, v[12:13]
	v_sub_u32_e32 v7, 29, v26
	v_and_b32_e32 v6, 7, v6
	v_cndmask_b32_e32 v7, v22, v7, vcc
	v_cndmask_b32_e32 v6, v21, v6, vcc
	v_lshlrev_b32_e32 v6, 20, v6
	v_and_b32_sdwa v12, sext(v12), s40 dst_sel:DWORD dst_unused:UNUSED_PAD src0_sel:BYTE_0 src1_sel:DWORD
	v_lshl_add_u32 v7, v7, 23, v27
	v_or3_b32 v21, v12, v7, v6
	v_mov_b32_e32 v22, v8
.LBB206_1216:                           ;   in Loop: Header=BB206_809 Depth=1
	s_or_b64 exec, exec, s[26:27]
.LBB206_1217:                           ;   in Loop: Header=BB206_809 Depth=1
	s_or_b64 exec, exec, s[24:25]
.LBB206_1218:                           ;   in Loop: Header=BB206_809 Depth=1
	s_or_b64 exec, exec, s[22:23]
	v_cmp_lt_u32_e32 vcc, s41, v16
	s_and_saveexec_b64 s[22:23], vcc
	s_cbranch_execz .LBB206_1224
; %bb.1219:                             ;   in Loop: Header=BB206_809 Depth=1
	v_mov_b32_e32 v24, v9
	v_cmp_ne_u32_sdwa s[26:27], v16, s28 src0_sel:BYTE_3 src1_sel:DWORD
	v_mov_b32_e32 v23, v8
	s_and_saveexec_b64 s[24:25], s[26:27]
	s_cbranch_execz .LBB206_1223
; %bb.1220:                             ;   in Loop: Header=BB206_809 Depth=1
	v_bfe_u32 v6, v16, 24, 7
	v_mov_b32_e32 v12, v8
	v_mov_b32_e32 v24, v13
	v_cmp_ne_u32_e32 vcc, s29, v6
	v_mov_b32_e32 v23, v12
	s_and_saveexec_b64 s[26:27], vcc
	s_cbranch_execz .LBB206_1222
; %bb.1221:                             ;   in Loop: Header=BB206_809 Depth=1
	v_mov_b32_e32 v7, 7
	v_and_b32_sdwa v23, v16, v7 dst_sel:DWORD dst_unused:UNUSED_PAD src0_sel:BYTE_3 src1_sel:DWORD
	v_lshrrev_b32_e32 v12, 3, v6
	v_cmp_gt_u32_e32 vcc, 8, v6
	v_ffbh_u32_e32 v6, v23
	v_min_u32_e32 v26, 32, v6
	v_mov_b32_e32 v24, v8
	v_subrev_u32_e32 v6, 28, v26
	v_lshlrev_b64 v[6:7], v6, v[23:24]
	v_sub_u32_e32 v7, 29, v26
	v_and_b32_e32 v6, 7, v6
	v_cndmask_b32_e32 v7, v12, v7, vcc
	v_mov_b32_e32 v12, 24
	v_cndmask_b32_e32 v6, v23, v6, vcc
	v_lshlrev_b32_sdwa v12, v12, v16 dst_sel:DWORD dst_unused:UNUSED_PAD src0_sel:DWORD src1_sel:BYTE_3
	v_lshl_add_u32 v7, v7, 23, v27
	v_and_or_b32 v7, v12, s40, v7
	v_lshlrev_b32_e32 v6, 20, v6
	v_or_b32_e32 v24, v7, v6
	v_mov_b32_e32 v23, v8
.LBB206_1222:                           ;   in Loop: Header=BB206_809 Depth=1
	s_or_b64 exec, exec, s[26:27]
.LBB206_1223:                           ;   in Loop: Header=BB206_809 Depth=1
	s_or_b64 exec, exec, s[24:25]
.LBB206_1224:                           ;   in Loop: Header=BB206_809 Depth=1
	s_or_b64 exec, exec, s[22:23]
	v_or_b32_e32 v6, v20, v18
	v_or_b32_e32 v7, v19, v17
	v_mul_f32_e32 v6, v30, v6
	buffer_store_dword v6, off, s[0:3], s32 offset:580 ; 4-byte Folded Spill
	v_mul_f32_e32 v6, v30, v7
	buffer_store_dword v6, off, s[0:3], s32 offset:564 ; 4-byte Folded Spill
	v_or_b32_e32 v6, v24, v22
	v_or_b32_e32 v7, v23, v21
	v_mul_f32_e32 v7, v30, v7
	v_mul_f32_e32 v6, v30, v6
	buffer_store_dword v7, off, s[0:3], s32 offset:572 ; 4-byte Folded Spill
	buffer_store_dword v6, off, s[0:3], s32 offset:556 ; 4-byte Folded Spill
	s_and_saveexec_b64 s[22:23], s[4:5]
	s_cbranch_execz .LBB206_1226
; %bb.1225:                             ;   in Loop: Header=BB206_809 Depth=1
	buffer_load_dword v6, off, s[0:3], s32 offset:72 ; 4-byte Folded Reload
	buffer_load_dword v7, off, s[0:3], s32 offset:564 ; 4-byte Folded Reload
	s_waitcnt vmcnt(1)
	v_cmp_lt_i32_e32 vcc, v35, v6
	s_waitcnt vmcnt(0)
	v_cndmask_b32_e32 v7, 0, v7, vcc
	buffer_store_dword v7, off, s[0:3], s32 offset:564 ; 4-byte Folded Spill
	buffer_load_dword v7, off, s[0:3], s32 offset:580 ; 4-byte Folded Reload
	v_cmp_lt_i32_e32 vcc, v38, v6
	s_waitcnt vmcnt(0)
	v_cndmask_b32_e32 v7, 0, v7, vcc
	buffer_store_dword v7, off, s[0:3], s32 offset:580 ; 4-byte Folded Spill
	buffer_load_dword v7, off, s[0:3], s32 offset:572 ; 4-byte Folded Reload
	v_cmp_lt_i32_e32 vcc, v37, v6
	s_waitcnt vmcnt(0)
	v_cndmask_b32_e32 v7, 0, v7, vcc
	v_cmp_lt_i32_e32 vcc, v36, v6
	buffer_load_dword v6, off, s[0:3], s32 offset:556 ; 4-byte Folded Reload
	s_waitcnt vmcnt(0)
	v_cndmask_b32_e32 v6, 0, v6, vcc
	buffer_store_dword v7, off, s[0:3], s32 offset:572 ; 4-byte Folded Spill
	buffer_store_dword v6, off, s[0:3], s32 offset:556 ; 4-byte Folded Spill
.LBB206_1226:                           ;   in Loop: Header=BB206_809 Depth=1
	s_or_b64 exec, exec, s[22:23]
	v_add_co_u32_e32 v6, vcc, 0x1000, v14
	v_addc_co_u32_e32 v7, vcc, 0, v15, vcc
	flat_load_dword v16, v[6:7]
	v_mov_b32_e32 v19, 0
	v_mov_b32_e32 v17, 0
	;; [unrolled: 1-line block ×4, first 2 shown]
	s_waitcnt vmcnt(0) lgkmcnt(0)
	v_cmp_ne_u16_sdwa s[24:25], v16, v8 src0_sel:BYTE_0 src1_sel:DWORD
	s_and_saveexec_b64 s[22:23], s[24:25]
	s_cbranch_execz .LBB206_1232
; %bb.1227:                             ;   in Loop: Header=BB206_809 Depth=1
	v_bfrev_b32_e32 v17, 1
	v_mov_b32_e32 v18, 0
	v_cmp_ne_u16_sdwa s[26:27], v16, s28 src0_sel:BYTE_0 src1_sel:DWORD
	s_and_saveexec_b64 s[24:25], s[26:27]
	s_cbranch_execz .LBB206_1231
; %bb.1228:                             ;   in Loop: Header=BB206_809 Depth=1
	v_and_b32_e32 v6, 0x7f, v16
	v_mov_b32_e32 v17, 0x7f800001
	v_mov_b32_e32 v18, 0
	v_cmp_ne_u32_e32 vcc, s29, v6
	s_and_saveexec_b64 s[26:27], vcc
	s_cbranch_execz .LBB206_1230
; %bb.1229:                             ;   in Loop: Header=BB206_809 Depth=1
	v_and_b32_e32 v12, 7, v16
	v_lshrrev_b32_e32 v17, 3, v6
	v_cmp_gt_u32_e32 vcc, 8, v6
	v_ffbh_u32_e32 v6, v12
	v_min_u32_e32 v18, 32, v6
	v_subrev_u32_e32 v6, 28, v18
	v_lshlrev_b64 v[6:7], v6, v[16:17]
	v_sub_u32_e32 v7, 29, v18
	v_and_b32_e32 v6, 7, v6
	v_cndmask_b32_e32 v7, v17, v7, vcc
	v_cndmask_b32_e32 v6, v12, v6, vcc
	v_lshlrev_b32_e32 v6, 20, v6
	v_and_b32_sdwa v12, sext(v16), s40 dst_sel:DWORD dst_unused:UNUSED_PAD src0_sel:BYTE_0 src1_sel:DWORD
	v_lshl_add_u32 v7, v7, 23, v27
	v_or3_b32 v17, v12, v7, v6
	v_mov_b32_e32 v18, v8
.LBB206_1230:                           ;   in Loop: Header=BB206_809 Depth=1
	s_or_b64 exec, exec, s[26:27]
.LBB206_1231:                           ;   in Loop: Header=BB206_809 Depth=1
	s_or_b64 exec, exec, s[24:25]
.LBB206_1232:                           ;   in Loop: Header=BB206_809 Depth=1
	s_or_b64 exec, exec, s[22:23]
	v_cmp_ne_u16_sdwa s[24:25], v16, v8 src0_sel:BYTE_1 src1_sel:DWORD
	s_and_saveexec_b64 s[22:23], s[24:25]
	s_cbranch_execz .LBB206_1238
; %bb.1233:                             ;   in Loop: Header=BB206_809 Depth=1
	v_mov_b32_e32 v20, v9
	v_cmp_ne_u16_sdwa s[26:27], v16, s28 src0_sel:BYTE_1 src1_sel:DWORD
	v_mov_b32_e32 v19, v8
	s_and_saveexec_b64 s[24:25], s[26:27]
	s_cbranch_execz .LBB206_1237
; %bb.1234:                             ;   in Loop: Header=BB206_809 Depth=1
	v_and_b32_sdwa v6, v16, s29 dst_sel:DWORD dst_unused:UNUSED_PAD src0_sel:BYTE_1 src1_sel:DWORD
	v_mov_b32_e32 v12, v8
	v_mov_b32_e32 v20, v13
	v_cmp_ne_u32_e32 vcc, s29, v6
	v_mov_b32_e32 v19, v12
	s_and_saveexec_b64 s[26:27], vcc
	s_cbranch_execz .LBB206_1236
; %bb.1235:                             ;   in Loop: Header=BB206_809 Depth=1
	v_mov_b32_e32 v7, 7
	v_and_b32_sdwa v19, v16, v7 dst_sel:DWORD dst_unused:UNUSED_PAD src0_sel:BYTE_1 src1_sel:DWORD
	v_lshrrev_b32_e32 v12, 3, v6
	v_cmp_gt_u32_e32 vcc, 8, v6
	v_ffbh_u32_e32 v6, v19
	v_min_u32_e32 v21, 32, v6
	v_mov_b32_e32 v20, v8
	v_subrev_u32_e32 v6, 28, v21
	v_lshlrev_b64 v[6:7], v6, v[19:20]
	v_sub_u32_e32 v7, 29, v21
	v_and_b32_e32 v6, 7, v6
	v_cndmask_b32_e32 v7, v12, v7, vcc
	v_cndmask_b32_e32 v6, v19, v6, vcc
	v_lshlrev_b32_e32 v12, 16, v16
	v_lshl_add_u32 v7, v7, 23, v27
	v_and_or_b32 v7, v12, s40, v7
	v_lshlrev_b32_e32 v6, 20, v6
	v_or_b32_e32 v20, v7, v6
	v_mov_b32_e32 v19, v8
.LBB206_1236:                           ;   in Loop: Header=BB206_809 Depth=1
	s_or_b64 exec, exec, s[26:27]
.LBB206_1237:                           ;   in Loop: Header=BB206_809 Depth=1
	s_or_b64 exec, exec, s[24:25]
.LBB206_1238:                           ;   in Loop: Header=BB206_809 Depth=1
	s_or_b64 exec, exec, s[22:23]
	v_lshrrev_b32_e32 v12, 16, v16
	v_mov_b32_e32 v23, 0
	v_mov_b32_e32 v21, 0
	;; [unrolled: 1-line block ×4, first 2 shown]
	v_cmp_ne_u16_sdwa s[24:25], v12, v8 src0_sel:BYTE_0 src1_sel:DWORD
	s_and_saveexec_b64 s[22:23], s[24:25]
	s_cbranch_execz .LBB206_1244
; %bb.1239:                             ;   in Loop: Header=BB206_809 Depth=1
	v_bfrev_b32_e32 v21, 1
	v_mov_b32_e32 v22, 0
	v_cmp_ne_u16_sdwa s[26:27], v12, s28 src0_sel:BYTE_0 src1_sel:DWORD
	s_and_saveexec_b64 s[24:25], s[26:27]
	s_cbranch_execz .LBB206_1243
; %bb.1240:                             ;   in Loop: Header=BB206_809 Depth=1
	v_bfe_u32 v6, v16, 16, 7
	v_mov_b32_e32 v21, 0x7f800001
	v_mov_b32_e32 v22, 0
	v_cmp_ne_u32_e32 vcc, s29, v6
	s_and_saveexec_b64 s[26:27], vcc
	s_cbranch_execz .LBB206_1242
; %bb.1241:                             ;   in Loop: Header=BB206_809 Depth=1
	v_and_b32_e32 v21, 7, v12
	v_lshrrev_b32_e32 v22, 3, v6
	v_cmp_gt_u32_e32 vcc, 8, v6
	v_ffbh_u32_e32 v6, v21
	v_min_u32_e32 v26, 32, v6
	v_subrev_u32_e32 v6, 28, v26
	v_lshlrev_b64 v[6:7], v6, v[12:13]
	v_sub_u32_e32 v7, 29, v26
	v_and_b32_e32 v6, 7, v6
	v_cndmask_b32_e32 v7, v22, v7, vcc
	v_cndmask_b32_e32 v6, v21, v6, vcc
	v_lshlrev_b32_e32 v6, 20, v6
	v_and_b32_sdwa v12, sext(v12), s40 dst_sel:DWORD dst_unused:UNUSED_PAD src0_sel:BYTE_0 src1_sel:DWORD
	v_lshl_add_u32 v7, v7, 23, v27
	v_or3_b32 v21, v12, v7, v6
	v_mov_b32_e32 v22, v8
.LBB206_1242:                           ;   in Loop: Header=BB206_809 Depth=1
	s_or_b64 exec, exec, s[26:27]
.LBB206_1243:                           ;   in Loop: Header=BB206_809 Depth=1
	s_or_b64 exec, exec, s[24:25]
.LBB206_1244:                           ;   in Loop: Header=BB206_809 Depth=1
	s_or_b64 exec, exec, s[22:23]
	v_cmp_lt_u32_e32 vcc, s41, v16
	s_and_saveexec_b64 s[22:23], vcc
	s_cbranch_execz .LBB206_1250
; %bb.1245:                             ;   in Loop: Header=BB206_809 Depth=1
	v_mov_b32_e32 v24, v9
	v_cmp_ne_u32_sdwa s[26:27], v16, s28 src0_sel:BYTE_3 src1_sel:DWORD
	v_mov_b32_e32 v23, v8
	s_and_saveexec_b64 s[24:25], s[26:27]
	s_cbranch_execz .LBB206_1249
; %bb.1246:                             ;   in Loop: Header=BB206_809 Depth=1
	v_bfe_u32 v6, v16, 24, 7
	v_mov_b32_e32 v12, v8
	v_mov_b32_e32 v24, v13
	v_cmp_ne_u32_e32 vcc, s29, v6
	v_mov_b32_e32 v23, v12
	s_and_saveexec_b64 s[26:27], vcc
	s_cbranch_execz .LBB206_1248
; %bb.1247:                             ;   in Loop: Header=BB206_809 Depth=1
	v_mov_b32_e32 v7, 7
	v_and_b32_sdwa v23, v16, v7 dst_sel:DWORD dst_unused:UNUSED_PAD src0_sel:BYTE_3 src1_sel:DWORD
	v_lshrrev_b32_e32 v12, 3, v6
	v_cmp_gt_u32_e32 vcc, 8, v6
	v_ffbh_u32_e32 v6, v23
	v_min_u32_e32 v26, 32, v6
	v_mov_b32_e32 v24, v8
	v_subrev_u32_e32 v6, 28, v26
	v_lshlrev_b64 v[6:7], v6, v[23:24]
	v_sub_u32_e32 v7, 29, v26
	v_and_b32_e32 v6, 7, v6
	v_cndmask_b32_e32 v7, v12, v7, vcc
	v_mov_b32_e32 v12, 24
	v_cndmask_b32_e32 v6, v23, v6, vcc
	v_lshlrev_b32_sdwa v12, v12, v16 dst_sel:DWORD dst_unused:UNUSED_PAD src0_sel:DWORD src1_sel:BYTE_3
	v_lshl_add_u32 v7, v7, 23, v27
	v_and_or_b32 v7, v12, s40, v7
	v_lshlrev_b32_e32 v6, 20, v6
	v_or_b32_e32 v24, v7, v6
	v_mov_b32_e32 v23, v8
.LBB206_1248:                           ;   in Loop: Header=BB206_809 Depth=1
	s_or_b64 exec, exec, s[26:27]
.LBB206_1249:                           ;   in Loop: Header=BB206_809 Depth=1
	s_or_b64 exec, exec, s[24:25]
.LBB206_1250:                           ;   in Loop: Header=BB206_809 Depth=1
	s_or_b64 exec, exec, s[22:23]
	v_or_b32_e32 v6, v20, v18
	v_or_b32_e32 v7, v19, v17
	v_mul_f32_e32 v6, v30, v6
	buffer_store_dword v6, off, s[0:3], s32 offset:612 ; 4-byte Folded Spill
	v_mul_f32_e32 v6, v30, v7
	buffer_store_dword v6, off, s[0:3], s32 offset:596 ; 4-byte Folded Spill
	v_or_b32_e32 v6, v24, v22
	v_or_b32_e32 v7, v23, v21
	v_mul_f32_e32 v7, v30, v7
	v_mul_f32_e32 v6, v30, v6
	buffer_store_dword v7, off, s[0:3], s32 offset:604 ; 4-byte Folded Spill
	buffer_store_dword v6, off, s[0:3], s32 offset:588 ; 4-byte Folded Spill
	s_and_saveexec_b64 s[22:23], s[4:5]
	s_cbranch_execz .LBB206_1252
; %bb.1251:                             ;   in Loop: Header=BB206_809 Depth=1
	buffer_load_dword v6, off, s[0:3], s32 offset:72 ; 4-byte Folded Reload
	buffer_load_dword v7, off, s[0:3], s32 offset:596 ; 4-byte Folded Reload
	s_waitcnt vmcnt(1)
	v_cmp_lt_i32_e32 vcc, v35, v6
	s_waitcnt vmcnt(0)
	v_cndmask_b32_e32 v7, 0, v7, vcc
	buffer_store_dword v7, off, s[0:3], s32 offset:596 ; 4-byte Folded Spill
	buffer_load_dword v7, off, s[0:3], s32 offset:612 ; 4-byte Folded Reload
	v_cmp_lt_i32_e32 vcc, v38, v6
	s_waitcnt vmcnt(0)
	v_cndmask_b32_e32 v7, 0, v7, vcc
	buffer_store_dword v7, off, s[0:3], s32 offset:612 ; 4-byte Folded Spill
	buffer_load_dword v7, off, s[0:3], s32 offset:604 ; 4-byte Folded Reload
	v_cmp_lt_i32_e32 vcc, v37, v6
	s_waitcnt vmcnt(0)
	v_cndmask_b32_e32 v7, 0, v7, vcc
	v_cmp_lt_i32_e32 vcc, v36, v6
	buffer_load_dword v6, off, s[0:3], s32 offset:588 ; 4-byte Folded Reload
	s_waitcnt vmcnt(0)
	v_cndmask_b32_e32 v6, 0, v6, vcc
	buffer_store_dword v7, off, s[0:3], s32 offset:604 ; 4-byte Folded Spill
	buffer_store_dword v6, off, s[0:3], s32 offset:588 ; 4-byte Folded Spill
.LBB206_1252:                           ;   in Loop: Header=BB206_809 Depth=1
	s_or_b64 exec, exec, s[22:23]
	v_add_co_u32_e32 v6, vcc, 0x1000, v14
	v_addc_co_u32_e32 v7, vcc, 0, v15, vcc
	flat_load_dword v16, v[6:7] offset:256
	v_mov_b32_e32 v19, 0
	v_mov_b32_e32 v17, 0
	;; [unrolled: 1-line block ×4, first 2 shown]
	s_waitcnt vmcnt(0) lgkmcnt(0)
	v_cmp_ne_u16_sdwa s[24:25], v16, v8 src0_sel:BYTE_0 src1_sel:DWORD
	s_and_saveexec_b64 s[22:23], s[24:25]
	s_cbranch_execz .LBB206_1258
; %bb.1253:                             ;   in Loop: Header=BB206_809 Depth=1
	v_bfrev_b32_e32 v17, 1
	v_mov_b32_e32 v18, 0
	v_cmp_ne_u16_sdwa s[26:27], v16, s28 src0_sel:BYTE_0 src1_sel:DWORD
	s_and_saveexec_b64 s[24:25], s[26:27]
	s_cbranch_execz .LBB206_1257
; %bb.1254:                             ;   in Loop: Header=BB206_809 Depth=1
	v_and_b32_e32 v6, 0x7f, v16
	v_mov_b32_e32 v17, 0x7f800001
	v_mov_b32_e32 v18, 0
	v_cmp_ne_u32_e32 vcc, s29, v6
	s_and_saveexec_b64 s[26:27], vcc
	s_cbranch_execz .LBB206_1256
; %bb.1255:                             ;   in Loop: Header=BB206_809 Depth=1
	v_and_b32_e32 v12, 7, v16
	v_lshrrev_b32_e32 v17, 3, v6
	v_cmp_gt_u32_e32 vcc, 8, v6
	v_ffbh_u32_e32 v6, v12
	v_min_u32_e32 v18, 32, v6
	v_subrev_u32_e32 v6, 28, v18
	v_lshlrev_b64 v[6:7], v6, v[16:17]
	v_sub_u32_e32 v7, 29, v18
	v_and_b32_e32 v6, 7, v6
	v_cndmask_b32_e32 v7, v17, v7, vcc
	v_cndmask_b32_e32 v6, v12, v6, vcc
	v_lshlrev_b32_e32 v6, 20, v6
	v_and_b32_sdwa v12, sext(v16), s40 dst_sel:DWORD dst_unused:UNUSED_PAD src0_sel:BYTE_0 src1_sel:DWORD
	v_lshl_add_u32 v7, v7, 23, v27
	v_or3_b32 v17, v12, v7, v6
	v_mov_b32_e32 v18, v8
.LBB206_1256:                           ;   in Loop: Header=BB206_809 Depth=1
	s_or_b64 exec, exec, s[26:27]
.LBB206_1257:                           ;   in Loop: Header=BB206_809 Depth=1
	s_or_b64 exec, exec, s[24:25]
.LBB206_1258:                           ;   in Loop: Header=BB206_809 Depth=1
	s_or_b64 exec, exec, s[22:23]
	v_cmp_ne_u16_sdwa s[24:25], v16, v8 src0_sel:BYTE_1 src1_sel:DWORD
	s_and_saveexec_b64 s[22:23], s[24:25]
	s_cbranch_execz .LBB206_1264
; %bb.1259:                             ;   in Loop: Header=BB206_809 Depth=1
	v_mov_b32_e32 v20, v9
	v_cmp_ne_u16_sdwa s[26:27], v16, s28 src0_sel:BYTE_1 src1_sel:DWORD
	v_mov_b32_e32 v19, v8
	s_and_saveexec_b64 s[24:25], s[26:27]
	s_cbranch_execz .LBB206_1263
; %bb.1260:                             ;   in Loop: Header=BB206_809 Depth=1
	v_and_b32_sdwa v6, v16, s29 dst_sel:DWORD dst_unused:UNUSED_PAD src0_sel:BYTE_1 src1_sel:DWORD
	v_mov_b32_e32 v12, v8
	v_mov_b32_e32 v20, v13
	v_cmp_ne_u32_e32 vcc, s29, v6
	v_mov_b32_e32 v19, v12
	s_and_saveexec_b64 s[26:27], vcc
	s_cbranch_execz .LBB206_1262
; %bb.1261:                             ;   in Loop: Header=BB206_809 Depth=1
	v_mov_b32_e32 v7, 7
	v_and_b32_sdwa v19, v16, v7 dst_sel:DWORD dst_unused:UNUSED_PAD src0_sel:BYTE_1 src1_sel:DWORD
	v_lshrrev_b32_e32 v12, 3, v6
	v_cmp_gt_u32_e32 vcc, 8, v6
	v_ffbh_u32_e32 v6, v19
	v_min_u32_e32 v21, 32, v6
	v_mov_b32_e32 v20, v8
	v_subrev_u32_e32 v6, 28, v21
	v_lshlrev_b64 v[6:7], v6, v[19:20]
	v_sub_u32_e32 v7, 29, v21
	v_and_b32_e32 v6, 7, v6
	v_cndmask_b32_e32 v7, v12, v7, vcc
	v_cndmask_b32_e32 v6, v19, v6, vcc
	v_lshlrev_b32_e32 v12, 16, v16
	v_lshl_add_u32 v7, v7, 23, v27
	v_and_or_b32 v7, v12, s40, v7
	v_lshlrev_b32_e32 v6, 20, v6
	v_or_b32_e32 v20, v7, v6
	v_mov_b32_e32 v19, v8
.LBB206_1262:                           ;   in Loop: Header=BB206_809 Depth=1
	s_or_b64 exec, exec, s[26:27]
.LBB206_1263:                           ;   in Loop: Header=BB206_809 Depth=1
	s_or_b64 exec, exec, s[24:25]
.LBB206_1264:                           ;   in Loop: Header=BB206_809 Depth=1
	s_or_b64 exec, exec, s[22:23]
	v_lshrrev_b32_e32 v12, 16, v16
	v_mov_b32_e32 v23, 0
	v_mov_b32_e32 v21, 0
	;; [unrolled: 1-line block ×4, first 2 shown]
	v_cmp_ne_u16_sdwa s[24:25], v12, v8 src0_sel:BYTE_0 src1_sel:DWORD
	s_and_saveexec_b64 s[22:23], s[24:25]
	s_cbranch_execz .LBB206_1270
; %bb.1265:                             ;   in Loop: Header=BB206_809 Depth=1
	v_bfrev_b32_e32 v21, 1
	v_mov_b32_e32 v22, 0
	v_cmp_ne_u16_sdwa s[26:27], v12, s28 src0_sel:BYTE_0 src1_sel:DWORD
	s_and_saveexec_b64 s[24:25], s[26:27]
	s_cbranch_execz .LBB206_1269
; %bb.1266:                             ;   in Loop: Header=BB206_809 Depth=1
	v_bfe_u32 v6, v16, 16, 7
	v_mov_b32_e32 v21, 0x7f800001
	v_mov_b32_e32 v22, 0
	v_cmp_ne_u32_e32 vcc, s29, v6
	s_and_saveexec_b64 s[26:27], vcc
	s_cbranch_execz .LBB206_1268
; %bb.1267:                             ;   in Loop: Header=BB206_809 Depth=1
	v_and_b32_e32 v21, 7, v12
	v_lshrrev_b32_e32 v22, 3, v6
	v_cmp_gt_u32_e32 vcc, 8, v6
	v_ffbh_u32_e32 v6, v21
	v_min_u32_e32 v26, 32, v6
	v_subrev_u32_e32 v6, 28, v26
	v_lshlrev_b64 v[6:7], v6, v[12:13]
	v_sub_u32_e32 v7, 29, v26
	v_and_b32_e32 v6, 7, v6
	v_cndmask_b32_e32 v7, v22, v7, vcc
	v_cndmask_b32_e32 v6, v21, v6, vcc
	v_lshlrev_b32_e32 v6, 20, v6
	v_and_b32_sdwa v12, sext(v12), s40 dst_sel:DWORD dst_unused:UNUSED_PAD src0_sel:BYTE_0 src1_sel:DWORD
	v_lshl_add_u32 v7, v7, 23, v27
	v_or3_b32 v21, v12, v7, v6
	v_mov_b32_e32 v22, v8
.LBB206_1268:                           ;   in Loop: Header=BB206_809 Depth=1
	s_or_b64 exec, exec, s[26:27]
.LBB206_1269:                           ;   in Loop: Header=BB206_809 Depth=1
	s_or_b64 exec, exec, s[24:25]
.LBB206_1270:                           ;   in Loop: Header=BB206_809 Depth=1
	s_or_b64 exec, exec, s[22:23]
	v_cmp_lt_u32_e32 vcc, s41, v16
	s_and_saveexec_b64 s[22:23], vcc
	s_cbranch_execz .LBB206_1276
; %bb.1271:                             ;   in Loop: Header=BB206_809 Depth=1
	v_mov_b32_e32 v24, v9
	v_cmp_ne_u32_sdwa s[26:27], v16, s28 src0_sel:BYTE_3 src1_sel:DWORD
	v_mov_b32_e32 v23, v8
	s_and_saveexec_b64 s[24:25], s[26:27]
	s_cbranch_execz .LBB206_1275
; %bb.1272:                             ;   in Loop: Header=BB206_809 Depth=1
	v_bfe_u32 v6, v16, 24, 7
	v_mov_b32_e32 v12, v8
	v_mov_b32_e32 v24, v13
	v_cmp_ne_u32_e32 vcc, s29, v6
	v_mov_b32_e32 v23, v12
	s_and_saveexec_b64 s[26:27], vcc
	s_cbranch_execz .LBB206_1274
; %bb.1273:                             ;   in Loop: Header=BB206_809 Depth=1
	v_mov_b32_e32 v7, 7
	v_and_b32_sdwa v23, v16, v7 dst_sel:DWORD dst_unused:UNUSED_PAD src0_sel:BYTE_3 src1_sel:DWORD
	v_lshrrev_b32_e32 v12, 3, v6
	v_cmp_gt_u32_e32 vcc, 8, v6
	v_ffbh_u32_e32 v6, v23
	v_min_u32_e32 v26, 32, v6
	v_mov_b32_e32 v24, v8
	v_subrev_u32_e32 v6, 28, v26
	v_lshlrev_b64 v[6:7], v6, v[23:24]
	v_sub_u32_e32 v7, 29, v26
	v_and_b32_e32 v6, 7, v6
	v_cndmask_b32_e32 v7, v12, v7, vcc
	v_mov_b32_e32 v12, 24
	v_cndmask_b32_e32 v6, v23, v6, vcc
	v_lshlrev_b32_sdwa v12, v12, v16 dst_sel:DWORD dst_unused:UNUSED_PAD src0_sel:DWORD src1_sel:BYTE_3
	v_lshl_add_u32 v7, v7, 23, v27
	v_and_or_b32 v7, v12, s40, v7
	v_lshlrev_b32_e32 v6, 20, v6
	v_or_b32_e32 v24, v7, v6
	v_mov_b32_e32 v23, v8
.LBB206_1274:                           ;   in Loop: Header=BB206_809 Depth=1
	s_or_b64 exec, exec, s[26:27]
.LBB206_1275:                           ;   in Loop: Header=BB206_809 Depth=1
	s_or_b64 exec, exec, s[24:25]
.LBB206_1276:                           ;   in Loop: Header=BB206_809 Depth=1
	s_or_b64 exec, exec, s[22:23]
	v_or_b32_e32 v6, v20, v18
	v_or_b32_e32 v7, v19, v17
	v_mul_f32_e32 v6, v30, v6
	buffer_store_dword v6, off, s[0:3], s32 offset:644 ; 4-byte Folded Spill
	v_mul_f32_e32 v6, v30, v7
	buffer_store_dword v6, off, s[0:3], s32 offset:628 ; 4-byte Folded Spill
	v_or_b32_e32 v6, v24, v22
	v_or_b32_e32 v7, v23, v21
	v_mul_f32_e32 v7, v30, v7
	v_mul_f32_e32 v6, v30, v6
	buffer_store_dword v7, off, s[0:3], s32 offset:636 ; 4-byte Folded Spill
	buffer_store_dword v6, off, s[0:3], s32 offset:620 ; 4-byte Folded Spill
	s_and_saveexec_b64 s[22:23], s[4:5]
	s_cbranch_execz .LBB206_1278
; %bb.1277:                             ;   in Loop: Header=BB206_809 Depth=1
	buffer_load_dword v6, off, s[0:3], s32 offset:72 ; 4-byte Folded Reload
	buffer_load_dword v7, off, s[0:3], s32 offset:628 ; 4-byte Folded Reload
	s_waitcnt vmcnt(1)
	v_cmp_lt_i32_e32 vcc, v35, v6
	s_waitcnt vmcnt(0)
	v_cndmask_b32_e32 v7, 0, v7, vcc
	buffer_store_dword v7, off, s[0:3], s32 offset:628 ; 4-byte Folded Spill
	buffer_load_dword v7, off, s[0:3], s32 offset:644 ; 4-byte Folded Reload
	v_cmp_lt_i32_e32 vcc, v38, v6
	s_waitcnt vmcnt(0)
	v_cndmask_b32_e32 v7, 0, v7, vcc
	buffer_store_dword v7, off, s[0:3], s32 offset:644 ; 4-byte Folded Spill
	buffer_load_dword v7, off, s[0:3], s32 offset:636 ; 4-byte Folded Reload
	v_cmp_lt_i32_e32 vcc, v37, v6
	s_waitcnt vmcnt(0)
	v_cndmask_b32_e32 v7, 0, v7, vcc
	v_cmp_lt_i32_e32 vcc, v36, v6
	buffer_load_dword v6, off, s[0:3], s32 offset:620 ; 4-byte Folded Reload
	s_waitcnt vmcnt(0)
	v_cndmask_b32_e32 v6, 0, v6, vcc
	buffer_store_dword v7, off, s[0:3], s32 offset:636 ; 4-byte Folded Spill
	buffer_store_dword v6, off, s[0:3], s32 offset:620 ; 4-byte Folded Spill
.LBB206_1278:                           ;   in Loop: Header=BB206_809 Depth=1
	s_or_b64 exec, exec, s[22:23]
	v_add_co_u32_e32 v6, vcc, 0x1000, v14
	v_addc_co_u32_e32 v7, vcc, 0, v15, vcc
	flat_load_dword v16, v[6:7] offset:512
	v_mov_b32_e32 v19, 0
	v_mov_b32_e32 v17, 0
	;; [unrolled: 1-line block ×4, first 2 shown]
	s_waitcnt vmcnt(0) lgkmcnt(0)
	v_cmp_ne_u16_sdwa s[24:25], v16, v8 src0_sel:BYTE_0 src1_sel:DWORD
	s_and_saveexec_b64 s[22:23], s[24:25]
	s_cbranch_execz .LBB206_1284
; %bb.1279:                             ;   in Loop: Header=BB206_809 Depth=1
	v_bfrev_b32_e32 v17, 1
	v_mov_b32_e32 v18, 0
	v_cmp_ne_u16_sdwa s[26:27], v16, s28 src0_sel:BYTE_0 src1_sel:DWORD
	s_and_saveexec_b64 s[24:25], s[26:27]
	s_cbranch_execz .LBB206_1283
; %bb.1280:                             ;   in Loop: Header=BB206_809 Depth=1
	v_and_b32_e32 v6, 0x7f, v16
	v_mov_b32_e32 v17, 0x7f800001
	v_mov_b32_e32 v18, 0
	v_cmp_ne_u32_e32 vcc, s29, v6
	s_and_saveexec_b64 s[26:27], vcc
	s_cbranch_execz .LBB206_1282
; %bb.1281:                             ;   in Loop: Header=BB206_809 Depth=1
	v_and_b32_e32 v12, 7, v16
	v_lshrrev_b32_e32 v17, 3, v6
	v_cmp_gt_u32_e32 vcc, 8, v6
	v_ffbh_u32_e32 v6, v12
	v_min_u32_e32 v18, 32, v6
	v_subrev_u32_e32 v6, 28, v18
	v_lshlrev_b64 v[6:7], v6, v[16:17]
	v_sub_u32_e32 v7, 29, v18
	v_and_b32_e32 v6, 7, v6
	v_cndmask_b32_e32 v7, v17, v7, vcc
	v_cndmask_b32_e32 v6, v12, v6, vcc
	v_lshlrev_b32_e32 v6, 20, v6
	v_and_b32_sdwa v12, sext(v16), s40 dst_sel:DWORD dst_unused:UNUSED_PAD src0_sel:BYTE_0 src1_sel:DWORD
	v_lshl_add_u32 v7, v7, 23, v27
	v_or3_b32 v17, v12, v7, v6
	v_mov_b32_e32 v18, v8
.LBB206_1282:                           ;   in Loop: Header=BB206_809 Depth=1
	s_or_b64 exec, exec, s[26:27]
.LBB206_1283:                           ;   in Loop: Header=BB206_809 Depth=1
	s_or_b64 exec, exec, s[24:25]
.LBB206_1284:                           ;   in Loop: Header=BB206_809 Depth=1
	s_or_b64 exec, exec, s[22:23]
	v_cmp_ne_u16_sdwa s[24:25], v16, v8 src0_sel:BYTE_1 src1_sel:DWORD
	s_and_saveexec_b64 s[22:23], s[24:25]
	s_cbranch_execz .LBB206_1290
; %bb.1285:                             ;   in Loop: Header=BB206_809 Depth=1
	v_mov_b32_e32 v20, v9
	v_cmp_ne_u16_sdwa s[26:27], v16, s28 src0_sel:BYTE_1 src1_sel:DWORD
	v_mov_b32_e32 v19, v8
	s_and_saveexec_b64 s[24:25], s[26:27]
	s_cbranch_execz .LBB206_1289
; %bb.1286:                             ;   in Loop: Header=BB206_809 Depth=1
	v_and_b32_sdwa v6, v16, s29 dst_sel:DWORD dst_unused:UNUSED_PAD src0_sel:BYTE_1 src1_sel:DWORD
	v_mov_b32_e32 v12, v8
	v_mov_b32_e32 v20, v13
	v_cmp_ne_u32_e32 vcc, s29, v6
	v_mov_b32_e32 v19, v12
	s_and_saveexec_b64 s[26:27], vcc
	s_cbranch_execz .LBB206_1288
; %bb.1287:                             ;   in Loop: Header=BB206_809 Depth=1
	v_mov_b32_e32 v7, 7
	v_and_b32_sdwa v19, v16, v7 dst_sel:DWORD dst_unused:UNUSED_PAD src0_sel:BYTE_1 src1_sel:DWORD
	v_lshrrev_b32_e32 v12, 3, v6
	v_cmp_gt_u32_e32 vcc, 8, v6
	v_ffbh_u32_e32 v6, v19
	v_min_u32_e32 v21, 32, v6
	v_mov_b32_e32 v20, v8
	v_subrev_u32_e32 v6, 28, v21
	v_lshlrev_b64 v[6:7], v6, v[19:20]
	v_sub_u32_e32 v7, 29, v21
	v_and_b32_e32 v6, 7, v6
	v_cndmask_b32_e32 v7, v12, v7, vcc
	v_cndmask_b32_e32 v6, v19, v6, vcc
	v_lshlrev_b32_e32 v12, 16, v16
	v_lshl_add_u32 v7, v7, 23, v27
	v_and_or_b32 v7, v12, s40, v7
	v_lshlrev_b32_e32 v6, 20, v6
	v_or_b32_e32 v20, v7, v6
	v_mov_b32_e32 v19, v8
.LBB206_1288:                           ;   in Loop: Header=BB206_809 Depth=1
	s_or_b64 exec, exec, s[26:27]
.LBB206_1289:                           ;   in Loop: Header=BB206_809 Depth=1
	s_or_b64 exec, exec, s[24:25]
.LBB206_1290:                           ;   in Loop: Header=BB206_809 Depth=1
	s_or_b64 exec, exec, s[22:23]
	v_lshrrev_b32_e32 v12, 16, v16
	v_mov_b32_e32 v23, 0
	v_mov_b32_e32 v21, 0
	;; [unrolled: 1-line block ×4, first 2 shown]
	v_cmp_ne_u16_sdwa s[24:25], v12, v8 src0_sel:BYTE_0 src1_sel:DWORD
	s_and_saveexec_b64 s[22:23], s[24:25]
	s_cbranch_execz .LBB206_1296
; %bb.1291:                             ;   in Loop: Header=BB206_809 Depth=1
	v_bfrev_b32_e32 v21, 1
	v_mov_b32_e32 v22, 0
	v_cmp_ne_u16_sdwa s[26:27], v12, s28 src0_sel:BYTE_0 src1_sel:DWORD
	s_and_saveexec_b64 s[24:25], s[26:27]
	s_cbranch_execz .LBB206_1295
; %bb.1292:                             ;   in Loop: Header=BB206_809 Depth=1
	v_bfe_u32 v6, v16, 16, 7
	v_mov_b32_e32 v21, 0x7f800001
	v_mov_b32_e32 v22, 0
	v_cmp_ne_u32_e32 vcc, s29, v6
	s_and_saveexec_b64 s[26:27], vcc
	s_cbranch_execz .LBB206_1294
; %bb.1293:                             ;   in Loop: Header=BB206_809 Depth=1
	v_and_b32_e32 v21, 7, v12
	v_lshrrev_b32_e32 v22, 3, v6
	v_cmp_gt_u32_e32 vcc, 8, v6
	v_ffbh_u32_e32 v6, v21
	v_min_u32_e32 v26, 32, v6
	v_subrev_u32_e32 v6, 28, v26
	v_lshlrev_b64 v[6:7], v6, v[12:13]
	v_sub_u32_e32 v7, 29, v26
	v_and_b32_e32 v6, 7, v6
	v_cndmask_b32_e32 v7, v22, v7, vcc
	v_cndmask_b32_e32 v6, v21, v6, vcc
	v_lshlrev_b32_e32 v6, 20, v6
	v_and_b32_sdwa v12, sext(v12), s40 dst_sel:DWORD dst_unused:UNUSED_PAD src0_sel:BYTE_0 src1_sel:DWORD
	v_lshl_add_u32 v7, v7, 23, v27
	v_or3_b32 v21, v12, v7, v6
	v_mov_b32_e32 v22, v8
.LBB206_1294:                           ;   in Loop: Header=BB206_809 Depth=1
	s_or_b64 exec, exec, s[26:27]
.LBB206_1295:                           ;   in Loop: Header=BB206_809 Depth=1
	s_or_b64 exec, exec, s[24:25]
.LBB206_1296:                           ;   in Loop: Header=BB206_809 Depth=1
	s_or_b64 exec, exec, s[22:23]
	v_cmp_lt_u32_e32 vcc, s41, v16
	s_and_saveexec_b64 s[22:23], vcc
	s_cbranch_execz .LBB206_1302
; %bb.1297:                             ;   in Loop: Header=BB206_809 Depth=1
	v_mov_b32_e32 v24, v9
	v_cmp_ne_u32_sdwa s[26:27], v16, s28 src0_sel:BYTE_3 src1_sel:DWORD
	v_mov_b32_e32 v23, v8
	s_and_saveexec_b64 s[24:25], s[26:27]
	s_cbranch_execz .LBB206_1301
; %bb.1298:                             ;   in Loop: Header=BB206_809 Depth=1
	v_bfe_u32 v6, v16, 24, 7
	v_mov_b32_e32 v12, v8
	v_mov_b32_e32 v24, v13
	v_cmp_ne_u32_e32 vcc, s29, v6
	v_mov_b32_e32 v23, v12
	s_and_saveexec_b64 s[26:27], vcc
	s_cbranch_execz .LBB206_1300
; %bb.1299:                             ;   in Loop: Header=BB206_809 Depth=1
	v_mov_b32_e32 v7, 7
	v_and_b32_sdwa v23, v16, v7 dst_sel:DWORD dst_unused:UNUSED_PAD src0_sel:BYTE_3 src1_sel:DWORD
	v_lshrrev_b32_e32 v12, 3, v6
	v_cmp_gt_u32_e32 vcc, 8, v6
	v_ffbh_u32_e32 v6, v23
	v_min_u32_e32 v26, 32, v6
	v_mov_b32_e32 v24, v8
	v_subrev_u32_e32 v6, 28, v26
	v_lshlrev_b64 v[6:7], v6, v[23:24]
	v_sub_u32_e32 v7, 29, v26
	v_and_b32_e32 v6, 7, v6
	v_cndmask_b32_e32 v7, v12, v7, vcc
	v_mov_b32_e32 v12, 24
	v_cndmask_b32_e32 v6, v23, v6, vcc
	v_lshlrev_b32_sdwa v12, v12, v16 dst_sel:DWORD dst_unused:UNUSED_PAD src0_sel:DWORD src1_sel:BYTE_3
	v_lshl_add_u32 v7, v7, 23, v27
	v_and_or_b32 v7, v12, s40, v7
	v_lshlrev_b32_e32 v6, 20, v6
	v_or_b32_e32 v24, v7, v6
	v_mov_b32_e32 v23, v8
.LBB206_1300:                           ;   in Loop: Header=BB206_809 Depth=1
	s_or_b64 exec, exec, s[26:27]
.LBB206_1301:                           ;   in Loop: Header=BB206_809 Depth=1
	s_or_b64 exec, exec, s[24:25]
.LBB206_1302:                           ;   in Loop: Header=BB206_809 Depth=1
	s_or_b64 exec, exec, s[22:23]
	v_or_b32_e32 v6, v20, v18
	v_or_b32_e32 v7, v19, v17
	v_mul_f32_e32 v6, v30, v6
	buffer_store_dword v6, off, s[0:3], s32 offset:676 ; 4-byte Folded Spill
	v_mul_f32_e32 v6, v30, v7
	buffer_store_dword v6, off, s[0:3], s32 offset:660 ; 4-byte Folded Spill
	v_or_b32_e32 v6, v24, v22
	v_or_b32_e32 v7, v23, v21
	v_mul_f32_e32 v7, v30, v7
	v_mul_f32_e32 v6, v30, v6
	buffer_store_dword v7, off, s[0:3], s32 offset:668 ; 4-byte Folded Spill
	buffer_store_dword v6, off, s[0:3], s32 offset:652 ; 4-byte Folded Spill
	s_and_saveexec_b64 s[22:23], s[4:5]
	s_cbranch_execz .LBB206_1304
; %bb.1303:                             ;   in Loop: Header=BB206_809 Depth=1
	buffer_load_dword v6, off, s[0:3], s32 offset:72 ; 4-byte Folded Reload
	buffer_load_dword v7, off, s[0:3], s32 offset:660 ; 4-byte Folded Reload
	s_waitcnt vmcnt(1)
	v_cmp_lt_i32_e32 vcc, v35, v6
	s_waitcnt vmcnt(0)
	v_cndmask_b32_e32 v7, 0, v7, vcc
	buffer_store_dword v7, off, s[0:3], s32 offset:660 ; 4-byte Folded Spill
	buffer_load_dword v7, off, s[0:3], s32 offset:676 ; 4-byte Folded Reload
	v_cmp_lt_i32_e32 vcc, v38, v6
	s_waitcnt vmcnt(0)
	v_cndmask_b32_e32 v7, 0, v7, vcc
	buffer_store_dword v7, off, s[0:3], s32 offset:676 ; 4-byte Folded Spill
	buffer_load_dword v7, off, s[0:3], s32 offset:668 ; 4-byte Folded Reload
	v_cmp_lt_i32_e32 vcc, v37, v6
	s_waitcnt vmcnt(0)
	v_cndmask_b32_e32 v7, 0, v7, vcc
	v_cmp_lt_i32_e32 vcc, v36, v6
	buffer_load_dword v6, off, s[0:3], s32 offset:652 ; 4-byte Folded Reload
	s_waitcnt vmcnt(0)
	v_cndmask_b32_e32 v6, 0, v6, vcc
	buffer_store_dword v7, off, s[0:3], s32 offset:668 ; 4-byte Folded Spill
	buffer_store_dword v6, off, s[0:3], s32 offset:652 ; 4-byte Folded Spill
.LBB206_1304:                           ;   in Loop: Header=BB206_809 Depth=1
	s_or_b64 exec, exec, s[22:23]
	v_add_co_u32_e32 v6, vcc, 0x1000, v14
	v_addc_co_u32_e32 v7, vcc, 0, v15, vcc
	flat_load_dword v16, v[6:7] offset:768
	v_mov_b32_e32 v19, 0
	v_mov_b32_e32 v17, 0
	;; [unrolled: 1-line block ×4, first 2 shown]
	s_waitcnt vmcnt(0) lgkmcnt(0)
	v_cmp_ne_u16_sdwa s[24:25], v16, v8 src0_sel:BYTE_0 src1_sel:DWORD
	s_and_saveexec_b64 s[22:23], s[24:25]
	s_cbranch_execz .LBB206_1310
; %bb.1305:                             ;   in Loop: Header=BB206_809 Depth=1
	v_bfrev_b32_e32 v17, 1
	v_mov_b32_e32 v18, 0
	v_cmp_ne_u16_sdwa s[26:27], v16, s28 src0_sel:BYTE_0 src1_sel:DWORD
	s_and_saveexec_b64 s[24:25], s[26:27]
	s_cbranch_execz .LBB206_1309
; %bb.1306:                             ;   in Loop: Header=BB206_809 Depth=1
	v_and_b32_e32 v6, 0x7f, v16
	v_mov_b32_e32 v17, 0x7f800001
	v_mov_b32_e32 v18, 0
	v_cmp_ne_u32_e32 vcc, s29, v6
	s_and_saveexec_b64 s[26:27], vcc
	s_cbranch_execz .LBB206_1308
; %bb.1307:                             ;   in Loop: Header=BB206_809 Depth=1
	v_and_b32_e32 v12, 7, v16
	v_lshrrev_b32_e32 v17, 3, v6
	v_cmp_gt_u32_e32 vcc, 8, v6
	v_ffbh_u32_e32 v6, v12
	v_min_u32_e32 v18, 32, v6
	v_subrev_u32_e32 v6, 28, v18
	v_lshlrev_b64 v[6:7], v6, v[16:17]
	v_sub_u32_e32 v7, 29, v18
	v_and_b32_e32 v6, 7, v6
	v_cndmask_b32_e32 v7, v17, v7, vcc
	v_cndmask_b32_e32 v6, v12, v6, vcc
	v_lshlrev_b32_e32 v6, 20, v6
	v_and_b32_sdwa v12, sext(v16), s40 dst_sel:DWORD dst_unused:UNUSED_PAD src0_sel:BYTE_0 src1_sel:DWORD
	v_lshl_add_u32 v7, v7, 23, v27
	v_or3_b32 v17, v12, v7, v6
	v_mov_b32_e32 v18, v8
.LBB206_1308:                           ;   in Loop: Header=BB206_809 Depth=1
	s_or_b64 exec, exec, s[26:27]
.LBB206_1309:                           ;   in Loop: Header=BB206_809 Depth=1
	s_or_b64 exec, exec, s[24:25]
.LBB206_1310:                           ;   in Loop: Header=BB206_809 Depth=1
	s_or_b64 exec, exec, s[22:23]
	v_cmp_ne_u16_sdwa s[24:25], v16, v8 src0_sel:BYTE_1 src1_sel:DWORD
	s_and_saveexec_b64 s[22:23], s[24:25]
	s_cbranch_execz .LBB206_1316
; %bb.1311:                             ;   in Loop: Header=BB206_809 Depth=1
	v_mov_b32_e32 v20, v9
	v_cmp_ne_u16_sdwa s[26:27], v16, s28 src0_sel:BYTE_1 src1_sel:DWORD
	v_mov_b32_e32 v19, v8
	s_and_saveexec_b64 s[24:25], s[26:27]
	s_cbranch_execz .LBB206_1315
; %bb.1312:                             ;   in Loop: Header=BB206_809 Depth=1
	v_and_b32_sdwa v6, v16, s29 dst_sel:DWORD dst_unused:UNUSED_PAD src0_sel:BYTE_1 src1_sel:DWORD
	v_mov_b32_e32 v12, v8
	v_mov_b32_e32 v20, v13
	v_cmp_ne_u32_e32 vcc, s29, v6
	v_mov_b32_e32 v19, v12
	s_and_saveexec_b64 s[26:27], vcc
	s_cbranch_execz .LBB206_1314
; %bb.1313:                             ;   in Loop: Header=BB206_809 Depth=1
	v_mov_b32_e32 v7, 7
	v_and_b32_sdwa v19, v16, v7 dst_sel:DWORD dst_unused:UNUSED_PAD src0_sel:BYTE_1 src1_sel:DWORD
	v_lshrrev_b32_e32 v12, 3, v6
	v_cmp_gt_u32_e32 vcc, 8, v6
	v_ffbh_u32_e32 v6, v19
	v_min_u32_e32 v21, 32, v6
	v_mov_b32_e32 v20, v8
	v_subrev_u32_e32 v6, 28, v21
	v_lshlrev_b64 v[6:7], v6, v[19:20]
	v_sub_u32_e32 v7, 29, v21
	v_and_b32_e32 v6, 7, v6
	v_cndmask_b32_e32 v7, v12, v7, vcc
	v_cndmask_b32_e32 v6, v19, v6, vcc
	v_lshlrev_b32_e32 v12, 16, v16
	v_lshl_add_u32 v7, v7, 23, v27
	v_and_or_b32 v7, v12, s40, v7
	v_lshlrev_b32_e32 v6, 20, v6
	v_or_b32_e32 v20, v7, v6
	v_mov_b32_e32 v19, v8
.LBB206_1314:                           ;   in Loop: Header=BB206_809 Depth=1
	s_or_b64 exec, exec, s[26:27]
.LBB206_1315:                           ;   in Loop: Header=BB206_809 Depth=1
	s_or_b64 exec, exec, s[24:25]
.LBB206_1316:                           ;   in Loop: Header=BB206_809 Depth=1
	s_or_b64 exec, exec, s[22:23]
	v_lshrrev_b32_e32 v12, 16, v16
	v_mov_b32_e32 v23, 0
	v_mov_b32_e32 v21, 0
	;; [unrolled: 1-line block ×4, first 2 shown]
	v_cmp_ne_u16_sdwa s[24:25], v12, v8 src0_sel:BYTE_0 src1_sel:DWORD
	s_and_saveexec_b64 s[22:23], s[24:25]
	s_cbranch_execz .LBB206_1322
; %bb.1317:                             ;   in Loop: Header=BB206_809 Depth=1
	v_bfrev_b32_e32 v21, 1
	v_mov_b32_e32 v22, 0
	v_cmp_ne_u16_sdwa s[26:27], v12, s28 src0_sel:BYTE_0 src1_sel:DWORD
	s_and_saveexec_b64 s[24:25], s[26:27]
	s_cbranch_execz .LBB206_1321
; %bb.1318:                             ;   in Loop: Header=BB206_809 Depth=1
	v_bfe_u32 v6, v16, 16, 7
	v_mov_b32_e32 v21, 0x7f800001
	v_mov_b32_e32 v22, 0
	v_cmp_ne_u32_e32 vcc, s29, v6
	s_and_saveexec_b64 s[26:27], vcc
	s_cbranch_execz .LBB206_1320
; %bb.1319:                             ;   in Loop: Header=BB206_809 Depth=1
	v_and_b32_e32 v21, 7, v12
	v_lshrrev_b32_e32 v22, 3, v6
	v_cmp_gt_u32_e32 vcc, 8, v6
	v_ffbh_u32_e32 v6, v21
	v_min_u32_e32 v26, 32, v6
	v_subrev_u32_e32 v6, 28, v26
	v_lshlrev_b64 v[6:7], v6, v[12:13]
	v_sub_u32_e32 v7, 29, v26
	v_and_b32_e32 v6, 7, v6
	v_cndmask_b32_e32 v7, v22, v7, vcc
	v_cndmask_b32_e32 v6, v21, v6, vcc
	v_lshlrev_b32_e32 v6, 20, v6
	v_and_b32_sdwa v12, sext(v12), s40 dst_sel:DWORD dst_unused:UNUSED_PAD src0_sel:BYTE_0 src1_sel:DWORD
	v_lshl_add_u32 v7, v7, 23, v27
	v_or3_b32 v21, v12, v7, v6
	v_mov_b32_e32 v22, v8
.LBB206_1320:                           ;   in Loop: Header=BB206_809 Depth=1
	s_or_b64 exec, exec, s[26:27]
.LBB206_1321:                           ;   in Loop: Header=BB206_809 Depth=1
	s_or_b64 exec, exec, s[24:25]
.LBB206_1322:                           ;   in Loop: Header=BB206_809 Depth=1
	s_or_b64 exec, exec, s[22:23]
	v_cmp_lt_u32_e32 vcc, s41, v16
	s_and_saveexec_b64 s[22:23], vcc
	s_cbranch_execz .LBB206_1328
; %bb.1323:                             ;   in Loop: Header=BB206_809 Depth=1
	v_mov_b32_e32 v24, v9
	v_cmp_ne_u32_sdwa s[26:27], v16, s28 src0_sel:BYTE_3 src1_sel:DWORD
	v_mov_b32_e32 v23, v8
	s_and_saveexec_b64 s[24:25], s[26:27]
	s_cbranch_execz .LBB206_1327
; %bb.1324:                             ;   in Loop: Header=BB206_809 Depth=1
	v_bfe_u32 v6, v16, 24, 7
	v_mov_b32_e32 v12, v8
	v_mov_b32_e32 v24, v13
	v_cmp_ne_u32_e32 vcc, s29, v6
	v_mov_b32_e32 v23, v12
	s_and_saveexec_b64 s[26:27], vcc
	s_cbranch_execz .LBB206_1326
; %bb.1325:                             ;   in Loop: Header=BB206_809 Depth=1
	v_mov_b32_e32 v7, 7
	v_and_b32_sdwa v23, v16, v7 dst_sel:DWORD dst_unused:UNUSED_PAD src0_sel:BYTE_3 src1_sel:DWORD
	v_lshrrev_b32_e32 v12, 3, v6
	v_cmp_gt_u32_e32 vcc, 8, v6
	v_ffbh_u32_e32 v6, v23
	v_min_u32_e32 v26, 32, v6
	v_mov_b32_e32 v24, v8
	v_subrev_u32_e32 v6, 28, v26
	v_lshlrev_b64 v[6:7], v6, v[23:24]
	v_sub_u32_e32 v7, 29, v26
	v_and_b32_e32 v6, 7, v6
	v_cndmask_b32_e32 v7, v12, v7, vcc
	v_mov_b32_e32 v12, 24
	v_cndmask_b32_e32 v6, v23, v6, vcc
	v_lshlrev_b32_sdwa v12, v12, v16 dst_sel:DWORD dst_unused:UNUSED_PAD src0_sel:DWORD src1_sel:BYTE_3
	v_lshl_add_u32 v7, v7, 23, v27
	v_and_or_b32 v7, v12, s40, v7
	v_lshlrev_b32_e32 v6, 20, v6
	v_or_b32_e32 v24, v7, v6
	v_mov_b32_e32 v23, v8
.LBB206_1326:                           ;   in Loop: Header=BB206_809 Depth=1
	s_or_b64 exec, exec, s[26:27]
.LBB206_1327:                           ;   in Loop: Header=BB206_809 Depth=1
	s_or_b64 exec, exec, s[24:25]
.LBB206_1328:                           ;   in Loop: Header=BB206_809 Depth=1
	s_or_b64 exec, exec, s[22:23]
	v_or_b32_e32 v6, v20, v18
	v_or_b32_e32 v7, v19, v17
	v_mul_f32_e32 v6, v30, v6
	buffer_store_dword v6, off, s[0:3], s32 offset:708 ; 4-byte Folded Spill
	v_mul_f32_e32 v6, v30, v7
	buffer_store_dword v6, off, s[0:3], s32 offset:692 ; 4-byte Folded Spill
	v_or_b32_e32 v6, v24, v22
	v_or_b32_e32 v7, v23, v21
	v_mul_f32_e32 v7, v30, v7
	v_mul_f32_e32 v6, v30, v6
	buffer_store_dword v7, off, s[0:3], s32 offset:700 ; 4-byte Folded Spill
	buffer_store_dword v6, off, s[0:3], s32 offset:684 ; 4-byte Folded Spill
	s_and_saveexec_b64 s[22:23], s[4:5]
	s_cbranch_execz .LBB206_1330
; %bb.1329:                             ;   in Loop: Header=BB206_809 Depth=1
	buffer_load_dword v6, off, s[0:3], s32 offset:72 ; 4-byte Folded Reload
	buffer_load_dword v7, off, s[0:3], s32 offset:692 ; 4-byte Folded Reload
	s_waitcnt vmcnt(1)
	v_cmp_lt_i32_e32 vcc, v35, v6
	s_waitcnt vmcnt(0)
	v_cndmask_b32_e32 v7, 0, v7, vcc
	buffer_store_dword v7, off, s[0:3], s32 offset:692 ; 4-byte Folded Spill
	buffer_load_dword v7, off, s[0:3], s32 offset:708 ; 4-byte Folded Reload
	v_cmp_lt_i32_e32 vcc, v38, v6
	s_waitcnt vmcnt(0)
	v_cndmask_b32_e32 v7, 0, v7, vcc
	buffer_store_dword v7, off, s[0:3], s32 offset:708 ; 4-byte Folded Spill
	buffer_load_dword v7, off, s[0:3], s32 offset:700 ; 4-byte Folded Reload
	v_cmp_lt_i32_e32 vcc, v37, v6
	s_waitcnt vmcnt(0)
	v_cndmask_b32_e32 v7, 0, v7, vcc
	v_cmp_lt_i32_e32 vcc, v36, v6
	buffer_load_dword v6, off, s[0:3], s32 offset:684 ; 4-byte Folded Reload
	s_waitcnt vmcnt(0)
	v_cndmask_b32_e32 v6, 0, v6, vcc
	buffer_store_dword v7, off, s[0:3], s32 offset:700 ; 4-byte Folded Spill
	buffer_store_dword v6, off, s[0:3], s32 offset:684 ; 4-byte Folded Spill
.LBB206_1330:                           ;   in Loop: Header=BB206_809 Depth=1
	s_or_b64 exec, exec, s[22:23]
	v_add_co_u32_e32 v6, vcc, 0x1000, v14
	v_addc_co_u32_e32 v7, vcc, 0, v15, vcc
	flat_load_dword v16, v[6:7] offset:1024
	v_mov_b32_e32 v19, 0
	v_mov_b32_e32 v17, 0
	;; [unrolled: 1-line block ×4, first 2 shown]
	s_waitcnt vmcnt(0) lgkmcnt(0)
	v_cmp_ne_u16_sdwa s[24:25], v16, v8 src0_sel:BYTE_0 src1_sel:DWORD
	s_and_saveexec_b64 s[22:23], s[24:25]
	s_cbranch_execz .LBB206_1336
; %bb.1331:                             ;   in Loop: Header=BB206_809 Depth=1
	v_bfrev_b32_e32 v17, 1
	v_mov_b32_e32 v18, 0
	v_cmp_ne_u16_sdwa s[26:27], v16, s28 src0_sel:BYTE_0 src1_sel:DWORD
	s_and_saveexec_b64 s[24:25], s[26:27]
	s_cbranch_execz .LBB206_1335
; %bb.1332:                             ;   in Loop: Header=BB206_809 Depth=1
	v_and_b32_e32 v6, 0x7f, v16
	v_mov_b32_e32 v17, 0x7f800001
	v_mov_b32_e32 v18, 0
	v_cmp_ne_u32_e32 vcc, s29, v6
	s_and_saveexec_b64 s[26:27], vcc
	s_cbranch_execz .LBB206_1334
; %bb.1333:                             ;   in Loop: Header=BB206_809 Depth=1
	v_and_b32_e32 v12, 7, v16
	v_lshrrev_b32_e32 v17, 3, v6
	v_cmp_gt_u32_e32 vcc, 8, v6
	v_ffbh_u32_e32 v6, v12
	v_min_u32_e32 v18, 32, v6
	v_subrev_u32_e32 v6, 28, v18
	v_lshlrev_b64 v[6:7], v6, v[16:17]
	v_sub_u32_e32 v7, 29, v18
	v_and_b32_e32 v6, 7, v6
	v_cndmask_b32_e32 v7, v17, v7, vcc
	v_cndmask_b32_e32 v6, v12, v6, vcc
	v_lshlrev_b32_e32 v6, 20, v6
	v_and_b32_sdwa v12, sext(v16), s40 dst_sel:DWORD dst_unused:UNUSED_PAD src0_sel:BYTE_0 src1_sel:DWORD
	v_lshl_add_u32 v7, v7, 23, v27
	v_or3_b32 v17, v12, v7, v6
	v_mov_b32_e32 v18, v8
.LBB206_1334:                           ;   in Loop: Header=BB206_809 Depth=1
	s_or_b64 exec, exec, s[26:27]
.LBB206_1335:                           ;   in Loop: Header=BB206_809 Depth=1
	s_or_b64 exec, exec, s[24:25]
.LBB206_1336:                           ;   in Loop: Header=BB206_809 Depth=1
	s_or_b64 exec, exec, s[22:23]
	v_cmp_ne_u16_sdwa s[24:25], v16, v8 src0_sel:BYTE_1 src1_sel:DWORD
	s_and_saveexec_b64 s[22:23], s[24:25]
	s_cbranch_execz .LBB206_1342
; %bb.1337:                             ;   in Loop: Header=BB206_809 Depth=1
	v_mov_b32_e32 v20, v9
	v_cmp_ne_u16_sdwa s[26:27], v16, s28 src0_sel:BYTE_1 src1_sel:DWORD
	v_mov_b32_e32 v19, v8
	s_and_saveexec_b64 s[24:25], s[26:27]
	s_cbranch_execz .LBB206_1341
; %bb.1338:                             ;   in Loop: Header=BB206_809 Depth=1
	v_and_b32_sdwa v6, v16, s29 dst_sel:DWORD dst_unused:UNUSED_PAD src0_sel:BYTE_1 src1_sel:DWORD
	v_mov_b32_e32 v12, v8
	v_mov_b32_e32 v20, v13
	v_cmp_ne_u32_e32 vcc, s29, v6
	v_mov_b32_e32 v19, v12
	s_and_saveexec_b64 s[26:27], vcc
	s_cbranch_execz .LBB206_1340
; %bb.1339:                             ;   in Loop: Header=BB206_809 Depth=1
	v_mov_b32_e32 v7, 7
	v_and_b32_sdwa v19, v16, v7 dst_sel:DWORD dst_unused:UNUSED_PAD src0_sel:BYTE_1 src1_sel:DWORD
	v_lshrrev_b32_e32 v12, 3, v6
	v_cmp_gt_u32_e32 vcc, 8, v6
	v_ffbh_u32_e32 v6, v19
	v_min_u32_e32 v21, 32, v6
	v_mov_b32_e32 v20, v8
	v_subrev_u32_e32 v6, 28, v21
	v_lshlrev_b64 v[6:7], v6, v[19:20]
	v_sub_u32_e32 v7, 29, v21
	v_and_b32_e32 v6, 7, v6
	v_cndmask_b32_e32 v7, v12, v7, vcc
	v_cndmask_b32_e32 v6, v19, v6, vcc
	v_lshlrev_b32_e32 v12, 16, v16
	v_lshl_add_u32 v7, v7, 23, v27
	v_and_or_b32 v7, v12, s40, v7
	v_lshlrev_b32_e32 v6, 20, v6
	v_or_b32_e32 v20, v7, v6
	v_mov_b32_e32 v19, v8
.LBB206_1340:                           ;   in Loop: Header=BB206_809 Depth=1
	s_or_b64 exec, exec, s[26:27]
.LBB206_1341:                           ;   in Loop: Header=BB206_809 Depth=1
	s_or_b64 exec, exec, s[24:25]
.LBB206_1342:                           ;   in Loop: Header=BB206_809 Depth=1
	s_or_b64 exec, exec, s[22:23]
	v_lshrrev_b32_e32 v12, 16, v16
	v_mov_b32_e32 v23, 0
	v_mov_b32_e32 v21, 0
	v_mov_b32_e32 v24, 0
	v_mov_b32_e32 v22, 0
	v_cmp_ne_u16_sdwa s[24:25], v12, v8 src0_sel:BYTE_0 src1_sel:DWORD
	s_and_saveexec_b64 s[22:23], s[24:25]
	s_cbranch_execz .LBB206_1348
; %bb.1343:                             ;   in Loop: Header=BB206_809 Depth=1
	v_bfrev_b32_e32 v21, 1
	v_mov_b32_e32 v22, 0
	v_cmp_ne_u16_sdwa s[26:27], v12, s28 src0_sel:BYTE_0 src1_sel:DWORD
	s_and_saveexec_b64 s[24:25], s[26:27]
	s_cbranch_execz .LBB206_1347
; %bb.1344:                             ;   in Loop: Header=BB206_809 Depth=1
	v_bfe_u32 v6, v16, 16, 7
	v_mov_b32_e32 v21, 0x7f800001
	v_mov_b32_e32 v22, 0
	v_cmp_ne_u32_e32 vcc, s29, v6
	s_and_saveexec_b64 s[26:27], vcc
	s_cbranch_execz .LBB206_1346
; %bb.1345:                             ;   in Loop: Header=BB206_809 Depth=1
	v_and_b32_e32 v21, 7, v12
	v_lshrrev_b32_e32 v22, 3, v6
	v_cmp_gt_u32_e32 vcc, 8, v6
	v_ffbh_u32_e32 v6, v21
	v_min_u32_e32 v26, 32, v6
	v_subrev_u32_e32 v6, 28, v26
	v_lshlrev_b64 v[6:7], v6, v[12:13]
	v_sub_u32_e32 v7, 29, v26
	v_and_b32_e32 v6, 7, v6
	v_cndmask_b32_e32 v7, v22, v7, vcc
	v_cndmask_b32_e32 v6, v21, v6, vcc
	v_lshlrev_b32_e32 v6, 20, v6
	v_and_b32_sdwa v12, sext(v12), s40 dst_sel:DWORD dst_unused:UNUSED_PAD src0_sel:BYTE_0 src1_sel:DWORD
	v_lshl_add_u32 v7, v7, 23, v27
	v_or3_b32 v21, v12, v7, v6
	v_mov_b32_e32 v22, v8
.LBB206_1346:                           ;   in Loop: Header=BB206_809 Depth=1
	s_or_b64 exec, exec, s[26:27]
.LBB206_1347:                           ;   in Loop: Header=BB206_809 Depth=1
	s_or_b64 exec, exec, s[24:25]
.LBB206_1348:                           ;   in Loop: Header=BB206_809 Depth=1
	s_or_b64 exec, exec, s[22:23]
	v_cmp_lt_u32_e32 vcc, s41, v16
	s_and_saveexec_b64 s[22:23], vcc
	s_cbranch_execz .LBB206_1354
; %bb.1349:                             ;   in Loop: Header=BB206_809 Depth=1
	v_mov_b32_e32 v24, v9
	v_cmp_ne_u32_sdwa s[26:27], v16, s28 src0_sel:BYTE_3 src1_sel:DWORD
	v_mov_b32_e32 v23, v8
	s_and_saveexec_b64 s[24:25], s[26:27]
	s_cbranch_execz .LBB206_1353
; %bb.1350:                             ;   in Loop: Header=BB206_809 Depth=1
	v_bfe_u32 v6, v16, 24, 7
	v_mov_b32_e32 v12, v8
	v_mov_b32_e32 v24, v13
	v_cmp_ne_u32_e32 vcc, s29, v6
	v_mov_b32_e32 v23, v12
	s_and_saveexec_b64 s[26:27], vcc
	s_cbranch_execz .LBB206_1352
; %bb.1351:                             ;   in Loop: Header=BB206_809 Depth=1
	v_mov_b32_e32 v7, 7
	v_and_b32_sdwa v23, v16, v7 dst_sel:DWORD dst_unused:UNUSED_PAD src0_sel:BYTE_3 src1_sel:DWORD
	v_lshrrev_b32_e32 v12, 3, v6
	v_cmp_gt_u32_e32 vcc, 8, v6
	v_ffbh_u32_e32 v6, v23
	v_min_u32_e32 v26, 32, v6
	v_mov_b32_e32 v24, v8
	v_subrev_u32_e32 v6, 28, v26
	v_lshlrev_b64 v[6:7], v6, v[23:24]
	v_sub_u32_e32 v7, 29, v26
	v_and_b32_e32 v6, 7, v6
	v_cndmask_b32_e32 v7, v12, v7, vcc
	v_mov_b32_e32 v12, 24
	v_cndmask_b32_e32 v6, v23, v6, vcc
	v_lshlrev_b32_sdwa v12, v12, v16 dst_sel:DWORD dst_unused:UNUSED_PAD src0_sel:DWORD src1_sel:BYTE_3
	v_lshl_add_u32 v7, v7, 23, v27
	v_and_or_b32 v7, v12, s40, v7
	v_lshlrev_b32_e32 v6, 20, v6
	v_or_b32_e32 v24, v7, v6
	v_mov_b32_e32 v23, v8
.LBB206_1352:                           ;   in Loop: Header=BB206_809 Depth=1
	s_or_b64 exec, exec, s[26:27]
.LBB206_1353:                           ;   in Loop: Header=BB206_809 Depth=1
	s_or_b64 exec, exec, s[24:25]
.LBB206_1354:                           ;   in Loop: Header=BB206_809 Depth=1
	s_or_b64 exec, exec, s[22:23]
	v_or_b32_e32 v6, v20, v18
	v_or_b32_e32 v7, v19, v17
	v_mul_f32_e32 v6, v30, v6
	buffer_store_dword v6, off, s[0:3], s32 offset:740 ; 4-byte Folded Spill
	v_mul_f32_e32 v6, v30, v7
	buffer_store_dword v6, off, s[0:3], s32 offset:724 ; 4-byte Folded Spill
	v_or_b32_e32 v6, v24, v22
	v_or_b32_e32 v7, v23, v21
	v_mul_f32_e32 v7, v30, v7
	v_mul_f32_e32 v6, v30, v6
	buffer_store_dword v7, off, s[0:3], s32 offset:732 ; 4-byte Folded Spill
	buffer_store_dword v6, off, s[0:3], s32 offset:716 ; 4-byte Folded Spill
	s_and_saveexec_b64 s[22:23], s[4:5]
	s_cbranch_execz .LBB206_1356
; %bb.1355:                             ;   in Loop: Header=BB206_809 Depth=1
	buffer_load_dword v6, off, s[0:3], s32 offset:72 ; 4-byte Folded Reload
	buffer_load_dword v7, off, s[0:3], s32 offset:724 ; 4-byte Folded Reload
	s_waitcnt vmcnt(1)
	v_cmp_lt_i32_e32 vcc, v35, v6
	s_waitcnt vmcnt(0)
	v_cndmask_b32_e32 v7, 0, v7, vcc
	buffer_store_dword v7, off, s[0:3], s32 offset:724 ; 4-byte Folded Spill
	buffer_load_dword v7, off, s[0:3], s32 offset:740 ; 4-byte Folded Reload
	v_cmp_lt_i32_e32 vcc, v38, v6
	s_waitcnt vmcnt(0)
	v_cndmask_b32_e32 v7, 0, v7, vcc
	buffer_store_dword v7, off, s[0:3], s32 offset:740 ; 4-byte Folded Spill
	buffer_load_dword v7, off, s[0:3], s32 offset:732 ; 4-byte Folded Reload
	v_cmp_lt_i32_e32 vcc, v37, v6
	s_waitcnt vmcnt(0)
	v_cndmask_b32_e32 v7, 0, v7, vcc
	v_cmp_lt_i32_e32 vcc, v36, v6
	buffer_load_dword v6, off, s[0:3], s32 offset:716 ; 4-byte Folded Reload
	s_waitcnt vmcnt(0)
	v_cndmask_b32_e32 v6, 0, v6, vcc
	buffer_store_dword v7, off, s[0:3], s32 offset:732 ; 4-byte Folded Spill
	buffer_store_dword v6, off, s[0:3], s32 offset:716 ; 4-byte Folded Spill
.LBB206_1356:                           ;   in Loop: Header=BB206_809 Depth=1
	s_or_b64 exec, exec, s[22:23]
	v_add_co_u32_e32 v6, vcc, 0x1000, v14
	v_addc_co_u32_e32 v7, vcc, 0, v15, vcc
	flat_load_dword v16, v[6:7] offset:1280
	v_mov_b32_e32 v19, 0
	v_mov_b32_e32 v17, 0
	;; [unrolled: 1-line block ×4, first 2 shown]
	s_waitcnt vmcnt(0) lgkmcnt(0)
	v_cmp_ne_u16_sdwa s[24:25], v16, v8 src0_sel:BYTE_0 src1_sel:DWORD
	s_and_saveexec_b64 s[22:23], s[24:25]
	s_cbranch_execz .LBB206_1362
; %bb.1357:                             ;   in Loop: Header=BB206_809 Depth=1
	v_bfrev_b32_e32 v17, 1
	v_mov_b32_e32 v18, 0
	v_cmp_ne_u16_sdwa s[26:27], v16, s28 src0_sel:BYTE_0 src1_sel:DWORD
	s_and_saveexec_b64 s[24:25], s[26:27]
	s_cbranch_execz .LBB206_1361
; %bb.1358:                             ;   in Loop: Header=BB206_809 Depth=1
	v_and_b32_e32 v6, 0x7f, v16
	v_mov_b32_e32 v17, 0x7f800001
	v_mov_b32_e32 v18, 0
	v_cmp_ne_u32_e32 vcc, s29, v6
	s_and_saveexec_b64 s[26:27], vcc
	s_cbranch_execz .LBB206_1360
; %bb.1359:                             ;   in Loop: Header=BB206_809 Depth=1
	v_and_b32_e32 v12, 7, v16
	v_lshrrev_b32_e32 v17, 3, v6
	v_cmp_gt_u32_e32 vcc, 8, v6
	v_ffbh_u32_e32 v6, v12
	v_min_u32_e32 v18, 32, v6
	v_subrev_u32_e32 v6, 28, v18
	v_lshlrev_b64 v[6:7], v6, v[16:17]
	v_sub_u32_e32 v7, 29, v18
	v_and_b32_e32 v6, 7, v6
	v_cndmask_b32_e32 v7, v17, v7, vcc
	v_cndmask_b32_e32 v6, v12, v6, vcc
	v_lshlrev_b32_e32 v6, 20, v6
	v_and_b32_sdwa v12, sext(v16), s40 dst_sel:DWORD dst_unused:UNUSED_PAD src0_sel:BYTE_0 src1_sel:DWORD
	v_lshl_add_u32 v7, v7, 23, v27
	v_or3_b32 v17, v12, v7, v6
	v_mov_b32_e32 v18, v8
.LBB206_1360:                           ;   in Loop: Header=BB206_809 Depth=1
	s_or_b64 exec, exec, s[26:27]
.LBB206_1361:                           ;   in Loop: Header=BB206_809 Depth=1
	s_or_b64 exec, exec, s[24:25]
.LBB206_1362:                           ;   in Loop: Header=BB206_809 Depth=1
	s_or_b64 exec, exec, s[22:23]
	v_cmp_ne_u16_sdwa s[24:25], v16, v8 src0_sel:BYTE_1 src1_sel:DWORD
	s_and_saveexec_b64 s[22:23], s[24:25]
	s_cbranch_execz .LBB206_1368
; %bb.1363:                             ;   in Loop: Header=BB206_809 Depth=1
	v_mov_b32_e32 v20, v9
	v_cmp_ne_u16_sdwa s[26:27], v16, s28 src0_sel:BYTE_1 src1_sel:DWORD
	v_mov_b32_e32 v19, v8
	s_and_saveexec_b64 s[24:25], s[26:27]
	s_cbranch_execz .LBB206_1367
; %bb.1364:                             ;   in Loop: Header=BB206_809 Depth=1
	v_and_b32_sdwa v6, v16, s29 dst_sel:DWORD dst_unused:UNUSED_PAD src0_sel:BYTE_1 src1_sel:DWORD
	v_mov_b32_e32 v12, v8
	v_mov_b32_e32 v20, v13
	v_cmp_ne_u32_e32 vcc, s29, v6
	v_mov_b32_e32 v19, v12
	s_and_saveexec_b64 s[26:27], vcc
	s_cbranch_execz .LBB206_1366
; %bb.1365:                             ;   in Loop: Header=BB206_809 Depth=1
	v_mov_b32_e32 v7, 7
	v_and_b32_sdwa v19, v16, v7 dst_sel:DWORD dst_unused:UNUSED_PAD src0_sel:BYTE_1 src1_sel:DWORD
	v_lshrrev_b32_e32 v12, 3, v6
	v_cmp_gt_u32_e32 vcc, 8, v6
	v_ffbh_u32_e32 v6, v19
	v_min_u32_e32 v21, 32, v6
	v_mov_b32_e32 v20, v8
	v_subrev_u32_e32 v6, 28, v21
	v_lshlrev_b64 v[6:7], v6, v[19:20]
	v_sub_u32_e32 v7, 29, v21
	v_and_b32_e32 v6, 7, v6
	v_cndmask_b32_e32 v7, v12, v7, vcc
	v_cndmask_b32_e32 v6, v19, v6, vcc
	v_lshlrev_b32_e32 v12, 16, v16
	v_lshl_add_u32 v7, v7, 23, v27
	v_and_or_b32 v7, v12, s40, v7
	v_lshlrev_b32_e32 v6, 20, v6
	v_or_b32_e32 v20, v7, v6
	v_mov_b32_e32 v19, v8
.LBB206_1366:                           ;   in Loop: Header=BB206_809 Depth=1
	s_or_b64 exec, exec, s[26:27]
.LBB206_1367:                           ;   in Loop: Header=BB206_809 Depth=1
	s_or_b64 exec, exec, s[24:25]
.LBB206_1368:                           ;   in Loop: Header=BB206_809 Depth=1
	s_or_b64 exec, exec, s[22:23]
	v_lshrrev_b32_e32 v12, 16, v16
	v_mov_b32_e32 v23, 0
	v_mov_b32_e32 v21, 0
	;; [unrolled: 1-line block ×4, first 2 shown]
	v_cmp_ne_u16_sdwa s[24:25], v12, v8 src0_sel:BYTE_0 src1_sel:DWORD
	s_and_saveexec_b64 s[22:23], s[24:25]
	s_cbranch_execz .LBB206_1374
; %bb.1369:                             ;   in Loop: Header=BB206_809 Depth=1
	v_bfrev_b32_e32 v21, 1
	v_mov_b32_e32 v22, 0
	v_cmp_ne_u16_sdwa s[26:27], v12, s28 src0_sel:BYTE_0 src1_sel:DWORD
	s_and_saveexec_b64 s[24:25], s[26:27]
	s_cbranch_execz .LBB206_1373
; %bb.1370:                             ;   in Loop: Header=BB206_809 Depth=1
	v_bfe_u32 v6, v16, 16, 7
	v_mov_b32_e32 v21, 0x7f800001
	v_mov_b32_e32 v22, 0
	v_cmp_ne_u32_e32 vcc, s29, v6
	s_and_saveexec_b64 s[26:27], vcc
	s_cbranch_execz .LBB206_1372
; %bb.1371:                             ;   in Loop: Header=BB206_809 Depth=1
	v_and_b32_e32 v21, 7, v12
	v_lshrrev_b32_e32 v22, 3, v6
	v_cmp_gt_u32_e32 vcc, 8, v6
	v_ffbh_u32_e32 v6, v21
	v_min_u32_e32 v26, 32, v6
	v_subrev_u32_e32 v6, 28, v26
	v_lshlrev_b64 v[6:7], v6, v[12:13]
	v_sub_u32_e32 v7, 29, v26
	v_and_b32_e32 v6, 7, v6
	v_cndmask_b32_e32 v7, v22, v7, vcc
	v_cndmask_b32_e32 v6, v21, v6, vcc
	v_lshlrev_b32_e32 v6, 20, v6
	v_and_b32_sdwa v12, sext(v12), s40 dst_sel:DWORD dst_unused:UNUSED_PAD src0_sel:BYTE_0 src1_sel:DWORD
	v_lshl_add_u32 v7, v7, 23, v27
	v_or3_b32 v21, v12, v7, v6
	v_mov_b32_e32 v22, v8
.LBB206_1372:                           ;   in Loop: Header=BB206_809 Depth=1
	s_or_b64 exec, exec, s[26:27]
.LBB206_1373:                           ;   in Loop: Header=BB206_809 Depth=1
	s_or_b64 exec, exec, s[24:25]
.LBB206_1374:                           ;   in Loop: Header=BB206_809 Depth=1
	s_or_b64 exec, exec, s[22:23]
	v_cmp_lt_u32_e32 vcc, s41, v16
	s_and_saveexec_b64 s[22:23], vcc
	s_cbranch_execz .LBB206_1380
; %bb.1375:                             ;   in Loop: Header=BB206_809 Depth=1
	v_mov_b32_e32 v24, v9
	v_cmp_ne_u32_sdwa s[26:27], v16, s28 src0_sel:BYTE_3 src1_sel:DWORD
	v_mov_b32_e32 v23, v8
	s_and_saveexec_b64 s[24:25], s[26:27]
	s_cbranch_execz .LBB206_1379
; %bb.1376:                             ;   in Loop: Header=BB206_809 Depth=1
	v_bfe_u32 v6, v16, 24, 7
	v_mov_b32_e32 v12, v8
	v_mov_b32_e32 v24, v13
	v_cmp_ne_u32_e32 vcc, s29, v6
	v_mov_b32_e32 v23, v12
	s_and_saveexec_b64 s[26:27], vcc
	s_cbranch_execz .LBB206_1378
; %bb.1377:                             ;   in Loop: Header=BB206_809 Depth=1
	v_mov_b32_e32 v7, 7
	v_and_b32_sdwa v23, v16, v7 dst_sel:DWORD dst_unused:UNUSED_PAD src0_sel:BYTE_3 src1_sel:DWORD
	v_lshrrev_b32_e32 v12, 3, v6
	v_cmp_gt_u32_e32 vcc, 8, v6
	v_ffbh_u32_e32 v6, v23
	v_min_u32_e32 v26, 32, v6
	v_mov_b32_e32 v24, v8
	v_subrev_u32_e32 v6, 28, v26
	v_lshlrev_b64 v[6:7], v6, v[23:24]
	v_sub_u32_e32 v7, 29, v26
	v_and_b32_e32 v6, 7, v6
	v_cndmask_b32_e32 v7, v12, v7, vcc
	v_mov_b32_e32 v12, 24
	v_cndmask_b32_e32 v6, v23, v6, vcc
	v_lshlrev_b32_sdwa v12, v12, v16 dst_sel:DWORD dst_unused:UNUSED_PAD src0_sel:DWORD src1_sel:BYTE_3
	v_lshl_add_u32 v7, v7, 23, v27
	v_and_or_b32 v7, v12, s40, v7
	v_lshlrev_b32_e32 v6, 20, v6
	v_or_b32_e32 v24, v7, v6
	v_mov_b32_e32 v23, v8
.LBB206_1378:                           ;   in Loop: Header=BB206_809 Depth=1
	s_or_b64 exec, exec, s[26:27]
.LBB206_1379:                           ;   in Loop: Header=BB206_809 Depth=1
	s_or_b64 exec, exec, s[24:25]
.LBB206_1380:                           ;   in Loop: Header=BB206_809 Depth=1
	s_or_b64 exec, exec, s[22:23]
	v_or_b32_e32 v6, v20, v18
	v_or_b32_e32 v7, v19, v17
	v_mul_f32_e32 v6, v30, v6
	buffer_store_dword v6, off, s[0:3], s32 offset:772 ; 4-byte Folded Spill
	v_mul_f32_e32 v6, v30, v7
	buffer_store_dword v6, off, s[0:3], s32 offset:756 ; 4-byte Folded Spill
	v_or_b32_e32 v6, v24, v22
	v_or_b32_e32 v7, v23, v21
	v_mul_f32_e32 v7, v30, v7
	v_mul_f32_e32 v6, v30, v6
	buffer_store_dword v7, off, s[0:3], s32 offset:764 ; 4-byte Folded Spill
	buffer_store_dword v6, off, s[0:3], s32 offset:748 ; 4-byte Folded Spill
	s_and_saveexec_b64 s[22:23], s[4:5]
	s_cbranch_execz .LBB206_1382
; %bb.1381:                             ;   in Loop: Header=BB206_809 Depth=1
	buffer_load_dword v6, off, s[0:3], s32 offset:72 ; 4-byte Folded Reload
	buffer_load_dword v7, off, s[0:3], s32 offset:756 ; 4-byte Folded Reload
	s_waitcnt vmcnt(1)
	v_cmp_lt_i32_e32 vcc, v35, v6
	s_waitcnt vmcnt(0)
	v_cndmask_b32_e32 v7, 0, v7, vcc
	buffer_store_dword v7, off, s[0:3], s32 offset:756 ; 4-byte Folded Spill
	buffer_load_dword v7, off, s[0:3], s32 offset:772 ; 4-byte Folded Reload
	v_cmp_lt_i32_e32 vcc, v38, v6
	s_waitcnt vmcnt(0)
	v_cndmask_b32_e32 v7, 0, v7, vcc
	buffer_store_dword v7, off, s[0:3], s32 offset:772 ; 4-byte Folded Spill
	buffer_load_dword v7, off, s[0:3], s32 offset:764 ; 4-byte Folded Reload
	v_cmp_lt_i32_e32 vcc, v37, v6
	s_waitcnt vmcnt(0)
	v_cndmask_b32_e32 v7, 0, v7, vcc
	v_cmp_lt_i32_e32 vcc, v36, v6
	buffer_load_dword v6, off, s[0:3], s32 offset:748 ; 4-byte Folded Reload
	s_waitcnt vmcnt(0)
	v_cndmask_b32_e32 v6, 0, v6, vcc
	buffer_store_dword v7, off, s[0:3], s32 offset:764 ; 4-byte Folded Spill
	buffer_store_dword v6, off, s[0:3], s32 offset:748 ; 4-byte Folded Spill
.LBB206_1382:                           ;   in Loop: Header=BB206_809 Depth=1
	s_or_b64 exec, exec, s[22:23]
	v_add_co_u32_e32 v6, vcc, 0x1000, v14
	v_addc_co_u32_e32 v7, vcc, 0, v15, vcc
	flat_load_dword v16, v[6:7] offset:1536
	v_mov_b32_e32 v19, 0
	v_mov_b32_e32 v17, 0
	;; [unrolled: 1-line block ×4, first 2 shown]
	s_waitcnt vmcnt(0) lgkmcnt(0)
	v_cmp_ne_u16_sdwa s[24:25], v16, v8 src0_sel:BYTE_0 src1_sel:DWORD
	s_and_saveexec_b64 s[22:23], s[24:25]
	s_cbranch_execz .LBB206_1388
; %bb.1383:                             ;   in Loop: Header=BB206_809 Depth=1
	v_bfrev_b32_e32 v17, 1
	v_mov_b32_e32 v18, 0
	v_cmp_ne_u16_sdwa s[26:27], v16, s28 src0_sel:BYTE_0 src1_sel:DWORD
	s_and_saveexec_b64 s[24:25], s[26:27]
	s_cbranch_execz .LBB206_1387
; %bb.1384:                             ;   in Loop: Header=BB206_809 Depth=1
	v_and_b32_e32 v6, 0x7f, v16
	v_mov_b32_e32 v17, 0x7f800001
	v_mov_b32_e32 v18, 0
	v_cmp_ne_u32_e32 vcc, s29, v6
	s_and_saveexec_b64 s[26:27], vcc
	s_cbranch_execz .LBB206_1386
; %bb.1385:                             ;   in Loop: Header=BB206_809 Depth=1
	v_and_b32_e32 v12, 7, v16
	v_lshrrev_b32_e32 v17, 3, v6
	v_cmp_gt_u32_e32 vcc, 8, v6
	v_ffbh_u32_e32 v6, v12
	v_min_u32_e32 v18, 32, v6
	v_subrev_u32_e32 v6, 28, v18
	v_lshlrev_b64 v[6:7], v6, v[16:17]
	v_sub_u32_e32 v7, 29, v18
	v_and_b32_e32 v6, 7, v6
	v_cndmask_b32_e32 v7, v17, v7, vcc
	v_cndmask_b32_e32 v6, v12, v6, vcc
	v_lshlrev_b32_e32 v6, 20, v6
	v_and_b32_sdwa v12, sext(v16), s40 dst_sel:DWORD dst_unused:UNUSED_PAD src0_sel:BYTE_0 src1_sel:DWORD
	v_lshl_add_u32 v7, v7, 23, v27
	v_or3_b32 v17, v12, v7, v6
	v_mov_b32_e32 v18, v8
.LBB206_1386:                           ;   in Loop: Header=BB206_809 Depth=1
	s_or_b64 exec, exec, s[26:27]
.LBB206_1387:                           ;   in Loop: Header=BB206_809 Depth=1
	s_or_b64 exec, exec, s[24:25]
.LBB206_1388:                           ;   in Loop: Header=BB206_809 Depth=1
	s_or_b64 exec, exec, s[22:23]
	v_cmp_ne_u16_sdwa s[24:25], v16, v8 src0_sel:BYTE_1 src1_sel:DWORD
	s_and_saveexec_b64 s[22:23], s[24:25]
	s_cbranch_execz .LBB206_1394
; %bb.1389:                             ;   in Loop: Header=BB206_809 Depth=1
	v_mov_b32_e32 v20, v9
	v_cmp_ne_u16_sdwa s[26:27], v16, s28 src0_sel:BYTE_1 src1_sel:DWORD
	v_mov_b32_e32 v19, v8
	s_and_saveexec_b64 s[24:25], s[26:27]
	s_cbranch_execz .LBB206_1393
; %bb.1390:                             ;   in Loop: Header=BB206_809 Depth=1
	v_and_b32_sdwa v6, v16, s29 dst_sel:DWORD dst_unused:UNUSED_PAD src0_sel:BYTE_1 src1_sel:DWORD
	v_mov_b32_e32 v12, v8
	v_mov_b32_e32 v20, v13
	v_cmp_ne_u32_e32 vcc, s29, v6
	v_mov_b32_e32 v19, v12
	s_and_saveexec_b64 s[26:27], vcc
	s_cbranch_execz .LBB206_1392
; %bb.1391:                             ;   in Loop: Header=BB206_809 Depth=1
	v_mov_b32_e32 v7, 7
	v_and_b32_sdwa v19, v16, v7 dst_sel:DWORD dst_unused:UNUSED_PAD src0_sel:BYTE_1 src1_sel:DWORD
	v_lshrrev_b32_e32 v12, 3, v6
	v_cmp_gt_u32_e32 vcc, 8, v6
	v_ffbh_u32_e32 v6, v19
	v_min_u32_e32 v21, 32, v6
	v_mov_b32_e32 v20, v8
	v_subrev_u32_e32 v6, 28, v21
	v_lshlrev_b64 v[6:7], v6, v[19:20]
	v_sub_u32_e32 v7, 29, v21
	v_and_b32_e32 v6, 7, v6
	v_cndmask_b32_e32 v7, v12, v7, vcc
	v_cndmask_b32_e32 v6, v19, v6, vcc
	v_lshlrev_b32_e32 v12, 16, v16
	v_lshl_add_u32 v7, v7, 23, v27
	v_and_or_b32 v7, v12, s40, v7
	v_lshlrev_b32_e32 v6, 20, v6
	v_or_b32_e32 v20, v7, v6
	v_mov_b32_e32 v19, v8
.LBB206_1392:                           ;   in Loop: Header=BB206_809 Depth=1
	s_or_b64 exec, exec, s[26:27]
.LBB206_1393:                           ;   in Loop: Header=BB206_809 Depth=1
	s_or_b64 exec, exec, s[24:25]
.LBB206_1394:                           ;   in Loop: Header=BB206_809 Depth=1
	s_or_b64 exec, exec, s[22:23]
	v_lshrrev_b32_e32 v12, 16, v16
	v_mov_b32_e32 v23, 0
	v_mov_b32_e32 v21, 0
	;; [unrolled: 1-line block ×4, first 2 shown]
	v_cmp_ne_u16_sdwa s[24:25], v12, v8 src0_sel:BYTE_0 src1_sel:DWORD
	s_and_saveexec_b64 s[22:23], s[24:25]
	s_cbranch_execz .LBB206_1400
; %bb.1395:                             ;   in Loop: Header=BB206_809 Depth=1
	v_bfrev_b32_e32 v21, 1
	v_mov_b32_e32 v22, 0
	v_cmp_ne_u16_sdwa s[26:27], v12, s28 src0_sel:BYTE_0 src1_sel:DWORD
	s_and_saveexec_b64 s[24:25], s[26:27]
	s_cbranch_execz .LBB206_1399
; %bb.1396:                             ;   in Loop: Header=BB206_809 Depth=1
	v_bfe_u32 v6, v16, 16, 7
	v_mov_b32_e32 v21, 0x7f800001
	v_mov_b32_e32 v22, 0
	v_cmp_ne_u32_e32 vcc, s29, v6
	s_and_saveexec_b64 s[26:27], vcc
	s_cbranch_execz .LBB206_1398
; %bb.1397:                             ;   in Loop: Header=BB206_809 Depth=1
	v_and_b32_e32 v21, 7, v12
	v_lshrrev_b32_e32 v22, 3, v6
	v_cmp_gt_u32_e32 vcc, 8, v6
	v_ffbh_u32_e32 v6, v21
	v_min_u32_e32 v26, 32, v6
	v_subrev_u32_e32 v6, 28, v26
	v_lshlrev_b64 v[6:7], v6, v[12:13]
	v_sub_u32_e32 v7, 29, v26
	v_and_b32_e32 v6, 7, v6
	v_cndmask_b32_e32 v7, v22, v7, vcc
	v_cndmask_b32_e32 v6, v21, v6, vcc
	v_lshlrev_b32_e32 v6, 20, v6
	v_and_b32_sdwa v12, sext(v12), s40 dst_sel:DWORD dst_unused:UNUSED_PAD src0_sel:BYTE_0 src1_sel:DWORD
	v_lshl_add_u32 v7, v7, 23, v27
	v_or3_b32 v21, v12, v7, v6
	v_mov_b32_e32 v22, v8
.LBB206_1398:                           ;   in Loop: Header=BB206_809 Depth=1
	s_or_b64 exec, exec, s[26:27]
.LBB206_1399:                           ;   in Loop: Header=BB206_809 Depth=1
	s_or_b64 exec, exec, s[24:25]
.LBB206_1400:                           ;   in Loop: Header=BB206_809 Depth=1
	s_or_b64 exec, exec, s[22:23]
	v_cmp_lt_u32_e32 vcc, s41, v16
	s_and_saveexec_b64 s[22:23], vcc
	s_cbranch_execz .LBB206_1406
; %bb.1401:                             ;   in Loop: Header=BB206_809 Depth=1
	v_mov_b32_e32 v24, v9
	v_cmp_ne_u32_sdwa s[26:27], v16, s28 src0_sel:BYTE_3 src1_sel:DWORD
	v_mov_b32_e32 v23, v8
	s_and_saveexec_b64 s[24:25], s[26:27]
	s_cbranch_execz .LBB206_1405
; %bb.1402:                             ;   in Loop: Header=BB206_809 Depth=1
	v_bfe_u32 v6, v16, 24, 7
	v_mov_b32_e32 v12, v8
	v_mov_b32_e32 v24, v13
	v_cmp_ne_u32_e32 vcc, s29, v6
	v_mov_b32_e32 v23, v12
	s_and_saveexec_b64 s[26:27], vcc
	s_cbranch_execz .LBB206_1404
; %bb.1403:                             ;   in Loop: Header=BB206_809 Depth=1
	v_mov_b32_e32 v7, 7
	v_and_b32_sdwa v23, v16, v7 dst_sel:DWORD dst_unused:UNUSED_PAD src0_sel:BYTE_3 src1_sel:DWORD
	v_lshrrev_b32_e32 v12, 3, v6
	v_cmp_gt_u32_e32 vcc, 8, v6
	v_ffbh_u32_e32 v6, v23
	v_min_u32_e32 v26, 32, v6
	v_mov_b32_e32 v24, v8
	v_subrev_u32_e32 v6, 28, v26
	v_lshlrev_b64 v[6:7], v6, v[23:24]
	v_sub_u32_e32 v7, 29, v26
	v_and_b32_e32 v6, 7, v6
	v_cndmask_b32_e32 v7, v12, v7, vcc
	v_mov_b32_e32 v12, 24
	v_cndmask_b32_e32 v6, v23, v6, vcc
	v_lshlrev_b32_sdwa v12, v12, v16 dst_sel:DWORD dst_unused:UNUSED_PAD src0_sel:DWORD src1_sel:BYTE_3
	v_lshl_add_u32 v7, v7, 23, v27
	v_and_or_b32 v7, v12, s40, v7
	v_lshlrev_b32_e32 v6, 20, v6
	v_or_b32_e32 v24, v7, v6
	v_mov_b32_e32 v23, v8
.LBB206_1404:                           ;   in Loop: Header=BB206_809 Depth=1
	s_or_b64 exec, exec, s[26:27]
.LBB206_1405:                           ;   in Loop: Header=BB206_809 Depth=1
	s_or_b64 exec, exec, s[24:25]
.LBB206_1406:                           ;   in Loop: Header=BB206_809 Depth=1
	s_or_b64 exec, exec, s[22:23]
	v_or_b32_e32 v6, v20, v18
	v_or_b32_e32 v7, v19, v17
	v_mul_f32_e32 v31, v30, v6
	v_mul_f32_e32 v63, v30, v7
	v_or_b32_e32 v6, v24, v22
	v_or_b32_e32 v7, v23, v21
	v_mul_f32_e32 v7, v30, v7
	v_mul_f32_e32 v6, v30, v6
	buffer_store_dword v6, off, s[0:3], s32 offset:780 ; 4-byte Folded Spill
	s_and_saveexec_b64 s[22:23], s[4:5]
	s_cbranch_execz .LBB206_1408
; %bb.1407:                             ;   in Loop: Header=BB206_809 Depth=1
	buffer_load_dword v6, off, s[0:3], s32 offset:72 ; 4-byte Folded Reload
	s_waitcnt vmcnt(0)
	v_cmp_lt_i32_e32 vcc, v35, v6
	v_cndmask_b32_e32 v63, 0, v63, vcc
	v_cmp_lt_i32_e32 vcc, v38, v6
	v_cndmask_b32_e32 v31, 0, v31, vcc
	;; [unrolled: 2-line block ×3, first 2 shown]
	v_cmp_lt_i32_e32 vcc, v36, v6
	buffer_load_dword v6, off, s[0:3], s32 offset:780 ; 4-byte Folded Reload
	s_waitcnt vmcnt(0)
	v_cndmask_b32_e32 v6, 0, v6, vcc
	buffer_store_dword v6, off, s[0:3], s32 offset:780 ; 4-byte Folded Spill
.LBB206_1408:                           ;   in Loop: Header=BB206_809 Depth=1
	s_or_b64 exec, exec, s[22:23]
	v_add_co_u32_e32 v16, vcc, 0x1000, v14
	v_addc_co_u32_e32 v17, vcc, 0, v15, vcc
	flat_load_dword v16, v[16:17] offset:1792
	v_mov_b32_e32 v19, 0
	v_mov_b32_e32 v17, 0
	;; [unrolled: 1-line block ×4, first 2 shown]
	s_waitcnt vmcnt(0) lgkmcnt(0)
	v_cmp_ne_u16_sdwa s[24:25], v16, v8 src0_sel:BYTE_0 src1_sel:DWORD
	s_and_saveexec_b64 s[22:23], s[24:25]
	s_cbranch_execz .LBB206_1414
; %bb.1409:                             ;   in Loop: Header=BB206_809 Depth=1
	v_bfrev_b32_e32 v17, 1
	v_mov_b32_e32 v18, 0
	v_cmp_ne_u16_sdwa s[26:27], v16, s28 src0_sel:BYTE_0 src1_sel:DWORD
	s_and_saveexec_b64 s[24:25], s[26:27]
	s_cbranch_execz .LBB206_1413
; %bb.1410:                             ;   in Loop: Header=BB206_809 Depth=1
	v_and_b32_e32 v6, 0x7f, v16
	v_mov_b32_e32 v17, 0x7f800001
	v_mov_b32_e32 v18, 0
	v_cmp_ne_u32_e32 vcc, s29, v6
	s_and_saveexec_b64 s[26:27], vcc
	s_cbranch_execz .LBB206_1412
; %bb.1411:                             ;   in Loop: Header=BB206_809 Depth=1
	v_and_b32_e32 v12, 7, v16
	v_lshrrev_b32_e32 v21, 3, v6
	v_cmp_gt_u32_e32 vcc, 8, v6
	v_ffbh_u32_e32 v6, v12
	v_min_u32_e32 v6, 32, v6
	v_subrev_u32_e32 v17, 28, v6
	v_lshlrev_b64 v[17:18], v17, v[16:17]
	v_sub_u32_e32 v6, 29, v6
	v_and_b32_e32 v17, 7, v17
	v_cndmask_b32_e32 v6, v21, v6, vcc
	v_cndmask_b32_e32 v12, v12, v17, vcc
	v_lshlrev_b32_e32 v12, 20, v12
	v_and_b32_sdwa v17, sext(v16), s40 dst_sel:DWORD dst_unused:UNUSED_PAD src0_sel:BYTE_0 src1_sel:DWORD
	v_lshl_add_u32 v6, v6, 23, v27
	v_or3_b32 v17, v17, v6, v12
	v_mov_b32_e32 v18, v8
.LBB206_1412:                           ;   in Loop: Header=BB206_809 Depth=1
	s_or_b64 exec, exec, s[26:27]
.LBB206_1413:                           ;   in Loop: Header=BB206_809 Depth=1
	s_or_b64 exec, exec, s[24:25]
.LBB206_1414:                           ;   in Loop: Header=BB206_809 Depth=1
	s_or_b64 exec, exec, s[22:23]
	v_cmp_ne_u16_sdwa s[24:25], v16, v8 src0_sel:BYTE_1 src1_sel:DWORD
	s_and_saveexec_b64 s[22:23], s[24:25]
	s_cbranch_execz .LBB206_1420
; %bb.1415:                             ;   in Loop: Header=BB206_809 Depth=1
	v_mov_b32_e32 v20, v9
	v_cmp_ne_u16_sdwa s[26:27], v16, s28 src0_sel:BYTE_1 src1_sel:DWORD
	v_mov_b32_e32 v19, v8
	s_and_saveexec_b64 s[24:25], s[26:27]
	s_cbranch_execz .LBB206_1419
; %bb.1416:                             ;   in Loop: Header=BB206_809 Depth=1
	v_and_b32_sdwa v6, v16, s29 dst_sel:DWORD dst_unused:UNUSED_PAD src0_sel:BYTE_1 src1_sel:DWORD
	v_mov_b32_e32 v12, v8
	v_mov_b32_e32 v20, v13
	v_cmp_ne_u32_e32 vcc, s29, v6
	v_mov_b32_e32 v19, v12
	s_and_saveexec_b64 s[26:27], vcc
	s_cbranch_execz .LBB206_1418
; %bb.1417:                             ;   in Loop: Header=BB206_809 Depth=1
	v_mov_b32_e32 v12, 7
	v_and_b32_sdwa v19, v16, v12 dst_sel:DWORD dst_unused:UNUSED_PAD src0_sel:BYTE_1 src1_sel:DWORD
	v_lshrrev_b32_e32 v12, 3, v6
	v_cmp_gt_u32_e32 vcc, 8, v6
	v_ffbh_u32_e32 v6, v19
	v_min_u32_e32 v6, 32, v6
	v_mov_b32_e32 v20, v8
	v_subrev_u32_e32 v21, 28, v6
	v_lshlrev_b64 v[20:21], v21, v[19:20]
	v_sub_u32_e32 v6, 29, v6
	v_and_b32_e32 v20, 7, v20
	v_cndmask_b32_e32 v6, v12, v6, vcc
	v_cndmask_b32_e32 v12, v19, v20, vcc
	v_lshlrev_b32_e32 v19, 16, v16
	v_lshl_add_u32 v6, v6, 23, v27
	v_and_or_b32 v6, v19, s40, v6
	v_lshlrev_b32_e32 v12, 20, v12
	v_or_b32_e32 v20, v6, v12
	v_mov_b32_e32 v19, v8
.LBB206_1418:                           ;   in Loop: Header=BB206_809 Depth=1
	s_or_b64 exec, exec, s[26:27]
.LBB206_1419:                           ;   in Loop: Header=BB206_809 Depth=1
	s_or_b64 exec, exec, s[24:25]
.LBB206_1420:                           ;   in Loop: Header=BB206_809 Depth=1
	s_or_b64 exec, exec, s[22:23]
	v_lshrrev_b32_e32 v12, 16, v16
	v_mov_b32_e32 v23, 0
	v_mov_b32_e32 v21, 0
	v_mov_b32_e32 v24, 0
	v_mov_b32_e32 v22, 0
	v_cmp_ne_u16_sdwa s[24:25], v12, v8 src0_sel:BYTE_0 src1_sel:DWORD
	s_and_saveexec_b64 s[22:23], s[24:25]
	s_cbranch_execz .LBB206_1426
; %bb.1421:                             ;   in Loop: Header=BB206_809 Depth=1
	v_bfrev_b32_e32 v21, 1
	v_mov_b32_e32 v22, 0
	v_cmp_ne_u16_sdwa s[26:27], v12, s28 src0_sel:BYTE_0 src1_sel:DWORD
	s_and_saveexec_b64 s[24:25], s[26:27]
	s_cbranch_execz .LBB206_1425
; %bb.1422:                             ;   in Loop: Header=BB206_809 Depth=1
	v_bfe_u32 v6, v16, 16, 7
	v_mov_b32_e32 v21, 0x7f800001
	v_mov_b32_e32 v22, 0
	v_cmp_ne_u32_e32 vcc, s29, v6
	s_and_saveexec_b64 s[26:27], vcc
	s_cbranch_execz .LBB206_1424
; %bb.1423:                             ;   in Loop: Header=BB206_809 Depth=1
	v_and_b32_e32 v26, 7, v12
	v_lshrrev_b32_e32 v27, 3, v6
	v_cmp_gt_u32_e32 vcc, 8, v6
	v_ffbh_u32_e32 v6, v26
	v_min_u32_e32 v6, 32, v6
	v_subrev_u32_e32 v21, 28, v6
	v_lshlrev_b64 v[21:22], v21, v[12:13]
	v_sub_u32_e32 v6, 29, v6
	v_and_b32_e32 v21, 7, v21
	v_cndmask_b32_e32 v6, v27, v6, vcc
	v_bfrev_b32_e32 v27, 60
	v_cndmask_b32_e32 v21, v26, v21, vcc
	v_lshlrev_b32_e32 v21, 20, v21
	v_and_b32_sdwa v12, sext(v12), s40 dst_sel:DWORD dst_unused:UNUSED_PAD src0_sel:BYTE_0 src1_sel:DWORD
	v_lshl_add_u32 v6, v6, 23, v27
	v_or3_b32 v21, v12, v6, v21
	v_mov_b32_e32 v22, v8
.LBB206_1424:                           ;   in Loop: Header=BB206_809 Depth=1
	s_or_b64 exec, exec, s[26:27]
.LBB206_1425:                           ;   in Loop: Header=BB206_809 Depth=1
	s_or_b64 exec, exec, s[24:25]
.LBB206_1426:                           ;   in Loop: Header=BB206_809 Depth=1
	s_or_b64 exec, exec, s[22:23]
	v_cmp_lt_u32_e32 vcc, s41, v16
	s_and_saveexec_b64 s[22:23], vcc
	s_cbranch_execz .LBB206_1432
; %bb.1427:                             ;   in Loop: Header=BB206_809 Depth=1
	v_mov_b32_e32 v24, v9
	v_cmp_ne_u32_sdwa s[26:27], v16, s28 src0_sel:BYTE_3 src1_sel:DWORD
	v_mov_b32_e32 v23, v8
	s_and_saveexec_b64 s[24:25], s[26:27]
	s_cbranch_execz .LBB206_1431
; %bb.1428:                             ;   in Loop: Header=BB206_809 Depth=1
	v_bfe_u32 v6, v16, 24, 7
	v_mov_b32_e32 v12, v8
	v_mov_b32_e32 v24, v13
	v_cmp_ne_u32_e32 vcc, s29, v6
	v_mov_b32_e32 v23, v12
	s_and_saveexec_b64 s[26:27], vcc
	s_cbranch_execz .LBB206_1430
; %bb.1429:                             ;   in Loop: Header=BB206_809 Depth=1
	v_mov_b32_e32 v12, 7
	v_and_b32_sdwa v23, v16, v12 dst_sel:DWORD dst_unused:UNUSED_PAD src0_sel:BYTE_3 src1_sel:DWORD
	v_lshrrev_b32_e32 v12, 3, v6
	v_cmp_gt_u32_e32 vcc, 8, v6
	v_ffbh_u32_e32 v6, v23
	v_min_u32_e32 v6, 32, v6
	v_mov_b32_e32 v24, v8
	v_subrev_u32_e32 v26, 28, v6
	v_lshlrev_b64 v[32:33], v26, v[23:24]
	v_sub_u32_e32 v6, 29, v6
	v_and_b32_e32 v24, 7, v32
	v_cndmask_b32_e32 v6, v12, v6, vcc
	v_cndmask_b32_e32 v12, v23, v24, vcc
	v_mov_b32_e32 v23, 24
	v_lshlrev_b32_sdwa v16, v23, v16 dst_sel:DWORD dst_unused:UNUSED_PAD src0_sel:DWORD src1_sel:BYTE_3
	v_lshl_add_u32 v6, v6, 23, v27
	v_and_or_b32 v6, v16, s40, v6
	v_lshlrev_b32_e32 v12, 20, v12
	v_or_b32_e32 v24, v6, v12
	v_mov_b32_e32 v23, v8
.LBB206_1430:                           ;   in Loop: Header=BB206_809 Depth=1
	s_or_b64 exec, exec, s[26:27]
.LBB206_1431:                           ;   in Loop: Header=BB206_809 Depth=1
	s_or_b64 exec, exec, s[24:25]
.LBB206_1432:                           ;   in Loop: Header=BB206_809 Depth=1
	s_or_b64 exec, exec, s[22:23]
	v_or_b32_e32 v6, v20, v18
	v_or_b32_e32 v12, v19, v17
	v_mul_f32_e32 v34, v30, v6
	v_mul_f32_e32 v33, v30, v12
	v_or_b32_e32 v6, v24, v22
	v_or_b32_e32 v12, v23, v21
	v_mul_f32_e32 v29, v30, v12
	v_mul_f32_e32 v32, v30, v6
	s_and_saveexec_b64 s[22:23], s[4:5]
	s_cbranch_execz .LBB206_1434
; %bb.1433:                             ;   in Loop: Header=BB206_809 Depth=1
	buffer_load_dword v6, off, s[0:3], s32 offset:72 ; 4-byte Folded Reload
	s_waitcnt vmcnt(0)
	v_cmp_lt_i32_e32 vcc, v35, v6
	v_cndmask_b32_e32 v33, 0, v33, vcc
	v_cmp_lt_i32_e32 vcc, v38, v6
	v_cndmask_b32_e32 v34, 0, v34, vcc
	;; [unrolled: 2-line block ×4, first 2 shown]
.LBB206_1434:                           ;   in Loop: Header=BB206_809 Depth=1
	s_or_b64 exec, exec, s[22:23]
	v_add_co_u32_e32 v16, vcc, 0x1000, v14
	v_addc_co_u32_e32 v17, vcc, 0, v15, vcc
	flat_load_dword v16, v[16:17] offset:2048
	v_mov_b32_e32 v19, 0
	v_mov_b32_e32 v17, 0
	;; [unrolled: 1-line block ×4, first 2 shown]
	s_waitcnt vmcnt(0) lgkmcnt(0)
	v_cmp_ne_u16_sdwa s[24:25], v16, v8 src0_sel:BYTE_0 src1_sel:DWORD
	s_and_saveexec_b64 s[22:23], s[24:25]
	s_cbranch_execz .LBB206_1440
; %bb.1435:                             ;   in Loop: Header=BB206_809 Depth=1
	v_bfrev_b32_e32 v17, 1
	v_mov_b32_e32 v18, 0
	v_cmp_ne_u16_sdwa s[26:27], v16, s28 src0_sel:BYTE_0 src1_sel:DWORD
	s_and_saveexec_b64 s[24:25], s[26:27]
	s_cbranch_execz .LBB206_1439
; %bb.1436:                             ;   in Loop: Header=BB206_809 Depth=1
	v_and_b32_e32 v6, 0x7f, v16
	v_mov_b32_e32 v17, 0x7f800001
	v_mov_b32_e32 v18, 0
	v_cmp_ne_u32_e32 vcc, s29, v6
	s_and_saveexec_b64 s[26:27], vcc
	s_cbranch_execz .LBB206_1438
; %bb.1437:                             ;   in Loop: Header=BB206_809 Depth=1
	v_and_b32_e32 v12, 7, v16
	v_lshrrev_b32_e32 v21, 3, v6
	v_cmp_gt_u32_e32 vcc, 8, v6
	v_ffbh_u32_e32 v6, v12
	v_min_u32_e32 v6, 32, v6
	v_subrev_u32_e32 v17, 28, v6
	v_lshlrev_b64 v[17:18], v17, v[16:17]
	v_sub_u32_e32 v6, 29, v6
	v_and_b32_e32 v17, 7, v17
	v_cndmask_b32_e32 v6, v21, v6, vcc
	v_cndmask_b32_e32 v12, v12, v17, vcc
	v_lshlrev_b32_e32 v12, 20, v12
	v_and_b32_sdwa v17, sext(v16), s40 dst_sel:DWORD dst_unused:UNUSED_PAD src0_sel:BYTE_0 src1_sel:DWORD
	v_lshl_add_u32 v6, v6, 23, v27
	v_or3_b32 v17, v17, v6, v12
	v_mov_b32_e32 v18, v8
.LBB206_1438:                           ;   in Loop: Header=BB206_809 Depth=1
	s_or_b64 exec, exec, s[26:27]
.LBB206_1439:                           ;   in Loop: Header=BB206_809 Depth=1
	s_or_b64 exec, exec, s[24:25]
.LBB206_1440:                           ;   in Loop: Header=BB206_809 Depth=1
	s_or_b64 exec, exec, s[22:23]
	v_cmp_ne_u16_sdwa s[24:25], v16, v8 src0_sel:BYTE_1 src1_sel:DWORD
	s_and_saveexec_b64 s[22:23], s[24:25]
	s_cbranch_execz .LBB206_1446
; %bb.1441:                             ;   in Loop: Header=BB206_809 Depth=1
	v_mov_b32_e32 v20, v9
	v_cmp_ne_u16_sdwa s[26:27], v16, s28 src0_sel:BYTE_1 src1_sel:DWORD
	v_mov_b32_e32 v19, v8
	s_and_saveexec_b64 s[24:25], s[26:27]
	s_cbranch_execz .LBB206_1445
; %bb.1442:                             ;   in Loop: Header=BB206_809 Depth=1
	v_and_b32_sdwa v6, v16, s29 dst_sel:DWORD dst_unused:UNUSED_PAD src0_sel:BYTE_1 src1_sel:DWORD
	v_mov_b32_e32 v12, v8
	v_mov_b32_e32 v20, v13
	v_cmp_ne_u32_e32 vcc, s29, v6
	v_mov_b32_e32 v19, v12
	s_and_saveexec_b64 s[26:27], vcc
	s_cbranch_execz .LBB206_1444
; %bb.1443:                             ;   in Loop: Header=BB206_809 Depth=1
	v_mov_b32_e32 v12, 7
	v_and_b32_sdwa v19, v16, v12 dst_sel:DWORD dst_unused:UNUSED_PAD src0_sel:BYTE_1 src1_sel:DWORD
	v_lshrrev_b32_e32 v12, 3, v6
	v_cmp_gt_u32_e32 vcc, 8, v6
	v_ffbh_u32_e32 v6, v19
	v_min_u32_e32 v6, 32, v6
	v_mov_b32_e32 v20, v8
	v_subrev_u32_e32 v21, 28, v6
	v_lshlrev_b64 v[20:21], v21, v[19:20]
	v_sub_u32_e32 v6, 29, v6
	v_and_b32_e32 v20, 7, v20
	v_cndmask_b32_e32 v6, v12, v6, vcc
	v_cndmask_b32_e32 v12, v19, v20, vcc
	v_lshlrev_b32_e32 v19, 16, v16
	v_lshl_add_u32 v6, v6, 23, v27
	v_and_or_b32 v6, v19, s40, v6
	v_lshlrev_b32_e32 v12, 20, v12
	v_or_b32_e32 v20, v6, v12
	v_mov_b32_e32 v19, v8
.LBB206_1444:                           ;   in Loop: Header=BB206_809 Depth=1
	s_or_b64 exec, exec, s[26:27]
.LBB206_1445:                           ;   in Loop: Header=BB206_809 Depth=1
	s_or_b64 exec, exec, s[24:25]
.LBB206_1446:                           ;   in Loop: Header=BB206_809 Depth=1
	s_or_b64 exec, exec, s[22:23]
	v_lshrrev_b32_e32 v12, 16, v16
	v_mov_b32_e32 v23, 0
	v_mov_b32_e32 v21, 0
	;; [unrolled: 1-line block ×4, first 2 shown]
	v_cmp_ne_u16_sdwa s[24:25], v12, v8 src0_sel:BYTE_0 src1_sel:DWORD
	s_and_saveexec_b64 s[22:23], s[24:25]
	s_cbranch_execz .LBB206_1452
; %bb.1447:                             ;   in Loop: Header=BB206_809 Depth=1
	v_bfrev_b32_e32 v21, 1
	v_mov_b32_e32 v22, 0
	v_cmp_ne_u16_sdwa s[26:27], v12, s28 src0_sel:BYTE_0 src1_sel:DWORD
	s_and_saveexec_b64 s[24:25], s[26:27]
	s_cbranch_execz .LBB206_1451
; %bb.1448:                             ;   in Loop: Header=BB206_809 Depth=1
	v_bfe_u32 v6, v16, 16, 7
	v_mov_b32_e32 v21, 0x7f800001
	v_mov_b32_e32 v22, 0
	v_cmp_ne_u32_e32 vcc, s29, v6
	s_and_saveexec_b64 s[26:27], vcc
	s_cbranch_execz .LBB206_1450
; %bb.1449:                             ;   in Loop: Header=BB206_809 Depth=1
	v_and_b32_e32 v26, 7, v12
	v_lshrrev_b32_e32 v27, 3, v6
	v_cmp_gt_u32_e32 vcc, 8, v6
	v_ffbh_u32_e32 v6, v26
	v_min_u32_e32 v6, 32, v6
	v_subrev_u32_e32 v21, 28, v6
	v_lshlrev_b64 v[21:22], v21, v[12:13]
	v_sub_u32_e32 v6, 29, v6
	v_and_b32_e32 v21, 7, v21
	v_cndmask_b32_e32 v6, v27, v6, vcc
	v_bfrev_b32_e32 v27, 60
	v_cndmask_b32_e32 v21, v26, v21, vcc
	v_lshlrev_b32_e32 v21, 20, v21
	v_and_b32_sdwa v12, sext(v12), s40 dst_sel:DWORD dst_unused:UNUSED_PAD src0_sel:BYTE_0 src1_sel:DWORD
	v_lshl_add_u32 v6, v6, 23, v27
	v_or3_b32 v21, v12, v6, v21
	v_mov_b32_e32 v22, v8
.LBB206_1450:                           ;   in Loop: Header=BB206_809 Depth=1
	s_or_b64 exec, exec, s[26:27]
.LBB206_1451:                           ;   in Loop: Header=BB206_809 Depth=1
	s_or_b64 exec, exec, s[24:25]
.LBB206_1452:                           ;   in Loop: Header=BB206_809 Depth=1
	s_or_b64 exec, exec, s[22:23]
	v_cmp_lt_u32_e32 vcc, s41, v16
	s_and_saveexec_b64 s[22:23], vcc
	s_cbranch_execz .LBB206_1458
; %bb.1453:                             ;   in Loop: Header=BB206_809 Depth=1
	v_mov_b32_e32 v24, v9
	v_cmp_ne_u32_sdwa s[26:27], v16, s28 src0_sel:BYTE_3 src1_sel:DWORD
	v_mov_b32_e32 v23, v8
	s_and_saveexec_b64 s[24:25], s[26:27]
	s_cbranch_execz .LBB206_1457
; %bb.1454:                             ;   in Loop: Header=BB206_809 Depth=1
	v_bfe_u32 v6, v16, 24, 7
	v_mov_b32_e32 v12, v8
	v_mov_b32_e32 v24, v13
	v_cmp_ne_u32_e32 vcc, s29, v6
	v_mov_b32_e32 v23, v12
	s_and_saveexec_b64 s[26:27], vcc
	s_cbranch_execz .LBB206_1456
; %bb.1455:                             ;   in Loop: Header=BB206_809 Depth=1
	v_mov_b32_e32 v12, 7
	v_and_b32_sdwa v23, v16, v12 dst_sel:DWORD dst_unused:UNUSED_PAD src0_sel:BYTE_3 src1_sel:DWORD
	v_lshrrev_b32_e32 v12, 3, v6
	v_cmp_gt_u32_e32 vcc, 8, v6
	v_ffbh_u32_e32 v6, v23
	v_min_u32_e32 v6, 32, v6
	v_mov_b32_e32 v24, v8
	v_subrev_u32_e32 v26, 28, v6
	v_lshlrev_b64 v[48:49], v26, v[23:24]
	v_sub_u32_e32 v6, 29, v6
	v_and_b32_e32 v24, 7, v48
	v_cndmask_b32_e32 v6, v12, v6, vcc
	v_cndmask_b32_e32 v12, v23, v24, vcc
	v_mov_b32_e32 v23, 24
	v_lshlrev_b32_sdwa v16, v23, v16 dst_sel:DWORD dst_unused:UNUSED_PAD src0_sel:DWORD src1_sel:BYTE_3
	v_lshl_add_u32 v6, v6, 23, v27
	v_and_or_b32 v6, v16, s40, v6
	v_lshlrev_b32_e32 v12, 20, v12
	v_or_b32_e32 v24, v6, v12
	v_mov_b32_e32 v23, v8
.LBB206_1456:                           ;   in Loop: Header=BB206_809 Depth=1
	s_or_b64 exec, exec, s[26:27]
.LBB206_1457:                           ;   in Loop: Header=BB206_809 Depth=1
	s_or_b64 exec, exec, s[24:25]
.LBB206_1458:                           ;   in Loop: Header=BB206_809 Depth=1
	s_or_b64 exec, exec, s[22:23]
	v_or_b32_e32 v6, v20, v18
	v_or_b32_e32 v12, v19, v17
	v_mul_f32_e32 v50, v30, v6
	v_mul_f32_e32 v48, v30, v12
	v_or_b32_e32 v6, v24, v22
	v_or_b32_e32 v12, v23, v21
	v_mul_f32_e32 v49, v30, v12
	v_mul_f32_e32 v39, v30, v6
	s_and_saveexec_b64 s[22:23], s[4:5]
	s_cbranch_execz .LBB206_1460
; %bb.1459:                             ;   in Loop: Header=BB206_809 Depth=1
	buffer_load_dword v6, off, s[0:3], s32 offset:72 ; 4-byte Folded Reload
	s_waitcnt vmcnt(0)
	v_cmp_lt_i32_e32 vcc, v35, v6
	v_cndmask_b32_e32 v48, 0, v48, vcc
	v_cmp_lt_i32_e32 vcc, v38, v6
	v_cndmask_b32_e32 v50, 0, v50, vcc
	;; [unrolled: 2-line block ×4, first 2 shown]
.LBB206_1460:                           ;   in Loop: Header=BB206_809 Depth=1
	s_or_b64 exec, exec, s[22:23]
	v_add_co_u32_e32 v16, vcc, 0x1000, v14
	v_addc_co_u32_e32 v17, vcc, 0, v15, vcc
	flat_load_dword v16, v[16:17] offset:2304
	v_mov_b32_e32 v19, 0
	v_mov_b32_e32 v17, 0
	;; [unrolled: 1-line block ×4, first 2 shown]
	s_waitcnt vmcnt(0) lgkmcnt(0)
	v_cmp_ne_u16_sdwa s[24:25], v16, v8 src0_sel:BYTE_0 src1_sel:DWORD
	s_and_saveexec_b64 s[22:23], s[24:25]
	s_cbranch_execz .LBB206_1466
; %bb.1461:                             ;   in Loop: Header=BB206_809 Depth=1
	v_bfrev_b32_e32 v17, 1
	v_mov_b32_e32 v18, 0
	v_cmp_ne_u16_sdwa s[26:27], v16, s28 src0_sel:BYTE_0 src1_sel:DWORD
	s_and_saveexec_b64 s[24:25], s[26:27]
	s_cbranch_execz .LBB206_1465
; %bb.1462:                             ;   in Loop: Header=BB206_809 Depth=1
	v_and_b32_e32 v6, 0x7f, v16
	v_mov_b32_e32 v17, 0x7f800001
	v_mov_b32_e32 v18, 0
	v_cmp_ne_u32_e32 vcc, s29, v6
	s_and_saveexec_b64 s[26:27], vcc
	s_cbranch_execz .LBB206_1464
; %bb.1463:                             ;   in Loop: Header=BB206_809 Depth=1
	v_and_b32_e32 v12, 7, v16
	v_lshrrev_b32_e32 v21, 3, v6
	v_cmp_gt_u32_e32 vcc, 8, v6
	v_ffbh_u32_e32 v6, v12
	v_min_u32_e32 v6, 32, v6
	v_subrev_u32_e32 v17, 28, v6
	v_lshlrev_b64 v[17:18], v17, v[16:17]
	v_sub_u32_e32 v6, 29, v6
	v_and_b32_e32 v17, 7, v17
	v_cndmask_b32_e32 v6, v21, v6, vcc
	v_cndmask_b32_e32 v12, v12, v17, vcc
	v_lshlrev_b32_e32 v12, 20, v12
	v_and_b32_sdwa v17, sext(v16), s40 dst_sel:DWORD dst_unused:UNUSED_PAD src0_sel:BYTE_0 src1_sel:DWORD
	v_lshl_add_u32 v6, v6, 23, v27
	v_or3_b32 v17, v17, v6, v12
	v_mov_b32_e32 v18, v8
.LBB206_1464:                           ;   in Loop: Header=BB206_809 Depth=1
	s_or_b64 exec, exec, s[26:27]
.LBB206_1465:                           ;   in Loop: Header=BB206_809 Depth=1
	s_or_b64 exec, exec, s[24:25]
.LBB206_1466:                           ;   in Loop: Header=BB206_809 Depth=1
	s_or_b64 exec, exec, s[22:23]
	v_cmp_ne_u16_sdwa s[24:25], v16, v8 src0_sel:BYTE_1 src1_sel:DWORD
	s_and_saveexec_b64 s[22:23], s[24:25]
	s_cbranch_execz .LBB206_1472
; %bb.1467:                             ;   in Loop: Header=BB206_809 Depth=1
	v_mov_b32_e32 v20, v9
	v_cmp_ne_u16_sdwa s[26:27], v16, s28 src0_sel:BYTE_1 src1_sel:DWORD
	v_mov_b32_e32 v19, v8
	s_and_saveexec_b64 s[24:25], s[26:27]
	s_cbranch_execz .LBB206_1471
; %bb.1468:                             ;   in Loop: Header=BB206_809 Depth=1
	v_and_b32_sdwa v6, v16, s29 dst_sel:DWORD dst_unused:UNUSED_PAD src0_sel:BYTE_1 src1_sel:DWORD
	v_mov_b32_e32 v12, v8
	v_mov_b32_e32 v20, v13
	v_cmp_ne_u32_e32 vcc, s29, v6
	v_mov_b32_e32 v19, v12
	s_and_saveexec_b64 s[26:27], vcc
	s_cbranch_execz .LBB206_1470
; %bb.1469:                             ;   in Loop: Header=BB206_809 Depth=1
	v_mov_b32_e32 v12, 7
	v_and_b32_sdwa v19, v16, v12 dst_sel:DWORD dst_unused:UNUSED_PAD src0_sel:BYTE_1 src1_sel:DWORD
	v_lshrrev_b32_e32 v12, 3, v6
	v_cmp_gt_u32_e32 vcc, 8, v6
	v_ffbh_u32_e32 v6, v19
	v_min_u32_e32 v6, 32, v6
	v_mov_b32_e32 v20, v8
	v_subrev_u32_e32 v21, 28, v6
	v_lshlrev_b64 v[20:21], v21, v[19:20]
	v_sub_u32_e32 v6, 29, v6
	v_and_b32_e32 v20, 7, v20
	v_cndmask_b32_e32 v6, v12, v6, vcc
	v_cndmask_b32_e32 v12, v19, v20, vcc
	v_lshlrev_b32_e32 v19, 16, v16
	v_lshl_add_u32 v6, v6, 23, v27
	v_and_or_b32 v6, v19, s40, v6
	v_lshlrev_b32_e32 v12, 20, v12
	v_or_b32_e32 v20, v6, v12
	v_mov_b32_e32 v19, v8
.LBB206_1470:                           ;   in Loop: Header=BB206_809 Depth=1
	s_or_b64 exec, exec, s[26:27]
.LBB206_1471:                           ;   in Loop: Header=BB206_809 Depth=1
	s_or_b64 exec, exec, s[24:25]
.LBB206_1472:                           ;   in Loop: Header=BB206_809 Depth=1
	s_or_b64 exec, exec, s[22:23]
	v_lshrrev_b32_e32 v12, 16, v16
	v_mov_b32_e32 v23, 0
	v_mov_b32_e32 v21, 0
	;; [unrolled: 1-line block ×4, first 2 shown]
	v_cmp_ne_u16_sdwa s[24:25], v12, v8 src0_sel:BYTE_0 src1_sel:DWORD
	s_and_saveexec_b64 s[22:23], s[24:25]
	s_cbranch_execz .LBB206_1478
; %bb.1473:                             ;   in Loop: Header=BB206_809 Depth=1
	v_bfrev_b32_e32 v21, 1
	v_mov_b32_e32 v22, 0
	v_cmp_ne_u16_sdwa s[26:27], v12, s28 src0_sel:BYTE_0 src1_sel:DWORD
	s_and_saveexec_b64 s[24:25], s[26:27]
	s_cbranch_execz .LBB206_1477
; %bb.1474:                             ;   in Loop: Header=BB206_809 Depth=1
	v_bfe_u32 v6, v16, 16, 7
	v_mov_b32_e32 v21, 0x7f800001
	v_mov_b32_e32 v22, 0
	v_cmp_ne_u32_e32 vcc, s29, v6
	s_and_saveexec_b64 s[26:27], vcc
	s_cbranch_execz .LBB206_1476
; %bb.1475:                             ;   in Loop: Header=BB206_809 Depth=1
	v_and_b32_e32 v26, 7, v12
	v_lshrrev_b32_e32 v27, 3, v6
	v_cmp_gt_u32_e32 vcc, 8, v6
	v_ffbh_u32_e32 v6, v26
	v_min_u32_e32 v6, 32, v6
	v_subrev_u32_e32 v21, 28, v6
	v_lshlrev_b64 v[21:22], v21, v[12:13]
	v_sub_u32_e32 v6, 29, v6
	v_and_b32_e32 v21, 7, v21
	v_cndmask_b32_e32 v6, v27, v6, vcc
	v_bfrev_b32_e32 v27, 60
	v_cndmask_b32_e32 v21, v26, v21, vcc
	v_lshlrev_b32_e32 v21, 20, v21
	v_and_b32_sdwa v12, sext(v12), s40 dst_sel:DWORD dst_unused:UNUSED_PAD src0_sel:BYTE_0 src1_sel:DWORD
	v_lshl_add_u32 v6, v6, 23, v27
	v_or3_b32 v21, v12, v6, v21
	v_mov_b32_e32 v22, v8
.LBB206_1476:                           ;   in Loop: Header=BB206_809 Depth=1
	s_or_b64 exec, exec, s[26:27]
.LBB206_1477:                           ;   in Loop: Header=BB206_809 Depth=1
	s_or_b64 exec, exec, s[24:25]
.LBB206_1478:                           ;   in Loop: Header=BB206_809 Depth=1
	s_or_b64 exec, exec, s[22:23]
	v_cmp_lt_u32_e32 vcc, s41, v16
	s_and_saveexec_b64 s[22:23], vcc
	s_cbranch_execz .LBB206_1484
; %bb.1479:                             ;   in Loop: Header=BB206_809 Depth=1
	v_mov_b32_e32 v24, v9
	v_cmp_ne_u32_sdwa s[26:27], v16, s28 src0_sel:BYTE_3 src1_sel:DWORD
	v_mov_b32_e32 v23, v8
	s_and_saveexec_b64 s[24:25], s[26:27]
	s_cbranch_execz .LBB206_1483
; %bb.1480:                             ;   in Loop: Header=BB206_809 Depth=1
	v_bfe_u32 v6, v16, 24, 7
	v_mov_b32_e32 v12, v8
	v_mov_b32_e32 v24, v13
	v_cmp_ne_u32_e32 vcc, s29, v6
	v_mov_b32_e32 v23, v12
	s_and_saveexec_b64 s[26:27], vcc
	s_cbranch_execz .LBB206_1482
; %bb.1481:                             ;   in Loop: Header=BB206_809 Depth=1
	v_mov_b32_e32 v12, 7
	v_and_b32_sdwa v23, v16, v12 dst_sel:DWORD dst_unused:UNUSED_PAD src0_sel:BYTE_3 src1_sel:DWORD
	v_lshrrev_b32_e32 v12, 3, v6
	v_cmp_gt_u32_e32 vcc, 8, v6
	v_ffbh_u32_e32 v6, v23
	v_min_u32_e32 v6, 32, v6
	v_mov_b32_e32 v24, v8
	v_subrev_u32_e32 v26, 28, v6
	v_lshlrev_b64 v[51:52], v26, v[23:24]
	v_sub_u32_e32 v6, 29, v6
	v_and_b32_e32 v24, 7, v51
	v_cndmask_b32_e32 v6, v12, v6, vcc
	v_cndmask_b32_e32 v12, v23, v24, vcc
	v_mov_b32_e32 v23, 24
	v_lshlrev_b32_sdwa v16, v23, v16 dst_sel:DWORD dst_unused:UNUSED_PAD src0_sel:DWORD src1_sel:BYTE_3
	v_lshl_add_u32 v6, v6, 23, v27
	v_and_or_b32 v6, v16, s40, v6
	v_lshlrev_b32_e32 v12, 20, v12
	v_or_b32_e32 v24, v6, v12
	v_mov_b32_e32 v23, v8
.LBB206_1482:                           ;   in Loop: Header=BB206_809 Depth=1
	s_or_b64 exec, exec, s[26:27]
.LBB206_1483:                           ;   in Loop: Header=BB206_809 Depth=1
	s_or_b64 exec, exec, s[24:25]
.LBB206_1484:                           ;   in Loop: Header=BB206_809 Depth=1
	s_or_b64 exec, exec, s[22:23]
	v_or_b32_e32 v6, v20, v18
	v_or_b32_e32 v12, v19, v17
	v_mul_f32_e32 v54, v30, v6
	v_mul_f32_e32 v52, v30, v12
	v_or_b32_e32 v6, v24, v22
	v_or_b32_e32 v12, v23, v21
	v_mul_f32_e32 v53, v30, v12
	v_mul_f32_e32 v51, v30, v6
	s_and_saveexec_b64 s[22:23], s[4:5]
	s_cbranch_execz .LBB206_1486
; %bb.1485:                             ;   in Loop: Header=BB206_809 Depth=1
	buffer_load_dword v6, off, s[0:3], s32 offset:72 ; 4-byte Folded Reload
	s_waitcnt vmcnt(0)
	v_cmp_lt_i32_e32 vcc, v35, v6
	v_cndmask_b32_e32 v52, 0, v52, vcc
	v_cmp_lt_i32_e32 vcc, v38, v6
	v_cndmask_b32_e32 v54, 0, v54, vcc
	;; [unrolled: 2-line block ×4, first 2 shown]
.LBB206_1486:                           ;   in Loop: Header=BB206_809 Depth=1
	s_or_b64 exec, exec, s[22:23]
	v_add_co_u32_e32 v16, vcc, 0x1000, v14
	v_addc_co_u32_e32 v17, vcc, 0, v15, vcc
	flat_load_dword v16, v[16:17] offset:2560
	v_mov_b32_e32 v19, 0
	v_mov_b32_e32 v17, 0
	;; [unrolled: 1-line block ×4, first 2 shown]
	s_waitcnt vmcnt(0) lgkmcnt(0)
	v_cmp_ne_u16_sdwa s[24:25], v16, v8 src0_sel:BYTE_0 src1_sel:DWORD
	s_and_saveexec_b64 s[22:23], s[24:25]
	s_cbranch_execz .LBB206_1492
; %bb.1487:                             ;   in Loop: Header=BB206_809 Depth=1
	v_bfrev_b32_e32 v17, 1
	v_mov_b32_e32 v18, 0
	v_cmp_ne_u16_sdwa s[26:27], v16, s28 src0_sel:BYTE_0 src1_sel:DWORD
	s_and_saveexec_b64 s[24:25], s[26:27]
	s_cbranch_execz .LBB206_1491
; %bb.1488:                             ;   in Loop: Header=BB206_809 Depth=1
	v_and_b32_e32 v6, 0x7f, v16
	v_mov_b32_e32 v17, 0x7f800001
	v_mov_b32_e32 v18, 0
	v_cmp_ne_u32_e32 vcc, s29, v6
	s_and_saveexec_b64 s[26:27], vcc
	s_cbranch_execz .LBB206_1490
; %bb.1489:                             ;   in Loop: Header=BB206_809 Depth=1
	v_and_b32_e32 v12, 7, v16
	v_lshrrev_b32_e32 v21, 3, v6
	v_cmp_gt_u32_e32 vcc, 8, v6
	v_ffbh_u32_e32 v6, v12
	v_min_u32_e32 v6, 32, v6
	v_subrev_u32_e32 v17, 28, v6
	v_lshlrev_b64 v[17:18], v17, v[16:17]
	v_sub_u32_e32 v6, 29, v6
	v_and_b32_e32 v17, 7, v17
	v_cndmask_b32_e32 v6, v21, v6, vcc
	v_cndmask_b32_e32 v12, v12, v17, vcc
	v_lshlrev_b32_e32 v12, 20, v12
	v_and_b32_sdwa v17, sext(v16), s40 dst_sel:DWORD dst_unused:UNUSED_PAD src0_sel:BYTE_0 src1_sel:DWORD
	v_lshl_add_u32 v6, v6, 23, v27
	v_or3_b32 v17, v17, v6, v12
	v_mov_b32_e32 v18, v8
.LBB206_1490:                           ;   in Loop: Header=BB206_809 Depth=1
	s_or_b64 exec, exec, s[26:27]
.LBB206_1491:                           ;   in Loop: Header=BB206_809 Depth=1
	s_or_b64 exec, exec, s[24:25]
.LBB206_1492:                           ;   in Loop: Header=BB206_809 Depth=1
	s_or_b64 exec, exec, s[22:23]
	v_cmp_ne_u16_sdwa s[24:25], v16, v8 src0_sel:BYTE_1 src1_sel:DWORD
	s_and_saveexec_b64 s[22:23], s[24:25]
	s_cbranch_execz .LBB206_1498
; %bb.1493:                             ;   in Loop: Header=BB206_809 Depth=1
	v_mov_b32_e32 v20, v9
	v_cmp_ne_u16_sdwa s[26:27], v16, s28 src0_sel:BYTE_1 src1_sel:DWORD
	v_mov_b32_e32 v19, v8
	s_and_saveexec_b64 s[24:25], s[26:27]
	s_cbranch_execz .LBB206_1497
; %bb.1494:                             ;   in Loop: Header=BB206_809 Depth=1
	v_and_b32_sdwa v6, v16, s29 dst_sel:DWORD dst_unused:UNUSED_PAD src0_sel:BYTE_1 src1_sel:DWORD
	v_mov_b32_e32 v12, v8
	v_mov_b32_e32 v20, v13
	v_cmp_ne_u32_e32 vcc, s29, v6
	v_mov_b32_e32 v19, v12
	s_and_saveexec_b64 s[26:27], vcc
	s_cbranch_execz .LBB206_1496
; %bb.1495:                             ;   in Loop: Header=BB206_809 Depth=1
	v_mov_b32_e32 v12, 7
	v_and_b32_sdwa v19, v16, v12 dst_sel:DWORD dst_unused:UNUSED_PAD src0_sel:BYTE_1 src1_sel:DWORD
	v_lshrrev_b32_e32 v12, 3, v6
	v_cmp_gt_u32_e32 vcc, 8, v6
	v_ffbh_u32_e32 v6, v19
	v_min_u32_e32 v6, 32, v6
	v_mov_b32_e32 v20, v8
	v_subrev_u32_e32 v21, 28, v6
	v_lshlrev_b64 v[20:21], v21, v[19:20]
	v_sub_u32_e32 v6, 29, v6
	v_and_b32_e32 v20, 7, v20
	v_cndmask_b32_e32 v6, v12, v6, vcc
	v_cndmask_b32_e32 v12, v19, v20, vcc
	v_lshlrev_b32_e32 v19, 16, v16
	v_lshl_add_u32 v6, v6, 23, v27
	v_and_or_b32 v6, v19, s40, v6
	v_lshlrev_b32_e32 v12, 20, v12
	v_or_b32_e32 v20, v6, v12
	v_mov_b32_e32 v19, v8
.LBB206_1496:                           ;   in Loop: Header=BB206_809 Depth=1
	s_or_b64 exec, exec, s[26:27]
.LBB206_1497:                           ;   in Loop: Header=BB206_809 Depth=1
	s_or_b64 exec, exec, s[24:25]
.LBB206_1498:                           ;   in Loop: Header=BB206_809 Depth=1
	s_or_b64 exec, exec, s[22:23]
	v_lshrrev_b32_e32 v12, 16, v16
	v_mov_b32_e32 v23, 0
	v_mov_b32_e32 v21, 0
	;; [unrolled: 1-line block ×4, first 2 shown]
	v_cmp_ne_u16_sdwa s[24:25], v12, v8 src0_sel:BYTE_0 src1_sel:DWORD
	s_and_saveexec_b64 s[22:23], s[24:25]
	s_cbranch_execz .LBB206_1504
; %bb.1499:                             ;   in Loop: Header=BB206_809 Depth=1
	v_bfrev_b32_e32 v21, 1
	v_mov_b32_e32 v22, 0
	v_cmp_ne_u16_sdwa s[26:27], v12, s28 src0_sel:BYTE_0 src1_sel:DWORD
	s_and_saveexec_b64 s[24:25], s[26:27]
	s_cbranch_execz .LBB206_1503
; %bb.1500:                             ;   in Loop: Header=BB206_809 Depth=1
	v_bfe_u32 v6, v16, 16, 7
	v_mov_b32_e32 v21, 0x7f800001
	v_mov_b32_e32 v22, 0
	v_cmp_ne_u32_e32 vcc, s29, v6
	s_and_saveexec_b64 s[26:27], vcc
	s_cbranch_execz .LBB206_1502
; %bb.1501:                             ;   in Loop: Header=BB206_809 Depth=1
	v_and_b32_e32 v26, 7, v12
	v_lshrrev_b32_e32 v27, 3, v6
	v_cmp_gt_u32_e32 vcc, 8, v6
	v_ffbh_u32_e32 v6, v26
	v_min_u32_e32 v6, 32, v6
	v_subrev_u32_e32 v21, 28, v6
	v_lshlrev_b64 v[21:22], v21, v[12:13]
	v_sub_u32_e32 v6, 29, v6
	v_and_b32_e32 v21, 7, v21
	v_cndmask_b32_e32 v6, v27, v6, vcc
	v_bfrev_b32_e32 v27, 60
	v_cndmask_b32_e32 v21, v26, v21, vcc
	v_lshlrev_b32_e32 v21, 20, v21
	v_and_b32_sdwa v12, sext(v12), s40 dst_sel:DWORD dst_unused:UNUSED_PAD src0_sel:BYTE_0 src1_sel:DWORD
	v_lshl_add_u32 v6, v6, 23, v27
	v_or3_b32 v21, v12, v6, v21
	v_mov_b32_e32 v22, v8
.LBB206_1502:                           ;   in Loop: Header=BB206_809 Depth=1
	s_or_b64 exec, exec, s[26:27]
.LBB206_1503:                           ;   in Loop: Header=BB206_809 Depth=1
	s_or_b64 exec, exec, s[24:25]
.LBB206_1504:                           ;   in Loop: Header=BB206_809 Depth=1
	s_or_b64 exec, exec, s[22:23]
	v_cmp_lt_u32_e32 vcc, s41, v16
	s_and_saveexec_b64 s[22:23], vcc
	s_cbranch_execz .LBB206_1510
; %bb.1505:                             ;   in Loop: Header=BB206_809 Depth=1
	v_mov_b32_e32 v24, v9
	v_cmp_ne_u32_sdwa s[26:27], v16, s28 src0_sel:BYTE_3 src1_sel:DWORD
	v_mov_b32_e32 v23, v8
	s_and_saveexec_b64 s[24:25], s[26:27]
	s_cbranch_execz .LBB206_1509
; %bb.1506:                             ;   in Loop: Header=BB206_809 Depth=1
	v_bfe_u32 v6, v16, 24, 7
	v_mov_b32_e32 v12, v8
	v_mov_b32_e32 v24, v13
	v_cmp_ne_u32_e32 vcc, s29, v6
	v_mov_b32_e32 v23, v12
	s_and_saveexec_b64 s[26:27], vcc
	s_cbranch_execz .LBB206_1508
; %bb.1507:                             ;   in Loop: Header=BB206_809 Depth=1
	v_mov_b32_e32 v12, 7
	v_and_b32_sdwa v23, v16, v12 dst_sel:DWORD dst_unused:UNUSED_PAD src0_sel:BYTE_3 src1_sel:DWORD
	v_lshrrev_b32_e32 v12, 3, v6
	v_cmp_gt_u32_e32 vcc, 8, v6
	v_ffbh_u32_e32 v6, v23
	v_min_u32_e32 v6, 32, v6
	v_mov_b32_e32 v24, v8
	v_subrev_u32_e32 v26, 28, v6
	v_lshlrev_b64 v[40:41], v26, v[23:24]
	v_sub_u32_e32 v6, 29, v6
	v_and_b32_e32 v24, 7, v40
	v_cndmask_b32_e32 v6, v12, v6, vcc
	v_cndmask_b32_e32 v12, v23, v24, vcc
	v_mov_b32_e32 v23, 24
	v_lshlrev_b32_sdwa v16, v23, v16 dst_sel:DWORD dst_unused:UNUSED_PAD src0_sel:DWORD src1_sel:BYTE_3
	v_lshl_add_u32 v6, v6, 23, v27
	v_and_or_b32 v6, v16, s40, v6
	v_lshlrev_b32_e32 v12, 20, v12
	v_or_b32_e32 v24, v6, v12
	v_mov_b32_e32 v23, v8
.LBB206_1508:                           ;   in Loop: Header=BB206_809 Depth=1
	s_or_b64 exec, exec, s[26:27]
.LBB206_1509:                           ;   in Loop: Header=BB206_809 Depth=1
	s_or_b64 exec, exec, s[24:25]
.LBB206_1510:                           ;   in Loop: Header=BB206_809 Depth=1
	s_or_b64 exec, exec, s[22:23]
	v_or_b32_e32 v6, v20, v18
	v_or_b32_e32 v12, v19, v17
	v_mul_f32_e32 v42, v30, v6
	v_mul_f32_e32 v40, v30, v12
	v_or_b32_e32 v6, v24, v22
	v_or_b32_e32 v12, v23, v21
	v_mul_f32_e32 v41, v30, v12
	v_mul_f32_e32 v55, v30, v6
	s_and_saveexec_b64 s[22:23], s[4:5]
	s_cbranch_execz .LBB206_1512
; %bb.1511:                             ;   in Loop: Header=BB206_809 Depth=1
	buffer_load_dword v6, off, s[0:3], s32 offset:72 ; 4-byte Folded Reload
	s_waitcnt vmcnt(0)
	v_cmp_lt_i32_e32 vcc, v35, v6
	v_cndmask_b32_e32 v40, 0, v40, vcc
	v_cmp_lt_i32_e32 vcc, v38, v6
	v_cndmask_b32_e32 v42, 0, v42, vcc
	;; [unrolled: 2-line block ×4, first 2 shown]
.LBB206_1512:                           ;   in Loop: Header=BB206_809 Depth=1
	s_or_b64 exec, exec, s[22:23]
	v_add_co_u32_e32 v16, vcc, 0x1000, v14
	v_addc_co_u32_e32 v17, vcc, 0, v15, vcc
	flat_load_dword v16, v[16:17] offset:2816
	v_mov_b32_e32 v19, 0
	v_mov_b32_e32 v17, 0
	;; [unrolled: 1-line block ×4, first 2 shown]
	s_waitcnt vmcnt(0) lgkmcnt(0)
	v_cmp_ne_u16_sdwa s[24:25], v16, v8 src0_sel:BYTE_0 src1_sel:DWORD
	s_and_saveexec_b64 s[22:23], s[24:25]
	s_cbranch_execz .LBB206_1518
; %bb.1513:                             ;   in Loop: Header=BB206_809 Depth=1
	v_bfrev_b32_e32 v17, 1
	v_mov_b32_e32 v18, 0
	v_cmp_ne_u16_sdwa s[26:27], v16, s28 src0_sel:BYTE_0 src1_sel:DWORD
	s_and_saveexec_b64 s[24:25], s[26:27]
	s_cbranch_execz .LBB206_1517
; %bb.1514:                             ;   in Loop: Header=BB206_809 Depth=1
	v_and_b32_e32 v6, 0x7f, v16
	v_mov_b32_e32 v17, 0x7f800001
	v_mov_b32_e32 v18, 0
	v_cmp_ne_u32_e32 vcc, s29, v6
	s_and_saveexec_b64 s[26:27], vcc
	s_cbranch_execz .LBB206_1516
; %bb.1515:                             ;   in Loop: Header=BB206_809 Depth=1
	v_and_b32_e32 v12, 7, v16
	v_lshrrev_b32_e32 v21, 3, v6
	v_cmp_gt_u32_e32 vcc, 8, v6
	v_ffbh_u32_e32 v6, v12
	v_min_u32_e32 v6, 32, v6
	v_subrev_u32_e32 v17, 28, v6
	v_lshlrev_b64 v[17:18], v17, v[16:17]
	v_sub_u32_e32 v6, 29, v6
	v_and_b32_e32 v17, 7, v17
	v_cndmask_b32_e32 v6, v21, v6, vcc
	v_cndmask_b32_e32 v12, v12, v17, vcc
	v_lshlrev_b32_e32 v12, 20, v12
	v_and_b32_sdwa v17, sext(v16), s40 dst_sel:DWORD dst_unused:UNUSED_PAD src0_sel:BYTE_0 src1_sel:DWORD
	v_lshl_add_u32 v6, v6, 23, v27
	v_or3_b32 v17, v17, v6, v12
	v_mov_b32_e32 v18, v8
.LBB206_1516:                           ;   in Loop: Header=BB206_809 Depth=1
	s_or_b64 exec, exec, s[26:27]
.LBB206_1517:                           ;   in Loop: Header=BB206_809 Depth=1
	s_or_b64 exec, exec, s[24:25]
.LBB206_1518:                           ;   in Loop: Header=BB206_809 Depth=1
	s_or_b64 exec, exec, s[22:23]
	v_cmp_ne_u16_sdwa s[24:25], v16, v8 src0_sel:BYTE_1 src1_sel:DWORD
	s_and_saveexec_b64 s[22:23], s[24:25]
	s_cbranch_execz .LBB206_1524
; %bb.1519:                             ;   in Loop: Header=BB206_809 Depth=1
	v_mov_b32_e32 v20, v9
	v_cmp_ne_u16_sdwa s[26:27], v16, s28 src0_sel:BYTE_1 src1_sel:DWORD
	v_mov_b32_e32 v19, v8
	s_and_saveexec_b64 s[24:25], s[26:27]
	s_cbranch_execz .LBB206_1523
; %bb.1520:                             ;   in Loop: Header=BB206_809 Depth=1
	v_and_b32_sdwa v6, v16, s29 dst_sel:DWORD dst_unused:UNUSED_PAD src0_sel:BYTE_1 src1_sel:DWORD
	v_mov_b32_e32 v12, v8
	v_mov_b32_e32 v20, v13
	v_cmp_ne_u32_e32 vcc, s29, v6
	v_mov_b32_e32 v19, v12
	s_and_saveexec_b64 s[26:27], vcc
	s_cbranch_execz .LBB206_1522
; %bb.1521:                             ;   in Loop: Header=BB206_809 Depth=1
	v_mov_b32_e32 v12, 7
	v_and_b32_sdwa v19, v16, v12 dst_sel:DWORD dst_unused:UNUSED_PAD src0_sel:BYTE_1 src1_sel:DWORD
	v_lshrrev_b32_e32 v12, 3, v6
	v_cmp_gt_u32_e32 vcc, 8, v6
	v_ffbh_u32_e32 v6, v19
	v_min_u32_e32 v6, 32, v6
	v_mov_b32_e32 v20, v8
	v_subrev_u32_e32 v21, 28, v6
	v_lshlrev_b64 v[20:21], v21, v[19:20]
	v_sub_u32_e32 v6, 29, v6
	v_and_b32_e32 v20, 7, v20
	v_cndmask_b32_e32 v6, v12, v6, vcc
	v_cndmask_b32_e32 v12, v19, v20, vcc
	v_lshlrev_b32_e32 v19, 16, v16
	v_lshl_add_u32 v6, v6, 23, v27
	v_and_or_b32 v6, v19, s40, v6
	v_lshlrev_b32_e32 v12, 20, v12
	v_or_b32_e32 v20, v6, v12
	v_mov_b32_e32 v19, v8
.LBB206_1522:                           ;   in Loop: Header=BB206_809 Depth=1
	s_or_b64 exec, exec, s[26:27]
.LBB206_1523:                           ;   in Loop: Header=BB206_809 Depth=1
	s_or_b64 exec, exec, s[24:25]
.LBB206_1524:                           ;   in Loop: Header=BB206_809 Depth=1
	s_or_b64 exec, exec, s[22:23]
	v_lshrrev_b32_e32 v12, 16, v16
	v_mov_b32_e32 v23, 0
	v_mov_b32_e32 v21, 0
	v_mov_b32_e32 v24, 0
	v_mov_b32_e32 v22, 0
	v_cmp_ne_u16_sdwa s[24:25], v12, v8 src0_sel:BYTE_0 src1_sel:DWORD
	s_and_saveexec_b64 s[22:23], s[24:25]
	s_cbranch_execz .LBB206_1530
; %bb.1525:                             ;   in Loop: Header=BB206_809 Depth=1
	v_bfrev_b32_e32 v21, 1
	v_mov_b32_e32 v22, 0
	v_cmp_ne_u16_sdwa s[26:27], v12, s28 src0_sel:BYTE_0 src1_sel:DWORD
	s_and_saveexec_b64 s[24:25], s[26:27]
	s_cbranch_execz .LBB206_1529
; %bb.1526:                             ;   in Loop: Header=BB206_809 Depth=1
	v_bfe_u32 v6, v16, 16, 7
	v_mov_b32_e32 v21, 0x7f800001
	v_mov_b32_e32 v22, 0
	v_cmp_ne_u32_e32 vcc, s29, v6
	s_and_saveexec_b64 s[26:27], vcc
	s_cbranch_execz .LBB206_1528
; %bb.1527:                             ;   in Loop: Header=BB206_809 Depth=1
	v_and_b32_e32 v26, 7, v12
	v_lshrrev_b32_e32 v27, 3, v6
	v_cmp_gt_u32_e32 vcc, 8, v6
	v_ffbh_u32_e32 v6, v26
	v_min_u32_e32 v6, 32, v6
	v_subrev_u32_e32 v21, 28, v6
	v_lshlrev_b64 v[21:22], v21, v[12:13]
	v_sub_u32_e32 v6, 29, v6
	v_and_b32_e32 v21, 7, v21
	v_cndmask_b32_e32 v6, v27, v6, vcc
	v_bfrev_b32_e32 v27, 60
	v_cndmask_b32_e32 v21, v26, v21, vcc
	v_lshlrev_b32_e32 v21, 20, v21
	v_and_b32_sdwa v12, sext(v12), s40 dst_sel:DWORD dst_unused:UNUSED_PAD src0_sel:BYTE_0 src1_sel:DWORD
	v_lshl_add_u32 v6, v6, 23, v27
	v_or3_b32 v21, v12, v6, v21
	v_mov_b32_e32 v22, v8
.LBB206_1528:                           ;   in Loop: Header=BB206_809 Depth=1
	s_or_b64 exec, exec, s[26:27]
.LBB206_1529:                           ;   in Loop: Header=BB206_809 Depth=1
	s_or_b64 exec, exec, s[24:25]
.LBB206_1530:                           ;   in Loop: Header=BB206_809 Depth=1
	s_or_b64 exec, exec, s[22:23]
	v_cmp_lt_u32_e32 vcc, s41, v16
	s_and_saveexec_b64 s[22:23], vcc
	s_cbranch_execz .LBB206_1536
; %bb.1531:                             ;   in Loop: Header=BB206_809 Depth=1
	v_mov_b32_e32 v24, v9
	v_cmp_ne_u32_sdwa s[26:27], v16, s28 src0_sel:BYTE_3 src1_sel:DWORD
	v_mov_b32_e32 v23, v8
	s_and_saveexec_b64 s[24:25], s[26:27]
	s_cbranch_execz .LBB206_1535
; %bb.1532:                             ;   in Loop: Header=BB206_809 Depth=1
	v_bfe_u32 v6, v16, 24, 7
	v_mov_b32_e32 v12, v8
	v_mov_b32_e32 v24, v13
	v_cmp_ne_u32_e32 vcc, s29, v6
	v_mov_b32_e32 v23, v12
	s_and_saveexec_b64 s[26:27], vcc
	s_cbranch_execz .LBB206_1534
; %bb.1533:                             ;   in Loop: Header=BB206_809 Depth=1
	v_mov_b32_e32 v12, 7
	v_and_b32_sdwa v23, v16, v12 dst_sel:DWORD dst_unused:UNUSED_PAD src0_sel:BYTE_3 src1_sel:DWORD
	v_lshrrev_b32_e32 v12, 3, v6
	v_cmp_gt_u32_e32 vcc, 8, v6
	v_ffbh_u32_e32 v6, v23
	v_min_u32_e32 v6, 32, v6
	v_mov_b32_e32 v24, v8
	v_subrev_u32_e32 v26, 28, v6
	v_lshlrev_b64 v[43:44], v26, v[23:24]
	v_sub_u32_e32 v6, 29, v6
	v_and_b32_e32 v24, 7, v43
	v_cndmask_b32_e32 v6, v12, v6, vcc
	v_cndmask_b32_e32 v12, v23, v24, vcc
	v_mov_b32_e32 v23, 24
	v_lshlrev_b32_sdwa v16, v23, v16 dst_sel:DWORD dst_unused:UNUSED_PAD src0_sel:DWORD src1_sel:BYTE_3
	v_lshl_add_u32 v6, v6, 23, v27
	v_and_or_b32 v6, v16, s40, v6
	v_lshlrev_b32_e32 v12, 20, v12
	v_or_b32_e32 v24, v6, v12
	v_mov_b32_e32 v23, v8
.LBB206_1534:                           ;   in Loop: Header=BB206_809 Depth=1
	s_or_b64 exec, exec, s[26:27]
.LBB206_1535:                           ;   in Loop: Header=BB206_809 Depth=1
	s_or_b64 exec, exec, s[24:25]
.LBB206_1536:                           ;   in Loop: Header=BB206_809 Depth=1
	s_or_b64 exec, exec, s[22:23]
	v_or_b32_e32 v6, v20, v18
	v_or_b32_e32 v12, v19, v17
	v_mul_f32_e32 v45, v30, v6
	v_mul_f32_e32 v43, v30, v12
	v_or_b32_e32 v6, v24, v22
	v_or_b32_e32 v12, v23, v21
	v_mul_f32_e32 v44, v30, v12
	v_mul_f32_e32 v6, v30, v6
	s_and_saveexec_b64 s[22:23], s[4:5]
	s_cbranch_execz .LBB206_1538
; %bb.1537:                             ;   in Loop: Header=BB206_809 Depth=1
	buffer_load_dword v12, off, s[0:3], s32 offset:72 ; 4-byte Folded Reload
	s_waitcnt vmcnt(0)
	v_cmp_lt_i32_e32 vcc, v35, v12
	v_cndmask_b32_e32 v43, 0, v43, vcc
	v_cmp_lt_i32_e32 vcc, v38, v12
	v_cndmask_b32_e32 v45, 0, v45, vcc
	;; [unrolled: 2-line block ×4, first 2 shown]
.LBB206_1538:                           ;   in Loop: Header=BB206_809 Depth=1
	s_or_b64 exec, exec, s[22:23]
	v_add_co_u32_e32 v16, vcc, 0x1000, v14
	v_addc_co_u32_e32 v17, vcc, 0, v15, vcc
	flat_load_dword v16, v[16:17] offset:3072
	v_mov_b32_e32 v19, 0
	v_mov_b32_e32 v17, 0
	;; [unrolled: 1-line block ×4, first 2 shown]
	s_waitcnt vmcnt(0) lgkmcnt(0)
	v_cmp_ne_u16_sdwa s[24:25], v16, v8 src0_sel:BYTE_0 src1_sel:DWORD
	s_and_saveexec_b64 s[22:23], s[24:25]
	s_cbranch_execz .LBB206_1544
; %bb.1539:                             ;   in Loop: Header=BB206_809 Depth=1
	v_bfrev_b32_e32 v17, 1
	v_mov_b32_e32 v18, 0
	v_cmp_ne_u16_sdwa s[26:27], v16, s28 src0_sel:BYTE_0 src1_sel:DWORD
	s_and_saveexec_b64 s[24:25], s[26:27]
	s_cbranch_execz .LBB206_1543
; %bb.1540:                             ;   in Loop: Header=BB206_809 Depth=1
	v_and_b32_e32 v12, 0x7f, v16
	v_mov_b32_e32 v17, 0x7f800001
	v_mov_b32_e32 v18, 0
	v_cmp_ne_u32_e32 vcc, s29, v12
	s_and_saveexec_b64 s[26:27], vcc
	s_cbranch_execz .LBB206_1542
; %bb.1541:                             ;   in Loop: Header=BB206_809 Depth=1
	v_and_b32_e32 v21, 7, v16
	v_lshrrev_b32_e32 v22, 3, v12
	v_cmp_gt_u32_e32 vcc, 8, v12
	v_ffbh_u32_e32 v12, v21
	v_min_u32_e32 v12, 32, v12
	v_subrev_u32_e32 v17, 28, v12
	v_lshlrev_b64 v[17:18], v17, v[16:17]
	v_sub_u32_e32 v12, 29, v12
	v_and_b32_e32 v17, 7, v17
	v_cndmask_b32_e32 v12, v22, v12, vcc
	v_cndmask_b32_e32 v17, v21, v17, vcc
	v_lshlrev_b32_e32 v17, 20, v17
	v_and_b32_sdwa v18, sext(v16), s40 dst_sel:DWORD dst_unused:UNUSED_PAD src0_sel:BYTE_0 src1_sel:DWORD
	v_lshl_add_u32 v12, v12, 23, v27
	v_or3_b32 v17, v18, v12, v17
	v_mov_b32_e32 v18, v8
.LBB206_1542:                           ;   in Loop: Header=BB206_809 Depth=1
	s_or_b64 exec, exec, s[26:27]
.LBB206_1543:                           ;   in Loop: Header=BB206_809 Depth=1
	s_or_b64 exec, exec, s[24:25]
.LBB206_1544:                           ;   in Loop: Header=BB206_809 Depth=1
	s_or_b64 exec, exec, s[22:23]
	v_cmp_ne_u16_sdwa s[24:25], v16, v8 src0_sel:BYTE_1 src1_sel:DWORD
	s_and_saveexec_b64 s[22:23], s[24:25]
	s_cbranch_execz .LBB206_1550
; %bb.1545:                             ;   in Loop: Header=BB206_809 Depth=1
	v_mov_b32_e32 v20, v9
	v_cmp_ne_u16_sdwa s[26:27], v16, s28 src0_sel:BYTE_1 src1_sel:DWORD
	v_mov_b32_e32 v19, v8
	s_and_saveexec_b64 s[24:25], s[26:27]
	s_cbranch_execz .LBB206_1549
; %bb.1546:                             ;   in Loop: Header=BB206_809 Depth=1
	v_and_b32_sdwa v21, v16, s29 dst_sel:DWORD dst_unused:UNUSED_PAD src0_sel:BYTE_1 src1_sel:DWORD
	v_mov_b32_e32 v12, v8
	v_mov_b32_e32 v20, v13
	v_cmp_ne_u32_e32 vcc, s29, v21
	v_mov_b32_e32 v19, v12
	s_and_saveexec_b64 s[26:27], vcc
	s_cbranch_execz .LBB206_1548
; %bb.1547:                             ;   in Loop: Header=BB206_809 Depth=1
	v_mov_b32_e32 v12, 7
	v_and_b32_sdwa v19, v16, v12 dst_sel:DWORD dst_unused:UNUSED_PAD src0_sel:BYTE_1 src1_sel:DWORD
	v_lshrrev_b32_e32 v12, 3, v21
	v_cmp_gt_u32_e32 vcc, 8, v21
	v_ffbh_u32_e32 v21, v19
	v_min_u32_e32 v22, 32, v21
	v_mov_b32_e32 v20, v8
	v_subrev_u32_e32 v21, 28, v22
	v_lshlrev_b64 v[20:21], v21, v[19:20]
	v_sub_u32_e32 v21, 29, v22
	v_and_b32_e32 v20, 7, v20
	v_cndmask_b32_e32 v12, v12, v21, vcc
	v_cndmask_b32_e32 v19, v19, v20, vcc
	v_lshlrev_b32_e32 v20, 16, v16
	v_lshl_add_u32 v12, v12, 23, v27
	v_and_or_b32 v12, v20, s40, v12
	v_lshlrev_b32_e32 v19, 20, v19
	v_or_b32_e32 v20, v12, v19
	v_mov_b32_e32 v19, v8
.LBB206_1548:                           ;   in Loop: Header=BB206_809 Depth=1
	s_or_b64 exec, exec, s[26:27]
.LBB206_1549:                           ;   in Loop: Header=BB206_809 Depth=1
	s_or_b64 exec, exec, s[24:25]
.LBB206_1550:                           ;   in Loop: Header=BB206_809 Depth=1
	s_or_b64 exec, exec, s[22:23]
	v_lshrrev_b32_e32 v12, 16, v16
	v_mov_b32_e32 v23, 0
	v_mov_b32_e32 v21, 0
	v_mov_b32_e32 v24, 0
	v_mov_b32_e32 v22, 0
	v_cmp_ne_u16_sdwa s[24:25], v12, v8 src0_sel:BYTE_0 src1_sel:DWORD
	s_and_saveexec_b64 s[22:23], s[24:25]
	s_cbranch_execz .LBB206_1556
; %bb.1551:                             ;   in Loop: Header=BB206_809 Depth=1
	v_bfrev_b32_e32 v21, 1
	v_mov_b32_e32 v22, 0
	v_cmp_ne_u16_sdwa s[26:27], v12, s28 src0_sel:BYTE_0 src1_sel:DWORD
	s_and_saveexec_b64 s[24:25], s[26:27]
	s_cbranch_execz .LBB206_1555
; %bb.1552:                             ;   in Loop: Header=BB206_809 Depth=1
	v_bfe_u32 v46, v16, 16, 7
	v_mov_b32_e32 v21, 0x7f800001
	v_mov_b32_e32 v22, 0
	v_cmp_ne_u32_e32 vcc, s29, v46
	s_and_saveexec_b64 s[26:27], vcc
	s_cbranch_execz .LBB206_1554
; %bb.1553:                             ;   in Loop: Header=BB206_809 Depth=1
	v_and_b32_e32 v26, 7, v12
	v_ffbh_u32_e32 v21, v26
	v_lshrrev_b32_e32 v27, 3, v46
	v_cmp_gt_u32_e32 vcc, 8, v46
	v_mov_b32_e32 v46, v28
	v_min_u32_e32 v28, 32, v21
	v_subrev_u32_e32 v21, 28, v28
	v_lshlrev_b64 v[21:22], v21, v[12:13]
	v_sub_u32_e32 v22, 29, v28
	v_and_b32_e32 v21, 7, v21
	v_cndmask_b32_e32 v22, v27, v22, vcc
	v_bfrev_b32_e32 v27, 60
	v_cndmask_b32_e32 v21, v26, v21, vcc
	v_lshlrev_b32_e32 v21, 20, v21
	v_and_b32_sdwa v12, sext(v12), s40 dst_sel:DWORD dst_unused:UNUSED_PAD src0_sel:BYTE_0 src1_sel:DWORD
	v_lshl_add_u32 v22, v22, 23, v27
	v_mov_b32_e32 v28, v46
	v_or3_b32 v21, v12, v22, v21
	v_mov_b32_e32 v22, v8
.LBB206_1554:                           ;   in Loop: Header=BB206_809 Depth=1
	s_or_b64 exec, exec, s[26:27]
.LBB206_1555:                           ;   in Loop: Header=BB206_809 Depth=1
	s_or_b64 exec, exec, s[24:25]
.LBB206_1556:                           ;   in Loop: Header=BB206_809 Depth=1
	s_or_b64 exec, exec, s[22:23]
	v_cmp_lt_u32_e32 vcc, s41, v16
	s_and_saveexec_b64 s[22:23], vcc
	s_cbranch_execz .LBB206_1562
; %bb.1557:                             ;   in Loop: Header=BB206_809 Depth=1
	v_mov_b32_e32 v24, v9
	v_cmp_ne_u32_sdwa s[26:27], v16, s28 src0_sel:BYTE_3 src1_sel:DWORD
	v_mov_b32_e32 v23, v8
	s_and_saveexec_b64 s[24:25], s[26:27]
	s_cbranch_execz .LBB206_1561
; %bb.1558:                             ;   in Loop: Header=BB206_809 Depth=1
	v_bfe_u32 v46, v16, 24, 7
	v_mov_b32_e32 v12, v8
	v_mov_b32_e32 v24, v13
	v_cmp_ne_u32_e32 vcc, s29, v46
	v_mov_b32_e32 v23, v12
	s_and_saveexec_b64 s[26:27], vcc
	s_cbranch_execz .LBB206_1560
; %bb.1559:                             ;   in Loop: Header=BB206_809 Depth=1
	v_mov_b32_e32 v12, 7
	v_and_b32_sdwa v23, v16, v12 dst_sel:DWORD dst_unused:UNUSED_PAD src0_sel:BYTE_3 src1_sel:DWORD
	v_ffbh_u32_e32 v26, v23
	v_min_u32_e32 v26, 32, v26
	v_mov_b32_e32 v24, v8
	v_subrev_u32_e32 v27, 28, v26
	v_lshrrev_b32_e32 v12, 3, v46
	v_cmp_gt_u32_e32 vcc, 8, v46
	v_lshlrev_b64 v[46:47], v27, v[23:24]
	v_sub_u32_e32 v24, 29, v26
	v_bfrev_b32_e32 v27, 60
	v_and_b32_e32 v26, 7, v46
	v_cndmask_b32_e32 v12, v12, v24, vcc
	v_mov_b32_e32 v24, 24
	v_cndmask_b32_e32 v23, v23, v26, vcc
	v_lshlrev_b32_sdwa v16, v24, v16 dst_sel:DWORD dst_unused:UNUSED_PAD src0_sel:DWORD src1_sel:BYTE_3
	v_lshl_add_u32 v12, v12, 23, v27
	v_and_or_b32 v12, v16, s40, v12
	v_lshlrev_b32_e32 v16, 20, v23
	v_or_b32_e32 v24, v12, v16
	v_mov_b32_e32 v23, v8
.LBB206_1560:                           ;   in Loop: Header=BB206_809 Depth=1
	s_or_b64 exec, exec, s[26:27]
.LBB206_1561:                           ;   in Loop: Header=BB206_809 Depth=1
	s_or_b64 exec, exec, s[24:25]
.LBB206_1562:                           ;   in Loop: Header=BB206_809 Depth=1
	s_or_b64 exec, exec, s[22:23]
	v_or_b32_e32 v12, v20, v18
	v_or_b32_e32 v16, v19, v17
	v_mul_f32_e32 v57, v30, v12
	v_mul_f32_e32 v47, v30, v16
	v_or_b32_e32 v12, v24, v22
	v_or_b32_e32 v16, v23, v21
	v_mul_f32_e32 v56, v30, v16
	v_mul_f32_e32 v46, v30, v12
	s_and_saveexec_b64 s[22:23], s[4:5]
	s_cbranch_execz .LBB206_1564
; %bb.1563:                             ;   in Loop: Header=BB206_809 Depth=1
	buffer_load_dword v12, off, s[0:3], s32 offset:72 ; 4-byte Folded Reload
	s_waitcnt vmcnt(0)
	v_cmp_lt_i32_e32 vcc, v35, v12
	v_cndmask_b32_e32 v47, 0, v47, vcc
	v_cmp_lt_i32_e32 vcc, v38, v12
	v_cndmask_b32_e32 v57, 0, v57, vcc
	;; [unrolled: 2-line block ×4, first 2 shown]
.LBB206_1564:                           ;   in Loop: Header=BB206_809 Depth=1
	s_or_b64 exec, exec, s[22:23]
	v_add_co_u32_e32 v16, vcc, 0x1000, v14
	v_addc_co_u32_e32 v17, vcc, 0, v15, vcc
	flat_load_dword v16, v[16:17] offset:3328
	v_mov_b32_e32 v19, 0
	v_mov_b32_e32 v17, 0
	;; [unrolled: 1-line block ×4, first 2 shown]
	s_waitcnt vmcnt(0) lgkmcnt(0)
	v_cmp_ne_u16_sdwa s[24:25], v16, v8 src0_sel:BYTE_0 src1_sel:DWORD
	s_and_saveexec_b64 s[22:23], s[24:25]
	s_cbranch_execz .LBB206_1570
; %bb.1565:                             ;   in Loop: Header=BB206_809 Depth=1
	v_bfrev_b32_e32 v17, 1
	v_mov_b32_e32 v18, 0
	v_cmp_ne_u16_sdwa s[26:27], v16, s28 src0_sel:BYTE_0 src1_sel:DWORD
	s_and_saveexec_b64 s[24:25], s[26:27]
	s_cbranch_execz .LBB206_1569
; %bb.1566:                             ;   in Loop: Header=BB206_809 Depth=1
	v_and_b32_e32 v12, 0x7f, v16
	v_mov_b32_e32 v17, 0x7f800001
	v_mov_b32_e32 v18, 0
	v_cmp_ne_u32_e32 vcc, s29, v12
	s_and_saveexec_b64 s[26:27], vcc
	s_cbranch_execz .LBB206_1568
; %bb.1567:                             ;   in Loop: Header=BB206_809 Depth=1
	v_and_b32_e32 v21, 7, v16
	v_lshrrev_b32_e32 v22, 3, v12
	v_cmp_gt_u32_e32 vcc, 8, v12
	v_ffbh_u32_e32 v12, v21
	v_min_u32_e32 v12, 32, v12
	v_subrev_u32_e32 v17, 28, v12
	v_lshlrev_b64 v[17:18], v17, v[16:17]
	v_sub_u32_e32 v12, 29, v12
	v_and_b32_e32 v17, 7, v17
	v_cndmask_b32_e32 v12, v22, v12, vcc
	v_cndmask_b32_e32 v17, v21, v17, vcc
	v_lshlrev_b32_e32 v17, 20, v17
	v_and_b32_sdwa v18, sext(v16), s40 dst_sel:DWORD dst_unused:UNUSED_PAD src0_sel:BYTE_0 src1_sel:DWORD
	v_lshl_add_u32 v12, v12, 23, v27
	v_or3_b32 v17, v18, v12, v17
	v_mov_b32_e32 v18, v8
.LBB206_1568:                           ;   in Loop: Header=BB206_809 Depth=1
	s_or_b64 exec, exec, s[26:27]
.LBB206_1569:                           ;   in Loop: Header=BB206_809 Depth=1
	s_or_b64 exec, exec, s[24:25]
.LBB206_1570:                           ;   in Loop: Header=BB206_809 Depth=1
	s_or_b64 exec, exec, s[22:23]
	v_cmp_ne_u16_sdwa s[24:25], v16, v8 src0_sel:BYTE_1 src1_sel:DWORD
	s_and_saveexec_b64 s[22:23], s[24:25]
	s_cbranch_execz .LBB206_1576
; %bb.1571:                             ;   in Loop: Header=BB206_809 Depth=1
	v_mov_b32_e32 v20, v9
	v_cmp_ne_u16_sdwa s[26:27], v16, s28 src0_sel:BYTE_1 src1_sel:DWORD
	v_mov_b32_e32 v19, v8
	s_and_saveexec_b64 s[24:25], s[26:27]
	s_cbranch_execz .LBB206_1575
; %bb.1572:                             ;   in Loop: Header=BB206_809 Depth=1
	v_and_b32_sdwa v21, v16, s29 dst_sel:DWORD dst_unused:UNUSED_PAD src0_sel:BYTE_1 src1_sel:DWORD
	v_mov_b32_e32 v12, v8
	v_mov_b32_e32 v20, v13
	v_cmp_ne_u32_e32 vcc, s29, v21
	v_mov_b32_e32 v19, v12
	s_and_saveexec_b64 s[26:27], vcc
	s_cbranch_execz .LBB206_1574
; %bb.1573:                             ;   in Loop: Header=BB206_809 Depth=1
	v_mov_b32_e32 v12, 7
	v_and_b32_sdwa v19, v16, v12 dst_sel:DWORD dst_unused:UNUSED_PAD src0_sel:BYTE_1 src1_sel:DWORD
	v_lshrrev_b32_e32 v12, 3, v21
	v_cmp_gt_u32_e32 vcc, 8, v21
	v_ffbh_u32_e32 v21, v19
	v_min_u32_e32 v22, 32, v21
	v_mov_b32_e32 v20, v8
	v_subrev_u32_e32 v21, 28, v22
	v_lshlrev_b64 v[20:21], v21, v[19:20]
	v_sub_u32_e32 v21, 29, v22
	v_and_b32_e32 v20, 7, v20
	v_cndmask_b32_e32 v12, v12, v21, vcc
	v_cndmask_b32_e32 v19, v19, v20, vcc
	v_lshlrev_b32_e32 v20, 16, v16
	v_lshl_add_u32 v12, v12, 23, v27
	v_and_or_b32 v12, v20, s40, v12
	v_lshlrev_b32_e32 v19, 20, v19
	v_or_b32_e32 v20, v12, v19
	v_mov_b32_e32 v19, v8
.LBB206_1574:                           ;   in Loop: Header=BB206_809 Depth=1
	s_or_b64 exec, exec, s[26:27]
.LBB206_1575:                           ;   in Loop: Header=BB206_809 Depth=1
	s_or_b64 exec, exec, s[24:25]
.LBB206_1576:                           ;   in Loop: Header=BB206_809 Depth=1
	s_or_b64 exec, exec, s[22:23]
	v_lshrrev_b32_e32 v12, 16, v16
	v_mov_b32_e32 v23, 0
	v_mov_b32_e32 v21, 0
	;; [unrolled: 1-line block ×4, first 2 shown]
	v_cmp_ne_u16_sdwa s[24:25], v12, v8 src0_sel:BYTE_0 src1_sel:DWORD
	s_and_saveexec_b64 s[22:23], s[24:25]
	s_cbranch_execz .LBB206_1582
; %bb.1577:                             ;   in Loop: Header=BB206_809 Depth=1
	v_bfrev_b32_e32 v21, 1
	v_mov_b32_e32 v22, 0
	v_cmp_ne_u16_sdwa s[26:27], v12, s28 src0_sel:BYTE_0 src1_sel:DWORD
	s_and_saveexec_b64 s[24:25], s[26:27]
	s_cbranch_execz .LBB206_1581
; %bb.1578:                             ;   in Loop: Header=BB206_809 Depth=1
	v_bfe_u32 v58, v16, 16, 7
	v_mov_b32_e32 v21, 0x7f800001
	v_mov_b32_e32 v22, 0
	v_cmp_ne_u32_e32 vcc, s29, v58
	s_and_saveexec_b64 s[26:27], vcc
	s_cbranch_execz .LBB206_1580
; %bb.1579:                             ;   in Loop: Header=BB206_809 Depth=1
	v_and_b32_e32 v26, 7, v12
	v_ffbh_u32_e32 v21, v26
	v_lshrrev_b32_e32 v27, 3, v58
	v_cmp_gt_u32_e32 vcc, 8, v58
	v_mov_b32_e32 v58, v28
	v_min_u32_e32 v28, 32, v21
	v_subrev_u32_e32 v21, 28, v28
	v_lshlrev_b64 v[21:22], v21, v[12:13]
	v_sub_u32_e32 v22, 29, v28
	v_and_b32_e32 v21, 7, v21
	v_cndmask_b32_e32 v22, v27, v22, vcc
	v_bfrev_b32_e32 v27, 60
	v_cndmask_b32_e32 v21, v26, v21, vcc
	v_lshlrev_b32_e32 v21, 20, v21
	v_and_b32_sdwa v12, sext(v12), s40 dst_sel:DWORD dst_unused:UNUSED_PAD src0_sel:BYTE_0 src1_sel:DWORD
	v_lshl_add_u32 v22, v22, 23, v27
	v_mov_b32_e32 v28, v58
	v_or3_b32 v21, v12, v22, v21
	v_mov_b32_e32 v22, v8
.LBB206_1580:                           ;   in Loop: Header=BB206_809 Depth=1
	s_or_b64 exec, exec, s[26:27]
.LBB206_1581:                           ;   in Loop: Header=BB206_809 Depth=1
	s_or_b64 exec, exec, s[24:25]
.LBB206_1582:                           ;   in Loop: Header=BB206_809 Depth=1
	s_or_b64 exec, exec, s[22:23]
	v_cmp_lt_u32_e32 vcc, s41, v16
	s_and_saveexec_b64 s[22:23], vcc
	s_cbranch_execz .LBB206_1588
; %bb.1583:                             ;   in Loop: Header=BB206_809 Depth=1
	v_mov_b32_e32 v24, v9
	v_cmp_ne_u32_sdwa s[26:27], v16, s28 src0_sel:BYTE_3 src1_sel:DWORD
	v_mov_b32_e32 v23, v8
	s_and_saveexec_b64 s[24:25], s[26:27]
	s_cbranch_execz .LBB206_1587
; %bb.1584:                             ;   in Loop: Header=BB206_809 Depth=1
	v_bfe_u32 v58, v16, 24, 7
	v_mov_b32_e32 v12, v8
	v_mov_b32_e32 v24, v13
	v_cmp_ne_u32_e32 vcc, s29, v58
	v_mov_b32_e32 v23, v12
	s_and_saveexec_b64 s[26:27], vcc
	s_cbranch_execz .LBB206_1586
; %bb.1585:                             ;   in Loop: Header=BB206_809 Depth=1
	v_mov_b32_e32 v12, 7
	v_and_b32_sdwa v23, v16, v12 dst_sel:DWORD dst_unused:UNUSED_PAD src0_sel:BYTE_3 src1_sel:DWORD
	v_ffbh_u32_e32 v26, v23
	v_min_u32_e32 v26, 32, v26
	v_mov_b32_e32 v24, v8
	v_subrev_u32_e32 v27, 28, v26
	v_lshrrev_b32_e32 v12, 3, v58
	v_cmp_gt_u32_e32 vcc, 8, v58
	v_lshlrev_b64 v[58:59], v27, v[23:24]
	v_sub_u32_e32 v24, 29, v26
	v_bfrev_b32_e32 v27, 60
	v_and_b32_e32 v26, 7, v58
	v_cndmask_b32_e32 v12, v12, v24, vcc
	v_mov_b32_e32 v24, 24
	v_cndmask_b32_e32 v23, v23, v26, vcc
	v_lshlrev_b32_sdwa v16, v24, v16 dst_sel:DWORD dst_unused:UNUSED_PAD src0_sel:DWORD src1_sel:BYTE_3
	v_lshl_add_u32 v12, v12, 23, v27
	v_and_or_b32 v12, v16, s40, v12
	v_lshlrev_b32_e32 v16, 20, v23
	v_or_b32_e32 v24, v12, v16
	v_mov_b32_e32 v23, v8
.LBB206_1586:                           ;   in Loop: Header=BB206_809 Depth=1
	s_or_b64 exec, exec, s[26:27]
.LBB206_1587:                           ;   in Loop: Header=BB206_809 Depth=1
	s_or_b64 exec, exec, s[24:25]
.LBB206_1588:                           ;   in Loop: Header=BB206_809 Depth=1
	s_or_b64 exec, exec, s[22:23]
	v_or_b32_e32 v12, v20, v18
	v_or_b32_e32 v16, v19, v17
	v_mul_f32_e32 v59, v30, v12
	v_mul_f32_e32 v58, v30, v16
	v_or_b32_e32 v12, v24, v22
	v_or_b32_e32 v16, v23, v21
	v_mul_f32_e32 v24, v30, v16
	v_mul_f32_e32 v23, v30, v12
	s_and_saveexec_b64 s[22:23], s[4:5]
	s_cbranch_execz .LBB206_1590
; %bb.1589:                             ;   in Loop: Header=BB206_809 Depth=1
	buffer_load_dword v12, off, s[0:3], s32 offset:72 ; 4-byte Folded Reload
	s_waitcnt vmcnt(0)
	v_cmp_lt_i32_e32 vcc, v35, v12
	v_cndmask_b32_e32 v58, 0, v58, vcc
	v_cmp_lt_i32_e32 vcc, v38, v12
	v_cndmask_b32_e32 v59, 0, v59, vcc
	;; [unrolled: 2-line block ×4, first 2 shown]
.LBB206_1590:                           ;   in Loop: Header=BB206_809 Depth=1
	s_or_b64 exec, exec, s[22:23]
	v_add_co_u32_e32 v14, vcc, 0x1000, v14
	v_addc_co_u32_e32 v15, vcc, 0, v15, vcc
	flat_load_dword v14, v[14:15] offset:3584
	v_mov_b32_e32 v17, 0
	v_mov_b32_e32 v15, 0
	;; [unrolled: 1-line block ×4, first 2 shown]
	s_waitcnt vmcnt(0) lgkmcnt(0)
	v_cmp_ne_u16_sdwa s[24:25], v14, v8 src0_sel:BYTE_0 src1_sel:DWORD
	s_and_saveexec_b64 s[22:23], s[24:25]
	s_cbranch_execz .LBB206_1596
; %bb.1591:                             ;   in Loop: Header=BB206_809 Depth=1
	v_bfrev_b32_e32 v15, 1
	v_mov_b32_e32 v16, 0
	v_cmp_ne_u16_sdwa s[26:27], v14, s28 src0_sel:BYTE_0 src1_sel:DWORD
	s_and_saveexec_b64 s[24:25], s[26:27]
	s_cbranch_execz .LBB206_1595
; %bb.1592:                             ;   in Loop: Header=BB206_809 Depth=1
	v_and_b32_e32 v12, 0x7f, v14
	v_mov_b32_e32 v15, 0x7f800001
	v_mov_b32_e32 v16, 0
	v_cmp_ne_u32_e32 vcc, s29, v12
	s_and_saveexec_b64 s[26:27], vcc
	s_cbranch_execz .LBB206_1594
; %bb.1593:                             ;   in Loop: Header=BB206_809 Depth=1
	v_and_b32_e32 v19, 7, v14
	v_lshrrev_b32_e32 v20, 3, v12
	v_cmp_gt_u32_e32 vcc, 8, v12
	v_ffbh_u32_e32 v12, v19
	v_min_u32_e32 v12, 32, v12
	v_subrev_u32_e32 v15, 28, v12
	v_lshlrev_b64 v[15:16], v15, v[14:15]
	v_sub_u32_e32 v12, 29, v12
	v_and_b32_e32 v15, 7, v15
	v_cndmask_b32_e32 v12, v20, v12, vcc
	v_cndmask_b32_e32 v15, v19, v15, vcc
	v_lshlrev_b32_e32 v15, 20, v15
	v_and_b32_sdwa v16, sext(v14), s40 dst_sel:DWORD dst_unused:UNUSED_PAD src0_sel:BYTE_0 src1_sel:DWORD
	v_lshl_add_u32 v12, v12, 23, v27
	v_or3_b32 v15, v16, v12, v15
	v_mov_b32_e32 v16, v8
.LBB206_1594:                           ;   in Loop: Header=BB206_809 Depth=1
	s_or_b64 exec, exec, s[26:27]
.LBB206_1595:                           ;   in Loop: Header=BB206_809 Depth=1
	s_or_b64 exec, exec, s[24:25]
.LBB206_1596:                           ;   in Loop: Header=BB206_809 Depth=1
	s_or_b64 exec, exec, s[22:23]
	v_cmp_ne_u16_sdwa s[24:25], v14, v8 src0_sel:BYTE_1 src1_sel:DWORD
	s_and_saveexec_b64 s[22:23], s[24:25]
	s_cbranch_execz .LBB206_1602
; %bb.1597:                             ;   in Loop: Header=BB206_809 Depth=1
	v_mov_b32_e32 v18, v9
	v_cmp_ne_u16_sdwa s[26:27], v14, s28 src0_sel:BYTE_1 src1_sel:DWORD
	v_mov_b32_e32 v17, v8
	s_and_saveexec_b64 s[24:25], s[26:27]
	s_cbranch_execz .LBB206_1601
; %bb.1598:                             ;   in Loop: Header=BB206_809 Depth=1
	v_and_b32_sdwa v19, v14, s29 dst_sel:DWORD dst_unused:UNUSED_PAD src0_sel:BYTE_1 src1_sel:DWORD
	v_mov_b32_e32 v12, v8
	v_mov_b32_e32 v18, v13
	v_cmp_ne_u32_e32 vcc, s29, v19
	v_mov_b32_e32 v17, v12
	s_and_saveexec_b64 s[26:27], vcc
	s_cbranch_execz .LBB206_1600
; %bb.1599:                             ;   in Loop: Header=BB206_809 Depth=1
	v_mov_b32_e32 v12, 7
	v_and_b32_sdwa v17, v14, v12 dst_sel:DWORD dst_unused:UNUSED_PAD src0_sel:BYTE_1 src1_sel:DWORD
	v_lshrrev_b32_e32 v12, 3, v19
	v_cmp_gt_u32_e32 vcc, 8, v19
	v_ffbh_u32_e32 v19, v17
	v_min_u32_e32 v20, 32, v19
	v_mov_b32_e32 v18, v8
	v_subrev_u32_e32 v19, 28, v20
	v_lshlrev_b64 v[18:19], v19, v[17:18]
	v_sub_u32_e32 v19, 29, v20
	v_and_b32_e32 v18, 7, v18
	v_cndmask_b32_e32 v12, v12, v19, vcc
	v_cndmask_b32_e32 v17, v17, v18, vcc
	v_lshlrev_b32_e32 v18, 16, v14
	v_lshl_add_u32 v12, v12, 23, v27
	v_and_or_b32 v12, v18, s40, v12
	v_lshlrev_b32_e32 v17, 20, v17
	v_or_b32_e32 v18, v12, v17
	v_mov_b32_e32 v17, v8
.LBB206_1600:                           ;   in Loop: Header=BB206_809 Depth=1
	s_or_b64 exec, exec, s[26:27]
.LBB206_1601:                           ;   in Loop: Header=BB206_809 Depth=1
	s_or_b64 exec, exec, s[24:25]
.LBB206_1602:                           ;   in Loop: Header=BB206_809 Depth=1
	s_or_b64 exec, exec, s[22:23]
	v_lshrrev_b32_e32 v12, 16, v14
	v_mov_b32_e32 v21, 0
	v_mov_b32_e32 v19, 0
	;; [unrolled: 1-line block ×4, first 2 shown]
	v_cmp_ne_u16_sdwa s[24:25], v12, v8 src0_sel:BYTE_0 src1_sel:DWORD
	s_and_saveexec_b64 s[22:23], s[24:25]
	s_cbranch_execz .LBB206_1608
; %bb.1603:                             ;   in Loop: Header=BB206_809 Depth=1
	v_bfrev_b32_e32 v19, 1
	v_mov_b32_e32 v20, 0
	v_cmp_ne_u16_sdwa s[26:27], v12, s28 src0_sel:BYTE_0 src1_sel:DWORD
	s_and_saveexec_b64 s[24:25], s[26:27]
	s_cbranch_execz .LBB206_1607
; %bb.1604:                             ;   in Loop: Header=BB206_809 Depth=1
	v_bfe_u32 v60, v14, 16, 7
	v_mov_b32_e32 v19, 0x7f800001
	v_mov_b32_e32 v20, 0
	v_cmp_ne_u32_e32 vcc, s29, v60
	s_and_saveexec_b64 s[26:27], vcc
	s_cbranch_execz .LBB206_1606
; %bb.1605:                             ;   in Loop: Header=BB206_809 Depth=1
	v_and_b32_e32 v26, 7, v12
	v_ffbh_u32_e32 v19, v26
	v_lshrrev_b32_e32 v27, 3, v60
	v_cmp_gt_u32_e32 vcc, 8, v60
	v_mov_b32_e32 v60, v28
	v_min_u32_e32 v28, 32, v19
	v_subrev_u32_e32 v19, 28, v28
	v_lshlrev_b64 v[19:20], v19, v[12:13]
	v_sub_u32_e32 v20, 29, v28
	v_and_b32_e32 v19, 7, v19
	v_cndmask_b32_e32 v20, v27, v20, vcc
	v_bfrev_b32_e32 v27, 60
	v_cndmask_b32_e32 v19, v26, v19, vcc
	v_lshlrev_b32_e32 v19, 20, v19
	v_and_b32_sdwa v12, sext(v12), s40 dst_sel:DWORD dst_unused:UNUSED_PAD src0_sel:BYTE_0 src1_sel:DWORD
	v_lshl_add_u32 v20, v20, 23, v27
	v_mov_b32_e32 v28, v60
	v_or3_b32 v19, v12, v20, v19
	v_mov_b32_e32 v20, v8
.LBB206_1606:                           ;   in Loop: Header=BB206_809 Depth=1
	s_or_b64 exec, exec, s[26:27]
.LBB206_1607:                           ;   in Loop: Header=BB206_809 Depth=1
	s_or_b64 exec, exec, s[24:25]
.LBB206_1608:                           ;   in Loop: Header=BB206_809 Depth=1
	s_or_b64 exec, exec, s[22:23]
	v_cmp_lt_u32_e32 vcc, s41, v14
	s_and_saveexec_b64 s[22:23], vcc
	s_cbranch_execz .LBB206_1614
; %bb.1609:                             ;   in Loop: Header=BB206_809 Depth=1
	v_mov_b32_e32 v22, v9
	v_cmp_ne_u32_sdwa s[26:27], v14, s28 src0_sel:BYTE_3 src1_sel:DWORD
	v_mov_b32_e32 v21, v8
	s_and_saveexec_b64 s[24:25], s[26:27]
	s_cbranch_execz .LBB206_1613
; %bb.1610:                             ;   in Loop: Header=BB206_809 Depth=1
	v_bfe_u32 v60, v14, 24, 7
	v_mov_b32_e32 v12, v8
	v_mov_b32_e32 v22, v13
	v_cmp_ne_u32_e32 vcc, s29, v60
	v_mov_b32_e32 v21, v12
	s_and_saveexec_b64 s[26:27], vcc
	s_cbranch_execz .LBB206_1612
; %bb.1611:                             ;   in Loop: Header=BB206_809 Depth=1
	v_mov_b32_e32 v12, 7
	v_and_b32_sdwa v21, v14, v12 dst_sel:DWORD dst_unused:UNUSED_PAD src0_sel:BYTE_3 src1_sel:DWORD
	v_ffbh_u32_e32 v26, v21
	v_min_u32_e32 v26, 32, v26
	v_mov_b32_e32 v22, v8
	v_subrev_u32_e32 v27, 28, v26
	v_lshrrev_b32_e32 v12, 3, v60
	v_cmp_gt_u32_e32 vcc, 8, v60
	v_lshlrev_b64 v[60:61], v27, v[21:22]
	v_sub_u32_e32 v22, 29, v26
	v_bfrev_b32_e32 v27, 60
	v_and_b32_e32 v26, 7, v60
	v_cndmask_b32_e32 v12, v12, v22, vcc
	v_mov_b32_e32 v22, 24
	v_cndmask_b32_e32 v21, v21, v26, vcc
	v_lshlrev_b32_sdwa v14, v22, v14 dst_sel:DWORD dst_unused:UNUSED_PAD src0_sel:DWORD src1_sel:BYTE_3
	v_lshl_add_u32 v12, v12, 23, v27
	v_and_or_b32 v12, v14, s40, v12
	v_lshlrev_b32_e32 v14, 20, v21
	v_or_b32_e32 v22, v12, v14
	v_mov_b32_e32 v21, v8
.LBB206_1612:                           ;   in Loop: Header=BB206_809 Depth=1
	s_or_b64 exec, exec, s[26:27]
.LBB206_1613:                           ;   in Loop: Header=BB206_809 Depth=1
	s_or_b64 exec, exec, s[24:25]
.LBB206_1614:                           ;   in Loop: Header=BB206_809 Depth=1
	s_or_b64 exec, exec, s[22:23]
	v_or_b32_e32 v12, v18, v16
	v_or_b32_e32 v14, v17, v15
	v_mul_f32_e32 v62, v30, v12
	v_mul_f32_e32 v60, v30, v14
	v_or_b32_e32 v12, v22, v20
	v_or_b32_e32 v14, v21, v19
	v_mul_f32_e32 v61, v30, v14
	v_mul_f32_e32 v22, v30, v12
	s_and_saveexec_b64 s[22:23], s[4:5]
	s_cbranch_execz .LBB206_1616
; %bb.1615:                             ;   in Loop: Header=BB206_809 Depth=1
	buffer_load_dword v12, off, s[0:3], s32 offset:72 ; 4-byte Folded Reload
	s_waitcnt vmcnt(0)
	v_cmp_lt_i32_e32 vcc, v35, v12
	v_cndmask_b32_e32 v60, 0, v60, vcc
	v_cmp_lt_i32_e32 vcc, v38, v12
	v_cndmask_b32_e32 v62, 0, v62, vcc
	;; [unrolled: 2-line block ×4, first 2 shown]
.LBB206_1616:                           ;   in Loop: Header=BB206_809 Depth=1
	s_or_b64 exec, exec, s[22:23]
	buffer_load_dword v12, off, s[0:3], s32 offset:1152 ; 4-byte Folded Reload
	v_mov_b32_e32 v16, 0
	v_mov_b32_e32 v14, 0
	;; [unrolled: 1-line block ×4, first 2 shown]
	s_waitcnt vmcnt(0)
	v_add_co_u32_e32 v0, vcc, v0, v12
	v_addc_co_u32_e32 v1, vcc, 0, v1, vcc
	flat_load_dword v0, v[0:1]
	s_waitcnt vmcnt(0) lgkmcnt(0)
	v_cmp_ne_u16_sdwa s[24:25], v0, v8 src0_sel:BYTE_0 src1_sel:DWORD
	s_and_saveexec_b64 s[22:23], s[24:25]
	s_cbranch_execz .LBB206_1622
; %bb.1617:                             ;   in Loop: Header=BB206_809 Depth=1
	v_bfrev_b32_e32 v14, 1
	v_mov_b32_e32 v15, 0
	v_cmp_ne_u16_sdwa s[26:27], v0, s28 src0_sel:BYTE_0 src1_sel:DWORD
	s_and_saveexec_b64 s[24:25], s[26:27]
	s_cbranch_execz .LBB206_1621
; %bb.1618:                             ;   in Loop: Header=BB206_809 Depth=1
	v_and_b32_e32 v1, 0x7f, v0
	v_mov_b32_e32 v14, 0x7f800001
	v_mov_b32_e32 v15, 0
	v_cmp_ne_u32_e32 vcc, s29, v1
	s_and_saveexec_b64 s[26:27], vcc
	s_cbranch_execz .LBB206_1620
; %bb.1619:                             ;   in Loop: Header=BB206_809 Depth=1
	v_and_b32_e32 v12, 7, v0
	v_lshrrev_b32_e32 v18, 3, v1
	v_cmp_gt_u32_e32 vcc, 8, v1
	v_ffbh_u32_e32 v1, v12
	v_min_u32_e32 v1, 32, v1
	v_subrev_u32_e32 v14, 28, v1
	v_lshlrev_b64 v[14:15], v14, v[0:1]
	v_sub_u32_e32 v1, 29, v1
	v_and_b32_e32 v14, 7, v14
	v_cndmask_b32_e32 v1, v18, v1, vcc
	v_cndmask_b32_e32 v12, v12, v14, vcc
	v_lshlrev_b32_e32 v12, 20, v12
	v_and_b32_sdwa v14, sext(v0), s40 dst_sel:DWORD dst_unused:UNUSED_PAD src0_sel:BYTE_0 src1_sel:DWORD
	v_lshl_add_u32 v1, v1, 23, v27
	v_or3_b32 v14, v14, v1, v12
	v_mov_b32_e32 v15, v8
.LBB206_1620:                           ;   in Loop: Header=BB206_809 Depth=1
	s_or_b64 exec, exec, s[26:27]
.LBB206_1621:                           ;   in Loop: Header=BB206_809 Depth=1
	s_or_b64 exec, exec, s[24:25]
.LBB206_1622:                           ;   in Loop: Header=BB206_809 Depth=1
	s_or_b64 exec, exec, s[22:23]
	v_cmp_ne_u16_sdwa s[24:25], v0, v8 src0_sel:BYTE_1 src1_sel:DWORD
	s_and_saveexec_b64 s[22:23], s[24:25]
	s_cbranch_execz .LBB206_1628
; %bb.1623:                             ;   in Loop: Header=BB206_809 Depth=1
	v_mov_b32_e32 v17, v9
	v_cmp_ne_u16_sdwa s[26:27], v0, s28 src0_sel:BYTE_1 src1_sel:DWORD
	v_mov_b32_e32 v16, v8
	s_and_saveexec_b64 s[24:25], s[26:27]
	s_cbranch_execz .LBB206_1627
; %bb.1624:                             ;   in Loop: Header=BB206_809 Depth=1
	v_and_b32_sdwa v1, v0, s29 dst_sel:DWORD dst_unused:UNUSED_PAD src0_sel:BYTE_1 src1_sel:DWORD
	v_mov_b32_e32 v12, v8
	v_mov_b32_e32 v17, v13
	v_cmp_ne_u32_e32 vcc, s29, v1
	v_mov_b32_e32 v16, v12
	s_and_saveexec_b64 s[26:27], vcc
	s_cbranch_execz .LBB206_1626
; %bb.1625:                             ;   in Loop: Header=BB206_809 Depth=1
	v_mov_b32_e32 v12, 7
	v_and_b32_sdwa v16, v0, v12 dst_sel:DWORD dst_unused:UNUSED_PAD src0_sel:BYTE_1 src1_sel:DWORD
	v_lshrrev_b32_e32 v12, 3, v1
	v_cmp_gt_u32_e32 vcc, 8, v1
	v_ffbh_u32_e32 v1, v16
	v_min_u32_e32 v1, 32, v1
	v_mov_b32_e32 v17, v8
	v_subrev_u32_e32 v18, 28, v1
	v_lshlrev_b64 v[17:18], v18, v[16:17]
	v_sub_u32_e32 v1, 29, v1
	v_and_b32_e32 v17, 7, v17
	v_cndmask_b32_e32 v1, v12, v1, vcc
	v_cndmask_b32_e32 v12, v16, v17, vcc
	v_lshlrev_b32_e32 v16, 16, v0
	v_lshl_add_u32 v1, v1, 23, v27
	v_and_or_b32 v1, v16, s40, v1
	v_lshlrev_b32_e32 v12, 20, v12
	v_or_b32_e32 v17, v1, v12
	v_mov_b32_e32 v16, v8
.LBB206_1626:                           ;   in Loop: Header=BB206_809 Depth=1
	s_or_b64 exec, exec, s[26:27]
.LBB206_1627:                           ;   in Loop: Header=BB206_809 Depth=1
	s_or_b64 exec, exec, s[24:25]
.LBB206_1628:                           ;   in Loop: Header=BB206_809 Depth=1
	s_or_b64 exec, exec, s[22:23]
	v_lshrrev_b32_e32 v1, 16, v0
	v_mov_b32_e32 v20, 0
	v_mov_b32_e32 v18, 0
	;; [unrolled: 1-line block ×4, first 2 shown]
	v_cmp_ne_u16_sdwa s[24:25], v1, v8 src0_sel:BYTE_0 src1_sel:DWORD
	s_and_saveexec_b64 s[22:23], s[24:25]
	s_cbranch_execz .LBB206_1634
; %bb.1629:                             ;   in Loop: Header=BB206_809 Depth=1
	v_bfrev_b32_e32 v18, 1
	v_mov_b32_e32 v19, 0
	v_cmp_ne_u16_sdwa s[26:27], v1, s28 src0_sel:BYTE_0 src1_sel:DWORD
	s_and_saveexec_b64 s[24:25], s[26:27]
	s_cbranch_execz .LBB206_1633
; %bb.1630:                             ;   in Loop: Header=BB206_809 Depth=1
	v_bfe_u32 v12, v0, 16, 7
	v_mov_b32_e32 v18, 0x7f800001
	v_mov_b32_e32 v19, 0
	v_cmp_ne_u32_e32 vcc, s29, v12
	s_and_saveexec_b64 s[26:27], vcc
	s_cbranch_execz .LBB206_1632
; %bb.1631:                             ;   in Loop: Header=BB206_809 Depth=1
	v_and_b32_e32 v26, 7, v1
	v_lshrrev_b32_e32 v27, 3, v12
	v_cmp_gt_u32_e32 vcc, 8, v12
	v_ffbh_u32_e32 v12, v26
	v_min_u32_e32 v12, 32, v12
	v_subrev_u32_e32 v18, 28, v12
	v_lshlrev_b64 v[18:19], v18, v[1:2]
	v_sub_u32_e32 v12, 29, v12
	v_and_b32_e32 v18, 7, v18
	v_cndmask_b32_e32 v12, v27, v12, vcc
	v_bfrev_b32_e32 v27, 60
	v_cndmask_b32_e32 v18, v26, v18, vcc
	v_lshlrev_b32_e32 v18, 20, v18
	v_and_b32_sdwa v1, sext(v1), s40 dst_sel:DWORD dst_unused:UNUSED_PAD src0_sel:BYTE_0 src1_sel:DWORD
	v_lshl_add_u32 v12, v12, 23, v27
	v_or3_b32 v18, v1, v12, v18
	v_mov_b32_e32 v19, v8
.LBB206_1632:                           ;   in Loop: Header=BB206_809 Depth=1
	s_or_b64 exec, exec, s[26:27]
.LBB206_1633:                           ;   in Loop: Header=BB206_809 Depth=1
	s_or_b64 exec, exec, s[24:25]
.LBB206_1634:                           ;   in Loop: Header=BB206_809 Depth=1
	s_or_b64 exec, exec, s[22:23]
	v_cmp_lt_u32_e32 vcc, s41, v0
	s_and_saveexec_b64 s[22:23], vcc
	s_cbranch_execz .LBB206_1640
; %bb.1635:                             ;   in Loop: Header=BB206_809 Depth=1
	v_mov_b32_e32 v21, v9
	v_cmp_ne_u32_sdwa s[26:27], v0, s28 src0_sel:BYTE_3 src1_sel:DWORD
	v_mov_b32_e32 v20, v8
	s_and_saveexec_b64 s[24:25], s[26:27]
	s_cbranch_execz .LBB206_1639
; %bb.1636:                             ;   in Loop: Header=BB206_809 Depth=1
	v_bfe_u32 v1, v0, 24, 7
	v_mov_b32_e32 v12, v8
	v_mov_b32_e32 v21, v13
	v_cmp_ne_u32_e32 vcc, s29, v1
	v_mov_b32_e32 v20, v12
	s_and_saveexec_b64 s[26:27], vcc
	s_cbranch_execz .LBB206_1638
; %bb.1637:                             ;   in Loop: Header=BB206_809 Depth=1
	v_mov_b32_e32 v12, 7
	v_and_b32_sdwa v20, v0, v12 dst_sel:DWORD dst_unused:UNUSED_PAD src0_sel:BYTE_3 src1_sel:DWORD
	v_lshrrev_b32_e32 v12, 3, v1
	v_cmp_gt_u32_e32 vcc, 8, v1
	v_ffbh_u32_e32 v1, v20
	v_min_u32_e32 v1, 32, v1
	v_mov_b32_e32 v21, v8
	v_subrev_u32_e32 v26, 28, v1
	v_lshlrev_b64 v[26:27], v26, v[20:21]
	v_sub_u32_e32 v1, 29, v1
	v_and_b32_e32 v21, 7, v26
	v_bfrev_b32_e32 v27, 60
	v_cndmask_b32_e32 v1, v12, v1, vcc
	v_cndmask_b32_e32 v12, v20, v21, vcc
	v_mov_b32_e32 v20, 24
	v_lshlrev_b32_sdwa v0, v20, v0 dst_sel:DWORD dst_unused:UNUSED_PAD src0_sel:DWORD src1_sel:BYTE_3
	v_lshl_add_u32 v1, v1, 23, v27
	v_and_or_b32 v0, v0, s40, v1
	v_lshlrev_b32_e32 v1, 20, v12
	v_or_b32_e32 v21, v0, v1
	v_mov_b32_e32 v20, v8
.LBB206_1638:                           ;   in Loop: Header=BB206_809 Depth=1
	s_or_b64 exec, exec, s[26:27]
.LBB206_1639:                           ;   in Loop: Header=BB206_809 Depth=1
	s_or_b64 exec, exec, s[24:25]
.LBB206_1640:                           ;   in Loop: Header=BB206_809 Depth=1
	s_or_b64 exec, exec, s[22:23]
	v_or_b32_e32 v0, v17, v15
	v_or_b32_e32 v1, v16, v14
	v_mul_f32_e32 v14, v30, v0
	v_or_b32_e32 v0, v21, v19
	v_or_b32_e32 v12, v20, v18
	v_mul_f32_e32 v1, v30, v1
	v_mul_f32_e32 v12, v30, v12
	;; [unrolled: 1-line block ×3, first 2 shown]
	s_and_saveexec_b64 s[22:23], s[4:5]
	s_cbranch_execz .LBB206_807
; %bb.1641:                             ;   in Loop: Header=BB206_809 Depth=1
	buffer_load_dword v15, off, s[0:3], s32 offset:72 ; 4-byte Folded Reload
	s_waitcnt vmcnt(0)
	v_cmp_lt_i32_e32 vcc, v35, v15
	v_cndmask_b32_e32 v1, 0, v1, vcc
	v_cmp_lt_i32_e32 vcc, v38, v15
	v_cndmask_b32_e32 v14, 0, v14, vcc
	;; [unrolled: 2-line block ×4, first 2 shown]
	s_branch .LBB206_807
.LBB206_1642:
	s_or_b64 exec, exec, s[10:11]
	buffer_load_dword v25, off, s[0:3], s32 offset:1200 ; 4-byte Folded Reload
	buffer_load_dword v9, off, s[0:3], s32 offset:1220 ; 4-byte Folded Reload
	;; [unrolled: 1-line block ×7, first 2 shown]
	v_mov_b32_e32 v0, s20
	v_mov_b32_e32 v1, s21
.LBB206_1643:
	s_or_b64 exec, exec, s[6:7]
	buffer_load_dword v6, off, s[0:3], s32 offset:948 ; 4-byte Folded Reload
	buffer_load_dword v37, off, s[0:3], s32 offset:1168 ; 4-byte Folded Reload
	;; [unrolled: 1-line block ×4, first 2 shown]
	s_waitcnt vmcnt(5)
	v_mov_b32_e32 v12, v4
	ds_bpermute_b32 v4, v25, v4
	v_mov_b32_e32 v31, v16
	buffer_load_dword v16, off, s[0:3], s32 offset:924 ; 4-byte Folded Reload
	s_waitcnt vmcnt(5)
	ds_bpermute_b32 v2, v25, v3
	v_mov_b32_e32 v5, v3
	s_waitcnt lgkmcnt(1)
	v_add_f32_e32 v4, v12, v4
	buffer_load_dword v12, off, s[0:3], s32 offset:940 ; 4-byte Folded Reload
	ds_bpermute_b32 v7, v25, v8
	s_waitcnt lgkmcnt(1)
	v_add_f32_e32 v2, v5, v2
	v_mov_b32_e32 v39, v9
	v_mov_b32_e32 v32, v15
	buffer_load_dword v15, off, s[0:3], s32 offset:916 ; 4-byte Folded Reload
	s_waitcnt lgkmcnt(0)
	v_add_f32_e32 v7, v8, v7
	v_mov_b32_e32 v27, v18
	buffer_load_dword v18, off, s[0:3], s32 offset:892 ; 4-byte Folded Reload
	buffer_load_dword v22, off, s[0:3], s32 offset:876 ; 4-byte Folded Reload
	;; [unrolled: 1-line block ×5, first 2 shown]
	v_mov_b32_e32 v29, v17
	v_mov_b32_e32 v35, v28
	v_lshlrev_b64 v[0:1], 2, v[0:1]
	s_getpc_b64 s[4:5]
	s_add_u32 s4, s4, llvm.amdgcn.dynlds.offset.table@rel32@lo+4
	s_addc_u32 s5, s5, llvm.amdgcn.dynlds.offset.table@rel32@hi+12
	v_mov_b32_e32 v33, v25
	v_add_co_u32_e32 v0, vcc, s4, v0
	v_mov_b32_e32 v30, v29
	s_waitcnt vmcnt(11)
	ds_bpermute_b32 v3, v25, v6
	s_waitcnt vmcnt(10)
	ds_bpermute_b32 v5, v37, v2
	ds_bpermute_b32 v8, v37, v4
	s_waitcnt lgkmcnt(2)
	v_add_f32_e32 v3, v6, v3
	ds_bpermute_b32 v6, v37, v3
	s_waitcnt lgkmcnt(2)
	v_add_f32_e32 v2, v2, v5
	;; [unrolled: 3-line block ×3, first 2 shown]
	s_waitcnt lgkmcnt(1)
	v_add_f32_e32 v3, v3, v6
	ds_bpermute_b32 v6, v9, v3
	ds_bpermute_b32 v9, v37, v7
	s_waitcnt lgkmcnt(2)
	v_add_f32_e32 v2, v2, v5
	ds_bpermute_b32 v5, v25, v10
	s_waitcnt lgkmcnt(2)
	v_add_f32_e32 v3, v3, v6
	;; [unrolled: 3-line block ×3, first 2 shown]
	s_waitcnt lgkmcnt(1)
	v_add_f32_e32 v9, v10, v5
	ds_bpermute_b32 v8, v39, v7
	ds_bpermute_b32 v10, v37, v9
	s_waitcnt lgkmcnt(2)
	v_add_f32_e32 v4, v4, v6
	s_waitcnt vmcnt(6)
	ds_bpermute_b32 v6, v25, v12
	s_waitcnt lgkmcnt(2)
	v_add_f32_e32 v5, v7, v8
	ds_bpermute_b32 v7, v25, v11
	s_waitcnt lgkmcnt(2)
	v_add_f32_e32 v8, v9, v10
	s_waitcnt lgkmcnt(1)
	v_add_f32_e32 v10, v12, v6
	ds_bpermute_b32 v9, v39, v8
	v_mov_b32_e32 v6, v11
	ds_bpermute_b32 v11, v37, v10
	s_waitcnt lgkmcnt(2)
	v_add_f32_e32 v7, v6, v7
	ds_bpermute_b32 v12, v37, v7
	s_waitcnt lgkmcnt(2)
	v_add_f32_e32 v6, v8, v9
	;; [unrolled: 3-line block ×7, first 2 shown]
	s_waitcnt lgkmcnt(1)
	v_add_f32_e32 v11, v13, v14
	ds_bpermute_b32 v12, v39, v11
	s_waitcnt lgkmcnt(1)
	v_add_f32_e32 v13, v16, v9
	buffer_load_dword v16, off, s[0:3], s32 offset:908 ; 4-byte Folded Reload
	s_waitcnt vmcnt(6)
	ds_bpermute_b32 v10, v25, v15
	ds_bpermute_b32 v14, v37, v13
	s_waitcnt lgkmcnt(2)
	v_add_f32_e32 v9, v11, v12
	s_waitcnt lgkmcnt(1)
	v_add_f32_e32 v10, v15, v10
	ds_bpermute_b32 v15, v37, v10
	s_waitcnt lgkmcnt(1)
	v_add_f32_e32 v12, v13, v14
	ds_bpermute_b32 v13, v39, v12
	;; [unrolled: 3-line block ×4, first 2 shown]
	s_waitcnt vmcnt(0)
	ds_bpermute_b32 v11, v25, v16
	s_waitcnt lgkmcnt(0)
	v_add_f32_e32 v16, v16, v11
	ds_bpermute_b32 v17, v37, v16
	v_add_f32_e32 v11, v14, v15
	s_waitcnt lgkmcnt(0)
	v_add_f32_e32 v14, v16, v17
	v_add_f32_e32 v16, v19, v12
	buffer_load_dword v19, off, s[0:3], s32 offset:884 ; 4-byte Folded Reload
	ds_bpermute_b32 v13, v25, v18
	ds_bpermute_b32 v15, v39, v14
	;; [unrolled: 1-line block ×3, first 2 shown]
	s_waitcnt lgkmcnt(2)
	v_add_f32_e32 v13, v18, v13
	ds_bpermute_b32 v18, v37, v13
	s_waitcnt lgkmcnt(2)
	v_add_f32_e32 v12, v14, v15
	s_waitcnt lgkmcnt(1)
	v_add_f32_e32 v15, v16, v17
	ds_bpermute_b32 v16, v39, v15
	s_waitcnt lgkmcnt(1)
	v_add_f32_e32 v17, v13, v18
	ds_bpermute_b32 v18, v39, v17
	;; [unrolled: 3-line block ×3, first 2 shown]
	s_waitcnt vmcnt(0)
	ds_bpermute_b32 v14, v25, v19
	s_waitcnt lgkmcnt(0)
	v_add_f32_e32 v19, v19, v14
	ds_bpermute_b32 v20, v37, v19
	v_add_f32_e32 v14, v17, v18
	s_waitcnt lgkmcnt(0)
	v_add_f32_e32 v17, v19, v20
	v_add_f32_e32 v19, v22, v15
	buffer_load_dword v22, off, s[0:3], s32 offset:860 ; 4-byte Folded Reload
	ds_bpermute_b32 v16, v25, v21
	ds_bpermute_b32 v18, v39, v17
	;; [unrolled: 1-line block ×3, first 2 shown]
	s_waitcnt lgkmcnt(2)
	v_add_f32_e32 v16, v21, v16
	ds_bpermute_b32 v21, v37, v16
	s_waitcnt lgkmcnt(2)
	v_add_f32_e32 v15, v17, v18
	s_waitcnt lgkmcnt(1)
	v_add_f32_e32 v18, v19, v20
	ds_bpermute_b32 v19, v39, v18
	s_waitcnt lgkmcnt(1)
	v_add_f32_e32 v20, v16, v21
	ds_bpermute_b32 v21, v39, v20
	;; [unrolled: 3-line block ×3, first 2 shown]
	s_waitcnt vmcnt(0)
	ds_bpermute_b32 v17, v25, v22
	s_waitcnt lgkmcnt(0)
	v_add_f32_e32 v22, v22, v17
	ds_bpermute_b32 v23, v37, v22
	v_add_f32_e32 v17, v20, v21
	s_waitcnt lgkmcnt(0)
	v_add_f32_e32 v20, v22, v23
	v_add_f32_e32 v22, v26, v18
	buffer_load_dword v26, off, s[0:3], s32 offset:836 ; 4-byte Folded Reload
	ds_bpermute_b32 v21, v39, v20
	ds_bpermute_b32 v23, v37, v22
	s_waitcnt lgkmcnt(1)
	v_add_f32_e32 v18, v20, v21
	s_waitcnt lgkmcnt(0)
	v_add_f32_e32 v21, v22, v23
	ds_bpermute_b32 v22, v39, v21
	s_waitcnt vmcnt(0)
	ds_bpermute_b32 v20, v25, v26
	s_waitcnt lgkmcnt(0)
	v_add_f32_e32 v20, v26, v20
	buffer_load_dword v26, off, s[0:3], s32 offset:828 ; 4-byte Folded Reload
	s_waitcnt vmcnt(0)
	s_barrier
	buffer_load_dword v28, off, s[0:3], s32 offset:812 ; 4-byte Folded Reload
	ds_bpermute_b32 v19, v25, v24
	buffer_load_dword v36, off, s[0:3], s32 offset:796 ; 4-byte Folded Reload
	buffer_load_dword v48, off, s[0:3], s32 offset:788 ; 4-byte Folded Reload
	s_waitcnt lgkmcnt(0)
	v_add_f32_e32 v19, v24, v19
	ds_bpermute_b32 v24, v37, v19
	s_waitcnt lgkmcnt(0)
	v_add_f32_e32 v19, v19, v24
	ds_bpermute_b32 v23, v39, v19
	ds_bpermute_b32 v24, v25, v26
	v_mov_b32_e32 v25, s5
	v_addc_co_u32_e32 v1, vcc, v25, v1, vcc
	ds_bpermute_b32 v25, v37, v20
	global_load_dword v34, v[0:1], off
	v_add_f32_e32 v0, v21, v22
	s_waitcnt lgkmcnt(1)
	v_add_f32_e32 v21, v26, v24
	v_add_f32_e32 v1, v19, v23
	s_waitcnt lgkmcnt(0)
	v_add_f32_e32 v19, v20, v25
	buffer_load_dword v25, off, s[0:3], s32 offset:820 ; 4-byte Folded Reload
	ds_bpermute_b32 v22, v37, v21
	ds_bpermute_b32 v23, v39, v19
	s_waitcnt lgkmcnt(1)
	v_add_f32_e32 v21, v21, v22
	s_waitcnt vmcnt(4)
	ds_bpermute_b32 v22, v33, v28
	ds_bpermute_b32 v24, v39, v21
	s_waitcnt lgkmcnt(2)
	v_add_f32_e32 v19, v19, v23
	s_waitcnt lgkmcnt(1)
	v_add_f32_e32 v22, v28, v22
	buffer_load_dword v28, off, s[0:3], s32 offset:804 ; 4-byte Folded Reload
	ds_bpermute_b32 v23, v37, v22
	s_waitcnt lgkmcnt(0)
	v_add_f32_e32 v22, v22, v23
	s_waitcnt vmcnt(1)
	ds_bpermute_b32 v20, v33, v25
	s_waitcnt lgkmcnt(0)
	v_add_f32_e32 v25, v25, v20
	v_add_f32_e32 v20, v21, v24
	ds_bpermute_b32 v24, v33, v27
	ds_bpermute_b32 v26, v37, v25
	s_waitcnt lgkmcnt(1)
	v_add_f32_e32 v24, v27, v24
	s_waitcnt lgkmcnt(0)
	v_add_f32_e32 v21, v25, v26
	s_waitcnt vmcnt(0)
	ds_bpermute_b32 v23, v33, v28
	ds_bpermute_b32 v27, v37, v24
	;; [unrolled: 1-line block ×4, first 2 shown]
	s_waitcnt lgkmcnt(3)
	v_add_f32_e32 v23, v28, v23
	s_waitcnt lgkmcnt(2)
	v_add_f32_e32 v24, v24, v27
	;; [unrolled: 2-line block ×3, first 2 shown]
	ds_bpermute_b32 v25, v37, v23
	s_waitcnt lgkmcnt(1)
	v_add_f32_e32 v22, v22, v26
	ds_bpermute_b32 v26, v33, v29
	ds_bpermute_b32 v27, v39, v24
	ds_bpermute_b32 v28, v33, v36
	s_waitcnt lgkmcnt(3)
	v_add_f32_e32 v25, v23, v25
	ds_bpermute_b32 v29, v39, v25
	s_waitcnt lgkmcnt(3)
	v_add_f32_e32 v26, v30, v26
	s_waitcnt lgkmcnt(2)
	v_add_f32_e32 v23, v24, v27
	;; [unrolled: 2-line block ×3, first 2 shown]
	ds_bpermute_b32 v30, v37, v26
	ds_bpermute_b32 v28, v37, v27
	s_waitcnt lgkmcnt(2)
	v_add_f32_e32 v24, v25, v29
	v_mov_b32_e32 v36, v31
	s_waitcnt lgkmcnt(1)
	v_add_f32_e32 v25, v26, v30
	s_waitcnt lgkmcnt(0)
	v_add_f32_e32 v27, v27, v28
	ds_bpermute_b32 v28, v33, v31
	ds_bpermute_b32 v26, v33, v32
	;; [unrolled: 1-line block ×4, first 2 shown]
	s_waitcnt lgkmcnt(3)
	v_add_f32_e32 v28, v36, v28
	s_waitcnt lgkmcnt(2)
	v_add_f32_e32 v31, v32, v26
	s_waitcnt lgkmcnt(1)
	v_add_f32_e32 v25, v25, v29
	ds_bpermute_b32 v29, v37, v28
	ds_bpermute_b32 v32, v37, v31
	s_waitcnt lgkmcnt(2)
	v_add_f32_e32 v26, v27, v30
	v_mov_b32_e32 v36, v35
	s_waitcnt lgkmcnt(1)
	v_add_f32_e32 v28, v28, v29
	s_waitcnt lgkmcnt(0)
	v_add_f32_e32 v27, v31, v32
	ds_bpermute_b32 v32, v39, v28
	ds_bpermute_b32 v31, v33, v48
	;; [unrolled: 1-line block ×5, first 2 shown]
	s_waitcnt lgkmcnt(4)
	v_add_f32_e32 v28, v28, v32
	buffer_load_dword v32, off, s[0:3], s32 offset:1208 ; 4-byte Folded Reload
	s_waitcnt lgkmcnt(3)
	v_add_f32_e32 v31, v48, v31
	s_waitcnt lgkmcnt(2)
	v_add_f32_e32 v29, v36, v29
	;; [unrolled: 2-line block ×3, first 2 shown]
	ds_bpermute_b32 v35, v37, v31
	ds_bpermute_b32 v36, v37, v29
	;; [unrolled: 1-line block ×3, first 2 shown]
	s_waitcnt lgkmcnt(3)
	v_add_f32_e32 v27, v27, v30
	s_waitcnt lgkmcnt(2)
	v_add_f32_e32 v31, v31, v35
	ds_bpermute_b32 v35, v39, v31
	s_waitcnt lgkmcnt(1)
	v_add_f32_e32 v33, v33, v37
	v_add_f32_e32 v36, v29, v36
	ds_bpermute_b32 v37, v39, v33
	ds_bpermute_b32 v38, v39, v36
	s_waitcnt lgkmcnt(2)
	v_add_f32_e32 v29, v31, v35
	s_waitcnt lgkmcnt(1)
	v_add_f32_e32 v31, v33, v37
	;; [unrolled: 2-line block ×3, first 2 shown]
	s_waitcnt vmcnt(0)
	v_and_b32_e32 v33, 0x3c7, v32
	v_cmp_eq_u32_e32 vcc, 64, v33
	s_and_saveexec_b64 s[4:5], vcc
	s_cbranch_execz .LBB206_1645
; %bb.1644:
	buffer_load_dword v32, off, s[0:3], s32 offset:1192 ; 4-byte Folded Reload
	s_waitcnt vmcnt(0)
	v_lshrrev_b32_e32 v32, 1, v32
	v_add_u32_e32 v32, v34, v32
	ds_write2_b32 v32, v2, v3 offset1:8
	ds_write2_b32 v32, v4, v5 offset0:16 offset1:24
	ds_write2_b32 v32, v6, v7 offset0:32 offset1:40
	ds_write2_b32 v32, v8, v9 offset0:48 offset1:56
	ds_write2_b32 v32, v10, v11 offset0:64 offset1:72
	ds_write2_b32 v32, v12, v13 offset0:80 offset1:88
	ds_write2_b32 v32, v14, v15 offset0:96 offset1:104
	ds_write2_b32 v32, v16, v17 offset0:112 offset1:120
	ds_write2_b32 v32, v18, v0 offset0:128 offset1:136
	ds_write2_b32 v32, v1, v19 offset0:144 offset1:152
	ds_write2_b32 v32, v20, v21 offset0:160 offset1:168
	ds_write2_b32 v32, v22, v23 offset0:176 offset1:184
	ds_write2_b32 v32, v24, v25 offset0:192 offset1:200
	ds_write2_b32 v32, v26, v27 offset0:208 offset1:216
	ds_write2_b32 v32, v28, v29 offset0:224 offset1:232
	ds_write2_b32 v32, v30, v31 offset0:240 offset1:248
.LBB206_1645:
	s_or_b64 exec, exec, s[4:5]
	buffer_load_dword v32, off, s[0:3], s32 offset:1208 ; 4-byte Folded Reload
	s_waitcnt vmcnt(0) lgkmcnt(0)
	s_barrier
	v_cmp_gt_u32_e32 vcc, 64, v32
	v_lshrrev_b32_e32 v32, 3, v32
	s_and_saveexec_b64 s[4:5], vcc
	s_cbranch_execz .LBB206_1680
; %bb.1646:
	buffer_load_dword v35, off, s[0:3], s32 offset:1184 ; 4-byte Folded Reload
	v_lshl_add_u32 v34, v32, 2, v34
	s_waitcnt vmcnt(0)
	v_cmp_eq_u32_e32 vcc, 0, v35
	s_and_saveexec_b64 s[6:7], vcc
	s_cbranch_execnz .LBB206_1683
; %bb.1647:
	s_or_b64 exec, exec, s[6:7]
	s_and_saveexec_b64 s[6:7], vcc
	s_cbranch_execnz .LBB206_1684
.LBB206_1648:
	s_or_b64 exec, exec, s[6:7]
	s_and_saveexec_b64 s[6:7], vcc
	s_cbranch_execnz .LBB206_1685
.LBB206_1649:
	s_or_b64 exec, exec, s[6:7]
	s_and_saveexec_b64 s[6:7], vcc
	s_cbranch_execnz .LBB206_1686
.LBB206_1650:
	s_or_b64 exec, exec, s[6:7]
	s_and_saveexec_b64 s[6:7], vcc
	s_cbranch_execnz .LBB206_1687
.LBB206_1651:
	s_or_b64 exec, exec, s[6:7]
	s_and_saveexec_b64 s[6:7], vcc
	s_cbranch_execnz .LBB206_1688
.LBB206_1652:
	s_or_b64 exec, exec, s[6:7]
	s_and_saveexec_b64 s[6:7], vcc
	s_cbranch_execnz .LBB206_1689
.LBB206_1653:
	s_or_b64 exec, exec, s[6:7]
	s_and_saveexec_b64 s[6:7], vcc
	s_cbranch_execnz .LBB206_1690
.LBB206_1654:
	s_or_b64 exec, exec, s[6:7]
	s_and_saveexec_b64 s[6:7], vcc
	s_cbranch_execnz .LBB206_1691
.LBB206_1655:
	s_or_b64 exec, exec, s[6:7]
	s_and_saveexec_b64 s[6:7], vcc
	s_cbranch_execnz .LBB206_1692
.LBB206_1656:
	s_or_b64 exec, exec, s[6:7]
	s_and_saveexec_b64 s[6:7], vcc
	s_cbranch_execnz .LBB206_1693
.LBB206_1657:
	s_or_b64 exec, exec, s[6:7]
	s_and_saveexec_b64 s[6:7], vcc
	s_cbranch_execnz .LBB206_1694
.LBB206_1658:
	s_or_b64 exec, exec, s[6:7]
	s_and_saveexec_b64 s[6:7], vcc
	s_cbranch_execnz .LBB206_1695
.LBB206_1659:
	s_or_b64 exec, exec, s[6:7]
	s_and_saveexec_b64 s[6:7], vcc
	s_cbranch_execnz .LBB206_1696
.LBB206_1660:
	s_or_b64 exec, exec, s[6:7]
	s_and_saveexec_b64 s[6:7], vcc
	s_cbranch_execnz .LBB206_1697
.LBB206_1661:
	s_or_b64 exec, exec, s[6:7]
	s_and_saveexec_b64 s[6:7], vcc
	s_cbranch_execnz .LBB206_1698
.LBB206_1662:
	s_or_b64 exec, exec, s[6:7]
	s_and_saveexec_b64 s[6:7], vcc
	s_cbranch_execnz .LBB206_1699
.LBB206_1663:
	s_or_b64 exec, exec, s[6:7]
	s_and_saveexec_b64 s[6:7], vcc
	s_cbranch_execnz .LBB206_1700
.LBB206_1664:
	s_or_b64 exec, exec, s[6:7]
	s_and_saveexec_b64 s[6:7], vcc
	s_cbranch_execnz .LBB206_1701
.LBB206_1665:
	s_or_b64 exec, exec, s[6:7]
	s_and_saveexec_b64 s[6:7], vcc
	s_cbranch_execnz .LBB206_1702
.LBB206_1666:
	s_or_b64 exec, exec, s[6:7]
	s_and_saveexec_b64 s[6:7], vcc
	s_cbranch_execnz .LBB206_1703
.LBB206_1667:
	s_or_b64 exec, exec, s[6:7]
	s_and_saveexec_b64 s[6:7], vcc
	s_cbranch_execnz .LBB206_1704
.LBB206_1668:
	s_or_b64 exec, exec, s[6:7]
	s_and_saveexec_b64 s[6:7], vcc
	s_cbranch_execnz .LBB206_1705
.LBB206_1669:
	s_or_b64 exec, exec, s[6:7]
	s_and_saveexec_b64 s[6:7], vcc
	s_cbranch_execnz .LBB206_1706
.LBB206_1670:
	s_or_b64 exec, exec, s[6:7]
	s_and_saveexec_b64 s[6:7], vcc
	s_cbranch_execnz .LBB206_1707
.LBB206_1671:
	s_or_b64 exec, exec, s[6:7]
	s_and_saveexec_b64 s[6:7], vcc
	s_cbranch_execnz .LBB206_1708
.LBB206_1672:
	s_or_b64 exec, exec, s[6:7]
	s_and_saveexec_b64 s[6:7], vcc
	s_cbranch_execnz .LBB206_1709
.LBB206_1673:
	s_or_b64 exec, exec, s[6:7]
	s_and_saveexec_b64 s[6:7], vcc
	s_cbranch_execnz .LBB206_1710
.LBB206_1674:
	s_or_b64 exec, exec, s[6:7]
	s_and_saveexec_b64 s[6:7], vcc
	s_cbranch_execnz .LBB206_1711
.LBB206_1675:
	s_or_b64 exec, exec, s[6:7]
	s_and_saveexec_b64 s[6:7], vcc
	s_cbranch_execnz .LBB206_1712
.LBB206_1676:
	s_or_b64 exec, exec, s[6:7]
	s_and_saveexec_b64 s[6:7], vcc
	s_cbranch_execnz .LBB206_1713
.LBB206_1677:
	s_or_b64 exec, exec, s[6:7]
	s_and_saveexec_b64 s[6:7], vcc
	s_cbranch_execz .LBB206_1679
.LBB206_1678:
	ds_read_b32 v34, v34 offset:992
	s_waitcnt lgkmcnt(0)
	v_add_f32_e32 v31, v34, v31
.LBB206_1679:
	s_or_b64 exec, exec, s[6:7]
.LBB206_1680:
	s_or_b64 exec, exec, s[4:5]
	v_cmp_eq_u32_e32 vcc, 0, v33
	s_barrier
	s_and_saveexec_b64 s[4:5], vcc
	s_cbranch_execz .LBB206_1682
; %bb.1681:
	buffer_load_dword v34, off, s[0:3], s32 offset:1292 ; 4-byte Folded Reload
	buffer_load_dword v35, off, s[0:3], s32 offset:1288 ; 4-byte Folded Reload
	s_and_b32 s6, 0xffff, s19
	s_cmp_lg_u32 s6, 0
	s_cselect_b64 s[6:7], -1, 0
	s_cmp_lg_u64 s[6:7], 0
	s_addc_u32 s8, s17, 0
	s_mul_i32 s6, s16, s8
	s_mul_i32 s6, s6, s15
	s_lshl_b32 s6, s6, 8
	s_ashr_i32 s7, s6, 31
	s_lshl_b64 s[6:7], s[6:7], 2
	v_mov_b32_e32 v33, s7
	v_lshlrev_b32_e32 v32, 2, v32
	s_waitcnt vmcnt(1)
	v_add_co_u32_e32 v34, vcc, s6, v34
	s_mul_i32 s6, s18, s8
	s_ashr_i32 s7, s6, 31
	s_waitcnt vmcnt(0)
	v_addc_co_u32_e32 v33, vcc, v35, v33, vcc
	s_lshl_b64 s[6:7], s[6:7], 2
	v_add_co_u32_e32 v34, vcc, s6, v34
	s_lshl_b32 s6, s14, 8
	v_mov_b32_e32 v35, s7
	s_ashr_i32 s7, s6, 31
	v_addc_co_u32_e32 v33, vcc, v33, v35, vcc
	s_lshl_b64 s[6:7], s[6:7], 2
	v_mov_b32_e32 v35, s7
	v_add_co_u32_e32 v34, vcc, s6, v34
	v_addc_co_u32_e32 v33, vcc, v33, v35, vcc
	v_add_co_u32_e32 v32, vcc, v34, v32
	v_addc_co_u32_e32 v33, vcc, 0, v33, vcc
	flat_store_dword v[32:33], v2
	flat_store_dword v[32:33], v3 offset:32
	flat_store_dword v[32:33], v4 offset:64
	;; [unrolled: 1-line block ×31, first 2 shown]
.LBB206_1682:
	s_or_b64 exec, exec, s[4:5]
	buffer_load_dword v63, off, s[0:3], s32 ; 4-byte Folded Reload
	buffer_load_dword v62, off, s[0:3], s32 offset:4 ; 4-byte Folded Reload
	buffer_load_dword v61, off, s[0:3], s32 offset:8 ; 4-byte Folded Reload
	;; [unrolled: 1-line block ×15, first 2 shown]
	s_waitcnt vmcnt(0) lgkmcnt(0)
	s_setpc_b64 s[30:31]
.LBB206_1683:
	ds_read_b32 v35, v34
	s_waitcnt lgkmcnt(0)
	v_add_f32_e32 v2, v35, v2
	s_or_b64 exec, exec, s[6:7]
	s_and_saveexec_b64 s[6:7], vcc
	s_cbranch_execz .LBB206_1648
.LBB206_1684:
	ds_read_b32 v35, v34 offset:32
	s_waitcnt lgkmcnt(0)
	v_add_f32_e32 v3, v35, v3
	s_or_b64 exec, exec, s[6:7]
	s_and_saveexec_b64 s[6:7], vcc
	s_cbranch_execz .LBB206_1649
.LBB206_1685:
	ds_read_b32 v35, v34 offset:64
	s_waitcnt lgkmcnt(0)
	v_add_f32_e32 v4, v35, v4
	s_or_b64 exec, exec, s[6:7]
	s_and_saveexec_b64 s[6:7], vcc
	s_cbranch_execz .LBB206_1650
.LBB206_1686:
	ds_read_b32 v35, v34 offset:96
	s_waitcnt lgkmcnt(0)
	v_add_f32_e32 v5, v35, v5
	s_or_b64 exec, exec, s[6:7]
	s_and_saveexec_b64 s[6:7], vcc
	s_cbranch_execz .LBB206_1651
.LBB206_1687:
	ds_read_b32 v35, v34 offset:128
	s_waitcnt lgkmcnt(0)
	v_add_f32_e32 v6, v35, v6
	s_or_b64 exec, exec, s[6:7]
	s_and_saveexec_b64 s[6:7], vcc
	s_cbranch_execz .LBB206_1652
.LBB206_1688:
	ds_read_b32 v35, v34 offset:160
	s_waitcnt lgkmcnt(0)
	v_add_f32_e32 v7, v35, v7
	s_or_b64 exec, exec, s[6:7]
	s_and_saveexec_b64 s[6:7], vcc
	s_cbranch_execz .LBB206_1653
.LBB206_1689:
	ds_read_b32 v35, v34 offset:192
	s_waitcnt lgkmcnt(0)
	v_add_f32_e32 v8, v35, v8
	s_or_b64 exec, exec, s[6:7]
	s_and_saveexec_b64 s[6:7], vcc
	s_cbranch_execz .LBB206_1654
.LBB206_1690:
	ds_read_b32 v35, v34 offset:224
	s_waitcnt lgkmcnt(0)
	v_add_f32_e32 v9, v35, v9
	s_or_b64 exec, exec, s[6:7]
	s_and_saveexec_b64 s[6:7], vcc
	s_cbranch_execz .LBB206_1655
.LBB206_1691:
	ds_read_b32 v35, v34 offset:256
	s_waitcnt lgkmcnt(0)
	v_add_f32_e32 v10, v35, v10
	s_or_b64 exec, exec, s[6:7]
	s_and_saveexec_b64 s[6:7], vcc
	s_cbranch_execz .LBB206_1656
.LBB206_1692:
	ds_read_b32 v35, v34 offset:288
	s_waitcnt lgkmcnt(0)
	v_add_f32_e32 v11, v35, v11
	s_or_b64 exec, exec, s[6:7]
	s_and_saveexec_b64 s[6:7], vcc
	s_cbranch_execz .LBB206_1657
.LBB206_1693:
	ds_read_b32 v35, v34 offset:320
	s_waitcnt lgkmcnt(0)
	v_add_f32_e32 v12, v35, v12
	s_or_b64 exec, exec, s[6:7]
	s_and_saveexec_b64 s[6:7], vcc
	s_cbranch_execz .LBB206_1658
.LBB206_1694:
	ds_read_b32 v35, v34 offset:352
	s_waitcnt lgkmcnt(0)
	v_add_f32_e32 v13, v35, v13
	s_or_b64 exec, exec, s[6:7]
	s_and_saveexec_b64 s[6:7], vcc
	s_cbranch_execz .LBB206_1659
.LBB206_1695:
	ds_read_b32 v35, v34 offset:384
	s_waitcnt lgkmcnt(0)
	v_add_f32_e32 v14, v35, v14
	s_or_b64 exec, exec, s[6:7]
	s_and_saveexec_b64 s[6:7], vcc
	s_cbranch_execz .LBB206_1660
.LBB206_1696:
	ds_read_b32 v35, v34 offset:416
	s_waitcnt lgkmcnt(0)
	v_add_f32_e32 v15, v35, v15
	s_or_b64 exec, exec, s[6:7]
	s_and_saveexec_b64 s[6:7], vcc
	s_cbranch_execz .LBB206_1661
.LBB206_1697:
	ds_read_b32 v35, v34 offset:448
	s_waitcnt lgkmcnt(0)
	v_add_f32_e32 v16, v35, v16
	s_or_b64 exec, exec, s[6:7]
	s_and_saveexec_b64 s[6:7], vcc
	s_cbranch_execz .LBB206_1662
.LBB206_1698:
	ds_read_b32 v35, v34 offset:480
	s_waitcnt lgkmcnt(0)
	v_add_f32_e32 v17, v35, v17
	s_or_b64 exec, exec, s[6:7]
	s_and_saveexec_b64 s[6:7], vcc
	s_cbranch_execz .LBB206_1663
.LBB206_1699:
	ds_read_b32 v35, v34 offset:512
	s_waitcnt lgkmcnt(0)
	v_add_f32_e32 v18, v35, v18
	s_or_b64 exec, exec, s[6:7]
	s_and_saveexec_b64 s[6:7], vcc
	s_cbranch_execz .LBB206_1664
.LBB206_1700:
	ds_read_b32 v35, v34 offset:544
	s_waitcnt lgkmcnt(0)
	v_add_f32_e32 v0, v35, v0
	s_or_b64 exec, exec, s[6:7]
	s_and_saveexec_b64 s[6:7], vcc
	s_cbranch_execz .LBB206_1665
.LBB206_1701:
	ds_read_b32 v35, v34 offset:576
	s_waitcnt lgkmcnt(0)
	v_add_f32_e32 v1, v35, v1
	s_or_b64 exec, exec, s[6:7]
	s_and_saveexec_b64 s[6:7], vcc
	s_cbranch_execz .LBB206_1666
.LBB206_1702:
	ds_read_b32 v35, v34 offset:608
	s_waitcnt lgkmcnt(0)
	v_add_f32_e32 v19, v35, v19
	s_or_b64 exec, exec, s[6:7]
	s_and_saveexec_b64 s[6:7], vcc
	s_cbranch_execz .LBB206_1667
.LBB206_1703:
	ds_read_b32 v35, v34 offset:640
	s_waitcnt lgkmcnt(0)
	v_add_f32_e32 v20, v35, v20
	s_or_b64 exec, exec, s[6:7]
	s_and_saveexec_b64 s[6:7], vcc
	s_cbranch_execz .LBB206_1668
.LBB206_1704:
	ds_read_b32 v35, v34 offset:672
	s_waitcnt lgkmcnt(0)
	v_add_f32_e32 v21, v35, v21
	s_or_b64 exec, exec, s[6:7]
	s_and_saveexec_b64 s[6:7], vcc
	s_cbranch_execz .LBB206_1669
.LBB206_1705:
	ds_read_b32 v35, v34 offset:704
	s_waitcnt lgkmcnt(0)
	v_add_f32_e32 v22, v35, v22
	s_or_b64 exec, exec, s[6:7]
	s_and_saveexec_b64 s[6:7], vcc
	s_cbranch_execz .LBB206_1670
.LBB206_1706:
	ds_read_b32 v35, v34 offset:736
	s_waitcnt lgkmcnt(0)
	v_add_f32_e32 v23, v35, v23
	s_or_b64 exec, exec, s[6:7]
	s_and_saveexec_b64 s[6:7], vcc
	s_cbranch_execz .LBB206_1671
.LBB206_1707:
	ds_read_b32 v35, v34 offset:768
	s_waitcnt lgkmcnt(0)
	v_add_f32_e32 v24, v35, v24
	s_or_b64 exec, exec, s[6:7]
	s_and_saveexec_b64 s[6:7], vcc
	s_cbranch_execz .LBB206_1672
.LBB206_1708:
	ds_read_b32 v35, v34 offset:800
	s_waitcnt lgkmcnt(0)
	v_add_f32_e32 v25, v35, v25
	s_or_b64 exec, exec, s[6:7]
	s_and_saveexec_b64 s[6:7], vcc
	s_cbranch_execz .LBB206_1673
.LBB206_1709:
	ds_read_b32 v35, v34 offset:832
	s_waitcnt lgkmcnt(0)
	v_add_f32_e32 v26, v35, v26
	s_or_b64 exec, exec, s[6:7]
	s_and_saveexec_b64 s[6:7], vcc
	s_cbranch_execz .LBB206_1674
.LBB206_1710:
	ds_read_b32 v35, v34 offset:864
	s_waitcnt lgkmcnt(0)
	v_add_f32_e32 v27, v35, v27
	s_or_b64 exec, exec, s[6:7]
	s_and_saveexec_b64 s[6:7], vcc
	s_cbranch_execz .LBB206_1675
.LBB206_1711:
	ds_read_b32 v35, v34 offset:896
	s_waitcnt lgkmcnt(0)
	v_add_f32_e32 v28, v35, v28
	s_or_b64 exec, exec, s[6:7]
	s_and_saveexec_b64 s[6:7], vcc
	s_cbranch_execz .LBB206_1676
.LBB206_1712:
	ds_read_b32 v35, v34 offset:928
	s_waitcnt lgkmcnt(0)
	v_add_f32_e32 v29, v35, v29
	s_or_b64 exec, exec, s[6:7]
	s_and_saveexec_b64 s[6:7], vcc
	s_cbranch_execz .LBB206_1677
.LBB206_1713:
	ds_read_b32 v35, v34 offset:960
	s_waitcnt lgkmcnt(0)
	v_add_f32_e32 v30, v35, v30
	s_or_b64 exec, exec, s[6:7]
	s_and_saveexec_b64 s[6:7], vcc
	s_cbranch_execnz .LBB206_1678
	s_branch .LBB206_1679
.Lfunc_end206:
	.size	_ZN4vllm22paged_attention_kernelIfhLi256ELi32ELi128ELNS_18Fp8KVCacheDataTypeE1ELb1ELi0EEEvPfS2_PT_PKS3_PKT0_S9_ifPKiSB_iPKfiiiSD_SD_iiiii, .Lfunc_end206-_ZN4vllm22paged_attention_kernelIfhLi256ELi32ELi128ELNS_18Fp8KVCacheDataTypeE1ELb1ELi0EEEvPfS2_PT_PKS3_PKT0_S9_ifPKiSB_iPKfiiiSD_SD_iiiii
                                        ; -- End function
	.set .L_ZN4vllm22paged_attention_kernelIfhLi256ELi32ELi128ELNS_18Fp8KVCacheDataTypeE1ELb1ELi0EEEvPfS2_PT_PKS3_PKT0_S9_ifPKiSB_iPKfiiiSD_SD_iiiii.num_vgpr, 64
	.set .L_ZN4vllm22paged_attention_kernelIfhLi256ELi32ELi128ELNS_18Fp8KVCacheDataTypeE1ELb1ELi0EEEvPfS2_PT_PKS3_PKT0_S9_ifPKiSB_iPKfiiiSD_SD_iiiii.num_agpr, 0
	.set .L_ZN4vllm22paged_attention_kernelIfhLi256ELi32ELi128ELNS_18Fp8KVCacheDataTypeE1ELb1ELi0EEEvPfS2_PT_PKS3_PKT0_S9_ifPKiSB_iPKfiiiSD_SD_iiiii.numbered_sgpr, 45
	.set .L_ZN4vllm22paged_attention_kernelIfhLi256ELi32ELi128ELNS_18Fp8KVCacheDataTypeE1ELb1ELi0EEEvPfS2_PT_PKS3_PKT0_S9_ifPKiSB_iPKfiiiSD_SD_iiiii.num_named_barrier, 0
	.set .L_ZN4vllm22paged_attention_kernelIfhLi256ELi32ELi128ELNS_18Fp8KVCacheDataTypeE1ELb1ELi0EEEvPfS2_PT_PKS3_PKT0_S9_ifPKiSB_iPKfiiiSD_SD_iiiii.private_seg_size, 1320
	.set .L_ZN4vllm22paged_attention_kernelIfhLi256ELi32ELi128ELNS_18Fp8KVCacheDataTypeE1ELb1ELi0EEEvPfS2_PT_PKS3_PKT0_S9_ifPKiSB_iPKfiiiSD_SD_iiiii.uses_vcc, 1
	.set .L_ZN4vllm22paged_attention_kernelIfhLi256ELi32ELi128ELNS_18Fp8KVCacheDataTypeE1ELb1ELi0EEEvPfS2_PT_PKS3_PKT0_S9_ifPKiSB_iPKfiiiSD_SD_iiiii.uses_flat_scratch, 0
	.set .L_ZN4vllm22paged_attention_kernelIfhLi256ELi32ELi128ELNS_18Fp8KVCacheDataTypeE1ELb1ELi0EEEvPfS2_PT_PKS3_PKT0_S9_ifPKiSB_iPKfiiiSD_SD_iiiii.has_dyn_sized_stack, 0
	.set .L_ZN4vllm22paged_attention_kernelIfhLi256ELi32ELi128ELNS_18Fp8KVCacheDataTypeE1ELb1ELi0EEEvPfS2_PT_PKS3_PKT0_S9_ifPKiSB_iPKfiiiSD_SD_iiiii.has_recursion, 0
	.set .L_ZN4vllm22paged_attention_kernelIfhLi256ELi32ELi128ELNS_18Fp8KVCacheDataTypeE1ELb1ELi0EEEvPfS2_PT_PKS3_PKT0_S9_ifPKiSB_iPKfiiiSD_SD_iiiii.has_indirect_call, 0
	.section	.AMDGPU.csdata,"",@progbits
; Function info:
; codeLenInByte = 81916
; TotalNumSgprs: 49
; NumVgprs: 64
; ScratchSize: 1320
; MemoryBound: 0
	.section	.text._ZN4vllm25paged_attention_v1_kernelIfhLi256ELi32ELi128ELNS_18Fp8KVCacheDataTypeE1ELb1EEEvPT_PKS2_PKT0_S8_ifPKiSA_iPKfiiiSC_SC_iiiii,"axG",@progbits,_ZN4vllm25paged_attention_v1_kernelIfhLi256ELi32ELi128ELNS_18Fp8KVCacheDataTypeE1ELb1EEEvPT_PKS2_PKT0_S8_ifPKiSA_iPKfiiiSC_SC_iiiii,comdat
	.protected	_ZN4vllm25paged_attention_v1_kernelIfhLi256ELi32ELi128ELNS_18Fp8KVCacheDataTypeE1ELb1EEEvPT_PKS2_PKT0_S8_ifPKiSA_iPKfiiiSC_SC_iiiii ; -- Begin function _ZN4vllm25paged_attention_v1_kernelIfhLi256ELi32ELi128ELNS_18Fp8KVCacheDataTypeE1ELb1EEEvPT_PKS2_PKT0_S8_ifPKiSA_iPKfiiiSC_SC_iiiii
	.globl	_ZN4vllm25paged_attention_v1_kernelIfhLi256ELi32ELi128ELNS_18Fp8KVCacheDataTypeE1ELb1EEEvPT_PKS2_PKT0_S8_ifPKiSA_iPKfiiiSC_SC_iiiii
	.p2align	8
	.type	_ZN4vllm25paged_attention_v1_kernelIfhLi256ELi32ELi128ELNS_18Fp8KVCacheDataTypeE1ELb1EEEvPT_PKS2_PKT0_S8_ifPKiSA_iPKfiiiSC_SC_iiiii,@function
_ZN4vllm25paged_attention_v1_kernelIfhLi256ELi32ELi128ELNS_18Fp8KVCacheDataTypeE1ELb1EEEvPT_PKS2_PKT0_S8_ifPKiSA_iPKfiiiSC_SC_iiiii: ; @_ZN4vllm25paged_attention_v1_kernelIfhLi256ELi32ELi128ELNS_18Fp8KVCacheDataTypeE1ELb1EEEvPT_PKS2_PKT0_S8_ifPKiSA_iPKfiiiSC_SC_iiiii
; %bb.0:
	s_load_dwordx8 s[16:23], s[4:5], 0x0
	s_load_dwordx4 s[36:39], s[4:5], 0x20
	s_load_dwordx2 s[10:11], s[4:5], 0x30
	s_load_dword s33, s[4:5], 0x38
	s_load_dwordx2 s[34:35], s[4:5], 0x40
	s_load_dwordx8 s[24:31], s[4:5], 0x48
	s_waitcnt lgkmcnt(0)
	s_load_dword s27, s[4:5], 0x78
	s_load_dwordx4 s[40:43], s[4:5], 0x68
	s_add_u32 s0, s0, s9
	s_addc_u32 s1, s1, 0
	s_mov_b32 s14, s8
	s_add_u32 s8, s4, 0x80
	s_addc_u32 s9, s5, 0
	s_getpc_b64 s[4:5]
	s_add_u32 s4, s4, _ZN4vllm22paged_attention_kernelIfhLi256ELi32ELi128ELNS_18Fp8KVCacheDataTypeE1ELb1ELi0EEEvPfS2_PT_PKS3_PKT0_S9_ifPKiSB_iPKfiiiSD_SD_iiiii@rel32@lo+4
	s_addc_u32 s5, s5, _ZN4vllm22paged_attention_kernelIfhLi256ELi32ELi128ELNS_18Fp8KVCacheDataTypeE1ELb1ELi0EEEvPfS2_PT_PKS3_PKT0_S9_ifPKiSB_iPKfiiiSD_SD_iiiii@rel32@hi+12
	s_mov_b32 s12, s6
	s_mov_b32 s13, s7
	;; [unrolled: 1-line block ×3, first 2 shown]
	v_mov_b32_e32 v31, v0
	v_mov_b32_e32 v0, s16
	;; [unrolled: 1-line block ×25, first 2 shown]
	s_waitcnt lgkmcnt(0)
	v_mov_b32_e32 v24, s40
	v_mov_b32_e32 v25, s41
	;; [unrolled: 1-line block ×5, first 2 shown]
	s_mov_b32 s32, 0
	s_swappc_b64 s[30:31], s[4:5]
	s_endpgm
	.section	.rodata,"a",@progbits
	.p2align	6, 0x0
	.amdhsa_kernel _ZN4vllm25paged_attention_v1_kernelIfhLi256ELi32ELi128ELNS_18Fp8KVCacheDataTypeE1ELb1EEEvPT_PKS2_PKT0_S8_ifPKiSA_iPKfiiiSC_SC_iiiii
		.amdhsa_group_segment_fixed_size 1040
		.amdhsa_private_segment_fixed_size 1320
		.amdhsa_kernarg_size 384
		.amdhsa_user_sgpr_count 6
		.amdhsa_user_sgpr_private_segment_buffer 1
		.amdhsa_user_sgpr_dispatch_ptr 0
		.amdhsa_user_sgpr_queue_ptr 0
		.amdhsa_user_sgpr_kernarg_segment_ptr 1
		.amdhsa_user_sgpr_dispatch_id 0
		.amdhsa_user_sgpr_flat_scratch_init 0
		.amdhsa_user_sgpr_private_segment_size 0
		.amdhsa_uses_dynamic_stack 0
		.amdhsa_system_sgpr_private_segment_wavefront_offset 1
		.amdhsa_system_sgpr_workgroup_id_x 1
		.amdhsa_system_sgpr_workgroup_id_y 1
		.amdhsa_system_sgpr_workgroup_id_z 1
		.amdhsa_system_sgpr_workgroup_info 0
		.amdhsa_system_vgpr_workitem_id 0
		.amdhsa_next_free_vgpr 64
		.amdhsa_next_free_sgpr 45
		.amdhsa_reserve_vcc 1
		.amdhsa_reserve_flat_scratch 0
		.amdhsa_float_round_mode_32 0
		.amdhsa_float_round_mode_16_64 0
		.amdhsa_float_denorm_mode_32 3
		.amdhsa_float_denorm_mode_16_64 3
		.amdhsa_dx10_clamp 1
		.amdhsa_ieee_mode 1
		.amdhsa_fp16_overflow 0
		.amdhsa_exception_fp_ieee_invalid_op 0
		.amdhsa_exception_fp_denorm_src 0
		.amdhsa_exception_fp_ieee_div_zero 0
		.amdhsa_exception_fp_ieee_overflow 0
		.amdhsa_exception_fp_ieee_underflow 0
		.amdhsa_exception_fp_ieee_inexact 0
		.amdhsa_exception_int_div_zero 0
	.end_amdhsa_kernel
	.section	.text._ZN4vllm25paged_attention_v1_kernelIfhLi256ELi32ELi128ELNS_18Fp8KVCacheDataTypeE1ELb1EEEvPT_PKS2_PKT0_S8_ifPKiSA_iPKfiiiSC_SC_iiiii,"axG",@progbits,_ZN4vllm25paged_attention_v1_kernelIfhLi256ELi32ELi128ELNS_18Fp8KVCacheDataTypeE1ELb1EEEvPT_PKS2_PKT0_S8_ifPKiSA_iPKfiiiSC_SC_iiiii,comdat
.Lfunc_end207:
	.size	_ZN4vllm25paged_attention_v1_kernelIfhLi256ELi32ELi128ELNS_18Fp8KVCacheDataTypeE1ELb1EEEvPT_PKS2_PKT0_S8_ifPKiSA_iPKfiiiSC_SC_iiiii, .Lfunc_end207-_ZN4vllm25paged_attention_v1_kernelIfhLi256ELi32ELi128ELNS_18Fp8KVCacheDataTypeE1ELb1EEEvPT_PKS2_PKT0_S8_ifPKiSA_iPKfiiiSC_SC_iiiii
                                        ; -- End function
	.set _ZN4vllm25paged_attention_v1_kernelIfhLi256ELi32ELi128ELNS_18Fp8KVCacheDataTypeE1ELb1EEEvPT_PKS2_PKT0_S8_ifPKiSA_iPKfiiiSC_SC_iiiii.num_vgpr, max(32, .L_ZN4vllm22paged_attention_kernelIfhLi256ELi32ELi128ELNS_18Fp8KVCacheDataTypeE1ELb1ELi0EEEvPfS2_PT_PKS3_PKT0_S9_ifPKiSB_iPKfiiiSD_SD_iiiii.num_vgpr)
	.set _ZN4vllm25paged_attention_v1_kernelIfhLi256ELi32ELi128ELNS_18Fp8KVCacheDataTypeE1ELb1EEEvPT_PKS2_PKT0_S8_ifPKiSA_iPKfiiiSC_SC_iiiii.num_agpr, max(0, .L_ZN4vllm22paged_attention_kernelIfhLi256ELi32ELi128ELNS_18Fp8KVCacheDataTypeE1ELb1ELi0EEEvPfS2_PT_PKS3_PKT0_S9_ifPKiSB_iPKfiiiSD_SD_iiiii.num_agpr)
	.set _ZN4vllm25paged_attention_v1_kernelIfhLi256ELi32ELi128ELNS_18Fp8KVCacheDataTypeE1ELb1EEEvPT_PKS2_PKT0_S8_ifPKiSA_iPKfiiiSC_SC_iiiii.numbered_sgpr, max(44, .L_ZN4vllm22paged_attention_kernelIfhLi256ELi32ELi128ELNS_18Fp8KVCacheDataTypeE1ELb1ELi0EEEvPfS2_PT_PKS3_PKT0_S9_ifPKiSB_iPKfiiiSD_SD_iiiii.numbered_sgpr)
	.set _ZN4vllm25paged_attention_v1_kernelIfhLi256ELi32ELi128ELNS_18Fp8KVCacheDataTypeE1ELb1EEEvPT_PKS2_PKT0_S8_ifPKiSA_iPKfiiiSC_SC_iiiii.num_named_barrier, max(0, .L_ZN4vllm22paged_attention_kernelIfhLi256ELi32ELi128ELNS_18Fp8KVCacheDataTypeE1ELb1ELi0EEEvPfS2_PT_PKS3_PKT0_S9_ifPKiSB_iPKfiiiSD_SD_iiiii.num_named_barrier)
	.set _ZN4vllm25paged_attention_v1_kernelIfhLi256ELi32ELi128ELNS_18Fp8KVCacheDataTypeE1ELb1EEEvPT_PKS2_PKT0_S8_ifPKiSA_iPKfiiiSC_SC_iiiii.private_seg_size, 0+max(.L_ZN4vllm22paged_attention_kernelIfhLi256ELi32ELi128ELNS_18Fp8KVCacheDataTypeE1ELb1ELi0EEEvPfS2_PT_PKS3_PKT0_S9_ifPKiSB_iPKfiiiSD_SD_iiiii.private_seg_size)
	.set _ZN4vllm25paged_attention_v1_kernelIfhLi256ELi32ELi128ELNS_18Fp8KVCacheDataTypeE1ELb1EEEvPT_PKS2_PKT0_S8_ifPKiSA_iPKfiiiSC_SC_iiiii.uses_vcc, or(1, .L_ZN4vllm22paged_attention_kernelIfhLi256ELi32ELi128ELNS_18Fp8KVCacheDataTypeE1ELb1ELi0EEEvPfS2_PT_PKS3_PKT0_S9_ifPKiSB_iPKfiiiSD_SD_iiiii.uses_vcc)
	.set _ZN4vllm25paged_attention_v1_kernelIfhLi256ELi32ELi128ELNS_18Fp8KVCacheDataTypeE1ELb1EEEvPT_PKS2_PKT0_S8_ifPKiSA_iPKfiiiSC_SC_iiiii.uses_flat_scratch, or(0, .L_ZN4vllm22paged_attention_kernelIfhLi256ELi32ELi128ELNS_18Fp8KVCacheDataTypeE1ELb1ELi0EEEvPfS2_PT_PKS3_PKT0_S9_ifPKiSB_iPKfiiiSD_SD_iiiii.uses_flat_scratch)
	.set _ZN4vllm25paged_attention_v1_kernelIfhLi256ELi32ELi128ELNS_18Fp8KVCacheDataTypeE1ELb1EEEvPT_PKS2_PKT0_S8_ifPKiSA_iPKfiiiSC_SC_iiiii.has_dyn_sized_stack, or(0, .L_ZN4vllm22paged_attention_kernelIfhLi256ELi32ELi128ELNS_18Fp8KVCacheDataTypeE1ELb1ELi0EEEvPfS2_PT_PKS3_PKT0_S9_ifPKiSB_iPKfiiiSD_SD_iiiii.has_dyn_sized_stack)
	.set _ZN4vllm25paged_attention_v1_kernelIfhLi256ELi32ELi128ELNS_18Fp8KVCacheDataTypeE1ELb1EEEvPT_PKS2_PKT0_S8_ifPKiSA_iPKfiiiSC_SC_iiiii.has_recursion, or(0, .L_ZN4vllm22paged_attention_kernelIfhLi256ELi32ELi128ELNS_18Fp8KVCacheDataTypeE1ELb1ELi0EEEvPfS2_PT_PKS3_PKT0_S9_ifPKiSB_iPKfiiiSD_SD_iiiii.has_recursion)
	.set _ZN4vllm25paged_attention_v1_kernelIfhLi256ELi32ELi128ELNS_18Fp8KVCacheDataTypeE1ELb1EEEvPT_PKS2_PKT0_S8_ifPKiSA_iPKfiiiSC_SC_iiiii.has_indirect_call, or(0, .L_ZN4vllm22paged_attention_kernelIfhLi256ELi32ELi128ELNS_18Fp8KVCacheDataTypeE1ELb1ELi0EEEvPfS2_PT_PKS3_PKT0_S9_ifPKiSB_iPKfiiiSD_SD_iiiii.has_indirect_call)
	.section	.AMDGPU.csdata,"",@progbits
; Kernel info:
; codeLenInByte = 260
; TotalNumSgprs: 49
; NumVgprs: 64
; ScratchSize: 1320
; MemoryBound: 0
; FloatMode: 240
; IeeeMode: 1
; LDSByteSize: 1040 bytes/workgroup (compile time only)
; SGPRBlocks: 6
; VGPRBlocks: 15
; NumSGPRsForWavesPerEU: 49
; NumVGPRsForWavesPerEU: 64
; Occupancy: 4
; WaveLimiterHint : 1
; COMPUTE_PGM_RSRC2:SCRATCH_EN: 1
; COMPUTE_PGM_RSRC2:USER_SGPR: 6
; COMPUTE_PGM_RSRC2:TRAP_HANDLER: 0
; COMPUTE_PGM_RSRC2:TGID_X_EN: 1
; COMPUTE_PGM_RSRC2:TGID_Y_EN: 1
; COMPUTE_PGM_RSRC2:TGID_Z_EN: 1
; COMPUTE_PGM_RSRC2:TIDIG_COMP_CNT: 0
	.section	.text._ZN4vllm25paged_attention_v1_kernelIfhLi32ELi32ELi128ELNS_18Fp8KVCacheDataTypeE1ELb0EEEvPT_PKS2_PKT0_S8_ifPKiSA_iPKfiiiSC_SC_iiiii,"axG",@progbits,_ZN4vllm25paged_attention_v1_kernelIfhLi32ELi32ELi128ELNS_18Fp8KVCacheDataTypeE1ELb0EEEvPT_PKS2_PKT0_S8_ifPKiSA_iPKfiiiSC_SC_iiiii,comdat
	.protected	_ZN4vllm25paged_attention_v1_kernelIfhLi32ELi32ELi128ELNS_18Fp8KVCacheDataTypeE1ELb0EEEvPT_PKS2_PKT0_S8_ifPKiSA_iPKfiiiSC_SC_iiiii ; -- Begin function _ZN4vllm25paged_attention_v1_kernelIfhLi32ELi32ELi128ELNS_18Fp8KVCacheDataTypeE1ELb0EEEvPT_PKS2_PKT0_S8_ifPKiSA_iPKfiiiSC_SC_iiiii
	.globl	_ZN4vllm25paged_attention_v1_kernelIfhLi32ELi32ELi128ELNS_18Fp8KVCacheDataTypeE1ELb0EEEvPT_PKS2_PKT0_S8_ifPKiSA_iPKfiiiSC_SC_iiiii
	.p2align	8
	.type	_ZN4vllm25paged_attention_v1_kernelIfhLi32ELi32ELi128ELNS_18Fp8KVCacheDataTypeE1ELb0EEEvPT_PKS2_PKT0_S8_ifPKiSA_iPKfiiiSC_SC_iiiii,@function
_ZN4vllm25paged_attention_v1_kernelIfhLi32ELi32ELi128ELNS_18Fp8KVCacheDataTypeE1ELb0EEEvPT_PKS2_PKT0_S8_ifPKiSA_iPKfiiiSC_SC_iiiii: ; @_ZN4vllm25paged_attention_v1_kernelIfhLi32ELi32ELi128ELNS_18Fp8KVCacheDataTypeE1ELb0EEEvPT_PKS2_PKT0_S8_ifPKiSA_iPKfiiiSC_SC_iiiii
; %bb.0:
	s_mov_b64 s[50:51], s[2:3]
	s_mov_b64 s[48:49], s[0:1]
	s_add_u32 s48, s48, s9
	s_load_dword s9, s[4:5], 0x80
	s_load_dwordx2 s[0:1], s[4:5], 0x30
	s_load_dwordx2 s[30:31], s[4:5], 0x20
	s_addc_u32 s49, s49, 0
	s_mov_b32 s10, s7
	s_ashr_i32 s11, s7, 31
	s_lshl_b64 s[2:3], s[10:11], 2
	s_waitcnt lgkmcnt(0)
	s_add_u32 s0, s0, s2
	s_addc_u32 s1, s1, s3
	s_abs_i32 s2, s30
	v_mov_b32_e32 v54, v0
	v_cvt_f32_u32_e32 v0, s2
	s_sub_i32 s11, 0, s2
	s_abs_i32 s7, s9
	s_xor_b32 s3, s9, s30
	v_rcp_iflag_f32_e32 v0, v0
	s_ashr_i32 s3, s3, 31
	s_mov_b32 s33, 0
	v_mul_f32_e32 v0, 0x4f7ffffe, v0
	v_cvt_u32_f32_e32 v0, v0
	v_readfirstlane_b32 s12, v0
	s_mul_i32 s11, s11, s12
	s_mul_hi_u32 s11, s12, s11
	s_add_i32 s12, s12, s11
	s_mul_hi_u32 s11, s7, s12
	s_mul_i32 s12, s11, s2
	s_sub_i32 s7, s7, s12
	s_add_i32 s12, s11, 1
	s_sub_i32 s13, s7, s2
	s_cmp_ge_u32 s7, s2
	s_cselect_b32 s11, s12, s11
	s_cselect_b32 s7, s13, s7
	s_add_i32 s12, s11, 1
	s_cmp_ge_u32 s7, s2
	s_cselect_b32 s2, s12, s11
	s_xor_b32 s2, s2, s3
	s_sub_i32 s12, s2, s3
	s_abs_i32 s11, s12
	v_cvt_f32_u32_e32 v0, s11
	s_load_dwordx2 s[2:3], s[4:5], 0x40
	s_sub_i32 s7, 0, s11
	s_abs_i32 s16, s6
	v_rcp_iflag_f32_e32 v0, v0
	v_mul_f32_e32 v0, 0x4f7ffffe, v0
	v_cvt_u32_f32_e32 v0, v0
	v_readfirstlane_b32 s13, v0
	s_mul_i32 s7, s7, s13
	s_mul_hi_u32 s7, s13, s7
	s_add_i32 s13, s13, s7
	s_waitcnt lgkmcnt(0)
	s_cmp_eq_u64 s[2:3], 0
	s_mul_hi_u32 s17, s16, s13
	s_cbranch_scc1 .LBB208_2
; %bb.1:
	s_ashr_i32 s7, s6, 31
	s_lshl_b64 s[14:15], s[6:7], 2
	s_add_u32 s2, s2, s14
	s_addc_u32 s3, s3, s15
	s_load_dword s33, s[2:3], 0x0
.LBB208_2:
	s_load_dword s30, s[0:1], 0x0
	s_ashr_i32 s3, s12, 31
	s_load_dwordx4 s[12:15], s[4:5], 0x48
	s_ashr_i32 s2, s6, 31
	v_and_b32_e32 v0, 1, v54
	s_lshl_b32 s20, s6, 5
	v_cmp_gt_u32_e32 vcc, 16, v54
	v_lshlrev_b32_e32 v10, 2, v54
	s_and_saveexec_b64 s[0:1], vcc
	s_cbranch_execz .LBB208_4
; %bb.3:
	s_load_dwordx2 s[6:7], s[4:5], 0x8
	s_waitcnt lgkmcnt(0)
	s_mul_i32 s18, s12, s10
	s_ashr_i32 s19, s18, 31
	s_lshl_b64 s[18:19], s[18:19], 2
	v_lshlrev_b32_e32 v1, 3, v54
	s_add_u32 s12, s6, s18
	s_addc_u32 s15, s7, s19
	s_ashr_i32 s21, s20, 31
	s_lshl_b64 s[6:7], s[20:21], 2
	s_add_u32 s6, s12, s6
	s_addc_u32 s7, s15, s7
	global_load_dwordx2 v[1:2], v1, s[6:7]
	v_and_b32_e32 v3, 0xff8, v10
	v_lshl_add_u32 v3, v0, 6, v3
	s_waitcnt vmcnt(0)
	ds_write_b64 v3, v[1:2]
.LBB208_4:
	s_or_b64 exec, exec, s[0:1]
	s_waitcnt lgkmcnt(0)
	s_add_i32 s1, s30, 31
	s_ashr_i32 s6, s1, 31
	s_lshr_b32 s6, s6, 27
	s_add_i32 s1, s1, s6
	s_ashr_i32 s21, s1, 5
	s_xor_b32 s1, s2, s3
	s_mul_i32 s2, s17, s11
	s_sub_i32 s2, s16, s2
	s_add_i32 s3, s17, 1
	s_sub_i32 s6, s2, s11
	s_load_dwordx2 s[24:25], s[4:5], 0x28
	s_load_dword s0, s[4:5], 0x38
	s_cmp_ge_u32 s2, s11
	s_cselect_b32 s3, s3, s17
	s_cselect_b32 s2, s6, s2
	s_add_i32 s6, s3, 1
	s_cmp_ge_u32 s2, s11
	s_cselect_b32 s2, s6, s3
	v_lshrrev_b32_e32 v61, 6, v54
	s_xor_b32 s2, s2, s1
	s_waitcnt lgkmcnt(0)
	s_mul_i32 s26, s0, s10
	s_sub_i32 s12, s2, s1
	s_ashr_i32 s27, s26, 31
	v_cmp_gt_i32_e64 s[0:1], s21, v61
	v_cmp_le_i32_e32 vcc, s21, v61
	v_mbcnt_lo_u32_b32 v1, -1, 0
	s_barrier
                                        ; implicit-def: $vgpr12
                                        ; implicit-def: $vgpr7
                                        ; implicit-def: $vgpr8
	s_and_saveexec_b64 s[2:3], vcc
	s_xor_b64 s[2:3], exec, s[2:3]
; %bb.5:
	v_mbcnt_hi_u32_b32 v12, -1, v1
	v_and_b32_e32 v7, 64, v12
	v_add_u32_e32 v8, 64, v7
                                        ; implicit-def: $vgpr0
                                        ; implicit-def: $vgpr1
; %bb.6:
	s_or_saveexec_b64 s[6:7], s[2:3]
	s_load_dwordx2 s[22:23], s[4:5], 0x0
	s_load_dwordx2 s[28:29], s[4:5], 0x18
	s_load_dword s11, s[4:5], 0x88
	s_load_dwordx4 s[16:19], s[4:5], 0x58
	v_mov_b32_e32 v60, 0xff7fffff
	s_mul_i32 s12, s12, s14
	v_lshrrev_b32_e32 v11, 4, v54
	s_xor_b64 exec, exec, s[6:7]
	s_cbranch_execz .LBB208_108
; %bb.7:
	s_load_dwordx2 s[2:3], s[4:5], 0x10
	s_ashr_i32 s4, s12, 31
	v_bfe_u32 v2, v54, 1, 5
	v_lshlrev_b32_e32 v3, 4, v2
	v_mbcnt_hi_u32_b32 v6, -1, v1
	s_waitcnt lgkmcnt(0)
	s_add_u32 s2, s2, s12
	s_addc_u32 s3, s3, s4
	v_mov_b32_e32 v4, s3
	v_add_co_u32_e32 v3, vcc, s2, v3
	v_and_b32_e32 v7, 64, v6
	v_addc_co_u32_e32 v4, vcc, 0, v4, vcc
	v_xor_b32_e32 v1, 1, v6
	buffer_store_dword v7, off, s[48:51], 0 offset:24 ; 4-byte Folded Spill
	v_add_u32_e32 v7, 64, v7
	v_lshlrev_b32_e32 v5, 1, v0
	v_cmp_lt_i32_e32 vcc, v1, v7
	v_lshlrev_b32_e32 v13, 6, v0
	v_cndmask_b32_e32 v1, v6, v1, vcc
	v_cmp_eq_u32_e32 vcc, 0, v0
	v_add_co_u32_e64 v0, s[4:5], v3, v5
	v_lshlrev_b32_e32 v59, 2, v1
	v_addc_co_u32_e64 v1, s[4:5], 0, v4, s[4:5]
	buffer_store_dword v10, off, s[48:51], 0 offset:12 ; 4-byte Folded Spill
	buffer_store_dword v54, off, s[48:51], 0 offset:8 ; 4-byte Folded Spill
	s_load_dword s39, s[16:17], 0x0
	buffer_store_dword v7, off, s[48:51], 0 offset:28 ; 4-byte Folded Spill
	buffer_store_dword v6, off, s[48:51], 0 offset:20 ; 4-byte Folded Spill
	buffer_store_dword v0, off, s[48:51], 0 ; 4-byte Folded Spill
	s_nop 0
	buffer_store_dword v1, off, s[48:51], 0 offset:4 ; 4-byte Folded Spill
	s_sub_i32 s41, 1, s30
	v_lshlrev_b32_e32 v0, 2, v2
	s_lshl_b64 s[4:5], s[26:27], 2
	v_lshl_or_b32 v0, v61, 7, v0
	s_add_u32 s4, s24, s4
	v_add_u32_e32 v63, 0x90, v0
	v_and_b32_e32 v0, 60, v11
	s_addc_u32 s5, s25, s5
	buffer_store_dword v11, off, s[48:51], 0 offset:16 ; 4-byte Folded Spill
	v_mov_b32_e32 v1, s5
	v_add_co_u32_e64 v21, s[4:5], s4, v0
	v_lshl_or_b32 v62, v61, 5, v2
	v_addc_co_u32_e64 v22, s[4:5], 0, v1, s[4:5]
	ds_read_b128 v[1:4], v13
	ds_read_b128 v[5:8], v13 offset:16
	ds_read_b128 v[9:12], v13 offset:32
	;; [unrolled: 1-line block ×3, first 2 shown]
	s_mov_b32 s38, s13
	v_mov_b32_e32 v17, 0
	v_cmp_neq_f32_e64 s[2:3], s33, 0
	s_waitcnt lgkmcnt(0)
	s_mov_b32 s40, s39
	v_mov_b32_e32 v60, 0xff7fffff
	s_mov_b64 s[14:15], 0
	s_movk_i32 s42, 0x80
	s_movk_i32 s43, 0x7f
	s_brev_b32 s44, 1
	v_bfrev_b32_e32 v18, 1
	v_mov_b32_e32 v58, v61
	v_mov_b32_e32 v24, 0x7f800001
	s_branch .LBB208_9
.LBB208_8:                              ;   in Loop: Header=BB208_9 Depth=1
	s_or_b64 exec, exec, s[16:17]
	v_add_u32_e32 v58, 2, v58
	v_cmp_le_i32_e64 s[4:5], s21, v58
	s_or_b64 s[14:15], s[4:5], s[14:15]
	v_add_co_u32_e64 v21, s[4:5], 8, v21
	v_add_u32_e32 v62, 64, v62
	v_add_u32_e32 v63, 0x100, v63
	v_addc_co_u32_e64 v22, s[4:5], 0, v22, s[4:5]
	s_andn2_b64 exec, exec, s[14:15]
	s_cbranch_execz .LBB208_107
.LBB208_9:                              ; =>This Inner Loop Header: Depth=1
	global_load_dword v19, v[21:22], off
	s_waitcnt lgkmcnt(0)
	buffer_load_dword v25, off, s[48:51], 0 ; 4-byte Folded Reload
	buffer_load_dword v26, off, s[48:51], 0 offset:4 ; 4-byte Folded Reload
	v_mov_b32_e32 v27, 0
	v_mov_b32_e32 v28, 0
	s_waitcnt vmcnt(0)
	v_mad_i64_i32 v[33:34], s[4:5], v19, s38, v[25:26]
	v_mov_b32_e32 v25, 0
	v_mov_b32_e32 v26, 0
	global_load_ushort v19, v[33:34], off
	s_waitcnt vmcnt(0)
	v_and_b32_e32 v29, 0xffff, v19
	v_cmp_ne_u16_sdwa s[4:5], v19, v17 src0_sel:BYTE_0 src1_sel:DWORD
	s_and_saveexec_b64 s[16:17], s[4:5]
	s_cbranch_execz .LBB208_15
; %bb.10:                               ;   in Loop: Header=BB208_9 Depth=1
	v_bfrev_b32_e32 v25, 1
	v_mov_b32_e32 v26, 0
	v_cmp_ne_u16_sdwa s[4:5], v29, s42 src0_sel:BYTE_0 src1_sel:DWORD
	s_and_saveexec_b64 s[34:35], s[4:5]
	s_cbranch_execz .LBB208_14
; %bb.11:                               ;   in Loop: Header=BB208_9 Depth=1
	v_and_b32_e32 v23, 0x7f, v29
	v_mov_b32_e32 v25, 0x7f800001
	v_mov_b32_e32 v26, 0
	v_cmp_ne_u32_e64 s[4:5], s43, v23
	s_and_saveexec_b64 s[36:37], s[4:5]
	s_cbranch_execz .LBB208_13
; %bb.12:                               ;   in Loop: Header=BB208_9 Depth=1
	v_and_b32_e32 v19, 7, v29
	v_ffbh_u32_e32 v25, v19
	v_min_u32_e32 v30, 32, v25
	v_subrev_u32_e32 v25, 28, v30
	v_lshlrev_b64 v[25:26], v25, v[29:30]
	v_lshrrev_b32_e32 v20, 3, v23
	v_sub_u32_e32 v26, 29, v30
	v_and_b32_e32 v25, 7, v25
	v_cmp_gt_u32_e64 s[4:5], 8, v23
	v_cndmask_b32_e64 v20, v20, v26, s[4:5]
	v_cndmask_b32_e64 v19, v19, v25, s[4:5]
	v_bfrev_b32_e32 v0, 60
	v_lshlrev_b32_e32 v19, 20, v19
	v_and_b32_sdwa v23, sext(v29), s44 dst_sel:DWORD dst_unused:UNUSED_PAD src0_sel:BYTE_0 src1_sel:DWORD
	v_lshl_add_u32 v20, v20, 23, v0
	v_or3_b32 v25, v23, v20, v19
	v_mov_b32_e32 v26, v17
.LBB208_13:                             ;   in Loop: Header=BB208_9 Depth=1
	s_or_b64 exec, exec, s[36:37]
.LBB208_14:                             ;   in Loop: Header=BB208_9 Depth=1
	s_or_b64 exec, exec, s[34:35]
.LBB208_15:                             ;   in Loop: Header=BB208_9 Depth=1
	s_or_b64 exec, exec, s[16:17]
	v_cmp_ne_u16_sdwa s[4:5], v29, v17 src0_sel:BYTE_1 src1_sel:DWORD
	s_and_saveexec_b64 s[16:17], s[4:5]
	s_cbranch_execz .LBB208_21
; %bb.16:                               ;   in Loop: Header=BB208_9 Depth=1
	v_mov_b32_e32 v28, v18
	v_cmp_ne_u16_sdwa s[4:5], v29, s42 src0_sel:BYTE_1 src1_sel:DWORD
	v_mov_b32_e32 v27, v17
	s_and_saveexec_b64 s[34:35], s[4:5]
	s_cbranch_execz .LBB208_20
; %bb.17:                               ;   in Loop: Header=BB208_9 Depth=1
	v_and_b32_sdwa v30, v29, s43 dst_sel:DWORD dst_unused:UNUSED_PAD src0_sel:BYTE_1 src1_sel:DWORD
	v_mov_b32_e32 v23, v17
	v_mov_b32_e32 v28, v24
	v_cmp_ne_u32_e64 s[4:5], s43, v30
	v_mov_b32_e32 v27, v23
	s_and_saveexec_b64 s[36:37], s[4:5]
	s_cbranch_execz .LBB208_19
; %bb.18:                               ;   in Loop: Header=BB208_9 Depth=1
	v_mov_b32_e32 v0, 7
	v_and_b32_sdwa v27, v29, v0 dst_sel:DWORD dst_unused:UNUSED_PAD src0_sel:BYTE_1 src1_sel:DWORD
	v_ffbh_u32_e32 v20, v27
	v_min_u32_e32 v20, 32, v20
	v_mov_b32_e32 v28, v17
	v_subrev_u32_e32 v23, 28, v20
	v_lshlrev_b64 v[31:32], v23, v[27:28]
	v_lshrrev_b32_e32 v19, 3, v30
	v_sub_u32_e32 v20, 29, v20
	v_cmp_gt_u32_e64 s[4:5], 8, v30
	v_and_b32_e32 v23, 7, v31
	v_cndmask_b32_e64 v19, v19, v20, s[4:5]
	v_bfrev_b32_e32 v0, 60
	v_cndmask_b32_e64 v20, v27, v23, s[4:5]
	v_lshlrev_b32_e32 v23, 16, v29
	v_lshl_add_u32 v19, v19, 23, v0
	v_and_or_b32 v19, v23, s44, v19
	v_lshlrev_b32_e32 v20, 20, v20
	v_or_b32_e32 v28, v19, v20
	v_mov_b32_e32 v27, v17
.LBB208_19:                             ;   in Loop: Header=BB208_9 Depth=1
	s_or_b64 exec, exec, s[36:37]
.LBB208_20:                             ;   in Loop: Header=BB208_9 Depth=1
	s_or_b64 exec, exec, s[34:35]
.LBB208_21:                             ;   in Loop: Header=BB208_9 Depth=1
	s_or_b64 exec, exec, s[16:17]
	global_load_ushort v19, v[33:34], off offset:4
	v_mov_b32_e32 v31, 0
	v_mov_b32_e32 v29, 0
	;; [unrolled: 1-line block ×4, first 2 shown]
	s_waitcnt vmcnt(0)
	v_and_b32_e32 v35, 0xffff, v19
	v_cmp_ne_u16_sdwa s[4:5], v19, v17 src0_sel:BYTE_0 src1_sel:DWORD
	s_and_saveexec_b64 s[16:17], s[4:5]
	s_cbranch_execz .LBB208_27
; %bb.22:                               ;   in Loop: Header=BB208_9 Depth=1
	v_bfrev_b32_e32 v29, 1
	v_mov_b32_e32 v30, 0
	v_cmp_ne_u16_sdwa s[4:5], v35, s42 src0_sel:BYTE_0 src1_sel:DWORD
	s_and_saveexec_b64 s[34:35], s[4:5]
	s_cbranch_execz .LBB208_26
; %bb.23:                               ;   in Loop: Header=BB208_9 Depth=1
	v_and_b32_e32 v23, 0x7f, v35
	v_mov_b32_e32 v29, 0x7f800001
	v_mov_b32_e32 v30, 0
	v_cmp_ne_u32_e64 s[4:5], s43, v23
	s_and_saveexec_b64 s[36:37], s[4:5]
	s_cbranch_execz .LBB208_25
; %bb.24:                               ;   in Loop: Header=BB208_9 Depth=1
	v_and_b32_e32 v19, 7, v35
	v_ffbh_u32_e32 v29, v19
	v_min_u32_e32 v36, 32, v29
	v_subrev_u32_e32 v29, 28, v36
	v_lshlrev_b64 v[29:30], v29, v[35:36]
	v_lshrrev_b32_e32 v20, 3, v23
	v_sub_u32_e32 v30, 29, v36
	v_and_b32_e32 v29, 7, v29
	v_cmp_gt_u32_e64 s[4:5], 8, v23
	v_cndmask_b32_e64 v20, v20, v30, s[4:5]
	v_cndmask_b32_e64 v19, v19, v29, s[4:5]
	v_bfrev_b32_e32 v0, 60
	v_lshlrev_b32_e32 v19, 20, v19
	v_and_b32_sdwa v23, sext(v35), s44 dst_sel:DWORD dst_unused:UNUSED_PAD src0_sel:BYTE_0 src1_sel:DWORD
	v_lshl_add_u32 v20, v20, 23, v0
	v_or3_b32 v29, v23, v20, v19
	v_mov_b32_e32 v30, v17
.LBB208_25:                             ;   in Loop: Header=BB208_9 Depth=1
	s_or_b64 exec, exec, s[36:37]
.LBB208_26:                             ;   in Loop: Header=BB208_9 Depth=1
	s_or_b64 exec, exec, s[34:35]
.LBB208_27:                             ;   in Loop: Header=BB208_9 Depth=1
	s_or_b64 exec, exec, s[16:17]
	v_cmp_ne_u16_sdwa s[4:5], v35, v17 src0_sel:BYTE_1 src1_sel:DWORD
	s_and_saveexec_b64 s[16:17], s[4:5]
	s_cbranch_execz .LBB208_33
; %bb.28:                               ;   in Loop: Header=BB208_9 Depth=1
	v_mov_b32_e32 v32, v18
	v_cmp_ne_u16_sdwa s[4:5], v35, s42 src0_sel:BYTE_1 src1_sel:DWORD
	v_mov_b32_e32 v31, v17
	s_and_saveexec_b64 s[34:35], s[4:5]
	s_cbranch_execz .LBB208_32
; %bb.29:                               ;   in Loop: Header=BB208_9 Depth=1
	v_and_b32_sdwa v36, v35, s43 dst_sel:DWORD dst_unused:UNUSED_PAD src0_sel:BYTE_1 src1_sel:DWORD
	v_mov_b32_e32 v23, v17
	v_mov_b32_e32 v32, v24
	v_cmp_ne_u32_e64 s[4:5], s43, v36
	v_mov_b32_e32 v31, v23
	s_and_saveexec_b64 s[36:37], s[4:5]
	s_cbranch_execz .LBB208_31
; %bb.30:                               ;   in Loop: Header=BB208_9 Depth=1
	v_mov_b32_e32 v0, 7
	v_and_b32_sdwa v31, v35, v0 dst_sel:DWORD dst_unused:UNUSED_PAD src0_sel:BYTE_1 src1_sel:DWORD
	v_ffbh_u32_e32 v20, v31
	v_min_u32_e32 v20, 32, v20
	v_mov_b32_e32 v32, v17
	v_subrev_u32_e32 v23, 28, v20
	v_lshlrev_b64 v[37:38], v23, v[31:32]
	v_lshrrev_b32_e32 v19, 3, v36
	v_sub_u32_e32 v20, 29, v20
	v_cmp_gt_u32_e64 s[4:5], 8, v36
	v_and_b32_e32 v23, 7, v37
	v_cndmask_b32_e64 v19, v19, v20, s[4:5]
	v_bfrev_b32_e32 v0, 60
	v_cndmask_b32_e64 v20, v31, v23, s[4:5]
	v_lshlrev_b32_e32 v23, 16, v35
	v_lshl_add_u32 v19, v19, 23, v0
	v_and_or_b32 v19, v23, s44, v19
	v_lshlrev_b32_e32 v20, 20, v20
	v_or_b32_e32 v32, v19, v20
	v_mov_b32_e32 v31, v17
.LBB208_31:                             ;   in Loop: Header=BB208_9 Depth=1
	s_or_b64 exec, exec, s[36:37]
.LBB208_32:                             ;   in Loop: Header=BB208_9 Depth=1
	s_or_b64 exec, exec, s[34:35]
.LBB208_33:                             ;   in Loop: Header=BB208_9 Depth=1
	s_or_b64 exec, exec, s[16:17]
	global_load_ushort v19, v[33:34], off offset:8
	v_mov_b32_e32 v37, 0
	v_mov_b32_e32 v35, 0
	;; [unrolled: 1-line block ×4, first 2 shown]
	s_waitcnt vmcnt(0)
	v_and_b32_e32 v39, 0xffff, v19
	v_cmp_ne_u16_sdwa s[4:5], v19, v17 src0_sel:BYTE_0 src1_sel:DWORD
	s_and_saveexec_b64 s[16:17], s[4:5]
	s_cbranch_execz .LBB208_39
; %bb.34:                               ;   in Loop: Header=BB208_9 Depth=1
	v_bfrev_b32_e32 v35, 1
	v_mov_b32_e32 v36, 0
	v_cmp_ne_u16_sdwa s[4:5], v39, s42 src0_sel:BYTE_0 src1_sel:DWORD
	s_and_saveexec_b64 s[34:35], s[4:5]
	s_cbranch_execz .LBB208_38
; %bb.35:                               ;   in Loop: Header=BB208_9 Depth=1
	v_and_b32_e32 v23, 0x7f, v39
	v_mov_b32_e32 v35, 0x7f800001
	v_mov_b32_e32 v36, 0
	v_cmp_ne_u32_e64 s[4:5], s43, v23
	s_and_saveexec_b64 s[36:37], s[4:5]
	s_cbranch_execz .LBB208_37
; %bb.36:                               ;   in Loop: Header=BB208_9 Depth=1
	v_and_b32_e32 v19, 7, v39
	v_ffbh_u32_e32 v35, v19
	v_min_u32_e32 v40, 32, v35
	v_subrev_u32_e32 v35, 28, v40
	v_lshlrev_b64 v[35:36], v35, v[39:40]
	v_lshrrev_b32_e32 v20, 3, v23
	v_sub_u32_e32 v36, 29, v40
	v_and_b32_e32 v35, 7, v35
	v_cmp_gt_u32_e64 s[4:5], 8, v23
	v_cndmask_b32_e64 v20, v20, v36, s[4:5]
	v_cndmask_b32_e64 v19, v19, v35, s[4:5]
	v_bfrev_b32_e32 v0, 60
	v_lshlrev_b32_e32 v19, 20, v19
	v_and_b32_sdwa v23, sext(v39), s44 dst_sel:DWORD dst_unused:UNUSED_PAD src0_sel:BYTE_0 src1_sel:DWORD
	v_lshl_add_u32 v20, v20, 23, v0
	v_or3_b32 v35, v23, v20, v19
	v_mov_b32_e32 v36, v17
.LBB208_37:                             ;   in Loop: Header=BB208_9 Depth=1
	s_or_b64 exec, exec, s[36:37]
.LBB208_38:                             ;   in Loop: Header=BB208_9 Depth=1
	s_or_b64 exec, exec, s[34:35]
.LBB208_39:                             ;   in Loop: Header=BB208_9 Depth=1
	s_or_b64 exec, exec, s[16:17]
	v_cmp_ne_u16_sdwa s[4:5], v39, v17 src0_sel:BYTE_1 src1_sel:DWORD
	s_and_saveexec_b64 s[16:17], s[4:5]
	s_cbranch_execz .LBB208_45
; %bb.40:                               ;   in Loop: Header=BB208_9 Depth=1
	v_mov_b32_e32 v38, v18
	v_cmp_ne_u16_sdwa s[4:5], v39, s42 src0_sel:BYTE_1 src1_sel:DWORD
	v_mov_b32_e32 v37, v17
	s_and_saveexec_b64 s[34:35], s[4:5]
	s_cbranch_execz .LBB208_44
; %bb.41:                               ;   in Loop: Header=BB208_9 Depth=1
	v_and_b32_sdwa v40, v39, s43 dst_sel:DWORD dst_unused:UNUSED_PAD src0_sel:BYTE_1 src1_sel:DWORD
	v_mov_b32_e32 v23, v17
	v_mov_b32_e32 v38, v24
	v_cmp_ne_u32_e64 s[4:5], s43, v40
	v_mov_b32_e32 v37, v23
	s_and_saveexec_b64 s[36:37], s[4:5]
	s_cbranch_execz .LBB208_43
; %bb.42:                               ;   in Loop: Header=BB208_9 Depth=1
	v_mov_b32_e32 v0, 7
	v_and_b32_sdwa v37, v39, v0 dst_sel:DWORD dst_unused:UNUSED_PAD src0_sel:BYTE_1 src1_sel:DWORD
	v_ffbh_u32_e32 v20, v37
	v_min_u32_e32 v20, 32, v20
	v_mov_b32_e32 v38, v17
	v_subrev_u32_e32 v23, 28, v20
	v_lshlrev_b64 v[41:42], v23, v[37:38]
	v_lshrrev_b32_e32 v19, 3, v40
	v_sub_u32_e32 v20, 29, v20
	v_cmp_gt_u32_e64 s[4:5], 8, v40
	v_and_b32_e32 v23, 7, v41
	v_cndmask_b32_e64 v19, v19, v20, s[4:5]
	v_bfrev_b32_e32 v0, 60
	v_cndmask_b32_e64 v20, v37, v23, s[4:5]
	v_lshlrev_b32_e32 v23, 16, v39
	v_lshl_add_u32 v19, v19, 23, v0
	v_and_or_b32 v19, v23, s44, v19
	v_lshlrev_b32_e32 v20, 20, v20
	v_or_b32_e32 v38, v19, v20
	v_mov_b32_e32 v37, v17
.LBB208_43:                             ;   in Loop: Header=BB208_9 Depth=1
	s_or_b64 exec, exec, s[36:37]
.LBB208_44:                             ;   in Loop: Header=BB208_9 Depth=1
	s_or_b64 exec, exec, s[34:35]
.LBB208_45:                             ;   in Loop: Header=BB208_9 Depth=1
	s_or_b64 exec, exec, s[16:17]
	global_load_ushort v19, v[33:34], off offset:12
	v_mov_b32_e32 v41, 0
	v_mov_b32_e32 v39, 0
	;; [unrolled: 1-line block ×4, first 2 shown]
	s_waitcnt vmcnt(0)
	v_and_b32_e32 v43, 0xffff, v19
	v_cmp_ne_u16_sdwa s[4:5], v19, v17 src0_sel:BYTE_0 src1_sel:DWORD
	s_and_saveexec_b64 s[16:17], s[4:5]
	s_cbranch_execz .LBB208_51
; %bb.46:                               ;   in Loop: Header=BB208_9 Depth=1
	v_bfrev_b32_e32 v39, 1
	v_mov_b32_e32 v40, 0
	v_cmp_ne_u16_sdwa s[4:5], v43, s42 src0_sel:BYTE_0 src1_sel:DWORD
	s_and_saveexec_b64 s[34:35], s[4:5]
	s_cbranch_execz .LBB208_50
; %bb.47:                               ;   in Loop: Header=BB208_9 Depth=1
	v_and_b32_e32 v23, 0x7f, v43
	v_mov_b32_e32 v39, 0x7f800001
	v_mov_b32_e32 v40, 0
	v_cmp_ne_u32_e64 s[4:5], s43, v23
	s_and_saveexec_b64 s[36:37], s[4:5]
	s_cbranch_execz .LBB208_49
; %bb.48:                               ;   in Loop: Header=BB208_9 Depth=1
	v_and_b32_e32 v19, 7, v43
	v_ffbh_u32_e32 v39, v19
	v_min_u32_e32 v44, 32, v39
	v_subrev_u32_e32 v39, 28, v44
	v_lshlrev_b64 v[39:40], v39, v[43:44]
	v_lshrrev_b32_e32 v20, 3, v23
	v_sub_u32_e32 v40, 29, v44
	v_and_b32_e32 v39, 7, v39
	v_cmp_gt_u32_e64 s[4:5], 8, v23
	v_cndmask_b32_e64 v20, v20, v40, s[4:5]
	v_cndmask_b32_e64 v19, v19, v39, s[4:5]
	v_bfrev_b32_e32 v0, 60
	v_lshlrev_b32_e32 v19, 20, v19
	v_and_b32_sdwa v23, sext(v43), s44 dst_sel:DWORD dst_unused:UNUSED_PAD src0_sel:BYTE_0 src1_sel:DWORD
	v_lshl_add_u32 v20, v20, 23, v0
	v_or3_b32 v39, v23, v20, v19
	v_mov_b32_e32 v40, v17
.LBB208_49:                             ;   in Loop: Header=BB208_9 Depth=1
	s_or_b64 exec, exec, s[36:37]
.LBB208_50:                             ;   in Loop: Header=BB208_9 Depth=1
	s_or_b64 exec, exec, s[34:35]
.LBB208_51:                             ;   in Loop: Header=BB208_9 Depth=1
	s_or_b64 exec, exec, s[16:17]
	v_cmp_ne_u16_sdwa s[4:5], v43, v17 src0_sel:BYTE_1 src1_sel:DWORD
	s_and_saveexec_b64 s[16:17], s[4:5]
	s_cbranch_execz .LBB208_57
; %bb.52:                               ;   in Loop: Header=BB208_9 Depth=1
	v_mov_b32_e32 v42, v18
	v_cmp_ne_u16_sdwa s[4:5], v43, s42 src0_sel:BYTE_1 src1_sel:DWORD
	v_mov_b32_e32 v41, v17
	s_and_saveexec_b64 s[34:35], s[4:5]
	s_cbranch_execz .LBB208_56
; %bb.53:                               ;   in Loop: Header=BB208_9 Depth=1
	v_and_b32_sdwa v44, v43, s43 dst_sel:DWORD dst_unused:UNUSED_PAD src0_sel:BYTE_1 src1_sel:DWORD
	v_mov_b32_e32 v23, v17
	v_mov_b32_e32 v42, v24
	v_cmp_ne_u32_e64 s[4:5], s43, v44
	v_mov_b32_e32 v41, v23
	s_and_saveexec_b64 s[36:37], s[4:5]
	s_cbranch_execz .LBB208_55
; %bb.54:                               ;   in Loop: Header=BB208_9 Depth=1
	v_mov_b32_e32 v0, 7
	v_and_b32_sdwa v41, v43, v0 dst_sel:DWORD dst_unused:UNUSED_PAD src0_sel:BYTE_1 src1_sel:DWORD
	v_ffbh_u32_e32 v20, v41
	v_min_u32_e32 v20, 32, v20
	v_mov_b32_e32 v42, v17
	v_subrev_u32_e32 v23, 28, v20
	v_lshlrev_b64 v[45:46], v23, v[41:42]
	v_lshrrev_b32_e32 v19, 3, v44
	v_sub_u32_e32 v20, 29, v20
	v_cmp_gt_u32_e64 s[4:5], 8, v44
	v_and_b32_e32 v23, 7, v45
	v_cndmask_b32_e64 v19, v19, v20, s[4:5]
	v_bfrev_b32_e32 v0, 60
	v_cndmask_b32_e64 v20, v41, v23, s[4:5]
	v_lshlrev_b32_e32 v23, 16, v43
	v_lshl_add_u32 v19, v19, 23, v0
	v_and_or_b32 v19, v23, s44, v19
	v_lshlrev_b32_e32 v20, 20, v20
	v_or_b32_e32 v42, v19, v20
	v_mov_b32_e32 v41, v17
.LBB208_55:                             ;   in Loop: Header=BB208_9 Depth=1
	s_or_b64 exec, exec, s[36:37]
.LBB208_56:                             ;   in Loop: Header=BB208_9 Depth=1
	s_or_b64 exec, exec, s[34:35]
.LBB208_57:                             ;   in Loop: Header=BB208_9 Depth=1
	s_or_b64 exec, exec, s[16:17]
	global_load_ushort v19, v[33:34], off offset:512
	v_mov_b32_e32 v45, 0
	v_mov_b32_e32 v43, 0
	;; [unrolled: 1-line block ×4, first 2 shown]
	s_waitcnt vmcnt(0)
	v_and_b32_e32 v47, 0xffff, v19
	v_cmp_ne_u16_sdwa s[4:5], v19, v17 src0_sel:BYTE_0 src1_sel:DWORD
	s_and_saveexec_b64 s[16:17], s[4:5]
	s_cbranch_execz .LBB208_63
; %bb.58:                               ;   in Loop: Header=BB208_9 Depth=1
	v_bfrev_b32_e32 v43, 1
	v_mov_b32_e32 v44, 0
	v_cmp_ne_u16_sdwa s[4:5], v47, s42 src0_sel:BYTE_0 src1_sel:DWORD
	s_and_saveexec_b64 s[34:35], s[4:5]
	s_cbranch_execz .LBB208_62
; %bb.59:                               ;   in Loop: Header=BB208_9 Depth=1
	v_and_b32_e32 v23, 0x7f, v47
	v_mov_b32_e32 v43, 0x7f800001
	v_mov_b32_e32 v44, 0
	v_cmp_ne_u32_e64 s[4:5], s43, v23
	s_and_saveexec_b64 s[36:37], s[4:5]
	s_cbranch_execz .LBB208_61
; %bb.60:                               ;   in Loop: Header=BB208_9 Depth=1
	v_and_b32_e32 v19, 7, v47
	v_lshrrev_b32_e32 v20, 3, v23
	v_cmp_gt_u32_e64 s[4:5], 8, v23
	v_ffbh_u32_e32 v23, v19
	v_min_u32_e32 v23, 32, v23
	v_subrev_u32_e32 v43, 28, v23
	v_lshlrev_b64 v[43:44], v43, v[47:48]
	v_sub_u32_e32 v23, 29, v23
	v_and_b32_e32 v43, 7, v43
	v_cndmask_b32_e64 v20, v20, v23, s[4:5]
	v_cndmask_b32_e64 v19, v19, v43, s[4:5]
	v_bfrev_b32_e32 v0, 60
	v_lshlrev_b32_e32 v19, 20, v19
	v_and_b32_sdwa v23, sext(v47), s44 dst_sel:DWORD dst_unused:UNUSED_PAD src0_sel:BYTE_0 src1_sel:DWORD
	v_lshl_add_u32 v20, v20, 23, v0
	v_or3_b32 v43, v23, v20, v19
	v_mov_b32_e32 v44, v17
.LBB208_61:                             ;   in Loop: Header=BB208_9 Depth=1
	s_or_b64 exec, exec, s[36:37]
.LBB208_62:                             ;   in Loop: Header=BB208_9 Depth=1
	s_or_b64 exec, exec, s[34:35]
.LBB208_63:                             ;   in Loop: Header=BB208_9 Depth=1
	s_or_b64 exec, exec, s[16:17]
	v_cmp_ne_u16_sdwa s[4:5], v47, v17 src0_sel:BYTE_1 src1_sel:DWORD
	s_and_saveexec_b64 s[16:17], s[4:5]
	s_cbranch_execz .LBB208_69
; %bb.64:                               ;   in Loop: Header=BB208_9 Depth=1
	v_mov_b32_e32 v46, v18
	v_cmp_ne_u16_sdwa s[4:5], v47, s42 src0_sel:BYTE_1 src1_sel:DWORD
	v_mov_b32_e32 v45, v17
	s_and_saveexec_b64 s[34:35], s[4:5]
	s_cbranch_execz .LBB208_68
; %bb.65:                               ;   in Loop: Header=BB208_9 Depth=1
	v_and_b32_sdwa v48, v47, s43 dst_sel:DWORD dst_unused:UNUSED_PAD src0_sel:BYTE_1 src1_sel:DWORD
	v_mov_b32_e32 v23, v17
	v_mov_b32_e32 v46, v24
	v_cmp_ne_u32_e64 s[4:5], s43, v48
	v_mov_b32_e32 v45, v23
	s_and_saveexec_b64 s[36:37], s[4:5]
	s_cbranch_execz .LBB208_67
; %bb.66:                               ;   in Loop: Header=BB208_9 Depth=1
	v_mov_b32_e32 v0, 7
	v_and_b32_sdwa v45, v47, v0 dst_sel:DWORD dst_unused:UNUSED_PAD src0_sel:BYTE_1 src1_sel:DWORD
	v_ffbh_u32_e32 v20, v45
	v_min_u32_e32 v20, 32, v20
	v_mov_b32_e32 v46, v17
	v_subrev_u32_e32 v23, 28, v20
	v_lshrrev_b32_e32 v19, 3, v48
	v_cmp_gt_u32_e64 s[4:5], 8, v48
	v_lshlrev_b64 v[48:49], v23, v[45:46]
	v_sub_u32_e32 v20, 29, v20
	v_and_b32_e32 v23, 7, v48
	v_cndmask_b32_e64 v19, v19, v20, s[4:5]
	v_bfrev_b32_e32 v0, 60
	v_cndmask_b32_e64 v20, v45, v23, s[4:5]
	v_lshlrev_b32_e32 v23, 16, v47
	v_lshl_add_u32 v19, v19, 23, v0
	v_and_or_b32 v19, v23, s44, v19
	v_lshlrev_b32_e32 v20, 20, v20
	v_or_b32_e32 v46, v19, v20
	v_mov_b32_e32 v45, v17
.LBB208_67:                             ;   in Loop: Header=BB208_9 Depth=1
	s_or_b64 exec, exec, s[36:37]
.LBB208_68:                             ;   in Loop: Header=BB208_9 Depth=1
	s_or_b64 exec, exec, s[34:35]
.LBB208_69:                             ;   in Loop: Header=BB208_9 Depth=1
	s_or_b64 exec, exec, s[16:17]
	global_load_ushort v19, v[33:34], off offset:516
	v_mov_b32_e32 v49, 0
	v_mov_b32_e32 v47, 0
	v_mov_b32_e32 v50, 0
	v_mov_b32_e32 v48, 0
	s_waitcnt vmcnt(0)
	v_and_b32_e32 v51, 0xffff, v19
	v_cmp_ne_u16_sdwa s[4:5], v19, v17 src0_sel:BYTE_0 src1_sel:DWORD
	s_and_saveexec_b64 s[16:17], s[4:5]
	s_cbranch_execz .LBB208_75
; %bb.70:                               ;   in Loop: Header=BB208_9 Depth=1
	v_bfrev_b32_e32 v47, 1
	v_mov_b32_e32 v48, 0
	v_cmp_ne_u16_sdwa s[4:5], v51, s42 src0_sel:BYTE_0 src1_sel:DWORD
	s_and_saveexec_b64 s[34:35], s[4:5]
	s_cbranch_execz .LBB208_74
; %bb.71:                               ;   in Loop: Header=BB208_9 Depth=1
	v_and_b32_e32 v23, 0x7f, v51
	v_mov_b32_e32 v47, 0x7f800001
	v_mov_b32_e32 v48, 0
	v_cmp_ne_u32_e64 s[4:5], s43, v23
	s_and_saveexec_b64 s[36:37], s[4:5]
	s_cbranch_execz .LBB208_73
; %bb.72:                               ;   in Loop: Header=BB208_9 Depth=1
	v_and_b32_e32 v19, 7, v51
	v_lshrrev_b32_e32 v20, 3, v23
	v_cmp_gt_u32_e64 s[4:5], 8, v23
	v_ffbh_u32_e32 v23, v19
	v_min_u32_e32 v23, 32, v23
	v_subrev_u32_e32 v47, 28, v23
	v_lshlrev_b64 v[47:48], v47, v[51:52]
	v_sub_u32_e32 v23, 29, v23
	v_and_b32_e32 v47, 7, v47
	v_cndmask_b32_e64 v20, v20, v23, s[4:5]
	v_cndmask_b32_e64 v19, v19, v47, s[4:5]
	v_bfrev_b32_e32 v0, 60
	v_lshlrev_b32_e32 v19, 20, v19
	v_and_b32_sdwa v23, sext(v51), s44 dst_sel:DWORD dst_unused:UNUSED_PAD src0_sel:BYTE_0 src1_sel:DWORD
	v_lshl_add_u32 v20, v20, 23, v0
	v_or3_b32 v47, v23, v20, v19
	v_mov_b32_e32 v48, v17
.LBB208_73:                             ;   in Loop: Header=BB208_9 Depth=1
	s_or_b64 exec, exec, s[36:37]
.LBB208_74:                             ;   in Loop: Header=BB208_9 Depth=1
	s_or_b64 exec, exec, s[34:35]
.LBB208_75:                             ;   in Loop: Header=BB208_9 Depth=1
	s_or_b64 exec, exec, s[16:17]
	v_cmp_ne_u16_sdwa s[4:5], v51, v17 src0_sel:BYTE_1 src1_sel:DWORD
	s_and_saveexec_b64 s[16:17], s[4:5]
	s_cbranch_execz .LBB208_81
; %bb.76:                               ;   in Loop: Header=BB208_9 Depth=1
	v_mov_b32_e32 v50, v18
	v_cmp_ne_u16_sdwa s[4:5], v51, s42 src0_sel:BYTE_1 src1_sel:DWORD
	v_mov_b32_e32 v49, v17
	s_and_saveexec_b64 s[34:35], s[4:5]
	s_cbranch_execz .LBB208_80
; %bb.77:                               ;   in Loop: Header=BB208_9 Depth=1
	v_and_b32_sdwa v52, v51, s43 dst_sel:DWORD dst_unused:UNUSED_PAD src0_sel:BYTE_1 src1_sel:DWORD
	v_mov_b32_e32 v23, v17
	v_mov_b32_e32 v50, v24
	v_cmp_ne_u32_e64 s[4:5], s43, v52
	v_mov_b32_e32 v49, v23
	s_and_saveexec_b64 s[36:37], s[4:5]
	s_cbranch_execz .LBB208_79
; %bb.78:                               ;   in Loop: Header=BB208_9 Depth=1
	v_mov_b32_e32 v0, 7
	v_and_b32_sdwa v49, v51, v0 dst_sel:DWORD dst_unused:UNUSED_PAD src0_sel:BYTE_1 src1_sel:DWORD
	v_ffbh_u32_e32 v20, v49
	v_min_u32_e32 v20, 32, v20
	v_mov_b32_e32 v50, v17
	v_subrev_u32_e32 v23, 28, v20
	v_lshrrev_b32_e32 v19, 3, v52
	v_cmp_gt_u32_e64 s[4:5], 8, v52
	v_lshlrev_b64 v[52:53], v23, v[49:50]
	v_sub_u32_e32 v20, 29, v20
	v_and_b32_e32 v23, 7, v52
	v_cndmask_b32_e64 v19, v19, v20, s[4:5]
	v_bfrev_b32_e32 v0, 60
	v_cndmask_b32_e64 v20, v49, v23, s[4:5]
	v_lshlrev_b32_e32 v23, 16, v51
	v_lshl_add_u32 v19, v19, 23, v0
	v_and_or_b32 v19, v23, s44, v19
	v_lshlrev_b32_e32 v20, 20, v20
	v_or_b32_e32 v50, v19, v20
	v_mov_b32_e32 v49, v17
.LBB208_79:                             ;   in Loop: Header=BB208_9 Depth=1
	s_or_b64 exec, exec, s[36:37]
.LBB208_80:                             ;   in Loop: Header=BB208_9 Depth=1
	s_or_b64 exec, exec, s[34:35]
.LBB208_81:                             ;   in Loop: Header=BB208_9 Depth=1
	s_or_b64 exec, exec, s[16:17]
	global_load_ushort v19, v[33:34], off offset:520
	v_mov_b32_e32 v53, 0
	v_mov_b32_e32 v51, 0
	;; [unrolled: 1-line block ×4, first 2 shown]
	s_waitcnt vmcnt(0)
	v_and_b32_e32 v55, 0xffff, v19
	v_cmp_ne_u16_sdwa s[4:5], v19, v17 src0_sel:BYTE_0 src1_sel:DWORD
	s_and_saveexec_b64 s[16:17], s[4:5]
	s_cbranch_execz .LBB208_87
; %bb.82:                               ;   in Loop: Header=BB208_9 Depth=1
	v_bfrev_b32_e32 v51, 1
	v_mov_b32_e32 v52, 0
	v_cmp_ne_u16_sdwa s[4:5], v55, s42 src0_sel:BYTE_0 src1_sel:DWORD
	s_and_saveexec_b64 s[34:35], s[4:5]
	s_cbranch_execz .LBB208_86
; %bb.83:                               ;   in Loop: Header=BB208_9 Depth=1
	v_and_b32_e32 v23, 0x7f, v55
	v_mov_b32_e32 v51, 0x7f800001
	v_mov_b32_e32 v52, 0
	v_cmp_ne_u32_e64 s[4:5], s43, v23
	s_and_saveexec_b64 s[36:37], s[4:5]
	s_cbranch_execz .LBB208_85
; %bb.84:                               ;   in Loop: Header=BB208_9 Depth=1
	v_and_b32_e32 v19, 7, v55
	v_lshrrev_b32_e32 v20, 3, v23
	v_cmp_gt_u32_e64 s[4:5], 8, v23
	v_ffbh_u32_e32 v23, v19
	v_min_u32_e32 v23, 32, v23
	v_subrev_u32_e32 v51, 28, v23
	v_lshlrev_b64 v[51:52], v51, v[55:56]
	v_sub_u32_e32 v23, 29, v23
	v_and_b32_e32 v51, 7, v51
	v_cndmask_b32_e64 v20, v20, v23, s[4:5]
	v_cndmask_b32_e64 v19, v19, v51, s[4:5]
	v_bfrev_b32_e32 v0, 60
	v_lshlrev_b32_e32 v19, 20, v19
	v_and_b32_sdwa v23, sext(v55), s44 dst_sel:DWORD dst_unused:UNUSED_PAD src0_sel:BYTE_0 src1_sel:DWORD
	v_lshl_add_u32 v20, v20, 23, v0
	v_or3_b32 v51, v23, v20, v19
	v_mov_b32_e32 v52, v17
.LBB208_85:                             ;   in Loop: Header=BB208_9 Depth=1
	s_or_b64 exec, exec, s[36:37]
.LBB208_86:                             ;   in Loop: Header=BB208_9 Depth=1
	s_or_b64 exec, exec, s[34:35]
.LBB208_87:                             ;   in Loop: Header=BB208_9 Depth=1
	s_or_b64 exec, exec, s[16:17]
	v_cmp_ne_u16_sdwa s[4:5], v55, v17 src0_sel:BYTE_1 src1_sel:DWORD
	s_and_saveexec_b64 s[16:17], s[4:5]
	s_cbranch_execz .LBB208_93
; %bb.88:                               ;   in Loop: Header=BB208_9 Depth=1
	v_mov_b32_e32 v54, v18
	v_cmp_ne_u16_sdwa s[4:5], v55, s42 src0_sel:BYTE_1 src1_sel:DWORD
	v_mov_b32_e32 v53, v17
	s_and_saveexec_b64 s[34:35], s[4:5]
	s_cbranch_execz .LBB208_92
; %bb.89:                               ;   in Loop: Header=BB208_9 Depth=1
	v_and_b32_sdwa v56, v55, s43 dst_sel:DWORD dst_unused:UNUSED_PAD src0_sel:BYTE_1 src1_sel:DWORD
	v_mov_b32_e32 v23, v17
	v_mov_b32_e32 v54, v24
	v_cmp_ne_u32_e64 s[4:5], s43, v56
	v_mov_b32_e32 v53, v23
	s_and_saveexec_b64 s[36:37], s[4:5]
	s_cbranch_execz .LBB208_91
; %bb.90:                               ;   in Loop: Header=BB208_9 Depth=1
	v_mov_b32_e32 v0, 7
	v_and_b32_sdwa v53, v55, v0 dst_sel:DWORD dst_unused:UNUSED_PAD src0_sel:BYTE_1 src1_sel:DWORD
	v_ffbh_u32_e32 v20, v53
	v_min_u32_e32 v20, 32, v20
	v_mov_b32_e32 v54, v17
	v_subrev_u32_e32 v23, 28, v20
	v_lshrrev_b32_e32 v19, 3, v56
	v_cmp_gt_u32_e64 s[4:5], 8, v56
	v_lshlrev_b64 v[56:57], v23, v[53:54]
	v_sub_u32_e32 v20, 29, v20
	v_and_b32_e32 v23, 7, v56
	v_cndmask_b32_e64 v19, v19, v20, s[4:5]
	v_bfrev_b32_e32 v0, 60
	v_cndmask_b32_e64 v20, v53, v23, s[4:5]
	v_lshlrev_b32_e32 v23, 16, v55
	v_lshl_add_u32 v19, v19, 23, v0
	v_and_or_b32 v19, v23, s44, v19
	v_lshlrev_b32_e32 v20, 20, v20
	v_or_b32_e32 v54, v19, v20
	v_mov_b32_e32 v53, v17
.LBB208_91:                             ;   in Loop: Header=BB208_9 Depth=1
	s_or_b64 exec, exec, s[36:37]
.LBB208_92:                             ;   in Loop: Header=BB208_9 Depth=1
	s_or_b64 exec, exec, s[34:35]
.LBB208_93:                             ;   in Loop: Header=BB208_9 Depth=1
	s_or_b64 exec, exec, s[16:17]
	global_load_ushort v19, v[33:34], off offset:524
	v_mov_b32_e32 v55, 0
	v_mov_b32_e32 v33, 0
	;; [unrolled: 1-line block ×4, first 2 shown]
	s_waitcnt vmcnt(0)
	v_and_b32_e32 v57, 0xffff, v19
	v_cmp_ne_u16_sdwa s[4:5], v19, v17 src0_sel:BYTE_0 src1_sel:DWORD
	s_and_saveexec_b64 s[16:17], s[4:5]
	s_cbranch_execz .LBB208_99
; %bb.94:                               ;   in Loop: Header=BB208_9 Depth=1
	v_bfrev_b32_e32 v33, 1
	v_mov_b32_e32 v34, 0
	v_cmp_ne_u16_sdwa s[4:5], v57, s42 src0_sel:BYTE_0 src1_sel:DWORD
	s_and_saveexec_b64 s[34:35], s[4:5]
	s_cbranch_execz .LBB208_98
; %bb.95:                               ;   in Loop: Header=BB208_9 Depth=1
	v_and_b32_e32 v23, 0x7f, v57
	v_mov_b32_e32 v33, 0x7f800001
	v_mov_b32_e32 v34, 0
	v_cmp_ne_u32_e64 s[4:5], s43, v23
	s_and_saveexec_b64 s[36:37], s[4:5]
	s_cbranch_execz .LBB208_97
; %bb.96:                               ;   in Loop: Header=BB208_9 Depth=1
	v_and_b32_e32 v19, 7, v57
	v_lshrrev_b32_e32 v20, 3, v23
	v_cmp_gt_u32_e64 s[4:5], 8, v23
	v_ffbh_u32_e32 v23, v19
	v_min_u32_e32 v23, 32, v23
	v_subrev_u32_e32 v33, 28, v23
	v_lshlrev_b64 v[33:34], v33, v[57:58]
	v_sub_u32_e32 v23, 29, v23
	v_and_b32_e32 v33, 7, v33
	v_cndmask_b32_e64 v20, v20, v23, s[4:5]
	v_cndmask_b32_e64 v19, v19, v33, s[4:5]
	v_bfrev_b32_e32 v0, 60
	v_lshlrev_b32_e32 v19, 20, v19
	v_and_b32_sdwa v23, sext(v57), s44 dst_sel:DWORD dst_unused:UNUSED_PAD src0_sel:BYTE_0 src1_sel:DWORD
	v_lshl_add_u32 v20, v20, 23, v0
	v_or3_b32 v33, v23, v20, v19
	v_mov_b32_e32 v34, v17
.LBB208_97:                             ;   in Loop: Header=BB208_9 Depth=1
	s_or_b64 exec, exec, s[36:37]
.LBB208_98:                             ;   in Loop: Header=BB208_9 Depth=1
	s_or_b64 exec, exec, s[34:35]
.LBB208_99:                             ;   in Loop: Header=BB208_9 Depth=1
	s_or_b64 exec, exec, s[16:17]
	v_cmp_ne_u16_sdwa s[4:5], v57, v17 src0_sel:BYTE_1 src1_sel:DWORD
	s_and_saveexec_b64 s[16:17], s[4:5]
	s_cbranch_execz .LBB208_105
; %bb.100:                              ;   in Loop: Header=BB208_9 Depth=1
	v_mov_b32_e32 v56, v18
	v_cmp_ne_u16_sdwa s[4:5], v57, s42 src0_sel:BYTE_1 src1_sel:DWORD
	v_mov_b32_e32 v55, v17
	s_and_saveexec_b64 s[34:35], s[4:5]
	s_cbranch_execz .LBB208_104
; %bb.101:                              ;   in Loop: Header=BB208_9 Depth=1
	v_mov_b32_e32 v0, v59
	v_and_b32_sdwa v59, v57, s43 dst_sel:DWORD dst_unused:UNUSED_PAD src0_sel:BYTE_1 src1_sel:DWORD
	v_mov_b32_e32 v23, v17
	v_mov_b32_e32 v56, v24
	v_cmp_ne_u32_e64 s[4:5], s43, v59
	v_mov_b32_e32 v55, v23
	s_and_saveexec_b64 s[36:37], s[4:5]
	s_cbranch_execz .LBB208_103
; %bb.102:                              ;   in Loop: Header=BB208_9 Depth=1
	v_mov_b32_e32 v19, 7
	v_and_b32_sdwa v55, v57, v19 dst_sel:DWORD dst_unused:UNUSED_PAD src0_sel:BYTE_1 src1_sel:DWORD
	v_ffbh_u32_e32 v19, v55
	v_lshrrev_b32_e32 v23, 3, v59
	v_cmp_gt_u32_e64 s[4:5], 8, v59
	v_min_u32_e32 v59, 32, v19
	v_mov_b32_e32 v56, v17
	v_subrev_u32_e32 v19, 28, v59
	v_lshlrev_b64 v[19:20], v19, v[55:56]
	v_sub_u32_e32 v20, 29, v59
	v_and_b32_e32 v19, 7, v19
	v_cndmask_b32_e64 v20, v23, v20, s[4:5]
	v_cndmask_b32_e64 v19, v55, v19, s[4:5]
	v_bfrev_b32_e32 v55, 60
	v_lshlrev_b32_e32 v23, 16, v57
	v_lshl_add_u32 v20, v20, 23, v55
	v_and_or_b32 v20, v23, s44, v20
	v_lshlrev_b32_e32 v19, 20, v19
	v_or_b32_e32 v56, v20, v19
	v_mov_b32_e32 v55, v17
.LBB208_103:                            ;   in Loop: Header=BB208_9 Depth=1
	s_or_b64 exec, exec, s[36:37]
	v_mov_b32_e32 v59, v0
.LBB208_104:                            ;   in Loop: Header=BB208_9 Depth=1
	s_or_b64 exec, exec, s[34:35]
.LBB208_105:                            ;   in Loop: Header=BB208_9 Depth=1
	s_or_b64 exec, exec, s[16:17]
	v_or_b32_e32 v29, v31, v29
	v_or_b32_e32 v30, v32, v30
	v_mul_f32_e32 v29, s39, v29
	v_or_b32_e32 v25, v27, v25
	v_mul_f32_e32 v30, s40, v30
	;; [unrolled: 2-line block ×3, first 2 shown]
	v_mul_f32_e32 v29, v3, v29
	v_or_b32_e32 v36, v38, v36
	v_or_b32_e32 v35, v37, v35
	v_mul_f32_e32 v26, s40, v26
	v_fmac_f32_e32 v29, v1, v25
	v_mul_f32_e32 v25, v4, v30
	v_or_b32_e32 v40, v42, v40
	v_or_b32_e32 v39, v41, v39
	v_mul_f32_e32 v36, s40, v36
	v_mul_f32_e32 v35, s39, v35
	v_fmac_f32_e32 v25, v2, v26
	v_or_b32_e32 v44, v46, v44
	v_or_b32_e32 v43, v45, v43
	v_mul_f32_e32 v40, s40, v40
	v_mul_f32_e32 v39, s39, v39
	v_fmac_f32_e32 v29, v5, v35
	v_fmac_f32_e32 v25, v6, v36
	v_or_b32_e32 v23, v50, v48
	v_or_b32_e32 v47, v49, v47
	v_mul_f32_e32 v44, s40, v44
	v_mul_f32_e32 v43, s39, v43
	v_fmac_f32_e32 v29, v7, v39
	;; [unrolled: 6-line block ×3, first 2 shown]
	v_fmac_f32_e32 v25, v10, v44
	v_mul_f32_e32 v19, s40, v19
	v_mul_f32_e32 v20, s39, v20
	v_or_b32_e32 v27, v56, v34
	v_or_b32_e32 v28, v55, v33
	v_fmac_f32_e32 v29, v11, v47
	v_fmac_f32_e32 v25, v12, v23
	v_mul_f32_e32 v27, s40, v27
	v_mul_f32_e32 v28, s39, v28
	v_fmac_f32_e32 v29, v13, v20
	v_fmac_f32_e32 v25, v14, v19
	;; [unrolled: 1-line block ×4, first 2 shown]
	v_add_f32_e32 v23, v29, v25
	ds_bpermute_b32 v25, v59, v23
	s_and_saveexec_b64 s[16:17], vcc
	s_cbranch_execz .LBB208_8
; %bb.106:                              ;   in Loop: Header=BB208_9 Depth=1
	v_add_u32_e32 v19, s41, v62
	v_cvt_f32_i32_e32 v19, v19
	s_waitcnt lgkmcnt(0)
	v_add_f32_e32 v20, v23, v25
	v_max_f32_e32 v23, v60, v60
	v_cmp_gt_i32_e64 s[4:5], s30, v62
	v_mul_f32_e32 v19, s33, v19
	v_cndmask_b32_e64 v19, 0, v19, s[2:3]
	v_fmac_f32_e32 v19, s31, v20
	v_cndmask_b32_e64 v20, 0, v19, s[4:5]
	v_max_f32_e32 v19, v23, v19
	v_cndmask_b32_e64 v60, v60, v19, s[4:5]
	ds_write_b32 v63, v20
	s_branch .LBB208_8
.LBB208_107:
	s_or_b64 exec, exec, s[14:15]
	buffer_load_dword v54, off, s[48:51], 0 offset:8 ; 4-byte Folded Reload
	buffer_load_dword v10, off, s[48:51], 0 offset:12 ; 4-byte Folded Reload
	;; [unrolled: 1-line block ×6, first 2 shown]
.LBB208_108:
	s_or_b64 exec, exec, s[6:7]
	s_waitcnt vmcnt(2)
	v_xor_b32_e32 v0, 32, v12
	s_waitcnt vmcnt(0)
	v_cmp_lt_i32_e32 vcc, v0, v8
	v_cndmask_b32_e32 v0, v12, v0, vcc
	v_lshlrev_b32_e32 v0, 2, v0
	ds_bpermute_b32 v1, v0, v60
	v_xor_b32_e32 v3, 16, v12
	v_max_f32_e32 v2, v60, v60
	v_cmp_lt_i32_e32 vcc, v3, v8
	v_xor_b32_e32 v4, 8, v12
	s_waitcnt lgkmcnt(0)
	v_max_f32_e32 v1, v1, v1
	v_max_f32_e32 v2, v2, v1
	v_cndmask_b32_e32 v1, v12, v3, vcc
	v_lshlrev_b32_e32 v1, 2, v1
	ds_bpermute_b32 v3, v1, v2
	v_cmp_lt_i32_e32 vcc, v4, v8
	v_xor_b32_e32 v5, 4, v12
	v_and_b32_e32 v24, 63, v54
	s_waitcnt lgkmcnt(0)
	v_max_f32_e32 v3, v3, v3
	v_max_f32_e32 v3, v2, v3
	v_cndmask_b32_e32 v2, v12, v4, vcc
	v_lshlrev_b32_e32 v2, 2, v2
	ds_bpermute_b32 v4, v2, v3
	v_cmp_lt_i32_e32 vcc, v5, v8
	s_waitcnt lgkmcnt(0)
	v_max_f32_e32 v4, v4, v4
	v_max_f32_e32 v3, v3, v4
	v_cndmask_b32_e32 v4, v12, v5, vcc
	v_lshlrev_b32_e32 v26, 2, v4
	ds_bpermute_b32 v4, v26, v3
	v_xor_b32_e32 v5, 2, v12
	v_cmp_lt_i32_e32 vcc, v5, v8
	s_waitcnt lgkmcnt(0)
	v_max_f32_e32 v4, v4, v4
	v_max_f32_e32 v4, v3, v4
	v_cndmask_b32_e32 v3, v12, v5, vcc
	v_lshlrev_b32_e32 v25, 2, v3
	ds_bpermute_b32 v5, v25, v4
	v_cmp_eq_u32_e32 vcc, 0, v24
	v_lshlrev_b32_e32 v3, 2, v61
	s_and_saveexec_b64 s[2:3], vcc
	s_cbranch_execz .LBB208_110
; %bb.109:
	s_waitcnt lgkmcnt(0)
	v_max_f32_e32 v5, v5, v5
	v_max_f32_e32 v4, v4, v4
	;; [unrolled: 1-line block ×3, first 2 shown]
	ds_write_b32 v3, v4 offset:128
.LBB208_110:
	s_or_b64 exec, exec, s[2:3]
	v_cmp_gt_u32_e64 s[2:3], 2, v24
	s_waitcnt lgkmcnt(0)
	v_mov_b32_e32 v5, 0xff7fffff
	v_lshlrev_b32_e32 v4, 2, v24
	s_barrier
	s_and_saveexec_b64 s[4:5], s[2:3]
; %bb.111:
	ds_read_b32 v5, v4 offset:128
; %bb.112:
	s_or_b64 exec, exec, s[4:5]
	v_xor_b32_e32 v6, 1, v12
	v_cmp_lt_i32_e64 s[4:5], v6, v8
	v_cndmask_b32_e64 v6, v12, v6, s[4:5]
	v_lshlrev_b32_e32 v27, 2, v6
	s_waitcnt lgkmcnt(0)
	ds_bpermute_b32 v6, v27, v5
	v_max_f32_e32 v5, v5, v5
	s_lshl_b32 s4, s21, 5
	s_min_i32 s31, s4, s30
	v_cmp_gt_i32_e64 s[4:5], s31, v54
	s_waitcnt lgkmcnt(0)
	v_max_f32_e32 v6, v6, v6
	v_max_f32_e32 v5, v5, v6
	v_lshlrev_b32_e32 v6, 2, v7
	ds_bpermute_b32 v6, v6, v5
	v_mov_b32_e32 v5, 0
	s_and_saveexec_b64 s[14:15], s[4:5]
	s_cbranch_execz .LBB208_116
; %bb.113:
	v_mov_b32_e32 v5, 0x90
	v_lshl_add_u32 v7, v54, 2, v5
	v_mov_b32_e32 v5, 0
	s_mov_b64 s[16:17], 0
	v_mov_b32_e32 v8, v54
.LBB208_114:                            ; =>This Inner Loop Header: Depth=1
	ds_read_b32 v9, v7
	v_add_u32_e32 v8, 0x80, v8
	v_cmp_le_i32_e64 s[6:7], s31, v8
	s_or_b64 s[16:17], s[6:7], s[16:17]
	s_waitcnt lgkmcnt(0)
	v_sub_f32_e32 v9, v9, v6
	v_mul_f32_e32 v9, 0x3fb8aa3b, v9
	v_exp_f32_e32 v9, v9
	ds_write_b32 v7, v9
	v_add_f32_e32 v5, v5, v9
	v_add_u32_e32 v7, 0x200, v7
	s_andn2_b64 exec, exec, s[16:17]
	s_cbranch_execnz .LBB208_114
; %bb.115:
	s_or_b64 exec, exec, s[16:17]
.LBB208_116:
	s_or_b64 exec, exec, s[14:15]
	ds_bpermute_b32 v0, v0, v5
	s_waitcnt lgkmcnt(0)
	v_add_f32_e32 v0, v5, v0
	ds_bpermute_b32 v1, v1, v0
	s_waitcnt lgkmcnt(0)
	v_add_f32_e32 v0, v0, v1
	ds_bpermute_b32 v1, v2, v0
	s_waitcnt lgkmcnt(0)
	v_add_f32_e32 v0, v0, v1
	ds_bpermute_b32 v1, v26, v0
	s_waitcnt lgkmcnt(0)
	v_add_f32_e32 v0, v0, v1
	ds_bpermute_b32 v1, v25, v0
	s_waitcnt lgkmcnt(0)
	v_add_f32_e32 v0, v0, v1
	ds_bpermute_b32 v1, v27, v0
	s_waitcnt lgkmcnt(0)
	v_add_f32_e32 v0, v0, v1
	s_and_saveexec_b64 s[6:7], vcc
; %bb.117:
	ds_write_b32 v3, v0 offset:136
; %bb.118:
	s_or_b64 exec, exec, s[6:7]
	s_waitcnt lgkmcnt(0)
	s_barrier
	s_and_saveexec_b64 s[6:7], s[2:3]
; %bb.119:
	ds_read_b32 v0, v4 offset:136
; %bb.120:
	s_or_b64 exec, exec, s[6:7]
	s_waitcnt lgkmcnt(0)
	ds_bpermute_b32 v1, v27, v0
	v_lshlrev_b32_e32 v2, 2, v12
	s_waitcnt lgkmcnt(0)
	v_add_f32_e32 v0, v0, v1
	v_and_b32_e32 v1, 0xffffff00, v2
	ds_bpermute_b32 v0, v1, v0
	s_and_saveexec_b64 s[2:3], s[4:5]
	s_cbranch_execz .LBB208_123
; %bb.121:
	s_waitcnt lgkmcnt(0)
	v_add_f32_e32 v1, 0x358637bd, v0
	v_div_scale_f32 v0, s[4:5], v1, v1, 1.0
	v_div_scale_f32 v2, vcc, 1.0, v1, 1.0
	s_mov_b64 s[4:5], 0
	v_rcp_f32_e32 v3, v0
	v_fma_f32 v4, -v0, v3, 1.0
	v_fmac_f32_e32 v3, v4, v3
	v_mul_f32_e32 v4, v2, v3
	v_fma_f32 v5, -v0, v4, v2
	v_fmac_f32_e32 v4, v5, v3
	v_fma_f32 v0, -v0, v4, v2
	v_div_fmas_f32 v2, v0, v3, v4
	v_mov_b32_e32 v0, 0x90
	v_lshl_add_u32 v0, v54, 2, v0
	v_div_fixup_f32 v1, v2, v1, 1.0
	v_mov_b32_e32 v2, v54
.LBB208_122:                            ; =>This Inner Loop Header: Depth=1
	ds_read_b32 v3, v0
	v_add_u32_e32 v2, 0x80, v2
	v_cmp_le_i32_e32 vcc, s31, v2
	s_or_b64 s[4:5], vcc, s[4:5]
	s_waitcnt lgkmcnt(0)
	v_mul_f32_e32 v3, v1, v3
	ds_write_b32 v0, v3
	v_add_u32_e32 v0, 0x200, v0
	s_andn2_b64 exec, exec, s[4:5]
	s_cbranch_execnz .LBB208_122
.LBB208_123:
	s_or_b64 exec, exec, s[2:3]
	v_mov_b32_e32 v31, 0
	v_and_b32_e32 v28, 7, v54
	v_mov_b32_e32 v32, 0
	v_mov_b32_e32 v30, 0
	v_mov_b32_e32 v29, 0
	s_waitcnt lgkmcnt(0)
	s_barrier
	s_and_saveexec_b64 s[2:3], s[0:1]
	s_cbranch_execz .LBB208_231
; %bb.124:
	s_ashr_i32 s0, s12, 31
	s_add_u32 s1, s28, s12
	v_and_b32_e32 v1, 0xfc, v10
	v_and_b32_e32 v0, 28, v10
	s_load_dword s17, s[18:19], 0x0
	s_addc_u32 s0, s29, s0
	v_add_co_u32_e32 v7, vcc, s1, v1
	v_lshlrev_b32_e32 v1, 5, v61
	s_add_i32 s19, s21, -1
	v_mov_b32_e32 v2, s0
	v_or3_b32 v33, v1, v0, 3
	v_lshlrev_b32_e32 v0, 4, v28
	s_lshl_b64 s[0:1], s[26:27], 2
	v_lshl_or_b32 v0, v61, 7, v0
	s_add_u32 s0, s24, s0
	v_addc_co_u32_e32 v8, vcc, 0, v2, vcc
	v_add_u32_e32 v34, 0x90, v0
	v_and_b32_e32 v0, 60, v11
	s_addc_u32 s1, s25, s1
	v_mov_b32_e32 v5, 0
	v_mov_b32_e32 v1, s1
	v_add_co_u32_e32 v9, vcc, s0, v0
	s_mov_b32 s16, s13
	s_waitcnt lgkmcnt(0)
	s_mov_b32 s18, s17
	v_addc_co_u32_e32 v10, vcc, 0, v1, vcc
	s_mov_b64 s[4:5], 0
	s_movk_i32 s24, 0x80
	s_movk_i32 s25, 0x7f
	s_brev_b32 s26, 1
	s_mov_b32 s27, 0xffffff
	v_bfrev_b32_e32 v35, 60
	v_bfrev_b32_e32 v6, 1
	v_mov_b32_e32 v12, 0x7f800001
	v_mov_b32_e32 v36, 7
	;; [unrolled: 1-line block ×7, first 2 shown]
	s_branch .LBB208_126
.LBB208_125:                            ;   in Loop: Header=BB208_126 Depth=1
	s_or_b64 exec, exec, s[0:1]
	s_waitcnt lgkmcnt(0)
	v_mul_f32_e32 v16, v1, v49
	v_fmac_f32_e32 v16, v2, v48
	v_fmac_f32_e32 v16, v3, v23
	;; [unrolled: 1-line block ×3, first 2 shown]
	v_add_f32_e32 v30, v30, v16
	v_mul_f32_e32 v16, v1, v47
	v_fmac_f32_e32 v16, v2, v44
	v_fmac_f32_e32 v16, v3, v46
	;; [unrolled: 1-line block ×3, first 2 shown]
	v_add_f32_e32 v32, v32, v16
	v_mul_f32_e32 v16, v1, v40
	v_mul_f32_e32 v1, v1, v15
	v_fmac_f32_e32 v16, v2, v37
	v_fmac_f32_e32 v1, v2, v11
	v_add_u32_e32 v61, 2, v61
	v_fmac_f32_e32 v16, v3, v39
	v_fmac_f32_e32 v1, v3, v14
	v_cmp_le_i32_e32 vcc, s21, v61
	v_fmac_f32_e32 v16, v4, v38
	v_fmac_f32_e32 v1, v4, v13
	s_or_b64 s[4:5], vcc, s[4:5]
	v_add_co_u32_e32 v9, vcc, 8, v9
	v_add_f32_e32 v31, v31, v16
	v_add_f32_e32 v29, v29, v1
	v_add_u32_e32 v33, 64, v33
	v_add_u32_e32 v34, 0x100, v34
	v_addc_co_u32_e32 v10, vcc, 0, v10, vcc
	s_andn2_b64 exec, exec, s[4:5]
	s_cbranch_execz .LBB208_230
.LBB208_126:                            ; =>This Inner Loop Header: Depth=1
	global_load_dword v1, v[9:10], off
	v_mov_b32_e32 v18, 0
	v_mov_b32_e32 v16, 0
	;; [unrolled: 1-line block ×4, first 2 shown]
	s_waitcnt vmcnt(0)
	v_mad_i64_i32 v[13:14], s[0:1], v1, s16, v[7:8]
	ds_read_b128 v[1:4], v34
	global_load_dword v15, v[13:14], off
	s_waitcnt vmcnt(0)
	v_cmp_ne_u16_sdwa s[6:7], v15, v5 src0_sel:BYTE_0 src1_sel:DWORD
	s_and_saveexec_b64 s[0:1], s[6:7]
	s_cbranch_execz .LBB208_132
; %bb.127:                              ;   in Loop: Header=BB208_126 Depth=1
	v_bfrev_b32_e32 v16, 1
	v_mov_b32_e32 v17, 0
	v_cmp_ne_u16_sdwa s[12:13], v15, s24 src0_sel:BYTE_0 src1_sel:DWORD
	s_and_saveexec_b64 s[6:7], s[12:13]
	s_cbranch_execz .LBB208_131
; %bb.128:                              ;   in Loop: Header=BB208_126 Depth=1
	v_and_b32_e32 v11, 0x7f, v15
	v_mov_b32_e32 v16, 0x7f800001
	v_mov_b32_e32 v17, 0
	v_cmp_ne_u32_e32 vcc, s25, v11
	s_and_saveexec_b64 s[12:13], vcc
	s_cbranch_execz .LBB208_130
; %bb.129:                              ;   in Loop: Header=BB208_126 Depth=1
	v_and_b32_e32 v20, 7, v15
	v_ffbh_u32_e32 v16, v20
	v_min_u32_e32 v22, 32, v16
	v_subrev_u32_e32 v16, 28, v22
	v_lshlrev_b64 v[16:17], v16, v[15:16]
	v_lshrrev_b32_e32 v21, 3, v11
	v_sub_u32_e32 v17, 29, v22
	v_and_b32_e32 v16, 7, v16
	v_cmp_gt_u32_e32 vcc, 8, v11
	v_cndmask_b32_e32 v11, v21, v17, vcc
	v_cndmask_b32_e32 v16, v20, v16, vcc
	v_lshlrev_b32_e32 v16, 20, v16
	v_and_b32_sdwa v17, sext(v15), s26 dst_sel:DWORD dst_unused:UNUSED_PAD src0_sel:BYTE_0 src1_sel:DWORD
	v_lshl_add_u32 v11, v11, 23, v35
	v_or3_b32 v16, v17, v11, v16
	v_mov_b32_e32 v17, v5
.LBB208_130:                            ;   in Loop: Header=BB208_126 Depth=1
	s_or_b64 exec, exec, s[12:13]
.LBB208_131:                            ;   in Loop: Header=BB208_126 Depth=1
	s_or_b64 exec, exec, s[6:7]
.LBB208_132:                            ;   in Loop: Header=BB208_126 Depth=1
	s_or_b64 exec, exec, s[0:1]
	v_cmp_ne_u16_sdwa s[6:7], v15, v5 src0_sel:BYTE_1 src1_sel:DWORD
	s_and_saveexec_b64 s[0:1], s[6:7]
	s_cbranch_execz .LBB208_138
; %bb.133:                              ;   in Loop: Header=BB208_126 Depth=1
	v_mov_b32_e32 v19, v6
	v_cmp_ne_u16_sdwa s[12:13], v15, s24 src0_sel:BYTE_1 src1_sel:DWORD
	v_mov_b32_e32 v18, v5
	s_and_saveexec_b64 s[6:7], s[12:13]
	s_cbranch_execz .LBB208_137
; %bb.134:                              ;   in Loop: Header=BB208_126 Depth=1
	v_and_b32_sdwa v20, v15, s25 dst_sel:DWORD dst_unused:UNUSED_PAD src0_sel:BYTE_1 src1_sel:DWORD
	v_mov_b32_e32 v11, v5
	v_mov_b32_e32 v19, v12
	v_cmp_ne_u32_e32 vcc, s25, v20
	v_mov_b32_e32 v18, v11
	s_and_saveexec_b64 s[12:13], vcc
	s_cbranch_execz .LBB208_136
; %bb.135:                              ;   in Loop: Header=BB208_126 Depth=1
	v_and_b32_sdwa v18, v15, v36 dst_sel:DWORD dst_unused:UNUSED_PAD src0_sel:BYTE_1 src1_sel:DWORD
	v_ffbh_u32_e32 v21, v18
	v_min_u32_e32 v23, 32, v21
	v_mov_b32_e32 v19, v5
	v_subrev_u32_e32 v21, 28, v23
	v_lshlrev_b64 v[21:22], v21, v[18:19]
	v_lshrrev_b32_e32 v11, 3, v20
	v_sub_u32_e32 v19, 29, v23
	v_cmp_gt_u32_e32 vcc, 8, v20
	v_and_b32_e32 v21, 7, v21
	v_cndmask_b32_e32 v11, v11, v19, vcc
	v_cndmask_b32_e32 v18, v18, v21, vcc
	v_lshlrev_b32_e32 v19, 16, v15
	v_lshl_add_u32 v11, v11, 23, v35
	v_and_or_b32 v11, v19, s26, v11
	v_lshlrev_b32_e32 v18, 20, v18
	v_or_b32_e32 v19, v11, v18
	v_mov_b32_e32 v18, v5
.LBB208_136:                            ;   in Loop: Header=BB208_126 Depth=1
	s_or_b64 exec, exec, s[12:13]
.LBB208_137:                            ;   in Loop: Header=BB208_126 Depth=1
	s_or_b64 exec, exec, s[6:7]
.LBB208_138:                            ;   in Loop: Header=BB208_126 Depth=1
	s_or_b64 exec, exec, s[0:1]
	v_lshrrev_b32_e32 v11, 16, v15
	v_mov_b32_e32 v22, 0
	v_mov_b32_e32 v20, 0
	;; [unrolled: 1-line block ×4, first 2 shown]
	v_cmp_ne_u16_sdwa s[6:7], v11, v5 src0_sel:BYTE_0 src1_sel:DWORD
	s_and_saveexec_b64 s[0:1], s[6:7]
	s_cbranch_execz .LBB208_144
; %bb.139:                              ;   in Loop: Header=BB208_126 Depth=1
	v_bfrev_b32_e32 v20, 1
	v_mov_b32_e32 v21, 0
	v_cmp_ne_u16_sdwa s[12:13], v11, s24 src0_sel:BYTE_0 src1_sel:DWORD
	s_and_saveexec_b64 s[6:7], s[12:13]
	s_cbranch_execz .LBB208_143
; %bb.140:                              ;   in Loop: Header=BB208_126 Depth=1
	v_bfe_u32 v37, v15, 16, 7
	v_mov_b32_e32 v20, 0x7f800001
	v_mov_b32_e32 v21, 0
	v_cmp_ne_u32_e32 vcc, s25, v37
	s_and_saveexec_b64 s[12:13], vcc
	s_cbranch_execz .LBB208_142
; %bb.141:                              ;   in Loop: Header=BB208_126 Depth=1
	v_and_b32_e32 v38, 7, v11
	v_ffbh_u32_e32 v20, v38
	v_min_u32_e32 v40, 32, v20
	v_subrev_u32_e32 v20, 28, v40
	v_lshlrev_b64 v[20:21], v20, v[11:12]
	v_lshrrev_b32_e32 v39, 3, v37
	v_sub_u32_e32 v21, 29, v40
	v_and_b32_e32 v20, 7, v20
	v_cmp_gt_u32_e32 vcc, 8, v37
	v_cndmask_b32_e32 v21, v39, v21, vcc
	v_cndmask_b32_e32 v20, v38, v20, vcc
	v_lshlrev_b32_e32 v20, 20, v20
	v_and_b32_sdwa v11, sext(v11), s26 dst_sel:DWORD dst_unused:UNUSED_PAD src0_sel:BYTE_0 src1_sel:DWORD
	v_lshl_add_u32 v21, v21, 23, v35
	v_or3_b32 v20, v11, v21, v20
	v_mov_b32_e32 v21, v5
.LBB208_142:                            ;   in Loop: Header=BB208_126 Depth=1
	s_or_b64 exec, exec, s[12:13]
.LBB208_143:                            ;   in Loop: Header=BB208_126 Depth=1
	s_or_b64 exec, exec, s[6:7]
.LBB208_144:                            ;   in Loop: Header=BB208_126 Depth=1
	s_or_b64 exec, exec, s[0:1]
	v_cmp_lt_u32_e32 vcc, s27, v15
	s_and_saveexec_b64 s[0:1], vcc
	s_cbranch_execz .LBB208_150
; %bb.145:                              ;   in Loop: Header=BB208_126 Depth=1
	v_mov_b32_e32 v23, v6
	v_cmp_ne_u32_sdwa s[12:13], v15, s24 src0_sel:BYTE_3 src1_sel:DWORD
	v_mov_b32_e32 v22, v5
	s_and_saveexec_b64 s[6:7], s[12:13]
	s_cbranch_execz .LBB208_149
; %bb.146:                              ;   in Loop: Header=BB208_126 Depth=1
	v_bfe_u32 v37, v15, 24, 7
	v_mov_b32_e32 v11, v5
	v_mov_b32_e32 v23, v12
	v_cmp_ne_u32_e32 vcc, s25, v37
	v_mov_b32_e32 v22, v11
	s_and_saveexec_b64 s[12:13], vcc
	s_cbranch_execz .LBB208_148
; %bb.147:                              ;   in Loop: Header=BB208_126 Depth=1
	v_and_b32_sdwa v22, v15, v36 dst_sel:DWORD dst_unused:UNUSED_PAD src0_sel:BYTE_3 src1_sel:DWORD
	v_ffbh_u32_e32 v38, v22
	v_min_u32_e32 v40, 32, v38
	v_mov_b32_e32 v23, v5
	v_subrev_u32_e32 v38, 28, v40
	v_lshlrev_b64 v[38:39], v38, v[22:23]
	v_lshrrev_b32_e32 v11, 3, v37
	v_sub_u32_e32 v23, 29, v40
	v_cmp_gt_u32_e32 vcc, 8, v37
	v_and_b32_e32 v38, 7, v38
	v_cndmask_b32_e32 v11, v11, v23, vcc
	v_cndmask_b32_e32 v22, v22, v38, vcc
	v_lshlrev_b32_sdwa v15, v0, v15 dst_sel:DWORD dst_unused:UNUSED_PAD src0_sel:DWORD src1_sel:BYTE_3
	v_lshl_add_u32 v11, v11, 23, v35
	v_and_or_b32 v11, v15, s26, v11
	v_lshlrev_b32_e32 v15, 20, v22
	v_or_b32_e32 v23, v11, v15
	v_mov_b32_e32 v22, v5
.LBB208_148:                            ;   in Loop: Header=BB208_126 Depth=1
	s_or_b64 exec, exec, s[12:13]
.LBB208_149:                            ;   in Loop: Header=BB208_126 Depth=1
	s_or_b64 exec, exec, s[6:7]
.LBB208_150:                            ;   in Loop: Header=BB208_126 Depth=1
	s_or_b64 exec, exec, s[0:1]
	v_or_b32_e32 v11, v19, v17
	v_or_b32_e32 v15, v18, v16
	v_mul_f32_e32 v37, s18, v11
	v_mul_f32_e32 v40, s17, v15
	v_or_b32_e32 v11, v23, v21
	v_or_b32_e32 v15, v22, v20
	v_add_u32_e32 v41, -3, v33
	v_cmp_eq_u32_e32 vcc, s19, v61
	v_mul_f32_e32 v39, s17, v15
	v_mul_f32_e32 v38, s18, v11
	v_add_u32_e32 v43, -2, v33
	v_add_u32_e32 v42, -1, v33
	s_and_saveexec_b64 s[6:7], vcc
; %bb.151:                              ;   in Loop: Header=BB208_126 Depth=1
	v_cmp_gt_i32_e64 s[0:1], s30, v41
	v_cndmask_b32_e64 v40, 0, v40, s[0:1]
	v_cmp_gt_i32_e64 s[0:1], s30, v43
	v_cndmask_b32_e64 v37, 0, v37, s[0:1]
	;; [unrolled: 2-line block ×4, first 2 shown]
; %bb.152:                              ;   in Loop: Header=BB208_126 Depth=1
	s_or_b64 exec, exec, s[6:7]
	global_load_dword v15, v[13:14], off offset:256
	v_mov_b32_e32 v18, 0
	v_mov_b32_e32 v16, 0
	;; [unrolled: 1-line block ×4, first 2 shown]
	s_waitcnt vmcnt(0)
	v_cmp_ne_u16_sdwa s[0:1], v15, v5 src0_sel:BYTE_0 src1_sel:DWORD
	s_and_saveexec_b64 s[6:7], s[0:1]
	s_cbranch_execz .LBB208_158
; %bb.153:                              ;   in Loop: Header=BB208_126 Depth=1
	v_bfrev_b32_e32 v16, 1
	v_mov_b32_e32 v17, 0
	v_cmp_ne_u16_sdwa s[0:1], v15, s24 src0_sel:BYTE_0 src1_sel:DWORD
	s_and_saveexec_b64 s[12:13], s[0:1]
	s_cbranch_execz .LBB208_157
; %bb.154:                              ;   in Loop: Header=BB208_126 Depth=1
	v_and_b32_e32 v11, 0x7f, v15
	v_mov_b32_e32 v16, 0x7f800001
	v_mov_b32_e32 v17, 0
	v_cmp_ne_u32_e64 s[0:1], s25, v11
	s_and_saveexec_b64 s[14:15], s[0:1]
	s_cbranch_execz .LBB208_156
; %bb.155:                              ;   in Loop: Header=BB208_126 Depth=1
	v_and_b32_e32 v20, 7, v15
	v_ffbh_u32_e32 v16, v20
	v_min_u32_e32 v22, 32, v16
	v_subrev_u32_e32 v16, 28, v22
	v_lshlrev_b64 v[16:17], v16, v[15:16]
	v_lshrrev_b32_e32 v21, 3, v11
	v_sub_u32_e32 v17, 29, v22
	v_and_b32_e32 v16, 7, v16
	v_cmp_gt_u32_e64 s[0:1], 8, v11
	v_cndmask_b32_e64 v11, v21, v17, s[0:1]
	v_cndmask_b32_e64 v16, v20, v16, s[0:1]
	v_lshlrev_b32_e32 v16, 20, v16
	v_and_b32_sdwa v17, sext(v15), s26 dst_sel:DWORD dst_unused:UNUSED_PAD src0_sel:BYTE_0 src1_sel:DWORD
	v_lshl_add_u32 v11, v11, 23, v35
	v_or3_b32 v16, v17, v11, v16
	v_mov_b32_e32 v17, v5
.LBB208_156:                            ;   in Loop: Header=BB208_126 Depth=1
	s_or_b64 exec, exec, s[14:15]
.LBB208_157:                            ;   in Loop: Header=BB208_126 Depth=1
	s_or_b64 exec, exec, s[12:13]
.LBB208_158:                            ;   in Loop: Header=BB208_126 Depth=1
	s_or_b64 exec, exec, s[6:7]
	v_cmp_ne_u16_sdwa s[0:1], v15, v5 src0_sel:BYTE_1 src1_sel:DWORD
	s_and_saveexec_b64 s[6:7], s[0:1]
	s_cbranch_execz .LBB208_164
; %bb.159:                              ;   in Loop: Header=BB208_126 Depth=1
	v_mov_b32_e32 v19, v6
	v_cmp_ne_u16_sdwa s[0:1], v15, s24 src0_sel:BYTE_1 src1_sel:DWORD
	v_mov_b32_e32 v18, v5
	s_and_saveexec_b64 s[12:13], s[0:1]
	s_cbranch_execz .LBB208_163
; %bb.160:                              ;   in Loop: Header=BB208_126 Depth=1
	v_and_b32_sdwa v20, v15, s25 dst_sel:DWORD dst_unused:UNUSED_PAD src0_sel:BYTE_1 src1_sel:DWORD
	v_mov_b32_e32 v11, v5
	v_mov_b32_e32 v19, v12
	v_cmp_ne_u32_e64 s[0:1], s25, v20
	v_mov_b32_e32 v18, v11
	s_and_saveexec_b64 s[14:15], s[0:1]
	s_cbranch_execz .LBB208_162
; %bb.161:                              ;   in Loop: Header=BB208_126 Depth=1
	v_and_b32_sdwa v18, v15, v36 dst_sel:DWORD dst_unused:UNUSED_PAD src0_sel:BYTE_1 src1_sel:DWORD
	v_ffbh_u32_e32 v21, v18
	v_min_u32_e32 v23, 32, v21
	v_mov_b32_e32 v19, v5
	v_subrev_u32_e32 v21, 28, v23
	v_lshlrev_b64 v[21:22], v21, v[18:19]
	v_lshrrev_b32_e32 v11, 3, v20
	v_sub_u32_e32 v19, 29, v23
	v_cmp_gt_u32_e64 s[0:1], 8, v20
	v_and_b32_e32 v21, 7, v21
	v_cndmask_b32_e64 v11, v11, v19, s[0:1]
	v_cndmask_b32_e64 v18, v18, v21, s[0:1]
	v_lshlrev_b32_e32 v19, 16, v15
	v_lshl_add_u32 v11, v11, 23, v35
	v_and_or_b32 v11, v19, s26, v11
	v_lshlrev_b32_e32 v18, 20, v18
	v_or_b32_e32 v19, v11, v18
	v_mov_b32_e32 v18, v5
.LBB208_162:                            ;   in Loop: Header=BB208_126 Depth=1
	s_or_b64 exec, exec, s[14:15]
.LBB208_163:                            ;   in Loop: Header=BB208_126 Depth=1
	s_or_b64 exec, exec, s[12:13]
.LBB208_164:                            ;   in Loop: Header=BB208_126 Depth=1
	s_or_b64 exec, exec, s[6:7]
	v_lshrrev_b32_e32 v11, 16, v15
	v_mov_b32_e32 v22, 0
	v_mov_b32_e32 v20, 0
	;; [unrolled: 1-line block ×4, first 2 shown]
	v_cmp_ne_u16_sdwa s[0:1], v11, v5 src0_sel:BYTE_0 src1_sel:DWORD
	s_and_saveexec_b64 s[6:7], s[0:1]
	s_cbranch_execz .LBB208_170
; %bb.165:                              ;   in Loop: Header=BB208_126 Depth=1
	v_bfrev_b32_e32 v20, 1
	v_mov_b32_e32 v21, 0
	v_cmp_ne_u16_sdwa s[0:1], v11, s24 src0_sel:BYTE_0 src1_sel:DWORD
	s_and_saveexec_b64 s[12:13], s[0:1]
	s_cbranch_execz .LBB208_169
; %bb.166:                              ;   in Loop: Header=BB208_126 Depth=1
	v_bfe_u32 v44, v15, 16, 7
	v_mov_b32_e32 v20, 0x7f800001
	v_mov_b32_e32 v21, 0
	v_cmp_ne_u32_e64 s[0:1], s25, v44
	s_and_saveexec_b64 s[14:15], s[0:1]
	s_cbranch_execz .LBB208_168
; %bb.167:                              ;   in Loop: Header=BB208_126 Depth=1
	v_and_b32_e32 v45, 7, v11
	v_ffbh_u32_e32 v20, v45
	v_min_u32_e32 v47, 32, v20
	v_subrev_u32_e32 v20, 28, v47
	v_lshlrev_b64 v[20:21], v20, v[11:12]
	v_lshrrev_b32_e32 v46, 3, v44
	v_sub_u32_e32 v21, 29, v47
	v_and_b32_e32 v20, 7, v20
	v_cmp_gt_u32_e64 s[0:1], 8, v44
	v_cndmask_b32_e64 v21, v46, v21, s[0:1]
	v_cndmask_b32_e64 v20, v45, v20, s[0:1]
	v_lshlrev_b32_e32 v20, 20, v20
	v_and_b32_sdwa v11, sext(v11), s26 dst_sel:DWORD dst_unused:UNUSED_PAD src0_sel:BYTE_0 src1_sel:DWORD
	v_lshl_add_u32 v21, v21, 23, v35
	v_or3_b32 v20, v11, v21, v20
	v_mov_b32_e32 v21, v5
.LBB208_168:                            ;   in Loop: Header=BB208_126 Depth=1
	s_or_b64 exec, exec, s[14:15]
.LBB208_169:                            ;   in Loop: Header=BB208_126 Depth=1
	s_or_b64 exec, exec, s[12:13]
.LBB208_170:                            ;   in Loop: Header=BB208_126 Depth=1
	s_or_b64 exec, exec, s[6:7]
	v_cmp_lt_u32_e64 s[0:1], s27, v15
	s_and_saveexec_b64 s[6:7], s[0:1]
	s_cbranch_execz .LBB208_176
; %bb.171:                              ;   in Loop: Header=BB208_126 Depth=1
	v_mov_b32_e32 v23, v6
	v_cmp_ne_u32_sdwa s[0:1], v15, s24 src0_sel:BYTE_3 src1_sel:DWORD
	v_mov_b32_e32 v22, v5
	s_and_saveexec_b64 s[12:13], s[0:1]
	s_cbranch_execz .LBB208_175
; %bb.172:                              ;   in Loop: Header=BB208_126 Depth=1
	v_bfe_u32 v44, v15, 24, 7
	v_mov_b32_e32 v11, v5
	v_mov_b32_e32 v23, v12
	v_cmp_ne_u32_e64 s[0:1], s25, v44
	v_mov_b32_e32 v22, v11
	s_and_saveexec_b64 s[14:15], s[0:1]
	s_cbranch_execz .LBB208_174
; %bb.173:                              ;   in Loop: Header=BB208_126 Depth=1
	v_and_b32_sdwa v22, v15, v36 dst_sel:DWORD dst_unused:UNUSED_PAD src0_sel:BYTE_3 src1_sel:DWORD
	v_ffbh_u32_e32 v45, v22
	v_min_u32_e32 v47, 32, v45
	v_mov_b32_e32 v23, v5
	v_subrev_u32_e32 v45, 28, v47
	v_lshlrev_b64 v[45:46], v45, v[22:23]
	v_lshrrev_b32_e32 v11, 3, v44
	v_sub_u32_e32 v23, 29, v47
	v_cmp_gt_u32_e64 s[0:1], 8, v44
	v_and_b32_e32 v45, 7, v45
	v_cndmask_b32_e64 v11, v11, v23, s[0:1]
	v_cndmask_b32_e64 v22, v22, v45, s[0:1]
	v_lshlrev_b32_sdwa v15, v0, v15 dst_sel:DWORD dst_unused:UNUSED_PAD src0_sel:DWORD src1_sel:BYTE_3
	v_lshl_add_u32 v11, v11, 23, v35
	v_and_or_b32 v11, v15, s26, v11
	v_lshlrev_b32_e32 v15, 20, v22
	v_or_b32_e32 v23, v11, v15
	v_mov_b32_e32 v22, v5
.LBB208_174:                            ;   in Loop: Header=BB208_126 Depth=1
	s_or_b64 exec, exec, s[14:15]
.LBB208_175:                            ;   in Loop: Header=BB208_126 Depth=1
	s_or_b64 exec, exec, s[12:13]
.LBB208_176:                            ;   in Loop: Header=BB208_126 Depth=1
	s_or_b64 exec, exec, s[6:7]
	v_or_b32_e32 v11, v19, v17
	v_or_b32_e32 v15, v18, v16
	v_mul_f32_e32 v44, s18, v11
	v_mul_f32_e32 v47, s17, v15
	v_or_b32_e32 v11, v23, v21
	v_or_b32_e32 v15, v22, v20
	v_mul_f32_e32 v46, s17, v15
	v_mul_f32_e32 v45, s18, v11
	s_and_saveexec_b64 s[6:7], vcc
; %bb.177:                              ;   in Loop: Header=BB208_126 Depth=1
	v_cmp_gt_i32_e64 s[0:1], s30, v41
	v_cndmask_b32_e64 v47, 0, v47, s[0:1]
	v_cmp_gt_i32_e64 s[0:1], s30, v43
	v_cndmask_b32_e64 v44, 0, v44, s[0:1]
	;; [unrolled: 2-line block ×4, first 2 shown]
; %bb.178:                              ;   in Loop: Header=BB208_126 Depth=1
	s_or_b64 exec, exec, s[6:7]
	global_load_dword v15, v[13:14], off offset:512
	v_mov_b32_e32 v18, 0
	v_mov_b32_e32 v16, 0
	;; [unrolled: 1-line block ×4, first 2 shown]
	s_waitcnt vmcnt(0)
	v_cmp_ne_u16_sdwa s[0:1], v15, v5 src0_sel:BYTE_0 src1_sel:DWORD
	s_and_saveexec_b64 s[6:7], s[0:1]
	s_cbranch_execz .LBB208_184
; %bb.179:                              ;   in Loop: Header=BB208_126 Depth=1
	v_bfrev_b32_e32 v16, 1
	v_mov_b32_e32 v17, 0
	v_cmp_ne_u16_sdwa s[0:1], v15, s24 src0_sel:BYTE_0 src1_sel:DWORD
	s_and_saveexec_b64 s[12:13], s[0:1]
	s_cbranch_execz .LBB208_183
; %bb.180:                              ;   in Loop: Header=BB208_126 Depth=1
	v_and_b32_e32 v11, 0x7f, v15
	v_mov_b32_e32 v16, 0x7f800001
	v_mov_b32_e32 v17, 0
	v_cmp_ne_u32_e64 s[0:1], s25, v11
	s_and_saveexec_b64 s[14:15], s[0:1]
	s_cbranch_execz .LBB208_182
; %bb.181:                              ;   in Loop: Header=BB208_126 Depth=1
	v_and_b32_e32 v20, 7, v15
	v_ffbh_u32_e32 v16, v20
	v_min_u32_e32 v22, 32, v16
	v_subrev_u32_e32 v16, 28, v22
	v_lshlrev_b64 v[16:17], v16, v[15:16]
	v_lshrrev_b32_e32 v21, 3, v11
	v_sub_u32_e32 v17, 29, v22
	v_and_b32_e32 v16, 7, v16
	v_cmp_gt_u32_e64 s[0:1], 8, v11
	v_cndmask_b32_e64 v11, v21, v17, s[0:1]
	v_cndmask_b32_e64 v16, v20, v16, s[0:1]
	v_lshlrev_b32_e32 v16, 20, v16
	v_and_b32_sdwa v17, sext(v15), s26 dst_sel:DWORD dst_unused:UNUSED_PAD src0_sel:BYTE_0 src1_sel:DWORD
	v_lshl_add_u32 v11, v11, 23, v35
	v_or3_b32 v16, v17, v11, v16
	v_mov_b32_e32 v17, v5
.LBB208_182:                            ;   in Loop: Header=BB208_126 Depth=1
	s_or_b64 exec, exec, s[14:15]
.LBB208_183:                            ;   in Loop: Header=BB208_126 Depth=1
	s_or_b64 exec, exec, s[12:13]
.LBB208_184:                            ;   in Loop: Header=BB208_126 Depth=1
	s_or_b64 exec, exec, s[6:7]
	v_cmp_ne_u16_sdwa s[0:1], v15, v5 src0_sel:BYTE_1 src1_sel:DWORD
	s_and_saveexec_b64 s[6:7], s[0:1]
	s_cbranch_execz .LBB208_190
; %bb.185:                              ;   in Loop: Header=BB208_126 Depth=1
	v_mov_b32_e32 v19, v6
	v_cmp_ne_u16_sdwa s[0:1], v15, s24 src0_sel:BYTE_1 src1_sel:DWORD
	v_mov_b32_e32 v18, v5
	s_and_saveexec_b64 s[12:13], s[0:1]
	s_cbranch_execz .LBB208_189
; %bb.186:                              ;   in Loop: Header=BB208_126 Depth=1
	v_and_b32_sdwa v20, v15, s25 dst_sel:DWORD dst_unused:UNUSED_PAD src0_sel:BYTE_1 src1_sel:DWORD
	v_mov_b32_e32 v11, v5
	v_mov_b32_e32 v19, v12
	v_cmp_ne_u32_e64 s[0:1], s25, v20
	v_mov_b32_e32 v18, v11
	s_and_saveexec_b64 s[14:15], s[0:1]
	s_cbranch_execz .LBB208_188
; %bb.187:                              ;   in Loop: Header=BB208_126 Depth=1
	v_and_b32_sdwa v18, v15, v36 dst_sel:DWORD dst_unused:UNUSED_PAD src0_sel:BYTE_1 src1_sel:DWORD
	v_ffbh_u32_e32 v21, v18
	v_min_u32_e32 v23, 32, v21
	v_mov_b32_e32 v19, v5
	v_subrev_u32_e32 v21, 28, v23
	v_lshlrev_b64 v[21:22], v21, v[18:19]
	v_lshrrev_b32_e32 v11, 3, v20
	v_sub_u32_e32 v19, 29, v23
	v_cmp_gt_u32_e64 s[0:1], 8, v20
	v_and_b32_e32 v21, 7, v21
	v_cndmask_b32_e64 v11, v11, v19, s[0:1]
	v_cndmask_b32_e64 v18, v18, v21, s[0:1]
	v_lshlrev_b32_e32 v19, 16, v15
	v_lshl_add_u32 v11, v11, 23, v35
	v_and_or_b32 v11, v19, s26, v11
	v_lshlrev_b32_e32 v18, 20, v18
	v_or_b32_e32 v19, v11, v18
	v_mov_b32_e32 v18, v5
.LBB208_188:                            ;   in Loop: Header=BB208_126 Depth=1
	s_or_b64 exec, exec, s[14:15]
.LBB208_189:                            ;   in Loop: Header=BB208_126 Depth=1
	s_or_b64 exec, exec, s[12:13]
.LBB208_190:                            ;   in Loop: Header=BB208_126 Depth=1
	s_or_b64 exec, exec, s[6:7]
	v_lshrrev_b32_e32 v11, 16, v15
	v_mov_b32_e32 v22, 0
	v_mov_b32_e32 v20, 0
	v_mov_b32_e32 v23, 0
	v_mov_b32_e32 v21, 0
	v_cmp_ne_u16_sdwa s[0:1], v11, v5 src0_sel:BYTE_0 src1_sel:DWORD
	s_and_saveexec_b64 s[6:7], s[0:1]
	s_cbranch_execz .LBB208_196
; %bb.191:                              ;   in Loop: Header=BB208_126 Depth=1
	v_bfrev_b32_e32 v20, 1
	v_mov_b32_e32 v21, 0
	v_cmp_ne_u16_sdwa s[0:1], v11, s24 src0_sel:BYTE_0 src1_sel:DWORD
	s_and_saveexec_b64 s[12:13], s[0:1]
	s_cbranch_execz .LBB208_195
; %bb.192:                              ;   in Loop: Header=BB208_126 Depth=1
	v_bfe_u32 v48, v15, 16, 7
	v_mov_b32_e32 v20, 0x7f800001
	v_mov_b32_e32 v21, 0
	v_cmp_ne_u32_e64 s[0:1], s25, v48
	s_and_saveexec_b64 s[14:15], s[0:1]
	s_cbranch_execz .LBB208_194
; %bb.193:                              ;   in Loop: Header=BB208_126 Depth=1
	v_and_b32_e32 v49, 7, v11
	v_ffbh_u32_e32 v20, v49
	v_min_u32_e32 v51, 32, v20
	v_subrev_u32_e32 v20, 28, v51
	v_lshlrev_b64 v[20:21], v20, v[11:12]
	v_lshrrev_b32_e32 v50, 3, v48
	v_sub_u32_e32 v21, 29, v51
	v_and_b32_e32 v20, 7, v20
	v_cmp_gt_u32_e64 s[0:1], 8, v48
	v_cndmask_b32_e64 v21, v50, v21, s[0:1]
	v_cndmask_b32_e64 v20, v49, v20, s[0:1]
	v_lshlrev_b32_e32 v20, 20, v20
	v_and_b32_sdwa v11, sext(v11), s26 dst_sel:DWORD dst_unused:UNUSED_PAD src0_sel:BYTE_0 src1_sel:DWORD
	v_lshl_add_u32 v21, v21, 23, v35
	v_or3_b32 v20, v11, v21, v20
	v_mov_b32_e32 v21, v5
.LBB208_194:                            ;   in Loop: Header=BB208_126 Depth=1
	s_or_b64 exec, exec, s[14:15]
.LBB208_195:                            ;   in Loop: Header=BB208_126 Depth=1
	s_or_b64 exec, exec, s[12:13]
.LBB208_196:                            ;   in Loop: Header=BB208_126 Depth=1
	s_or_b64 exec, exec, s[6:7]
	v_cmp_lt_u32_e64 s[0:1], s27, v15
	s_and_saveexec_b64 s[6:7], s[0:1]
	s_cbranch_execz .LBB208_202
; %bb.197:                              ;   in Loop: Header=BB208_126 Depth=1
	v_mov_b32_e32 v23, v6
	v_cmp_ne_u32_sdwa s[0:1], v15, s24 src0_sel:BYTE_3 src1_sel:DWORD
	v_mov_b32_e32 v22, v5
	s_and_saveexec_b64 s[12:13], s[0:1]
	s_cbranch_execz .LBB208_201
; %bb.198:                              ;   in Loop: Header=BB208_126 Depth=1
	v_bfe_u32 v48, v15, 24, 7
	v_mov_b32_e32 v11, v5
	v_mov_b32_e32 v23, v12
	v_cmp_ne_u32_e64 s[0:1], s25, v48
	v_mov_b32_e32 v22, v11
	s_and_saveexec_b64 s[14:15], s[0:1]
	s_cbranch_execz .LBB208_200
; %bb.199:                              ;   in Loop: Header=BB208_126 Depth=1
	v_and_b32_sdwa v22, v15, v36 dst_sel:DWORD dst_unused:UNUSED_PAD src0_sel:BYTE_3 src1_sel:DWORD
	v_ffbh_u32_e32 v49, v22
	v_min_u32_e32 v51, 32, v49
	v_mov_b32_e32 v23, v5
	v_subrev_u32_e32 v49, 28, v51
	v_lshlrev_b64 v[49:50], v49, v[22:23]
	v_lshrrev_b32_e32 v11, 3, v48
	v_sub_u32_e32 v23, 29, v51
	v_cmp_gt_u32_e64 s[0:1], 8, v48
	v_and_b32_e32 v49, 7, v49
	v_cndmask_b32_e64 v11, v11, v23, s[0:1]
	v_cndmask_b32_e64 v22, v22, v49, s[0:1]
	v_lshlrev_b32_sdwa v15, v0, v15 dst_sel:DWORD dst_unused:UNUSED_PAD src0_sel:DWORD src1_sel:BYTE_3
	v_lshl_add_u32 v11, v11, 23, v35
	v_and_or_b32 v11, v15, s26, v11
	v_lshlrev_b32_e32 v15, 20, v22
	v_or_b32_e32 v23, v11, v15
	v_mov_b32_e32 v22, v5
.LBB208_200:                            ;   in Loop: Header=BB208_126 Depth=1
	s_or_b64 exec, exec, s[14:15]
.LBB208_201:                            ;   in Loop: Header=BB208_126 Depth=1
	s_or_b64 exec, exec, s[12:13]
.LBB208_202:                            ;   in Loop: Header=BB208_126 Depth=1
	s_or_b64 exec, exec, s[6:7]
	v_or_b32_e32 v11, v19, v17
	v_or_b32_e32 v15, v18, v16
	v_mul_f32_e32 v48, s18, v11
	v_mul_f32_e32 v49, s17, v15
	v_or_b32_e32 v11, v23, v21
	v_or_b32_e32 v15, v22, v20
	v_mul_f32_e32 v23, s17, v15
	v_mul_f32_e32 v22, s18, v11
	s_and_saveexec_b64 s[6:7], vcc
; %bb.203:                              ;   in Loop: Header=BB208_126 Depth=1
	v_cmp_gt_i32_e64 s[0:1], s30, v41
	v_cndmask_b32_e64 v49, 0, v49, s[0:1]
	v_cmp_gt_i32_e64 s[0:1], s30, v43
	v_cndmask_b32_e64 v48, 0, v48, s[0:1]
	;; [unrolled: 2-line block ×4, first 2 shown]
; %bb.204:                              ;   in Loop: Header=BB208_126 Depth=1
	s_or_b64 exec, exec, s[6:7]
	global_load_dword v13, v[13:14], off offset:768
	v_mov_b32_e32 v16, 0
	v_mov_b32_e32 v14, 0
	v_mov_b32_e32 v17, 0
	v_mov_b32_e32 v15, 0
	s_waitcnt vmcnt(0)
	v_cmp_ne_u16_sdwa s[0:1], v13, v5 src0_sel:BYTE_0 src1_sel:DWORD
	s_and_saveexec_b64 s[6:7], s[0:1]
	s_cbranch_execz .LBB208_210
; %bb.205:                              ;   in Loop: Header=BB208_126 Depth=1
	v_bfrev_b32_e32 v14, 1
	v_mov_b32_e32 v15, 0
	v_cmp_ne_u16_sdwa s[0:1], v13, s24 src0_sel:BYTE_0 src1_sel:DWORD
	s_and_saveexec_b64 s[12:13], s[0:1]
	s_cbranch_execz .LBB208_209
; %bb.206:                              ;   in Loop: Header=BB208_126 Depth=1
	v_and_b32_e32 v11, 0x7f, v13
	v_mov_b32_e32 v14, 0x7f800001
	v_mov_b32_e32 v15, 0
	v_cmp_ne_u32_e64 s[0:1], s25, v11
	s_and_saveexec_b64 s[14:15], s[0:1]
	s_cbranch_execz .LBB208_208
; %bb.207:                              ;   in Loop: Header=BB208_126 Depth=1
	v_and_b32_e32 v18, 7, v13
	v_ffbh_u32_e32 v14, v18
	v_min_u32_e32 v20, 32, v14
	v_subrev_u32_e32 v14, 28, v20
	v_lshlrev_b64 v[14:15], v14, v[13:14]
	v_lshrrev_b32_e32 v19, 3, v11
	v_sub_u32_e32 v15, 29, v20
	v_and_b32_e32 v14, 7, v14
	v_cmp_gt_u32_e64 s[0:1], 8, v11
	v_cndmask_b32_e64 v11, v19, v15, s[0:1]
	v_cndmask_b32_e64 v14, v18, v14, s[0:1]
	v_lshlrev_b32_e32 v14, 20, v14
	v_and_b32_sdwa v15, sext(v13), s26 dst_sel:DWORD dst_unused:UNUSED_PAD src0_sel:BYTE_0 src1_sel:DWORD
	v_lshl_add_u32 v11, v11, 23, v35
	v_or3_b32 v14, v15, v11, v14
	v_mov_b32_e32 v15, v5
.LBB208_208:                            ;   in Loop: Header=BB208_126 Depth=1
	s_or_b64 exec, exec, s[14:15]
.LBB208_209:                            ;   in Loop: Header=BB208_126 Depth=1
	s_or_b64 exec, exec, s[12:13]
.LBB208_210:                            ;   in Loop: Header=BB208_126 Depth=1
	s_or_b64 exec, exec, s[6:7]
	v_cmp_ne_u16_sdwa s[0:1], v13, v5 src0_sel:BYTE_1 src1_sel:DWORD
	s_and_saveexec_b64 s[6:7], s[0:1]
	s_cbranch_execz .LBB208_216
; %bb.211:                              ;   in Loop: Header=BB208_126 Depth=1
	v_mov_b32_e32 v17, v6
	v_cmp_ne_u16_sdwa s[0:1], v13, s24 src0_sel:BYTE_1 src1_sel:DWORD
	v_mov_b32_e32 v16, v5
	s_and_saveexec_b64 s[12:13], s[0:1]
	s_cbranch_execz .LBB208_215
; %bb.212:                              ;   in Loop: Header=BB208_126 Depth=1
	v_and_b32_sdwa v18, v13, s25 dst_sel:DWORD dst_unused:UNUSED_PAD src0_sel:BYTE_1 src1_sel:DWORD
	v_mov_b32_e32 v11, v5
	v_mov_b32_e32 v17, v12
	v_cmp_ne_u32_e64 s[0:1], s25, v18
	v_mov_b32_e32 v16, v11
	s_and_saveexec_b64 s[14:15], s[0:1]
	s_cbranch_execz .LBB208_214
; %bb.213:                              ;   in Loop: Header=BB208_126 Depth=1
	v_and_b32_sdwa v16, v13, v36 dst_sel:DWORD dst_unused:UNUSED_PAD src0_sel:BYTE_1 src1_sel:DWORD
	v_ffbh_u32_e32 v19, v16
	v_min_u32_e32 v21, 32, v19
	v_mov_b32_e32 v17, v5
	v_subrev_u32_e32 v19, 28, v21
	v_lshlrev_b64 v[19:20], v19, v[16:17]
	v_lshrrev_b32_e32 v11, 3, v18
	v_sub_u32_e32 v17, 29, v21
	v_cmp_gt_u32_e64 s[0:1], 8, v18
	v_and_b32_e32 v19, 7, v19
	v_cndmask_b32_e64 v11, v11, v17, s[0:1]
	v_cndmask_b32_e64 v16, v16, v19, s[0:1]
	v_lshlrev_b32_e32 v17, 16, v13
	v_lshl_add_u32 v11, v11, 23, v35
	v_and_or_b32 v11, v17, s26, v11
	v_lshlrev_b32_e32 v16, 20, v16
	v_or_b32_e32 v17, v11, v16
	v_mov_b32_e32 v16, v5
.LBB208_214:                            ;   in Loop: Header=BB208_126 Depth=1
	s_or_b64 exec, exec, s[14:15]
.LBB208_215:                            ;   in Loop: Header=BB208_126 Depth=1
	s_or_b64 exec, exec, s[12:13]
.LBB208_216:                            ;   in Loop: Header=BB208_126 Depth=1
	s_or_b64 exec, exec, s[6:7]
	v_lshrrev_b32_e32 v11, 16, v13
	v_mov_b32_e32 v20, 0
	v_mov_b32_e32 v18, 0
	;; [unrolled: 1-line block ×4, first 2 shown]
	v_cmp_ne_u16_sdwa s[0:1], v11, v5 src0_sel:BYTE_0 src1_sel:DWORD
	s_and_saveexec_b64 s[6:7], s[0:1]
	s_cbranch_execz .LBB208_222
; %bb.217:                              ;   in Loop: Header=BB208_126 Depth=1
	v_bfrev_b32_e32 v18, 1
	v_mov_b32_e32 v19, 0
	v_cmp_ne_u16_sdwa s[0:1], v11, s24 src0_sel:BYTE_0 src1_sel:DWORD
	s_and_saveexec_b64 s[12:13], s[0:1]
	s_cbranch_execz .LBB208_221
; %bb.218:                              ;   in Loop: Header=BB208_126 Depth=1
	v_bfe_u32 v50, v13, 16, 7
	v_mov_b32_e32 v18, 0x7f800001
	v_mov_b32_e32 v19, 0
	v_cmp_ne_u32_e64 s[0:1], s25, v50
	s_and_saveexec_b64 s[14:15], s[0:1]
	s_cbranch_execz .LBB208_220
; %bb.219:                              ;   in Loop: Header=BB208_126 Depth=1
	v_and_b32_e32 v51, 7, v11
	v_ffbh_u32_e32 v18, v51
	v_min_u32_e32 v53, 32, v18
	v_subrev_u32_e32 v18, 28, v53
	v_lshlrev_b64 v[18:19], v18, v[11:12]
	v_lshrrev_b32_e32 v52, 3, v50
	v_sub_u32_e32 v19, 29, v53
	v_and_b32_e32 v18, 7, v18
	v_cmp_gt_u32_e64 s[0:1], 8, v50
	v_cndmask_b32_e64 v19, v52, v19, s[0:1]
	v_cndmask_b32_e64 v18, v51, v18, s[0:1]
	v_lshlrev_b32_e32 v18, 20, v18
	v_and_b32_sdwa v11, sext(v11), s26 dst_sel:DWORD dst_unused:UNUSED_PAD src0_sel:BYTE_0 src1_sel:DWORD
	v_lshl_add_u32 v19, v19, 23, v35
	v_or3_b32 v18, v11, v19, v18
	v_mov_b32_e32 v19, v5
.LBB208_220:                            ;   in Loop: Header=BB208_126 Depth=1
	s_or_b64 exec, exec, s[14:15]
.LBB208_221:                            ;   in Loop: Header=BB208_126 Depth=1
	s_or_b64 exec, exec, s[12:13]
.LBB208_222:                            ;   in Loop: Header=BB208_126 Depth=1
	s_or_b64 exec, exec, s[6:7]
	v_cmp_lt_u32_e64 s[0:1], s27, v13
	s_and_saveexec_b64 s[6:7], s[0:1]
	s_cbranch_execz .LBB208_228
; %bb.223:                              ;   in Loop: Header=BB208_126 Depth=1
	v_mov_b32_e32 v21, v6
	v_cmp_ne_u32_sdwa s[0:1], v13, s24 src0_sel:BYTE_3 src1_sel:DWORD
	v_mov_b32_e32 v20, v5
	s_and_saveexec_b64 s[12:13], s[0:1]
	s_cbranch_execz .LBB208_227
; %bb.224:                              ;   in Loop: Header=BB208_126 Depth=1
	v_bfe_u32 v50, v13, 24, 7
	v_mov_b32_e32 v11, v5
	v_mov_b32_e32 v21, v12
	v_cmp_ne_u32_e64 s[0:1], s25, v50
	v_mov_b32_e32 v20, v11
	s_and_saveexec_b64 s[14:15], s[0:1]
	s_cbranch_execz .LBB208_226
; %bb.225:                              ;   in Loop: Header=BB208_126 Depth=1
	v_and_b32_sdwa v20, v13, v36 dst_sel:DWORD dst_unused:UNUSED_PAD src0_sel:BYTE_3 src1_sel:DWORD
	v_ffbh_u32_e32 v51, v20
	v_min_u32_e32 v53, 32, v51
	v_mov_b32_e32 v21, v5
	v_subrev_u32_e32 v51, 28, v53
	v_lshlrev_b64 v[51:52], v51, v[20:21]
	v_lshrrev_b32_e32 v11, 3, v50
	v_sub_u32_e32 v21, 29, v53
	v_cmp_gt_u32_e64 s[0:1], 8, v50
	v_and_b32_e32 v51, 7, v51
	v_cndmask_b32_e64 v11, v11, v21, s[0:1]
	v_cndmask_b32_e64 v20, v20, v51, s[0:1]
	v_lshlrev_b32_sdwa v13, v0, v13 dst_sel:DWORD dst_unused:UNUSED_PAD src0_sel:DWORD src1_sel:BYTE_3
	v_lshl_add_u32 v11, v11, 23, v35
	v_and_or_b32 v11, v13, s26, v11
	v_lshlrev_b32_e32 v13, 20, v20
	v_or_b32_e32 v21, v11, v13
	v_mov_b32_e32 v20, v5
.LBB208_226:                            ;   in Loop: Header=BB208_126 Depth=1
	s_or_b64 exec, exec, s[14:15]
.LBB208_227:                            ;   in Loop: Header=BB208_126 Depth=1
	s_or_b64 exec, exec, s[12:13]
.LBB208_228:                            ;   in Loop: Header=BB208_126 Depth=1
	s_or_b64 exec, exec, s[6:7]
	v_or_b32_e32 v13, v16, v14
	v_or_b32_e32 v11, v17, v15
	v_mul_f32_e32 v15, s17, v13
	v_or_b32_e32 v13, v21, v19
	v_or_b32_e32 v14, v20, v18
	v_mul_f32_e32 v11, s18, v11
	v_mul_f32_e32 v14, s17, v14
	;; [unrolled: 1-line block ×3, first 2 shown]
	s_and_saveexec_b64 s[0:1], vcc
	s_cbranch_execz .LBB208_125
; %bb.229:                              ;   in Loop: Header=BB208_126 Depth=1
	v_cmp_gt_i32_e32 vcc, s30, v41
	v_cndmask_b32_e32 v15, 0, v15, vcc
	v_cmp_gt_i32_e32 vcc, s30, v43
	v_cndmask_b32_e32 v11, 0, v11, vcc
	;; [unrolled: 2-line block ×4, first 2 shown]
	s_branch .LBB208_125
.LBB208_230:
	s_or_b64 exec, exec, s[4:5]
.LBB208_231:
	s_or_b64 exec, exec, s[2:3]
	ds_bpermute_b32 v1, v26, v32
	ds_bpermute_b32 v0, v26, v31
	;; [unrolled: 1-line block ×4, first 2 shown]
	s_waitcnt lgkmcnt(0)
	v_add_f32_e32 v1, v32, v1
	v_add_f32_e32 v0, v31, v0
	;; [unrolled: 1-line block ×4, first 2 shown]
	ds_bpermute_b32 v5, v25, v1
	ds_bpermute_b32 v4, v25, v0
	;; [unrolled: 1-line block ×4, first 2 shown]
	s_waitcnt lgkmcnt(0)
	s_barrier
	v_add_f32_e32 v1, v1, v5
	v_add_f32_e32 v0, v0, v4
	ds_bpermute_b32 v5, v27, v1
	v_add_f32_e32 v2, v2, v6
	v_add_f32_e32 v3, v3, v7
	ds_bpermute_b32 v4, v27, v0
	ds_bpermute_b32 v6, v27, v2
	;; [unrolled: 1-line block ×3, first 2 shown]
	s_waitcnt lgkmcnt(3)
	v_add_f32_e32 v1, v1, v5
	v_and_b32_e32 v5, 0x3c7, v54
	s_waitcnt lgkmcnt(2)
	v_add_f32_e32 v0, v0, v4
	s_waitcnt lgkmcnt(1)
	v_add_f32_e32 v2, v2, v6
	;; [unrolled: 2-line block ×3, first 2 shown]
	v_cmp_eq_u32_e32 vcc, 64, v5
	s_and_saveexec_b64 s[0:1], vcc
	s_cbranch_execz .LBB208_233
; %bb.232:
	v_lshrrev_b32_e32 v4, 1, v24
	v_add_u32_e32 v4, 0x90, v4
	ds_write2_b32 v4, v0, v1 offset1:8
	ds_write2_b32 v4, v2, v3 offset0:16 offset1:24
.LBB208_233:
	s_or_b64 exec, exec, s[0:1]
	v_cmp_gt_u32_e32 vcc, 64, v54
	v_lshrrev_b32_e32 v4, 3, v54
	s_waitcnt lgkmcnt(0)
	s_barrier
	s_and_saveexec_b64 s[0:1], vcc
	s_cbranch_execz .LBB208_240
; %bb.234:
	v_mov_b32_e32 v6, 0x90
	v_cmp_eq_u32_e32 vcc, 0, v28
	v_lshl_add_u32 v6, v4, 2, v6
	s_and_saveexec_b64 s[2:3], vcc
	s_cbranch_execnz .LBB208_243
; %bb.235:
	s_or_b64 exec, exec, s[2:3]
	s_and_saveexec_b64 s[2:3], vcc
	s_cbranch_execnz .LBB208_244
.LBB208_236:
	s_or_b64 exec, exec, s[2:3]
	s_and_saveexec_b64 s[2:3], vcc
	s_cbranch_execnz .LBB208_245
.LBB208_237:
	s_or_b64 exec, exec, s[2:3]
	s_and_saveexec_b64 s[2:3], vcc
	s_cbranch_execz .LBB208_239
.LBB208_238:
	ds_read_b32 v6, v6 offset:96
	s_waitcnt lgkmcnt(0)
	v_add_f32_e32 v3, v3, v6
.LBB208_239:
	s_or_b64 exec, exec, s[2:3]
.LBB208_240:
	s_or_b64 exec, exec, s[0:1]
	v_cmp_eq_u32_e32 vcc, 0, v5
	s_barrier
	s_and_saveexec_b64 s[0:1], vcc
	s_cbranch_execz .LBB208_242
; %bb.241:
	s_mul_i32 s0, s10, s11
	s_mul_i32 s0, s0, s9
	s_lshl_b32 s0, s0, 5
	s_ashr_i32 s1, s0, 31
	s_lshl_b64 s[0:1], s[0:1], 2
	s_add_u32 s2, s22, s0
	s_mul_i32 s0, s11, s20
	s_addc_u32 s3, s23, s1
	s_ashr_i32 s1, s0, 31
	s_lshl_b64 s[0:1], s[0:1], 2
	s_add_u32 s2, s2, s0
	s_addc_u32 s3, s3, s1
	s_lshl_b32 s0, s8, 5
	s_ashr_i32 s1, s0, 31
	s_lshl_b64 s[0:1], s[0:1], 2
	s_add_u32 s0, s2, s0
	s_addc_u32 s1, s3, s1
	v_lshlrev_b32_e32 v4, 2, v4
	global_store_dword v4, v0, s[0:1]
	global_store_dword v4, v1, s[0:1] offset:32
	global_store_dword v4, v2, s[0:1] offset:64
	;; [unrolled: 1-line block ×3, first 2 shown]
.LBB208_242:
	s_endpgm
.LBB208_243:
	ds_read_b32 v7, v6
	s_waitcnt lgkmcnt(0)
	v_add_f32_e32 v0, v0, v7
	s_or_b64 exec, exec, s[2:3]
	s_and_saveexec_b64 s[2:3], vcc
	s_cbranch_execz .LBB208_236
.LBB208_244:
	ds_read_b32 v7, v6 offset:32
	s_waitcnt lgkmcnt(0)
	v_add_f32_e32 v1, v1, v7
	s_or_b64 exec, exec, s[2:3]
	s_and_saveexec_b64 s[2:3], vcc
	s_cbranch_execz .LBB208_237
.LBB208_245:
	ds_read_b32 v7, v6 offset:64
	s_waitcnt lgkmcnt(0)
	v_add_f32_e32 v2, v2, v7
	s_or_b64 exec, exec, s[2:3]
	s_and_saveexec_b64 s[2:3], vcc
	s_cbranch_execnz .LBB208_238
	s_branch .LBB208_239
	.section	.rodata,"a",@progbits
	.p2align	6, 0x0
	.amdhsa_kernel _ZN4vllm25paged_attention_v1_kernelIfhLi32ELi32ELi128ELNS_18Fp8KVCacheDataTypeE1ELb0EEEvPT_PKS2_PKT0_S8_ifPKiSA_iPKfiiiSC_SC_iiiii
		.amdhsa_group_segment_fixed_size 144
		.amdhsa_private_segment_fixed_size 36
		.amdhsa_kernarg_size 384
		.amdhsa_user_sgpr_count 6
		.amdhsa_user_sgpr_private_segment_buffer 1
		.amdhsa_user_sgpr_dispatch_ptr 0
		.amdhsa_user_sgpr_queue_ptr 0
		.amdhsa_user_sgpr_kernarg_segment_ptr 1
		.amdhsa_user_sgpr_dispatch_id 0
		.amdhsa_user_sgpr_flat_scratch_init 0
		.amdhsa_user_sgpr_private_segment_size 0
		.amdhsa_uses_dynamic_stack 0
		.amdhsa_system_sgpr_private_segment_wavefront_offset 1
		.amdhsa_system_sgpr_workgroup_id_x 1
		.amdhsa_system_sgpr_workgroup_id_y 1
		.amdhsa_system_sgpr_workgroup_id_z 1
		.amdhsa_system_sgpr_workgroup_info 0
		.amdhsa_system_vgpr_workitem_id 0
		.amdhsa_next_free_vgpr 64
		.amdhsa_next_free_sgpr 52
		.amdhsa_reserve_vcc 1
		.amdhsa_reserve_flat_scratch 0
		.amdhsa_float_round_mode_32 0
		.amdhsa_float_round_mode_16_64 0
		.amdhsa_float_denorm_mode_32 3
		.amdhsa_float_denorm_mode_16_64 3
		.amdhsa_dx10_clamp 1
		.amdhsa_ieee_mode 1
		.amdhsa_fp16_overflow 0
		.amdhsa_exception_fp_ieee_invalid_op 0
		.amdhsa_exception_fp_denorm_src 0
		.amdhsa_exception_fp_ieee_div_zero 0
		.amdhsa_exception_fp_ieee_overflow 0
		.amdhsa_exception_fp_ieee_underflow 0
		.amdhsa_exception_fp_ieee_inexact 0
		.amdhsa_exception_int_div_zero 0
	.end_amdhsa_kernel
	.section	.text._ZN4vllm25paged_attention_v1_kernelIfhLi32ELi32ELi128ELNS_18Fp8KVCacheDataTypeE1ELb0EEEvPT_PKS2_PKT0_S8_ifPKiSA_iPKfiiiSC_SC_iiiii,"axG",@progbits,_ZN4vllm25paged_attention_v1_kernelIfhLi32ELi32ELi128ELNS_18Fp8KVCacheDataTypeE1ELb0EEEvPT_PKS2_PKT0_S8_ifPKiSA_iPKfiiiSC_SC_iiiii,comdat
.Lfunc_end208:
	.size	_ZN4vllm25paged_attention_v1_kernelIfhLi32ELi32ELi128ELNS_18Fp8KVCacheDataTypeE1ELb0EEEvPT_PKS2_PKT0_S8_ifPKiSA_iPKfiiiSC_SC_iiiii, .Lfunc_end208-_ZN4vllm25paged_attention_v1_kernelIfhLi32ELi32ELi128ELNS_18Fp8KVCacheDataTypeE1ELb0EEEvPT_PKS2_PKT0_S8_ifPKiSA_iPKfiiiSC_SC_iiiii
                                        ; -- End function
	.set _ZN4vllm25paged_attention_v1_kernelIfhLi32ELi32ELi128ELNS_18Fp8KVCacheDataTypeE1ELb0EEEvPT_PKS2_PKT0_S8_ifPKiSA_iPKfiiiSC_SC_iiiii.num_vgpr, 64
	.set _ZN4vllm25paged_attention_v1_kernelIfhLi32ELi32ELi128ELNS_18Fp8KVCacheDataTypeE1ELb0EEEvPT_PKS2_PKT0_S8_ifPKiSA_iPKfiiiSC_SC_iiiii.num_agpr, 0
	.set _ZN4vllm25paged_attention_v1_kernelIfhLi32ELi32ELi128ELNS_18Fp8KVCacheDataTypeE1ELb0EEEvPT_PKS2_PKT0_S8_ifPKiSA_iPKfiiiSC_SC_iiiii.numbered_sgpr, 52
	.set _ZN4vllm25paged_attention_v1_kernelIfhLi32ELi32ELi128ELNS_18Fp8KVCacheDataTypeE1ELb0EEEvPT_PKS2_PKT0_S8_ifPKiSA_iPKfiiiSC_SC_iiiii.num_named_barrier, 0
	.set _ZN4vllm25paged_attention_v1_kernelIfhLi32ELi32ELi128ELNS_18Fp8KVCacheDataTypeE1ELb0EEEvPT_PKS2_PKT0_S8_ifPKiSA_iPKfiiiSC_SC_iiiii.private_seg_size, 36
	.set _ZN4vllm25paged_attention_v1_kernelIfhLi32ELi32ELi128ELNS_18Fp8KVCacheDataTypeE1ELb0EEEvPT_PKS2_PKT0_S8_ifPKiSA_iPKfiiiSC_SC_iiiii.uses_vcc, 1
	.set _ZN4vllm25paged_attention_v1_kernelIfhLi32ELi32ELi128ELNS_18Fp8KVCacheDataTypeE1ELb0EEEvPT_PKS2_PKT0_S8_ifPKiSA_iPKfiiiSC_SC_iiiii.uses_flat_scratch, 0
	.set _ZN4vllm25paged_attention_v1_kernelIfhLi32ELi32ELi128ELNS_18Fp8KVCacheDataTypeE1ELb0EEEvPT_PKS2_PKT0_S8_ifPKiSA_iPKfiiiSC_SC_iiiii.has_dyn_sized_stack, 0
	.set _ZN4vllm25paged_attention_v1_kernelIfhLi32ELi32ELi128ELNS_18Fp8KVCacheDataTypeE1ELb0EEEvPT_PKS2_PKT0_S8_ifPKiSA_iPKfiiiSC_SC_iiiii.has_recursion, 0
	.set _ZN4vllm25paged_attention_v1_kernelIfhLi32ELi32ELi128ELNS_18Fp8KVCacheDataTypeE1ELb0EEEvPT_PKS2_PKT0_S8_ifPKiSA_iPKfiiiSC_SC_iiiii.has_indirect_call, 0
	.section	.AMDGPU.csdata,"",@progbits
; Kernel info:
; codeLenInByte = 10016
; TotalNumSgprs: 56
; NumVgprs: 64
; ScratchSize: 36
; MemoryBound: 0
; FloatMode: 240
; IeeeMode: 1
; LDSByteSize: 144 bytes/workgroup (compile time only)
; SGPRBlocks: 6
; VGPRBlocks: 15
; NumSGPRsForWavesPerEU: 56
; NumVGPRsForWavesPerEU: 64
; Occupancy: 4
; WaveLimiterHint : 1
; COMPUTE_PGM_RSRC2:SCRATCH_EN: 1
; COMPUTE_PGM_RSRC2:USER_SGPR: 6
; COMPUTE_PGM_RSRC2:TRAP_HANDLER: 0
; COMPUTE_PGM_RSRC2:TGID_X_EN: 1
; COMPUTE_PGM_RSRC2:TGID_Y_EN: 1
; COMPUTE_PGM_RSRC2:TGID_Z_EN: 1
; COMPUTE_PGM_RSRC2:TIDIG_COMP_CNT: 0
	.section	.text._ZN4vllm25paged_attention_v1_kernelIfhLi64ELi32ELi128ELNS_18Fp8KVCacheDataTypeE1ELb0EEEvPT_PKS2_PKT0_S8_ifPKiSA_iPKfiiiSC_SC_iiiii,"axG",@progbits,_ZN4vllm25paged_attention_v1_kernelIfhLi64ELi32ELi128ELNS_18Fp8KVCacheDataTypeE1ELb0EEEvPT_PKS2_PKT0_S8_ifPKiSA_iPKfiiiSC_SC_iiiii,comdat
	.protected	_ZN4vllm25paged_attention_v1_kernelIfhLi64ELi32ELi128ELNS_18Fp8KVCacheDataTypeE1ELb0EEEvPT_PKS2_PKT0_S8_ifPKiSA_iPKfiiiSC_SC_iiiii ; -- Begin function _ZN4vllm25paged_attention_v1_kernelIfhLi64ELi32ELi128ELNS_18Fp8KVCacheDataTypeE1ELb0EEEvPT_PKS2_PKT0_S8_ifPKiSA_iPKfiiiSC_SC_iiiii
	.globl	_ZN4vllm25paged_attention_v1_kernelIfhLi64ELi32ELi128ELNS_18Fp8KVCacheDataTypeE1ELb0EEEvPT_PKS2_PKT0_S8_ifPKiSA_iPKfiiiSC_SC_iiiii
	.p2align	8
	.type	_ZN4vllm25paged_attention_v1_kernelIfhLi64ELi32ELi128ELNS_18Fp8KVCacheDataTypeE1ELb0EEEvPT_PKS2_PKT0_S8_ifPKiSA_iPKfiiiSC_SC_iiiii,@function
_ZN4vllm25paged_attention_v1_kernelIfhLi64ELi32ELi128ELNS_18Fp8KVCacheDataTypeE1ELb0EEEvPT_PKS2_PKT0_S8_ifPKiSA_iPKfiiiSC_SC_iiiii: ; @_ZN4vllm25paged_attention_v1_kernelIfhLi64ELi32ELi128ELNS_18Fp8KVCacheDataTypeE1ELb0EEEvPT_PKS2_PKT0_S8_ifPKiSA_iPKfiiiSC_SC_iiiii
; %bb.0:
	s_mov_b64 s[50:51], s[2:3]
	s_mov_b64 s[48:49], s[0:1]
	s_add_u32 s48, s48, s9
	s_load_dword s9, s[4:5], 0x80
	s_load_dwordx2 s[0:1], s[4:5], 0x30
	s_load_dwordx2 s[30:31], s[4:5], 0x20
	s_addc_u32 s49, s49, 0
	s_mov_b32 s10, s7
	s_ashr_i32 s11, s7, 31
	s_lshl_b64 s[2:3], s[10:11], 2
	s_waitcnt lgkmcnt(0)
	s_add_u32 s0, s0, s2
	s_addc_u32 s1, s1, s3
	s_abs_i32 s2, s30
	v_mov_b32_e32 v13, v0
	v_cvt_f32_u32_e32 v0, s2
	s_sub_i32 s11, 0, s2
	s_abs_i32 s7, s9
	s_xor_b32 s3, s9, s30
	v_rcp_iflag_f32_e32 v0, v0
	s_ashr_i32 s3, s3, 31
	s_mov_b32 s33, 0
	v_mul_f32_e32 v0, 0x4f7ffffe, v0
	v_cvt_u32_f32_e32 v0, v0
	v_readfirstlane_b32 s12, v0
	s_mul_i32 s11, s11, s12
	s_mul_hi_u32 s11, s12, s11
	s_add_i32 s12, s12, s11
	s_mul_hi_u32 s11, s7, s12
	s_mul_i32 s12, s11, s2
	s_sub_i32 s7, s7, s12
	s_add_i32 s12, s11, 1
	s_sub_i32 s13, s7, s2
	s_cmp_ge_u32 s7, s2
	s_cselect_b32 s11, s12, s11
	s_cselect_b32 s7, s13, s7
	s_add_i32 s12, s11, 1
	s_cmp_ge_u32 s7, s2
	s_cselect_b32 s2, s12, s11
	s_xor_b32 s2, s2, s3
	s_sub_i32 s12, s2, s3
	s_abs_i32 s11, s12
	v_cvt_f32_u32_e32 v0, s11
	s_load_dwordx2 s[2:3], s[4:5], 0x40
	s_sub_i32 s7, 0, s11
	s_abs_i32 s16, s6
	v_rcp_iflag_f32_e32 v0, v0
	v_mul_f32_e32 v0, 0x4f7ffffe, v0
	v_cvt_u32_f32_e32 v0, v0
	v_readfirstlane_b32 s13, v0
	s_mul_i32 s7, s7, s13
	s_mul_hi_u32 s7, s13, s7
	s_add_i32 s13, s13, s7
	s_waitcnt lgkmcnt(0)
	s_cmp_eq_u64 s[2:3], 0
	s_mul_hi_u32 s17, s16, s13
	s_cbranch_scc1 .LBB209_2
; %bb.1:
	s_ashr_i32 s7, s6, 31
	s_lshl_b64 s[14:15], s[6:7], 2
	s_add_u32 s2, s2, s14
	s_addc_u32 s3, s3, s15
	s_load_dword s33, s[2:3], 0x0
.LBB209_2:
	s_load_dword s30, s[0:1], 0x0
	s_ashr_i32 s3, s12, 31
	s_load_dwordx4 s[12:15], s[4:5], 0x48
	s_ashr_i32 s2, s6, 31
	v_and_b32_e32 v0, 1, v13
	s_lshl_b32 s20, s6, 6
	v_cmp_gt_u32_e32 vcc, 32, v13
	v_lshlrev_b32_e32 v10, 2, v13
	s_and_saveexec_b64 s[0:1], vcc
	s_cbranch_execz .LBB209_4
; %bb.3:
	s_load_dwordx2 s[6:7], s[4:5], 0x8
	s_waitcnt lgkmcnt(0)
	s_mul_i32 s18, s12, s10
	s_ashr_i32 s19, s18, 31
	s_lshl_b64 s[18:19], s[18:19], 2
	v_lshlrev_b32_e32 v1, 3, v13
	s_add_u32 s12, s6, s18
	s_addc_u32 s15, s7, s19
	s_ashr_i32 s21, s20, 31
	s_lshl_b64 s[6:7], s[20:21], 2
	s_add_u32 s6, s12, s6
	s_addc_u32 s7, s15, s7
	global_load_dwordx2 v[1:2], v1, s[6:7]
	v_and_b32_e32 v3, 0xff8, v10
	v_lshl_add_u32 v3, v0, 7, v3
	s_waitcnt vmcnt(0)
	ds_write_b64 v3, v[1:2]
.LBB209_4:
	s_or_b64 exec, exec, s[0:1]
	s_waitcnt lgkmcnt(0)
	s_add_i32 s1, s30, 31
	s_ashr_i32 s6, s1, 31
	s_lshr_b32 s6, s6, 27
	s_add_i32 s1, s1, s6
	s_ashr_i32 s21, s1, 5
	s_xor_b32 s1, s2, s3
	s_mul_i32 s2, s17, s11
	s_sub_i32 s2, s16, s2
	s_add_i32 s3, s17, 1
	s_sub_i32 s6, s2, s11
	s_load_dwordx2 s[24:25], s[4:5], 0x28
	s_load_dword s0, s[4:5], 0x38
	s_cmp_ge_u32 s2, s11
	s_cselect_b32 s3, s3, s17
	s_cselect_b32 s2, s6, s2
	s_add_i32 s6, s3, 1
	s_cmp_ge_u32 s2, s11
	s_cselect_b32 s2, s6, s3
	v_lshrrev_b32_e32 v1, 6, v13
	s_xor_b32 s2, s2, s1
	s_waitcnt lgkmcnt(0)
	s_mul_i32 s26, s0, s10
	s_sub_i32 s12, s2, s1
	s_barrier
	s_ashr_i32 s27, s26, 31
	v_cmp_gt_i32_e64 s[0:1], s21, v1
	buffer_store_dword v1, off, s[48:51], 0 ; 4-byte Folded Spill
	v_cmp_le_i32_e32 vcc, s21, v1
	v_mbcnt_lo_u32_b32 v1, -1, 0
                                        ; implicit-def: $vgpr12
                                        ; implicit-def: $vgpr7
                                        ; implicit-def: $vgpr8
	s_and_saveexec_b64 s[2:3], vcc
	s_xor_b64 s[2:3], exec, s[2:3]
; %bb.5:
	v_mbcnt_hi_u32_b32 v12, -1, v1
	v_and_b32_e32 v7, 64, v12
	v_add_u32_e32 v8, 64, v7
                                        ; implicit-def: $vgpr0
                                        ; implicit-def: $vgpr1
; %bb.6:
	s_or_saveexec_b64 s[6:7], s[2:3]
	s_load_dwordx2 s[22:23], s[4:5], 0x0
	s_load_dwordx2 s[28:29], s[4:5], 0x18
	s_load_dword s11, s[4:5], 0x88
	s_load_dwordx4 s[16:19], s[4:5], 0x58
	v_mov_b32_e32 v55, 0xff7fffff
	s_mul_i32 s12, s12, s14
	v_lshrrev_b32_e32 v11, 4, v13
	buffer_store_dword v13, off, s[48:51], 0 offset:204 ; 4-byte Folded Spill
	s_xor_b64 exec, exec, s[6:7]
	s_cbranch_execz .LBB209_204
; %bb.7:
	buffer_load_dword v52, off, s[48:51], 0 ; 4-byte Folded Reload
	s_load_dwordx2 s[2:3], s[4:5], 0x10
	s_ashr_i32 s4, s12, 31
	v_bfe_u32 v2, v13, 1, 5
	v_lshlrev_b32_e32 v3, 4, v2
	v_lshlrev_b32_e32 v5, 1, v0
	s_waitcnt lgkmcnt(0)
	s_add_u32 s2, s2, s12
	s_addc_u32 s3, s3, s4
	v_mov_b32_e32 v4, s3
	v_add_co_u32_e32 v3, vcc, s2, v3
	v_mbcnt_hi_u32_b32 v7, -1, v1
	v_addc_co_u32_e32 v4, vcc, 0, v4, vcc
	v_and_b32_e32 v8, 64, v7
	v_add_co_u32_e64 v57, s[4:5], v3, v5
	v_xor_b32_e32 v1, 1, v7
	buffer_store_dword v8, off, s[48:51], 0 offset:216 ; 4-byte Folded Spill
	v_add_u32_e32 v8, 64, v8
	v_addc_co_u32_e64 v58, s[4:5], 0, v4, s[4:5]
	v_cmp_lt_i32_e32 vcc, v1, v8
	s_sub_i32 s41, 1, s30
	s_lshl_b64 s[4:5], s[26:27], 2
	v_cndmask_b32_e32 v1, v7, v1, vcc
	s_add_u32 s4, s24, s4
	v_lshlrev_b32_e32 v56, 2, v1
	v_and_b32_e32 v1, 60, v11
	s_addc_u32 s5, s25, s5
	v_lshlrev_b32_e32 v6, 7, v0
	v_cmp_eq_u32_e32 vcc, 0, v0
	v_lshlrev_b32_e32 v0, 2, v2
	buffer_store_dword v10, off, s[48:51], 0 offset:208 ; 4-byte Folded Spill
	s_load_dword s39, s[16:17], 0x0
	buffer_store_dword v8, off, s[48:51], 0 offset:220 ; 4-byte Folded Spill
	buffer_store_dword v7, off, s[48:51], 0 offset:212 ; 4-byte Folded Spill
	;; [unrolled: 1-line block ×3, first 2 shown]
	s_mov_b32 s38, s13
	v_mov_b32_e32 v47, 0
	v_cmp_neq_f32_e64 s[2:3], s33, 0
	s_waitcnt lgkmcnt(0)
	s_mov_b32 s40, s39
	v_mov_b32_e32 v55, 0xff7fffff
	s_mov_b64 s[14:15], 0
	s_movk_i32 s42, 0x80
	s_movk_i32 s43, 0x7f
	s_brev_b32 s44, 1
	v_bfrev_b32_e32 v62, 60
	v_bfrev_b32_e32 v48, 1
	v_mov_b32_e32 v59, 7
	v_mov_b32_e32 v46, 0x7f800001
	s_waitcnt vmcnt(5)
	v_lshl_or_b32 v63, v52, 5, v2
	v_mov_b32_e32 v2, s5
	v_add_co_u32_e64 v37, s[4:5], s4, v1
	v_addc_co_u32_e64 v38, s[4:5], 0, v2, s[4:5]
	ds_read_b128 v[1:4], v6
	s_waitcnt lgkmcnt(0)
	buffer_store_dword v1, off, s[48:51], 0 offset:76 ; 4-byte Folded Spill
	s_nop 0
	buffer_store_dword v2, off, s[48:51], 0 offset:80 ; 4-byte Folded Spill
	buffer_store_dword v3, off, s[48:51], 0 offset:84 ; 4-byte Folded Spill
	buffer_store_dword v4, off, s[48:51], 0 offset:88 ; 4-byte Folded Spill
	ds_read_b128 v[1:4], v6 offset:16
	s_waitcnt lgkmcnt(0)
	buffer_store_dword v1, off, s[48:51], 0 offset:92 ; 4-byte Folded Spill
	s_nop 0
	buffer_store_dword v2, off, s[48:51], 0 offset:96 ; 4-byte Folded Spill
	buffer_store_dword v3, off, s[48:51], 0 offset:100 ; 4-byte Folded Spill
	buffer_store_dword v4, off, s[48:51], 0 offset:104 ; 4-byte Folded Spill
	ds_read_b128 v[1:4], v6 offset:32
	;; [unrolled: 7-line block ×7, first 2 shown]
	v_lshl_or_b32 v0, v52, 7, v0
	v_add_u32_e32 v0, 0x110, v0
	s_waitcnt lgkmcnt(0)
	buffer_store_dword v1, off, s[48:51], 0 offset:188 ; 4-byte Folded Spill
	s_nop 0
	buffer_store_dword v2, off, s[48:51], 0 offset:192 ; 4-byte Folded Spill
	buffer_store_dword v3, off, s[48:51], 0 offset:196 ; 4-byte Folded Spill
	;; [unrolled: 1-line block ×3, first 2 shown]
	s_branch .LBB209_9
.LBB209_8:                              ;   in Loop: Header=BB209_9 Depth=1
	s_or_b64 exec, exec, s[16:17]
	v_add_u32_e32 v52, 2, v52
	v_cmp_le_i32_e64 s[4:5], s21, v52
	s_or_b64 s[14:15], s[4:5], s[14:15]
	v_add_co_u32_e64 v37, s[4:5], 8, v37
	v_add_u32_e32 v63, 64, v63
	v_add_u32_e32 v0, 0x100, v0
	v_addc_co_u32_e64 v38, s[4:5], 0, v38, s[4:5]
	s_andn2_b64 exec, exec, s[14:15]
	s_cbranch_execz .LBB209_203
.LBB209_9:                              ; =>This Inner Loop Header: Depth=1
	global_load_dword v1, v[37:38], off
	v_mov_b32_e32 v3, 0
	v_mov_b32_e32 v60, 0
	;; [unrolled: 1-line block ×4, first 2 shown]
	s_waitcnt vmcnt(0)
	v_mad_i64_i32 v[49:50], s[4:5], v1, s38, v[57:58]
	s_waitcnt lgkmcnt(0)
	global_load_ushort v2, v[49:50], off
	s_nop 0
	buffer_store_dword v3, off, s[48:51], 0 offset:4 ; 4-byte Folded Spill
	s_nop 0
	buffer_store_dword v4, off, s[48:51], 0 offset:8 ; 4-byte Folded Spill
	s_waitcnt vmcnt(2)
	v_and_b32_e32 v1, 0xffff, v2
	v_cmp_ne_u16_sdwa s[4:5], v2, v47 src0_sel:BYTE_0 src1_sel:DWORD
	s_and_saveexec_b64 s[16:17], s[4:5]
	s_cbranch_execz .LBB209_15
; %bb.10:                               ;   in Loop: Header=BB209_9 Depth=1
	v_bfrev_b32_e32 v60, 1
	v_mov_b32_e32 v61, 0
	v_cmp_ne_u16_sdwa s[4:5], v1, s42 src0_sel:BYTE_0 src1_sel:DWORD
	s_and_saveexec_b64 s[34:35], s[4:5]
	s_cbranch_execz .LBB209_14
; %bb.11:                               ;   in Loop: Header=BB209_9 Depth=1
	v_and_b32_e32 v2, 0x7f, v1
	v_mov_b32_e32 v60, 0x7f800001
	v_mov_b32_e32 v61, 0
	v_cmp_ne_u32_e64 s[4:5], s43, v2
	s_and_saveexec_b64 s[36:37], s[4:5]
	s_cbranch_execz .LBB209_13
; %bb.12:                               ;   in Loop: Header=BB209_9 Depth=1
	v_and_b32_e32 v4, 7, v1
	v_lshrrev_b32_e32 v5, 3, v2
	v_cmp_gt_u32_e64 s[4:5], 8, v2
	v_ffbh_u32_e32 v2, v4
	v_min_u32_e32 v6, 32, v2
	v_subrev_u32_e32 v2, 28, v6
	v_lshlrev_b64 v[2:3], v2, v[1:2]
	v_sub_u32_e32 v3, 29, v6
	v_and_b32_e32 v2, 7, v2
	v_cndmask_b32_e64 v3, v5, v3, s[4:5]
	v_cndmask_b32_e64 v2, v4, v2, s[4:5]
	v_lshlrev_b32_e32 v2, 20, v2
	v_and_b32_sdwa v4, sext(v1), s44 dst_sel:DWORD dst_unused:UNUSED_PAD src0_sel:BYTE_0 src1_sel:DWORD
	v_lshl_add_u32 v3, v3, 23, v62
	v_or3_b32 v60, v4, v3, v2
	v_mov_b32_e32 v61, v47
.LBB209_13:                             ;   in Loop: Header=BB209_9 Depth=1
	s_or_b64 exec, exec, s[36:37]
.LBB209_14:                             ;   in Loop: Header=BB209_9 Depth=1
	s_or_b64 exec, exec, s[34:35]
.LBB209_15:                             ;   in Loop: Header=BB209_9 Depth=1
	s_or_b64 exec, exec, s[16:17]
	v_cmp_ne_u16_sdwa s[4:5], v1, v47 src0_sel:BYTE_1 src1_sel:DWORD
	s_and_saveexec_b64 s[16:17], s[4:5]
	s_cbranch_execz .LBB209_21
; %bb.16:                               ;   in Loop: Header=BB209_9 Depth=1
	v_cmp_ne_u16_sdwa s[4:5], v1, s42 src0_sel:BYTE_1 src1_sel:DWORD
	buffer_store_dword v47, off, s[48:51], 0 offset:4 ; 4-byte Folded Spill
	s_nop 0
	buffer_store_dword v48, off, s[48:51], 0 offset:8 ; 4-byte Folded Spill
	s_and_saveexec_b64 s[34:35], s[4:5]
	s_cbranch_execz .LBB209_20
; %bb.17:                               ;   in Loop: Header=BB209_9 Depth=1
	v_and_b32_sdwa v2, v1, s43 dst_sel:DWORD dst_unused:UNUSED_PAD src0_sel:BYTE_1 src1_sel:DWORD
	v_cmp_ne_u32_e64 s[4:5], s43, v2
	v_mov_b32_e32 v45, v47
	buffer_store_dword v45, off, s[48:51], 0 offset:4 ; 4-byte Folded Spill
	s_nop 0
	buffer_store_dword v46, off, s[48:51], 0 offset:8 ; 4-byte Folded Spill
	s_and_saveexec_b64 s[36:37], s[4:5]
	s_cbranch_execz .LBB209_19
; %bb.18:                               ;   in Loop: Header=BB209_9 Depth=1
	v_and_b32_sdwa v3, v1, v59 dst_sel:DWORD dst_unused:UNUSED_PAD src0_sel:BYTE_1 src1_sel:DWORD
	v_lshrrev_b32_e32 v6, 3, v2
	v_cmp_gt_u32_e64 s[4:5], 8, v2
	v_ffbh_u32_e32 v2, v3
	v_min_u32_e32 v2, 32, v2
	v_mov_b32_e32 v4, v47
	v_subrev_u32_e32 v5, 28, v2
	v_lshlrev_b64 v[4:5], v5, v[3:4]
	v_sub_u32_e32 v2, 29, v2
	v_and_b32_e32 v4, 7, v4
	v_cndmask_b32_e64 v2, v6, v2, s[4:5]
	v_cndmask_b32_e64 v3, v3, v4, s[4:5]
	v_lshlrev_b32_e32 v1, 16, v1
	v_lshl_add_u32 v2, v2, 23, v62
	v_and_or_b32 v1, v1, s44, v2
	v_lshlrev_b32_e32 v2, 20, v3
	v_or_b32_e32 v2, v1, v2
	v_mov_b32_e32 v1, v47
	buffer_store_dword v1, off, s[48:51], 0 offset:4 ; 4-byte Folded Spill
	s_nop 0
	buffer_store_dword v2, off, s[48:51], 0 offset:8 ; 4-byte Folded Spill
.LBB209_19:                             ;   in Loop: Header=BB209_9 Depth=1
	s_or_b64 exec, exec, s[36:37]
.LBB209_20:                             ;   in Loop: Header=BB209_9 Depth=1
	s_or_b64 exec, exec, s[34:35]
.LBB209_21:                             ;   in Loop: Header=BB209_9 Depth=1
	s_or_b64 exec, exec, s[16:17]
	global_load_ushort v2, v[49:50], off offset:4
	s_waitcnt vmcnt(0)
	v_and_b32_e32 v1, 0xffff, v2
	v_cmp_ne_u16_sdwa s[4:5], v2, v47 src0_sel:BYTE_0 src1_sel:DWORD
	v_mov_b32_e32 v2, 0
	v_mov_b32_e32 v3, 0
	buffer_store_dword v2, off, s[48:51], 0 offset:20 ; 4-byte Folded Spill
	s_nop 0
	buffer_store_dword v3, off, s[48:51], 0 offset:24 ; 4-byte Folded Spill
	v_mov_b32_e32 v2, 0
	v_mov_b32_e32 v3, 0
	buffer_store_dword v2, off, s[48:51], 0 offset:12 ; 4-byte Folded Spill
	s_nop 0
	buffer_store_dword v3, off, s[48:51], 0 offset:16 ; 4-byte Folded Spill
	s_and_saveexec_b64 s[16:17], s[4:5]
	s_cbranch_execz .LBB209_27
; %bb.22:                               ;   in Loop: Header=BB209_9 Depth=1
	v_bfrev_b32_e32 v2, 1
	v_mov_b32_e32 v3, 0
	v_cmp_ne_u16_sdwa s[4:5], v1, s42 src0_sel:BYTE_0 src1_sel:DWORD
	buffer_store_dword v2, off, s[48:51], 0 offset:12 ; 4-byte Folded Spill
	s_nop 0
	buffer_store_dword v3, off, s[48:51], 0 offset:16 ; 4-byte Folded Spill
	s_and_saveexec_b64 s[34:35], s[4:5]
	s_cbranch_execz .LBB209_26
; %bb.23:                               ;   in Loop: Header=BB209_9 Depth=1
	v_and_b32_e32 v2, 0x7f, v1
	v_mov_b32_e32 v3, 0x7f800001
	v_mov_b32_e32 v4, 0
	v_cmp_ne_u32_e64 s[4:5], s43, v2
	buffer_store_dword v3, off, s[48:51], 0 offset:12 ; 4-byte Folded Spill
	s_nop 0
	buffer_store_dword v4, off, s[48:51], 0 offset:16 ; 4-byte Folded Spill
	s_and_saveexec_b64 s[36:37], s[4:5]
	s_cbranch_execz .LBB209_25
; %bb.24:                               ;   in Loop: Header=BB209_9 Depth=1
	v_and_b32_e32 v4, 7, v1
	v_lshrrev_b32_e32 v5, 3, v2
	v_cmp_gt_u32_e64 s[4:5], 8, v2
	v_ffbh_u32_e32 v2, v4
	v_min_u32_e32 v6, 32, v2
	v_subrev_u32_e32 v2, 28, v6
	v_lshlrev_b64 v[2:3], v2, v[1:2]
	v_sub_u32_e32 v3, 29, v6
	v_and_b32_e32 v2, 7, v2
	v_cndmask_b32_e64 v3, v5, v3, s[4:5]
	v_cndmask_b32_e64 v2, v4, v2, s[4:5]
	v_lshlrev_b32_e32 v2, 20, v2
	v_and_b32_sdwa v4, sext(v1), s44 dst_sel:DWORD dst_unused:UNUSED_PAD src0_sel:BYTE_0 src1_sel:DWORD
	v_lshl_add_u32 v3, v3, 23, v62
	v_or3_b32 v2, v4, v3, v2
	v_mov_b32_e32 v3, v47
	buffer_store_dword v2, off, s[48:51], 0 offset:12 ; 4-byte Folded Spill
	s_nop 0
	buffer_store_dword v3, off, s[48:51], 0 offset:16 ; 4-byte Folded Spill
.LBB209_25:                             ;   in Loop: Header=BB209_9 Depth=1
	s_or_b64 exec, exec, s[36:37]
.LBB209_26:                             ;   in Loop: Header=BB209_9 Depth=1
	s_or_b64 exec, exec, s[34:35]
.LBB209_27:                             ;   in Loop: Header=BB209_9 Depth=1
	s_or_b64 exec, exec, s[16:17]
	v_cmp_ne_u16_sdwa s[4:5], v1, v47 src0_sel:BYTE_1 src1_sel:DWORD
	s_and_saveexec_b64 s[16:17], s[4:5]
	s_cbranch_execz .LBB209_33
; %bb.28:                               ;   in Loop: Header=BB209_9 Depth=1
	v_cmp_ne_u16_sdwa s[4:5], v1, s42 src0_sel:BYTE_1 src1_sel:DWORD
	buffer_store_dword v47, off, s[48:51], 0 offset:20 ; 4-byte Folded Spill
	s_nop 0
	buffer_store_dword v48, off, s[48:51], 0 offset:24 ; 4-byte Folded Spill
	s_and_saveexec_b64 s[34:35], s[4:5]
	s_cbranch_execz .LBB209_32
; %bb.29:                               ;   in Loop: Header=BB209_9 Depth=1
	v_and_b32_sdwa v2, v1, s43 dst_sel:DWORD dst_unused:UNUSED_PAD src0_sel:BYTE_1 src1_sel:DWORD
	v_cmp_ne_u32_e64 s[4:5], s43, v2
	v_mov_b32_e32 v45, v47
	buffer_store_dword v45, off, s[48:51], 0 offset:20 ; 4-byte Folded Spill
	s_nop 0
	buffer_store_dword v46, off, s[48:51], 0 offset:24 ; 4-byte Folded Spill
	s_and_saveexec_b64 s[36:37], s[4:5]
	s_cbranch_execz .LBB209_31
; %bb.30:                               ;   in Loop: Header=BB209_9 Depth=1
	v_and_b32_sdwa v3, v1, v59 dst_sel:DWORD dst_unused:UNUSED_PAD src0_sel:BYTE_1 src1_sel:DWORD
	v_lshrrev_b32_e32 v6, 3, v2
	v_cmp_gt_u32_e64 s[4:5], 8, v2
	v_ffbh_u32_e32 v2, v3
	v_min_u32_e32 v2, 32, v2
	v_mov_b32_e32 v4, v47
	v_subrev_u32_e32 v5, 28, v2
	v_lshlrev_b64 v[4:5], v5, v[3:4]
	v_sub_u32_e32 v2, 29, v2
	v_and_b32_e32 v4, 7, v4
	v_cndmask_b32_e64 v2, v6, v2, s[4:5]
	v_cndmask_b32_e64 v3, v3, v4, s[4:5]
	v_lshlrev_b32_e32 v1, 16, v1
	v_lshl_add_u32 v2, v2, 23, v62
	v_and_or_b32 v1, v1, s44, v2
	v_lshlrev_b32_e32 v2, 20, v3
	v_or_b32_e32 v2, v1, v2
	v_mov_b32_e32 v1, v47
	buffer_store_dword v1, off, s[48:51], 0 offset:20 ; 4-byte Folded Spill
	s_nop 0
	buffer_store_dword v2, off, s[48:51], 0 offset:24 ; 4-byte Folded Spill
.LBB209_31:                             ;   in Loop: Header=BB209_9 Depth=1
	s_or_b64 exec, exec, s[36:37]
.LBB209_32:                             ;   in Loop: Header=BB209_9 Depth=1
	s_or_b64 exec, exec, s[34:35]
.LBB209_33:                             ;   in Loop: Header=BB209_9 Depth=1
	s_or_b64 exec, exec, s[16:17]
	global_load_ushort v2, v[49:50], off offset:8
	s_waitcnt vmcnt(0)
	v_and_b32_e32 v1, 0xffff, v2
	v_cmp_ne_u16_sdwa s[4:5], v2, v47 src0_sel:BYTE_0 src1_sel:DWORD
	v_mov_b32_e32 v2, 0
	v_mov_b32_e32 v3, 0
	buffer_store_dword v2, off, s[48:51], 0 offset:36 ; 4-byte Folded Spill
	s_nop 0
	buffer_store_dword v3, off, s[48:51], 0 offset:40 ; 4-byte Folded Spill
	v_mov_b32_e32 v2, 0
	v_mov_b32_e32 v3, 0
	buffer_store_dword v2, off, s[48:51], 0 offset:28 ; 4-byte Folded Spill
	s_nop 0
	buffer_store_dword v3, off, s[48:51], 0 offset:32 ; 4-byte Folded Spill
	s_and_saveexec_b64 s[16:17], s[4:5]
	s_cbranch_execz .LBB209_39
; %bb.34:                               ;   in Loop: Header=BB209_9 Depth=1
	v_bfrev_b32_e32 v2, 1
	v_mov_b32_e32 v3, 0
	v_cmp_ne_u16_sdwa s[4:5], v1, s42 src0_sel:BYTE_0 src1_sel:DWORD
	buffer_store_dword v2, off, s[48:51], 0 offset:28 ; 4-byte Folded Spill
	s_nop 0
	buffer_store_dword v3, off, s[48:51], 0 offset:32 ; 4-byte Folded Spill
	s_and_saveexec_b64 s[34:35], s[4:5]
	s_cbranch_execz .LBB209_38
; %bb.35:                               ;   in Loop: Header=BB209_9 Depth=1
	v_and_b32_e32 v2, 0x7f, v1
	v_mov_b32_e32 v3, 0x7f800001
	v_mov_b32_e32 v4, 0
	v_cmp_ne_u32_e64 s[4:5], s43, v2
	buffer_store_dword v3, off, s[48:51], 0 offset:28 ; 4-byte Folded Spill
	s_nop 0
	buffer_store_dword v4, off, s[48:51], 0 offset:32 ; 4-byte Folded Spill
	s_and_saveexec_b64 s[36:37], s[4:5]
	s_cbranch_execz .LBB209_37
; %bb.36:                               ;   in Loop: Header=BB209_9 Depth=1
	v_and_b32_e32 v4, 7, v1
	v_lshrrev_b32_e32 v5, 3, v2
	v_cmp_gt_u32_e64 s[4:5], 8, v2
	v_ffbh_u32_e32 v2, v4
	v_min_u32_e32 v6, 32, v2
	v_subrev_u32_e32 v2, 28, v6
	v_lshlrev_b64 v[2:3], v2, v[1:2]
	v_sub_u32_e32 v3, 29, v6
	v_and_b32_e32 v2, 7, v2
	v_cndmask_b32_e64 v3, v5, v3, s[4:5]
	v_cndmask_b32_e64 v2, v4, v2, s[4:5]
	v_lshlrev_b32_e32 v2, 20, v2
	v_and_b32_sdwa v4, sext(v1), s44 dst_sel:DWORD dst_unused:UNUSED_PAD src0_sel:BYTE_0 src1_sel:DWORD
	v_lshl_add_u32 v3, v3, 23, v62
	v_or3_b32 v2, v4, v3, v2
	v_mov_b32_e32 v3, v47
	buffer_store_dword v2, off, s[48:51], 0 offset:28 ; 4-byte Folded Spill
	s_nop 0
	buffer_store_dword v3, off, s[48:51], 0 offset:32 ; 4-byte Folded Spill
.LBB209_37:                             ;   in Loop: Header=BB209_9 Depth=1
	s_or_b64 exec, exec, s[36:37]
.LBB209_38:                             ;   in Loop: Header=BB209_9 Depth=1
	s_or_b64 exec, exec, s[34:35]
.LBB209_39:                             ;   in Loop: Header=BB209_9 Depth=1
	s_or_b64 exec, exec, s[16:17]
	v_cmp_ne_u16_sdwa s[4:5], v1, v47 src0_sel:BYTE_1 src1_sel:DWORD
	s_and_saveexec_b64 s[16:17], s[4:5]
	s_cbranch_execz .LBB209_45
; %bb.40:                               ;   in Loop: Header=BB209_9 Depth=1
	v_cmp_ne_u16_sdwa s[4:5], v1, s42 src0_sel:BYTE_1 src1_sel:DWORD
	buffer_store_dword v47, off, s[48:51], 0 offset:36 ; 4-byte Folded Spill
	s_nop 0
	buffer_store_dword v48, off, s[48:51], 0 offset:40 ; 4-byte Folded Spill
	s_and_saveexec_b64 s[34:35], s[4:5]
	s_cbranch_execz .LBB209_44
; %bb.41:                               ;   in Loop: Header=BB209_9 Depth=1
	v_and_b32_sdwa v2, v1, s43 dst_sel:DWORD dst_unused:UNUSED_PAD src0_sel:BYTE_1 src1_sel:DWORD
	v_cmp_ne_u32_e64 s[4:5], s43, v2
	v_mov_b32_e32 v45, v47
	buffer_store_dword v45, off, s[48:51], 0 offset:36 ; 4-byte Folded Spill
	s_nop 0
	buffer_store_dword v46, off, s[48:51], 0 offset:40 ; 4-byte Folded Spill
	s_and_saveexec_b64 s[36:37], s[4:5]
	s_cbranch_execz .LBB209_43
; %bb.42:                               ;   in Loop: Header=BB209_9 Depth=1
	v_and_b32_sdwa v3, v1, v59 dst_sel:DWORD dst_unused:UNUSED_PAD src0_sel:BYTE_1 src1_sel:DWORD
	v_lshrrev_b32_e32 v6, 3, v2
	v_cmp_gt_u32_e64 s[4:5], 8, v2
	v_ffbh_u32_e32 v2, v3
	v_min_u32_e32 v2, 32, v2
	v_mov_b32_e32 v4, v47
	v_subrev_u32_e32 v5, 28, v2
	v_lshlrev_b64 v[4:5], v5, v[3:4]
	v_sub_u32_e32 v2, 29, v2
	v_and_b32_e32 v4, 7, v4
	v_cndmask_b32_e64 v2, v6, v2, s[4:5]
	v_cndmask_b32_e64 v3, v3, v4, s[4:5]
	v_lshlrev_b32_e32 v1, 16, v1
	v_lshl_add_u32 v2, v2, 23, v62
	v_and_or_b32 v1, v1, s44, v2
	v_lshlrev_b32_e32 v2, 20, v3
	v_or_b32_e32 v2, v1, v2
	v_mov_b32_e32 v1, v47
	buffer_store_dword v1, off, s[48:51], 0 offset:36 ; 4-byte Folded Spill
	s_nop 0
	buffer_store_dword v2, off, s[48:51], 0 offset:40 ; 4-byte Folded Spill
.LBB209_43:                             ;   in Loop: Header=BB209_9 Depth=1
	s_or_b64 exec, exec, s[36:37]
.LBB209_44:                             ;   in Loop: Header=BB209_9 Depth=1
	s_or_b64 exec, exec, s[34:35]
.LBB209_45:                             ;   in Loop: Header=BB209_9 Depth=1
	s_or_b64 exec, exec, s[16:17]
	global_load_ushort v2, v[49:50], off offset:12
	s_waitcnt vmcnt(0)
	v_and_b32_e32 v1, 0xffff, v2
	v_cmp_ne_u16_sdwa s[4:5], v2, v47 src0_sel:BYTE_0 src1_sel:DWORD
	v_mov_b32_e32 v2, 0
	v_mov_b32_e32 v3, 0
	buffer_store_dword v2, off, s[48:51], 0 offset:52 ; 4-byte Folded Spill
	s_nop 0
	buffer_store_dword v3, off, s[48:51], 0 offset:56 ; 4-byte Folded Spill
	v_mov_b32_e32 v2, 0
	v_mov_b32_e32 v3, 0
	buffer_store_dword v2, off, s[48:51], 0 offset:44 ; 4-byte Folded Spill
	s_nop 0
	buffer_store_dword v3, off, s[48:51], 0 offset:48 ; 4-byte Folded Spill
	s_and_saveexec_b64 s[16:17], s[4:5]
	s_cbranch_execz .LBB209_51
; %bb.46:                               ;   in Loop: Header=BB209_9 Depth=1
	v_bfrev_b32_e32 v2, 1
	v_mov_b32_e32 v3, 0
	v_cmp_ne_u16_sdwa s[4:5], v1, s42 src0_sel:BYTE_0 src1_sel:DWORD
	buffer_store_dword v2, off, s[48:51], 0 offset:44 ; 4-byte Folded Spill
	s_nop 0
	buffer_store_dword v3, off, s[48:51], 0 offset:48 ; 4-byte Folded Spill
	s_and_saveexec_b64 s[34:35], s[4:5]
	s_cbranch_execz .LBB209_50
; %bb.47:                               ;   in Loop: Header=BB209_9 Depth=1
	v_and_b32_e32 v2, 0x7f, v1
	v_mov_b32_e32 v3, 0x7f800001
	v_mov_b32_e32 v4, 0
	v_cmp_ne_u32_e64 s[4:5], s43, v2
	buffer_store_dword v3, off, s[48:51], 0 offset:44 ; 4-byte Folded Spill
	s_nop 0
	buffer_store_dword v4, off, s[48:51], 0 offset:48 ; 4-byte Folded Spill
	s_and_saveexec_b64 s[36:37], s[4:5]
	s_cbranch_execz .LBB209_49
; %bb.48:                               ;   in Loop: Header=BB209_9 Depth=1
	v_and_b32_e32 v4, 7, v1
	v_lshrrev_b32_e32 v5, 3, v2
	v_cmp_gt_u32_e64 s[4:5], 8, v2
	v_ffbh_u32_e32 v2, v4
	v_min_u32_e32 v6, 32, v2
	v_subrev_u32_e32 v2, 28, v6
	v_lshlrev_b64 v[2:3], v2, v[1:2]
	v_sub_u32_e32 v3, 29, v6
	v_and_b32_e32 v2, 7, v2
	v_cndmask_b32_e64 v3, v5, v3, s[4:5]
	v_cndmask_b32_e64 v2, v4, v2, s[4:5]
	v_lshlrev_b32_e32 v2, 20, v2
	v_and_b32_sdwa v4, sext(v1), s44 dst_sel:DWORD dst_unused:UNUSED_PAD src0_sel:BYTE_0 src1_sel:DWORD
	v_lshl_add_u32 v3, v3, 23, v62
	v_or3_b32 v2, v4, v3, v2
	v_mov_b32_e32 v3, v47
	buffer_store_dword v2, off, s[48:51], 0 offset:44 ; 4-byte Folded Spill
	s_nop 0
	buffer_store_dword v3, off, s[48:51], 0 offset:48 ; 4-byte Folded Spill
.LBB209_49:                             ;   in Loop: Header=BB209_9 Depth=1
	s_or_b64 exec, exec, s[36:37]
.LBB209_50:                             ;   in Loop: Header=BB209_9 Depth=1
	s_or_b64 exec, exec, s[34:35]
.LBB209_51:                             ;   in Loop: Header=BB209_9 Depth=1
	s_or_b64 exec, exec, s[16:17]
	v_cmp_ne_u16_sdwa s[4:5], v1, v47 src0_sel:BYTE_1 src1_sel:DWORD
	s_and_saveexec_b64 s[16:17], s[4:5]
	s_cbranch_execz .LBB209_57
; %bb.52:                               ;   in Loop: Header=BB209_9 Depth=1
	v_cmp_ne_u16_sdwa s[4:5], v1, s42 src0_sel:BYTE_1 src1_sel:DWORD
	buffer_store_dword v47, off, s[48:51], 0 offset:52 ; 4-byte Folded Spill
	s_nop 0
	buffer_store_dword v48, off, s[48:51], 0 offset:56 ; 4-byte Folded Spill
	s_and_saveexec_b64 s[34:35], s[4:5]
	s_cbranch_execz .LBB209_56
; %bb.53:                               ;   in Loop: Header=BB209_9 Depth=1
	v_and_b32_sdwa v2, v1, s43 dst_sel:DWORD dst_unused:UNUSED_PAD src0_sel:BYTE_1 src1_sel:DWORD
	v_cmp_ne_u32_e64 s[4:5], s43, v2
	v_mov_b32_e32 v45, v47
	buffer_store_dword v45, off, s[48:51], 0 offset:52 ; 4-byte Folded Spill
	s_nop 0
	buffer_store_dword v46, off, s[48:51], 0 offset:56 ; 4-byte Folded Spill
	s_and_saveexec_b64 s[36:37], s[4:5]
	s_cbranch_execz .LBB209_55
; %bb.54:                               ;   in Loop: Header=BB209_9 Depth=1
	v_and_b32_sdwa v3, v1, v59 dst_sel:DWORD dst_unused:UNUSED_PAD src0_sel:BYTE_1 src1_sel:DWORD
	v_lshrrev_b32_e32 v6, 3, v2
	v_cmp_gt_u32_e64 s[4:5], 8, v2
	v_ffbh_u32_e32 v2, v3
	v_min_u32_e32 v2, 32, v2
	v_mov_b32_e32 v4, v47
	v_subrev_u32_e32 v5, 28, v2
	v_lshlrev_b64 v[4:5], v5, v[3:4]
	v_sub_u32_e32 v2, 29, v2
	v_and_b32_e32 v4, 7, v4
	v_cndmask_b32_e64 v2, v6, v2, s[4:5]
	v_cndmask_b32_e64 v3, v3, v4, s[4:5]
	v_lshlrev_b32_e32 v1, 16, v1
	v_lshl_add_u32 v2, v2, 23, v62
	v_and_or_b32 v1, v1, s44, v2
	v_lshlrev_b32_e32 v2, 20, v3
	v_or_b32_e32 v2, v1, v2
	v_mov_b32_e32 v1, v47
	buffer_store_dword v1, off, s[48:51], 0 offset:52 ; 4-byte Folded Spill
	s_nop 0
	buffer_store_dword v2, off, s[48:51], 0 offset:56 ; 4-byte Folded Spill
.LBB209_55:                             ;   in Loop: Header=BB209_9 Depth=1
	s_or_b64 exec, exec, s[36:37]
.LBB209_56:                             ;   in Loop: Header=BB209_9 Depth=1
	s_or_b64 exec, exec, s[34:35]
.LBB209_57:                             ;   in Loop: Header=BB209_9 Depth=1
	s_or_b64 exec, exec, s[16:17]
	global_load_ushort v2, v[49:50], off offset:512
	s_waitcnt vmcnt(0)
	v_and_b32_e32 v1, 0xffff, v2
	v_cmp_ne_u16_sdwa s[4:5], v2, v47 src0_sel:BYTE_0 src1_sel:DWORD
	v_mov_b32_e32 v2, 0
	v_mov_b32_e32 v3, 0
	buffer_store_dword v2, off, s[48:51], 0 offset:68 ; 4-byte Folded Spill
	s_nop 0
	buffer_store_dword v3, off, s[48:51], 0 offset:72 ; 4-byte Folded Spill
	v_mov_b32_e32 v2, 0
	v_mov_b32_e32 v3, 0
	buffer_store_dword v2, off, s[48:51], 0 offset:60 ; 4-byte Folded Spill
	s_nop 0
	buffer_store_dword v3, off, s[48:51], 0 offset:64 ; 4-byte Folded Spill
	s_and_saveexec_b64 s[16:17], s[4:5]
	s_cbranch_execz .LBB209_63
; %bb.58:                               ;   in Loop: Header=BB209_9 Depth=1
	v_bfrev_b32_e32 v2, 1
	v_mov_b32_e32 v3, 0
	v_cmp_ne_u16_sdwa s[4:5], v1, s42 src0_sel:BYTE_0 src1_sel:DWORD
	buffer_store_dword v2, off, s[48:51], 0 offset:60 ; 4-byte Folded Spill
	s_nop 0
	buffer_store_dword v3, off, s[48:51], 0 offset:64 ; 4-byte Folded Spill
	s_and_saveexec_b64 s[34:35], s[4:5]
	s_cbranch_execz .LBB209_62
; %bb.59:                               ;   in Loop: Header=BB209_9 Depth=1
	v_and_b32_e32 v2, 0x7f, v1
	v_mov_b32_e32 v3, 0x7f800001
	v_mov_b32_e32 v4, 0
	v_cmp_ne_u32_e64 s[4:5], s43, v2
	buffer_store_dword v3, off, s[48:51], 0 offset:60 ; 4-byte Folded Spill
	s_nop 0
	buffer_store_dword v4, off, s[48:51], 0 offset:64 ; 4-byte Folded Spill
	s_and_saveexec_b64 s[36:37], s[4:5]
	s_cbranch_execz .LBB209_61
; %bb.60:                               ;   in Loop: Header=BB209_9 Depth=1
	v_and_b32_e32 v4, 7, v1
	v_lshrrev_b32_e32 v5, 3, v2
	v_cmp_gt_u32_e64 s[4:5], 8, v2
	v_ffbh_u32_e32 v2, v4
	v_min_u32_e32 v6, 32, v2
	v_subrev_u32_e32 v2, 28, v6
	v_lshlrev_b64 v[2:3], v2, v[1:2]
	v_sub_u32_e32 v3, 29, v6
	v_and_b32_e32 v2, 7, v2
	v_cndmask_b32_e64 v3, v5, v3, s[4:5]
	v_cndmask_b32_e64 v2, v4, v2, s[4:5]
	v_lshlrev_b32_e32 v2, 20, v2
	v_and_b32_sdwa v4, sext(v1), s44 dst_sel:DWORD dst_unused:UNUSED_PAD src0_sel:BYTE_0 src1_sel:DWORD
	v_lshl_add_u32 v3, v3, 23, v62
	v_or3_b32 v2, v4, v3, v2
	v_mov_b32_e32 v3, v47
	buffer_store_dword v2, off, s[48:51], 0 offset:60 ; 4-byte Folded Spill
	s_nop 0
	buffer_store_dword v3, off, s[48:51], 0 offset:64 ; 4-byte Folded Spill
.LBB209_61:                             ;   in Loop: Header=BB209_9 Depth=1
	s_or_b64 exec, exec, s[36:37]
.LBB209_62:                             ;   in Loop: Header=BB209_9 Depth=1
	s_or_b64 exec, exec, s[34:35]
.LBB209_63:                             ;   in Loop: Header=BB209_9 Depth=1
	s_or_b64 exec, exec, s[16:17]
	v_cmp_ne_u16_sdwa s[4:5], v1, v47 src0_sel:BYTE_1 src1_sel:DWORD
	s_and_saveexec_b64 s[16:17], s[4:5]
	s_cbranch_execz .LBB209_69
; %bb.64:                               ;   in Loop: Header=BB209_9 Depth=1
	v_cmp_ne_u16_sdwa s[4:5], v1, s42 src0_sel:BYTE_1 src1_sel:DWORD
	buffer_store_dword v47, off, s[48:51], 0 offset:68 ; 4-byte Folded Spill
	s_nop 0
	buffer_store_dword v48, off, s[48:51], 0 offset:72 ; 4-byte Folded Spill
	s_and_saveexec_b64 s[34:35], s[4:5]
	s_cbranch_execz .LBB209_68
; %bb.65:                               ;   in Loop: Header=BB209_9 Depth=1
	v_and_b32_sdwa v2, v1, s43 dst_sel:DWORD dst_unused:UNUSED_PAD src0_sel:BYTE_1 src1_sel:DWORD
	v_cmp_ne_u32_e64 s[4:5], s43, v2
	v_mov_b32_e32 v45, v47
	buffer_store_dword v45, off, s[48:51], 0 offset:68 ; 4-byte Folded Spill
	s_nop 0
	buffer_store_dword v46, off, s[48:51], 0 offset:72 ; 4-byte Folded Spill
	s_and_saveexec_b64 s[36:37], s[4:5]
	s_cbranch_execz .LBB209_67
; %bb.66:                               ;   in Loop: Header=BB209_9 Depth=1
	v_and_b32_sdwa v3, v1, v59 dst_sel:DWORD dst_unused:UNUSED_PAD src0_sel:BYTE_1 src1_sel:DWORD
	v_lshrrev_b32_e32 v6, 3, v2
	v_cmp_gt_u32_e64 s[4:5], 8, v2
	v_ffbh_u32_e32 v2, v3
	v_min_u32_e32 v2, 32, v2
	v_mov_b32_e32 v4, v47
	v_subrev_u32_e32 v5, 28, v2
	v_lshlrev_b64 v[4:5], v5, v[3:4]
	v_sub_u32_e32 v2, 29, v2
	v_and_b32_e32 v4, 7, v4
	v_cndmask_b32_e64 v2, v6, v2, s[4:5]
	v_cndmask_b32_e64 v3, v3, v4, s[4:5]
	v_lshlrev_b32_e32 v1, 16, v1
	v_lshl_add_u32 v2, v2, 23, v62
	v_and_or_b32 v1, v1, s44, v2
	v_lshlrev_b32_e32 v2, 20, v3
	v_or_b32_e32 v2, v1, v2
	v_mov_b32_e32 v1, v47
	buffer_store_dword v1, off, s[48:51], 0 offset:68 ; 4-byte Folded Spill
	s_nop 0
	buffer_store_dword v2, off, s[48:51], 0 offset:72 ; 4-byte Folded Spill
.LBB209_67:                             ;   in Loop: Header=BB209_9 Depth=1
	s_or_b64 exec, exec, s[36:37]
.LBB209_68:                             ;   in Loop: Header=BB209_9 Depth=1
	s_or_b64 exec, exec, s[34:35]
.LBB209_69:                             ;   in Loop: Header=BB209_9 Depth=1
	s_or_b64 exec, exec, s[16:17]
	global_load_ushort v1, v[49:50], off offset:516
	v_mov_b32_e32 v35, 0
	v_mov_b32_e32 v36, 0
	s_waitcnt vmcnt(0)
	v_and_b32_e32 v3, 0xffff, v1
	v_cmp_ne_u16_sdwa s[4:5], v1, v47 src0_sel:BYTE_0 src1_sel:DWORD
	v_mov_b32_e32 v1, 0
	v_mov_b32_e32 v2, 0
	s_and_saveexec_b64 s[16:17], s[4:5]
	s_cbranch_execz .LBB209_75
; %bb.70:                               ;   in Loop: Header=BB209_9 Depth=1
	v_bfrev_b32_e32 v35, 1
	v_mov_b32_e32 v36, 0
	v_cmp_ne_u16_sdwa s[4:5], v3, s42 src0_sel:BYTE_0 src1_sel:DWORD
	s_and_saveexec_b64 s[34:35], s[4:5]
	s_cbranch_execz .LBB209_74
; %bb.71:                               ;   in Loop: Header=BB209_9 Depth=1
	v_and_b32_e32 v4, 0x7f, v3
	v_mov_b32_e32 v35, 0x7f800001
	v_mov_b32_e32 v36, 0
	v_cmp_ne_u32_e64 s[4:5], s43, v4
	s_and_saveexec_b64 s[36:37], s[4:5]
	s_cbranch_execz .LBB209_73
; %bb.72:                               ;   in Loop: Header=BB209_9 Depth=1
	v_and_b32_e32 v6, 7, v3
	v_lshrrev_b32_e32 v7, 3, v4
	v_cmp_gt_u32_e64 s[4:5], 8, v4
	v_ffbh_u32_e32 v4, v6
	v_min_u32_e32 v8, 32, v4
	v_subrev_u32_e32 v4, 28, v8
	v_lshlrev_b64 v[4:5], v4, v[3:4]
	v_sub_u32_e32 v5, 29, v8
	v_and_b32_e32 v4, 7, v4
	v_cndmask_b32_e64 v5, v7, v5, s[4:5]
	v_cndmask_b32_e64 v4, v6, v4, s[4:5]
	v_lshlrev_b32_e32 v4, 20, v4
	v_and_b32_sdwa v6, sext(v3), s44 dst_sel:DWORD dst_unused:UNUSED_PAD src0_sel:BYTE_0 src1_sel:DWORD
	v_lshl_add_u32 v5, v5, 23, v62
	v_or3_b32 v35, v6, v5, v4
	v_mov_b32_e32 v36, v47
.LBB209_73:                             ;   in Loop: Header=BB209_9 Depth=1
	s_or_b64 exec, exec, s[36:37]
.LBB209_74:                             ;   in Loop: Header=BB209_9 Depth=1
	s_or_b64 exec, exec, s[34:35]
.LBB209_75:                             ;   in Loop: Header=BB209_9 Depth=1
	s_or_b64 exec, exec, s[16:17]
	v_cmp_ne_u16_sdwa s[4:5], v3, v47 src0_sel:BYTE_1 src1_sel:DWORD
	s_and_saveexec_b64 s[16:17], s[4:5]
	s_cbranch_execz .LBB209_81
; %bb.76:                               ;   in Loop: Header=BB209_9 Depth=1
	v_mov_b32_e32 v1, v47
	v_cmp_ne_u16_sdwa s[4:5], v3, s42 src0_sel:BYTE_1 src1_sel:DWORD
	v_mov_b32_e32 v2, v48
	s_and_saveexec_b64 s[34:35], s[4:5]
	s_cbranch_execz .LBB209_80
; %bb.77:                               ;   in Loop: Header=BB209_9 Depth=1
	v_mov_b32_e32 v45, v47
	v_and_b32_sdwa v4, v3, s43 dst_sel:DWORD dst_unused:UNUSED_PAD src0_sel:BYTE_1 src1_sel:DWORD
	v_mov_b32_e32 v1, v45
	v_cmp_ne_u32_e64 s[4:5], s43, v4
	v_mov_b32_e32 v2, v46
	s_and_saveexec_b64 s[36:37], s[4:5]
	s_cbranch_execz .LBB209_79
; %bb.78:                               ;   in Loop: Header=BB209_9 Depth=1
	v_and_b32_sdwa v1, v3, v59 dst_sel:DWORD dst_unused:UNUSED_PAD src0_sel:BYTE_1 src1_sel:DWORD
	v_lshrrev_b32_e32 v6, 3, v4
	v_cmp_gt_u32_e64 s[4:5], 8, v4
	v_ffbh_u32_e32 v4, v1
	v_min_u32_e32 v7, 32, v4
	v_mov_b32_e32 v2, v47
	v_subrev_u32_e32 v4, 28, v7
	v_lshlrev_b64 v[4:5], v4, v[1:2]
	v_sub_u32_e32 v2, 29, v7
	v_and_b32_e32 v4, 7, v4
	v_cndmask_b32_e64 v2, v6, v2, s[4:5]
	v_cndmask_b32_e64 v1, v1, v4, s[4:5]
	v_lshlrev_b32_e32 v3, 16, v3
	v_lshl_add_u32 v2, v2, 23, v62
	v_and_or_b32 v2, v3, s44, v2
	v_lshlrev_b32_e32 v1, 20, v1
	v_or_b32_e32 v2, v2, v1
	v_mov_b32_e32 v1, v47
.LBB209_79:                             ;   in Loop: Header=BB209_9 Depth=1
	s_or_b64 exec, exec, s[36:37]
.LBB209_80:                             ;   in Loop: Header=BB209_9 Depth=1
	s_or_b64 exec, exec, s[34:35]
.LBB209_81:                             ;   in Loop: Header=BB209_9 Depth=1
	s_or_b64 exec, exec, s[16:17]
	global_load_ushort v3, v[49:50], off offset:520
	v_mov_b32_e32 v5, 0
	v_mov_b32_e32 v6, 0
	s_waitcnt vmcnt(0)
	v_and_b32_e32 v7, 0xffff, v3
	v_cmp_ne_u16_sdwa s[4:5], v3, v47 src0_sel:BYTE_0 src1_sel:DWORD
	v_mov_b32_e32 v3, 0
	v_mov_b32_e32 v4, 0
	s_and_saveexec_b64 s[16:17], s[4:5]
	s_cbranch_execz .LBB209_87
; %bb.82:                               ;   in Loop: Header=BB209_9 Depth=1
	v_bfrev_b32_e32 v3, 1
	v_mov_b32_e32 v4, 0
	v_cmp_ne_u16_sdwa s[4:5], v7, s42 src0_sel:BYTE_0 src1_sel:DWORD
	s_and_saveexec_b64 s[34:35], s[4:5]
	s_cbranch_execz .LBB209_86
; %bb.83:                               ;   in Loop: Header=BB209_9 Depth=1
	v_and_b32_e32 v8, 0x7f, v7
	v_mov_b32_e32 v3, 0x7f800001
	v_mov_b32_e32 v4, 0
	v_cmp_ne_u32_e64 s[4:5], s43, v8
	s_and_saveexec_b64 s[36:37], s[4:5]
	s_cbranch_execz .LBB209_85
; %bb.84:                               ;   in Loop: Header=BB209_9 Depth=1
	v_and_b32_e32 v9, 7, v7
	v_ffbh_u32_e32 v3, v9
	v_lshrrev_b32_e32 v10, 3, v8
	v_cmp_gt_u32_e64 s[4:5], 8, v8
	v_min_u32_e32 v8, 32, v3
	v_subrev_u32_e32 v3, 28, v8
	v_lshlrev_b64 v[3:4], v3, v[7:8]
	v_sub_u32_e32 v4, 29, v8
	v_and_b32_e32 v3, 7, v3
	v_cndmask_b32_e64 v4, v10, v4, s[4:5]
	v_cndmask_b32_e64 v3, v9, v3, s[4:5]
	v_lshlrev_b32_e32 v3, 20, v3
	v_and_b32_sdwa v8, sext(v7), s44 dst_sel:DWORD dst_unused:UNUSED_PAD src0_sel:BYTE_0 src1_sel:DWORD
	v_lshl_add_u32 v4, v4, 23, v62
	v_or3_b32 v3, v8, v4, v3
	v_mov_b32_e32 v4, v47
.LBB209_85:                             ;   in Loop: Header=BB209_9 Depth=1
	s_or_b64 exec, exec, s[36:37]
.LBB209_86:                             ;   in Loop: Header=BB209_9 Depth=1
	s_or_b64 exec, exec, s[34:35]
.LBB209_87:                             ;   in Loop: Header=BB209_9 Depth=1
	s_or_b64 exec, exec, s[16:17]
	v_cmp_ne_u16_sdwa s[4:5], v7, v47 src0_sel:BYTE_1 src1_sel:DWORD
	s_and_saveexec_b64 s[16:17], s[4:5]
	s_cbranch_execz .LBB209_93
; %bb.88:                               ;   in Loop: Header=BB209_9 Depth=1
	v_mov_b32_e32 v5, v47
	v_cmp_ne_u16_sdwa s[4:5], v7, s42 src0_sel:BYTE_1 src1_sel:DWORD
	v_mov_b32_e32 v6, v48
	s_and_saveexec_b64 s[34:35], s[4:5]
	s_cbranch_execz .LBB209_92
; %bb.89:                               ;   in Loop: Header=BB209_9 Depth=1
	v_mov_b32_e32 v45, v47
	v_and_b32_sdwa v8, v7, s43 dst_sel:DWORD dst_unused:UNUSED_PAD src0_sel:BYTE_1 src1_sel:DWORD
	v_mov_b32_e32 v5, v45
	v_cmp_ne_u32_e64 s[4:5], s43, v8
	v_mov_b32_e32 v6, v46
	s_and_saveexec_b64 s[36:37], s[4:5]
	s_cbranch_execz .LBB209_91
; %bb.90:                               ;   in Loop: Header=BB209_9 Depth=1
	v_and_b32_sdwa v5, v7, v59 dst_sel:DWORD dst_unused:UNUSED_PAD src0_sel:BYTE_1 src1_sel:DWORD
	v_lshrrev_b32_e32 v10, 3, v8
	v_cmp_gt_u32_e64 s[4:5], 8, v8
	v_ffbh_u32_e32 v8, v5
	v_min_u32_e32 v11, 32, v8
	v_mov_b32_e32 v6, v47
	v_subrev_u32_e32 v8, 28, v11
	v_lshlrev_b64 v[8:9], v8, v[5:6]
	v_sub_u32_e32 v6, 29, v11
	v_and_b32_e32 v8, 7, v8
	v_cndmask_b32_e64 v6, v10, v6, s[4:5]
	v_cndmask_b32_e64 v5, v5, v8, s[4:5]
	v_lshlrev_b32_e32 v7, 16, v7
	v_lshl_add_u32 v6, v6, 23, v62
	v_and_or_b32 v6, v7, s44, v6
	v_lshlrev_b32_e32 v5, 20, v5
	v_or_b32_e32 v6, v6, v5
	v_mov_b32_e32 v5, v47
.LBB209_91:                             ;   in Loop: Header=BB209_9 Depth=1
	s_or_b64 exec, exec, s[36:37]
.LBB209_92:                             ;   in Loop: Header=BB209_9 Depth=1
	s_or_b64 exec, exec, s[34:35]
.LBB209_93:                             ;   in Loop: Header=BB209_9 Depth=1
	s_or_b64 exec, exec, s[16:17]
	global_load_ushort v7, v[49:50], off offset:524
	v_mov_b32_e32 v9, 0
	v_mov_b32_e32 v10, 0
	s_waitcnt vmcnt(0)
	v_and_b32_e32 v11, 0xffff, v7
	v_cmp_ne_u16_sdwa s[4:5], v7, v47 src0_sel:BYTE_0 src1_sel:DWORD
	v_mov_b32_e32 v7, 0
	v_mov_b32_e32 v8, 0
	s_and_saveexec_b64 s[16:17], s[4:5]
	s_cbranch_execz .LBB209_99
; %bb.94:                               ;   in Loop: Header=BB209_9 Depth=1
	v_bfrev_b32_e32 v7, 1
	v_mov_b32_e32 v8, 0
	v_cmp_ne_u16_sdwa s[4:5], v11, s42 src0_sel:BYTE_0 src1_sel:DWORD
	s_and_saveexec_b64 s[34:35], s[4:5]
	s_cbranch_execz .LBB209_98
; %bb.95:                               ;   in Loop: Header=BB209_9 Depth=1
	v_and_b32_e32 v12, 0x7f, v11
	v_mov_b32_e32 v7, 0x7f800001
	v_mov_b32_e32 v8, 0
	v_cmp_ne_u32_e64 s[4:5], s43, v12
	s_and_saveexec_b64 s[36:37], s[4:5]
	s_cbranch_execz .LBB209_97
; %bb.96:                               ;   in Loop: Header=BB209_9 Depth=1
	v_and_b32_e32 v13, 7, v11
	v_ffbh_u32_e32 v7, v13
	v_lshrrev_b32_e32 v14, 3, v12
	v_cmp_gt_u32_e64 s[4:5], 8, v12
	v_min_u32_e32 v12, 32, v7
	v_subrev_u32_e32 v7, 28, v12
	v_lshlrev_b64 v[7:8], v7, v[11:12]
	v_sub_u32_e32 v8, 29, v12
	v_and_b32_e32 v7, 7, v7
	v_cndmask_b32_e64 v8, v14, v8, s[4:5]
	v_cndmask_b32_e64 v7, v13, v7, s[4:5]
	v_lshlrev_b32_e32 v7, 20, v7
	v_and_b32_sdwa v12, sext(v11), s44 dst_sel:DWORD dst_unused:UNUSED_PAD src0_sel:BYTE_0 src1_sel:DWORD
	v_lshl_add_u32 v8, v8, 23, v62
	v_or3_b32 v7, v12, v8, v7
	v_mov_b32_e32 v8, v47
.LBB209_97:                             ;   in Loop: Header=BB209_9 Depth=1
	s_or_b64 exec, exec, s[36:37]
.LBB209_98:                             ;   in Loop: Header=BB209_9 Depth=1
	s_or_b64 exec, exec, s[34:35]
.LBB209_99:                             ;   in Loop: Header=BB209_9 Depth=1
	s_or_b64 exec, exec, s[16:17]
	v_cmp_ne_u16_sdwa s[4:5], v11, v47 src0_sel:BYTE_1 src1_sel:DWORD
	s_and_saveexec_b64 s[16:17], s[4:5]
	s_cbranch_execz .LBB209_105
; %bb.100:                              ;   in Loop: Header=BB209_9 Depth=1
	v_mov_b32_e32 v9, v47
	v_cmp_ne_u16_sdwa s[4:5], v11, s42 src0_sel:BYTE_1 src1_sel:DWORD
	v_mov_b32_e32 v10, v48
	s_and_saveexec_b64 s[34:35], s[4:5]
	s_cbranch_execz .LBB209_104
; %bb.101:                              ;   in Loop: Header=BB209_9 Depth=1
	v_mov_b32_e32 v45, v47
	v_and_b32_sdwa v12, v11, s43 dst_sel:DWORD dst_unused:UNUSED_PAD src0_sel:BYTE_1 src1_sel:DWORD
	v_mov_b32_e32 v9, v45
	v_cmp_ne_u32_e64 s[4:5], s43, v12
	v_mov_b32_e32 v10, v46
	s_and_saveexec_b64 s[36:37], s[4:5]
	s_cbranch_execz .LBB209_103
; %bb.102:                              ;   in Loop: Header=BB209_9 Depth=1
	v_and_b32_sdwa v9, v11, v59 dst_sel:DWORD dst_unused:UNUSED_PAD src0_sel:BYTE_1 src1_sel:DWORD
	v_lshrrev_b32_e32 v14, 3, v12
	v_cmp_gt_u32_e64 s[4:5], 8, v12
	v_ffbh_u32_e32 v12, v9
	v_min_u32_e32 v15, 32, v12
	v_mov_b32_e32 v10, v47
	v_subrev_u32_e32 v12, 28, v15
	v_lshlrev_b64 v[12:13], v12, v[9:10]
	v_sub_u32_e32 v10, 29, v15
	v_and_b32_e32 v12, 7, v12
	v_cndmask_b32_e64 v10, v14, v10, s[4:5]
	v_cndmask_b32_e64 v9, v9, v12, s[4:5]
	v_lshlrev_b32_e32 v11, 16, v11
	v_lshl_add_u32 v10, v10, 23, v62
	v_and_or_b32 v10, v11, s44, v10
	v_lshlrev_b32_e32 v9, 20, v9
	v_or_b32_e32 v10, v10, v9
	v_mov_b32_e32 v9, v47
.LBB209_103:                            ;   in Loop: Header=BB209_9 Depth=1
	s_or_b64 exec, exec, s[36:37]
.LBB209_104:                            ;   in Loop: Header=BB209_9 Depth=1
	s_or_b64 exec, exec, s[34:35]
.LBB209_105:                            ;   in Loop: Header=BB209_9 Depth=1
	s_or_b64 exec, exec, s[16:17]
	global_load_ushort v11, v[49:50], off offset:1024
	v_mov_b32_e32 v13, 0
	v_mov_b32_e32 v14, 0
	s_waitcnt vmcnt(0)
	v_and_b32_e32 v15, 0xffff, v11
	v_cmp_ne_u16_sdwa s[4:5], v11, v47 src0_sel:BYTE_0 src1_sel:DWORD
	v_mov_b32_e32 v11, 0
	v_mov_b32_e32 v12, 0
	s_and_saveexec_b64 s[16:17], s[4:5]
	s_cbranch_execz .LBB209_111
; %bb.106:                              ;   in Loop: Header=BB209_9 Depth=1
	v_bfrev_b32_e32 v11, 1
	v_mov_b32_e32 v12, 0
	v_cmp_ne_u16_sdwa s[4:5], v15, s42 src0_sel:BYTE_0 src1_sel:DWORD
	s_and_saveexec_b64 s[34:35], s[4:5]
	s_cbranch_execz .LBB209_110
; %bb.107:                              ;   in Loop: Header=BB209_9 Depth=1
	v_and_b32_e32 v16, 0x7f, v15
	v_mov_b32_e32 v11, 0x7f800001
	v_mov_b32_e32 v12, 0
	v_cmp_ne_u32_e64 s[4:5], s43, v16
	s_and_saveexec_b64 s[36:37], s[4:5]
	s_cbranch_execz .LBB209_109
; %bb.108:                              ;   in Loop: Header=BB209_9 Depth=1
	v_and_b32_e32 v17, 7, v15
	v_ffbh_u32_e32 v11, v17
	v_lshrrev_b32_e32 v18, 3, v16
	v_cmp_gt_u32_e64 s[4:5], 8, v16
	v_min_u32_e32 v16, 32, v11
	v_subrev_u32_e32 v11, 28, v16
	v_lshlrev_b64 v[11:12], v11, v[15:16]
	v_sub_u32_e32 v12, 29, v16
	v_and_b32_e32 v11, 7, v11
	v_cndmask_b32_e64 v12, v18, v12, s[4:5]
	v_cndmask_b32_e64 v11, v17, v11, s[4:5]
	v_lshlrev_b32_e32 v11, 20, v11
	v_and_b32_sdwa v16, sext(v15), s44 dst_sel:DWORD dst_unused:UNUSED_PAD src0_sel:BYTE_0 src1_sel:DWORD
	v_lshl_add_u32 v12, v12, 23, v62
	v_or3_b32 v11, v16, v12, v11
	v_mov_b32_e32 v12, v47
.LBB209_109:                            ;   in Loop: Header=BB209_9 Depth=1
	s_or_b64 exec, exec, s[36:37]
.LBB209_110:                            ;   in Loop: Header=BB209_9 Depth=1
	s_or_b64 exec, exec, s[34:35]
.LBB209_111:                            ;   in Loop: Header=BB209_9 Depth=1
	s_or_b64 exec, exec, s[16:17]
	v_cmp_ne_u16_sdwa s[4:5], v15, v47 src0_sel:BYTE_1 src1_sel:DWORD
	s_and_saveexec_b64 s[16:17], s[4:5]
	s_cbranch_execz .LBB209_117
; %bb.112:                              ;   in Loop: Header=BB209_9 Depth=1
	v_mov_b32_e32 v13, v47
	v_cmp_ne_u16_sdwa s[4:5], v15, s42 src0_sel:BYTE_1 src1_sel:DWORD
	v_mov_b32_e32 v14, v48
	s_and_saveexec_b64 s[34:35], s[4:5]
	s_cbranch_execz .LBB209_116
; %bb.113:                              ;   in Loop: Header=BB209_9 Depth=1
	v_mov_b32_e32 v45, v47
	v_and_b32_sdwa v16, v15, s43 dst_sel:DWORD dst_unused:UNUSED_PAD src0_sel:BYTE_1 src1_sel:DWORD
	v_mov_b32_e32 v13, v45
	v_cmp_ne_u32_e64 s[4:5], s43, v16
	v_mov_b32_e32 v14, v46
	s_and_saveexec_b64 s[36:37], s[4:5]
	s_cbranch_execz .LBB209_115
; %bb.114:                              ;   in Loop: Header=BB209_9 Depth=1
	v_and_b32_sdwa v13, v15, v59 dst_sel:DWORD dst_unused:UNUSED_PAD src0_sel:BYTE_1 src1_sel:DWORD
	v_lshrrev_b32_e32 v18, 3, v16
	v_cmp_gt_u32_e64 s[4:5], 8, v16
	v_ffbh_u32_e32 v16, v13
	v_min_u32_e32 v19, 32, v16
	v_mov_b32_e32 v14, v47
	v_subrev_u32_e32 v16, 28, v19
	v_lshlrev_b64 v[16:17], v16, v[13:14]
	v_sub_u32_e32 v14, 29, v19
	v_and_b32_e32 v16, 7, v16
	v_cndmask_b32_e64 v14, v18, v14, s[4:5]
	v_cndmask_b32_e64 v13, v13, v16, s[4:5]
	v_lshlrev_b32_e32 v15, 16, v15
	v_lshl_add_u32 v14, v14, 23, v62
	v_and_or_b32 v14, v15, s44, v14
	v_lshlrev_b32_e32 v13, 20, v13
	v_or_b32_e32 v14, v14, v13
	v_mov_b32_e32 v13, v47
.LBB209_115:                            ;   in Loop: Header=BB209_9 Depth=1
	s_or_b64 exec, exec, s[36:37]
.LBB209_116:                            ;   in Loop: Header=BB209_9 Depth=1
	s_or_b64 exec, exec, s[34:35]
.LBB209_117:                            ;   in Loop: Header=BB209_9 Depth=1
	s_or_b64 exec, exec, s[16:17]
	global_load_ushort v15, v[49:50], off offset:1028
	v_mov_b32_e32 v17, 0
	v_mov_b32_e32 v18, 0
	s_waitcnt vmcnt(0)
	v_and_b32_e32 v19, 0xffff, v15
	v_cmp_ne_u16_sdwa s[4:5], v15, v47 src0_sel:BYTE_0 src1_sel:DWORD
	v_mov_b32_e32 v15, 0
	v_mov_b32_e32 v16, 0
	s_and_saveexec_b64 s[16:17], s[4:5]
	s_cbranch_execz .LBB209_123
; %bb.118:                              ;   in Loop: Header=BB209_9 Depth=1
	v_bfrev_b32_e32 v15, 1
	v_mov_b32_e32 v16, 0
	v_cmp_ne_u16_sdwa s[4:5], v19, s42 src0_sel:BYTE_0 src1_sel:DWORD
	s_and_saveexec_b64 s[34:35], s[4:5]
	s_cbranch_execz .LBB209_122
; %bb.119:                              ;   in Loop: Header=BB209_9 Depth=1
	v_and_b32_e32 v20, 0x7f, v19
	v_mov_b32_e32 v15, 0x7f800001
	v_mov_b32_e32 v16, 0
	v_cmp_ne_u32_e64 s[4:5], s43, v20
	s_and_saveexec_b64 s[36:37], s[4:5]
	s_cbranch_execz .LBB209_121
; %bb.120:                              ;   in Loop: Header=BB209_9 Depth=1
	v_and_b32_e32 v21, 7, v19
	v_ffbh_u32_e32 v15, v21
	v_lshrrev_b32_e32 v22, 3, v20
	v_cmp_gt_u32_e64 s[4:5], 8, v20
	v_min_u32_e32 v20, 32, v15
	v_subrev_u32_e32 v15, 28, v20
	v_lshlrev_b64 v[15:16], v15, v[19:20]
	v_sub_u32_e32 v16, 29, v20
	v_and_b32_e32 v15, 7, v15
	v_cndmask_b32_e64 v16, v22, v16, s[4:5]
	v_cndmask_b32_e64 v15, v21, v15, s[4:5]
	v_lshlrev_b32_e32 v15, 20, v15
	v_and_b32_sdwa v20, sext(v19), s44 dst_sel:DWORD dst_unused:UNUSED_PAD src0_sel:BYTE_0 src1_sel:DWORD
	v_lshl_add_u32 v16, v16, 23, v62
	v_or3_b32 v15, v20, v16, v15
	v_mov_b32_e32 v16, v47
.LBB209_121:                            ;   in Loop: Header=BB209_9 Depth=1
	s_or_b64 exec, exec, s[36:37]
.LBB209_122:                            ;   in Loop: Header=BB209_9 Depth=1
	s_or_b64 exec, exec, s[34:35]
.LBB209_123:                            ;   in Loop: Header=BB209_9 Depth=1
	s_or_b64 exec, exec, s[16:17]
	v_cmp_ne_u16_sdwa s[4:5], v19, v47 src0_sel:BYTE_1 src1_sel:DWORD
	s_and_saveexec_b64 s[16:17], s[4:5]
	s_cbranch_execz .LBB209_129
; %bb.124:                              ;   in Loop: Header=BB209_9 Depth=1
	v_mov_b32_e32 v17, v47
	v_cmp_ne_u16_sdwa s[4:5], v19, s42 src0_sel:BYTE_1 src1_sel:DWORD
	v_mov_b32_e32 v18, v48
	s_and_saveexec_b64 s[34:35], s[4:5]
	s_cbranch_execz .LBB209_128
; %bb.125:                              ;   in Loop: Header=BB209_9 Depth=1
	v_mov_b32_e32 v45, v47
	v_and_b32_sdwa v20, v19, s43 dst_sel:DWORD dst_unused:UNUSED_PAD src0_sel:BYTE_1 src1_sel:DWORD
	v_mov_b32_e32 v17, v45
	v_cmp_ne_u32_e64 s[4:5], s43, v20
	v_mov_b32_e32 v18, v46
	s_and_saveexec_b64 s[36:37], s[4:5]
	s_cbranch_execz .LBB209_127
; %bb.126:                              ;   in Loop: Header=BB209_9 Depth=1
	v_and_b32_sdwa v17, v19, v59 dst_sel:DWORD dst_unused:UNUSED_PAD src0_sel:BYTE_1 src1_sel:DWORD
	v_lshrrev_b32_e32 v22, 3, v20
	v_cmp_gt_u32_e64 s[4:5], 8, v20
	v_ffbh_u32_e32 v20, v17
	v_min_u32_e32 v23, 32, v20
	v_mov_b32_e32 v18, v47
	v_subrev_u32_e32 v20, 28, v23
	v_lshlrev_b64 v[20:21], v20, v[17:18]
	v_sub_u32_e32 v18, 29, v23
	v_and_b32_e32 v20, 7, v20
	v_cndmask_b32_e64 v18, v22, v18, s[4:5]
	v_cndmask_b32_e64 v17, v17, v20, s[4:5]
	v_lshlrev_b32_e32 v19, 16, v19
	v_lshl_add_u32 v18, v18, 23, v62
	v_and_or_b32 v18, v19, s44, v18
	v_lshlrev_b32_e32 v17, 20, v17
	v_or_b32_e32 v18, v18, v17
	v_mov_b32_e32 v17, v47
.LBB209_127:                            ;   in Loop: Header=BB209_9 Depth=1
	s_or_b64 exec, exec, s[36:37]
.LBB209_128:                            ;   in Loop: Header=BB209_9 Depth=1
	s_or_b64 exec, exec, s[34:35]
.LBB209_129:                            ;   in Loop: Header=BB209_9 Depth=1
	s_or_b64 exec, exec, s[16:17]
	global_load_ushort v19, v[49:50], off offset:1032
	v_mov_b32_e32 v39, 0
	v_mov_b32_e32 v40, 0
	s_waitcnt vmcnt(0)
	v_and_b32_e32 v21, 0xffff, v19
	v_cmp_ne_u16_sdwa s[4:5], v19, v47 src0_sel:BYTE_0 src1_sel:DWORD
	v_mov_b32_e32 v19, 0
	v_mov_b32_e32 v20, 0
	s_and_saveexec_b64 s[16:17], s[4:5]
	s_cbranch_execz .LBB209_135
; %bb.130:                              ;   in Loop: Header=BB209_9 Depth=1
	v_bfrev_b32_e32 v19, 1
	v_mov_b32_e32 v20, 0
	v_cmp_ne_u16_sdwa s[4:5], v21, s42 src0_sel:BYTE_0 src1_sel:DWORD
	s_and_saveexec_b64 s[34:35], s[4:5]
	s_cbranch_execz .LBB209_134
; %bb.131:                              ;   in Loop: Header=BB209_9 Depth=1
	v_and_b32_e32 v22, 0x7f, v21
	v_mov_b32_e32 v19, 0x7f800001
	v_mov_b32_e32 v20, 0
	v_cmp_ne_u32_e64 s[4:5], s43, v22
	s_and_saveexec_b64 s[36:37], s[4:5]
	s_cbranch_execz .LBB209_133
; %bb.132:                              ;   in Loop: Header=BB209_9 Depth=1
	v_and_b32_e32 v23, 7, v21
	v_ffbh_u32_e32 v19, v23
	v_lshrrev_b32_e32 v24, 3, v22
	v_cmp_gt_u32_e64 s[4:5], 8, v22
	v_min_u32_e32 v22, 32, v19
	v_subrev_u32_e32 v19, 28, v22
	v_lshlrev_b64 v[19:20], v19, v[21:22]
	v_sub_u32_e32 v20, 29, v22
	v_and_b32_e32 v19, 7, v19
	v_cndmask_b32_e64 v20, v24, v20, s[4:5]
	v_cndmask_b32_e64 v19, v23, v19, s[4:5]
	v_lshlrev_b32_e32 v19, 20, v19
	v_and_b32_sdwa v22, sext(v21), s44 dst_sel:DWORD dst_unused:UNUSED_PAD src0_sel:BYTE_0 src1_sel:DWORD
	v_lshl_add_u32 v20, v20, 23, v62
	v_or3_b32 v19, v22, v20, v19
	v_mov_b32_e32 v20, v47
.LBB209_133:                            ;   in Loop: Header=BB209_9 Depth=1
	s_or_b64 exec, exec, s[36:37]
.LBB209_134:                            ;   in Loop: Header=BB209_9 Depth=1
	s_or_b64 exec, exec, s[34:35]
.LBB209_135:                            ;   in Loop: Header=BB209_9 Depth=1
	s_or_b64 exec, exec, s[16:17]
	v_cmp_ne_u16_sdwa s[4:5], v21, v47 src0_sel:BYTE_1 src1_sel:DWORD
	s_and_saveexec_b64 s[16:17], s[4:5]
	s_cbranch_execz .LBB209_141
; %bb.136:                              ;   in Loop: Header=BB209_9 Depth=1
	v_mov_b32_e32 v39, v47
	v_cmp_ne_u16_sdwa s[4:5], v21, s42 src0_sel:BYTE_1 src1_sel:DWORD
	v_mov_b32_e32 v40, v48
	s_and_saveexec_b64 s[34:35], s[4:5]
	s_cbranch_execz .LBB209_140
; %bb.137:                              ;   in Loop: Header=BB209_9 Depth=1
	v_mov_b32_e32 v45, v47
	v_and_b32_sdwa v22, v21, s43 dst_sel:DWORD dst_unused:UNUSED_PAD src0_sel:BYTE_1 src1_sel:DWORD
	v_mov_b32_e32 v39, v45
	v_cmp_ne_u32_e64 s[4:5], s43, v22
	v_mov_b32_e32 v40, v46
	s_and_saveexec_b64 s[36:37], s[4:5]
	s_cbranch_execz .LBB209_139
; %bb.138:                              ;   in Loop: Header=BB209_9 Depth=1
	v_and_b32_sdwa v23, v21, v59 dst_sel:DWORD dst_unused:UNUSED_PAD src0_sel:BYTE_1 src1_sel:DWORD
	v_lshrrev_b32_e32 v26, 3, v22
	v_cmp_gt_u32_e64 s[4:5], 8, v22
	v_ffbh_u32_e32 v22, v23
	v_min_u32_e32 v22, 32, v22
	v_mov_b32_e32 v24, v47
	v_subrev_u32_e32 v25, 28, v22
	v_lshlrev_b64 v[24:25], v25, v[23:24]
	v_sub_u32_e32 v22, 29, v22
	v_and_b32_e32 v24, 7, v24
	v_cndmask_b32_e64 v22, v26, v22, s[4:5]
	v_cndmask_b32_e64 v23, v23, v24, s[4:5]
	v_lshlrev_b32_e32 v21, 16, v21
	v_lshl_add_u32 v22, v22, 23, v62
	v_and_or_b32 v21, v21, s44, v22
	v_lshlrev_b32_e32 v22, 20, v23
	v_or_b32_e32 v40, v21, v22
	v_mov_b32_e32 v39, v47
.LBB209_139:                            ;   in Loop: Header=BB209_9 Depth=1
	s_or_b64 exec, exec, s[36:37]
.LBB209_140:                            ;   in Loop: Header=BB209_9 Depth=1
	s_or_b64 exec, exec, s[34:35]
.LBB209_141:                            ;   in Loop: Header=BB209_9 Depth=1
	s_or_b64 exec, exec, s[16:17]
	global_load_ushort v22, v[49:50], off offset:1036
	v_mov_b32_e32 v43, 0
	v_mov_b32_e32 v23, 0
	;; [unrolled: 1-line block ×4, first 2 shown]
	s_waitcnt vmcnt(0)
	v_and_b32_e32 v21, 0xffff, v22
	v_cmp_ne_u16_sdwa s[4:5], v22, v47 src0_sel:BYTE_0 src1_sel:DWORD
	s_and_saveexec_b64 s[16:17], s[4:5]
	s_cbranch_execz .LBB209_147
; %bb.142:                              ;   in Loop: Header=BB209_9 Depth=1
	v_bfrev_b32_e32 v23, 1
	v_mov_b32_e32 v24, 0
	v_cmp_ne_u16_sdwa s[4:5], v21, s42 src0_sel:BYTE_0 src1_sel:DWORD
	s_and_saveexec_b64 s[34:35], s[4:5]
	s_cbranch_execz .LBB209_146
; %bb.143:                              ;   in Loop: Header=BB209_9 Depth=1
	v_and_b32_e32 v22, 0x7f, v21
	v_mov_b32_e32 v23, 0x7f800001
	v_mov_b32_e32 v24, 0
	v_cmp_ne_u32_e64 s[4:5], s43, v22
	s_and_saveexec_b64 s[36:37], s[4:5]
	s_cbranch_execz .LBB209_145
; %bb.144:                              ;   in Loop: Header=BB209_9 Depth=1
	v_and_b32_e32 v24, 7, v21
	v_lshrrev_b32_e32 v25, 3, v22
	v_cmp_gt_u32_e64 s[4:5], 8, v22
	v_ffbh_u32_e32 v22, v24
	v_min_u32_e32 v26, 32, v22
	v_subrev_u32_e32 v22, 28, v26
	v_lshlrev_b64 v[22:23], v22, v[21:22]
	v_sub_u32_e32 v23, 29, v26
	v_and_b32_e32 v22, 7, v22
	v_cndmask_b32_e64 v23, v25, v23, s[4:5]
	v_cndmask_b32_e64 v22, v24, v22, s[4:5]
	v_lshlrev_b32_e32 v22, 20, v22
	v_and_b32_sdwa v24, sext(v21), s44 dst_sel:DWORD dst_unused:UNUSED_PAD src0_sel:BYTE_0 src1_sel:DWORD
	v_lshl_add_u32 v23, v23, 23, v62
	v_or3_b32 v23, v24, v23, v22
	v_mov_b32_e32 v24, v47
.LBB209_145:                            ;   in Loop: Header=BB209_9 Depth=1
	s_or_b64 exec, exec, s[36:37]
.LBB209_146:                            ;   in Loop: Header=BB209_9 Depth=1
	s_or_b64 exec, exec, s[34:35]
.LBB209_147:                            ;   in Loop: Header=BB209_9 Depth=1
	s_or_b64 exec, exec, s[16:17]
	v_cmp_ne_u16_sdwa s[4:5], v21, v47 src0_sel:BYTE_1 src1_sel:DWORD
	s_and_saveexec_b64 s[16:17], s[4:5]
	s_cbranch_execz .LBB209_153
; %bb.148:                              ;   in Loop: Header=BB209_9 Depth=1
	v_mov_b32_e32 v43, v47
	v_cmp_ne_u16_sdwa s[4:5], v21, s42 src0_sel:BYTE_1 src1_sel:DWORD
	v_mov_b32_e32 v44, v48
	s_and_saveexec_b64 s[34:35], s[4:5]
	s_cbranch_execz .LBB209_152
; %bb.149:                              ;   in Loop: Header=BB209_9 Depth=1
	v_mov_b32_e32 v45, v47
	v_and_b32_sdwa v22, v21, s43 dst_sel:DWORD dst_unused:UNUSED_PAD src0_sel:BYTE_1 src1_sel:DWORD
	v_mov_b32_e32 v43, v45
	v_cmp_ne_u32_e64 s[4:5], s43, v22
	v_mov_b32_e32 v44, v46
	s_and_saveexec_b64 s[36:37], s[4:5]
	s_cbranch_execz .LBB209_151
; %bb.150:                              ;   in Loop: Header=BB209_9 Depth=1
	v_and_b32_sdwa v25, v21, v59 dst_sel:DWORD dst_unused:UNUSED_PAD src0_sel:BYTE_1 src1_sel:DWORD
	v_lshrrev_b32_e32 v28, 3, v22
	v_cmp_gt_u32_e64 s[4:5], 8, v22
	v_ffbh_u32_e32 v22, v25
	v_min_u32_e32 v22, 32, v22
	v_mov_b32_e32 v26, v47
	v_subrev_u32_e32 v27, 28, v22
	v_lshlrev_b64 v[26:27], v27, v[25:26]
	v_sub_u32_e32 v22, 29, v22
	v_and_b32_e32 v26, 7, v26
	v_cndmask_b32_e64 v22, v28, v22, s[4:5]
	v_cndmask_b32_e64 v25, v25, v26, s[4:5]
	v_lshlrev_b32_e32 v21, 16, v21
	v_lshl_add_u32 v22, v22, 23, v62
	v_and_or_b32 v21, v21, s44, v22
	v_lshlrev_b32_e32 v22, 20, v25
	v_or_b32_e32 v44, v21, v22
	v_mov_b32_e32 v43, v47
.LBB209_151:                            ;   in Loop: Header=BB209_9 Depth=1
	s_or_b64 exec, exec, s[36:37]
.LBB209_152:                            ;   in Loop: Header=BB209_9 Depth=1
	s_or_b64 exec, exec, s[34:35]
.LBB209_153:                            ;   in Loop: Header=BB209_9 Depth=1
	s_or_b64 exec, exec, s[16:17]
	global_load_ushort v21, v[49:50], off offset:1536
	v_mov_b32_e32 v27, 0
	v_mov_b32_e32 v28, 0
	s_waitcnt vmcnt(0)
	v_and_b32_e32 v25, 0xffff, v21
	v_cmp_ne_u16_sdwa s[4:5], v21, v47 src0_sel:BYTE_0 src1_sel:DWORD
	v_mov_b32_e32 v21, 0
	v_mov_b32_e32 v22, 0
	s_and_saveexec_b64 s[16:17], s[4:5]
	s_cbranch_execz .LBB209_159
; %bb.154:                              ;   in Loop: Header=BB209_9 Depth=1
	v_bfrev_b32_e32 v27, 1
	v_mov_b32_e32 v28, 0
	v_cmp_ne_u16_sdwa s[4:5], v25, s42 src0_sel:BYTE_0 src1_sel:DWORD
	s_and_saveexec_b64 s[34:35], s[4:5]
	s_cbranch_execz .LBB209_158
; %bb.155:                              ;   in Loop: Header=BB209_9 Depth=1
	v_and_b32_e32 v26, 0x7f, v25
	v_mov_b32_e32 v27, 0x7f800001
	v_mov_b32_e32 v28, 0
	v_cmp_ne_u32_e64 s[4:5], s43, v26
	s_and_saveexec_b64 s[36:37], s[4:5]
	s_cbranch_execz .LBB209_157
; %bb.156:                              ;   in Loop: Header=BB209_9 Depth=1
	v_and_b32_e32 v28, 7, v25
	v_lshrrev_b32_e32 v29, 3, v26
	v_cmp_gt_u32_e64 s[4:5], 8, v26
	v_ffbh_u32_e32 v26, v28
	v_min_u32_e32 v30, 32, v26
	v_subrev_u32_e32 v26, 28, v30
	v_lshlrev_b64 v[26:27], v26, v[25:26]
	v_sub_u32_e32 v27, 29, v30
	v_and_b32_e32 v26, 7, v26
	v_cndmask_b32_e64 v27, v29, v27, s[4:5]
	v_cndmask_b32_e64 v26, v28, v26, s[4:5]
	v_lshlrev_b32_e32 v26, 20, v26
	v_and_b32_sdwa v28, sext(v25), s44 dst_sel:DWORD dst_unused:UNUSED_PAD src0_sel:BYTE_0 src1_sel:DWORD
	v_lshl_add_u32 v27, v27, 23, v62
	v_or3_b32 v27, v28, v27, v26
	v_mov_b32_e32 v28, v47
.LBB209_157:                            ;   in Loop: Header=BB209_9 Depth=1
	s_or_b64 exec, exec, s[36:37]
.LBB209_158:                            ;   in Loop: Header=BB209_9 Depth=1
	s_or_b64 exec, exec, s[34:35]
.LBB209_159:                            ;   in Loop: Header=BB209_9 Depth=1
	s_or_b64 exec, exec, s[16:17]
	v_cmp_ne_u16_sdwa s[4:5], v25, v47 src0_sel:BYTE_1 src1_sel:DWORD
	s_and_saveexec_b64 s[16:17], s[4:5]
	s_cbranch_execz .LBB209_165
; %bb.160:                              ;   in Loop: Header=BB209_9 Depth=1
	v_mov_b32_e32 v21, v47
	v_cmp_ne_u16_sdwa s[4:5], v25, s42 src0_sel:BYTE_1 src1_sel:DWORD
	v_mov_b32_e32 v22, v48
	s_and_saveexec_b64 s[34:35], s[4:5]
	s_cbranch_execz .LBB209_164
; %bb.161:                              ;   in Loop: Header=BB209_9 Depth=1
	v_mov_b32_e32 v45, v47
	v_and_b32_sdwa v26, v25, s43 dst_sel:DWORD dst_unused:UNUSED_PAD src0_sel:BYTE_1 src1_sel:DWORD
	v_mov_b32_e32 v21, v45
	v_cmp_ne_u32_e64 s[4:5], s43, v26
	v_mov_b32_e32 v22, v46
	s_and_saveexec_b64 s[36:37], s[4:5]
	s_cbranch_execz .LBB209_163
; %bb.162:                              ;   in Loop: Header=BB209_9 Depth=1
	v_and_b32_sdwa v21, v25, v59 dst_sel:DWORD dst_unused:UNUSED_PAD src0_sel:BYTE_1 src1_sel:DWORD
	v_lshrrev_b32_e32 v31, 3, v26
	v_cmp_gt_u32_e64 s[4:5], 8, v26
	v_ffbh_u32_e32 v26, v21
	v_min_u32_e32 v26, 32, v26
	v_mov_b32_e32 v22, v47
	v_subrev_u32_e32 v29, 28, v26
	v_lshlrev_b64 v[29:30], v29, v[21:22]
	v_sub_u32_e32 v22, 29, v26
	v_and_b32_e32 v26, 7, v29
	v_cndmask_b32_e64 v22, v31, v22, s[4:5]
	v_cndmask_b32_e64 v21, v21, v26, s[4:5]
	v_lshlrev_b32_e32 v25, 16, v25
	v_lshl_add_u32 v22, v22, 23, v62
	v_and_or_b32 v22, v25, s44, v22
	v_lshlrev_b32_e32 v21, 20, v21
	v_or_b32_e32 v22, v22, v21
	v_mov_b32_e32 v21, v47
.LBB209_163:                            ;   in Loop: Header=BB209_9 Depth=1
	s_or_b64 exec, exec, s[36:37]
.LBB209_164:                            ;   in Loop: Header=BB209_9 Depth=1
	s_or_b64 exec, exec, s[34:35]
.LBB209_165:                            ;   in Loop: Header=BB209_9 Depth=1
	s_or_b64 exec, exec, s[16:17]
	global_load_ushort v25, v[49:50], off offset:1540
	v_mov_b32_e32 v31, 0
	v_mov_b32_e32 v32, 0
	s_waitcnt vmcnt(0)
	v_and_b32_e32 v29, 0xffff, v25
	v_cmp_ne_u16_sdwa s[4:5], v25, v47 src0_sel:BYTE_0 src1_sel:DWORD
	v_mov_b32_e32 v25, 0
	v_mov_b32_e32 v26, 0
	s_and_saveexec_b64 s[16:17], s[4:5]
	s_cbranch_execz .LBB209_171
; %bb.166:                              ;   in Loop: Header=BB209_9 Depth=1
	v_bfrev_b32_e32 v31, 1
	v_mov_b32_e32 v32, 0
	v_cmp_ne_u16_sdwa s[4:5], v29, s42 src0_sel:BYTE_0 src1_sel:DWORD
	s_and_saveexec_b64 s[34:35], s[4:5]
	s_cbranch_execz .LBB209_170
; %bb.167:                              ;   in Loop: Header=BB209_9 Depth=1
	v_and_b32_e32 v30, 0x7f, v29
	v_mov_b32_e32 v31, 0x7f800001
	v_mov_b32_e32 v32, 0
	v_cmp_ne_u32_e64 s[4:5], s43, v30
	s_and_saveexec_b64 s[36:37], s[4:5]
	s_cbranch_execz .LBB209_169
; %bb.168:                              ;   in Loop: Header=BB209_9 Depth=1
	v_and_b32_e32 v32, 7, v29
	v_lshrrev_b32_e32 v33, 3, v30
	v_cmp_gt_u32_e64 s[4:5], 8, v30
	v_ffbh_u32_e32 v30, v32
	v_min_u32_e32 v34, 32, v30
	v_subrev_u32_e32 v30, 28, v34
	v_lshlrev_b64 v[30:31], v30, v[29:30]
	v_sub_u32_e32 v31, 29, v34
	v_and_b32_e32 v30, 7, v30
	v_cndmask_b32_e64 v31, v33, v31, s[4:5]
	v_cndmask_b32_e64 v30, v32, v30, s[4:5]
	v_lshlrev_b32_e32 v30, 20, v30
	v_and_b32_sdwa v32, sext(v29), s44 dst_sel:DWORD dst_unused:UNUSED_PAD src0_sel:BYTE_0 src1_sel:DWORD
	v_lshl_add_u32 v31, v31, 23, v62
	v_or3_b32 v31, v32, v31, v30
	v_mov_b32_e32 v32, v47
.LBB209_169:                            ;   in Loop: Header=BB209_9 Depth=1
	s_or_b64 exec, exec, s[36:37]
.LBB209_170:                            ;   in Loop: Header=BB209_9 Depth=1
	s_or_b64 exec, exec, s[34:35]
.LBB209_171:                            ;   in Loop: Header=BB209_9 Depth=1
	s_or_b64 exec, exec, s[16:17]
	v_cmp_ne_u16_sdwa s[4:5], v29, v47 src0_sel:BYTE_1 src1_sel:DWORD
	s_and_saveexec_b64 s[16:17], s[4:5]
	s_cbranch_execz .LBB209_177
; %bb.172:                              ;   in Loop: Header=BB209_9 Depth=1
	v_mov_b32_e32 v25, v47
	v_cmp_ne_u16_sdwa s[4:5], v29, s42 src0_sel:BYTE_1 src1_sel:DWORD
	v_mov_b32_e32 v26, v48
	s_and_saveexec_b64 s[34:35], s[4:5]
	s_cbranch_execz .LBB209_176
; %bb.173:                              ;   in Loop: Header=BB209_9 Depth=1
	v_mov_b32_e32 v45, v47
	v_and_b32_sdwa v30, v29, s43 dst_sel:DWORD dst_unused:UNUSED_PAD src0_sel:BYTE_1 src1_sel:DWORD
	v_mov_b32_e32 v25, v45
	v_cmp_ne_u32_e64 s[4:5], s43, v30
	v_mov_b32_e32 v26, v46
	s_and_saveexec_b64 s[36:37], s[4:5]
	s_cbranch_execz .LBB209_175
; %bb.174:                              ;   in Loop: Header=BB209_9 Depth=1
	v_and_b32_sdwa v25, v29, v59 dst_sel:DWORD dst_unused:UNUSED_PAD src0_sel:BYTE_1 src1_sel:DWORD
	v_lshrrev_b32_e32 v41, 3, v30
	v_cmp_gt_u32_e64 s[4:5], 8, v30
	v_ffbh_u32_e32 v30, v25
	v_min_u32_e32 v30, 32, v30
	v_mov_b32_e32 v26, v47
	v_subrev_u32_e32 v33, 28, v30
	v_lshlrev_b64 v[33:34], v33, v[25:26]
	v_sub_u32_e32 v26, 29, v30
	v_and_b32_e32 v30, 7, v33
	v_cndmask_b32_e64 v26, v41, v26, s[4:5]
	v_cndmask_b32_e64 v25, v25, v30, s[4:5]
	v_lshlrev_b32_e32 v29, 16, v29
	v_lshl_add_u32 v26, v26, 23, v62
	v_and_or_b32 v26, v29, s44, v26
	v_lshlrev_b32_e32 v25, 20, v25
	v_or_b32_e32 v26, v26, v25
	v_mov_b32_e32 v25, v47
.LBB209_175:                            ;   in Loop: Header=BB209_9 Depth=1
	s_or_b64 exec, exec, s[36:37]
.LBB209_176:                            ;   in Loop: Header=BB209_9 Depth=1
	s_or_b64 exec, exec, s[34:35]
.LBB209_177:                            ;   in Loop: Header=BB209_9 Depth=1
	s_or_b64 exec, exec, s[16:17]
	global_load_ushort v29, v[49:50], off offset:1544
	v_mov_b32_e32 v41, 0
	v_mov_b32_e32 v42, 0
	s_waitcnt vmcnt(0)
	v_and_b32_e32 v33, 0xffff, v29
	v_cmp_ne_u16_sdwa s[4:5], v29, v47 src0_sel:BYTE_0 src1_sel:DWORD
	v_mov_b32_e32 v29, 0
	v_mov_b32_e32 v30, 0
	s_and_saveexec_b64 s[16:17], s[4:5]
	s_cbranch_execz .LBB209_183
; %bb.178:                              ;   in Loop: Header=BB209_9 Depth=1
	v_bfrev_b32_e32 v41, 1
	v_mov_b32_e32 v42, 0
	v_cmp_ne_u16_sdwa s[4:5], v33, s42 src0_sel:BYTE_0 src1_sel:DWORD
	s_and_saveexec_b64 s[34:35], s[4:5]
	s_cbranch_execz .LBB209_182
; %bb.179:                              ;   in Loop: Header=BB209_9 Depth=1
	v_and_b32_e32 v34, 0x7f, v33
	v_mov_b32_e32 v41, 0x7f800001
	v_mov_b32_e32 v42, 0
	v_cmp_ne_u32_e64 s[4:5], s43, v34
	s_and_saveexec_b64 s[36:37], s[4:5]
	s_cbranch_execz .LBB209_181
; %bb.180:                              ;   in Loop: Header=BB209_9 Depth=1
	v_and_b32_e32 v45, 7, v33
	v_lshrrev_b32_e32 v51, 3, v34
	v_cmp_gt_u32_e64 s[4:5], 8, v34
	v_ffbh_u32_e32 v34, v45
	v_min_u32_e32 v34, 32, v34
	v_subrev_u32_e32 v41, 28, v34
	v_lshlrev_b64 v[41:42], v41, v[33:34]
	v_sub_u32_e32 v34, 29, v34
	v_and_b32_e32 v41, 7, v41
	v_cndmask_b32_e64 v34, v51, v34, s[4:5]
	v_cndmask_b32_e64 v41, v45, v41, s[4:5]
	v_lshlrev_b32_e32 v41, 20, v41
	v_and_b32_sdwa v42, sext(v33), s44 dst_sel:DWORD dst_unused:UNUSED_PAD src0_sel:BYTE_0 src1_sel:DWORD
	v_lshl_add_u32 v34, v34, 23, v62
	v_or3_b32 v41, v42, v34, v41
	v_mov_b32_e32 v42, v47
.LBB209_181:                            ;   in Loop: Header=BB209_9 Depth=1
	s_or_b64 exec, exec, s[36:37]
.LBB209_182:                            ;   in Loop: Header=BB209_9 Depth=1
	s_or_b64 exec, exec, s[34:35]
.LBB209_183:                            ;   in Loop: Header=BB209_9 Depth=1
	s_or_b64 exec, exec, s[16:17]
	v_cmp_ne_u16_sdwa s[4:5], v33, v47 src0_sel:BYTE_1 src1_sel:DWORD
	s_and_saveexec_b64 s[16:17], s[4:5]
	s_cbranch_execz .LBB209_189
; %bb.184:                              ;   in Loop: Header=BB209_9 Depth=1
	v_mov_b32_e32 v29, v47
	v_cmp_ne_u16_sdwa s[4:5], v33, s42 src0_sel:BYTE_1 src1_sel:DWORD
	v_mov_b32_e32 v30, v48
	s_and_saveexec_b64 s[34:35], s[4:5]
	s_cbranch_execz .LBB209_188
; %bb.185:                              ;   in Loop: Header=BB209_9 Depth=1
	v_mov_b32_e32 v45, v47
	v_and_b32_sdwa v34, v33, s43 dst_sel:DWORD dst_unused:UNUSED_PAD src0_sel:BYTE_1 src1_sel:DWORD
	v_mov_b32_e32 v29, v45
	v_cmp_ne_u32_e64 s[4:5], s43, v34
	v_mov_b32_e32 v30, v46
	s_and_saveexec_b64 s[36:37], s[4:5]
	s_cbranch_execz .LBB209_187
; %bb.186:                              ;   in Loop: Header=BB209_9 Depth=1
	v_and_b32_sdwa v29, v33, v59 dst_sel:DWORD dst_unused:UNUSED_PAD src0_sel:BYTE_1 src1_sel:DWORD
	v_lshrrev_b32_e32 v45, 3, v34
	v_cmp_gt_u32_e64 s[4:5], 8, v34
	v_ffbh_u32_e32 v34, v29
	v_min_u32_e32 v34, 32, v34
	v_mov_b32_e32 v30, v47
	v_subrev_u32_e32 v51, 28, v34
	v_lshlrev_b64 v[53:54], v51, v[29:30]
	v_sub_u32_e32 v30, 29, v34
	v_and_b32_e32 v34, 7, v53
	v_cndmask_b32_e64 v30, v45, v30, s[4:5]
	v_cndmask_b32_e64 v29, v29, v34, s[4:5]
	v_lshlrev_b32_e32 v33, 16, v33
	v_lshl_add_u32 v30, v30, 23, v62
	v_and_or_b32 v30, v33, s44, v30
	v_lshlrev_b32_e32 v29, 20, v29
	v_or_b32_e32 v30, v30, v29
	v_mov_b32_e32 v29, v47
.LBB209_187:                            ;   in Loop: Header=BB209_9 Depth=1
	s_or_b64 exec, exec, s[36:37]
.LBB209_188:                            ;   in Loop: Header=BB209_9 Depth=1
	s_or_b64 exec, exec, s[34:35]
.LBB209_189:                            ;   in Loop: Header=BB209_9 Depth=1
	s_or_b64 exec, exec, s[16:17]
	global_load_ushort v33, v[49:50], off offset:1548
	v_mov_b32_e32 v49, 0
	v_mov_b32_e32 v50, 0
	s_waitcnt vmcnt(0)
	v_and_b32_e32 v51, 0xffff, v33
	v_cmp_ne_u16_sdwa s[4:5], v33, v47 src0_sel:BYTE_0 src1_sel:DWORD
	v_mov_b32_e32 v33, 0
	v_mov_b32_e32 v34, 0
	s_and_saveexec_b64 s[16:17], s[4:5]
	s_cbranch_execz .LBB209_195
; %bb.190:                              ;   in Loop: Header=BB209_9 Depth=1
	v_bfrev_b32_e32 v49, 1
	v_mov_b32_e32 v50, 0
	v_cmp_ne_u16_sdwa s[4:5], v51, s42 src0_sel:BYTE_0 src1_sel:DWORD
	s_and_saveexec_b64 s[34:35], s[4:5]
	s_cbranch_execz .LBB209_194
; %bb.191:                              ;   in Loop: Header=BB209_9 Depth=1
	v_and_b32_e32 v45, 0x7f, v51
	v_mov_b32_e32 v49, 0x7f800001
	v_mov_b32_e32 v50, 0
	v_cmp_ne_u32_e64 s[4:5], s43, v45
	s_and_saveexec_b64 s[36:37], s[4:5]
	s_cbranch_execz .LBB209_193
; %bb.192:                              ;   in Loop: Header=BB209_9 Depth=1
	v_and_b32_e32 v53, 7, v51
	v_lshrrev_b32_e32 v54, 3, v45
	v_cmp_gt_u32_e64 s[4:5], 8, v45
	v_ffbh_u32_e32 v45, v53
	v_min_u32_e32 v45, 32, v45
	v_subrev_u32_e32 v49, 28, v45
	v_lshlrev_b64 v[49:50], v49, v[51:52]
	v_sub_u32_e32 v45, 29, v45
	v_and_b32_e32 v49, 7, v49
	v_cndmask_b32_e64 v45, v54, v45, s[4:5]
	v_cndmask_b32_e64 v49, v53, v49, s[4:5]
	v_lshlrev_b32_e32 v49, 20, v49
	v_and_b32_sdwa v50, sext(v51), s44 dst_sel:DWORD dst_unused:UNUSED_PAD src0_sel:BYTE_0 src1_sel:DWORD
	v_lshl_add_u32 v45, v45, 23, v62
	v_or3_b32 v49, v50, v45, v49
	v_mov_b32_e32 v50, v47
.LBB209_193:                            ;   in Loop: Header=BB209_9 Depth=1
	s_or_b64 exec, exec, s[36:37]
.LBB209_194:                            ;   in Loop: Header=BB209_9 Depth=1
	s_or_b64 exec, exec, s[34:35]
.LBB209_195:                            ;   in Loop: Header=BB209_9 Depth=1
	s_or_b64 exec, exec, s[16:17]
	v_cmp_ne_u16_sdwa s[4:5], v51, v47 src0_sel:BYTE_1 src1_sel:DWORD
	s_and_saveexec_b64 s[16:17], s[4:5]
	s_cbranch_execz .LBB209_201
; %bb.196:                              ;   in Loop: Header=BB209_9 Depth=1
	v_mov_b32_e32 v33, v47
	v_cmp_ne_u16_sdwa s[4:5], v51, s42 src0_sel:BYTE_1 src1_sel:DWORD
	v_mov_b32_e32 v34, v48
	s_and_saveexec_b64 s[34:35], s[4:5]
	s_cbranch_execz .LBB209_200
; %bb.197:                              ;   in Loop: Header=BB209_9 Depth=1
	v_mov_b32_e32 v45, v47
	v_and_b32_sdwa v53, v51, s43 dst_sel:DWORD dst_unused:UNUSED_PAD src0_sel:BYTE_1 src1_sel:DWORD
	v_mov_b32_e32 v33, v45
	v_cmp_ne_u32_e64 s[4:5], s43, v53
	v_mov_b32_e32 v34, v46
	s_and_saveexec_b64 s[36:37], s[4:5]
	s_cbranch_execz .LBB209_199
; %bb.198:                              ;   in Loop: Header=BB209_9 Depth=1
	v_and_b32_sdwa v33, v51, v59 dst_sel:DWORD dst_unused:UNUSED_PAD src0_sel:BYTE_1 src1_sel:DWORD
	v_lshrrev_b32_e32 v45, 3, v53
	v_cmp_gt_u32_e64 s[4:5], 8, v53
	v_ffbh_u32_e32 v53, v33
	v_mov_b32_e32 v59, v58
	v_mov_b32_e32 v58, v57
	;; [unrolled: 1-line block ×4, first 2 shown]
	v_min_u32_e32 v55, 32, v53
	v_mov_b32_e32 v34, v47
	v_subrev_u32_e32 v53, 28, v55
	v_lshlrev_b64 v[53:54], v53, v[33:34]
	v_sub_u32_e32 v34, 29, v55
	v_and_b32_e32 v53, 7, v53
	v_cndmask_b32_e64 v34, v45, v34, s[4:5]
	v_cndmask_b32_e64 v33, v33, v53, s[4:5]
	v_lshlrev_b32_e32 v45, 16, v51
	v_lshl_add_u32 v34, v34, 23, v62
	v_mov_b32_e32 v55, v56
	v_mov_b32_e32 v56, v57
	;; [unrolled: 1-line block ×3, first 2 shown]
	v_and_or_b32 v34, v45, s44, v34
	v_lshlrev_b32_e32 v33, 20, v33
	v_mov_b32_e32 v58, v59
	v_mov_b32_e32 v59, 7
	v_or_b32_e32 v34, v34, v33
	v_mov_b32_e32 v33, v47
.LBB209_199:                            ;   in Loop: Header=BB209_9 Depth=1
	s_or_b64 exec, exec, s[36:37]
.LBB209_200:                            ;   in Loop: Header=BB209_9 Depth=1
	s_or_b64 exec, exec, s[34:35]
.LBB209_201:                            ;   in Loop: Header=BB209_9 Depth=1
	s_or_b64 exec, exec, s[16:17]
	v_or_b32_e32 v12, v14, v12
	v_or_b32_e32 v11, v13, v11
	;; [unrolled: 1-line block ×6, first 2 shown]
	buffer_load_dword v1, off, s[48:51], 0 offset:60 ; 4-byte Folded Reload
	buffer_load_dword v2, off, s[48:51], 0 offset:64 ; 4-byte Folded Reload
	;; [unrolled: 1-line block ×4, first 2 shown]
	v_or_b32_e32 v16, v18, v16
	v_or_b32_e32 v15, v17, v15
	;; [unrolled: 1-line block ×10, first 2 shown]
	v_mul_f32_e32 v5, s40, v5
	v_mul_f32_e32 v6, s39, v6
	;; [unrolled: 1-line block ×10, first 2 shown]
	v_or_b32_e32 v20, v40, v20
	v_or_b32_e32 v19, v39, v19
	;; [unrolled: 1-line block ×4, first 2 shown]
	v_mul_f32_e32 v20, s40, v20
	v_mul_f32_e32 v19, s39, v19
	;; [unrolled: 1-line block ×7, first 2 shown]
	s_waitcnt vmcnt(1)
	v_or_b32_e32 v10, v13, v1
	s_waitcnt vmcnt(0)
	v_or_b32_e32 v9, v14, v2
	buffer_load_dword v1, off, s[48:51], 0 offset:44 ; 4-byte Folded Reload
	buffer_load_dword v2, off, s[48:51], 0 offset:48 ; 4-byte Folded Reload
	;; [unrolled: 1-line block ×4, first 2 shown]
	v_mul_f32_e32 v9, s40, v9
	v_mul_f32_e32 v10, s39, v10
	s_waitcnt vmcnt(1)
	v_or_b32_e32 v14, v17, v1
	s_waitcnt vmcnt(0)
	v_or_b32_e32 v13, v18, v2
	buffer_load_dword v1, off, s[48:51], 0 offset:28 ; 4-byte Folded Reload
	buffer_load_dword v2, off, s[48:51], 0 offset:32 ; 4-byte Folded Reload
	;; [unrolled: 1-line block ×4, first 2 shown]
	v_mul_f32_e32 v14, s39, v14
	v_mul_f32_e32 v13, s40, v13
	s_waitcnt vmcnt(1)
	v_or_b32_e32 v18, v27, v1
	s_waitcnt vmcnt(0)
	v_or_b32_e32 v17, v28, v2
	buffer_load_dword v1, off, s[48:51], 0 offset:12 ; 4-byte Folded Reload
	buffer_load_dword v2, off, s[48:51], 0 offset:16 ; 4-byte Folded Reload
	;; [unrolled: 1-line block ×6, first 2 shown]
	v_mul_f32_e32 v18, s39, v18
	v_mul_f32_e32 v17, s40, v17
	s_waitcnt vmcnt(3)
	v_or_b32_e32 v1, v27, v1
	s_waitcnt vmcnt(2)
	v_or_b32_e32 v2, v28, v2
	;; [unrolled: 2-line block ×3, first 2 shown]
	v_or_b32_e32 v28, v31, v60
	v_or_b32_e32 v31, v34, v50
	;; [unrolled: 1-line block ×3, first 2 shown]
	buffer_load_dword v33, off, s[48:51], 0 offset:76 ; 4-byte Folded Reload
	buffer_load_dword v34, off, s[48:51], 0 offset:80 ; 4-byte Folded Reload
	;; [unrolled: 1-line block ×4, first 2 shown]
	v_mul_f32_e32 v1, s39, v1
	v_mul_f32_e32 v2, s40, v2
	v_mul_f32_e32 v28, s39, v28
	v_mul_f32_e32 v27, s40, v27
	s_waitcnt vmcnt(1)
	v_mul_f32_e32 v1, v35, v1
	s_waitcnt vmcnt(0)
	v_mul_f32_e32 v2, v36, v2
	v_fmac_f32_e32 v1, v33, v28
	v_fmac_f32_e32 v2, v34, v27
	buffer_load_dword v33, off, s[48:51], 0 offset:92 ; 4-byte Folded Reload
	buffer_load_dword v34, off, s[48:51], 0 offset:96 ; 4-byte Folded Reload
	;; [unrolled: 1-line block ×4, first 2 shown]
	v_mul_f32_e32 v27, s39, v32
	s_waitcnt vmcnt(3)
	v_fmac_f32_e32 v1, v33, v18
	s_waitcnt vmcnt(2)
	v_fmac_f32_e32 v2, v34, v17
	;; [unrolled: 2-line block ×3, first 2 shown]
	v_mul_f32_e32 v14, s40, v30
	v_mul_f32_e32 v17, s39, v29
	;; [unrolled: 1-line block ×4, first 2 shown]
	buffer_load_dword v28, off, s[48:51], 0 offset:108 ; 4-byte Folded Reload
	buffer_load_dword v29, off, s[48:51], 0 offset:112 ; 4-byte Folded Reload
	;; [unrolled: 1-line block ×4, first 2 shown]
	s_waitcnt vmcnt(4)
	v_fmac_f32_e32 v2, v36, v13
	s_waitcnt vmcnt(3)
	v_fmac_f32_e32 v1, v28, v10
	;; [unrolled: 2-line block ×5, first 2 shown]
	buffer_load_dword v28, off, s[48:51], 0 offset:124 ; 4-byte Folded Reload
	buffer_load_dword v29, off, s[48:51], 0 offset:128 ; 4-byte Folded Reload
	;; [unrolled: 1-line block ×4, first 2 shown]
	s_waitcnt vmcnt(3)
	v_fmac_f32_e32 v1, v28, v3
	s_waitcnt vmcnt(2)
	v_fmac_f32_e32 v2, v29, v4
	buffer_load_dword v3, off, s[48:51], 0 offset:140 ; 4-byte Folded Reload
	buffer_load_dword v4, off, s[48:51], 0 offset:144 ; 4-byte Folded Reload
	buffer_load_dword v5, off, s[48:51], 0 offset:148 ; 4-byte Folded Reload
	buffer_load_dword v6, off, s[48:51], 0 offset:152 ; 4-byte Folded Reload
	s_waitcnt vmcnt(5)
	v_fmac_f32_e32 v1, v30, v7
	s_waitcnt vmcnt(4)
	v_fmac_f32_e32 v2, v31, v8
	;; [unrolled: 2-line block ×6, first 2 shown]
	buffer_load_dword v3, off, s[48:51], 0 offset:156 ; 4-byte Folded Reload
	buffer_load_dword v4, off, s[48:51], 0 offset:160 ; 4-byte Folded Reload
	buffer_load_dword v5, off, s[48:51], 0 offset:164 ; 4-byte Folded Reload
	buffer_load_dword v6, off, s[48:51], 0 offset:168 ; 4-byte Folded Reload
	s_waitcnt vmcnt(3)
	v_fmac_f32_e32 v1, v3, v19
	s_waitcnt vmcnt(2)
	v_fmac_f32_e32 v2, v4, v20
	s_waitcnt vmcnt(1)
	v_fmac_f32_e32 v1, v5, v23
	s_waitcnt vmcnt(0)
	v_fmac_f32_e32 v2, v6, v24
	buffer_load_dword v3, off, s[48:51], 0 offset:172 ; 4-byte Folded Reload
	buffer_load_dword v4, off, s[48:51], 0 offset:176 ; 4-byte Folded Reload
	buffer_load_dword v5, off, s[48:51], 0 offset:180 ; 4-byte Folded Reload
	buffer_load_dword v6, off, s[48:51], 0 offset:184 ; 4-byte Folded Reload
	s_waitcnt vmcnt(3)
	v_fmac_f32_e32 v1, v3, v21
	s_waitcnt vmcnt(2)
	v_fmac_f32_e32 v2, v4, v22
	s_waitcnt vmcnt(1)
	v_fmac_f32_e32 v1, v5, v25
	s_waitcnt vmcnt(0)
	v_fmac_f32_e32 v2, v6, v18
	;; [unrolled: 12-line block ×3, first 2 shown]
	v_add_f32_e32 v1, v1, v2
	ds_bpermute_b32 v2, v56, v1
	s_and_saveexec_b64 s[16:17], vcc
	s_cbranch_execz .LBB209_8
; %bb.202:                              ;   in Loop: Header=BB209_9 Depth=1
	v_add_u32_e32 v3, s41, v63
	v_cvt_f32_i32_e32 v3, v3
	s_waitcnt lgkmcnt(0)
	v_add_f32_e32 v1, v1, v2
	v_cmp_gt_i32_e64 s[4:5], s30, v63
	v_max_f32_e32 v2, v55, v55
	v_mul_f32_e32 v3, s33, v3
	v_cndmask_b32_e64 v3, 0, v3, s[2:3]
	v_fmac_f32_e32 v3, s31, v1
	v_cndmask_b32_e64 v1, 0, v3, s[4:5]
	ds_write_b32 v0, v1
	v_max_f32_e32 v1, v2, v3
	v_cndmask_b32_e64 v55, v55, v1, s[4:5]
	s_branch .LBB209_8
.LBB209_203:
	s_or_b64 exec, exec, s[14:15]
	buffer_load_dword v13, off, s[48:51], 0 offset:204 ; 4-byte Folded Reload
	buffer_load_dword v10, off, s[48:51], 0 offset:208 ; 4-byte Folded Reload
	;; [unrolled: 1-line block ×6, first 2 shown]
.LBB209_204:
	s_or_b64 exec, exec, s[6:7]
	s_waitcnt vmcnt(2)
	v_xor_b32_e32 v0, 32, v12
	s_waitcnt vmcnt(0)
	v_cmp_lt_i32_e32 vcc, v0, v8
	v_cndmask_b32_e32 v0, v12, v0, vcc
	v_lshlrev_b32_e32 v0, 2, v0
	ds_bpermute_b32 v1, v0, v55
	v_xor_b32_e32 v3, 16, v12
	s_waitcnt lgkmcnt(0)
	v_max_f32_e32 v2, v55, v55
	v_cmp_lt_i32_e32 vcc, v3, v8
	v_xor_b32_e32 v4, 8, v12
	v_max_f32_e32 v1, v1, v1
	v_max_f32_e32 v2, v2, v1
	v_cndmask_b32_e32 v1, v12, v3, vcc
	v_lshlrev_b32_e32 v1, 2, v1
	ds_bpermute_b32 v3, v1, v2
	v_cmp_lt_i32_e32 vcc, v4, v8
	v_xor_b32_e32 v5, 4, v12
	v_and_b32_e32 v14, 63, v13
	s_waitcnt lgkmcnt(0)
	v_max_f32_e32 v3, v3, v3
	v_max_f32_e32 v3, v2, v3
	v_cndmask_b32_e32 v2, v12, v4, vcc
	v_lshlrev_b32_e32 v2, 2, v2
	ds_bpermute_b32 v4, v2, v3
	v_cmp_lt_i32_e32 vcc, v5, v8
	s_waitcnt lgkmcnt(0)
	v_max_f32_e32 v4, v4, v4
	v_max_f32_e32 v3, v3, v4
	v_cndmask_b32_e32 v4, v12, v5, vcc
	v_lshlrev_b32_e32 v15, 2, v4
	ds_bpermute_b32 v4, v15, v3
	v_xor_b32_e32 v5, 2, v12
	v_cmp_lt_i32_e32 vcc, v5, v8
	s_waitcnt lgkmcnt(0)
	v_max_f32_e32 v4, v4, v4
	v_max_f32_e32 v4, v3, v4
	v_cndmask_b32_e32 v3, v12, v5, vcc
	v_lshlrev_b32_e32 v16, 2, v3
	buffer_load_dword v3, off, s[48:51], 0  ; 4-byte Folded Reload
	ds_bpermute_b32 v5, v16, v4
	v_cmp_eq_u32_e32 vcc, 0, v14
	s_waitcnt vmcnt(0)
	v_lshlrev_b32_e32 v3, 2, v3
	s_and_saveexec_b64 s[2:3], vcc
	s_cbranch_execz .LBB209_206
; %bb.205:
	s_waitcnt lgkmcnt(0)
	v_max_f32_e32 v5, v5, v5
	v_max_f32_e32 v4, v4, v4
	;; [unrolled: 1-line block ×3, first 2 shown]
	ds_write_b32 v3, v4 offset:256
.LBB209_206:
	s_or_b64 exec, exec, s[2:3]
	v_cmp_gt_u32_e64 s[2:3], 2, v14
	s_waitcnt lgkmcnt(0)
	v_mov_b32_e32 v5, 0xff7fffff
	v_lshlrev_b32_e32 v4, 2, v14
	s_barrier
	s_and_saveexec_b64 s[4:5], s[2:3]
; %bb.207:
	ds_read_b32 v5, v4 offset:256
; %bb.208:
	s_or_b64 exec, exec, s[4:5]
	v_xor_b32_e32 v6, 1, v12
	v_cmp_lt_i32_e64 s[4:5], v6, v8
	v_cndmask_b32_e64 v6, v12, v6, s[4:5]
	v_lshlrev_b32_e32 v17, 2, v6
	s_waitcnt lgkmcnt(0)
	ds_bpermute_b32 v6, v17, v5
	v_max_f32_e32 v5, v5, v5
	s_lshl_b32 s4, s21, 5
	s_min_i32 s31, s4, s30
	v_cmp_gt_i32_e64 s[4:5], s31, v13
	s_waitcnt lgkmcnt(0)
	v_max_f32_e32 v6, v6, v6
	v_max_f32_e32 v5, v5, v6
	v_lshlrev_b32_e32 v6, 2, v7
	ds_bpermute_b32 v6, v6, v5
	v_mov_b32_e32 v5, 0
	s_and_saveexec_b64 s[14:15], s[4:5]
	s_cbranch_execz .LBB209_212
; %bb.209:
	v_mov_b32_e32 v5, 0x110
	v_lshl_add_u32 v7, v13, 2, v5
	v_mov_b32_e32 v5, 0
	s_mov_b64 s[16:17], 0
	v_mov_b32_e32 v8, v13
.LBB209_210:                            ; =>This Inner Loop Header: Depth=1
	ds_read_b32 v9, v7
	v_add_u32_e32 v8, 0x80, v8
	v_cmp_le_i32_e64 s[6:7], s31, v8
	s_or_b64 s[16:17], s[6:7], s[16:17]
	s_waitcnt lgkmcnt(0)
	v_sub_f32_e32 v9, v9, v6
	v_mul_f32_e32 v9, 0x3fb8aa3b, v9
	v_exp_f32_e32 v9, v9
	ds_write_b32 v7, v9
	v_add_f32_e32 v5, v5, v9
	v_add_u32_e32 v7, 0x200, v7
	s_andn2_b64 exec, exec, s[16:17]
	s_cbranch_execnz .LBB209_210
; %bb.211:
	s_or_b64 exec, exec, s[16:17]
.LBB209_212:
	s_or_b64 exec, exec, s[14:15]
	ds_bpermute_b32 v0, v0, v5
	s_waitcnt lgkmcnt(0)
	v_add_f32_e32 v0, v5, v0
	ds_bpermute_b32 v1, v1, v0
	s_waitcnt lgkmcnt(0)
	v_add_f32_e32 v0, v0, v1
	;; [unrolled: 3-line block ×6, first 2 shown]
	s_and_saveexec_b64 s[6:7], vcc
; %bb.213:
	ds_write_b32 v3, v0 offset:264
; %bb.214:
	s_or_b64 exec, exec, s[6:7]
	s_waitcnt lgkmcnt(0)
	s_barrier
	s_and_saveexec_b64 s[6:7], s[2:3]
; %bb.215:
	ds_read_b32 v0, v4 offset:264
; %bb.216:
	s_or_b64 exec, exec, s[6:7]
	s_waitcnt lgkmcnt(0)
	ds_bpermute_b32 v1, v17, v0
	v_lshlrev_b32_e32 v2, 2, v12
	s_waitcnt lgkmcnt(0)
	v_add_f32_e32 v0, v0, v1
	v_and_b32_e32 v1, 0xffffff00, v2
	ds_bpermute_b32 v0, v1, v0
	s_and_saveexec_b64 s[2:3], s[4:5]
	s_cbranch_execz .LBB209_219
; %bb.217:
	s_waitcnt lgkmcnt(0)
	v_add_f32_e32 v1, 0x358637bd, v0
	v_div_scale_f32 v0, s[4:5], v1, v1, 1.0
	v_div_scale_f32 v2, vcc, 1.0, v1, 1.0
	s_mov_b64 s[4:5], 0
	v_rcp_f32_e32 v3, v0
	v_fma_f32 v4, -v0, v3, 1.0
	v_fmac_f32_e32 v3, v4, v3
	v_mul_f32_e32 v4, v2, v3
	v_fma_f32 v5, -v0, v4, v2
	v_fmac_f32_e32 v4, v5, v3
	v_fma_f32 v0, -v0, v4, v2
	v_div_fmas_f32 v2, v0, v3, v4
	v_mov_b32_e32 v0, 0x110
	v_lshl_add_u32 v0, v13, 2, v0
	v_div_fixup_f32 v1, v2, v1, 1.0
	v_mov_b32_e32 v2, v13
.LBB209_218:                            ; =>This Inner Loop Header: Depth=1
	ds_read_b32 v3, v0
	v_add_u32_e32 v2, 0x80, v2
	v_cmp_le_i32_e32 vcc, s31, v2
	s_or_b64 s[4:5], vcc, s[4:5]
	s_waitcnt lgkmcnt(0)
	v_mul_f32_e32 v3, v1, v3
	ds_write_b32 v0, v3
	v_add_u32_e32 v0, 0x200, v0
	s_andn2_b64 exec, exec, s[4:5]
	s_cbranch_execnz .LBB209_218
.LBB209_219:
	s_or_b64 exec, exec, s[2:3]
	v_mov_b32_e32 v34, 0
	v_and_b32_e32 v18, 7, v13
	v_mov_b32_e32 v35, 0
	v_mov_b32_e32 v33, 0
	;; [unrolled: 1-line block ×7, first 2 shown]
	s_waitcnt lgkmcnt(0)
	s_barrier
	s_and_saveexec_b64 s[2:3], s[0:1]
	s_cbranch_execz .LBB209_431
; %bb.220:
	s_ashr_i32 s0, s12, 31
	s_add_u32 s1, s28, s12
	s_addc_u32 s0, s29, s0
	v_and_b32_e32 v1, 0xfc, v10
	v_mov_b32_e32 v2, s0
	v_add_co_u32_e32 v1, vcc, s1, v1
	buffer_store_dword v17, off, s[48:51], 0 offset:36 ; 4-byte Folded Spill
	buffer_store_dword v16, off, s[48:51], 0 offset:28 ; 4-byte Folded Spill
	buffer_store_dword v15, off, s[48:51], 0 offset:20 ; 4-byte Folded Spill
	buffer_store_dword v14, off, s[48:51], 0 offset:12 ; 4-byte Folded Spill
	v_addc_co_u32_e32 v2, vcc, 0, v2, vcc
	s_load_dword s17, s[18:19], 0x0
	buffer_store_dword v1, off, s[48:51], 0 offset:4 ; 4-byte Folded Spill
	s_nop 0
	buffer_store_dword v2, off, s[48:51], 0 offset:8 ; 4-byte Folded Spill
	buffer_load_dword v2, off, s[48:51], 0  ; 4-byte Folded Reload
	v_and_b32_e32 v0, 28, v10
	s_add_i32 s19, s21, -1
	s_lshl_b64 s[0:1], s[26:27], 2
	s_add_u32 s0, s24, s0
	s_addc_u32 s1, s25, s1
	v_mov_b32_e32 v5, 0
	s_mov_b32 s16, s13
	s_waitcnt lgkmcnt(0)
	s_mov_b32 s18, s17
	s_mov_b64 s[4:5], 0
	s_movk_i32 s24, 0x80
	s_movk_i32 s25, 0x7f
	s_brev_b32 s26, 1
	s_mov_b32 s27, 0xffffff
	v_bfrev_b32_e32 v38, 60
	v_bfrev_b32_e32 v6, 1
	v_mov_b32_e32 v12, 0x7f800001
	v_mov_b32_e32 v39, 7
	;; [unrolled: 1-line block ×10, first 2 shown]
	buffer_store_dword v18, off, s[48:51], 0 offset:44 ; 4-byte Folded Spill
	s_waitcnt vmcnt(1)
	v_lshlrev_b32_e32 v1, 5, v2
	v_or3_b32 v36, v1, v0, 3
	v_lshlrev_b32_e32 v0, 4, v18
	v_lshl_or_b32 v0, v2, 7, v0
	v_add_u32_e32 v37, 0x110, v0
	v_and_b32_e32 v0, 60, v11
	v_mov_b32_e32 v1, s1
	v_add_co_u32_e32 v9, vcc, s0, v0
	v_addc_co_u32_e32 v10, vcc, 0, v1, vcc
	s_branch .LBB209_222
.LBB209_221:                            ;   in Loop: Header=BB209_222 Depth=1
	s_or_b64 exec, exec, s[0:1]
	s_waitcnt lgkmcnt(0)
	v_mul_f32_e32 v7, v1, v27
	v_fmac_f32_e32 v7, v2, v26
	v_fmac_f32_e32 v7, v3, v23
	;; [unrolled: 1-line block ×3, first 2 shown]
	v_add_f32_e32 v29, v29, v7
	v_mul_f32_e32 v7, v1, v25
	v_fmac_f32_e32 v7, v2, v0
	v_mul_f32_e32 v0, v1, v63
	v_fmac_f32_e32 v0, v2, v60
	v_fmac_f32_e32 v0, v3, v62
	v_fmac_f32_e32 v0, v4, v61
	v_add_f32_e32 v31, v31, v0
	v_mul_f32_e32 v0, v1, v59
	v_fmac_f32_e32 v0, v2, v56
	v_fmac_f32_e32 v0, v3, v58
	v_fmac_f32_e32 v0, v4, v57
	v_add_f32_e32 v32, v32, v0
	;; [unrolled: 5-line block ×6, first 2 shown]
	buffer_load_dword v0, off, s[48:51], 0  ; 4-byte Folded Reload
	v_fmac_f32_e32 v7, v3, v40
	v_fmac_f32_e32 v7, v4, v24
	v_add_f32_e32 v30, v30, v7
	v_add_u32_e32 v36, 64, v36
	v_add_u32_e32 v37, 0x100, v37
	s_waitcnt vmcnt(0)
	v_add_u32_e32 v0, 2, v0
	v_cmp_le_i32_e32 vcc, s21, v0
	s_or_b64 s[4:5], vcc, s[4:5]
	v_add_co_u32_e32 v9, vcc, 8, v9
	v_addc_co_u32_e32 v10, vcc, 0, v10, vcc
	buffer_store_dword v0, off, s[48:51], 0 ; 4-byte Folded Spill
	s_andn2_b64 exec, exec, s[4:5]
	s_cbranch_execz .LBB209_430
.LBB209_222:                            ; =>This Inner Loop Header: Depth=1
	global_load_dword v0, v[9:10], off
	buffer_load_dword v1, off, s[48:51], 0 offset:4 ; 4-byte Folded Reload
	buffer_load_dword v2, off, s[48:51], 0 offset:8 ; 4-byte Folded Reload
	v_mov_b32_e32 v18, 0
	v_mov_b32_e32 v16, 0
	;; [unrolled: 1-line block ×4, first 2 shown]
	s_waitcnt vmcnt(0)
	v_mad_i64_i32 v[13:14], s[0:1], v0, s16, v[1:2]
	ds_read_b128 v[1:4], v37
	global_load_dword v15, v[13:14], off
	s_waitcnt vmcnt(0)
	v_cmp_ne_u16_sdwa s[6:7], v15, v5 src0_sel:BYTE_0 src1_sel:DWORD
	s_and_saveexec_b64 s[0:1], s[6:7]
	s_cbranch_execz .LBB209_228
; %bb.223:                              ;   in Loop: Header=BB209_222 Depth=1
	v_bfrev_b32_e32 v16, 1
	v_mov_b32_e32 v17, 0
	v_cmp_ne_u16_sdwa s[12:13], v15, s24 src0_sel:BYTE_0 src1_sel:DWORD
	s_and_saveexec_b64 s[6:7], s[12:13]
	s_cbranch_execz .LBB209_227
; %bb.224:                              ;   in Loop: Header=BB209_222 Depth=1
	v_and_b32_e32 v0, 0x7f, v15
	v_mov_b32_e32 v16, 0x7f800001
	v_mov_b32_e32 v17, 0
	v_cmp_ne_u32_e32 vcc, s25, v0
	s_and_saveexec_b64 s[12:13], vcc
	s_cbranch_execz .LBB209_226
; %bb.225:                              ;   in Loop: Header=BB209_222 Depth=1
	v_and_b32_e32 v7, 7, v15
	v_ffbh_u32_e32 v11, v7
	v_min_u32_e32 v11, 32, v11
	v_subrev_u32_e32 v16, 28, v11
	v_lshlrev_b64 v[16:17], v16, v[15:16]
	v_lshrrev_b32_e32 v8, 3, v0
	v_sub_u32_e32 v11, 29, v11
	v_and_b32_e32 v16, 7, v16
	v_cmp_gt_u32_e32 vcc, 8, v0
	v_cndmask_b32_e32 v0, v8, v11, vcc
	v_cndmask_b32_e32 v7, v7, v16, vcc
	v_lshlrev_b32_e32 v7, 20, v7
	v_and_b32_sdwa v8, sext(v15), s26 dst_sel:DWORD dst_unused:UNUSED_PAD src0_sel:BYTE_0 src1_sel:DWORD
	v_lshl_add_u32 v0, v0, 23, v38
	v_or3_b32 v16, v8, v0, v7
	v_mov_b32_e32 v17, v5
.LBB209_226:                            ;   in Loop: Header=BB209_222 Depth=1
	s_or_b64 exec, exec, s[12:13]
.LBB209_227:                            ;   in Loop: Header=BB209_222 Depth=1
	s_or_b64 exec, exec, s[6:7]
.LBB209_228:                            ;   in Loop: Header=BB209_222 Depth=1
	s_or_b64 exec, exec, s[0:1]
	v_cmp_ne_u16_sdwa s[6:7], v15, v5 src0_sel:BYTE_1 src1_sel:DWORD
	s_and_saveexec_b64 s[0:1], s[6:7]
	s_cbranch_execz .LBB209_234
; %bb.229:                              ;   in Loop: Header=BB209_222 Depth=1
	v_mov_b32_e32 v19, v6
	v_cmp_ne_u16_sdwa s[12:13], v15, s24 src0_sel:BYTE_1 src1_sel:DWORD
	v_mov_b32_e32 v18, v5
	s_and_saveexec_b64 s[6:7], s[12:13]
	s_cbranch_execz .LBB209_233
; %bb.230:                              ;   in Loop: Header=BB209_222 Depth=1
	v_and_b32_sdwa v0, v15, s25 dst_sel:DWORD dst_unused:UNUSED_PAD src0_sel:BYTE_1 src1_sel:DWORD
	v_mov_b32_e32 v11, v5
	v_mov_b32_e32 v19, v12
	v_cmp_ne_u32_e32 vcc, s25, v0
	v_mov_b32_e32 v18, v11
	s_and_saveexec_b64 s[12:13], vcc
	s_cbranch_execz .LBB209_232
; %bb.231:                              ;   in Loop: Header=BB209_222 Depth=1
	v_and_b32_sdwa v18, v15, v39 dst_sel:DWORD dst_unused:UNUSED_PAD src0_sel:BYTE_1 src1_sel:DWORD
	v_ffbh_u32_e32 v8, v18
	v_min_u32_e32 v8, 32, v8
	v_mov_b32_e32 v19, v5
	v_subrev_u32_e32 v11, 28, v8
	v_lshlrev_b64 v[19:20], v11, v[18:19]
	v_lshrrev_b32_e32 v7, 3, v0
	v_sub_u32_e32 v8, 29, v8
	v_cmp_gt_u32_e32 vcc, 8, v0
	v_and_b32_e32 v11, 7, v19
	v_cndmask_b32_e32 v0, v7, v8, vcc
	v_cndmask_b32_e32 v7, v18, v11, vcc
	v_lshlrev_b32_e32 v8, 16, v15
	v_lshl_add_u32 v0, v0, 23, v38
	v_and_or_b32 v0, v8, s26, v0
	v_lshlrev_b32_e32 v7, 20, v7
	v_or_b32_e32 v19, v0, v7
	v_mov_b32_e32 v18, v5
.LBB209_232:                            ;   in Loop: Header=BB209_222 Depth=1
	s_or_b64 exec, exec, s[12:13]
.LBB209_233:                            ;   in Loop: Header=BB209_222 Depth=1
	s_or_b64 exec, exec, s[6:7]
.LBB209_234:                            ;   in Loop: Header=BB209_222 Depth=1
	s_or_b64 exec, exec, s[0:1]
	v_lshrrev_b32_e32 v11, 16, v15
	v_mov_b32_e32 v22, 0
	v_mov_b32_e32 v20, 0
	;; [unrolled: 1-line block ×4, first 2 shown]
	v_cmp_ne_u16_sdwa s[6:7], v11, v5 src0_sel:BYTE_0 src1_sel:DWORD
	s_and_saveexec_b64 s[0:1], s[6:7]
	s_cbranch_execz .LBB209_240
; %bb.235:                              ;   in Loop: Header=BB209_222 Depth=1
	v_bfrev_b32_e32 v20, 1
	v_mov_b32_e32 v21, 0
	v_cmp_ne_u16_sdwa s[12:13], v11, s24 src0_sel:BYTE_0 src1_sel:DWORD
	s_and_saveexec_b64 s[6:7], s[12:13]
	s_cbranch_execz .LBB209_239
; %bb.236:                              ;   in Loop: Header=BB209_222 Depth=1
	v_bfe_u32 v0, v15, 16, 7
	v_mov_b32_e32 v20, 0x7f800001
	v_mov_b32_e32 v21, 0
	v_cmp_ne_u32_e32 vcc, s25, v0
	s_and_saveexec_b64 s[12:13], vcc
	s_cbranch_execz .LBB209_238
; %bb.237:                              ;   in Loop: Header=BB209_222 Depth=1
	v_and_b32_e32 v7, 7, v11
	v_ffbh_u32_e32 v20, v7
	v_min_u32_e32 v24, 32, v20
	v_subrev_u32_e32 v20, 28, v24
	v_lshlrev_b64 v[20:21], v20, v[11:12]
	v_lshrrev_b32_e32 v8, 3, v0
	v_sub_u32_e32 v21, 29, v24
	v_and_b32_e32 v20, 7, v20
	v_cmp_gt_u32_e32 vcc, 8, v0
	v_cndmask_b32_e32 v0, v8, v21, vcc
	v_cndmask_b32_e32 v7, v7, v20, vcc
	v_lshlrev_b32_e32 v7, 20, v7
	v_and_b32_sdwa v8, sext(v11), s26 dst_sel:DWORD dst_unused:UNUSED_PAD src0_sel:BYTE_0 src1_sel:DWORD
	v_lshl_add_u32 v0, v0, 23, v38
	v_or3_b32 v20, v8, v0, v7
	v_mov_b32_e32 v21, v5
.LBB209_238:                            ;   in Loop: Header=BB209_222 Depth=1
	s_or_b64 exec, exec, s[12:13]
.LBB209_239:                            ;   in Loop: Header=BB209_222 Depth=1
	s_or_b64 exec, exec, s[6:7]
.LBB209_240:                            ;   in Loop: Header=BB209_222 Depth=1
	s_or_b64 exec, exec, s[0:1]
	v_cmp_lt_u32_e32 vcc, s27, v15
	s_and_saveexec_b64 s[0:1], vcc
	s_cbranch_execz .LBB209_246
; %bb.241:                              ;   in Loop: Header=BB209_222 Depth=1
	v_mov_b32_e32 v23, v6
	v_cmp_ne_u32_sdwa s[12:13], v15, s24 src0_sel:BYTE_3 src1_sel:DWORD
	v_mov_b32_e32 v22, v5
	s_and_saveexec_b64 s[6:7], s[12:13]
	s_cbranch_execz .LBB209_245
; %bb.242:                              ;   in Loop: Header=BB209_222 Depth=1
	v_bfe_u32 v0, v15, 24, 7
	v_mov_b32_e32 v11, v5
	v_mov_b32_e32 v23, v12
	v_cmp_ne_u32_e32 vcc, s25, v0
	v_mov_b32_e32 v22, v11
	s_and_saveexec_b64 s[12:13], vcc
	s_cbranch_execz .LBB209_244
; %bb.243:                              ;   in Loop: Header=BB209_222 Depth=1
	v_and_b32_sdwa v22, v15, v39 dst_sel:DWORD dst_unused:UNUSED_PAD src0_sel:BYTE_3 src1_sel:DWORD
	v_ffbh_u32_e32 v8, v22
	v_min_u32_e32 v8, 32, v8
	v_mov_b32_e32 v23, v5
	v_subrev_u32_e32 v11, 28, v8
	v_lshlrev_b64 v[23:24], v11, v[22:23]
	v_lshrrev_b32_e32 v7, 3, v0
	v_sub_u32_e32 v8, 29, v8
	v_cmp_gt_u32_e32 vcc, 8, v0
	v_and_b32_e32 v11, 7, v23
	v_cndmask_b32_e32 v0, v7, v8, vcc
	v_mov_b32_e32 v8, 24
	v_cndmask_b32_e32 v7, v22, v11, vcc
	v_lshlrev_b32_sdwa v8, v8, v15 dst_sel:DWORD dst_unused:UNUSED_PAD src0_sel:DWORD src1_sel:BYTE_3
	v_lshl_add_u32 v0, v0, 23, v38
	v_and_or_b32 v0, v8, s26, v0
	v_lshlrev_b32_e32 v7, 20, v7
	v_or_b32_e32 v23, v0, v7
	v_mov_b32_e32 v22, v5
.LBB209_244:                            ;   in Loop: Header=BB209_222 Depth=1
	s_or_b64 exec, exec, s[12:13]
.LBB209_245:                            ;   in Loop: Header=BB209_222 Depth=1
	s_or_b64 exec, exec, s[6:7]
.LBB209_246:                            ;   in Loop: Header=BB209_222 Depth=1
	s_or_b64 exec, exec, s[0:1]
	buffer_load_dword v0, off, s[48:51], 0  ; 4-byte Folded Reload
	v_or_b32_e32 v7, v18, v16
	v_mul_f32_e32 v44, s17, v7
	v_or_b32_e32 v7, v22, v20
	v_add_u32_e32 v45, -3, v36
	v_mul_f32_e32 v43, s17, v7
	v_add_u32_e32 v47, -2, v36
	v_add_u32_e32 v46, -1, v36
	s_waitcnt vmcnt(0)
	v_cmp_eq_u32_e32 vcc, s19, v0
	v_or_b32_e32 v0, v19, v17
	v_mul_f32_e32 v41, s18, v0
	v_or_b32_e32 v0, v23, v21
	v_mul_f32_e32 v42, s18, v0
	s_and_saveexec_b64 s[6:7], vcc
; %bb.247:                              ;   in Loop: Header=BB209_222 Depth=1
	v_cmp_gt_i32_e64 s[0:1], s30, v45
	v_cndmask_b32_e64 v44, 0, v44, s[0:1]
	v_cmp_gt_i32_e64 s[0:1], s30, v47
	v_cndmask_b32_e64 v41, 0, v41, s[0:1]
	v_cmp_gt_i32_e64 s[0:1], s30, v46
	v_cndmask_b32_e64 v43, 0, v43, s[0:1]
	v_cmp_gt_i32_e64 s[0:1], s30, v36
	v_cndmask_b32_e64 v42, 0, v42, s[0:1]
; %bb.248:                              ;   in Loop: Header=BB209_222 Depth=1
	s_or_b64 exec, exec, s[6:7]
	global_load_dword v15, v[13:14], off offset:256
	v_mov_b32_e32 v18, 0
	v_mov_b32_e32 v16, 0
	;; [unrolled: 1-line block ×4, first 2 shown]
	s_waitcnt vmcnt(0)
	v_cmp_ne_u16_sdwa s[0:1], v15, v5 src0_sel:BYTE_0 src1_sel:DWORD
	s_and_saveexec_b64 s[6:7], s[0:1]
	s_cbranch_execz .LBB209_254
; %bb.249:                              ;   in Loop: Header=BB209_222 Depth=1
	v_bfrev_b32_e32 v16, 1
	v_mov_b32_e32 v17, 0
	v_cmp_ne_u16_sdwa s[0:1], v15, s24 src0_sel:BYTE_0 src1_sel:DWORD
	s_and_saveexec_b64 s[12:13], s[0:1]
	s_cbranch_execz .LBB209_253
; %bb.250:                              ;   in Loop: Header=BB209_222 Depth=1
	v_and_b32_e32 v0, 0x7f, v15
	v_mov_b32_e32 v16, 0x7f800001
	v_mov_b32_e32 v17, 0
	v_cmp_ne_u32_e64 s[0:1], s25, v0
	s_and_saveexec_b64 s[14:15], s[0:1]
	s_cbranch_execz .LBB209_252
; %bb.251:                              ;   in Loop: Header=BB209_222 Depth=1
	v_and_b32_e32 v7, 7, v15
	v_ffbh_u32_e32 v11, v7
	v_min_u32_e32 v11, 32, v11
	v_subrev_u32_e32 v16, 28, v11
	v_lshlrev_b64 v[16:17], v16, v[15:16]
	v_lshrrev_b32_e32 v8, 3, v0
	v_sub_u32_e32 v11, 29, v11
	v_and_b32_e32 v16, 7, v16
	v_cmp_gt_u32_e64 s[0:1], 8, v0
	v_cndmask_b32_e64 v0, v8, v11, s[0:1]
	v_cndmask_b32_e64 v7, v7, v16, s[0:1]
	v_lshlrev_b32_e32 v7, 20, v7
	v_and_b32_sdwa v8, sext(v15), s26 dst_sel:DWORD dst_unused:UNUSED_PAD src0_sel:BYTE_0 src1_sel:DWORD
	v_lshl_add_u32 v0, v0, 23, v38
	v_or3_b32 v16, v8, v0, v7
	v_mov_b32_e32 v17, v5
.LBB209_252:                            ;   in Loop: Header=BB209_222 Depth=1
	s_or_b64 exec, exec, s[14:15]
.LBB209_253:                            ;   in Loop: Header=BB209_222 Depth=1
	s_or_b64 exec, exec, s[12:13]
.LBB209_254:                            ;   in Loop: Header=BB209_222 Depth=1
	s_or_b64 exec, exec, s[6:7]
	v_cmp_ne_u16_sdwa s[0:1], v15, v5 src0_sel:BYTE_1 src1_sel:DWORD
	s_and_saveexec_b64 s[6:7], s[0:1]
	s_cbranch_execz .LBB209_260
; %bb.255:                              ;   in Loop: Header=BB209_222 Depth=1
	v_mov_b32_e32 v19, v6
	v_cmp_ne_u16_sdwa s[0:1], v15, s24 src0_sel:BYTE_1 src1_sel:DWORD
	v_mov_b32_e32 v18, v5
	s_and_saveexec_b64 s[12:13], s[0:1]
	s_cbranch_execz .LBB209_259
; %bb.256:                              ;   in Loop: Header=BB209_222 Depth=1
	v_and_b32_sdwa v0, v15, s25 dst_sel:DWORD dst_unused:UNUSED_PAD src0_sel:BYTE_1 src1_sel:DWORD
	v_mov_b32_e32 v11, v5
	v_mov_b32_e32 v19, v12
	v_cmp_ne_u32_e64 s[0:1], s25, v0
	v_mov_b32_e32 v18, v11
	s_and_saveexec_b64 s[14:15], s[0:1]
	s_cbranch_execz .LBB209_258
; %bb.257:                              ;   in Loop: Header=BB209_222 Depth=1
	v_and_b32_sdwa v18, v15, v39 dst_sel:DWORD dst_unused:UNUSED_PAD src0_sel:BYTE_1 src1_sel:DWORD
	v_ffbh_u32_e32 v8, v18
	v_min_u32_e32 v8, 32, v8
	v_mov_b32_e32 v19, v5
	v_subrev_u32_e32 v11, 28, v8
	v_lshlrev_b64 v[19:20], v11, v[18:19]
	v_lshrrev_b32_e32 v7, 3, v0
	v_sub_u32_e32 v8, 29, v8
	v_cmp_gt_u32_e64 s[0:1], 8, v0
	v_and_b32_e32 v11, 7, v19
	v_cndmask_b32_e64 v0, v7, v8, s[0:1]
	v_cndmask_b32_e64 v7, v18, v11, s[0:1]
	v_lshlrev_b32_e32 v8, 16, v15
	v_lshl_add_u32 v0, v0, 23, v38
	v_and_or_b32 v0, v8, s26, v0
	v_lshlrev_b32_e32 v7, 20, v7
	v_or_b32_e32 v19, v0, v7
	v_mov_b32_e32 v18, v5
.LBB209_258:                            ;   in Loop: Header=BB209_222 Depth=1
	s_or_b64 exec, exec, s[14:15]
.LBB209_259:                            ;   in Loop: Header=BB209_222 Depth=1
	s_or_b64 exec, exec, s[12:13]
.LBB209_260:                            ;   in Loop: Header=BB209_222 Depth=1
	s_or_b64 exec, exec, s[6:7]
	v_lshrrev_b32_e32 v11, 16, v15
	v_mov_b32_e32 v22, 0
	v_mov_b32_e32 v20, 0
	;; [unrolled: 1-line block ×4, first 2 shown]
	v_cmp_ne_u16_sdwa s[0:1], v11, v5 src0_sel:BYTE_0 src1_sel:DWORD
	s_and_saveexec_b64 s[6:7], s[0:1]
	s_cbranch_execz .LBB209_266
; %bb.261:                              ;   in Loop: Header=BB209_222 Depth=1
	v_bfrev_b32_e32 v20, 1
	v_mov_b32_e32 v21, 0
	v_cmp_ne_u16_sdwa s[0:1], v11, s24 src0_sel:BYTE_0 src1_sel:DWORD
	s_and_saveexec_b64 s[12:13], s[0:1]
	s_cbranch_execz .LBB209_265
; %bb.262:                              ;   in Loop: Header=BB209_222 Depth=1
	v_bfe_u32 v0, v15, 16, 7
	v_mov_b32_e32 v20, 0x7f800001
	v_mov_b32_e32 v21, 0
	v_cmp_ne_u32_e64 s[0:1], s25, v0
	s_and_saveexec_b64 s[14:15], s[0:1]
	s_cbranch_execz .LBB209_264
; %bb.263:                              ;   in Loop: Header=BB209_222 Depth=1
	v_and_b32_e32 v7, 7, v11
	v_ffbh_u32_e32 v20, v7
	v_min_u32_e32 v24, 32, v20
	v_subrev_u32_e32 v20, 28, v24
	v_lshlrev_b64 v[20:21], v20, v[11:12]
	v_lshrrev_b32_e32 v8, 3, v0
	v_sub_u32_e32 v21, 29, v24
	v_and_b32_e32 v20, 7, v20
	v_cmp_gt_u32_e64 s[0:1], 8, v0
	v_cndmask_b32_e64 v0, v8, v21, s[0:1]
	v_cndmask_b32_e64 v7, v7, v20, s[0:1]
	v_lshlrev_b32_e32 v7, 20, v7
	v_and_b32_sdwa v8, sext(v11), s26 dst_sel:DWORD dst_unused:UNUSED_PAD src0_sel:BYTE_0 src1_sel:DWORD
	v_lshl_add_u32 v0, v0, 23, v38
	v_or3_b32 v20, v8, v0, v7
	v_mov_b32_e32 v21, v5
.LBB209_264:                            ;   in Loop: Header=BB209_222 Depth=1
	s_or_b64 exec, exec, s[14:15]
.LBB209_265:                            ;   in Loop: Header=BB209_222 Depth=1
	s_or_b64 exec, exec, s[12:13]
.LBB209_266:                            ;   in Loop: Header=BB209_222 Depth=1
	s_or_b64 exec, exec, s[6:7]
	v_cmp_lt_u32_e64 s[0:1], s27, v15
	s_and_saveexec_b64 s[6:7], s[0:1]
	s_cbranch_execz .LBB209_272
; %bb.267:                              ;   in Loop: Header=BB209_222 Depth=1
	v_mov_b32_e32 v23, v6
	v_cmp_ne_u32_sdwa s[0:1], v15, s24 src0_sel:BYTE_3 src1_sel:DWORD
	v_mov_b32_e32 v22, v5
	s_and_saveexec_b64 s[12:13], s[0:1]
	s_cbranch_execz .LBB209_271
; %bb.268:                              ;   in Loop: Header=BB209_222 Depth=1
	v_bfe_u32 v0, v15, 24, 7
	v_mov_b32_e32 v11, v5
	v_mov_b32_e32 v23, v12
	v_cmp_ne_u32_e64 s[0:1], s25, v0
	v_mov_b32_e32 v22, v11
	s_and_saveexec_b64 s[14:15], s[0:1]
	s_cbranch_execz .LBB209_270
; %bb.269:                              ;   in Loop: Header=BB209_222 Depth=1
	v_and_b32_sdwa v22, v15, v39 dst_sel:DWORD dst_unused:UNUSED_PAD src0_sel:BYTE_3 src1_sel:DWORD
	v_ffbh_u32_e32 v8, v22
	v_min_u32_e32 v8, 32, v8
	v_mov_b32_e32 v23, v5
	v_subrev_u32_e32 v11, 28, v8
	v_lshlrev_b64 v[23:24], v11, v[22:23]
	v_lshrrev_b32_e32 v7, 3, v0
	v_sub_u32_e32 v8, 29, v8
	v_cmp_gt_u32_e64 s[0:1], 8, v0
	v_and_b32_e32 v11, 7, v23
	v_cndmask_b32_e64 v0, v7, v8, s[0:1]
	v_mov_b32_e32 v8, 24
	v_cndmask_b32_e64 v7, v22, v11, s[0:1]
	v_lshlrev_b32_sdwa v8, v8, v15 dst_sel:DWORD dst_unused:UNUSED_PAD src0_sel:DWORD src1_sel:BYTE_3
	v_lshl_add_u32 v0, v0, 23, v38
	v_and_or_b32 v0, v8, s26, v0
	v_lshlrev_b32_e32 v7, 20, v7
	v_or_b32_e32 v23, v0, v7
	v_mov_b32_e32 v22, v5
.LBB209_270:                            ;   in Loop: Header=BB209_222 Depth=1
	s_or_b64 exec, exec, s[14:15]
.LBB209_271:                            ;   in Loop: Header=BB209_222 Depth=1
	s_or_b64 exec, exec, s[12:13]
.LBB209_272:                            ;   in Loop: Header=BB209_222 Depth=1
	s_or_b64 exec, exec, s[6:7]
	v_or_b32_e32 v0, v19, v17
	v_or_b32_e32 v7, v18, v16
	v_mul_f32_e32 v48, s18, v0
	v_mul_f32_e32 v51, s17, v7
	v_or_b32_e32 v0, v23, v21
	v_or_b32_e32 v7, v22, v20
	v_mul_f32_e32 v50, s17, v7
	v_mul_f32_e32 v49, s18, v0
	s_and_saveexec_b64 s[6:7], vcc
; %bb.273:                              ;   in Loop: Header=BB209_222 Depth=1
	v_cmp_gt_i32_e64 s[0:1], s30, v45
	v_cndmask_b32_e64 v51, 0, v51, s[0:1]
	v_cmp_gt_i32_e64 s[0:1], s30, v47
	v_cndmask_b32_e64 v48, 0, v48, s[0:1]
	;; [unrolled: 2-line block ×4, first 2 shown]
; %bb.274:                              ;   in Loop: Header=BB209_222 Depth=1
	s_or_b64 exec, exec, s[6:7]
	global_load_dword v15, v[13:14], off offset:512
	v_mov_b32_e32 v18, 0
	v_mov_b32_e32 v16, 0
	;; [unrolled: 1-line block ×4, first 2 shown]
	s_waitcnt vmcnt(0)
	v_cmp_ne_u16_sdwa s[0:1], v15, v5 src0_sel:BYTE_0 src1_sel:DWORD
	s_and_saveexec_b64 s[6:7], s[0:1]
	s_cbranch_execz .LBB209_280
; %bb.275:                              ;   in Loop: Header=BB209_222 Depth=1
	v_bfrev_b32_e32 v16, 1
	v_mov_b32_e32 v17, 0
	v_cmp_ne_u16_sdwa s[0:1], v15, s24 src0_sel:BYTE_0 src1_sel:DWORD
	s_and_saveexec_b64 s[12:13], s[0:1]
	s_cbranch_execz .LBB209_279
; %bb.276:                              ;   in Loop: Header=BB209_222 Depth=1
	v_and_b32_e32 v0, 0x7f, v15
	v_mov_b32_e32 v16, 0x7f800001
	v_mov_b32_e32 v17, 0
	v_cmp_ne_u32_e64 s[0:1], s25, v0
	s_and_saveexec_b64 s[14:15], s[0:1]
	s_cbranch_execz .LBB209_278
; %bb.277:                              ;   in Loop: Header=BB209_222 Depth=1
	v_and_b32_e32 v7, 7, v15
	v_ffbh_u32_e32 v11, v7
	v_min_u32_e32 v11, 32, v11
	v_subrev_u32_e32 v16, 28, v11
	v_lshlrev_b64 v[16:17], v16, v[15:16]
	v_lshrrev_b32_e32 v8, 3, v0
	v_sub_u32_e32 v11, 29, v11
	v_and_b32_e32 v16, 7, v16
	v_cmp_gt_u32_e64 s[0:1], 8, v0
	v_cndmask_b32_e64 v0, v8, v11, s[0:1]
	v_cndmask_b32_e64 v7, v7, v16, s[0:1]
	v_lshlrev_b32_e32 v7, 20, v7
	v_and_b32_sdwa v8, sext(v15), s26 dst_sel:DWORD dst_unused:UNUSED_PAD src0_sel:BYTE_0 src1_sel:DWORD
	v_lshl_add_u32 v0, v0, 23, v38
	v_or3_b32 v16, v8, v0, v7
	v_mov_b32_e32 v17, v5
.LBB209_278:                            ;   in Loop: Header=BB209_222 Depth=1
	s_or_b64 exec, exec, s[14:15]
.LBB209_279:                            ;   in Loop: Header=BB209_222 Depth=1
	s_or_b64 exec, exec, s[12:13]
.LBB209_280:                            ;   in Loop: Header=BB209_222 Depth=1
	s_or_b64 exec, exec, s[6:7]
	v_cmp_ne_u16_sdwa s[0:1], v15, v5 src0_sel:BYTE_1 src1_sel:DWORD
	s_and_saveexec_b64 s[6:7], s[0:1]
	s_cbranch_execz .LBB209_286
; %bb.281:                              ;   in Loop: Header=BB209_222 Depth=1
	v_mov_b32_e32 v19, v6
	v_cmp_ne_u16_sdwa s[0:1], v15, s24 src0_sel:BYTE_1 src1_sel:DWORD
	v_mov_b32_e32 v18, v5
	s_and_saveexec_b64 s[12:13], s[0:1]
	s_cbranch_execz .LBB209_285
; %bb.282:                              ;   in Loop: Header=BB209_222 Depth=1
	v_and_b32_sdwa v0, v15, s25 dst_sel:DWORD dst_unused:UNUSED_PAD src0_sel:BYTE_1 src1_sel:DWORD
	v_mov_b32_e32 v11, v5
	v_mov_b32_e32 v19, v12
	v_cmp_ne_u32_e64 s[0:1], s25, v0
	v_mov_b32_e32 v18, v11
	s_and_saveexec_b64 s[14:15], s[0:1]
	s_cbranch_execz .LBB209_284
; %bb.283:                              ;   in Loop: Header=BB209_222 Depth=1
	v_and_b32_sdwa v18, v15, v39 dst_sel:DWORD dst_unused:UNUSED_PAD src0_sel:BYTE_1 src1_sel:DWORD
	v_ffbh_u32_e32 v8, v18
	v_min_u32_e32 v8, 32, v8
	v_mov_b32_e32 v19, v5
	v_subrev_u32_e32 v11, 28, v8
	v_lshlrev_b64 v[19:20], v11, v[18:19]
	v_lshrrev_b32_e32 v7, 3, v0
	v_sub_u32_e32 v8, 29, v8
	v_cmp_gt_u32_e64 s[0:1], 8, v0
	v_and_b32_e32 v11, 7, v19
	v_cndmask_b32_e64 v0, v7, v8, s[0:1]
	v_cndmask_b32_e64 v7, v18, v11, s[0:1]
	v_lshlrev_b32_e32 v8, 16, v15
	v_lshl_add_u32 v0, v0, 23, v38
	v_and_or_b32 v0, v8, s26, v0
	v_lshlrev_b32_e32 v7, 20, v7
	v_or_b32_e32 v19, v0, v7
	v_mov_b32_e32 v18, v5
.LBB209_284:                            ;   in Loop: Header=BB209_222 Depth=1
	s_or_b64 exec, exec, s[14:15]
.LBB209_285:                            ;   in Loop: Header=BB209_222 Depth=1
	s_or_b64 exec, exec, s[12:13]
.LBB209_286:                            ;   in Loop: Header=BB209_222 Depth=1
	s_or_b64 exec, exec, s[6:7]
	v_lshrrev_b32_e32 v11, 16, v15
	v_mov_b32_e32 v22, 0
	v_mov_b32_e32 v20, 0
	;; [unrolled: 1-line block ×4, first 2 shown]
	v_cmp_ne_u16_sdwa s[0:1], v11, v5 src0_sel:BYTE_0 src1_sel:DWORD
	s_and_saveexec_b64 s[6:7], s[0:1]
	s_cbranch_execz .LBB209_292
; %bb.287:                              ;   in Loop: Header=BB209_222 Depth=1
	v_bfrev_b32_e32 v20, 1
	v_mov_b32_e32 v21, 0
	v_cmp_ne_u16_sdwa s[0:1], v11, s24 src0_sel:BYTE_0 src1_sel:DWORD
	s_and_saveexec_b64 s[12:13], s[0:1]
	s_cbranch_execz .LBB209_291
; %bb.288:                              ;   in Loop: Header=BB209_222 Depth=1
	v_bfe_u32 v0, v15, 16, 7
	v_mov_b32_e32 v20, 0x7f800001
	v_mov_b32_e32 v21, 0
	v_cmp_ne_u32_e64 s[0:1], s25, v0
	s_and_saveexec_b64 s[14:15], s[0:1]
	s_cbranch_execz .LBB209_290
; %bb.289:                              ;   in Loop: Header=BB209_222 Depth=1
	v_and_b32_e32 v7, 7, v11
	v_ffbh_u32_e32 v20, v7
	v_min_u32_e32 v24, 32, v20
	v_subrev_u32_e32 v20, 28, v24
	v_lshlrev_b64 v[20:21], v20, v[11:12]
	v_lshrrev_b32_e32 v8, 3, v0
	v_sub_u32_e32 v21, 29, v24
	v_and_b32_e32 v20, 7, v20
	v_cmp_gt_u32_e64 s[0:1], 8, v0
	v_cndmask_b32_e64 v0, v8, v21, s[0:1]
	v_cndmask_b32_e64 v7, v7, v20, s[0:1]
	v_lshlrev_b32_e32 v7, 20, v7
	v_and_b32_sdwa v8, sext(v11), s26 dst_sel:DWORD dst_unused:UNUSED_PAD src0_sel:BYTE_0 src1_sel:DWORD
	v_lshl_add_u32 v0, v0, 23, v38
	v_or3_b32 v20, v8, v0, v7
	v_mov_b32_e32 v21, v5
.LBB209_290:                            ;   in Loop: Header=BB209_222 Depth=1
	s_or_b64 exec, exec, s[14:15]
.LBB209_291:                            ;   in Loop: Header=BB209_222 Depth=1
	s_or_b64 exec, exec, s[12:13]
.LBB209_292:                            ;   in Loop: Header=BB209_222 Depth=1
	s_or_b64 exec, exec, s[6:7]
	v_cmp_lt_u32_e64 s[0:1], s27, v15
	s_and_saveexec_b64 s[6:7], s[0:1]
	s_cbranch_execz .LBB209_298
; %bb.293:                              ;   in Loop: Header=BB209_222 Depth=1
	v_mov_b32_e32 v23, v6
	v_cmp_ne_u32_sdwa s[0:1], v15, s24 src0_sel:BYTE_3 src1_sel:DWORD
	v_mov_b32_e32 v22, v5
	s_and_saveexec_b64 s[12:13], s[0:1]
	s_cbranch_execz .LBB209_297
; %bb.294:                              ;   in Loop: Header=BB209_222 Depth=1
	v_bfe_u32 v0, v15, 24, 7
	v_mov_b32_e32 v11, v5
	v_mov_b32_e32 v23, v12
	v_cmp_ne_u32_e64 s[0:1], s25, v0
	v_mov_b32_e32 v22, v11
	s_and_saveexec_b64 s[14:15], s[0:1]
	s_cbranch_execz .LBB209_296
; %bb.295:                              ;   in Loop: Header=BB209_222 Depth=1
	v_and_b32_sdwa v22, v15, v39 dst_sel:DWORD dst_unused:UNUSED_PAD src0_sel:BYTE_3 src1_sel:DWORD
	v_ffbh_u32_e32 v8, v22
	v_min_u32_e32 v8, 32, v8
	v_mov_b32_e32 v23, v5
	v_subrev_u32_e32 v11, 28, v8
	v_lshlrev_b64 v[23:24], v11, v[22:23]
	v_lshrrev_b32_e32 v7, 3, v0
	v_sub_u32_e32 v8, 29, v8
	v_cmp_gt_u32_e64 s[0:1], 8, v0
	v_and_b32_e32 v11, 7, v23
	v_cndmask_b32_e64 v0, v7, v8, s[0:1]
	v_mov_b32_e32 v8, 24
	v_cndmask_b32_e64 v7, v22, v11, s[0:1]
	v_lshlrev_b32_sdwa v8, v8, v15 dst_sel:DWORD dst_unused:UNUSED_PAD src0_sel:DWORD src1_sel:BYTE_3
	v_lshl_add_u32 v0, v0, 23, v38
	v_and_or_b32 v0, v8, s26, v0
	v_lshlrev_b32_e32 v7, 20, v7
	v_or_b32_e32 v23, v0, v7
	v_mov_b32_e32 v22, v5
.LBB209_296:                            ;   in Loop: Header=BB209_222 Depth=1
	s_or_b64 exec, exec, s[14:15]
.LBB209_297:                            ;   in Loop: Header=BB209_222 Depth=1
	s_or_b64 exec, exec, s[12:13]
.LBB209_298:                            ;   in Loop: Header=BB209_222 Depth=1
	s_or_b64 exec, exec, s[6:7]
	v_or_b32_e32 v0, v19, v17
	v_or_b32_e32 v7, v18, v16
	v_mul_f32_e32 v52, s18, v0
	v_mul_f32_e32 v55, s17, v7
	v_or_b32_e32 v0, v23, v21
	v_or_b32_e32 v7, v22, v20
	v_mul_f32_e32 v54, s17, v7
	v_mul_f32_e32 v53, s18, v0
	s_and_saveexec_b64 s[6:7], vcc
; %bb.299:                              ;   in Loop: Header=BB209_222 Depth=1
	v_cmp_gt_i32_e64 s[0:1], s30, v45
	v_cndmask_b32_e64 v55, 0, v55, s[0:1]
	v_cmp_gt_i32_e64 s[0:1], s30, v47
	v_cndmask_b32_e64 v52, 0, v52, s[0:1]
	;; [unrolled: 2-line block ×4, first 2 shown]
; %bb.300:                              ;   in Loop: Header=BB209_222 Depth=1
	s_or_b64 exec, exec, s[6:7]
	global_load_dword v15, v[13:14], off offset:768
	v_mov_b32_e32 v18, 0
	v_mov_b32_e32 v16, 0
	;; [unrolled: 1-line block ×4, first 2 shown]
	s_waitcnt vmcnt(0)
	v_cmp_ne_u16_sdwa s[0:1], v15, v5 src0_sel:BYTE_0 src1_sel:DWORD
	s_and_saveexec_b64 s[6:7], s[0:1]
	s_cbranch_execz .LBB209_306
; %bb.301:                              ;   in Loop: Header=BB209_222 Depth=1
	v_bfrev_b32_e32 v16, 1
	v_mov_b32_e32 v17, 0
	v_cmp_ne_u16_sdwa s[0:1], v15, s24 src0_sel:BYTE_0 src1_sel:DWORD
	s_and_saveexec_b64 s[12:13], s[0:1]
	s_cbranch_execz .LBB209_305
; %bb.302:                              ;   in Loop: Header=BB209_222 Depth=1
	v_and_b32_e32 v0, 0x7f, v15
	v_mov_b32_e32 v16, 0x7f800001
	v_mov_b32_e32 v17, 0
	v_cmp_ne_u32_e64 s[0:1], s25, v0
	s_and_saveexec_b64 s[14:15], s[0:1]
	s_cbranch_execz .LBB209_304
; %bb.303:                              ;   in Loop: Header=BB209_222 Depth=1
	v_and_b32_e32 v7, 7, v15
	v_ffbh_u32_e32 v11, v7
	v_min_u32_e32 v11, 32, v11
	v_subrev_u32_e32 v16, 28, v11
	v_lshlrev_b64 v[16:17], v16, v[15:16]
	v_lshrrev_b32_e32 v8, 3, v0
	v_sub_u32_e32 v11, 29, v11
	v_and_b32_e32 v16, 7, v16
	v_cmp_gt_u32_e64 s[0:1], 8, v0
	v_cndmask_b32_e64 v0, v8, v11, s[0:1]
	v_cndmask_b32_e64 v7, v7, v16, s[0:1]
	v_lshlrev_b32_e32 v7, 20, v7
	v_and_b32_sdwa v8, sext(v15), s26 dst_sel:DWORD dst_unused:UNUSED_PAD src0_sel:BYTE_0 src1_sel:DWORD
	v_lshl_add_u32 v0, v0, 23, v38
	v_or3_b32 v16, v8, v0, v7
	v_mov_b32_e32 v17, v5
.LBB209_304:                            ;   in Loop: Header=BB209_222 Depth=1
	s_or_b64 exec, exec, s[14:15]
.LBB209_305:                            ;   in Loop: Header=BB209_222 Depth=1
	s_or_b64 exec, exec, s[12:13]
.LBB209_306:                            ;   in Loop: Header=BB209_222 Depth=1
	s_or_b64 exec, exec, s[6:7]
	v_cmp_ne_u16_sdwa s[0:1], v15, v5 src0_sel:BYTE_1 src1_sel:DWORD
	s_and_saveexec_b64 s[6:7], s[0:1]
	s_cbranch_execz .LBB209_312
; %bb.307:                              ;   in Loop: Header=BB209_222 Depth=1
	v_mov_b32_e32 v19, v6
	v_cmp_ne_u16_sdwa s[0:1], v15, s24 src0_sel:BYTE_1 src1_sel:DWORD
	v_mov_b32_e32 v18, v5
	s_and_saveexec_b64 s[12:13], s[0:1]
	s_cbranch_execz .LBB209_311
; %bb.308:                              ;   in Loop: Header=BB209_222 Depth=1
	v_and_b32_sdwa v0, v15, s25 dst_sel:DWORD dst_unused:UNUSED_PAD src0_sel:BYTE_1 src1_sel:DWORD
	v_mov_b32_e32 v11, v5
	v_mov_b32_e32 v19, v12
	v_cmp_ne_u32_e64 s[0:1], s25, v0
	v_mov_b32_e32 v18, v11
	s_and_saveexec_b64 s[14:15], s[0:1]
	s_cbranch_execz .LBB209_310
; %bb.309:                              ;   in Loop: Header=BB209_222 Depth=1
	v_and_b32_sdwa v18, v15, v39 dst_sel:DWORD dst_unused:UNUSED_PAD src0_sel:BYTE_1 src1_sel:DWORD
	v_ffbh_u32_e32 v8, v18
	v_min_u32_e32 v8, 32, v8
	v_mov_b32_e32 v19, v5
	v_subrev_u32_e32 v11, 28, v8
	v_lshlrev_b64 v[19:20], v11, v[18:19]
	v_lshrrev_b32_e32 v7, 3, v0
	v_sub_u32_e32 v8, 29, v8
	v_cmp_gt_u32_e64 s[0:1], 8, v0
	v_and_b32_e32 v11, 7, v19
	v_cndmask_b32_e64 v0, v7, v8, s[0:1]
	v_cndmask_b32_e64 v7, v18, v11, s[0:1]
	v_lshlrev_b32_e32 v8, 16, v15
	v_lshl_add_u32 v0, v0, 23, v38
	v_and_or_b32 v0, v8, s26, v0
	v_lshlrev_b32_e32 v7, 20, v7
	v_or_b32_e32 v19, v0, v7
	v_mov_b32_e32 v18, v5
.LBB209_310:                            ;   in Loop: Header=BB209_222 Depth=1
	s_or_b64 exec, exec, s[14:15]
.LBB209_311:                            ;   in Loop: Header=BB209_222 Depth=1
	s_or_b64 exec, exec, s[12:13]
.LBB209_312:                            ;   in Loop: Header=BB209_222 Depth=1
	s_or_b64 exec, exec, s[6:7]
	v_lshrrev_b32_e32 v11, 16, v15
	v_mov_b32_e32 v22, 0
	v_mov_b32_e32 v20, 0
	;; [unrolled: 1-line block ×4, first 2 shown]
	v_cmp_ne_u16_sdwa s[0:1], v11, v5 src0_sel:BYTE_0 src1_sel:DWORD
	s_and_saveexec_b64 s[6:7], s[0:1]
	s_cbranch_execz .LBB209_318
; %bb.313:                              ;   in Loop: Header=BB209_222 Depth=1
	v_bfrev_b32_e32 v20, 1
	v_mov_b32_e32 v21, 0
	v_cmp_ne_u16_sdwa s[0:1], v11, s24 src0_sel:BYTE_0 src1_sel:DWORD
	s_and_saveexec_b64 s[12:13], s[0:1]
	s_cbranch_execz .LBB209_317
; %bb.314:                              ;   in Loop: Header=BB209_222 Depth=1
	v_bfe_u32 v0, v15, 16, 7
	v_mov_b32_e32 v20, 0x7f800001
	v_mov_b32_e32 v21, 0
	v_cmp_ne_u32_e64 s[0:1], s25, v0
	s_and_saveexec_b64 s[14:15], s[0:1]
	s_cbranch_execz .LBB209_316
; %bb.315:                              ;   in Loop: Header=BB209_222 Depth=1
	v_and_b32_e32 v7, 7, v11
	v_ffbh_u32_e32 v20, v7
	v_min_u32_e32 v24, 32, v20
	v_subrev_u32_e32 v20, 28, v24
	v_lshlrev_b64 v[20:21], v20, v[11:12]
	v_lshrrev_b32_e32 v8, 3, v0
	v_sub_u32_e32 v21, 29, v24
	v_and_b32_e32 v20, 7, v20
	v_cmp_gt_u32_e64 s[0:1], 8, v0
	v_cndmask_b32_e64 v0, v8, v21, s[0:1]
	v_cndmask_b32_e64 v7, v7, v20, s[0:1]
	v_lshlrev_b32_e32 v7, 20, v7
	v_and_b32_sdwa v8, sext(v11), s26 dst_sel:DWORD dst_unused:UNUSED_PAD src0_sel:BYTE_0 src1_sel:DWORD
	v_lshl_add_u32 v0, v0, 23, v38
	v_or3_b32 v20, v8, v0, v7
	v_mov_b32_e32 v21, v5
.LBB209_316:                            ;   in Loop: Header=BB209_222 Depth=1
	s_or_b64 exec, exec, s[14:15]
.LBB209_317:                            ;   in Loop: Header=BB209_222 Depth=1
	s_or_b64 exec, exec, s[12:13]
.LBB209_318:                            ;   in Loop: Header=BB209_222 Depth=1
	s_or_b64 exec, exec, s[6:7]
	v_cmp_lt_u32_e64 s[0:1], s27, v15
	s_and_saveexec_b64 s[6:7], s[0:1]
	s_cbranch_execz .LBB209_324
; %bb.319:                              ;   in Loop: Header=BB209_222 Depth=1
	v_mov_b32_e32 v23, v6
	v_cmp_ne_u32_sdwa s[0:1], v15, s24 src0_sel:BYTE_3 src1_sel:DWORD
	v_mov_b32_e32 v22, v5
	s_and_saveexec_b64 s[12:13], s[0:1]
	s_cbranch_execz .LBB209_323
; %bb.320:                              ;   in Loop: Header=BB209_222 Depth=1
	v_bfe_u32 v0, v15, 24, 7
	v_mov_b32_e32 v11, v5
	v_mov_b32_e32 v23, v12
	v_cmp_ne_u32_e64 s[0:1], s25, v0
	v_mov_b32_e32 v22, v11
	s_and_saveexec_b64 s[14:15], s[0:1]
	s_cbranch_execz .LBB209_322
; %bb.321:                              ;   in Loop: Header=BB209_222 Depth=1
	v_and_b32_sdwa v22, v15, v39 dst_sel:DWORD dst_unused:UNUSED_PAD src0_sel:BYTE_3 src1_sel:DWORD
	v_ffbh_u32_e32 v8, v22
	v_min_u32_e32 v8, 32, v8
	v_mov_b32_e32 v23, v5
	v_subrev_u32_e32 v11, 28, v8
	v_lshlrev_b64 v[23:24], v11, v[22:23]
	v_lshrrev_b32_e32 v7, 3, v0
	v_sub_u32_e32 v8, 29, v8
	v_cmp_gt_u32_e64 s[0:1], 8, v0
	v_and_b32_e32 v11, 7, v23
	v_cndmask_b32_e64 v0, v7, v8, s[0:1]
	v_mov_b32_e32 v8, 24
	v_cndmask_b32_e64 v7, v22, v11, s[0:1]
	v_lshlrev_b32_sdwa v8, v8, v15 dst_sel:DWORD dst_unused:UNUSED_PAD src0_sel:DWORD src1_sel:BYTE_3
	v_lshl_add_u32 v0, v0, 23, v38
	v_and_or_b32 v0, v8, s26, v0
	v_lshlrev_b32_e32 v7, 20, v7
	v_or_b32_e32 v23, v0, v7
	v_mov_b32_e32 v22, v5
.LBB209_322:                            ;   in Loop: Header=BB209_222 Depth=1
	s_or_b64 exec, exec, s[14:15]
.LBB209_323:                            ;   in Loop: Header=BB209_222 Depth=1
	s_or_b64 exec, exec, s[12:13]
.LBB209_324:                            ;   in Loop: Header=BB209_222 Depth=1
	s_or_b64 exec, exec, s[6:7]
	v_or_b32_e32 v0, v19, v17
	v_or_b32_e32 v7, v18, v16
	v_mul_f32_e32 v56, s18, v0
	v_mul_f32_e32 v59, s17, v7
	v_or_b32_e32 v0, v23, v21
	v_or_b32_e32 v7, v22, v20
	v_mul_f32_e32 v58, s17, v7
	v_mul_f32_e32 v57, s18, v0
	s_and_saveexec_b64 s[6:7], vcc
; %bb.325:                              ;   in Loop: Header=BB209_222 Depth=1
	v_cmp_gt_i32_e64 s[0:1], s30, v45
	v_cndmask_b32_e64 v59, 0, v59, s[0:1]
	v_cmp_gt_i32_e64 s[0:1], s30, v47
	v_cndmask_b32_e64 v56, 0, v56, s[0:1]
	;; [unrolled: 2-line block ×4, first 2 shown]
; %bb.326:                              ;   in Loop: Header=BB209_222 Depth=1
	s_or_b64 exec, exec, s[6:7]
	global_load_dword v15, v[13:14], off offset:1024
	v_mov_b32_e32 v18, 0
	v_mov_b32_e32 v16, 0
	;; [unrolled: 1-line block ×4, first 2 shown]
	s_waitcnt vmcnt(0)
	v_cmp_ne_u16_sdwa s[0:1], v15, v5 src0_sel:BYTE_0 src1_sel:DWORD
	s_and_saveexec_b64 s[6:7], s[0:1]
	s_cbranch_execz .LBB209_332
; %bb.327:                              ;   in Loop: Header=BB209_222 Depth=1
	v_bfrev_b32_e32 v16, 1
	v_mov_b32_e32 v17, 0
	v_cmp_ne_u16_sdwa s[0:1], v15, s24 src0_sel:BYTE_0 src1_sel:DWORD
	s_and_saveexec_b64 s[12:13], s[0:1]
	s_cbranch_execz .LBB209_331
; %bb.328:                              ;   in Loop: Header=BB209_222 Depth=1
	v_and_b32_e32 v0, 0x7f, v15
	v_mov_b32_e32 v16, 0x7f800001
	v_mov_b32_e32 v17, 0
	v_cmp_ne_u32_e64 s[0:1], s25, v0
	s_and_saveexec_b64 s[14:15], s[0:1]
	s_cbranch_execz .LBB209_330
; %bb.329:                              ;   in Loop: Header=BB209_222 Depth=1
	v_and_b32_e32 v7, 7, v15
	v_ffbh_u32_e32 v11, v7
	v_min_u32_e32 v11, 32, v11
	v_subrev_u32_e32 v16, 28, v11
	v_lshlrev_b64 v[16:17], v16, v[15:16]
	v_lshrrev_b32_e32 v8, 3, v0
	v_sub_u32_e32 v11, 29, v11
	v_and_b32_e32 v16, 7, v16
	v_cmp_gt_u32_e64 s[0:1], 8, v0
	v_cndmask_b32_e64 v0, v8, v11, s[0:1]
	v_cndmask_b32_e64 v7, v7, v16, s[0:1]
	v_lshlrev_b32_e32 v7, 20, v7
	v_and_b32_sdwa v8, sext(v15), s26 dst_sel:DWORD dst_unused:UNUSED_PAD src0_sel:BYTE_0 src1_sel:DWORD
	v_lshl_add_u32 v0, v0, 23, v38
	v_or3_b32 v16, v8, v0, v7
	v_mov_b32_e32 v17, v5
.LBB209_330:                            ;   in Loop: Header=BB209_222 Depth=1
	s_or_b64 exec, exec, s[14:15]
.LBB209_331:                            ;   in Loop: Header=BB209_222 Depth=1
	s_or_b64 exec, exec, s[12:13]
.LBB209_332:                            ;   in Loop: Header=BB209_222 Depth=1
	s_or_b64 exec, exec, s[6:7]
	v_cmp_ne_u16_sdwa s[0:1], v15, v5 src0_sel:BYTE_1 src1_sel:DWORD
	s_and_saveexec_b64 s[6:7], s[0:1]
	s_cbranch_execz .LBB209_338
; %bb.333:                              ;   in Loop: Header=BB209_222 Depth=1
	v_mov_b32_e32 v19, v6
	v_cmp_ne_u16_sdwa s[0:1], v15, s24 src0_sel:BYTE_1 src1_sel:DWORD
	v_mov_b32_e32 v18, v5
	s_and_saveexec_b64 s[12:13], s[0:1]
	s_cbranch_execz .LBB209_337
; %bb.334:                              ;   in Loop: Header=BB209_222 Depth=1
	v_and_b32_sdwa v0, v15, s25 dst_sel:DWORD dst_unused:UNUSED_PAD src0_sel:BYTE_1 src1_sel:DWORD
	v_mov_b32_e32 v11, v5
	v_mov_b32_e32 v19, v12
	v_cmp_ne_u32_e64 s[0:1], s25, v0
	v_mov_b32_e32 v18, v11
	s_and_saveexec_b64 s[14:15], s[0:1]
	s_cbranch_execz .LBB209_336
; %bb.335:                              ;   in Loop: Header=BB209_222 Depth=1
	v_and_b32_sdwa v18, v15, v39 dst_sel:DWORD dst_unused:UNUSED_PAD src0_sel:BYTE_1 src1_sel:DWORD
	v_ffbh_u32_e32 v8, v18
	v_min_u32_e32 v8, 32, v8
	v_mov_b32_e32 v19, v5
	v_subrev_u32_e32 v11, 28, v8
	v_lshlrev_b64 v[19:20], v11, v[18:19]
	v_lshrrev_b32_e32 v7, 3, v0
	v_sub_u32_e32 v8, 29, v8
	v_cmp_gt_u32_e64 s[0:1], 8, v0
	v_and_b32_e32 v11, 7, v19
	v_cndmask_b32_e64 v0, v7, v8, s[0:1]
	v_cndmask_b32_e64 v7, v18, v11, s[0:1]
	v_lshlrev_b32_e32 v8, 16, v15
	v_lshl_add_u32 v0, v0, 23, v38
	v_and_or_b32 v0, v8, s26, v0
	v_lshlrev_b32_e32 v7, 20, v7
	v_or_b32_e32 v19, v0, v7
	v_mov_b32_e32 v18, v5
.LBB209_336:                            ;   in Loop: Header=BB209_222 Depth=1
	s_or_b64 exec, exec, s[14:15]
.LBB209_337:                            ;   in Loop: Header=BB209_222 Depth=1
	s_or_b64 exec, exec, s[12:13]
.LBB209_338:                            ;   in Loop: Header=BB209_222 Depth=1
	s_or_b64 exec, exec, s[6:7]
	v_lshrrev_b32_e32 v11, 16, v15
	v_mov_b32_e32 v22, 0
	v_mov_b32_e32 v20, 0
	;; [unrolled: 1-line block ×4, first 2 shown]
	v_cmp_ne_u16_sdwa s[0:1], v11, v5 src0_sel:BYTE_0 src1_sel:DWORD
	s_and_saveexec_b64 s[6:7], s[0:1]
	s_cbranch_execz .LBB209_344
; %bb.339:                              ;   in Loop: Header=BB209_222 Depth=1
	v_bfrev_b32_e32 v20, 1
	v_mov_b32_e32 v21, 0
	v_cmp_ne_u16_sdwa s[0:1], v11, s24 src0_sel:BYTE_0 src1_sel:DWORD
	s_and_saveexec_b64 s[12:13], s[0:1]
	s_cbranch_execz .LBB209_343
; %bb.340:                              ;   in Loop: Header=BB209_222 Depth=1
	v_bfe_u32 v0, v15, 16, 7
	v_mov_b32_e32 v20, 0x7f800001
	v_mov_b32_e32 v21, 0
	v_cmp_ne_u32_e64 s[0:1], s25, v0
	s_and_saveexec_b64 s[14:15], s[0:1]
	s_cbranch_execz .LBB209_342
; %bb.341:                              ;   in Loop: Header=BB209_222 Depth=1
	v_and_b32_e32 v7, 7, v11
	v_lshrrev_b32_e32 v8, 3, v0
	v_cmp_gt_u32_e64 s[0:1], 8, v0
	v_ffbh_u32_e32 v0, v7
	v_min_u32_e32 v0, 32, v0
	v_subrev_u32_e32 v20, 28, v0
	v_lshlrev_b64 v[20:21], v20, v[11:12]
	v_sub_u32_e32 v0, 29, v0
	v_and_b32_e32 v20, 7, v20
	v_cndmask_b32_e64 v0, v8, v0, s[0:1]
	v_cndmask_b32_e64 v7, v7, v20, s[0:1]
	v_lshlrev_b32_e32 v7, 20, v7
	v_and_b32_sdwa v8, sext(v11), s26 dst_sel:DWORD dst_unused:UNUSED_PAD src0_sel:BYTE_0 src1_sel:DWORD
	v_lshl_add_u32 v0, v0, 23, v38
	v_or3_b32 v20, v8, v0, v7
	v_mov_b32_e32 v21, v5
.LBB209_342:                            ;   in Loop: Header=BB209_222 Depth=1
	s_or_b64 exec, exec, s[14:15]
.LBB209_343:                            ;   in Loop: Header=BB209_222 Depth=1
	s_or_b64 exec, exec, s[12:13]
.LBB209_344:                            ;   in Loop: Header=BB209_222 Depth=1
	s_or_b64 exec, exec, s[6:7]
	v_cmp_lt_u32_e64 s[0:1], s27, v15
	s_and_saveexec_b64 s[6:7], s[0:1]
	s_cbranch_execz .LBB209_350
; %bb.345:                              ;   in Loop: Header=BB209_222 Depth=1
	v_mov_b32_e32 v23, v6
	v_cmp_ne_u32_sdwa s[0:1], v15, s24 src0_sel:BYTE_3 src1_sel:DWORD
	v_mov_b32_e32 v22, v5
	s_and_saveexec_b64 s[12:13], s[0:1]
	s_cbranch_execz .LBB209_349
; %bb.346:                              ;   in Loop: Header=BB209_222 Depth=1
	v_bfe_u32 v0, v15, 24, 7
	v_mov_b32_e32 v11, v5
	v_mov_b32_e32 v23, v12
	v_cmp_ne_u32_e64 s[0:1], s25, v0
	v_mov_b32_e32 v22, v11
	s_and_saveexec_b64 s[14:15], s[0:1]
	s_cbranch_execz .LBB209_348
; %bb.347:                              ;   in Loop: Header=BB209_222 Depth=1
	v_and_b32_sdwa v22, v15, v39 dst_sel:DWORD dst_unused:UNUSED_PAD src0_sel:BYTE_3 src1_sel:DWORD
	v_lshrrev_b32_e32 v7, 3, v0
	v_cmp_gt_u32_e64 s[0:1], 8, v0
	v_ffbh_u32_e32 v0, v22
	v_min_u32_e32 v0, 32, v0
	v_mov_b32_e32 v23, v5
	v_subrev_u32_e32 v8, 28, v0
	v_lshlrev_b64 v[23:24], v8, v[22:23]
	v_sub_u32_e32 v0, 29, v0
	v_and_b32_e32 v8, 7, v23
	v_cndmask_b32_e64 v0, v7, v0, s[0:1]
	v_cndmask_b32_e64 v7, v22, v8, s[0:1]
	v_mov_b32_e32 v8, 24
	v_lshlrev_b32_sdwa v8, v8, v15 dst_sel:DWORD dst_unused:UNUSED_PAD src0_sel:DWORD src1_sel:BYTE_3
	v_lshl_add_u32 v0, v0, 23, v38
	v_and_or_b32 v0, v8, s26, v0
	v_lshlrev_b32_e32 v7, 20, v7
	v_or_b32_e32 v23, v0, v7
	v_mov_b32_e32 v22, v5
.LBB209_348:                            ;   in Loop: Header=BB209_222 Depth=1
	s_or_b64 exec, exec, s[14:15]
.LBB209_349:                            ;   in Loop: Header=BB209_222 Depth=1
	s_or_b64 exec, exec, s[12:13]
.LBB209_350:                            ;   in Loop: Header=BB209_222 Depth=1
	s_or_b64 exec, exec, s[6:7]
	v_or_b32_e32 v0, v19, v17
	v_or_b32_e32 v7, v18, v16
	v_mul_f32_e32 v60, s18, v0
	v_mul_f32_e32 v63, s17, v7
	v_or_b32_e32 v0, v23, v21
	v_or_b32_e32 v7, v22, v20
	v_mul_f32_e32 v62, s17, v7
	v_mul_f32_e32 v61, s18, v0
	s_and_saveexec_b64 s[6:7], vcc
; %bb.351:                              ;   in Loop: Header=BB209_222 Depth=1
	v_cmp_gt_i32_e64 s[0:1], s30, v45
	v_cndmask_b32_e64 v63, 0, v63, s[0:1]
	v_cmp_gt_i32_e64 s[0:1], s30, v47
	v_cndmask_b32_e64 v60, 0, v60, s[0:1]
	;; [unrolled: 2-line block ×4, first 2 shown]
; %bb.352:                              ;   in Loop: Header=BB209_222 Depth=1
	s_or_b64 exec, exec, s[6:7]
	global_load_dword v15, v[13:14], off offset:1280
	v_mov_b32_e32 v18, 0
	v_mov_b32_e32 v16, 0
	;; [unrolled: 1-line block ×4, first 2 shown]
	s_waitcnt vmcnt(0)
	v_cmp_ne_u16_sdwa s[0:1], v15, v5 src0_sel:BYTE_0 src1_sel:DWORD
	s_and_saveexec_b64 s[6:7], s[0:1]
	s_cbranch_execz .LBB209_358
; %bb.353:                              ;   in Loop: Header=BB209_222 Depth=1
	v_bfrev_b32_e32 v16, 1
	v_mov_b32_e32 v17, 0
	v_cmp_ne_u16_sdwa s[0:1], v15, s24 src0_sel:BYTE_0 src1_sel:DWORD
	s_and_saveexec_b64 s[12:13], s[0:1]
	s_cbranch_execz .LBB209_357
; %bb.354:                              ;   in Loop: Header=BB209_222 Depth=1
	v_and_b32_e32 v0, 0x7f, v15
	v_mov_b32_e32 v16, 0x7f800001
	v_mov_b32_e32 v17, 0
	v_cmp_ne_u32_e64 s[0:1], s25, v0
	s_and_saveexec_b64 s[14:15], s[0:1]
	s_cbranch_execz .LBB209_356
; %bb.355:                              ;   in Loop: Header=BB209_222 Depth=1
	v_and_b32_e32 v7, 7, v15
	v_lshrrev_b32_e32 v8, 3, v0
	v_cmp_gt_u32_e64 s[0:1], 8, v0
	v_ffbh_u32_e32 v0, v7
	v_min_u32_e32 v0, 32, v0
	v_subrev_u32_e32 v11, 28, v0
	v_lshlrev_b64 v[16:17], v11, v[15:16]
	v_sub_u32_e32 v0, 29, v0
	v_and_b32_e32 v11, 7, v16
	v_cndmask_b32_e64 v0, v8, v0, s[0:1]
	v_cndmask_b32_e64 v7, v7, v11, s[0:1]
	v_lshlrev_b32_e32 v7, 20, v7
	v_and_b32_sdwa v8, sext(v15), s26 dst_sel:DWORD dst_unused:UNUSED_PAD src0_sel:BYTE_0 src1_sel:DWORD
	v_lshl_add_u32 v0, v0, 23, v38
	v_or3_b32 v16, v8, v0, v7
	v_mov_b32_e32 v17, v5
.LBB209_356:                            ;   in Loop: Header=BB209_222 Depth=1
	s_or_b64 exec, exec, s[14:15]
.LBB209_357:                            ;   in Loop: Header=BB209_222 Depth=1
	s_or_b64 exec, exec, s[12:13]
.LBB209_358:                            ;   in Loop: Header=BB209_222 Depth=1
	s_or_b64 exec, exec, s[6:7]
	v_cmp_ne_u16_sdwa s[0:1], v15, v5 src0_sel:BYTE_1 src1_sel:DWORD
	s_and_saveexec_b64 s[6:7], s[0:1]
	s_cbranch_execz .LBB209_364
; %bb.359:                              ;   in Loop: Header=BB209_222 Depth=1
	v_mov_b32_e32 v19, v6
	v_cmp_ne_u16_sdwa s[0:1], v15, s24 src0_sel:BYTE_1 src1_sel:DWORD
	v_mov_b32_e32 v18, v5
	s_and_saveexec_b64 s[12:13], s[0:1]
	s_cbranch_execz .LBB209_363
; %bb.360:                              ;   in Loop: Header=BB209_222 Depth=1
	v_and_b32_sdwa v0, v15, s25 dst_sel:DWORD dst_unused:UNUSED_PAD src0_sel:BYTE_1 src1_sel:DWORD
	v_mov_b32_e32 v11, v5
	v_mov_b32_e32 v19, v12
	v_cmp_ne_u32_e64 s[0:1], s25, v0
	v_mov_b32_e32 v18, v11
	s_and_saveexec_b64 s[14:15], s[0:1]
	s_cbranch_execz .LBB209_362
; %bb.361:                              ;   in Loop: Header=BB209_222 Depth=1
	v_and_b32_sdwa v18, v15, v39 dst_sel:DWORD dst_unused:UNUSED_PAD src0_sel:BYTE_1 src1_sel:DWORD
	v_lshrrev_b32_e32 v7, 3, v0
	v_cmp_gt_u32_e64 s[0:1], 8, v0
	v_ffbh_u32_e32 v0, v18
	v_min_u32_e32 v0, 32, v0
	v_mov_b32_e32 v19, v5
	v_subrev_u32_e32 v8, 28, v0
	v_lshlrev_b64 v[19:20], v8, v[18:19]
	v_sub_u32_e32 v0, 29, v0
	v_and_b32_e32 v8, 7, v19
	v_cndmask_b32_e64 v0, v7, v0, s[0:1]
	v_cndmask_b32_e64 v7, v18, v8, s[0:1]
	v_lshlrev_b32_e32 v8, 16, v15
	v_lshl_add_u32 v0, v0, 23, v38
	v_and_or_b32 v0, v8, s26, v0
	v_lshlrev_b32_e32 v7, 20, v7
	v_or_b32_e32 v19, v0, v7
	v_mov_b32_e32 v18, v5
.LBB209_362:                            ;   in Loop: Header=BB209_222 Depth=1
	s_or_b64 exec, exec, s[14:15]
.LBB209_363:                            ;   in Loop: Header=BB209_222 Depth=1
	s_or_b64 exec, exec, s[12:13]
.LBB209_364:                            ;   in Loop: Header=BB209_222 Depth=1
	s_or_b64 exec, exec, s[6:7]
	v_lshrrev_b32_e32 v11, 16, v15
	v_mov_b32_e32 v22, 0
	v_mov_b32_e32 v20, 0
	;; [unrolled: 1-line block ×4, first 2 shown]
	v_cmp_ne_u16_sdwa s[0:1], v11, v5 src0_sel:BYTE_0 src1_sel:DWORD
	s_and_saveexec_b64 s[6:7], s[0:1]
	s_cbranch_execz .LBB209_370
; %bb.365:                              ;   in Loop: Header=BB209_222 Depth=1
	v_bfrev_b32_e32 v20, 1
	v_mov_b32_e32 v21, 0
	v_cmp_ne_u16_sdwa s[0:1], v11, s24 src0_sel:BYTE_0 src1_sel:DWORD
	s_and_saveexec_b64 s[12:13], s[0:1]
	s_cbranch_execz .LBB209_369
; %bb.366:                              ;   in Loop: Header=BB209_222 Depth=1
	v_bfe_u32 v0, v15, 16, 7
	v_mov_b32_e32 v20, 0x7f800001
	v_mov_b32_e32 v21, 0
	v_cmp_ne_u32_e64 s[0:1], s25, v0
	s_and_saveexec_b64 s[14:15], s[0:1]
	s_cbranch_execz .LBB209_368
; %bb.367:                              ;   in Loop: Header=BB209_222 Depth=1
	v_and_b32_e32 v7, 7, v11
	v_lshrrev_b32_e32 v8, 3, v0
	v_cmp_gt_u32_e64 s[0:1], 8, v0
	v_ffbh_u32_e32 v0, v7
	v_min_u32_e32 v0, 32, v0
	v_subrev_u32_e32 v20, 28, v0
	v_lshlrev_b64 v[20:21], v20, v[11:12]
	v_sub_u32_e32 v0, 29, v0
	v_and_b32_e32 v20, 7, v20
	v_cndmask_b32_e64 v0, v8, v0, s[0:1]
	v_cndmask_b32_e64 v7, v7, v20, s[0:1]
	v_lshlrev_b32_e32 v7, 20, v7
	v_and_b32_sdwa v8, sext(v11), s26 dst_sel:DWORD dst_unused:UNUSED_PAD src0_sel:BYTE_0 src1_sel:DWORD
	v_lshl_add_u32 v0, v0, 23, v38
	v_or3_b32 v20, v8, v0, v7
	v_mov_b32_e32 v21, v5
.LBB209_368:                            ;   in Loop: Header=BB209_222 Depth=1
	s_or_b64 exec, exec, s[14:15]
.LBB209_369:                            ;   in Loop: Header=BB209_222 Depth=1
	s_or_b64 exec, exec, s[12:13]
.LBB209_370:                            ;   in Loop: Header=BB209_222 Depth=1
	s_or_b64 exec, exec, s[6:7]
	v_cmp_lt_u32_e64 s[0:1], s27, v15
	s_and_saveexec_b64 s[6:7], s[0:1]
	s_cbranch_execz .LBB209_376
; %bb.371:                              ;   in Loop: Header=BB209_222 Depth=1
	v_mov_b32_e32 v23, v6
	v_cmp_ne_u32_sdwa s[0:1], v15, s24 src0_sel:BYTE_3 src1_sel:DWORD
	v_mov_b32_e32 v22, v5
	s_and_saveexec_b64 s[12:13], s[0:1]
	s_cbranch_execz .LBB209_375
; %bb.372:                              ;   in Loop: Header=BB209_222 Depth=1
	v_bfe_u32 v0, v15, 24, 7
	v_mov_b32_e32 v11, v5
	v_mov_b32_e32 v23, v12
	v_cmp_ne_u32_e64 s[0:1], s25, v0
	v_mov_b32_e32 v22, v11
	s_and_saveexec_b64 s[14:15], s[0:1]
	s_cbranch_execz .LBB209_374
; %bb.373:                              ;   in Loop: Header=BB209_222 Depth=1
	v_and_b32_sdwa v22, v15, v39 dst_sel:DWORD dst_unused:UNUSED_PAD src0_sel:BYTE_3 src1_sel:DWORD
	v_lshrrev_b32_e32 v7, 3, v0
	v_cmp_gt_u32_e64 s[0:1], 8, v0
	v_ffbh_u32_e32 v0, v22
	v_min_u32_e32 v0, 32, v0
	v_mov_b32_e32 v23, v5
	v_subrev_u32_e32 v8, 28, v0
	v_lshlrev_b64 v[23:24], v8, v[22:23]
	v_sub_u32_e32 v0, 29, v0
	v_and_b32_e32 v8, 7, v23
	v_cndmask_b32_e64 v0, v7, v0, s[0:1]
	v_cndmask_b32_e64 v7, v22, v8, s[0:1]
	v_mov_b32_e32 v8, 24
	v_lshlrev_b32_sdwa v8, v8, v15 dst_sel:DWORD dst_unused:UNUSED_PAD src0_sel:DWORD src1_sel:BYTE_3
	v_lshl_add_u32 v0, v0, 23, v38
	v_and_or_b32 v0, v8, s26, v0
	v_lshlrev_b32_e32 v7, 20, v7
	v_or_b32_e32 v23, v0, v7
	v_mov_b32_e32 v22, v5
.LBB209_374:                            ;   in Loop: Header=BB209_222 Depth=1
	s_or_b64 exec, exec, s[14:15]
.LBB209_375:                            ;   in Loop: Header=BB209_222 Depth=1
	s_or_b64 exec, exec, s[12:13]
.LBB209_376:                            ;   in Loop: Header=BB209_222 Depth=1
	s_or_b64 exec, exec, s[6:7]
	v_or_b32_e32 v7, v18, v16
	v_or_b32_e32 v0, v19, v17
	v_mul_f32_e32 v25, s17, v7
	v_or_b32_e32 v7, v23, v21
	v_or_b32_e32 v8, v22, v20
	v_mul_f32_e32 v0, s18, v0
	v_mul_f32_e32 v40, s17, v8
	;; [unrolled: 1-line block ×3, first 2 shown]
	s_and_saveexec_b64 s[6:7], vcc
; %bb.377:                              ;   in Loop: Header=BB209_222 Depth=1
	v_cmp_gt_i32_e64 s[0:1], s30, v45
	v_cndmask_b32_e64 v25, 0, v25, s[0:1]
	v_cmp_gt_i32_e64 s[0:1], s30, v47
	v_cndmask_b32_e64 v0, 0, v0, s[0:1]
	;; [unrolled: 2-line block ×4, first 2 shown]
; %bb.378:                              ;   in Loop: Header=BB209_222 Depth=1
	s_or_b64 exec, exec, s[6:7]
	global_load_dword v15, v[13:14], off offset:1536
	v_mov_b32_e32 v18, 0
	v_mov_b32_e32 v16, 0
	;; [unrolled: 1-line block ×4, first 2 shown]
	s_waitcnt vmcnt(0)
	v_cmp_ne_u16_sdwa s[0:1], v15, v5 src0_sel:BYTE_0 src1_sel:DWORD
	s_and_saveexec_b64 s[6:7], s[0:1]
	s_cbranch_execz .LBB209_384
; %bb.379:                              ;   in Loop: Header=BB209_222 Depth=1
	v_bfrev_b32_e32 v16, 1
	v_mov_b32_e32 v17, 0
	v_cmp_ne_u16_sdwa s[0:1], v15, s24 src0_sel:BYTE_0 src1_sel:DWORD
	s_and_saveexec_b64 s[12:13], s[0:1]
	s_cbranch_execz .LBB209_383
; %bb.380:                              ;   in Loop: Header=BB209_222 Depth=1
	v_and_b32_e32 v11, 0x7f, v15
	v_mov_b32_e32 v16, 0x7f800001
	v_mov_b32_e32 v17, 0
	v_cmp_ne_u32_e64 s[0:1], s25, v11
	s_and_saveexec_b64 s[14:15], s[0:1]
	s_cbranch_execz .LBB209_382
; %bb.381:                              ;   in Loop: Header=BB209_222 Depth=1
	v_and_b32_e32 v7, 7, v15
	v_lshrrev_b32_e32 v8, 3, v11
	v_cmp_gt_u32_e64 s[0:1], 8, v11
	v_ffbh_u32_e32 v11, v7
	v_min_u32_e32 v11, 32, v11
	v_subrev_u32_e32 v16, 28, v11
	v_lshlrev_b64 v[16:17], v16, v[15:16]
	v_sub_u32_e32 v11, 29, v11
	v_and_b32_e32 v16, 7, v16
	v_cndmask_b32_e64 v8, v8, v11, s[0:1]
	v_cndmask_b32_e64 v7, v7, v16, s[0:1]
	v_lshlrev_b32_e32 v7, 20, v7
	v_and_b32_sdwa v11, sext(v15), s26 dst_sel:DWORD dst_unused:UNUSED_PAD src0_sel:BYTE_0 src1_sel:DWORD
	v_lshl_add_u32 v8, v8, 23, v38
	v_or3_b32 v16, v11, v8, v7
	v_mov_b32_e32 v17, v5
.LBB209_382:                            ;   in Loop: Header=BB209_222 Depth=1
	s_or_b64 exec, exec, s[14:15]
.LBB209_383:                            ;   in Loop: Header=BB209_222 Depth=1
	s_or_b64 exec, exec, s[12:13]
.LBB209_384:                            ;   in Loop: Header=BB209_222 Depth=1
	s_or_b64 exec, exec, s[6:7]
	v_cmp_ne_u16_sdwa s[0:1], v15, v5 src0_sel:BYTE_1 src1_sel:DWORD
	s_and_saveexec_b64 s[6:7], s[0:1]
	s_cbranch_execz .LBB209_390
; %bb.385:                              ;   in Loop: Header=BB209_222 Depth=1
	v_mov_b32_e32 v19, v6
	v_cmp_ne_u16_sdwa s[0:1], v15, s24 src0_sel:BYTE_1 src1_sel:DWORD
	v_mov_b32_e32 v18, v5
	s_and_saveexec_b64 s[12:13], s[0:1]
	s_cbranch_execz .LBB209_389
; %bb.386:                              ;   in Loop: Header=BB209_222 Depth=1
	v_and_b32_sdwa v20, v15, s25 dst_sel:DWORD dst_unused:UNUSED_PAD src0_sel:BYTE_1 src1_sel:DWORD
	v_mov_b32_e32 v11, v5
	v_mov_b32_e32 v19, v12
	v_cmp_ne_u32_e64 s[0:1], s25, v20
	v_mov_b32_e32 v18, v11
	s_and_saveexec_b64 s[14:15], s[0:1]
	s_cbranch_execz .LBB209_388
; %bb.387:                              ;   in Loop: Header=BB209_222 Depth=1
	v_and_b32_sdwa v18, v15, v39 dst_sel:DWORD dst_unused:UNUSED_PAD src0_sel:BYTE_1 src1_sel:DWORD
	v_ffbh_u32_e32 v8, v18
	v_min_u32_e32 v8, 32, v8
	v_mov_b32_e32 v19, v5
	v_subrev_u32_e32 v11, 28, v8
	v_lshrrev_b32_e32 v7, 3, v20
	v_cmp_gt_u32_e64 s[0:1], 8, v20
	v_lshlrev_b64 v[19:20], v11, v[18:19]
	v_sub_u32_e32 v8, 29, v8
	v_and_b32_e32 v11, 7, v19
	v_cndmask_b32_e64 v7, v7, v8, s[0:1]
	v_cndmask_b32_e64 v8, v18, v11, s[0:1]
	v_lshlrev_b32_e32 v11, 16, v15
	v_lshl_add_u32 v7, v7, 23, v38
	v_and_or_b32 v7, v11, s26, v7
	v_lshlrev_b32_e32 v8, 20, v8
	v_or_b32_e32 v19, v7, v8
	v_mov_b32_e32 v18, v5
.LBB209_388:                            ;   in Loop: Header=BB209_222 Depth=1
	s_or_b64 exec, exec, s[14:15]
.LBB209_389:                            ;   in Loop: Header=BB209_222 Depth=1
	s_or_b64 exec, exec, s[12:13]
.LBB209_390:                            ;   in Loop: Header=BB209_222 Depth=1
	s_or_b64 exec, exec, s[6:7]
	v_lshrrev_b32_e32 v11, 16, v15
	v_mov_b32_e32 v22, 0
	v_mov_b32_e32 v20, 0
	v_mov_b32_e32 v23, 0
	v_mov_b32_e32 v21, 0
	v_cmp_ne_u16_sdwa s[0:1], v11, v5 src0_sel:BYTE_0 src1_sel:DWORD
	s_and_saveexec_b64 s[6:7], s[0:1]
	s_cbranch_execz .LBB209_396
; %bb.391:                              ;   in Loop: Header=BB209_222 Depth=1
	v_bfrev_b32_e32 v20, 1
	v_mov_b32_e32 v21, 0
	v_cmp_ne_u16_sdwa s[0:1], v11, s24 src0_sel:BYTE_0 src1_sel:DWORD
	s_and_saveexec_b64 s[12:13], s[0:1]
	s_cbranch_execz .LBB209_395
; %bb.392:                              ;   in Loop: Header=BB209_222 Depth=1
	v_bfe_u32 v26, v15, 16, 7
	v_mov_b32_e32 v20, 0x7f800001
	v_mov_b32_e32 v21, 0
	v_cmp_ne_u32_e64 s[0:1], s25, v26
	s_and_saveexec_b64 s[14:15], s[0:1]
	s_cbranch_execz .LBB209_394
; %bb.393:                              ;   in Loop: Header=BB209_222 Depth=1
	v_and_b32_e32 v7, 7, v11
	v_ffbh_u32_e32 v20, v7
	v_lshrrev_b32_e32 v8, 3, v26
	v_cmp_gt_u32_e64 s[0:1], 8, v26
	v_min_u32_e32 v26, 32, v20
	v_subrev_u32_e32 v20, 28, v26
	v_lshlrev_b64 v[20:21], v20, v[11:12]
	v_sub_u32_e32 v21, 29, v26
	v_and_b32_e32 v20, 7, v20
	v_cndmask_b32_e64 v8, v8, v21, s[0:1]
	v_cndmask_b32_e64 v7, v7, v20, s[0:1]
	v_lshlrev_b32_e32 v7, 20, v7
	v_and_b32_sdwa v11, sext(v11), s26 dst_sel:DWORD dst_unused:UNUSED_PAD src0_sel:BYTE_0 src1_sel:DWORD
	v_lshl_add_u32 v8, v8, 23, v38
	v_or3_b32 v20, v11, v8, v7
	v_mov_b32_e32 v21, v5
.LBB209_394:                            ;   in Loop: Header=BB209_222 Depth=1
	s_or_b64 exec, exec, s[14:15]
.LBB209_395:                            ;   in Loop: Header=BB209_222 Depth=1
	s_or_b64 exec, exec, s[12:13]
.LBB209_396:                            ;   in Loop: Header=BB209_222 Depth=1
	s_or_b64 exec, exec, s[6:7]
	v_cmp_lt_u32_e64 s[0:1], s27, v15
	s_and_saveexec_b64 s[6:7], s[0:1]
	s_cbranch_execz .LBB209_402
; %bb.397:                              ;   in Loop: Header=BB209_222 Depth=1
	v_mov_b32_e32 v23, v6
	v_cmp_ne_u32_sdwa s[0:1], v15, s24 src0_sel:BYTE_3 src1_sel:DWORD
	v_mov_b32_e32 v22, v5
	s_and_saveexec_b64 s[12:13], s[0:1]
	s_cbranch_execz .LBB209_401
; %bb.398:                              ;   in Loop: Header=BB209_222 Depth=1
	v_bfe_u32 v26, v15, 24, 7
	v_mov_b32_e32 v11, v5
	v_mov_b32_e32 v23, v12
	v_cmp_ne_u32_e64 s[0:1], s25, v26
	v_mov_b32_e32 v22, v11
	s_and_saveexec_b64 s[14:15], s[0:1]
	s_cbranch_execz .LBB209_400
; %bb.399:                              ;   in Loop: Header=BB209_222 Depth=1
	v_and_b32_sdwa v22, v15, v39 dst_sel:DWORD dst_unused:UNUSED_PAD src0_sel:BYTE_3 src1_sel:DWORD
	v_ffbh_u32_e32 v8, v22
	v_min_u32_e32 v8, 32, v8
	v_mov_b32_e32 v23, v5
	v_subrev_u32_e32 v11, 28, v8
	v_lshrrev_b32_e32 v7, 3, v26
	v_cmp_gt_u32_e64 s[0:1], 8, v26
	v_lshlrev_b64 v[26:27], v11, v[22:23]
	v_sub_u32_e32 v8, 29, v8
	v_and_b32_e32 v11, 7, v26
	v_cndmask_b32_e64 v7, v7, v8, s[0:1]
	v_cndmask_b32_e64 v8, v22, v11, s[0:1]
	v_mov_b32_e32 v11, 24
	v_lshlrev_b32_sdwa v11, v11, v15 dst_sel:DWORD dst_unused:UNUSED_PAD src0_sel:DWORD src1_sel:BYTE_3
	v_lshl_add_u32 v7, v7, 23, v38
	v_and_or_b32 v7, v11, s26, v7
	v_lshlrev_b32_e32 v8, 20, v8
	v_or_b32_e32 v23, v7, v8
	v_mov_b32_e32 v22, v5
.LBB209_400:                            ;   in Loop: Header=BB209_222 Depth=1
	s_or_b64 exec, exec, s[14:15]
.LBB209_401:                            ;   in Loop: Header=BB209_222 Depth=1
	s_or_b64 exec, exec, s[12:13]
.LBB209_402:                            ;   in Loop: Header=BB209_222 Depth=1
	s_or_b64 exec, exec, s[6:7]
	v_or_b32_e32 v7, v19, v17
	v_or_b32_e32 v8, v18, v16
	v_mul_f32_e32 v26, s18, v7
	v_mul_f32_e32 v27, s17, v8
	v_or_b32_e32 v7, v23, v21
	v_or_b32_e32 v8, v22, v20
	v_mul_f32_e32 v23, s17, v8
	v_mul_f32_e32 v22, s18, v7
	s_and_saveexec_b64 s[6:7], vcc
; %bb.403:                              ;   in Loop: Header=BB209_222 Depth=1
	v_cmp_gt_i32_e64 s[0:1], s30, v45
	v_cndmask_b32_e64 v27, 0, v27, s[0:1]
	v_cmp_gt_i32_e64 s[0:1], s30, v47
	v_cndmask_b32_e64 v26, 0, v26, s[0:1]
	;; [unrolled: 2-line block ×4, first 2 shown]
; %bb.404:                              ;   in Loop: Header=BB209_222 Depth=1
	s_or_b64 exec, exec, s[6:7]
	global_load_dword v13, v[13:14], off offset:1792
	v_mov_b32_e32 v16, 0
	v_mov_b32_e32 v14, 0
	;; [unrolled: 1-line block ×4, first 2 shown]
	s_waitcnt vmcnt(0)
	v_cmp_ne_u16_sdwa s[0:1], v13, v5 src0_sel:BYTE_0 src1_sel:DWORD
	s_and_saveexec_b64 s[6:7], s[0:1]
	s_cbranch_execz .LBB209_410
; %bb.405:                              ;   in Loop: Header=BB209_222 Depth=1
	v_bfrev_b32_e32 v14, 1
	v_mov_b32_e32 v15, 0
	v_cmp_ne_u16_sdwa s[0:1], v13, s24 src0_sel:BYTE_0 src1_sel:DWORD
	s_and_saveexec_b64 s[12:13], s[0:1]
	s_cbranch_execz .LBB209_409
; %bb.406:                              ;   in Loop: Header=BB209_222 Depth=1
	v_and_b32_e32 v11, 0x7f, v13
	v_mov_b32_e32 v14, 0x7f800001
	v_mov_b32_e32 v15, 0
	v_cmp_ne_u32_e64 s[0:1], s25, v11
	s_and_saveexec_b64 s[14:15], s[0:1]
	s_cbranch_execz .LBB209_408
; %bb.407:                              ;   in Loop: Header=BB209_222 Depth=1
	v_and_b32_e32 v7, 7, v13
	v_lshrrev_b32_e32 v8, 3, v11
	v_cmp_gt_u32_e64 s[0:1], 8, v11
	v_ffbh_u32_e32 v11, v7
	v_min_u32_e32 v11, 32, v11
	v_subrev_u32_e32 v14, 28, v11
	v_lshlrev_b64 v[14:15], v14, v[13:14]
	v_sub_u32_e32 v11, 29, v11
	v_and_b32_e32 v14, 7, v14
	v_cndmask_b32_e64 v8, v8, v11, s[0:1]
	v_cndmask_b32_e64 v7, v7, v14, s[0:1]
	v_lshlrev_b32_e32 v7, 20, v7
	v_and_b32_sdwa v11, sext(v13), s26 dst_sel:DWORD dst_unused:UNUSED_PAD src0_sel:BYTE_0 src1_sel:DWORD
	v_lshl_add_u32 v8, v8, 23, v38
	v_or3_b32 v14, v11, v8, v7
	v_mov_b32_e32 v15, v5
.LBB209_408:                            ;   in Loop: Header=BB209_222 Depth=1
	s_or_b64 exec, exec, s[14:15]
.LBB209_409:                            ;   in Loop: Header=BB209_222 Depth=1
	s_or_b64 exec, exec, s[12:13]
.LBB209_410:                            ;   in Loop: Header=BB209_222 Depth=1
	s_or_b64 exec, exec, s[6:7]
	v_cmp_ne_u16_sdwa s[0:1], v13, v5 src0_sel:BYTE_1 src1_sel:DWORD
	s_and_saveexec_b64 s[6:7], s[0:1]
	s_cbranch_execz .LBB209_416
; %bb.411:                              ;   in Loop: Header=BB209_222 Depth=1
	v_mov_b32_e32 v17, v6
	v_cmp_ne_u16_sdwa s[0:1], v13, s24 src0_sel:BYTE_1 src1_sel:DWORD
	v_mov_b32_e32 v16, v5
	s_and_saveexec_b64 s[12:13], s[0:1]
	s_cbranch_execz .LBB209_415
; %bb.412:                              ;   in Loop: Header=BB209_222 Depth=1
	v_and_b32_sdwa v18, v13, s25 dst_sel:DWORD dst_unused:UNUSED_PAD src0_sel:BYTE_1 src1_sel:DWORD
	v_mov_b32_e32 v11, v5
	v_mov_b32_e32 v17, v12
	v_cmp_ne_u32_e64 s[0:1], s25, v18
	v_mov_b32_e32 v16, v11
	s_and_saveexec_b64 s[14:15], s[0:1]
	s_cbranch_execz .LBB209_414
; %bb.413:                              ;   in Loop: Header=BB209_222 Depth=1
	v_and_b32_sdwa v16, v13, v39 dst_sel:DWORD dst_unused:UNUSED_PAD src0_sel:BYTE_1 src1_sel:DWORD
	v_ffbh_u32_e32 v8, v16
	v_min_u32_e32 v8, 32, v8
	v_mov_b32_e32 v17, v5
	v_subrev_u32_e32 v11, 28, v8
	v_lshrrev_b32_e32 v7, 3, v18
	v_cmp_gt_u32_e64 s[0:1], 8, v18
	v_lshlrev_b64 v[17:18], v11, v[16:17]
	v_sub_u32_e32 v8, 29, v8
	v_and_b32_e32 v11, 7, v17
	v_cndmask_b32_e64 v7, v7, v8, s[0:1]
	v_cndmask_b32_e64 v8, v16, v11, s[0:1]
	v_lshlrev_b32_e32 v11, 16, v13
	v_lshl_add_u32 v7, v7, 23, v38
	v_and_or_b32 v7, v11, s26, v7
	v_lshlrev_b32_e32 v8, 20, v8
	v_or_b32_e32 v17, v7, v8
	v_mov_b32_e32 v16, v5
.LBB209_414:                            ;   in Loop: Header=BB209_222 Depth=1
	s_or_b64 exec, exec, s[14:15]
.LBB209_415:                            ;   in Loop: Header=BB209_222 Depth=1
	s_or_b64 exec, exec, s[12:13]
.LBB209_416:                            ;   in Loop: Header=BB209_222 Depth=1
	s_or_b64 exec, exec, s[6:7]
	v_lshrrev_b32_e32 v11, 16, v13
	v_mov_b32_e32 v20, 0
	v_mov_b32_e32 v18, 0
	;; [unrolled: 1-line block ×4, first 2 shown]
	v_cmp_ne_u16_sdwa s[0:1], v11, v5 src0_sel:BYTE_0 src1_sel:DWORD
	s_and_saveexec_b64 s[6:7], s[0:1]
	s_cbranch_execz .LBB209_422
; %bb.417:                              ;   in Loop: Header=BB209_222 Depth=1
	v_bfrev_b32_e32 v18, 1
	v_mov_b32_e32 v19, 0
	v_cmp_ne_u16_sdwa s[0:1], v11, s24 src0_sel:BYTE_0 src1_sel:DWORD
	s_and_saveexec_b64 s[12:13], s[0:1]
	s_cbranch_execz .LBB209_421
; %bb.418:                              ;   in Loop: Header=BB209_222 Depth=1
	v_bfe_u32 v39, v13, 16, 7
	v_mov_b32_e32 v18, 0x7f800001
	v_mov_b32_e32 v19, 0
	v_cmp_ne_u32_e64 s[0:1], s25, v39
	s_and_saveexec_b64 s[14:15], s[0:1]
	s_cbranch_execz .LBB209_420
; %bb.419:                              ;   in Loop: Header=BB209_222 Depth=1
	v_and_b32_e32 v7, 7, v11
	v_ffbh_u32_e32 v18, v7
	v_lshrrev_b32_e32 v8, 3, v39
	v_cmp_gt_u32_e64 s[0:1], 8, v39
	v_min_u32_e32 v39, 32, v18
	v_subrev_u32_e32 v18, 28, v39
	v_lshlrev_b64 v[18:19], v18, v[11:12]
	v_sub_u32_e32 v19, 29, v39
	v_and_b32_e32 v18, 7, v18
	v_cndmask_b32_e64 v8, v8, v19, s[0:1]
	v_cndmask_b32_e64 v7, v7, v18, s[0:1]
	v_lshlrev_b32_e32 v7, 20, v7
	v_and_b32_sdwa v11, sext(v11), s26 dst_sel:DWORD dst_unused:UNUSED_PAD src0_sel:BYTE_0 src1_sel:DWORD
	v_lshl_add_u32 v8, v8, 23, v38
	v_or3_b32 v18, v11, v8, v7
	v_mov_b32_e32 v19, v5
.LBB209_420:                            ;   in Loop: Header=BB209_222 Depth=1
	s_or_b64 exec, exec, s[14:15]
	v_mov_b32_e32 v39, 7
.LBB209_421:                            ;   in Loop: Header=BB209_222 Depth=1
	s_or_b64 exec, exec, s[12:13]
.LBB209_422:                            ;   in Loop: Header=BB209_222 Depth=1
	s_or_b64 exec, exec, s[6:7]
	v_cmp_lt_u32_e64 s[0:1], s27, v13
	s_and_saveexec_b64 s[6:7], s[0:1]
	s_cbranch_execz .LBB209_428
; %bb.423:                              ;   in Loop: Header=BB209_222 Depth=1
	v_mov_b32_e32 v21, v6
	v_cmp_ne_u32_sdwa s[0:1], v13, s24 src0_sel:BYTE_3 src1_sel:DWORD
	v_mov_b32_e32 v20, v5
	s_and_saveexec_b64 s[12:13], s[0:1]
	s_cbranch_execz .LBB209_427
; %bb.424:                              ;   in Loop: Header=BB209_222 Depth=1
	v_bfe_u32 v39, v13, 24, 7
	v_mov_b32_e32 v11, v5
	v_mov_b32_e32 v21, v12
	;; [unrolled: 1-line block ×3, first 2 shown]
	v_cmp_ne_u32_e64 s[0:1], s25, v39
	v_mov_b32_e32 v20, v11
	s_and_saveexec_b64 s[14:15], s[0:1]
	s_cbranch_execz .LBB209_426
; %bb.425:                              ;   in Loop: Header=BB209_222 Depth=1
	v_and_b32_sdwa v20, v13, v7 dst_sel:DWORD dst_unused:UNUSED_PAD src0_sel:BYTE_3 src1_sel:DWORD
	v_ffbh_u32_e32 v7, v20
	v_lshrrev_b32_e32 v11, 3, v39
	v_cmp_gt_u32_e64 s[0:1], 8, v39
	v_min_u32_e32 v39, 32, v7
	v_mov_b32_e32 v21, v5
	v_subrev_u32_e32 v7, 28, v39
	v_lshlrev_b64 v[7:8], v7, v[20:21]
	v_sub_u32_e32 v8, 29, v39
	v_and_b32_e32 v7, 7, v7
	v_cndmask_b32_e64 v8, v11, v8, s[0:1]
	v_mov_b32_e32 v11, 24
	v_cndmask_b32_e64 v7, v20, v7, s[0:1]
	v_lshlrev_b32_sdwa v11, v11, v13 dst_sel:DWORD dst_unused:UNUSED_PAD src0_sel:DWORD src1_sel:BYTE_3
	v_lshl_add_u32 v8, v8, 23, v38
	v_and_or_b32 v8, v11, s26, v8
	v_lshlrev_b32_e32 v7, 20, v7
	v_or_b32_e32 v21, v8, v7
	v_mov_b32_e32 v20, v5
.LBB209_426:                            ;   in Loop: Header=BB209_222 Depth=1
	s_or_b64 exec, exec, s[14:15]
	v_mov_b32_e32 v39, 7
.LBB209_427:                            ;   in Loop: Header=BB209_222 Depth=1
	s_or_b64 exec, exec, s[12:13]
.LBB209_428:                            ;   in Loop: Header=BB209_222 Depth=1
	s_or_b64 exec, exec, s[6:7]
	v_or_b32_e32 v7, v17, v15
	v_or_b32_e32 v8, v16, v14
	v_mul_f32_e32 v11, s18, v7
	v_mul_f32_e32 v15, s17, v8
	v_or_b32_e32 v7, v21, v19
	v_or_b32_e32 v8, v20, v18
	v_mul_f32_e32 v14, s17, v8
	v_mul_f32_e32 v13, s18, v7
	s_and_saveexec_b64 s[0:1], vcc
	s_cbranch_execz .LBB209_221
; %bb.429:                              ;   in Loop: Header=BB209_222 Depth=1
	v_cmp_gt_i32_e32 vcc, s30, v45
	v_cndmask_b32_e32 v15, 0, v15, vcc
	v_cmp_gt_i32_e32 vcc, s30, v47
	v_cndmask_b32_e32 v11, 0, v11, vcc
	;; [unrolled: 2-line block ×4, first 2 shown]
	s_branch .LBB209_221
.LBB209_430:
	s_or_b64 exec, exec, s[4:5]
	buffer_load_dword v13, off, s[48:51], 0 offset:204 ; 4-byte Folded Reload
	buffer_load_dword v14, off, s[48:51], 0 offset:12 ; 4-byte Folded Reload
	;; [unrolled: 1-line block ×6, first 2 shown]
.LBB209_431:
	s_or_b64 exec, exec, s[2:3]
	s_waitcnt vmcnt(3)
	ds_bpermute_b32 v1, v15, v35
	ds_bpermute_b32 v2, v15, v33
	;; [unrolled: 1-line block ×5, first 2 shown]
	s_waitcnt lgkmcnt(4)
	v_add_f32_e32 v1, v35, v1
	s_waitcnt vmcnt(2)
	ds_bpermute_b32 v5, v16, v1
	s_waitcnt lgkmcnt(4)
	v_add_f32_e32 v2, v33, v2
	ds_bpermute_b32 v6, v16, v2
	s_waitcnt lgkmcnt(4)
	v_add_f32_e32 v0, v34, v0
	;; [unrolled: 3-line block ×3, first 2 shown]
	s_waitcnt vmcnt(1)
	ds_bpermute_b32 v5, v17, v1
	s_waitcnt lgkmcnt(2)
	v_add_f32_e32 v2, v2, v6
	ds_bpermute_b32 v6, v17, v2
	s_waitcnt lgkmcnt(2)
	v_add_f32_e32 v0, v0, v4
	;; [unrolled: 3-line block ×3, first 2 shown]
	v_add_f32_e32 v5, v31, v7
	ds_bpermute_b32 v7, v16, v5
	s_waitcnt lgkmcnt(2)
	v_add_f32_e32 v2, v2, v6
	ds_bpermute_b32 v6, v15, v30
	ds_bpermute_b32 v4, v17, v0
	v_add_f32_e32 v3, v32, v3
	s_waitcnt lgkmcnt(2)
	v_add_f32_e32 v5, v5, v7
	ds_bpermute_b32 v7, v15, v29
	s_waitcnt lgkmcnt(2)
	v_add_f32_e32 v6, v30, v6
	v_add_f32_e32 v9, v28, v9
	s_waitcnt lgkmcnt(1)
	v_add_f32_e32 v0, v0, v4
	ds_bpermute_b32 v4, v16, v3
	s_waitcnt lgkmcnt(1)
	v_add_f32_e32 v7, v29, v7
	ds_bpermute_b32 v10, v16, v6
	ds_bpermute_b32 v11, v16, v7
	;; [unrolled: 1-line block ×3, first 2 shown]
	s_waitcnt lgkmcnt(3)
	v_add_f32_e32 v3, v3, v4
	ds_bpermute_b32 v4, v17, v3
	s_waitcnt lgkmcnt(3)
	v_add_f32_e32 v6, v6, v10
	s_waitcnt lgkmcnt(2)
	v_add_f32_e32 v7, v7, v11
	;; [unrolled: 2-line block ×3, first 2 shown]
	ds_bpermute_b32 v8, v17, v5
	ds_bpermute_b32 v10, v17, v6
	;; [unrolled: 1-line block ×4, first 2 shown]
	s_waitcnt lgkmcnt(4)
	v_add_f32_e32 v3, v3, v4
	s_waitcnt lgkmcnt(3)
	v_add_f32_e32 v4, v5, v8
	;; [unrolled: 2-line block ×5, first 2 shown]
	v_and_b32_e32 v9, 0x3c7, v13
	v_cmp_eq_u32_e32 vcc, 64, v9
	s_waitcnt vmcnt(0)
	s_barrier
	s_and_saveexec_b64 s[0:1], vcc
	s_cbranch_execz .LBB209_433
; %bb.432:
	v_lshrrev_b32_e32 v8, 1, v14
	v_add_u32_e32 v8, 0x110, v8
	ds_write2_b32 v8, v0, v1 offset1:8
	ds_write2_b32 v8, v2, v3 offset0:16 offset1:24
	ds_write2_b32 v8, v4, v5 offset0:32 offset1:40
	;; [unrolled: 1-line block ×3, first 2 shown]
.LBB209_433:
	s_or_b64 exec, exec, s[0:1]
	v_cmp_gt_u32_e32 vcc, 64, v13
	v_lshrrev_b32_e32 v8, 3, v13
	s_waitcnt lgkmcnt(0)
	s_barrier
	s_and_saveexec_b64 s[0:1], vcc
	s_cbranch_execz .LBB209_444
; %bb.434:
	v_mov_b32_e32 v10, 0x110
	v_cmp_eq_u32_e32 vcc, 0, v18
	v_lshl_add_u32 v10, v8, 2, v10
	s_and_saveexec_b64 s[2:3], vcc
	s_cbranch_execnz .LBB209_447
; %bb.435:
	s_or_b64 exec, exec, s[2:3]
	s_and_saveexec_b64 s[2:3], vcc
	s_cbranch_execnz .LBB209_448
.LBB209_436:
	s_or_b64 exec, exec, s[2:3]
	s_and_saveexec_b64 s[2:3], vcc
	s_cbranch_execnz .LBB209_449
.LBB209_437:
	s_or_b64 exec, exec, s[2:3]
	s_and_saveexec_b64 s[2:3], vcc
	s_cbranch_execnz .LBB209_450
.LBB209_438:
	s_or_b64 exec, exec, s[2:3]
	s_and_saveexec_b64 s[2:3], vcc
	s_cbranch_execnz .LBB209_451
.LBB209_439:
	s_or_b64 exec, exec, s[2:3]
	s_and_saveexec_b64 s[2:3], vcc
	s_cbranch_execnz .LBB209_452
.LBB209_440:
	s_or_b64 exec, exec, s[2:3]
	s_and_saveexec_b64 s[2:3], vcc
	s_cbranch_execnz .LBB209_453
.LBB209_441:
	s_or_b64 exec, exec, s[2:3]
	s_and_saveexec_b64 s[2:3], vcc
	s_cbranch_execz .LBB209_443
.LBB209_442:
	ds_read_b32 v10, v10 offset:224
	s_waitcnt lgkmcnt(0)
	v_add_f32_e32 v7, v7, v10
.LBB209_443:
	s_or_b64 exec, exec, s[2:3]
.LBB209_444:
	s_or_b64 exec, exec, s[0:1]
	v_cmp_eq_u32_e32 vcc, 0, v9
	s_barrier
	s_and_saveexec_b64 s[0:1], vcc
	s_cbranch_execz .LBB209_446
; %bb.445:
	s_mul_i32 s0, s10, s11
	s_mul_i32 s0, s0, s9
	s_lshl_b32 s0, s0, 6
	s_ashr_i32 s1, s0, 31
	s_lshl_b64 s[0:1], s[0:1], 2
	s_add_u32 s2, s22, s0
	s_mul_i32 s0, s11, s20
	s_addc_u32 s3, s23, s1
	s_ashr_i32 s1, s0, 31
	s_lshl_b64 s[0:1], s[0:1], 2
	s_add_u32 s2, s2, s0
	s_addc_u32 s3, s3, s1
	s_lshl_b32 s0, s8, 6
	s_ashr_i32 s1, s0, 31
	s_lshl_b64 s[0:1], s[0:1], 2
	s_add_u32 s0, s2, s0
	s_addc_u32 s1, s3, s1
	v_lshlrev_b32_e32 v8, 2, v8
	global_store_dword v8, v0, s[0:1]
	global_store_dword v8, v1, s[0:1] offset:32
	global_store_dword v8, v2, s[0:1] offset:64
	;; [unrolled: 1-line block ×7, first 2 shown]
.LBB209_446:
	s_endpgm
.LBB209_447:
	ds_read_b32 v11, v10
	s_waitcnt lgkmcnt(0)
	v_add_f32_e32 v0, v0, v11
	s_or_b64 exec, exec, s[2:3]
	s_and_saveexec_b64 s[2:3], vcc
	s_cbranch_execz .LBB209_436
.LBB209_448:
	ds_read_b32 v11, v10 offset:32
	s_waitcnt lgkmcnt(0)
	v_add_f32_e32 v1, v1, v11
	s_or_b64 exec, exec, s[2:3]
	s_and_saveexec_b64 s[2:3], vcc
	s_cbranch_execz .LBB209_437
.LBB209_449:
	ds_read_b32 v11, v10 offset:64
	s_waitcnt lgkmcnt(0)
	v_add_f32_e32 v2, v2, v11
	s_or_b64 exec, exec, s[2:3]
	s_and_saveexec_b64 s[2:3], vcc
	s_cbranch_execz .LBB209_438
.LBB209_450:
	ds_read_b32 v11, v10 offset:96
	s_waitcnt lgkmcnt(0)
	v_add_f32_e32 v3, v3, v11
	s_or_b64 exec, exec, s[2:3]
	s_and_saveexec_b64 s[2:3], vcc
	s_cbranch_execz .LBB209_439
.LBB209_451:
	ds_read_b32 v11, v10 offset:128
	s_waitcnt lgkmcnt(0)
	v_add_f32_e32 v4, v4, v11
	s_or_b64 exec, exec, s[2:3]
	s_and_saveexec_b64 s[2:3], vcc
	s_cbranch_execz .LBB209_440
.LBB209_452:
	ds_read_b32 v11, v10 offset:160
	s_waitcnt lgkmcnt(0)
	v_add_f32_e32 v5, v5, v11
	s_or_b64 exec, exec, s[2:3]
	s_and_saveexec_b64 s[2:3], vcc
	s_cbranch_execz .LBB209_441
.LBB209_453:
	ds_read_b32 v11, v10 offset:192
	s_waitcnt lgkmcnt(0)
	v_add_f32_e32 v6, v6, v11
	s_or_b64 exec, exec, s[2:3]
	s_and_saveexec_b64 s[2:3], vcc
	s_cbranch_execnz .LBB209_442
	s_branch .LBB209_443
	.section	.rodata,"a",@progbits
	.p2align	6, 0x0
	.amdhsa_kernel _ZN4vllm25paged_attention_v1_kernelIfhLi64ELi32ELi128ELNS_18Fp8KVCacheDataTypeE1ELb0EEEvPT_PKS2_PKT0_S8_ifPKiSA_iPKfiiiSC_SC_iiiii
		.amdhsa_group_segment_fixed_size 272
		.amdhsa_private_segment_fixed_size 232
		.amdhsa_kernarg_size 384
		.amdhsa_user_sgpr_count 6
		.amdhsa_user_sgpr_private_segment_buffer 1
		.amdhsa_user_sgpr_dispatch_ptr 0
		.amdhsa_user_sgpr_queue_ptr 0
		.amdhsa_user_sgpr_kernarg_segment_ptr 1
		.amdhsa_user_sgpr_dispatch_id 0
		.amdhsa_user_sgpr_flat_scratch_init 0
		.amdhsa_user_sgpr_private_segment_size 0
		.amdhsa_uses_dynamic_stack 0
		.amdhsa_system_sgpr_private_segment_wavefront_offset 1
		.amdhsa_system_sgpr_workgroup_id_x 1
		.amdhsa_system_sgpr_workgroup_id_y 1
		.amdhsa_system_sgpr_workgroup_id_z 1
		.amdhsa_system_sgpr_workgroup_info 0
		.amdhsa_system_vgpr_workitem_id 0
		.amdhsa_next_free_vgpr 64
		.amdhsa_next_free_sgpr 52
		.amdhsa_reserve_vcc 1
		.amdhsa_reserve_flat_scratch 0
		.amdhsa_float_round_mode_32 0
		.amdhsa_float_round_mode_16_64 0
		.amdhsa_float_denorm_mode_32 3
		.amdhsa_float_denorm_mode_16_64 3
		.amdhsa_dx10_clamp 1
		.amdhsa_ieee_mode 1
		.amdhsa_fp16_overflow 0
		.amdhsa_exception_fp_ieee_invalid_op 0
		.amdhsa_exception_fp_denorm_src 0
		.amdhsa_exception_fp_ieee_div_zero 0
		.amdhsa_exception_fp_ieee_overflow 0
		.amdhsa_exception_fp_ieee_underflow 0
		.amdhsa_exception_fp_ieee_inexact 0
		.amdhsa_exception_int_div_zero 0
	.end_amdhsa_kernel
	.section	.text._ZN4vllm25paged_attention_v1_kernelIfhLi64ELi32ELi128ELNS_18Fp8KVCacheDataTypeE1ELb0EEEvPT_PKS2_PKT0_S8_ifPKiSA_iPKfiiiSC_SC_iiiii,"axG",@progbits,_ZN4vllm25paged_attention_v1_kernelIfhLi64ELi32ELi128ELNS_18Fp8KVCacheDataTypeE1ELb0EEEvPT_PKS2_PKT0_S8_ifPKiSA_iPKfiiiSC_SC_iiiii,comdat
.Lfunc_end209:
	.size	_ZN4vllm25paged_attention_v1_kernelIfhLi64ELi32ELi128ELNS_18Fp8KVCacheDataTypeE1ELb0EEEvPT_PKS2_PKT0_S8_ifPKiSA_iPKfiiiSC_SC_iiiii, .Lfunc_end209-_ZN4vllm25paged_attention_v1_kernelIfhLi64ELi32ELi128ELNS_18Fp8KVCacheDataTypeE1ELb0EEEvPT_PKS2_PKT0_S8_ifPKiSA_iPKfiiiSC_SC_iiiii
                                        ; -- End function
	.set _ZN4vllm25paged_attention_v1_kernelIfhLi64ELi32ELi128ELNS_18Fp8KVCacheDataTypeE1ELb0EEEvPT_PKS2_PKT0_S8_ifPKiSA_iPKfiiiSC_SC_iiiii.num_vgpr, 64
	.set _ZN4vllm25paged_attention_v1_kernelIfhLi64ELi32ELi128ELNS_18Fp8KVCacheDataTypeE1ELb0EEEvPT_PKS2_PKT0_S8_ifPKiSA_iPKfiiiSC_SC_iiiii.num_agpr, 0
	.set _ZN4vllm25paged_attention_v1_kernelIfhLi64ELi32ELi128ELNS_18Fp8KVCacheDataTypeE1ELb0EEEvPT_PKS2_PKT0_S8_ifPKiSA_iPKfiiiSC_SC_iiiii.numbered_sgpr, 52
	.set _ZN4vllm25paged_attention_v1_kernelIfhLi64ELi32ELi128ELNS_18Fp8KVCacheDataTypeE1ELb0EEEvPT_PKS2_PKT0_S8_ifPKiSA_iPKfiiiSC_SC_iiiii.num_named_barrier, 0
	.set _ZN4vllm25paged_attention_v1_kernelIfhLi64ELi32ELi128ELNS_18Fp8KVCacheDataTypeE1ELb0EEEvPT_PKS2_PKT0_S8_ifPKiSA_iPKfiiiSC_SC_iiiii.private_seg_size, 232
	.set _ZN4vllm25paged_attention_v1_kernelIfhLi64ELi32ELi128ELNS_18Fp8KVCacheDataTypeE1ELb0EEEvPT_PKS2_PKT0_S8_ifPKiSA_iPKfiiiSC_SC_iiiii.uses_vcc, 1
	.set _ZN4vllm25paged_attention_v1_kernelIfhLi64ELi32ELi128ELNS_18Fp8KVCacheDataTypeE1ELb0EEEvPT_PKS2_PKT0_S8_ifPKiSA_iPKfiiiSC_SC_iiiii.uses_flat_scratch, 0
	.set _ZN4vllm25paged_attention_v1_kernelIfhLi64ELi32ELi128ELNS_18Fp8KVCacheDataTypeE1ELb0EEEvPT_PKS2_PKT0_S8_ifPKiSA_iPKfiiiSC_SC_iiiii.has_dyn_sized_stack, 0
	.set _ZN4vllm25paged_attention_v1_kernelIfhLi64ELi32ELi128ELNS_18Fp8KVCacheDataTypeE1ELb0EEEvPT_PKS2_PKT0_S8_ifPKiSA_iPKfiiiSC_SC_iiiii.has_recursion, 0
	.set _ZN4vllm25paged_attention_v1_kernelIfhLi64ELi32ELi128ELNS_18Fp8KVCacheDataTypeE1ELb0EEEvPT_PKS2_PKT0_S8_ifPKiSA_iPKfiiiSC_SC_iiiii.has_indirect_call, 0
	.section	.AMDGPU.csdata,"",@progbits
; Kernel info:
; codeLenInByte = 19240
; TotalNumSgprs: 56
; NumVgprs: 64
; ScratchSize: 232
; MemoryBound: 0
; FloatMode: 240
; IeeeMode: 1
; LDSByteSize: 272 bytes/workgroup (compile time only)
; SGPRBlocks: 6
; VGPRBlocks: 15
; NumSGPRsForWavesPerEU: 56
; NumVGPRsForWavesPerEU: 64
; Occupancy: 4
; WaveLimiterHint : 1
; COMPUTE_PGM_RSRC2:SCRATCH_EN: 1
; COMPUTE_PGM_RSRC2:USER_SGPR: 6
; COMPUTE_PGM_RSRC2:TRAP_HANDLER: 0
; COMPUTE_PGM_RSRC2:TGID_X_EN: 1
; COMPUTE_PGM_RSRC2:TGID_Y_EN: 1
; COMPUTE_PGM_RSRC2:TGID_Z_EN: 1
; COMPUTE_PGM_RSRC2:TIDIG_COMP_CNT: 0
	.section	.text._ZN4vllm25paged_attention_v1_kernelIfhLi80ELi32ELi128ELNS_18Fp8KVCacheDataTypeE1ELb0EEEvPT_PKS2_PKT0_S8_ifPKiSA_iPKfiiiSC_SC_iiiii,"axG",@progbits,_ZN4vllm25paged_attention_v1_kernelIfhLi80ELi32ELi128ELNS_18Fp8KVCacheDataTypeE1ELb0EEEvPT_PKS2_PKT0_S8_ifPKiSA_iPKfiiiSC_SC_iiiii,comdat
	.protected	_ZN4vllm25paged_attention_v1_kernelIfhLi80ELi32ELi128ELNS_18Fp8KVCacheDataTypeE1ELb0EEEvPT_PKS2_PKT0_S8_ifPKiSA_iPKfiiiSC_SC_iiiii ; -- Begin function _ZN4vllm25paged_attention_v1_kernelIfhLi80ELi32ELi128ELNS_18Fp8KVCacheDataTypeE1ELb0EEEvPT_PKS2_PKT0_S8_ifPKiSA_iPKfiiiSC_SC_iiiii
	.globl	_ZN4vllm25paged_attention_v1_kernelIfhLi80ELi32ELi128ELNS_18Fp8KVCacheDataTypeE1ELb0EEEvPT_PKS2_PKT0_S8_ifPKiSA_iPKfiiiSC_SC_iiiii
	.p2align	8
	.type	_ZN4vllm25paged_attention_v1_kernelIfhLi80ELi32ELi128ELNS_18Fp8KVCacheDataTypeE1ELb0EEEvPT_PKS2_PKT0_S8_ifPKiSA_iPKfiiiSC_SC_iiiii,@function
_ZN4vllm25paged_attention_v1_kernelIfhLi80ELi32ELi128ELNS_18Fp8KVCacheDataTypeE1ELb0EEEvPT_PKS2_PKT0_S8_ifPKiSA_iPKfiiiSC_SC_iiiii: ; @_ZN4vllm25paged_attention_v1_kernelIfhLi80ELi32ELi128ELNS_18Fp8KVCacheDataTypeE1ELb0EEEvPT_PKS2_PKT0_S8_ifPKiSA_iPKfiiiSC_SC_iiiii
; %bb.0:
	s_mov_b64 s[50:51], s[2:3]
	s_mov_b64 s[48:49], s[0:1]
	s_add_u32 s48, s48, s9
	s_load_dword s9, s[4:5], 0x80
	s_load_dwordx2 s[0:1], s[4:5], 0x30
	s_load_dwordx2 s[30:31], s[4:5], 0x20
	s_addc_u32 s49, s49, 0
	s_mov_b32 s10, s7
	s_ashr_i32 s11, s7, 31
	s_lshl_b64 s[2:3], s[10:11], 2
	s_waitcnt lgkmcnt(0)
	s_add_u32 s0, s0, s2
	s_addc_u32 s1, s1, s3
	s_abs_i32 s2, s30
	v_mov_b32_e32 v10, v0
	v_cvt_f32_u32_e32 v0, s2
	s_sub_i32 s11, 0, s2
	s_abs_i32 s7, s9
	s_xor_b32 s3, s9, s30
	v_rcp_iflag_f32_e32 v0, v0
	s_ashr_i32 s3, s3, 31
	s_mov_b32 s33, 0
	v_mul_f32_e32 v0, 0x4f7ffffe, v0
	v_cvt_u32_f32_e32 v0, v0
	v_readfirstlane_b32 s12, v0
	s_mul_i32 s11, s11, s12
	s_mul_hi_u32 s11, s12, s11
	s_add_i32 s12, s12, s11
	s_mul_hi_u32 s11, s7, s12
	s_mul_i32 s12, s11, s2
	s_sub_i32 s7, s7, s12
	s_add_i32 s12, s11, 1
	s_sub_i32 s13, s7, s2
	s_cmp_ge_u32 s7, s2
	s_cselect_b32 s11, s12, s11
	s_cselect_b32 s7, s13, s7
	s_add_i32 s12, s11, 1
	s_cmp_ge_u32 s7, s2
	s_cselect_b32 s2, s12, s11
	s_xor_b32 s2, s2, s3
	s_sub_i32 s12, s2, s3
	s_abs_i32 s11, s12
	v_cvt_f32_u32_e32 v0, s11
	s_load_dwordx2 s[2:3], s[4:5], 0x40
	s_sub_i32 s7, 0, s11
	s_abs_i32 s16, s6
	v_rcp_iflag_f32_e32 v0, v0
	v_mul_f32_e32 v0, 0x4f7ffffe, v0
	v_cvt_u32_f32_e32 v0, v0
	v_readfirstlane_b32 s13, v0
	s_mul_i32 s7, s7, s13
	s_mul_hi_u32 s7, s13, s7
	s_add_i32 s13, s13, s7
	s_waitcnt lgkmcnt(0)
	s_cmp_eq_u64 s[2:3], 0
	s_mul_hi_u32 s17, s16, s13
	s_cbranch_scc1 .LBB210_2
; %bb.1:
	s_ashr_i32 s7, s6, 31
	s_lshl_b64 s[14:15], s[6:7], 2
	s_add_u32 s2, s2, s14
	s_addc_u32 s3, s3, s15
	s_load_dword s33, s[2:3], 0x0
.LBB210_2:
	s_load_dword s30, s[0:1], 0x0
	s_ashr_i32 s3, s12, 31
	s_load_dwordx4 s[12:15], s[4:5], 0x48
	s_ashr_i32 s2, s6, 31
	v_and_b32_e32 v0, 1, v10
	s_mul_i32 s20, s6, 0x50
	v_cmp_gt_u32_e32 vcc, 40, v10
	v_lshlrev_b32_e32 v11, 2, v10
	s_and_saveexec_b64 s[0:1], vcc
	s_cbranch_execz .LBB210_4
; %bb.3:
	s_load_dwordx2 s[6:7], s[4:5], 0x8
	s_waitcnt lgkmcnt(0)
	s_mul_i32 s18, s12, s10
	s_ashr_i32 s19, s18, 31
	s_lshl_b64 s[18:19], s[18:19], 2
	v_lshlrev_b32_e32 v1, 3, v10
	s_add_u32 s12, s6, s18
	s_addc_u32 s15, s7, s19
	s_ashr_i32 s21, s20, 31
	s_lshl_b64 s[6:7], s[20:21], 2
	s_add_u32 s6, s12, s6
	s_addc_u32 s7, s15, s7
	global_load_dwordx2 v[1:2], v1, s[6:7]
	v_and_b32_e32 v3, 0xff8, v11
	s_movk_i32 s6, 0xa0
	v_mad_u32_u24 v3, v0, s6, v3
	s_waitcnt vmcnt(0)
	ds_write_b64 v3, v[1:2]
.LBB210_4:
	s_or_b64 exec, exec, s[0:1]
	s_waitcnt lgkmcnt(0)
	s_add_i32 s1, s30, 31
	s_ashr_i32 s6, s1, 31
	s_lshr_b32 s6, s6, 27
	s_add_i32 s1, s1, s6
	s_ashr_i32 s21, s1, 5
	s_xor_b32 s1, s2, s3
	s_mul_i32 s2, s17, s11
	s_sub_i32 s2, s16, s2
	s_add_i32 s3, s17, 1
	s_sub_i32 s6, s2, s11
	s_load_dwordx2 s[24:25], s[4:5], 0x28
	s_load_dword s0, s[4:5], 0x38
	s_cmp_ge_u32 s2, s11
	s_cselect_b32 s3, s3, s17
	s_cselect_b32 s2, s6, s2
	s_add_i32 s6, s3, 1
	s_cmp_ge_u32 s2, s11
	s_cselect_b32 s2, s6, s3
	v_lshrrev_b32_e32 v1, 6, v10
	s_xor_b32 s2, s2, s1
	s_waitcnt lgkmcnt(0)
	s_mul_i32 s26, s0, s10
	s_sub_i32 s12, s2, s1
	s_barrier
	s_ashr_i32 s27, s26, 31
	v_cmp_gt_i32_e64 s[0:1], s21, v1
	buffer_store_dword v1, off, s[48:51], 0 ; 4-byte Folded Spill
	v_cmp_le_i32_e32 vcc, s21, v1
	v_mbcnt_lo_u32_b32 v1, -1, 0
                                        ; implicit-def: $vgpr15
                                        ; implicit-def: $vgpr7
                                        ; implicit-def: $vgpr8
	s_and_saveexec_b64 s[2:3], vcc
	s_xor_b64 s[2:3], exec, s[2:3]
; %bb.5:
	v_mbcnt_hi_u32_b32 v15, -1, v1
	v_and_b32_e32 v7, 64, v15
	v_add_u32_e32 v8, 64, v7
                                        ; implicit-def: $vgpr0
                                        ; implicit-def: $vgpr1
; %bb.6:
	s_or_saveexec_b64 s[6:7], s[2:3]
	s_load_dwordx2 s[22:23], s[4:5], 0x0
	s_load_dwordx2 s[28:29], s[4:5], 0x18
	s_load_dword s11, s[4:5], 0x88
	s_load_dwordx4 s[16:19], s[4:5], 0x58
	v_mov_b32_e32 v2, 0xff7fffff
	s_mul_i32 s12, s12, s14
	v_lshrrev_b32_e32 v13, 4, v10
	buffer_store_dword v10, off, s[48:51], 0 offset:304 ; 4-byte Folded Spill
	s_xor_b64 exec, exec, s[6:7]
	s_cbranch_execz .LBB210_252
; %bb.7:
	s_load_dwordx2 s[2:3], s[4:5], 0x10
	s_ashr_i32 s4, s12, 31
	v_bfe_u32 v2, v10, 1, 5
	v_lshlrev_b32_e32 v3, 4, v2
	v_mbcnt_hi_u32_b32 v7, -1, v1
	s_waitcnt lgkmcnt(0)
	s_add_u32 s2, s2, s12
	s_addc_u32 s3, s3, s4
	v_mov_b32_e32 v4, s3
	v_add_co_u32_e32 v3, vcc, s2, v3
	v_and_b32_e32 v8, 64, v7
	v_addc_co_u32_e32 v4, vcc, 0, v4, vcc
	v_xor_b32_e32 v1, 1, v7
	buffer_store_dword v8, off, s[48:51], 0 offset:320 ; 4-byte Folded Spill
	v_add_u32_e32 v8, 64, v8
	v_cmp_lt_i32_e32 vcc, v1, v8
	v_lshlrev_b32_e32 v5, 1, v0
	v_cndmask_b32_e32 v1, v7, v1, vcc
	v_mul_u32_u24_e32 v6, 0xa0, v0
	v_lshlrev_b32_e32 v1, 2, v1
	v_cmp_eq_u32_e32 vcc, 0, v0
	v_add_co_u32_e64 v0, s[4:5], v3, v5
	buffer_store_dword v1, off, s[48:51], 0 offset:132 ; 4-byte Folded Spill
	v_addc_co_u32_e64 v1, s[4:5], 0, v4, s[4:5]
	buffer_store_dword v11, off, s[48:51], 0 offset:308 ; 4-byte Folded Spill
	s_load_dword s39, s[16:17], 0x0
	buffer_store_dword v8, off, s[48:51], 0 offset:324 ; 4-byte Folded Spill
	buffer_store_dword v7, off, s[48:51], 0 offset:316 ; 4-byte Folded Spill
	;; [unrolled: 1-line block ×3, first 2 shown]
	s_nop 0
	buffer_store_dword v1, off, s[48:51], 0 offset:140 ; 4-byte Folded Spill
	buffer_load_dword v63, off, s[48:51], 0 ; 4-byte Folded Reload
	v_lshlrev_b32_e32 v0, 2, v2
	s_sub_i32 s41, 1, s30
	s_lshl_b64 s[4:5], s[26:27], 2
	s_add_u32 s4, s24, s4
	s_addc_u32 s5, s25, s5
	v_mov_b32_e32 v1, s5
	s_mov_b32 s38, s13
	v_mov_b32_e32 v9, 0
	v_cmp_neq_f32_e64 s[2:3], s33, 0
	s_waitcnt lgkmcnt(0)
	s_mov_b32 s40, s39
	s_mov_b64 s[14:15], 0
	s_movk_i32 s42, 0x80
	s_movk_i32 s43, 0x7f
	s_brev_b32 s44, 1
	v_bfrev_b32_e32 v10, 1
	v_mov_b32_e32 v8, 0x7f800001
	s_waitcnt vmcnt(0)
	v_lshl_or_b32 v0, v63, 7, v0
	v_add_u32_e32 v0, 0x150, v0
	buffer_store_dword v0, off, s[48:51], 0 offset:124 ; 4-byte Folded Spill
	buffer_store_dword v13, off, s[48:51], 0 offset:312 ; 4-byte Folded Spill
	v_and_b32_e32 v0, 60, v13
	v_add_co_u32_e64 v45, s[4:5], s4, v0
	v_mov_b32_e32 v0, 0xff7fffff
	v_lshl_or_b32 v12, v63, 5, v2
	v_addc_co_u32_e64 v46, s[4:5], 0, v1, s[4:5]
	buffer_store_dword v0, off, s[48:51], 0 offset:128 ; 4-byte Folded Spill
	ds_read_b128 v[0:3], v6
	s_waitcnt lgkmcnt(0)
	buffer_store_dword v0, off, s[48:51], 0 offset:144 ; 4-byte Folded Spill
	s_nop 0
	buffer_store_dword v1, off, s[48:51], 0 offset:148 ; 4-byte Folded Spill
	buffer_store_dword v2, off, s[48:51], 0 offset:152 ; 4-byte Folded Spill
	buffer_store_dword v3, off, s[48:51], 0 offset:156 ; 4-byte Folded Spill
	ds_read_b128 v[0:3], v6 offset:16
	s_waitcnt lgkmcnt(0)
	buffer_store_dword v0, off, s[48:51], 0 offset:160 ; 4-byte Folded Spill
	s_nop 0
	buffer_store_dword v1, off, s[48:51], 0 offset:164 ; 4-byte Folded Spill
	buffer_store_dword v2, off, s[48:51], 0 offset:168 ; 4-byte Folded Spill
	buffer_store_dword v3, off, s[48:51], 0 offset:172 ; 4-byte Folded Spill
	ds_read_b128 v[0:3], v6 offset:32
	;; [unrolled: 7-line block ×9, first 2 shown]
	s_waitcnt lgkmcnt(0)
	buffer_store_dword v0, off, s[48:51], 0 offset:288 ; 4-byte Folded Spill
	s_nop 0
	buffer_store_dword v1, off, s[48:51], 0 offset:292 ; 4-byte Folded Spill
	buffer_store_dword v2, off, s[48:51], 0 offset:296 ; 4-byte Folded Spill
	;; [unrolled: 1-line block ×3, first 2 shown]
	s_branch .LBB210_9
.LBB210_8:                              ;   in Loop: Header=BB210_9 Depth=1
	s_or_b64 exec, exec, s[16:17]
	buffer_load_dword v0, off, s[48:51], 0 offset:124 ; 4-byte Folded Reload
	v_add_u32_e32 v63, 2, v63
	v_cmp_le_i32_e64 s[4:5], s21, v63
	s_or_b64 s[14:15], s[4:5], s[14:15]
	v_add_co_u32_e64 v45, s[4:5], 8, v45
	v_add_u32_e32 v12, 64, v12
	v_addc_co_u32_e64 v46, s[4:5], 0, v46, s[4:5]
	s_waitcnt vmcnt(0)
	v_add_u32_e32 v0, 0x100, v0
	buffer_store_dword v0, off, s[48:51], 0 offset:124 ; 4-byte Folded Spill
	s_andn2_b64 exec, exec, s[14:15]
	s_cbranch_execz .LBB210_251
.LBB210_9:                              ; =>This Inner Loop Header: Depth=1
	global_load_dword v0, v[45:46], off
	s_waitcnt lgkmcnt(0)
	buffer_load_dword v1, off, s[48:51], 0 offset:136 ; 4-byte Folded Reload
	buffer_load_dword v2, off, s[48:51], 0 offset:140 ; 4-byte Folded Reload
	v_mov_b32_e32 v32, 0
	v_mov_b32_e32 v33, 0
	s_waitcnt vmcnt(0)
	v_mad_i64_i32 v[57:58], s[4:5], v0, s38, v[1:2]
	v_mov_b32_e32 v2, 0
	v_mov_b32_e32 v3, 0
	global_load_ushort v0, v[57:58], off
	s_nop 0
	buffer_store_dword v2, off, s[48:51], 0 offset:4 ; 4-byte Folded Spill
	s_nop 0
	buffer_store_dword v3, off, s[48:51], 0 offset:8 ; 4-byte Folded Spill
	s_waitcnt vmcnt(2)
	v_and_b32_e32 v1, 0xffff, v0
	v_cmp_ne_u16_sdwa s[4:5], v0, v9 src0_sel:BYTE_0 src1_sel:DWORD
	s_and_saveexec_b64 s[16:17], s[4:5]
	s_cbranch_execz .LBB210_15
; %bb.10:                               ;   in Loop: Header=BB210_9 Depth=1
	v_bfrev_b32_e32 v32, 1
	v_mov_b32_e32 v33, 0
	v_cmp_ne_u16_sdwa s[4:5], v1, s42 src0_sel:BYTE_0 src1_sel:DWORD
	s_and_saveexec_b64 s[34:35], s[4:5]
	s_cbranch_execz .LBB210_14
; %bb.11:                               ;   in Loop: Header=BB210_9 Depth=1
	v_and_b32_e32 v0, 0x7f, v1
	v_mov_b32_e32 v32, 0x7f800001
	v_mov_b32_e32 v33, 0
	v_cmp_ne_u32_e64 s[4:5], s43, v0
	s_and_saveexec_b64 s[36:37], s[4:5]
	s_cbranch_execz .LBB210_13
; %bb.12:                               ;   in Loop: Header=BB210_9 Depth=1
	v_and_b32_e32 v4, 7, v1
	v_lshrrev_b32_e32 v5, 3, v0
	v_cmp_gt_u32_e64 s[4:5], 8, v0
	v_ffbh_u32_e32 v0, v4
	v_min_u32_e32 v0, 32, v0
	v_subrev_u32_e32 v2, 28, v0
	v_lshlrev_b64 v[2:3], v2, v[1:2]
	v_sub_u32_e32 v0, 29, v0
	v_and_b32_e32 v2, 7, v2
	v_cndmask_b32_e64 v0, v5, v0, s[4:5]
	v_cndmask_b32_e64 v2, v4, v2, s[4:5]
	v_bfrev_b32_e32 v4, 60
	v_lshlrev_b32_e32 v2, 20, v2
	v_and_b32_sdwa v3, sext(v1), s44 dst_sel:DWORD dst_unused:UNUSED_PAD src0_sel:BYTE_0 src1_sel:DWORD
	v_lshl_add_u32 v0, v0, 23, v4
	v_or3_b32 v32, v3, v0, v2
	v_mov_b32_e32 v33, v9
.LBB210_13:                             ;   in Loop: Header=BB210_9 Depth=1
	s_or_b64 exec, exec, s[36:37]
.LBB210_14:                             ;   in Loop: Header=BB210_9 Depth=1
	s_or_b64 exec, exec, s[34:35]
.LBB210_15:                             ;   in Loop: Header=BB210_9 Depth=1
	s_or_b64 exec, exec, s[16:17]
	v_cmp_ne_u16_sdwa s[4:5], v1, v9 src0_sel:BYTE_1 src1_sel:DWORD
	s_and_saveexec_b64 s[16:17], s[4:5]
	s_cbranch_execz .LBB210_21
; %bb.16:                               ;   in Loop: Header=BB210_9 Depth=1
	v_cmp_ne_u16_sdwa s[4:5], v1, s42 src0_sel:BYTE_1 src1_sel:DWORD
	buffer_store_dword v9, off, s[48:51], 0 offset:4 ; 4-byte Folded Spill
	s_nop 0
	buffer_store_dword v10, off, s[48:51], 0 offset:8 ; 4-byte Folded Spill
	s_and_saveexec_b64 s[34:35], s[4:5]
	s_cbranch_execz .LBB210_20
; %bb.17:                               ;   in Loop: Header=BB210_9 Depth=1
	v_and_b32_sdwa v2, v1, s43 dst_sel:DWORD dst_unused:UNUSED_PAD src0_sel:BYTE_1 src1_sel:DWORD
	v_cmp_ne_u32_e64 s[4:5], s43, v2
	v_mov_b32_e32 v7, v9
	buffer_store_dword v7, off, s[48:51], 0 offset:4 ; 4-byte Folded Spill
	s_nop 0
	buffer_store_dword v8, off, s[48:51], 0 offset:8 ; 4-byte Folded Spill
	s_and_saveexec_b64 s[36:37], s[4:5]
	s_cbranch_execz .LBB210_19
; %bb.18:                               ;   in Loop: Header=BB210_9 Depth=1
	v_mov_b32_e32 v0, 7
	v_and_b32_sdwa v3, v1, v0 dst_sel:DWORD dst_unused:UNUSED_PAD src0_sel:BYTE_1 src1_sel:DWORD
	v_lshrrev_b32_e32 v0, 3, v2
	v_cmp_gt_u32_e64 s[4:5], 8, v2
	v_ffbh_u32_e32 v2, v3
	v_min_u32_e32 v2, 32, v2
	v_mov_b32_e32 v4, v9
	v_subrev_u32_e32 v5, 28, v2
	v_lshlrev_b64 v[4:5], v5, v[3:4]
	v_sub_u32_e32 v2, 29, v2
	v_and_b32_e32 v4, 7, v4
	v_cndmask_b32_e64 v0, v0, v2, s[4:5]
	v_cndmask_b32_e64 v2, v3, v4, s[4:5]
	v_bfrev_b32_e32 v3, 60
	v_lshlrev_b32_e32 v1, 16, v1
	v_lshl_add_u32 v0, v0, 23, v3
	v_and_or_b32 v0, v1, s44, v0
	v_lshlrev_b32_e32 v1, 20, v2
	v_or_b32_e32 v1, v0, v1
	v_mov_b32_e32 v0, v9
	buffer_store_dword v0, off, s[48:51], 0 offset:4 ; 4-byte Folded Spill
	s_nop 0
	buffer_store_dword v1, off, s[48:51], 0 offset:8 ; 4-byte Folded Spill
.LBB210_19:                             ;   in Loop: Header=BB210_9 Depth=1
	s_or_b64 exec, exec, s[36:37]
.LBB210_20:                             ;   in Loop: Header=BB210_9 Depth=1
	s_or_b64 exec, exec, s[34:35]
.LBB210_21:                             ;   in Loop: Header=BB210_9 Depth=1
	s_or_b64 exec, exec, s[16:17]
	global_load_ushort v0, v[57:58], off offset:4
	v_mov_b32_e32 v2, 0
	v_mov_b32_e32 v3, 0
	buffer_store_dword v2, off, s[48:51], 0 offset:20 ; 4-byte Folded Spill
	s_nop 0
	buffer_store_dword v3, off, s[48:51], 0 offset:24 ; 4-byte Folded Spill
	v_mov_b32_e32 v2, 0
	v_mov_b32_e32 v3, 0
	buffer_store_dword v2, off, s[48:51], 0 offset:12 ; 4-byte Folded Spill
	s_nop 0
	buffer_store_dword v3, off, s[48:51], 0 offset:16 ; 4-byte Folded Spill
	s_waitcnt vmcnt(4)
	v_and_b32_e32 v1, 0xffff, v0
	v_cmp_ne_u16_sdwa s[4:5], v0, v9 src0_sel:BYTE_0 src1_sel:DWORD
	s_and_saveexec_b64 s[16:17], s[4:5]
	s_cbranch_execz .LBB210_27
; %bb.22:                               ;   in Loop: Header=BB210_9 Depth=1
	v_bfrev_b32_e32 v2, 1
	v_mov_b32_e32 v3, 0
	v_cmp_ne_u16_sdwa s[4:5], v1, s42 src0_sel:BYTE_0 src1_sel:DWORD
	buffer_store_dword v2, off, s[48:51], 0 offset:12 ; 4-byte Folded Spill
	s_nop 0
	buffer_store_dword v3, off, s[48:51], 0 offset:16 ; 4-byte Folded Spill
	s_and_saveexec_b64 s[34:35], s[4:5]
	s_cbranch_execz .LBB210_26
; %bb.23:                               ;   in Loop: Header=BB210_9 Depth=1
	v_and_b32_e32 v0, 0x7f, v1
	v_mov_b32_e32 v2, 0x7f800001
	v_mov_b32_e32 v3, 0
	v_cmp_ne_u32_e64 s[4:5], s43, v0
	buffer_store_dword v2, off, s[48:51], 0 offset:12 ; 4-byte Folded Spill
	s_nop 0
	buffer_store_dword v3, off, s[48:51], 0 offset:16 ; 4-byte Folded Spill
	s_and_saveexec_b64 s[36:37], s[4:5]
	s_cbranch_execz .LBB210_25
; %bb.24:                               ;   in Loop: Header=BB210_9 Depth=1
	v_and_b32_e32 v4, 7, v1
	v_lshrrev_b32_e32 v5, 3, v0
	v_cmp_gt_u32_e64 s[4:5], 8, v0
	v_ffbh_u32_e32 v0, v4
	v_min_u32_e32 v0, 32, v0
	v_subrev_u32_e32 v2, 28, v0
	v_lshlrev_b64 v[2:3], v2, v[1:2]
	v_sub_u32_e32 v0, 29, v0
	v_and_b32_e32 v2, 7, v2
	v_cndmask_b32_e64 v0, v5, v0, s[4:5]
	v_cndmask_b32_e64 v2, v4, v2, s[4:5]
	v_bfrev_b32_e32 v4, 60
	v_lshlrev_b32_e32 v2, 20, v2
	v_and_b32_sdwa v3, sext(v1), s44 dst_sel:DWORD dst_unused:UNUSED_PAD src0_sel:BYTE_0 src1_sel:DWORD
	v_lshl_add_u32 v0, v0, 23, v4
	v_or3_b32 v2, v3, v0, v2
	v_mov_b32_e32 v3, v9
	buffer_store_dword v2, off, s[48:51], 0 offset:12 ; 4-byte Folded Spill
	s_nop 0
	buffer_store_dword v3, off, s[48:51], 0 offset:16 ; 4-byte Folded Spill
.LBB210_25:                             ;   in Loop: Header=BB210_9 Depth=1
	s_or_b64 exec, exec, s[36:37]
.LBB210_26:                             ;   in Loop: Header=BB210_9 Depth=1
	s_or_b64 exec, exec, s[34:35]
.LBB210_27:                             ;   in Loop: Header=BB210_9 Depth=1
	s_or_b64 exec, exec, s[16:17]
	v_cmp_ne_u16_sdwa s[4:5], v1, v9 src0_sel:BYTE_1 src1_sel:DWORD
	s_and_saveexec_b64 s[16:17], s[4:5]
	s_cbranch_execz .LBB210_33
; %bb.28:                               ;   in Loop: Header=BB210_9 Depth=1
	v_cmp_ne_u16_sdwa s[4:5], v1, s42 src0_sel:BYTE_1 src1_sel:DWORD
	buffer_store_dword v9, off, s[48:51], 0 offset:20 ; 4-byte Folded Spill
	s_nop 0
	buffer_store_dword v10, off, s[48:51], 0 offset:24 ; 4-byte Folded Spill
	s_and_saveexec_b64 s[34:35], s[4:5]
	s_cbranch_execz .LBB210_32
; %bb.29:                               ;   in Loop: Header=BB210_9 Depth=1
	v_and_b32_sdwa v2, v1, s43 dst_sel:DWORD dst_unused:UNUSED_PAD src0_sel:BYTE_1 src1_sel:DWORD
	v_cmp_ne_u32_e64 s[4:5], s43, v2
	v_mov_b32_e32 v7, v9
	buffer_store_dword v7, off, s[48:51], 0 offset:20 ; 4-byte Folded Spill
	s_nop 0
	buffer_store_dword v8, off, s[48:51], 0 offset:24 ; 4-byte Folded Spill
	s_and_saveexec_b64 s[36:37], s[4:5]
	s_cbranch_execz .LBB210_31
; %bb.30:                               ;   in Loop: Header=BB210_9 Depth=1
	v_mov_b32_e32 v0, 7
	v_and_b32_sdwa v3, v1, v0 dst_sel:DWORD dst_unused:UNUSED_PAD src0_sel:BYTE_1 src1_sel:DWORD
	v_lshrrev_b32_e32 v0, 3, v2
	v_cmp_gt_u32_e64 s[4:5], 8, v2
	v_ffbh_u32_e32 v2, v3
	v_min_u32_e32 v2, 32, v2
	v_mov_b32_e32 v4, v9
	v_subrev_u32_e32 v5, 28, v2
	v_lshlrev_b64 v[4:5], v5, v[3:4]
	v_sub_u32_e32 v2, 29, v2
	v_and_b32_e32 v4, 7, v4
	v_cndmask_b32_e64 v0, v0, v2, s[4:5]
	v_cndmask_b32_e64 v2, v3, v4, s[4:5]
	v_bfrev_b32_e32 v3, 60
	v_lshlrev_b32_e32 v1, 16, v1
	v_lshl_add_u32 v0, v0, 23, v3
	v_and_or_b32 v0, v1, s44, v0
	v_lshlrev_b32_e32 v1, 20, v2
	v_or_b32_e32 v1, v0, v1
	v_mov_b32_e32 v0, v9
	buffer_store_dword v0, off, s[48:51], 0 offset:20 ; 4-byte Folded Spill
	s_nop 0
	buffer_store_dword v1, off, s[48:51], 0 offset:24 ; 4-byte Folded Spill
.LBB210_31:                             ;   in Loop: Header=BB210_9 Depth=1
	s_or_b64 exec, exec, s[36:37]
.LBB210_32:                             ;   in Loop: Header=BB210_9 Depth=1
	s_or_b64 exec, exec, s[34:35]
.LBB210_33:                             ;   in Loop: Header=BB210_9 Depth=1
	s_or_b64 exec, exec, s[16:17]
	global_load_ushort v0, v[57:58], off offset:8
	v_mov_b32_e32 v2, 0
	v_mov_b32_e32 v3, 0
	buffer_store_dword v2, off, s[48:51], 0 offset:36 ; 4-byte Folded Spill
	s_nop 0
	buffer_store_dword v3, off, s[48:51], 0 offset:40 ; 4-byte Folded Spill
	v_mov_b32_e32 v2, 0
	v_mov_b32_e32 v3, 0
	buffer_store_dword v2, off, s[48:51], 0 offset:28 ; 4-byte Folded Spill
	s_nop 0
	buffer_store_dword v3, off, s[48:51], 0 offset:32 ; 4-byte Folded Spill
	s_waitcnt vmcnt(4)
	v_and_b32_e32 v1, 0xffff, v0
	v_cmp_ne_u16_sdwa s[4:5], v0, v9 src0_sel:BYTE_0 src1_sel:DWORD
	s_and_saveexec_b64 s[16:17], s[4:5]
	s_cbranch_execz .LBB210_39
; %bb.34:                               ;   in Loop: Header=BB210_9 Depth=1
	v_bfrev_b32_e32 v2, 1
	v_mov_b32_e32 v3, 0
	v_cmp_ne_u16_sdwa s[4:5], v1, s42 src0_sel:BYTE_0 src1_sel:DWORD
	buffer_store_dword v2, off, s[48:51], 0 offset:28 ; 4-byte Folded Spill
	s_nop 0
	buffer_store_dword v3, off, s[48:51], 0 offset:32 ; 4-byte Folded Spill
	s_and_saveexec_b64 s[34:35], s[4:5]
	s_cbranch_execz .LBB210_38
; %bb.35:                               ;   in Loop: Header=BB210_9 Depth=1
	v_and_b32_e32 v0, 0x7f, v1
	v_mov_b32_e32 v2, 0x7f800001
	v_mov_b32_e32 v3, 0
	v_cmp_ne_u32_e64 s[4:5], s43, v0
	buffer_store_dword v2, off, s[48:51], 0 offset:28 ; 4-byte Folded Spill
	s_nop 0
	buffer_store_dword v3, off, s[48:51], 0 offset:32 ; 4-byte Folded Spill
	s_and_saveexec_b64 s[36:37], s[4:5]
	s_cbranch_execz .LBB210_37
; %bb.36:                               ;   in Loop: Header=BB210_9 Depth=1
	v_and_b32_e32 v4, 7, v1
	v_lshrrev_b32_e32 v5, 3, v0
	v_cmp_gt_u32_e64 s[4:5], 8, v0
	v_ffbh_u32_e32 v0, v4
	v_min_u32_e32 v0, 32, v0
	v_subrev_u32_e32 v2, 28, v0
	v_lshlrev_b64 v[2:3], v2, v[1:2]
	v_sub_u32_e32 v0, 29, v0
	v_and_b32_e32 v2, 7, v2
	v_cndmask_b32_e64 v0, v5, v0, s[4:5]
	v_cndmask_b32_e64 v2, v4, v2, s[4:5]
	v_bfrev_b32_e32 v4, 60
	v_lshlrev_b32_e32 v2, 20, v2
	v_and_b32_sdwa v3, sext(v1), s44 dst_sel:DWORD dst_unused:UNUSED_PAD src0_sel:BYTE_0 src1_sel:DWORD
	v_lshl_add_u32 v0, v0, 23, v4
	v_or3_b32 v2, v3, v0, v2
	v_mov_b32_e32 v3, v9
	buffer_store_dword v2, off, s[48:51], 0 offset:28 ; 4-byte Folded Spill
	s_nop 0
	buffer_store_dword v3, off, s[48:51], 0 offset:32 ; 4-byte Folded Spill
.LBB210_37:                             ;   in Loop: Header=BB210_9 Depth=1
	s_or_b64 exec, exec, s[36:37]
.LBB210_38:                             ;   in Loop: Header=BB210_9 Depth=1
	s_or_b64 exec, exec, s[34:35]
.LBB210_39:                             ;   in Loop: Header=BB210_9 Depth=1
	s_or_b64 exec, exec, s[16:17]
	v_cmp_ne_u16_sdwa s[4:5], v1, v9 src0_sel:BYTE_1 src1_sel:DWORD
	s_and_saveexec_b64 s[16:17], s[4:5]
	s_cbranch_execz .LBB210_45
; %bb.40:                               ;   in Loop: Header=BB210_9 Depth=1
	v_cmp_ne_u16_sdwa s[4:5], v1, s42 src0_sel:BYTE_1 src1_sel:DWORD
	buffer_store_dword v9, off, s[48:51], 0 offset:36 ; 4-byte Folded Spill
	s_nop 0
	buffer_store_dword v10, off, s[48:51], 0 offset:40 ; 4-byte Folded Spill
	s_and_saveexec_b64 s[34:35], s[4:5]
	s_cbranch_execz .LBB210_44
; %bb.41:                               ;   in Loop: Header=BB210_9 Depth=1
	v_and_b32_sdwa v2, v1, s43 dst_sel:DWORD dst_unused:UNUSED_PAD src0_sel:BYTE_1 src1_sel:DWORD
	v_cmp_ne_u32_e64 s[4:5], s43, v2
	v_mov_b32_e32 v7, v9
	buffer_store_dword v7, off, s[48:51], 0 offset:36 ; 4-byte Folded Spill
	s_nop 0
	buffer_store_dword v8, off, s[48:51], 0 offset:40 ; 4-byte Folded Spill
	s_and_saveexec_b64 s[36:37], s[4:5]
	s_cbranch_execz .LBB210_43
; %bb.42:                               ;   in Loop: Header=BB210_9 Depth=1
	v_mov_b32_e32 v0, 7
	v_and_b32_sdwa v3, v1, v0 dst_sel:DWORD dst_unused:UNUSED_PAD src0_sel:BYTE_1 src1_sel:DWORD
	v_lshrrev_b32_e32 v0, 3, v2
	v_cmp_gt_u32_e64 s[4:5], 8, v2
	v_ffbh_u32_e32 v2, v3
	v_min_u32_e32 v2, 32, v2
	v_mov_b32_e32 v4, v9
	v_subrev_u32_e32 v5, 28, v2
	v_lshlrev_b64 v[4:5], v5, v[3:4]
	v_sub_u32_e32 v2, 29, v2
	v_and_b32_e32 v4, 7, v4
	v_cndmask_b32_e64 v0, v0, v2, s[4:5]
	v_cndmask_b32_e64 v2, v3, v4, s[4:5]
	v_bfrev_b32_e32 v3, 60
	v_lshlrev_b32_e32 v1, 16, v1
	v_lshl_add_u32 v0, v0, 23, v3
	v_and_or_b32 v0, v1, s44, v0
	v_lshlrev_b32_e32 v1, 20, v2
	v_or_b32_e32 v1, v0, v1
	v_mov_b32_e32 v0, v9
	buffer_store_dword v0, off, s[48:51], 0 offset:36 ; 4-byte Folded Spill
	s_nop 0
	buffer_store_dword v1, off, s[48:51], 0 offset:40 ; 4-byte Folded Spill
.LBB210_43:                             ;   in Loop: Header=BB210_9 Depth=1
	s_or_b64 exec, exec, s[36:37]
.LBB210_44:                             ;   in Loop: Header=BB210_9 Depth=1
	s_or_b64 exec, exec, s[34:35]
.LBB210_45:                             ;   in Loop: Header=BB210_9 Depth=1
	s_or_b64 exec, exec, s[16:17]
	global_load_ushort v0, v[57:58], off offset:12
	v_mov_b32_e32 v2, 0
	v_mov_b32_e32 v3, 0
	buffer_store_dword v2, off, s[48:51], 0 offset:52 ; 4-byte Folded Spill
	s_nop 0
	buffer_store_dword v3, off, s[48:51], 0 offset:56 ; 4-byte Folded Spill
	v_mov_b32_e32 v2, 0
	v_mov_b32_e32 v3, 0
	buffer_store_dword v2, off, s[48:51], 0 offset:44 ; 4-byte Folded Spill
	s_nop 0
	buffer_store_dword v3, off, s[48:51], 0 offset:48 ; 4-byte Folded Spill
	s_waitcnt vmcnt(4)
	v_and_b32_e32 v1, 0xffff, v0
	v_cmp_ne_u16_sdwa s[4:5], v0, v9 src0_sel:BYTE_0 src1_sel:DWORD
	s_and_saveexec_b64 s[16:17], s[4:5]
	s_cbranch_execz .LBB210_51
; %bb.46:                               ;   in Loop: Header=BB210_9 Depth=1
	v_bfrev_b32_e32 v2, 1
	v_mov_b32_e32 v3, 0
	v_cmp_ne_u16_sdwa s[4:5], v1, s42 src0_sel:BYTE_0 src1_sel:DWORD
	buffer_store_dword v2, off, s[48:51], 0 offset:44 ; 4-byte Folded Spill
	s_nop 0
	buffer_store_dword v3, off, s[48:51], 0 offset:48 ; 4-byte Folded Spill
	s_and_saveexec_b64 s[34:35], s[4:5]
	s_cbranch_execz .LBB210_50
; %bb.47:                               ;   in Loop: Header=BB210_9 Depth=1
	v_and_b32_e32 v0, 0x7f, v1
	v_mov_b32_e32 v2, 0x7f800001
	v_mov_b32_e32 v3, 0
	v_cmp_ne_u32_e64 s[4:5], s43, v0
	buffer_store_dword v2, off, s[48:51], 0 offset:44 ; 4-byte Folded Spill
	s_nop 0
	buffer_store_dword v3, off, s[48:51], 0 offset:48 ; 4-byte Folded Spill
	s_and_saveexec_b64 s[36:37], s[4:5]
	s_cbranch_execz .LBB210_49
; %bb.48:                               ;   in Loop: Header=BB210_9 Depth=1
	v_and_b32_e32 v4, 7, v1
	v_lshrrev_b32_e32 v5, 3, v0
	v_cmp_gt_u32_e64 s[4:5], 8, v0
	v_ffbh_u32_e32 v0, v4
	v_min_u32_e32 v0, 32, v0
	v_subrev_u32_e32 v2, 28, v0
	v_lshlrev_b64 v[2:3], v2, v[1:2]
	v_sub_u32_e32 v0, 29, v0
	v_and_b32_e32 v2, 7, v2
	v_cndmask_b32_e64 v0, v5, v0, s[4:5]
	v_cndmask_b32_e64 v2, v4, v2, s[4:5]
	v_bfrev_b32_e32 v4, 60
	v_lshlrev_b32_e32 v2, 20, v2
	v_and_b32_sdwa v3, sext(v1), s44 dst_sel:DWORD dst_unused:UNUSED_PAD src0_sel:BYTE_0 src1_sel:DWORD
	v_lshl_add_u32 v0, v0, 23, v4
	v_or3_b32 v2, v3, v0, v2
	v_mov_b32_e32 v3, v9
	buffer_store_dword v2, off, s[48:51], 0 offset:44 ; 4-byte Folded Spill
	s_nop 0
	buffer_store_dword v3, off, s[48:51], 0 offset:48 ; 4-byte Folded Spill
.LBB210_49:                             ;   in Loop: Header=BB210_9 Depth=1
	s_or_b64 exec, exec, s[36:37]
.LBB210_50:                             ;   in Loop: Header=BB210_9 Depth=1
	s_or_b64 exec, exec, s[34:35]
.LBB210_51:                             ;   in Loop: Header=BB210_9 Depth=1
	s_or_b64 exec, exec, s[16:17]
	v_cmp_ne_u16_sdwa s[4:5], v1, v9 src0_sel:BYTE_1 src1_sel:DWORD
	s_and_saveexec_b64 s[16:17], s[4:5]
	s_cbranch_execz .LBB210_57
; %bb.52:                               ;   in Loop: Header=BB210_9 Depth=1
	v_cmp_ne_u16_sdwa s[4:5], v1, s42 src0_sel:BYTE_1 src1_sel:DWORD
	buffer_store_dword v9, off, s[48:51], 0 offset:52 ; 4-byte Folded Spill
	s_nop 0
	buffer_store_dword v10, off, s[48:51], 0 offset:56 ; 4-byte Folded Spill
	s_and_saveexec_b64 s[34:35], s[4:5]
	s_cbranch_execz .LBB210_56
; %bb.53:                               ;   in Loop: Header=BB210_9 Depth=1
	v_and_b32_sdwa v2, v1, s43 dst_sel:DWORD dst_unused:UNUSED_PAD src0_sel:BYTE_1 src1_sel:DWORD
	v_cmp_ne_u32_e64 s[4:5], s43, v2
	v_mov_b32_e32 v7, v9
	buffer_store_dword v7, off, s[48:51], 0 offset:52 ; 4-byte Folded Spill
	s_nop 0
	buffer_store_dword v8, off, s[48:51], 0 offset:56 ; 4-byte Folded Spill
	s_and_saveexec_b64 s[36:37], s[4:5]
	s_cbranch_execz .LBB210_55
; %bb.54:                               ;   in Loop: Header=BB210_9 Depth=1
	v_mov_b32_e32 v0, 7
	v_and_b32_sdwa v3, v1, v0 dst_sel:DWORD dst_unused:UNUSED_PAD src0_sel:BYTE_1 src1_sel:DWORD
	v_lshrrev_b32_e32 v0, 3, v2
	v_cmp_gt_u32_e64 s[4:5], 8, v2
	v_ffbh_u32_e32 v2, v3
	v_min_u32_e32 v2, 32, v2
	v_mov_b32_e32 v4, v9
	v_subrev_u32_e32 v5, 28, v2
	v_lshlrev_b64 v[4:5], v5, v[3:4]
	v_sub_u32_e32 v2, 29, v2
	v_and_b32_e32 v4, 7, v4
	v_cndmask_b32_e64 v0, v0, v2, s[4:5]
	v_cndmask_b32_e64 v2, v3, v4, s[4:5]
	v_bfrev_b32_e32 v3, 60
	v_lshlrev_b32_e32 v1, 16, v1
	v_lshl_add_u32 v0, v0, 23, v3
	v_and_or_b32 v0, v1, s44, v0
	v_lshlrev_b32_e32 v1, 20, v2
	v_or_b32_e32 v1, v0, v1
	v_mov_b32_e32 v0, v9
	buffer_store_dword v0, off, s[48:51], 0 offset:52 ; 4-byte Folded Spill
	s_nop 0
	buffer_store_dword v1, off, s[48:51], 0 offset:56 ; 4-byte Folded Spill
.LBB210_55:                             ;   in Loop: Header=BB210_9 Depth=1
	s_or_b64 exec, exec, s[36:37]
.LBB210_56:                             ;   in Loop: Header=BB210_9 Depth=1
	s_or_b64 exec, exec, s[34:35]
.LBB210_57:                             ;   in Loop: Header=BB210_9 Depth=1
	s_or_b64 exec, exec, s[16:17]
	global_load_ushort v0, v[57:58], off offset:512
	v_mov_b32_e32 v2, 0
	v_mov_b32_e32 v3, 0
	buffer_store_dword v2, off, s[48:51], 0 offset:68 ; 4-byte Folded Spill
	s_nop 0
	buffer_store_dword v3, off, s[48:51], 0 offset:72 ; 4-byte Folded Spill
	v_mov_b32_e32 v2, 0
	v_mov_b32_e32 v3, 0
	buffer_store_dword v2, off, s[48:51], 0 offset:60 ; 4-byte Folded Spill
	s_nop 0
	buffer_store_dword v3, off, s[48:51], 0 offset:64 ; 4-byte Folded Spill
	s_waitcnt vmcnt(4)
	v_and_b32_e32 v1, 0xffff, v0
	v_cmp_ne_u16_sdwa s[4:5], v0, v9 src0_sel:BYTE_0 src1_sel:DWORD
	s_and_saveexec_b64 s[16:17], s[4:5]
	s_cbranch_execz .LBB210_63
; %bb.58:                               ;   in Loop: Header=BB210_9 Depth=1
	v_bfrev_b32_e32 v2, 1
	v_mov_b32_e32 v3, 0
	v_cmp_ne_u16_sdwa s[4:5], v1, s42 src0_sel:BYTE_0 src1_sel:DWORD
	buffer_store_dword v2, off, s[48:51], 0 offset:60 ; 4-byte Folded Spill
	s_nop 0
	buffer_store_dword v3, off, s[48:51], 0 offset:64 ; 4-byte Folded Spill
	s_and_saveexec_b64 s[34:35], s[4:5]
	s_cbranch_execz .LBB210_62
; %bb.59:                               ;   in Loop: Header=BB210_9 Depth=1
	v_and_b32_e32 v0, 0x7f, v1
	v_mov_b32_e32 v2, 0x7f800001
	v_mov_b32_e32 v3, 0
	v_cmp_ne_u32_e64 s[4:5], s43, v0
	buffer_store_dword v2, off, s[48:51], 0 offset:60 ; 4-byte Folded Spill
	s_nop 0
	buffer_store_dword v3, off, s[48:51], 0 offset:64 ; 4-byte Folded Spill
	s_and_saveexec_b64 s[36:37], s[4:5]
	s_cbranch_execz .LBB210_61
; %bb.60:                               ;   in Loop: Header=BB210_9 Depth=1
	v_and_b32_e32 v4, 7, v1
	v_lshrrev_b32_e32 v5, 3, v0
	v_cmp_gt_u32_e64 s[4:5], 8, v0
	v_ffbh_u32_e32 v0, v4
	v_min_u32_e32 v0, 32, v0
	v_subrev_u32_e32 v2, 28, v0
	v_lshlrev_b64 v[2:3], v2, v[1:2]
	v_sub_u32_e32 v0, 29, v0
	v_and_b32_e32 v2, 7, v2
	v_cndmask_b32_e64 v0, v5, v0, s[4:5]
	v_cndmask_b32_e64 v2, v4, v2, s[4:5]
	v_bfrev_b32_e32 v4, 60
	v_lshlrev_b32_e32 v2, 20, v2
	v_and_b32_sdwa v3, sext(v1), s44 dst_sel:DWORD dst_unused:UNUSED_PAD src0_sel:BYTE_0 src1_sel:DWORD
	v_lshl_add_u32 v0, v0, 23, v4
	v_or3_b32 v2, v3, v0, v2
	v_mov_b32_e32 v3, v9
	buffer_store_dword v2, off, s[48:51], 0 offset:60 ; 4-byte Folded Spill
	s_nop 0
	buffer_store_dword v3, off, s[48:51], 0 offset:64 ; 4-byte Folded Spill
.LBB210_61:                             ;   in Loop: Header=BB210_9 Depth=1
	s_or_b64 exec, exec, s[36:37]
.LBB210_62:                             ;   in Loop: Header=BB210_9 Depth=1
	s_or_b64 exec, exec, s[34:35]
.LBB210_63:                             ;   in Loop: Header=BB210_9 Depth=1
	s_or_b64 exec, exec, s[16:17]
	v_cmp_ne_u16_sdwa s[4:5], v1, v9 src0_sel:BYTE_1 src1_sel:DWORD
	s_and_saveexec_b64 s[16:17], s[4:5]
	s_cbranch_execz .LBB210_69
; %bb.64:                               ;   in Loop: Header=BB210_9 Depth=1
	v_cmp_ne_u16_sdwa s[4:5], v1, s42 src0_sel:BYTE_1 src1_sel:DWORD
	buffer_store_dword v9, off, s[48:51], 0 offset:68 ; 4-byte Folded Spill
	s_nop 0
	buffer_store_dword v10, off, s[48:51], 0 offset:72 ; 4-byte Folded Spill
	s_and_saveexec_b64 s[34:35], s[4:5]
	s_cbranch_execz .LBB210_68
; %bb.65:                               ;   in Loop: Header=BB210_9 Depth=1
	v_and_b32_sdwa v2, v1, s43 dst_sel:DWORD dst_unused:UNUSED_PAD src0_sel:BYTE_1 src1_sel:DWORD
	v_cmp_ne_u32_e64 s[4:5], s43, v2
	v_mov_b32_e32 v7, v9
	buffer_store_dword v7, off, s[48:51], 0 offset:68 ; 4-byte Folded Spill
	s_nop 0
	buffer_store_dword v8, off, s[48:51], 0 offset:72 ; 4-byte Folded Spill
	s_and_saveexec_b64 s[36:37], s[4:5]
	s_cbranch_execz .LBB210_67
; %bb.66:                               ;   in Loop: Header=BB210_9 Depth=1
	v_mov_b32_e32 v0, 7
	v_and_b32_sdwa v3, v1, v0 dst_sel:DWORD dst_unused:UNUSED_PAD src0_sel:BYTE_1 src1_sel:DWORD
	v_lshrrev_b32_e32 v0, 3, v2
	v_cmp_gt_u32_e64 s[4:5], 8, v2
	v_ffbh_u32_e32 v2, v3
	v_min_u32_e32 v2, 32, v2
	v_mov_b32_e32 v4, v9
	v_subrev_u32_e32 v5, 28, v2
	v_lshlrev_b64 v[4:5], v5, v[3:4]
	v_sub_u32_e32 v2, 29, v2
	v_and_b32_e32 v4, 7, v4
	v_cndmask_b32_e64 v0, v0, v2, s[4:5]
	v_cndmask_b32_e64 v2, v3, v4, s[4:5]
	v_bfrev_b32_e32 v3, 60
	v_lshlrev_b32_e32 v1, 16, v1
	v_lshl_add_u32 v0, v0, 23, v3
	v_and_or_b32 v0, v1, s44, v0
	v_lshlrev_b32_e32 v1, 20, v2
	v_or_b32_e32 v1, v0, v1
	v_mov_b32_e32 v0, v9
	buffer_store_dword v0, off, s[48:51], 0 offset:68 ; 4-byte Folded Spill
	s_nop 0
	buffer_store_dword v1, off, s[48:51], 0 offset:72 ; 4-byte Folded Spill
.LBB210_67:                             ;   in Loop: Header=BB210_9 Depth=1
	s_or_b64 exec, exec, s[36:37]
.LBB210_68:                             ;   in Loop: Header=BB210_9 Depth=1
	s_or_b64 exec, exec, s[34:35]
.LBB210_69:                             ;   in Loop: Header=BB210_9 Depth=1
	s_or_b64 exec, exec, s[16:17]
	global_load_ushort v0, v[57:58], off offset:516
	v_mov_b32_e32 v2, 0
	v_mov_b32_e32 v3, 0
	buffer_store_dword v2, off, s[48:51], 0 offset:84 ; 4-byte Folded Spill
	s_nop 0
	buffer_store_dword v3, off, s[48:51], 0 offset:88 ; 4-byte Folded Spill
	v_mov_b32_e32 v2, 0
	v_mov_b32_e32 v3, 0
	buffer_store_dword v2, off, s[48:51], 0 offset:76 ; 4-byte Folded Spill
	s_nop 0
	buffer_store_dword v3, off, s[48:51], 0 offset:80 ; 4-byte Folded Spill
	s_waitcnt vmcnt(4)
	v_and_b32_e32 v1, 0xffff, v0
	v_cmp_ne_u16_sdwa s[4:5], v0, v9 src0_sel:BYTE_0 src1_sel:DWORD
	s_and_saveexec_b64 s[16:17], s[4:5]
	s_cbranch_execz .LBB210_75
; %bb.70:                               ;   in Loop: Header=BB210_9 Depth=1
	v_bfrev_b32_e32 v2, 1
	v_mov_b32_e32 v3, 0
	v_cmp_ne_u16_sdwa s[4:5], v1, s42 src0_sel:BYTE_0 src1_sel:DWORD
	buffer_store_dword v2, off, s[48:51], 0 offset:76 ; 4-byte Folded Spill
	s_nop 0
	buffer_store_dword v3, off, s[48:51], 0 offset:80 ; 4-byte Folded Spill
	s_and_saveexec_b64 s[34:35], s[4:5]
	s_cbranch_execz .LBB210_74
; %bb.71:                               ;   in Loop: Header=BB210_9 Depth=1
	v_and_b32_e32 v0, 0x7f, v1
	v_mov_b32_e32 v2, 0x7f800001
	v_mov_b32_e32 v3, 0
	v_cmp_ne_u32_e64 s[4:5], s43, v0
	buffer_store_dword v2, off, s[48:51], 0 offset:76 ; 4-byte Folded Spill
	s_nop 0
	buffer_store_dword v3, off, s[48:51], 0 offset:80 ; 4-byte Folded Spill
	s_and_saveexec_b64 s[36:37], s[4:5]
	s_cbranch_execz .LBB210_73
; %bb.72:                               ;   in Loop: Header=BB210_9 Depth=1
	v_and_b32_e32 v4, 7, v1
	v_lshrrev_b32_e32 v5, 3, v0
	v_cmp_gt_u32_e64 s[4:5], 8, v0
	v_ffbh_u32_e32 v0, v4
	v_min_u32_e32 v0, 32, v0
	v_subrev_u32_e32 v2, 28, v0
	v_lshlrev_b64 v[2:3], v2, v[1:2]
	v_sub_u32_e32 v0, 29, v0
	v_and_b32_e32 v2, 7, v2
	v_cndmask_b32_e64 v0, v5, v0, s[4:5]
	v_cndmask_b32_e64 v2, v4, v2, s[4:5]
	v_bfrev_b32_e32 v4, 60
	v_lshlrev_b32_e32 v2, 20, v2
	v_and_b32_sdwa v3, sext(v1), s44 dst_sel:DWORD dst_unused:UNUSED_PAD src0_sel:BYTE_0 src1_sel:DWORD
	v_lshl_add_u32 v0, v0, 23, v4
	v_or3_b32 v2, v3, v0, v2
	v_mov_b32_e32 v3, v9
	buffer_store_dword v2, off, s[48:51], 0 offset:76 ; 4-byte Folded Spill
	s_nop 0
	buffer_store_dword v3, off, s[48:51], 0 offset:80 ; 4-byte Folded Spill
.LBB210_73:                             ;   in Loop: Header=BB210_9 Depth=1
	s_or_b64 exec, exec, s[36:37]
.LBB210_74:                             ;   in Loop: Header=BB210_9 Depth=1
	s_or_b64 exec, exec, s[34:35]
.LBB210_75:                             ;   in Loop: Header=BB210_9 Depth=1
	s_or_b64 exec, exec, s[16:17]
	v_cmp_ne_u16_sdwa s[4:5], v1, v9 src0_sel:BYTE_1 src1_sel:DWORD
	s_and_saveexec_b64 s[16:17], s[4:5]
	s_cbranch_execz .LBB210_81
; %bb.76:                               ;   in Loop: Header=BB210_9 Depth=1
	v_cmp_ne_u16_sdwa s[4:5], v1, s42 src0_sel:BYTE_1 src1_sel:DWORD
	buffer_store_dword v9, off, s[48:51], 0 offset:84 ; 4-byte Folded Spill
	s_nop 0
	buffer_store_dword v10, off, s[48:51], 0 offset:88 ; 4-byte Folded Spill
	s_and_saveexec_b64 s[34:35], s[4:5]
	s_cbranch_execz .LBB210_80
; %bb.77:                               ;   in Loop: Header=BB210_9 Depth=1
	v_and_b32_sdwa v2, v1, s43 dst_sel:DWORD dst_unused:UNUSED_PAD src0_sel:BYTE_1 src1_sel:DWORD
	v_cmp_ne_u32_e64 s[4:5], s43, v2
	v_mov_b32_e32 v7, v9
	buffer_store_dword v7, off, s[48:51], 0 offset:84 ; 4-byte Folded Spill
	s_nop 0
	buffer_store_dword v8, off, s[48:51], 0 offset:88 ; 4-byte Folded Spill
	s_and_saveexec_b64 s[36:37], s[4:5]
	s_cbranch_execz .LBB210_79
; %bb.78:                               ;   in Loop: Header=BB210_9 Depth=1
	v_mov_b32_e32 v0, 7
	v_and_b32_sdwa v3, v1, v0 dst_sel:DWORD dst_unused:UNUSED_PAD src0_sel:BYTE_1 src1_sel:DWORD
	v_lshrrev_b32_e32 v0, 3, v2
	v_cmp_gt_u32_e64 s[4:5], 8, v2
	v_ffbh_u32_e32 v2, v3
	v_min_u32_e32 v2, 32, v2
	v_mov_b32_e32 v4, v9
	v_subrev_u32_e32 v5, 28, v2
	v_lshlrev_b64 v[4:5], v5, v[3:4]
	v_sub_u32_e32 v2, 29, v2
	v_and_b32_e32 v4, 7, v4
	v_cndmask_b32_e64 v0, v0, v2, s[4:5]
	v_cndmask_b32_e64 v2, v3, v4, s[4:5]
	v_bfrev_b32_e32 v3, 60
	v_lshlrev_b32_e32 v1, 16, v1
	v_lshl_add_u32 v0, v0, 23, v3
	v_and_or_b32 v0, v1, s44, v0
	v_lshlrev_b32_e32 v1, 20, v2
	v_or_b32_e32 v1, v0, v1
	v_mov_b32_e32 v0, v9
	buffer_store_dword v0, off, s[48:51], 0 offset:84 ; 4-byte Folded Spill
	s_nop 0
	buffer_store_dword v1, off, s[48:51], 0 offset:88 ; 4-byte Folded Spill
.LBB210_79:                             ;   in Loop: Header=BB210_9 Depth=1
	s_or_b64 exec, exec, s[36:37]
.LBB210_80:                             ;   in Loop: Header=BB210_9 Depth=1
	s_or_b64 exec, exec, s[34:35]
.LBB210_81:                             ;   in Loop: Header=BB210_9 Depth=1
	s_or_b64 exec, exec, s[16:17]
	global_load_ushort v0, v[57:58], off offset:520
	v_mov_b32_e32 v2, 0
	v_mov_b32_e32 v3, 0
	buffer_store_dword v2, off, s[48:51], 0 offset:100 ; 4-byte Folded Spill
	s_nop 0
	buffer_store_dword v3, off, s[48:51], 0 offset:104 ; 4-byte Folded Spill
	v_mov_b32_e32 v2, 0
	v_mov_b32_e32 v3, 0
	buffer_store_dword v2, off, s[48:51], 0 offset:92 ; 4-byte Folded Spill
	s_nop 0
	buffer_store_dword v3, off, s[48:51], 0 offset:96 ; 4-byte Folded Spill
	s_waitcnt vmcnt(4)
	v_and_b32_e32 v1, 0xffff, v0
	v_cmp_ne_u16_sdwa s[4:5], v0, v9 src0_sel:BYTE_0 src1_sel:DWORD
	s_and_saveexec_b64 s[16:17], s[4:5]
	s_cbranch_execz .LBB210_87
; %bb.82:                               ;   in Loop: Header=BB210_9 Depth=1
	v_bfrev_b32_e32 v2, 1
	v_mov_b32_e32 v3, 0
	v_cmp_ne_u16_sdwa s[4:5], v1, s42 src0_sel:BYTE_0 src1_sel:DWORD
	buffer_store_dword v2, off, s[48:51], 0 offset:92 ; 4-byte Folded Spill
	s_nop 0
	buffer_store_dword v3, off, s[48:51], 0 offset:96 ; 4-byte Folded Spill
	s_and_saveexec_b64 s[34:35], s[4:5]
	s_cbranch_execz .LBB210_86
; %bb.83:                               ;   in Loop: Header=BB210_9 Depth=1
	v_and_b32_e32 v0, 0x7f, v1
	v_mov_b32_e32 v2, 0x7f800001
	v_mov_b32_e32 v3, 0
	v_cmp_ne_u32_e64 s[4:5], s43, v0
	buffer_store_dword v2, off, s[48:51], 0 offset:92 ; 4-byte Folded Spill
	s_nop 0
	buffer_store_dword v3, off, s[48:51], 0 offset:96 ; 4-byte Folded Spill
	s_and_saveexec_b64 s[36:37], s[4:5]
	s_cbranch_execz .LBB210_85
; %bb.84:                               ;   in Loop: Header=BB210_9 Depth=1
	v_and_b32_e32 v4, 7, v1
	v_lshrrev_b32_e32 v5, 3, v0
	v_cmp_gt_u32_e64 s[4:5], 8, v0
	v_ffbh_u32_e32 v0, v4
	v_min_u32_e32 v0, 32, v0
	v_subrev_u32_e32 v2, 28, v0
	v_lshlrev_b64 v[2:3], v2, v[1:2]
	v_sub_u32_e32 v0, 29, v0
	v_and_b32_e32 v2, 7, v2
	v_cndmask_b32_e64 v0, v5, v0, s[4:5]
	v_cndmask_b32_e64 v2, v4, v2, s[4:5]
	v_bfrev_b32_e32 v4, 60
	v_lshlrev_b32_e32 v2, 20, v2
	v_and_b32_sdwa v3, sext(v1), s44 dst_sel:DWORD dst_unused:UNUSED_PAD src0_sel:BYTE_0 src1_sel:DWORD
	v_lshl_add_u32 v0, v0, 23, v4
	v_or3_b32 v2, v3, v0, v2
	v_mov_b32_e32 v3, v9
	buffer_store_dword v2, off, s[48:51], 0 offset:92 ; 4-byte Folded Spill
	s_nop 0
	buffer_store_dword v3, off, s[48:51], 0 offset:96 ; 4-byte Folded Spill
.LBB210_85:                             ;   in Loop: Header=BB210_9 Depth=1
	s_or_b64 exec, exec, s[36:37]
.LBB210_86:                             ;   in Loop: Header=BB210_9 Depth=1
	s_or_b64 exec, exec, s[34:35]
.LBB210_87:                             ;   in Loop: Header=BB210_9 Depth=1
	s_or_b64 exec, exec, s[16:17]
	v_cmp_ne_u16_sdwa s[4:5], v1, v9 src0_sel:BYTE_1 src1_sel:DWORD
	s_and_saveexec_b64 s[16:17], s[4:5]
	s_cbranch_execz .LBB210_93
; %bb.88:                               ;   in Loop: Header=BB210_9 Depth=1
	v_cmp_ne_u16_sdwa s[4:5], v1, s42 src0_sel:BYTE_1 src1_sel:DWORD
	buffer_store_dword v9, off, s[48:51], 0 offset:100 ; 4-byte Folded Spill
	s_nop 0
	buffer_store_dword v10, off, s[48:51], 0 offset:104 ; 4-byte Folded Spill
	s_and_saveexec_b64 s[34:35], s[4:5]
	s_cbranch_execz .LBB210_92
; %bb.89:                               ;   in Loop: Header=BB210_9 Depth=1
	v_and_b32_sdwa v2, v1, s43 dst_sel:DWORD dst_unused:UNUSED_PAD src0_sel:BYTE_1 src1_sel:DWORD
	v_cmp_ne_u32_e64 s[4:5], s43, v2
	v_mov_b32_e32 v7, v9
	buffer_store_dword v7, off, s[48:51], 0 offset:100 ; 4-byte Folded Spill
	s_nop 0
	buffer_store_dword v8, off, s[48:51], 0 offset:104 ; 4-byte Folded Spill
	s_and_saveexec_b64 s[36:37], s[4:5]
	s_cbranch_execz .LBB210_91
; %bb.90:                               ;   in Loop: Header=BB210_9 Depth=1
	v_mov_b32_e32 v0, 7
	v_and_b32_sdwa v3, v1, v0 dst_sel:DWORD dst_unused:UNUSED_PAD src0_sel:BYTE_1 src1_sel:DWORD
	v_lshrrev_b32_e32 v0, 3, v2
	v_cmp_gt_u32_e64 s[4:5], 8, v2
	v_ffbh_u32_e32 v2, v3
	v_min_u32_e32 v2, 32, v2
	v_mov_b32_e32 v4, v9
	v_subrev_u32_e32 v5, 28, v2
	v_lshlrev_b64 v[4:5], v5, v[3:4]
	v_sub_u32_e32 v2, 29, v2
	v_and_b32_e32 v4, 7, v4
	v_cndmask_b32_e64 v0, v0, v2, s[4:5]
	v_cndmask_b32_e64 v2, v3, v4, s[4:5]
	v_bfrev_b32_e32 v3, 60
	v_lshlrev_b32_e32 v1, 16, v1
	v_lshl_add_u32 v0, v0, 23, v3
	v_and_or_b32 v0, v1, s44, v0
	v_lshlrev_b32_e32 v1, 20, v2
	v_or_b32_e32 v1, v0, v1
	v_mov_b32_e32 v0, v9
	buffer_store_dword v0, off, s[48:51], 0 offset:100 ; 4-byte Folded Spill
	s_nop 0
	buffer_store_dword v1, off, s[48:51], 0 offset:104 ; 4-byte Folded Spill
.LBB210_91:                             ;   in Loop: Header=BB210_9 Depth=1
	s_or_b64 exec, exec, s[36:37]
.LBB210_92:                             ;   in Loop: Header=BB210_9 Depth=1
	s_or_b64 exec, exec, s[34:35]
.LBB210_93:                             ;   in Loop: Header=BB210_9 Depth=1
	s_or_b64 exec, exec, s[16:17]
	global_load_ushort v0, v[57:58], off offset:524
	v_mov_b32_e32 v2, 0
	v_mov_b32_e32 v3, 0
	buffer_store_dword v2, off, s[48:51], 0 offset:116 ; 4-byte Folded Spill
	s_nop 0
	buffer_store_dword v3, off, s[48:51], 0 offset:120 ; 4-byte Folded Spill
	v_mov_b32_e32 v2, 0
	v_mov_b32_e32 v3, 0
	buffer_store_dword v2, off, s[48:51], 0 offset:108 ; 4-byte Folded Spill
	s_nop 0
	buffer_store_dword v3, off, s[48:51], 0 offset:112 ; 4-byte Folded Spill
	s_waitcnt vmcnt(4)
	v_and_b32_e32 v1, 0xffff, v0
	v_cmp_ne_u16_sdwa s[4:5], v0, v9 src0_sel:BYTE_0 src1_sel:DWORD
	s_and_saveexec_b64 s[16:17], s[4:5]
	s_cbranch_execz .LBB210_99
; %bb.94:                               ;   in Loop: Header=BB210_9 Depth=1
	v_bfrev_b32_e32 v2, 1
	v_mov_b32_e32 v3, 0
	v_cmp_ne_u16_sdwa s[4:5], v1, s42 src0_sel:BYTE_0 src1_sel:DWORD
	buffer_store_dword v2, off, s[48:51], 0 offset:108 ; 4-byte Folded Spill
	s_nop 0
	buffer_store_dword v3, off, s[48:51], 0 offset:112 ; 4-byte Folded Spill
	s_and_saveexec_b64 s[34:35], s[4:5]
	s_cbranch_execz .LBB210_98
; %bb.95:                               ;   in Loop: Header=BB210_9 Depth=1
	v_and_b32_e32 v0, 0x7f, v1
	v_mov_b32_e32 v2, 0x7f800001
	v_mov_b32_e32 v3, 0
	v_cmp_ne_u32_e64 s[4:5], s43, v0
	buffer_store_dword v2, off, s[48:51], 0 offset:108 ; 4-byte Folded Spill
	s_nop 0
	buffer_store_dword v3, off, s[48:51], 0 offset:112 ; 4-byte Folded Spill
	s_and_saveexec_b64 s[36:37], s[4:5]
	s_cbranch_execz .LBB210_97
; %bb.96:                               ;   in Loop: Header=BB210_9 Depth=1
	v_and_b32_e32 v4, 7, v1
	v_lshrrev_b32_e32 v5, 3, v0
	v_cmp_gt_u32_e64 s[4:5], 8, v0
	v_ffbh_u32_e32 v0, v4
	v_min_u32_e32 v0, 32, v0
	v_subrev_u32_e32 v2, 28, v0
	v_lshlrev_b64 v[2:3], v2, v[1:2]
	v_sub_u32_e32 v0, 29, v0
	v_and_b32_e32 v2, 7, v2
	v_cndmask_b32_e64 v0, v5, v0, s[4:5]
	v_cndmask_b32_e64 v2, v4, v2, s[4:5]
	v_bfrev_b32_e32 v4, 60
	v_lshlrev_b32_e32 v2, 20, v2
	v_and_b32_sdwa v3, sext(v1), s44 dst_sel:DWORD dst_unused:UNUSED_PAD src0_sel:BYTE_0 src1_sel:DWORD
	v_lshl_add_u32 v0, v0, 23, v4
	v_or3_b32 v2, v3, v0, v2
	v_mov_b32_e32 v3, v9
	buffer_store_dword v2, off, s[48:51], 0 offset:108 ; 4-byte Folded Spill
	s_nop 0
	buffer_store_dword v3, off, s[48:51], 0 offset:112 ; 4-byte Folded Spill
.LBB210_97:                             ;   in Loop: Header=BB210_9 Depth=1
	s_or_b64 exec, exec, s[36:37]
.LBB210_98:                             ;   in Loop: Header=BB210_9 Depth=1
	s_or_b64 exec, exec, s[34:35]
.LBB210_99:                             ;   in Loop: Header=BB210_9 Depth=1
	s_or_b64 exec, exec, s[16:17]
	v_cmp_ne_u16_sdwa s[4:5], v1, v9 src0_sel:BYTE_1 src1_sel:DWORD
	s_and_saveexec_b64 s[16:17], s[4:5]
	s_cbranch_execz .LBB210_105
; %bb.100:                              ;   in Loop: Header=BB210_9 Depth=1
	v_cmp_ne_u16_sdwa s[4:5], v1, s42 src0_sel:BYTE_1 src1_sel:DWORD
	buffer_store_dword v9, off, s[48:51], 0 offset:116 ; 4-byte Folded Spill
	s_nop 0
	buffer_store_dword v10, off, s[48:51], 0 offset:120 ; 4-byte Folded Spill
	s_and_saveexec_b64 s[34:35], s[4:5]
	s_cbranch_execz .LBB210_104
; %bb.101:                              ;   in Loop: Header=BB210_9 Depth=1
	v_and_b32_sdwa v2, v1, s43 dst_sel:DWORD dst_unused:UNUSED_PAD src0_sel:BYTE_1 src1_sel:DWORD
	v_cmp_ne_u32_e64 s[4:5], s43, v2
	v_mov_b32_e32 v7, v9
	buffer_store_dword v7, off, s[48:51], 0 offset:116 ; 4-byte Folded Spill
	s_nop 0
	buffer_store_dword v8, off, s[48:51], 0 offset:120 ; 4-byte Folded Spill
	s_and_saveexec_b64 s[36:37], s[4:5]
	s_cbranch_execz .LBB210_103
; %bb.102:                              ;   in Loop: Header=BB210_9 Depth=1
	v_mov_b32_e32 v0, 7
	v_and_b32_sdwa v3, v1, v0 dst_sel:DWORD dst_unused:UNUSED_PAD src0_sel:BYTE_1 src1_sel:DWORD
	v_lshrrev_b32_e32 v0, 3, v2
	v_cmp_gt_u32_e64 s[4:5], 8, v2
	v_ffbh_u32_e32 v2, v3
	v_min_u32_e32 v2, 32, v2
	v_mov_b32_e32 v4, v9
	v_subrev_u32_e32 v5, 28, v2
	v_lshlrev_b64 v[4:5], v5, v[3:4]
	v_sub_u32_e32 v2, 29, v2
	v_and_b32_e32 v4, 7, v4
	v_cndmask_b32_e64 v0, v0, v2, s[4:5]
	v_cndmask_b32_e64 v2, v3, v4, s[4:5]
	v_bfrev_b32_e32 v3, 60
	v_lshlrev_b32_e32 v1, 16, v1
	v_lshl_add_u32 v0, v0, 23, v3
	v_and_or_b32 v0, v1, s44, v0
	v_lshlrev_b32_e32 v1, 20, v2
	v_or_b32_e32 v1, v0, v1
	v_mov_b32_e32 v0, v9
	buffer_store_dword v0, off, s[48:51], 0 offset:116 ; 4-byte Folded Spill
	s_nop 0
	buffer_store_dword v1, off, s[48:51], 0 offset:120 ; 4-byte Folded Spill
.LBB210_103:                            ;   in Loop: Header=BB210_9 Depth=1
	s_or_b64 exec, exec, s[36:37]
.LBB210_104:                            ;   in Loop: Header=BB210_9 Depth=1
	s_or_b64 exec, exec, s[34:35]
.LBB210_105:                            ;   in Loop: Header=BB210_9 Depth=1
	s_or_b64 exec, exec, s[16:17]
	global_load_ushort v0, v[57:58], off offset:1024
	v_mov_b32_e32 v21, 0
	v_mov_b32_e32 v19, 0
	;; [unrolled: 1-line block ×4, first 2 shown]
	s_waitcnt vmcnt(0)
	v_and_b32_e32 v1, 0xffff, v0
	v_cmp_ne_u16_sdwa s[4:5], v0, v9 src0_sel:BYTE_0 src1_sel:DWORD
	s_and_saveexec_b64 s[16:17], s[4:5]
	s_cbranch_execz .LBB210_111
; %bb.106:                              ;   in Loop: Header=BB210_9 Depth=1
	v_bfrev_b32_e32 v19, 1
	v_mov_b32_e32 v20, 0
	v_cmp_ne_u16_sdwa s[4:5], v1, s42 src0_sel:BYTE_0 src1_sel:DWORD
	s_and_saveexec_b64 s[34:35], s[4:5]
	s_cbranch_execz .LBB210_110
; %bb.107:                              ;   in Loop: Header=BB210_9 Depth=1
	v_and_b32_e32 v0, 0x7f, v1
	v_mov_b32_e32 v19, 0x7f800001
	v_mov_b32_e32 v20, 0
	v_cmp_ne_u32_e64 s[4:5], s43, v0
	s_and_saveexec_b64 s[36:37], s[4:5]
	s_cbranch_execz .LBB210_109
; %bb.108:                              ;   in Loop: Header=BB210_9 Depth=1
	v_and_b32_e32 v4, 7, v1
	v_lshrrev_b32_e32 v5, 3, v0
	v_cmp_gt_u32_e64 s[4:5], 8, v0
	v_ffbh_u32_e32 v0, v4
	v_min_u32_e32 v0, 32, v0
	v_subrev_u32_e32 v2, 28, v0
	v_lshlrev_b64 v[2:3], v2, v[1:2]
	v_sub_u32_e32 v0, 29, v0
	v_and_b32_e32 v2, 7, v2
	v_cndmask_b32_e64 v0, v5, v0, s[4:5]
	v_cndmask_b32_e64 v2, v4, v2, s[4:5]
	v_bfrev_b32_e32 v4, 60
	v_lshlrev_b32_e32 v2, 20, v2
	v_and_b32_sdwa v3, sext(v1), s44 dst_sel:DWORD dst_unused:UNUSED_PAD src0_sel:BYTE_0 src1_sel:DWORD
	v_lshl_add_u32 v0, v0, 23, v4
	v_or3_b32 v19, v3, v0, v2
	v_mov_b32_e32 v20, v9
.LBB210_109:                            ;   in Loop: Header=BB210_9 Depth=1
	s_or_b64 exec, exec, s[36:37]
.LBB210_110:                            ;   in Loop: Header=BB210_9 Depth=1
	s_or_b64 exec, exec, s[34:35]
.LBB210_111:                            ;   in Loop: Header=BB210_9 Depth=1
	s_or_b64 exec, exec, s[16:17]
	v_cmp_ne_u16_sdwa s[4:5], v1, v9 src0_sel:BYTE_1 src1_sel:DWORD
	s_and_saveexec_b64 s[16:17], s[4:5]
	s_cbranch_execz .LBB210_117
; %bb.112:                              ;   in Loop: Header=BB210_9 Depth=1
	v_mov_b32_e32 v22, v10
	v_cmp_ne_u16_sdwa s[4:5], v1, s42 src0_sel:BYTE_1 src1_sel:DWORD
	v_mov_b32_e32 v21, v9
	s_and_saveexec_b64 s[34:35], s[4:5]
	s_cbranch_execz .LBB210_116
; %bb.113:                              ;   in Loop: Header=BB210_9 Depth=1
	v_and_b32_sdwa v2, v1, s43 dst_sel:DWORD dst_unused:UNUSED_PAD src0_sel:BYTE_1 src1_sel:DWORD
	v_mov_b32_e32 v7, v9
	v_mov_b32_e32 v22, v8
	v_cmp_ne_u32_e64 s[4:5], s43, v2
	v_mov_b32_e32 v21, v7
	s_and_saveexec_b64 s[36:37], s[4:5]
	s_cbranch_execz .LBB210_115
; %bb.114:                              ;   in Loop: Header=BB210_9 Depth=1
	v_mov_b32_e32 v0, 7
	v_and_b32_sdwa v3, v1, v0 dst_sel:DWORD dst_unused:UNUSED_PAD src0_sel:BYTE_1 src1_sel:DWORD
	v_lshrrev_b32_e32 v0, 3, v2
	v_cmp_gt_u32_e64 s[4:5], 8, v2
	v_ffbh_u32_e32 v2, v3
	v_min_u32_e32 v2, 32, v2
	v_mov_b32_e32 v4, v9
	v_subrev_u32_e32 v5, 28, v2
	v_lshlrev_b64 v[4:5], v5, v[3:4]
	v_sub_u32_e32 v2, 29, v2
	v_and_b32_e32 v4, 7, v4
	v_cndmask_b32_e64 v0, v0, v2, s[4:5]
	v_cndmask_b32_e64 v2, v3, v4, s[4:5]
	v_bfrev_b32_e32 v3, 60
	v_lshlrev_b32_e32 v1, 16, v1
	v_lshl_add_u32 v0, v0, 23, v3
	v_and_or_b32 v0, v1, s44, v0
	v_lshlrev_b32_e32 v1, 20, v2
	v_or_b32_e32 v22, v0, v1
	v_mov_b32_e32 v21, v9
.LBB210_115:                            ;   in Loop: Header=BB210_9 Depth=1
	s_or_b64 exec, exec, s[36:37]
.LBB210_116:                            ;   in Loop: Header=BB210_9 Depth=1
	s_or_b64 exec, exec, s[34:35]
.LBB210_117:                            ;   in Loop: Header=BB210_9 Depth=1
	s_or_b64 exec, exec, s[16:17]
	global_load_ushort v0, v[57:58], off offset:1028
	v_mov_b32_e32 v25, 0
	v_mov_b32_e32 v23, 0
	;; [unrolled: 1-line block ×4, first 2 shown]
	s_waitcnt vmcnt(0)
	v_and_b32_e32 v1, 0xffff, v0
	v_cmp_ne_u16_sdwa s[4:5], v0, v9 src0_sel:BYTE_0 src1_sel:DWORD
	s_and_saveexec_b64 s[16:17], s[4:5]
	s_cbranch_execz .LBB210_123
; %bb.118:                              ;   in Loop: Header=BB210_9 Depth=1
	v_bfrev_b32_e32 v23, 1
	v_mov_b32_e32 v24, 0
	v_cmp_ne_u16_sdwa s[4:5], v1, s42 src0_sel:BYTE_0 src1_sel:DWORD
	s_and_saveexec_b64 s[34:35], s[4:5]
	s_cbranch_execz .LBB210_122
; %bb.119:                              ;   in Loop: Header=BB210_9 Depth=1
	v_and_b32_e32 v0, 0x7f, v1
	v_mov_b32_e32 v23, 0x7f800001
	v_mov_b32_e32 v24, 0
	v_cmp_ne_u32_e64 s[4:5], s43, v0
	s_and_saveexec_b64 s[36:37], s[4:5]
	s_cbranch_execz .LBB210_121
; %bb.120:                              ;   in Loop: Header=BB210_9 Depth=1
	v_and_b32_e32 v4, 7, v1
	v_lshrrev_b32_e32 v5, 3, v0
	v_cmp_gt_u32_e64 s[4:5], 8, v0
	v_ffbh_u32_e32 v0, v4
	v_min_u32_e32 v0, 32, v0
	v_subrev_u32_e32 v2, 28, v0
	v_lshlrev_b64 v[2:3], v2, v[1:2]
	v_sub_u32_e32 v0, 29, v0
	v_and_b32_e32 v2, 7, v2
	v_cndmask_b32_e64 v0, v5, v0, s[4:5]
	v_cndmask_b32_e64 v2, v4, v2, s[4:5]
	v_bfrev_b32_e32 v4, 60
	v_lshlrev_b32_e32 v2, 20, v2
	v_and_b32_sdwa v3, sext(v1), s44 dst_sel:DWORD dst_unused:UNUSED_PAD src0_sel:BYTE_0 src1_sel:DWORD
	v_lshl_add_u32 v0, v0, 23, v4
	v_or3_b32 v23, v3, v0, v2
	v_mov_b32_e32 v24, v9
.LBB210_121:                            ;   in Loop: Header=BB210_9 Depth=1
	s_or_b64 exec, exec, s[36:37]
.LBB210_122:                            ;   in Loop: Header=BB210_9 Depth=1
	s_or_b64 exec, exec, s[34:35]
.LBB210_123:                            ;   in Loop: Header=BB210_9 Depth=1
	s_or_b64 exec, exec, s[16:17]
	v_cmp_ne_u16_sdwa s[4:5], v1, v9 src0_sel:BYTE_1 src1_sel:DWORD
	s_and_saveexec_b64 s[16:17], s[4:5]
	s_cbranch_execz .LBB210_129
; %bb.124:                              ;   in Loop: Header=BB210_9 Depth=1
	v_mov_b32_e32 v26, v10
	v_cmp_ne_u16_sdwa s[4:5], v1, s42 src0_sel:BYTE_1 src1_sel:DWORD
	v_mov_b32_e32 v25, v9
	s_and_saveexec_b64 s[34:35], s[4:5]
	s_cbranch_execz .LBB210_128
; %bb.125:                              ;   in Loop: Header=BB210_9 Depth=1
	v_and_b32_sdwa v2, v1, s43 dst_sel:DWORD dst_unused:UNUSED_PAD src0_sel:BYTE_1 src1_sel:DWORD
	v_mov_b32_e32 v7, v9
	v_mov_b32_e32 v26, v8
	v_cmp_ne_u32_e64 s[4:5], s43, v2
	v_mov_b32_e32 v25, v7
	s_and_saveexec_b64 s[36:37], s[4:5]
	s_cbranch_execz .LBB210_127
; %bb.126:                              ;   in Loop: Header=BB210_9 Depth=1
	v_mov_b32_e32 v0, 7
	v_and_b32_sdwa v3, v1, v0 dst_sel:DWORD dst_unused:UNUSED_PAD src0_sel:BYTE_1 src1_sel:DWORD
	v_lshrrev_b32_e32 v0, 3, v2
	v_cmp_gt_u32_e64 s[4:5], 8, v2
	v_ffbh_u32_e32 v2, v3
	v_min_u32_e32 v2, 32, v2
	v_mov_b32_e32 v4, v9
	v_subrev_u32_e32 v5, 28, v2
	v_lshlrev_b64 v[4:5], v5, v[3:4]
	v_sub_u32_e32 v2, 29, v2
	v_and_b32_e32 v4, 7, v4
	v_cndmask_b32_e64 v0, v0, v2, s[4:5]
	v_cndmask_b32_e64 v2, v3, v4, s[4:5]
	v_bfrev_b32_e32 v3, 60
	v_lshlrev_b32_e32 v1, 16, v1
	v_lshl_add_u32 v0, v0, 23, v3
	v_and_or_b32 v0, v1, s44, v0
	v_lshlrev_b32_e32 v1, 20, v2
	v_or_b32_e32 v26, v0, v1
	v_mov_b32_e32 v25, v9
.LBB210_127:                            ;   in Loop: Header=BB210_9 Depth=1
	s_or_b64 exec, exec, s[36:37]
.LBB210_128:                            ;   in Loop: Header=BB210_9 Depth=1
	s_or_b64 exec, exec, s[34:35]
.LBB210_129:                            ;   in Loop: Header=BB210_9 Depth=1
	s_or_b64 exec, exec, s[16:17]
	global_load_ushort v0, v[57:58], off offset:1032
	v_mov_b32_e32 v29, 0
	v_mov_b32_e32 v27, 0
	;; [unrolled: 1-line block ×4, first 2 shown]
	s_waitcnt vmcnt(0)
	v_and_b32_e32 v1, 0xffff, v0
	v_cmp_ne_u16_sdwa s[4:5], v0, v9 src0_sel:BYTE_0 src1_sel:DWORD
	s_and_saveexec_b64 s[16:17], s[4:5]
	s_cbranch_execz .LBB210_135
; %bb.130:                              ;   in Loop: Header=BB210_9 Depth=1
	v_bfrev_b32_e32 v27, 1
	v_mov_b32_e32 v28, 0
	v_cmp_ne_u16_sdwa s[4:5], v1, s42 src0_sel:BYTE_0 src1_sel:DWORD
	s_and_saveexec_b64 s[34:35], s[4:5]
	s_cbranch_execz .LBB210_134
; %bb.131:                              ;   in Loop: Header=BB210_9 Depth=1
	v_and_b32_e32 v0, 0x7f, v1
	v_mov_b32_e32 v27, 0x7f800001
	v_mov_b32_e32 v28, 0
	v_cmp_ne_u32_e64 s[4:5], s43, v0
	s_and_saveexec_b64 s[36:37], s[4:5]
	s_cbranch_execz .LBB210_133
; %bb.132:                              ;   in Loop: Header=BB210_9 Depth=1
	v_and_b32_e32 v4, 7, v1
	v_lshrrev_b32_e32 v5, 3, v0
	v_cmp_gt_u32_e64 s[4:5], 8, v0
	v_ffbh_u32_e32 v0, v4
	v_min_u32_e32 v0, 32, v0
	v_subrev_u32_e32 v2, 28, v0
	v_lshlrev_b64 v[2:3], v2, v[1:2]
	v_sub_u32_e32 v0, 29, v0
	v_and_b32_e32 v2, 7, v2
	v_cndmask_b32_e64 v0, v5, v0, s[4:5]
	v_cndmask_b32_e64 v2, v4, v2, s[4:5]
	v_bfrev_b32_e32 v4, 60
	v_lshlrev_b32_e32 v2, 20, v2
	v_and_b32_sdwa v3, sext(v1), s44 dst_sel:DWORD dst_unused:UNUSED_PAD src0_sel:BYTE_0 src1_sel:DWORD
	v_lshl_add_u32 v0, v0, 23, v4
	v_or3_b32 v27, v3, v0, v2
	v_mov_b32_e32 v28, v9
.LBB210_133:                            ;   in Loop: Header=BB210_9 Depth=1
	s_or_b64 exec, exec, s[36:37]
.LBB210_134:                            ;   in Loop: Header=BB210_9 Depth=1
	s_or_b64 exec, exec, s[34:35]
.LBB210_135:                            ;   in Loop: Header=BB210_9 Depth=1
	s_or_b64 exec, exec, s[16:17]
	v_cmp_ne_u16_sdwa s[4:5], v1, v9 src0_sel:BYTE_1 src1_sel:DWORD
	s_and_saveexec_b64 s[16:17], s[4:5]
	s_cbranch_execz .LBB210_141
; %bb.136:                              ;   in Loop: Header=BB210_9 Depth=1
	v_mov_b32_e32 v30, v10
	v_cmp_ne_u16_sdwa s[4:5], v1, s42 src0_sel:BYTE_1 src1_sel:DWORD
	v_mov_b32_e32 v29, v9
	s_and_saveexec_b64 s[34:35], s[4:5]
	s_cbranch_execz .LBB210_140
; %bb.137:                              ;   in Loop: Header=BB210_9 Depth=1
	v_and_b32_sdwa v2, v1, s43 dst_sel:DWORD dst_unused:UNUSED_PAD src0_sel:BYTE_1 src1_sel:DWORD
	v_mov_b32_e32 v7, v9
	v_mov_b32_e32 v30, v8
	v_cmp_ne_u32_e64 s[4:5], s43, v2
	v_mov_b32_e32 v29, v7
	s_and_saveexec_b64 s[36:37], s[4:5]
	s_cbranch_execz .LBB210_139
; %bb.138:                              ;   in Loop: Header=BB210_9 Depth=1
	v_mov_b32_e32 v0, 7
	v_and_b32_sdwa v3, v1, v0 dst_sel:DWORD dst_unused:UNUSED_PAD src0_sel:BYTE_1 src1_sel:DWORD
	v_lshrrev_b32_e32 v0, 3, v2
	v_cmp_gt_u32_e64 s[4:5], 8, v2
	v_ffbh_u32_e32 v2, v3
	v_min_u32_e32 v2, 32, v2
	v_mov_b32_e32 v4, v9
	v_subrev_u32_e32 v5, 28, v2
	v_lshlrev_b64 v[4:5], v5, v[3:4]
	v_sub_u32_e32 v2, 29, v2
	v_and_b32_e32 v4, 7, v4
	v_cndmask_b32_e64 v0, v0, v2, s[4:5]
	v_cndmask_b32_e64 v2, v3, v4, s[4:5]
	v_bfrev_b32_e32 v3, 60
	v_lshlrev_b32_e32 v1, 16, v1
	v_lshl_add_u32 v0, v0, 23, v3
	v_and_or_b32 v0, v1, s44, v0
	v_lshlrev_b32_e32 v1, 20, v2
	v_or_b32_e32 v30, v0, v1
	v_mov_b32_e32 v29, v9
.LBB210_139:                            ;   in Loop: Header=BB210_9 Depth=1
	s_or_b64 exec, exec, s[36:37]
.LBB210_140:                            ;   in Loop: Header=BB210_9 Depth=1
	s_or_b64 exec, exec, s[34:35]
.LBB210_141:                            ;   in Loop: Header=BB210_9 Depth=1
	s_or_b64 exec, exec, s[16:17]
	global_load_ushort v0, v[57:58], off offset:1036
	v_mov_b32_e32 v15, 0
	v_mov_b32_e32 v17, 0
	;; [unrolled: 1-line block ×4, first 2 shown]
	s_waitcnt vmcnt(0)
	v_and_b32_e32 v1, 0xffff, v0
	v_cmp_ne_u16_sdwa s[4:5], v0, v9 src0_sel:BYTE_0 src1_sel:DWORD
	s_and_saveexec_b64 s[16:17], s[4:5]
	s_cbranch_execz .LBB210_147
; %bb.142:                              ;   in Loop: Header=BB210_9 Depth=1
	v_bfrev_b32_e32 v17, 1
	v_mov_b32_e32 v18, 0
	v_cmp_ne_u16_sdwa s[4:5], v1, s42 src0_sel:BYTE_0 src1_sel:DWORD
	s_and_saveexec_b64 s[34:35], s[4:5]
	s_cbranch_execz .LBB210_146
; %bb.143:                              ;   in Loop: Header=BB210_9 Depth=1
	v_and_b32_e32 v0, 0x7f, v1
	v_mov_b32_e32 v17, 0x7f800001
	v_mov_b32_e32 v18, 0
	v_cmp_ne_u32_e64 s[4:5], s43, v0
	s_and_saveexec_b64 s[36:37], s[4:5]
	s_cbranch_execz .LBB210_145
; %bb.144:                              ;   in Loop: Header=BB210_9 Depth=1
	v_and_b32_e32 v4, 7, v1
	v_lshrrev_b32_e32 v5, 3, v0
	v_cmp_gt_u32_e64 s[4:5], 8, v0
	v_ffbh_u32_e32 v0, v4
	v_min_u32_e32 v0, 32, v0
	v_subrev_u32_e32 v2, 28, v0
	v_lshlrev_b64 v[2:3], v2, v[1:2]
	v_sub_u32_e32 v0, 29, v0
	v_and_b32_e32 v2, 7, v2
	v_cndmask_b32_e64 v0, v5, v0, s[4:5]
	v_cndmask_b32_e64 v2, v4, v2, s[4:5]
	v_bfrev_b32_e32 v4, 60
	v_lshlrev_b32_e32 v2, 20, v2
	v_and_b32_sdwa v3, sext(v1), s44 dst_sel:DWORD dst_unused:UNUSED_PAD src0_sel:BYTE_0 src1_sel:DWORD
	v_lshl_add_u32 v0, v0, 23, v4
	v_or3_b32 v17, v3, v0, v2
	v_mov_b32_e32 v18, v9
.LBB210_145:                            ;   in Loop: Header=BB210_9 Depth=1
	s_or_b64 exec, exec, s[36:37]
.LBB210_146:                            ;   in Loop: Header=BB210_9 Depth=1
	s_or_b64 exec, exec, s[34:35]
.LBB210_147:                            ;   in Loop: Header=BB210_9 Depth=1
	s_or_b64 exec, exec, s[16:17]
	v_cmp_ne_u16_sdwa s[4:5], v1, v9 src0_sel:BYTE_1 src1_sel:DWORD
	s_and_saveexec_b64 s[16:17], s[4:5]
	s_cbranch_execz .LBB210_153
; %bb.148:                              ;   in Loop: Header=BB210_9 Depth=1
	v_mov_b32_e32 v16, v10
	v_cmp_ne_u16_sdwa s[4:5], v1, s42 src0_sel:BYTE_1 src1_sel:DWORD
	v_mov_b32_e32 v15, v9
	s_and_saveexec_b64 s[34:35], s[4:5]
	s_cbranch_execz .LBB210_152
; %bb.149:                              ;   in Loop: Header=BB210_9 Depth=1
	v_and_b32_sdwa v2, v1, s43 dst_sel:DWORD dst_unused:UNUSED_PAD src0_sel:BYTE_1 src1_sel:DWORD
	v_mov_b32_e32 v7, v9
	v_mov_b32_e32 v16, v8
	v_cmp_ne_u32_e64 s[4:5], s43, v2
	v_mov_b32_e32 v15, v7
	s_and_saveexec_b64 s[36:37], s[4:5]
	s_cbranch_execz .LBB210_151
; %bb.150:                              ;   in Loop: Header=BB210_9 Depth=1
	v_mov_b32_e32 v0, 7
	v_and_b32_sdwa v3, v1, v0 dst_sel:DWORD dst_unused:UNUSED_PAD src0_sel:BYTE_1 src1_sel:DWORD
	v_lshrrev_b32_e32 v0, 3, v2
	v_cmp_gt_u32_e64 s[4:5], 8, v2
	v_ffbh_u32_e32 v2, v3
	v_min_u32_e32 v2, 32, v2
	v_mov_b32_e32 v4, v9
	v_subrev_u32_e32 v5, 28, v2
	v_lshlrev_b64 v[4:5], v5, v[3:4]
	v_sub_u32_e32 v2, 29, v2
	v_and_b32_e32 v4, 7, v4
	v_cndmask_b32_e64 v0, v0, v2, s[4:5]
	v_cndmask_b32_e64 v2, v3, v4, s[4:5]
	v_bfrev_b32_e32 v3, 60
	v_lshlrev_b32_e32 v1, 16, v1
	v_lshl_add_u32 v0, v0, 23, v3
	v_and_or_b32 v0, v1, s44, v0
	v_lshlrev_b32_e32 v1, 20, v2
	v_or_b32_e32 v16, v0, v1
	v_mov_b32_e32 v15, v9
.LBB210_151:                            ;   in Loop: Header=BB210_9 Depth=1
	s_or_b64 exec, exec, s[36:37]
.LBB210_152:                            ;   in Loop: Header=BB210_9 Depth=1
	s_or_b64 exec, exec, s[34:35]
.LBB210_153:                            ;   in Loop: Header=BB210_9 Depth=1
	s_or_b64 exec, exec, s[16:17]
	global_load_ushort v0, v[57:58], off offset:1536
	v_mov_b32_e32 v37, 0
	v_mov_b32_e32 v35, 0
	;; [unrolled: 1-line block ×4, first 2 shown]
	s_waitcnt vmcnt(0)
	v_and_b32_e32 v1, 0xffff, v0
	v_cmp_ne_u16_sdwa s[4:5], v0, v9 src0_sel:BYTE_0 src1_sel:DWORD
	s_and_saveexec_b64 s[16:17], s[4:5]
	s_cbranch_execz .LBB210_159
; %bb.154:                              ;   in Loop: Header=BB210_9 Depth=1
	v_bfrev_b32_e32 v35, 1
	v_mov_b32_e32 v36, 0
	v_cmp_ne_u16_sdwa s[4:5], v1, s42 src0_sel:BYTE_0 src1_sel:DWORD
	s_and_saveexec_b64 s[34:35], s[4:5]
	s_cbranch_execz .LBB210_158
; %bb.155:                              ;   in Loop: Header=BB210_9 Depth=1
	v_and_b32_e32 v0, 0x7f, v1
	v_mov_b32_e32 v35, 0x7f800001
	v_mov_b32_e32 v36, 0
	v_cmp_ne_u32_e64 s[4:5], s43, v0
	s_and_saveexec_b64 s[36:37], s[4:5]
	s_cbranch_execz .LBB210_157
; %bb.156:                              ;   in Loop: Header=BB210_9 Depth=1
	v_and_b32_e32 v4, 7, v1
	v_lshrrev_b32_e32 v5, 3, v0
	v_cmp_gt_u32_e64 s[4:5], 8, v0
	v_ffbh_u32_e32 v0, v4
	v_min_u32_e32 v0, 32, v0
	v_subrev_u32_e32 v2, 28, v0
	v_lshlrev_b64 v[2:3], v2, v[1:2]
	v_sub_u32_e32 v0, 29, v0
	v_and_b32_e32 v2, 7, v2
	v_cndmask_b32_e64 v0, v5, v0, s[4:5]
	v_cndmask_b32_e64 v2, v4, v2, s[4:5]
	v_bfrev_b32_e32 v4, 60
	v_lshlrev_b32_e32 v2, 20, v2
	v_and_b32_sdwa v3, sext(v1), s44 dst_sel:DWORD dst_unused:UNUSED_PAD src0_sel:BYTE_0 src1_sel:DWORD
	v_lshl_add_u32 v0, v0, 23, v4
	v_or3_b32 v35, v3, v0, v2
	v_mov_b32_e32 v36, v9
.LBB210_157:                            ;   in Loop: Header=BB210_9 Depth=1
	s_or_b64 exec, exec, s[36:37]
.LBB210_158:                            ;   in Loop: Header=BB210_9 Depth=1
	s_or_b64 exec, exec, s[34:35]
.LBB210_159:                            ;   in Loop: Header=BB210_9 Depth=1
	s_or_b64 exec, exec, s[16:17]
	v_cmp_ne_u16_sdwa s[4:5], v1, v9 src0_sel:BYTE_1 src1_sel:DWORD
	s_and_saveexec_b64 s[16:17], s[4:5]
	s_cbranch_execz .LBB210_165
; %bb.160:                              ;   in Loop: Header=BB210_9 Depth=1
	v_mov_b32_e32 v38, v10
	v_cmp_ne_u16_sdwa s[4:5], v1, s42 src0_sel:BYTE_1 src1_sel:DWORD
	v_mov_b32_e32 v37, v9
	s_and_saveexec_b64 s[34:35], s[4:5]
	s_cbranch_execz .LBB210_164
; %bb.161:                              ;   in Loop: Header=BB210_9 Depth=1
	v_and_b32_sdwa v2, v1, s43 dst_sel:DWORD dst_unused:UNUSED_PAD src0_sel:BYTE_1 src1_sel:DWORD
	v_mov_b32_e32 v7, v9
	v_mov_b32_e32 v38, v8
	v_cmp_ne_u32_e64 s[4:5], s43, v2
	v_mov_b32_e32 v37, v7
	s_and_saveexec_b64 s[36:37], s[4:5]
	s_cbranch_execz .LBB210_163
; %bb.162:                              ;   in Loop: Header=BB210_9 Depth=1
	v_mov_b32_e32 v0, 7
	v_and_b32_sdwa v3, v1, v0 dst_sel:DWORD dst_unused:UNUSED_PAD src0_sel:BYTE_1 src1_sel:DWORD
	v_lshrrev_b32_e32 v0, 3, v2
	v_cmp_gt_u32_e64 s[4:5], 8, v2
	v_ffbh_u32_e32 v2, v3
	v_min_u32_e32 v2, 32, v2
	v_mov_b32_e32 v4, v9
	v_subrev_u32_e32 v5, 28, v2
	v_lshlrev_b64 v[4:5], v5, v[3:4]
	v_sub_u32_e32 v2, 29, v2
	v_and_b32_e32 v4, 7, v4
	v_cndmask_b32_e64 v0, v0, v2, s[4:5]
	v_cndmask_b32_e64 v2, v3, v4, s[4:5]
	v_bfrev_b32_e32 v3, 60
	v_lshlrev_b32_e32 v1, 16, v1
	v_lshl_add_u32 v0, v0, 23, v3
	v_and_or_b32 v0, v1, s44, v0
	v_lshlrev_b32_e32 v1, 20, v2
	v_or_b32_e32 v38, v0, v1
	v_mov_b32_e32 v37, v9
.LBB210_163:                            ;   in Loop: Header=BB210_9 Depth=1
	s_or_b64 exec, exec, s[36:37]
.LBB210_164:                            ;   in Loop: Header=BB210_9 Depth=1
	s_or_b64 exec, exec, s[34:35]
.LBB210_165:                            ;   in Loop: Header=BB210_9 Depth=1
	s_or_b64 exec, exec, s[16:17]
	global_load_ushort v0, v[57:58], off offset:1540
	v_mov_b32_e32 v49, 0
	v_mov_b32_e32 v39, 0
	;; [unrolled: 1-line block ×4, first 2 shown]
	s_waitcnt vmcnt(0)
	v_and_b32_e32 v1, 0xffff, v0
	v_cmp_ne_u16_sdwa s[4:5], v0, v9 src0_sel:BYTE_0 src1_sel:DWORD
	s_and_saveexec_b64 s[16:17], s[4:5]
	s_cbranch_execz .LBB210_171
; %bb.166:                              ;   in Loop: Header=BB210_9 Depth=1
	v_bfrev_b32_e32 v39, 1
	v_mov_b32_e32 v40, 0
	v_cmp_ne_u16_sdwa s[4:5], v1, s42 src0_sel:BYTE_0 src1_sel:DWORD
	s_and_saveexec_b64 s[34:35], s[4:5]
	s_cbranch_execz .LBB210_170
; %bb.167:                              ;   in Loop: Header=BB210_9 Depth=1
	v_and_b32_e32 v0, 0x7f, v1
	v_mov_b32_e32 v39, 0x7f800001
	v_mov_b32_e32 v40, 0
	v_cmp_ne_u32_e64 s[4:5], s43, v0
	s_and_saveexec_b64 s[36:37], s[4:5]
	s_cbranch_execz .LBB210_169
; %bb.168:                              ;   in Loop: Header=BB210_9 Depth=1
	v_and_b32_e32 v4, 7, v1
	v_lshrrev_b32_e32 v5, 3, v0
	v_cmp_gt_u32_e64 s[4:5], 8, v0
	v_ffbh_u32_e32 v0, v4
	v_min_u32_e32 v0, 32, v0
	v_subrev_u32_e32 v2, 28, v0
	v_lshlrev_b64 v[2:3], v2, v[1:2]
	v_sub_u32_e32 v0, 29, v0
	v_and_b32_e32 v2, 7, v2
	v_cndmask_b32_e64 v0, v5, v0, s[4:5]
	v_cndmask_b32_e64 v2, v4, v2, s[4:5]
	v_bfrev_b32_e32 v4, 60
	v_lshlrev_b32_e32 v2, 20, v2
	v_and_b32_sdwa v3, sext(v1), s44 dst_sel:DWORD dst_unused:UNUSED_PAD src0_sel:BYTE_0 src1_sel:DWORD
	v_lshl_add_u32 v0, v0, 23, v4
	v_or3_b32 v39, v3, v0, v2
	v_mov_b32_e32 v40, v9
.LBB210_169:                            ;   in Loop: Header=BB210_9 Depth=1
	s_or_b64 exec, exec, s[36:37]
.LBB210_170:                            ;   in Loop: Header=BB210_9 Depth=1
	s_or_b64 exec, exec, s[34:35]
.LBB210_171:                            ;   in Loop: Header=BB210_9 Depth=1
	s_or_b64 exec, exec, s[16:17]
	v_cmp_ne_u16_sdwa s[4:5], v1, v9 src0_sel:BYTE_1 src1_sel:DWORD
	s_and_saveexec_b64 s[16:17], s[4:5]
	s_cbranch_execz .LBB210_177
; %bb.172:                              ;   in Loop: Header=BB210_9 Depth=1
	v_mov_b32_e32 v50, v10
	v_cmp_ne_u16_sdwa s[4:5], v1, s42 src0_sel:BYTE_1 src1_sel:DWORD
	v_mov_b32_e32 v49, v9
	s_and_saveexec_b64 s[34:35], s[4:5]
	s_cbranch_execz .LBB210_176
; %bb.173:                              ;   in Loop: Header=BB210_9 Depth=1
	v_and_b32_sdwa v2, v1, s43 dst_sel:DWORD dst_unused:UNUSED_PAD src0_sel:BYTE_1 src1_sel:DWORD
	v_mov_b32_e32 v7, v9
	v_mov_b32_e32 v50, v8
	v_cmp_ne_u32_e64 s[4:5], s43, v2
	v_mov_b32_e32 v49, v7
	s_and_saveexec_b64 s[36:37], s[4:5]
	s_cbranch_execz .LBB210_175
; %bb.174:                              ;   in Loop: Header=BB210_9 Depth=1
	v_mov_b32_e32 v0, 7
	v_and_b32_sdwa v3, v1, v0 dst_sel:DWORD dst_unused:UNUSED_PAD src0_sel:BYTE_1 src1_sel:DWORD
	v_lshrrev_b32_e32 v0, 3, v2
	v_cmp_gt_u32_e64 s[4:5], 8, v2
	v_ffbh_u32_e32 v2, v3
	v_min_u32_e32 v2, 32, v2
	v_mov_b32_e32 v4, v9
	v_subrev_u32_e32 v5, 28, v2
	v_lshlrev_b64 v[4:5], v5, v[3:4]
	v_sub_u32_e32 v2, 29, v2
	v_and_b32_e32 v4, 7, v4
	v_cndmask_b32_e64 v0, v0, v2, s[4:5]
	v_cndmask_b32_e64 v2, v3, v4, s[4:5]
	v_bfrev_b32_e32 v3, 60
	v_lshlrev_b32_e32 v1, 16, v1
	v_lshl_add_u32 v0, v0, 23, v3
	v_and_or_b32 v0, v1, s44, v0
	v_lshlrev_b32_e32 v1, 20, v2
	v_or_b32_e32 v50, v0, v1
	v_mov_b32_e32 v49, v9
.LBB210_175:                            ;   in Loop: Header=BB210_9 Depth=1
	s_or_b64 exec, exec, s[36:37]
.LBB210_176:                            ;   in Loop: Header=BB210_9 Depth=1
	s_or_b64 exec, exec, s[34:35]
.LBB210_177:                            ;   in Loop: Header=BB210_9 Depth=1
	s_or_b64 exec, exec, s[16:17]
	global_load_ushort v0, v[57:58], off offset:1544
	v_mov_b32_e32 v47, 0
	v_mov_b32_e32 v51, 0
	;; [unrolled: 1-line block ×4, first 2 shown]
	s_waitcnt vmcnt(0)
	v_and_b32_e32 v1, 0xffff, v0
	v_cmp_ne_u16_sdwa s[4:5], v0, v9 src0_sel:BYTE_0 src1_sel:DWORD
	s_and_saveexec_b64 s[16:17], s[4:5]
	s_cbranch_execz .LBB210_183
; %bb.178:                              ;   in Loop: Header=BB210_9 Depth=1
	v_bfrev_b32_e32 v51, 1
	v_mov_b32_e32 v52, 0
	v_cmp_ne_u16_sdwa s[4:5], v1, s42 src0_sel:BYTE_0 src1_sel:DWORD
	s_and_saveexec_b64 s[34:35], s[4:5]
	s_cbranch_execz .LBB210_182
; %bb.179:                              ;   in Loop: Header=BB210_9 Depth=1
	v_and_b32_e32 v0, 0x7f, v1
	v_mov_b32_e32 v51, 0x7f800001
	v_mov_b32_e32 v52, 0
	v_cmp_ne_u32_e64 s[4:5], s43, v0
	s_and_saveexec_b64 s[36:37], s[4:5]
	s_cbranch_execz .LBB210_181
; %bb.180:                              ;   in Loop: Header=BB210_9 Depth=1
	v_and_b32_e32 v4, 7, v1
	v_lshrrev_b32_e32 v5, 3, v0
	v_cmp_gt_u32_e64 s[4:5], 8, v0
	v_ffbh_u32_e32 v0, v4
	v_min_u32_e32 v0, 32, v0
	v_subrev_u32_e32 v2, 28, v0
	v_lshlrev_b64 v[2:3], v2, v[1:2]
	v_sub_u32_e32 v0, 29, v0
	v_and_b32_e32 v2, 7, v2
	v_cndmask_b32_e64 v0, v5, v0, s[4:5]
	v_cndmask_b32_e64 v2, v4, v2, s[4:5]
	v_bfrev_b32_e32 v4, 60
	v_lshlrev_b32_e32 v2, 20, v2
	v_and_b32_sdwa v3, sext(v1), s44 dst_sel:DWORD dst_unused:UNUSED_PAD src0_sel:BYTE_0 src1_sel:DWORD
	v_lshl_add_u32 v0, v0, 23, v4
	v_or3_b32 v51, v3, v0, v2
	v_mov_b32_e32 v52, v9
.LBB210_181:                            ;   in Loop: Header=BB210_9 Depth=1
	s_or_b64 exec, exec, s[36:37]
.LBB210_182:                            ;   in Loop: Header=BB210_9 Depth=1
	s_or_b64 exec, exec, s[34:35]
.LBB210_183:                            ;   in Loop: Header=BB210_9 Depth=1
	s_or_b64 exec, exec, s[16:17]
	v_cmp_ne_u16_sdwa s[4:5], v1, v9 src0_sel:BYTE_1 src1_sel:DWORD
	s_and_saveexec_b64 s[16:17], s[4:5]
	s_cbranch_execz .LBB210_189
; %bb.184:                              ;   in Loop: Header=BB210_9 Depth=1
	v_mov_b32_e32 v48, v10
	v_cmp_ne_u16_sdwa s[4:5], v1, s42 src0_sel:BYTE_1 src1_sel:DWORD
	v_mov_b32_e32 v47, v9
	s_and_saveexec_b64 s[34:35], s[4:5]
	s_cbranch_execz .LBB210_188
; %bb.185:                              ;   in Loop: Header=BB210_9 Depth=1
	v_and_b32_sdwa v2, v1, s43 dst_sel:DWORD dst_unused:UNUSED_PAD src0_sel:BYTE_1 src1_sel:DWORD
	v_mov_b32_e32 v7, v9
	v_mov_b32_e32 v48, v8
	v_cmp_ne_u32_e64 s[4:5], s43, v2
	v_mov_b32_e32 v47, v7
	s_and_saveexec_b64 s[36:37], s[4:5]
	s_cbranch_execz .LBB210_187
; %bb.186:                              ;   in Loop: Header=BB210_9 Depth=1
	v_mov_b32_e32 v0, 7
	v_and_b32_sdwa v3, v1, v0 dst_sel:DWORD dst_unused:UNUSED_PAD src0_sel:BYTE_1 src1_sel:DWORD
	v_lshrrev_b32_e32 v0, 3, v2
	v_cmp_gt_u32_e64 s[4:5], 8, v2
	v_ffbh_u32_e32 v2, v3
	v_min_u32_e32 v2, 32, v2
	v_mov_b32_e32 v4, v9
	v_subrev_u32_e32 v5, 28, v2
	v_lshlrev_b64 v[4:5], v5, v[3:4]
	v_sub_u32_e32 v2, 29, v2
	v_and_b32_e32 v4, 7, v4
	v_cndmask_b32_e64 v0, v0, v2, s[4:5]
	v_cndmask_b32_e64 v2, v3, v4, s[4:5]
	v_bfrev_b32_e32 v3, 60
	v_lshlrev_b32_e32 v1, 16, v1
	v_lshl_add_u32 v0, v0, 23, v3
	v_and_or_b32 v0, v1, s44, v0
	v_lshlrev_b32_e32 v1, 20, v2
	v_or_b32_e32 v48, v0, v1
	v_mov_b32_e32 v47, v9
.LBB210_187:                            ;   in Loop: Header=BB210_9 Depth=1
	s_or_b64 exec, exec, s[36:37]
.LBB210_188:                            ;   in Loop: Header=BB210_9 Depth=1
	s_or_b64 exec, exec, s[34:35]
.LBB210_189:                            ;   in Loop: Header=BB210_9 Depth=1
	s_or_b64 exec, exec, s[16:17]
	global_load_ushort v0, v[57:58], off offset:1548
	v_mov_b32_e32 v55, 0
	v_mov_b32_e32 v53, 0
	;; [unrolled: 1-line block ×4, first 2 shown]
	s_waitcnt vmcnt(0)
	v_and_b32_e32 v1, 0xffff, v0
	v_cmp_ne_u16_sdwa s[4:5], v0, v9 src0_sel:BYTE_0 src1_sel:DWORD
	s_and_saveexec_b64 s[16:17], s[4:5]
	s_cbranch_execz .LBB210_195
; %bb.190:                              ;   in Loop: Header=BB210_9 Depth=1
	v_bfrev_b32_e32 v53, 1
	v_mov_b32_e32 v54, 0
	v_cmp_ne_u16_sdwa s[4:5], v1, s42 src0_sel:BYTE_0 src1_sel:DWORD
	s_and_saveexec_b64 s[34:35], s[4:5]
	s_cbranch_execz .LBB210_194
; %bb.191:                              ;   in Loop: Header=BB210_9 Depth=1
	v_and_b32_e32 v0, 0x7f, v1
	v_mov_b32_e32 v53, 0x7f800001
	v_mov_b32_e32 v54, 0
	v_cmp_ne_u32_e64 s[4:5], s43, v0
	s_and_saveexec_b64 s[36:37], s[4:5]
	s_cbranch_execz .LBB210_193
; %bb.192:                              ;   in Loop: Header=BB210_9 Depth=1
	v_and_b32_e32 v4, 7, v1
	v_lshrrev_b32_e32 v5, 3, v0
	v_cmp_gt_u32_e64 s[4:5], 8, v0
	v_ffbh_u32_e32 v0, v4
	v_min_u32_e32 v0, 32, v0
	v_subrev_u32_e32 v2, 28, v0
	v_lshlrev_b64 v[2:3], v2, v[1:2]
	v_sub_u32_e32 v0, 29, v0
	v_and_b32_e32 v2, 7, v2
	v_cndmask_b32_e64 v0, v5, v0, s[4:5]
	v_cndmask_b32_e64 v2, v4, v2, s[4:5]
	v_bfrev_b32_e32 v4, 60
	v_lshlrev_b32_e32 v2, 20, v2
	v_and_b32_sdwa v3, sext(v1), s44 dst_sel:DWORD dst_unused:UNUSED_PAD src0_sel:BYTE_0 src1_sel:DWORD
	v_lshl_add_u32 v0, v0, 23, v4
	v_or3_b32 v53, v3, v0, v2
	v_mov_b32_e32 v54, v9
.LBB210_193:                            ;   in Loop: Header=BB210_9 Depth=1
	s_or_b64 exec, exec, s[36:37]
.LBB210_194:                            ;   in Loop: Header=BB210_9 Depth=1
	s_or_b64 exec, exec, s[34:35]
.LBB210_195:                            ;   in Loop: Header=BB210_9 Depth=1
	s_or_b64 exec, exec, s[16:17]
	v_cmp_ne_u16_sdwa s[4:5], v1, v9 src0_sel:BYTE_1 src1_sel:DWORD
	s_and_saveexec_b64 s[16:17], s[4:5]
	s_cbranch_execz .LBB210_201
; %bb.196:                              ;   in Loop: Header=BB210_9 Depth=1
	v_mov_b32_e32 v56, v10
	v_cmp_ne_u16_sdwa s[4:5], v1, s42 src0_sel:BYTE_1 src1_sel:DWORD
	v_mov_b32_e32 v55, v9
	s_and_saveexec_b64 s[34:35], s[4:5]
	s_cbranch_execz .LBB210_200
; %bb.197:                              ;   in Loop: Header=BB210_9 Depth=1
	v_and_b32_sdwa v2, v1, s43 dst_sel:DWORD dst_unused:UNUSED_PAD src0_sel:BYTE_1 src1_sel:DWORD
	v_mov_b32_e32 v7, v9
	v_mov_b32_e32 v56, v8
	v_cmp_ne_u32_e64 s[4:5], s43, v2
	v_mov_b32_e32 v55, v7
	s_and_saveexec_b64 s[36:37], s[4:5]
	s_cbranch_execz .LBB210_199
; %bb.198:                              ;   in Loop: Header=BB210_9 Depth=1
	v_mov_b32_e32 v0, 7
	v_and_b32_sdwa v3, v1, v0 dst_sel:DWORD dst_unused:UNUSED_PAD src0_sel:BYTE_1 src1_sel:DWORD
	v_lshrrev_b32_e32 v0, 3, v2
	v_cmp_gt_u32_e64 s[4:5], 8, v2
	v_ffbh_u32_e32 v2, v3
	v_min_u32_e32 v2, 32, v2
	v_mov_b32_e32 v4, v9
	v_subrev_u32_e32 v5, 28, v2
	v_lshlrev_b64 v[4:5], v5, v[3:4]
	v_sub_u32_e32 v2, 29, v2
	v_and_b32_e32 v4, 7, v4
	v_cndmask_b32_e64 v0, v0, v2, s[4:5]
	v_cndmask_b32_e64 v2, v3, v4, s[4:5]
	v_bfrev_b32_e32 v3, 60
	v_lshlrev_b32_e32 v1, 16, v1
	v_lshl_add_u32 v0, v0, 23, v3
	v_and_or_b32 v0, v1, s44, v0
	v_lshlrev_b32_e32 v1, 20, v2
	v_or_b32_e32 v56, v0, v1
	v_mov_b32_e32 v55, v9
.LBB210_199:                            ;   in Loop: Header=BB210_9 Depth=1
	s_or_b64 exec, exec, s[36:37]
.LBB210_200:                            ;   in Loop: Header=BB210_9 Depth=1
	s_or_b64 exec, exec, s[34:35]
.LBB210_201:                            ;   in Loop: Header=BB210_9 Depth=1
	s_or_b64 exec, exec, s[16:17]
	global_load_ushort v0, v[57:58], off offset:2048
	v_mov_b32_e32 v61, 0
	v_mov_b32_e32 v59, 0
	;; [unrolled: 1-line block ×4, first 2 shown]
	s_waitcnt vmcnt(0)
	v_and_b32_e32 v1, 0xffff, v0
	v_cmp_ne_u16_sdwa s[4:5], v0, v9 src0_sel:BYTE_0 src1_sel:DWORD
	s_and_saveexec_b64 s[16:17], s[4:5]
	s_cbranch_execz .LBB210_207
; %bb.202:                              ;   in Loop: Header=BB210_9 Depth=1
	v_bfrev_b32_e32 v59, 1
	v_mov_b32_e32 v60, 0
	v_cmp_ne_u16_sdwa s[4:5], v1, s42 src0_sel:BYTE_0 src1_sel:DWORD
	s_and_saveexec_b64 s[34:35], s[4:5]
	s_cbranch_execz .LBB210_206
; %bb.203:                              ;   in Loop: Header=BB210_9 Depth=1
	v_and_b32_e32 v0, 0x7f, v1
	v_mov_b32_e32 v59, 0x7f800001
	v_mov_b32_e32 v60, 0
	v_cmp_ne_u32_e64 s[4:5], s43, v0
	s_and_saveexec_b64 s[36:37], s[4:5]
	s_cbranch_execz .LBB210_205
; %bb.204:                              ;   in Loop: Header=BB210_9 Depth=1
	v_and_b32_e32 v4, 7, v1
	v_lshrrev_b32_e32 v5, 3, v0
	v_cmp_gt_u32_e64 s[4:5], 8, v0
	v_ffbh_u32_e32 v0, v4
	v_min_u32_e32 v0, 32, v0
	v_subrev_u32_e32 v2, 28, v0
	v_lshlrev_b64 v[2:3], v2, v[1:2]
	v_sub_u32_e32 v0, 29, v0
	v_and_b32_e32 v2, 7, v2
	v_cndmask_b32_e64 v0, v5, v0, s[4:5]
	v_cndmask_b32_e64 v2, v4, v2, s[4:5]
	v_bfrev_b32_e32 v4, 60
	v_lshlrev_b32_e32 v2, 20, v2
	v_and_b32_sdwa v3, sext(v1), s44 dst_sel:DWORD dst_unused:UNUSED_PAD src0_sel:BYTE_0 src1_sel:DWORD
	v_lshl_add_u32 v0, v0, 23, v4
	v_or3_b32 v59, v3, v0, v2
	v_mov_b32_e32 v60, v9
.LBB210_205:                            ;   in Loop: Header=BB210_9 Depth=1
	s_or_b64 exec, exec, s[36:37]
.LBB210_206:                            ;   in Loop: Header=BB210_9 Depth=1
	s_or_b64 exec, exec, s[34:35]
.LBB210_207:                            ;   in Loop: Header=BB210_9 Depth=1
	s_or_b64 exec, exec, s[16:17]
	v_cmp_ne_u16_sdwa s[4:5], v1, v9 src0_sel:BYTE_1 src1_sel:DWORD
	s_and_saveexec_b64 s[16:17], s[4:5]
	s_cbranch_execz .LBB210_213
; %bb.208:                              ;   in Loop: Header=BB210_9 Depth=1
	v_mov_b32_e32 v62, v10
	v_cmp_ne_u16_sdwa s[4:5], v1, s42 src0_sel:BYTE_1 src1_sel:DWORD
	v_mov_b32_e32 v61, v9
	s_and_saveexec_b64 s[34:35], s[4:5]
	s_cbranch_execz .LBB210_212
; %bb.209:                              ;   in Loop: Header=BB210_9 Depth=1
	v_and_b32_sdwa v2, v1, s43 dst_sel:DWORD dst_unused:UNUSED_PAD src0_sel:BYTE_1 src1_sel:DWORD
	v_mov_b32_e32 v7, v9
	v_mov_b32_e32 v62, v8
	v_cmp_ne_u32_e64 s[4:5], s43, v2
	v_mov_b32_e32 v61, v7
	s_and_saveexec_b64 s[36:37], s[4:5]
	s_cbranch_execz .LBB210_211
; %bb.210:                              ;   in Loop: Header=BB210_9 Depth=1
	v_mov_b32_e32 v0, 7
	v_and_b32_sdwa v3, v1, v0 dst_sel:DWORD dst_unused:UNUSED_PAD src0_sel:BYTE_1 src1_sel:DWORD
	v_lshrrev_b32_e32 v0, 3, v2
	v_cmp_gt_u32_e64 s[4:5], 8, v2
	v_ffbh_u32_e32 v2, v3
	v_min_u32_e32 v2, 32, v2
	v_mov_b32_e32 v4, v9
	v_subrev_u32_e32 v5, 28, v2
	v_lshlrev_b64 v[4:5], v5, v[3:4]
	v_sub_u32_e32 v2, 29, v2
	v_and_b32_e32 v4, 7, v4
	v_cndmask_b32_e64 v0, v0, v2, s[4:5]
	v_cndmask_b32_e64 v2, v3, v4, s[4:5]
	v_bfrev_b32_e32 v3, 60
	v_lshlrev_b32_e32 v1, 16, v1
	v_lshl_add_u32 v0, v0, 23, v3
	v_and_or_b32 v0, v1, s44, v0
	v_lshlrev_b32_e32 v1, 20, v2
	v_or_b32_e32 v62, v0, v1
	v_mov_b32_e32 v61, v9
.LBB210_211:                            ;   in Loop: Header=BB210_9 Depth=1
	s_or_b64 exec, exec, s[36:37]
.LBB210_212:                            ;   in Loop: Header=BB210_9 Depth=1
	s_or_b64 exec, exec, s[34:35]
.LBB210_213:                            ;   in Loop: Header=BB210_9 Depth=1
	s_or_b64 exec, exec, s[16:17]
	global_load_ushort v0, v[57:58], off offset:2052
	v_mov_b32_e32 v1, 0
	v_mov_b32_e32 v43, 0
	;; [unrolled: 1-line block ×4, first 2 shown]
	s_waitcnt vmcnt(0)
	v_and_b32_e32 v3, 0xffff, v0
	v_cmp_ne_u16_sdwa s[4:5], v0, v9 src0_sel:BYTE_0 src1_sel:DWORD
	s_and_saveexec_b64 s[16:17], s[4:5]
	s_cbranch_execz .LBB210_219
; %bb.214:                              ;   in Loop: Header=BB210_9 Depth=1
	v_bfrev_b32_e32 v43, 1
	v_mov_b32_e32 v44, 0
	v_cmp_ne_u16_sdwa s[4:5], v3, s42 src0_sel:BYTE_0 src1_sel:DWORD
	s_and_saveexec_b64 s[34:35], s[4:5]
	s_cbranch_execz .LBB210_218
; %bb.215:                              ;   in Loop: Header=BB210_9 Depth=1
	v_and_b32_e32 v0, 0x7f, v3
	v_mov_b32_e32 v43, 0x7f800001
	v_mov_b32_e32 v44, 0
	v_cmp_ne_u32_e64 s[4:5], s43, v0
	s_and_saveexec_b64 s[36:37], s[4:5]
	s_cbranch_execz .LBB210_217
; %bb.216:                              ;   in Loop: Header=BB210_9 Depth=1
	v_and_b32_e32 v6, 7, v3
	v_lshrrev_b32_e32 v7, 3, v0
	v_cmp_gt_u32_e64 s[4:5], 8, v0
	v_ffbh_u32_e32 v0, v6
	v_min_u32_e32 v0, 32, v0
	v_subrev_u32_e32 v4, 28, v0
	v_lshlrev_b64 v[4:5], v4, v[3:4]
	v_sub_u32_e32 v0, 29, v0
	v_and_b32_e32 v4, 7, v4
	v_cndmask_b32_e64 v0, v7, v0, s[4:5]
	v_cndmask_b32_e64 v4, v6, v4, s[4:5]
	v_bfrev_b32_e32 v6, 60
	v_lshlrev_b32_e32 v4, 20, v4
	v_and_b32_sdwa v5, sext(v3), s44 dst_sel:DWORD dst_unused:UNUSED_PAD src0_sel:BYTE_0 src1_sel:DWORD
	v_lshl_add_u32 v0, v0, 23, v6
	v_or3_b32 v43, v5, v0, v4
	v_mov_b32_e32 v44, v9
.LBB210_217:                            ;   in Loop: Header=BB210_9 Depth=1
	s_or_b64 exec, exec, s[36:37]
.LBB210_218:                            ;   in Loop: Header=BB210_9 Depth=1
	s_or_b64 exec, exec, s[34:35]
.LBB210_219:                            ;   in Loop: Header=BB210_9 Depth=1
	s_or_b64 exec, exec, s[16:17]
	v_cmp_ne_u16_sdwa s[4:5], v3, v9 src0_sel:BYTE_1 src1_sel:DWORD
	s_and_saveexec_b64 s[16:17], s[4:5]
	s_cbranch_execz .LBB210_225
; %bb.220:                              ;   in Loop: Header=BB210_9 Depth=1
	v_mov_b32_e32 v1, v9
	v_cmp_ne_u16_sdwa s[4:5], v3, s42 src0_sel:BYTE_1 src1_sel:DWORD
	v_mov_b32_e32 v2, v10
	s_and_saveexec_b64 s[34:35], s[4:5]
	s_cbranch_execz .LBB210_224
; %bb.221:                              ;   in Loop: Header=BB210_9 Depth=1
	v_mov_b32_e32 v7, v9
	v_and_b32_sdwa v4, v3, s43 dst_sel:DWORD dst_unused:UNUSED_PAD src0_sel:BYTE_1 src1_sel:DWORD
	v_mov_b32_e32 v1, v7
	v_cmp_ne_u32_e64 s[4:5], s43, v4
	v_mov_b32_e32 v2, v8
	s_and_saveexec_b64 s[36:37], s[4:5]
	s_cbranch_execz .LBB210_223
; %bb.222:                              ;   in Loop: Header=BB210_9 Depth=1
	v_mov_b32_e32 v0, 7
	v_and_b32_sdwa v0, v3, v0 dst_sel:DWORD dst_unused:UNUSED_PAD src0_sel:BYTE_1 src1_sel:DWORD
	v_ffbh_u32_e32 v2, v0
	v_lshrrev_b32_e32 v5, 3, v4
	v_cmp_gt_u32_e64 s[4:5], 8, v4
	v_min_u32_e32 v4, 32, v2
	v_mov_b32_e32 v1, v9
	v_subrev_u32_e32 v2, 28, v4
	v_lshlrev_b64 v[1:2], v2, v[0:1]
	v_sub_u32_e32 v2, 29, v4
	v_and_b32_e32 v1, 7, v1
	v_cndmask_b32_e64 v2, v5, v2, s[4:5]
	v_cndmask_b32_e64 v0, v0, v1, s[4:5]
	v_lshlrev_b32_e32 v1, 16, v3
	v_bfrev_b32_e32 v3, 60
	v_lshl_add_u32 v2, v2, 23, v3
	v_and_or_b32 v1, v1, s44, v2
	v_lshlrev_b32_e32 v0, 20, v0
	v_or_b32_e32 v2, v1, v0
	v_mov_b32_e32 v1, v9
.LBB210_223:                            ;   in Loop: Header=BB210_9 Depth=1
	s_or_b64 exec, exec, s[36:37]
.LBB210_224:                            ;   in Loop: Header=BB210_9 Depth=1
	s_or_b64 exec, exec, s[34:35]
.LBB210_225:                            ;   in Loop: Header=BB210_9 Depth=1
	s_or_b64 exec, exec, s[16:17]
	global_load_ushort v0, v[57:58], off offset:2056
	v_mov_b32_e32 v5, 0
	v_mov_b32_e32 v3, 0
	;; [unrolled: 1-line block ×4, first 2 shown]
	s_waitcnt vmcnt(0)
	v_and_b32_e32 v11, 0xffff, v0
	v_cmp_ne_u16_sdwa s[4:5], v0, v9 src0_sel:BYTE_0 src1_sel:DWORD
	s_and_saveexec_b64 s[16:17], s[4:5]
	s_cbranch_execz .LBB210_231
; %bb.226:                              ;   in Loop: Header=BB210_9 Depth=1
	v_bfrev_b32_e32 v3, 1
	v_mov_b32_e32 v4, 0
	v_cmp_ne_u16_sdwa s[4:5], v11, s42 src0_sel:BYTE_0 src1_sel:DWORD
	s_and_saveexec_b64 s[34:35], s[4:5]
	s_cbranch_execz .LBB210_230
; %bb.227:                              ;   in Loop: Header=BB210_9 Depth=1
	v_and_b32_e32 v0, 0x7f, v11
	v_mov_b32_e32 v3, 0x7f800001
	v_mov_b32_e32 v4, 0
	v_cmp_ne_u32_e64 s[4:5], s43, v0
	s_and_saveexec_b64 s[36:37], s[4:5]
	s_cbranch_execz .LBB210_229
; %bb.228:                              ;   in Loop: Header=BB210_9 Depth=1
	v_and_b32_e32 v7, 7, v11
	v_lshrrev_b32_e32 v13, 3, v0
	v_cmp_gt_u32_e64 s[4:5], 8, v0
	v_ffbh_u32_e32 v0, v7
	v_min_u32_e32 v0, 32, v0
	v_subrev_u32_e32 v3, 28, v0
	v_lshlrev_b64 v[3:4], v3, v[11:12]
	v_sub_u32_e32 v0, 29, v0
	v_and_b32_e32 v3, 7, v3
	v_cndmask_b32_e64 v0, v13, v0, s[4:5]
	v_cndmask_b32_e64 v3, v7, v3, s[4:5]
	v_bfrev_b32_e32 v7, 60
	v_lshlrev_b32_e32 v3, 20, v3
	v_and_b32_sdwa v4, sext(v11), s44 dst_sel:DWORD dst_unused:UNUSED_PAD src0_sel:BYTE_0 src1_sel:DWORD
	v_lshl_add_u32 v0, v0, 23, v7
	v_or3_b32 v3, v4, v0, v3
	v_mov_b32_e32 v4, v9
.LBB210_229:                            ;   in Loop: Header=BB210_9 Depth=1
	s_or_b64 exec, exec, s[36:37]
.LBB210_230:                            ;   in Loop: Header=BB210_9 Depth=1
	s_or_b64 exec, exec, s[34:35]
.LBB210_231:                            ;   in Loop: Header=BB210_9 Depth=1
	s_or_b64 exec, exec, s[16:17]
	v_cmp_ne_u16_sdwa s[4:5], v11, v9 src0_sel:BYTE_1 src1_sel:DWORD
	s_and_saveexec_b64 s[16:17], s[4:5]
	s_cbranch_execz .LBB210_237
; %bb.232:                              ;   in Loop: Header=BB210_9 Depth=1
	v_mov_b32_e32 v5, v9
	v_cmp_ne_u16_sdwa s[4:5], v11, s42 src0_sel:BYTE_1 src1_sel:DWORD
	v_mov_b32_e32 v6, v10
	s_and_saveexec_b64 s[34:35], s[4:5]
	s_cbranch_execz .LBB210_236
; %bb.233:                              ;   in Loop: Header=BB210_9 Depth=1
	v_mov_b32_e32 v7, v9
	v_and_b32_sdwa v41, v11, s43 dst_sel:DWORD dst_unused:UNUSED_PAD src0_sel:BYTE_1 src1_sel:DWORD
	v_mov_b32_e32 v5, v7
	v_cmp_ne_u32_e64 s[4:5], s43, v41
	v_mov_b32_e32 v6, v8
	s_and_saveexec_b64 s[36:37], s[4:5]
	s_cbranch_execz .LBB210_235
; %bb.234:                              ;   in Loop: Header=BB210_9 Depth=1
	v_mov_b32_e32 v0, 7
	v_and_b32_sdwa v5, v11, v0 dst_sel:DWORD dst_unused:UNUSED_PAD src0_sel:BYTE_1 src1_sel:DWORD
	v_ffbh_u32_e32 v7, v5
	v_min_u32_e32 v13, 32, v7
	v_mov_b32_e32 v6, v9
	v_subrev_u32_e32 v7, 28, v13
	v_lshlrev_b64 v[6:7], v7, v[5:6]
	v_lshrrev_b32_e32 v0, 3, v41
	v_cmp_gt_u32_e64 s[4:5], 8, v41
	v_sub_u32_e32 v7, 29, v13
	v_and_b32_e32 v6, 7, v6
	v_cndmask_b32_e64 v0, v0, v7, s[4:5]
	v_bfrev_b32_e32 v7, 60
	v_cndmask_b32_e64 v5, v5, v6, s[4:5]
	v_lshlrev_b32_e32 v6, 16, v11
	v_lshl_add_u32 v0, v0, 23, v7
	v_and_or_b32 v0, v6, s44, v0
	v_lshlrev_b32_e32 v5, 20, v5
	v_or_b32_e32 v6, v0, v5
	v_mov_b32_e32 v5, v9
.LBB210_235:                            ;   in Loop: Header=BB210_9 Depth=1
	s_or_b64 exec, exec, s[36:37]
.LBB210_236:                            ;   in Loop: Header=BB210_9 Depth=1
	s_or_b64 exec, exec, s[34:35]
.LBB210_237:                            ;   in Loop: Header=BB210_9 Depth=1
	s_or_b64 exec, exec, s[16:17]
	global_load_ushort v0, v[57:58], off offset:2060
	v_mov_b32_e32 v41, 0
	v_mov_b32_e32 v57, 0
	;; [unrolled: 1-line block ×4, first 2 shown]
	s_waitcnt vmcnt(0)
	v_and_b32_e32 v11, 0xffff, v0
	v_cmp_ne_u16_sdwa s[4:5], v0, v9 src0_sel:BYTE_0 src1_sel:DWORD
	s_and_saveexec_b64 s[16:17], s[4:5]
	s_cbranch_execz .LBB210_243
; %bb.238:                              ;   in Loop: Header=BB210_9 Depth=1
	v_bfrev_b32_e32 v57, 1
	v_mov_b32_e32 v58, 0
	v_cmp_ne_u16_sdwa s[4:5], v11, s42 src0_sel:BYTE_0 src1_sel:DWORD
	s_and_saveexec_b64 s[34:35], s[4:5]
	s_cbranch_execz .LBB210_242
; %bb.239:                              ;   in Loop: Header=BB210_9 Depth=1
	v_and_b32_e32 v0, 0x7f, v11
	v_mov_b32_e32 v57, 0x7f800001
	v_mov_b32_e32 v58, 0
	v_cmp_ne_u32_e64 s[4:5], s43, v0
	s_and_saveexec_b64 s[36:37], s[4:5]
	s_cbranch_execz .LBB210_241
; %bb.240:                              ;   in Loop: Header=BB210_9 Depth=1
	v_and_b32_e32 v7, 7, v11
	v_lshrrev_b32_e32 v13, 3, v0
	v_cmp_gt_u32_e64 s[4:5], 8, v0
	v_ffbh_u32_e32 v0, v7
	v_min_u32_e32 v0, 32, v0
	v_subrev_u32_e32 v14, 28, v0
	v_lshlrev_b64 v[57:58], v14, v[11:12]
	v_sub_u32_e32 v0, 29, v0
	v_and_b32_e32 v14, 7, v57
	v_cndmask_b32_e64 v0, v13, v0, s[4:5]
	v_cndmask_b32_e64 v7, v7, v14, s[4:5]
	v_bfrev_b32_e32 v14, 60
	v_lshlrev_b32_e32 v7, 20, v7
	v_and_b32_sdwa v13, sext(v11), s44 dst_sel:DWORD dst_unused:UNUSED_PAD src0_sel:BYTE_0 src1_sel:DWORD
	v_lshl_add_u32 v0, v0, 23, v14
	v_or3_b32 v57, v13, v0, v7
	v_mov_b32_e32 v58, v9
.LBB210_241:                            ;   in Loop: Header=BB210_9 Depth=1
	s_or_b64 exec, exec, s[36:37]
.LBB210_242:                            ;   in Loop: Header=BB210_9 Depth=1
	s_or_b64 exec, exec, s[34:35]
.LBB210_243:                            ;   in Loop: Header=BB210_9 Depth=1
	s_or_b64 exec, exec, s[16:17]
	v_cmp_ne_u16_sdwa s[4:5], v11, v9 src0_sel:BYTE_1 src1_sel:DWORD
	s_and_saveexec_b64 s[16:17], s[4:5]
	s_cbranch_execz .LBB210_249
; %bb.244:                              ;   in Loop: Header=BB210_9 Depth=1
	v_mov_b32_e32 v42, v10
	v_cmp_ne_u16_sdwa s[4:5], v11, s42 src0_sel:BYTE_1 src1_sel:DWORD
	v_mov_b32_e32 v41, v9
	s_and_saveexec_b64 s[34:35], s[4:5]
	s_cbranch_execz .LBB210_248
; %bb.245:                              ;   in Loop: Header=BB210_9 Depth=1
	v_and_b32_sdwa v0, v11, s43 dst_sel:DWORD dst_unused:UNUSED_PAD src0_sel:BYTE_1 src1_sel:DWORD
	v_mov_b32_e32 v7, v9
	v_mov_b32_e32 v42, v8
	v_cmp_ne_u32_e64 s[4:5], s43, v0
	v_mov_b32_e32 v41, v7
	s_and_saveexec_b64 s[36:37], s[4:5]
	s_cbranch_execz .LBB210_247
; %bb.246:                              ;   in Loop: Header=BB210_9 Depth=1
	v_mov_b32_e32 v7, 7
	v_and_b32_sdwa v41, v11, v7 dst_sel:DWORD dst_unused:UNUSED_PAD src0_sel:BYTE_1 src1_sel:DWORD
	v_lshrrev_b32_e32 v7, 3, v0
	v_cmp_gt_u32_e64 s[4:5], 8, v0
	v_ffbh_u32_e32 v0, v41
	v_min_u32_e32 v0, 32, v0
	v_mov_b32_e32 v42, v9
	v_subrev_u32_e32 v13, 28, v0
	v_lshlrev_b64 v[13:14], v13, v[41:42]
	v_sub_u32_e32 v0, 29, v0
	v_and_b32_e32 v13, 7, v13
	v_cndmask_b32_e64 v0, v7, v0, s[4:5]
	v_cndmask_b32_e64 v7, v41, v13, s[4:5]
	v_bfrev_b32_e32 v13, 60
	v_lshlrev_b32_e32 v11, 16, v11
	v_lshl_add_u32 v0, v0, 23, v13
	v_and_or_b32 v0, v11, s44, v0
	v_lshlrev_b32_e32 v7, 20, v7
	v_or_b32_e32 v42, v0, v7
	v_mov_b32_e32 v41, v9
.LBB210_247:                            ;   in Loop: Header=BB210_9 Depth=1
	s_or_b64 exec, exec, s[36:37]
.LBB210_248:                            ;   in Loop: Header=BB210_9 Depth=1
	s_or_b64 exec, exec, s[34:35]
.LBB210_249:                            ;   in Loop: Header=BB210_9 Depth=1
	s_or_b64 exec, exec, s[16:17]
	v_or_b32_e32 v3, v5, v3
	v_or_b32_e32 v5, v2, v44
	;; [unrolled: 1-line block ×8, first 2 shown]
	buffer_load_dword v15, off, s[48:51], 0 offset:108 ; 4-byte Folded Reload
	buffer_load_dword v16, off, s[48:51], 0 offset:112 ; 4-byte Folded Reload
	;; [unrolled: 1-line block ×8, first 2 shown]
	v_or_b32_e32 v14, v30, v28
	v_or_b32_e32 v27, v29, v27
	;; [unrolled: 1-line block ×10, first 2 shown]
	v_mov_b32_e32 v34, v33
	v_mov_b32_e32 v33, v32
	v_mul_f32_e32 v14, s40, v14
	v_mul_f32_e32 v2, s40, v2
	v_mul_f32_e32 v0, s39, v0
	v_or_b32_e32 v44, v55, v53
	v_or_b32_e32 v7, v62, v60
	;; [unrolled: 1-line block ×4, first 2 shown]
	v_mul_f32_e32 v3, s39, v3
	s_waitcnt vmcnt(5)
	v_or_b32_e32 v15, v17, v15
	s_waitcnt vmcnt(4)
	v_or_b32_e32 v16, v18, v16
	;; [unrolled: 2-line block ×3, first 2 shown]
	v_or_b32_e32 v18, v25, v21
	buffer_load_dword v25, off, s[48:51], 0 offset:76 ; 4-byte Folded Reload
	buffer_load_dword v26, off, s[48:51], 0 offset:80 ; 4-byte Folded Reload
	;; [unrolled: 1-line block ×4, first 2 shown]
	v_mul_f32_e32 v18, s39, v18
	v_mul_f32_e32 v17, s40, v17
	;; [unrolled: 1-line block ×3, first 2 shown]
	s_waitcnt vmcnt(1)
	v_or_b32_e32 v22, v28, v25
	s_waitcnt vmcnt(0)
	v_or_b32_e32 v21, v29, v26
	buffer_load_dword v28, off, s[48:51], 0 offset:60 ; 4-byte Folded Reload
	buffer_load_dword v29, off, s[48:51], 0 offset:64 ; 4-byte Folded Reload
	buffer_load_dword v30, off, s[48:51], 0 offset:68 ; 4-byte Folded Reload
	buffer_load_dword v31, off, s[48:51], 0 offset:72 ; 4-byte Folded Reload
	v_mul_f32_e32 v22, s39, v22
	v_mul_f32_e32 v21, s40, v21
	s_waitcnt vmcnt(1)
	v_or_b32_e32 v26, v30, v28
	s_waitcnt vmcnt(0)
	v_or_b32_e32 v25, v31, v29
	buffer_load_dword v29, off, s[48:51], 0 offset:44 ; 4-byte Folded Reload
	buffer_load_dword v30, off, s[48:51], 0 offset:48 ; 4-byte Folded Reload
	buffer_load_dword v37, off, s[48:51], 0 offset:52 ; 4-byte Folded Reload
	buffer_load_dword v38, off, s[48:51], 0 offset:56 ; 4-byte Folded Reload
	v_mul_f32_e32 v26, s39, v26
	v_mul_f32_e32 v25, s40, v25
	;; [unrolled: 10-line block ×4, first 2 shown]
	s_waitcnt vmcnt(1)
	v_or_b32_e32 v1, v49, v37
	s_waitcnt vmcnt(0)
	v_or_b32_e32 v13, v50, v38
	buffer_load_dword v37, off, s[48:51], 0 offset:4 ; 4-byte Folded Reload
	buffer_load_dword v38, off, s[48:51], 0 offset:8 ; 4-byte Folded Reload
	;; [unrolled: 1-line block ×6, first 2 shown]
	v_mul_f32_e32 v1, s39, v1
	v_mul_f32_e32 v13, s40, v13
	s_waitcnt vmcnt(5)
	v_or_b32_e32 v33, v37, v33
	s_waitcnt vmcnt(4)
	v_or_b32_e32 v32, v38, v34
	v_mul_f32_e32 v33, s39, v33
	s_waitcnt vmcnt(1)
	v_mul_f32_e32 v1, v51, v1
	v_mul_f32_e32 v32, s40, v32
	s_waitcnt vmcnt(0)
	v_mul_f32_e32 v13, v52, v13
	v_fmac_f32_e32 v1, v49, v33
	v_fmac_f32_e32 v13, v50, v32
	buffer_load_dword v49, off, s[48:51], 0 offset:160 ; 4-byte Folded Reload
	buffer_load_dword v50, off, s[48:51], 0 offset:164 ; 4-byte Folded Reload
	;; [unrolled: 1-line block ×4, first 2 shown]
	v_or_b32_e32 v34, v42, v58
	v_or_b32_e32 v37, v41, v57
	s_waitcnt vmcnt(3)
	v_fmac_f32_e32 v1, v49, v31
	s_waitcnt vmcnt(2)
	v_fmac_f32_e32 v13, v50, v30
	;; [unrolled: 2-line block ×4, first 2 shown]
	buffer_load_dword v28, off, s[48:51], 0 offset:176 ; 4-byte Folded Reload
	buffer_load_dword v29, off, s[48:51], 0 offset:180 ; 4-byte Folded Reload
	;; [unrolled: 1-line block ×4, first 2 shown]
	s_waitcnt vmcnt(3)
	v_fmac_f32_e32 v1, v28, v26
	s_waitcnt vmcnt(2)
	v_fmac_f32_e32 v13, v29, v25
	;; [unrolled: 2-line block ×4, first 2 shown]
	buffer_load_dword v28, off, s[48:51], 0 offset:192 ; 4-byte Folded Reload
	buffer_load_dword v29, off, s[48:51], 0 offset:196 ; 4-byte Folded Reload
	buffer_load_dword v30, off, s[48:51], 0 offset:200 ; 4-byte Folded Reload
	buffer_load_dword v31, off, s[48:51], 0 offset:204 ; 4-byte Folded Reload
	s_waitcnt vmcnt(3)
	v_fmac_f32_e32 v1, v28, v18
	s_waitcnt vmcnt(2)
	v_fmac_f32_e32 v13, v29, v17
	;; [unrolled: 2-line block ×3, first 2 shown]
	v_mul_f32_e32 v15, s40, v16
	s_waitcnt vmcnt(0)
	v_fmac_f32_e32 v13, v31, v15
	v_mul_f32_e32 v15, s39, v19
	buffer_load_dword v16, off, s[48:51], 0 offset:208 ; 4-byte Folded Reload
	buffer_load_dword v17, off, s[48:51], 0 offset:212 ; 4-byte Folded Reload
	;; [unrolled: 1-line block ×4, first 2 shown]
	s_waitcnt vmcnt(3)
	v_fmac_f32_e32 v1, v16, v15
	v_mul_f32_e32 v15, s40, v20
	s_waitcnt vmcnt(2)
	v_fmac_f32_e32 v13, v17, v15
	v_mul_f32_e32 v15, s39, v23
	buffer_load_dword v20, off, s[48:51], 0 offset:224 ; 4-byte Folded Reload
	buffer_load_dword v21, off, s[48:51], 0 offset:228 ; 4-byte Folded Reload
	;; [unrolled: 1-line block ×4, first 2 shown]
	s_waitcnt vmcnt(5)
	v_fmac_f32_e32 v1, v18, v15
	v_mul_f32_e32 v15, s40, v24
	s_waitcnt vmcnt(4)
	v_fmac_f32_e32 v13, v19, v15
	v_mul_f32_e32 v15, s39, v27
	v_mul_f32_e32 v19, s40, v36
	;; [unrolled: 1-line block ×5, first 2 shown]
	s_waitcnt vmcnt(3)
	v_fmac_f32_e32 v1, v20, v15
	s_waitcnt vmcnt(2)
	v_fmac_f32_e32 v13, v21, v14
	;; [unrolled: 2-line block ×4, first 2 shown]
	buffer_load_dword v23, off, s[48:51], 0 offset:240 ; 4-byte Folded Reload
	buffer_load_dword v24, off, s[48:51], 0 offset:244 ; 4-byte Folded Reload
	;; [unrolled: 1-line block ×4, first 2 shown]
	v_mul_f32_e32 v20, s39, v35
	v_mul_f32_e32 v14, s39, v44
	;; [unrolled: 1-line block ×11, first 2 shown]
	s_waitcnt vmcnt(3)
	v_fmac_f32_e32 v1, v23, v20
	s_waitcnt vmcnt(2)
	v_fmac_f32_e32 v13, v24, v19
	;; [unrolled: 2-line block ×4, first 2 shown]
	buffer_load_dword v17, off, s[48:51], 0 offset:256 ; 4-byte Folded Reload
	buffer_load_dword v18, off, s[48:51], 0 offset:260 ; 4-byte Folded Reload
	;; [unrolled: 1-line block ×4, first 2 shown]
	s_waitcnt vmcnt(3)
	v_fmac_f32_e32 v1, v17, v16
	s_waitcnt vmcnt(2)
	v_fmac_f32_e32 v13, v18, v15
	;; [unrolled: 2-line block ×3, first 2 shown]
	buffer_load_dword v14, off, s[48:51], 0 offset:272 ; 4-byte Folded Reload
	buffer_load_dword v15, off, s[48:51], 0 offset:276 ; 4-byte Folded Reload
	;; [unrolled: 1-line block ×4, first 2 shown]
	s_waitcnt vmcnt(4)
	v_fmac_f32_e32 v13, v20, v11
	s_waitcnt vmcnt(3)
	v_fmac_f32_e32 v1, v14, v7
	;; [unrolled: 2-line block ×5, first 2 shown]
	buffer_load_dword v4, off, s[48:51], 0 offset:288 ; 4-byte Folded Reload
	buffer_load_dword v5, off, s[48:51], 0 offset:292 ; 4-byte Folded Reload
	;; [unrolled: 1-line block ×4, first 2 shown]
	s_waitcnt vmcnt(3)
	v_fmac_f32_e32 v1, v4, v3
	s_waitcnt vmcnt(2)
	v_fmac_f32_e32 v13, v5, v0
	;; [unrolled: 2-line block ×4, first 2 shown]
	v_add_f32_e32 v0, v1, v13
	buffer_load_dword v1, off, s[48:51], 0 offset:132 ; 4-byte Folded Reload
	s_waitcnt vmcnt(0)
	ds_bpermute_b32 v1, v1, v0
	s_and_saveexec_b64 s[16:17], vcc
	s_cbranch_execz .LBB210_8
; %bb.250:                              ;   in Loop: Header=BB210_9 Depth=1
	buffer_load_dword v3, off, s[48:51], 0 offset:128 ; 4-byte Folded Reload
	buffer_load_dword v4, off, s[48:51], 0 offset:124 ; 4-byte Folded Reload
	v_add_u32_e32 v2, s41, v12
	v_cvt_f32_i32_e32 v2, v2
	s_waitcnt lgkmcnt(0)
	v_add_f32_e32 v0, v0, v1
	v_cmp_gt_i32_e64 s[4:5], s30, v12
	v_mul_f32_e32 v2, s33, v2
	v_cndmask_b32_e64 v2, 0, v2, s[2:3]
	v_fmac_f32_e32 v2, s31, v0
	v_cndmask_b32_e64 v0, 0, v2, s[4:5]
	s_waitcnt vmcnt(1)
	v_max_f32_e32 v1, v3, v3
	s_waitcnt vmcnt(0)
	ds_write_b32 v4, v0
	v_max_f32_e32 v0, v1, v2
	v_cndmask_b32_e64 v3, v3, v0, s[4:5]
	buffer_store_dword v3, off, s[48:51], 0 offset:128 ; 4-byte Folded Spill
	s_branch .LBB210_8
.LBB210_251:
	s_or_b64 exec, exec, s[14:15]
	buffer_load_dword v10, off, s[48:51], 0 offset:304 ; 4-byte Folded Reload
	buffer_load_dword v11, off, s[48:51], 0 offset:308 ; 4-byte Folded Reload
	;; [unrolled: 1-line block ×7, first 2 shown]
.LBB210_252:
	s_or_b64 exec, exec, s[6:7]
	s_waitcnt vmcnt(3)
	v_xor_b32_e32 v0, 32, v15
	s_waitcnt vmcnt(1)
	v_cmp_lt_i32_e32 vcc, v0, v8
	v_cndmask_b32_e32 v0, v15, v0, vcc
	v_lshlrev_b32_e32 v0, 2, v0
	s_waitcnt vmcnt(0) lgkmcnt(0)
	ds_bpermute_b32 v1, v0, v2
	v_xor_b32_e32 v3, 16, v15
	v_max_f32_e32 v2, v2, v2
	v_cmp_lt_i32_e32 vcc, v3, v8
	v_xor_b32_e32 v4, 8, v15
	s_waitcnt lgkmcnt(0)
	v_max_f32_e32 v1, v1, v1
	v_max_f32_e32 v2, v2, v1
	v_cndmask_b32_e32 v1, v15, v3, vcc
	v_lshlrev_b32_e32 v1, 2, v1
	ds_bpermute_b32 v3, v1, v2
	v_cmp_lt_i32_e32 vcc, v4, v8
	v_xor_b32_e32 v5, 4, v15
	v_and_b32_e32 v16, 63, v10
	s_waitcnt lgkmcnt(0)
	v_max_f32_e32 v3, v3, v3
	v_max_f32_e32 v3, v2, v3
	v_cndmask_b32_e32 v2, v15, v4, vcc
	v_lshlrev_b32_e32 v2, 2, v2
	ds_bpermute_b32 v4, v2, v3
	v_cmp_lt_i32_e32 vcc, v5, v8
	s_waitcnt lgkmcnt(0)
	v_max_f32_e32 v4, v4, v4
	v_max_f32_e32 v3, v3, v4
	v_cndmask_b32_e32 v4, v15, v5, vcc
	v_lshlrev_b32_e32 v12, 2, v4
	ds_bpermute_b32 v4, v12, v3
	v_xor_b32_e32 v5, 2, v15
	v_cmp_lt_i32_e32 vcc, v5, v8
	s_waitcnt lgkmcnt(0)
	v_max_f32_e32 v4, v4, v4
	v_max_f32_e32 v4, v3, v4
	v_cndmask_b32_e32 v3, v15, v5, vcc
	v_lshlrev_b32_e32 v14, 2, v3
	buffer_load_dword v3, off, s[48:51], 0  ; 4-byte Folded Reload
	ds_bpermute_b32 v5, v14, v4
	v_cmp_eq_u32_e32 vcc, 0, v16
	s_waitcnt vmcnt(0)
	v_lshlrev_b32_e32 v3, 2, v3
	s_and_saveexec_b64 s[2:3], vcc
	s_cbranch_execz .LBB210_254
; %bb.253:
	s_waitcnt lgkmcnt(0)
	v_max_f32_e32 v5, v5, v5
	v_max_f32_e32 v4, v4, v4
	v_max_f32_e32 v4, v4, v5
	ds_write_b32 v3, v4 offset:320
.LBB210_254:
	s_or_b64 exec, exec, s[2:3]
	v_cmp_gt_u32_e64 s[2:3], 2, v16
	s_waitcnt lgkmcnt(0)
	v_mov_b32_e32 v5, 0xff7fffff
	v_lshlrev_b32_e32 v4, 2, v16
	s_barrier
	s_and_saveexec_b64 s[4:5], s[2:3]
; %bb.255:
	ds_read_b32 v5, v4 offset:320
; %bb.256:
	s_or_b64 exec, exec, s[4:5]
	v_xor_b32_e32 v6, 1, v15
	v_cmp_lt_i32_e64 s[4:5], v6, v8
	v_cndmask_b32_e64 v6, v15, v6, s[4:5]
	v_lshlrev_b32_e32 v17, 2, v6
	s_waitcnt lgkmcnt(0)
	ds_bpermute_b32 v6, v17, v5
	v_max_f32_e32 v5, v5, v5
	s_lshl_b32 s4, s21, 5
	s_min_i32 s31, s4, s30
	v_cmp_gt_i32_e64 s[4:5], s31, v10
	s_waitcnt lgkmcnt(0)
	v_max_f32_e32 v6, v6, v6
	v_max_f32_e32 v5, v5, v6
	v_lshlrev_b32_e32 v6, 2, v7
	ds_bpermute_b32 v6, v6, v5
	v_mov_b32_e32 v5, 0
	s_and_saveexec_b64 s[14:15], s[4:5]
	s_cbranch_execz .LBB210_260
; %bb.257:
	v_mov_b32_e32 v5, 0x150
	v_lshl_add_u32 v7, v10, 2, v5
	v_mov_b32_e32 v5, 0
	s_mov_b64 s[16:17], 0
	v_mov_b32_e32 v8, v10
.LBB210_258:                            ; =>This Inner Loop Header: Depth=1
	ds_read_b32 v9, v7
	v_add_u32_e32 v8, 0x80, v8
	v_cmp_le_i32_e64 s[6:7], s31, v8
	s_or_b64 s[16:17], s[6:7], s[16:17]
	s_waitcnt lgkmcnt(0)
	v_sub_f32_e32 v9, v9, v6
	v_mul_f32_e32 v9, 0x3fb8aa3b, v9
	v_exp_f32_e32 v9, v9
	ds_write_b32 v7, v9
	v_add_f32_e32 v5, v5, v9
	v_add_u32_e32 v7, 0x200, v7
	s_andn2_b64 exec, exec, s[16:17]
	s_cbranch_execnz .LBB210_258
; %bb.259:
	s_or_b64 exec, exec, s[16:17]
.LBB210_260:
	s_or_b64 exec, exec, s[14:15]
	ds_bpermute_b32 v0, v0, v5
	s_waitcnt lgkmcnt(0)
	v_add_f32_e32 v0, v5, v0
	ds_bpermute_b32 v1, v1, v0
	s_waitcnt lgkmcnt(0)
	v_add_f32_e32 v0, v0, v1
	;; [unrolled: 3-line block ×6, first 2 shown]
	s_and_saveexec_b64 s[6:7], vcc
; %bb.261:
	ds_write_b32 v3, v0 offset:328
; %bb.262:
	s_or_b64 exec, exec, s[6:7]
	s_waitcnt lgkmcnt(0)
	s_barrier
	s_and_saveexec_b64 s[6:7], s[2:3]
; %bb.263:
	ds_read_b32 v0, v4 offset:328
; %bb.264:
	s_or_b64 exec, exec, s[6:7]
	s_waitcnt lgkmcnt(0)
	ds_bpermute_b32 v1, v17, v0
	v_lshlrev_b32_e32 v2, 2, v15
	s_waitcnt lgkmcnt(0)
	v_add_f32_e32 v0, v0, v1
	v_and_b32_e32 v1, 0xffffff00, v2
	ds_bpermute_b32 v0, v1, v0
	s_and_saveexec_b64 s[2:3], s[4:5]
	s_cbranch_execz .LBB210_267
; %bb.265:
	s_waitcnt lgkmcnt(0)
	v_add_f32_e32 v1, 0x358637bd, v0
	v_div_scale_f32 v0, s[4:5], v1, v1, 1.0
	v_div_scale_f32 v2, vcc, 1.0, v1, 1.0
	s_mov_b64 s[4:5], 0
	v_rcp_f32_e32 v3, v0
	v_fma_f32 v4, -v0, v3, 1.0
	v_fmac_f32_e32 v3, v4, v3
	v_mul_f32_e32 v4, v2, v3
	v_fma_f32 v5, -v0, v4, v2
	v_fmac_f32_e32 v4, v5, v3
	v_fma_f32 v0, -v0, v4, v2
	v_div_fmas_f32 v2, v0, v3, v4
	v_mov_b32_e32 v0, 0x150
	v_lshl_add_u32 v0, v10, 2, v0
	v_div_fixup_f32 v1, v2, v1, 1.0
	v_mov_b32_e32 v2, v10
.LBB210_266:                            ; =>This Inner Loop Header: Depth=1
	ds_read_b32 v3, v0
	v_add_u32_e32 v2, 0x80, v2
	v_cmp_le_i32_e32 vcc, s31, v2
	s_or_b64 s[4:5], vcc, s[4:5]
	s_waitcnt lgkmcnt(0)
	v_mul_f32_e32 v3, v1, v3
	ds_write_b32 v0, v3
	v_add_u32_e32 v0, 0x200, v0
	s_andn2_b64 exec, exec, s[4:5]
	s_cbranch_execnz .LBB210_266
.LBB210_267:
	s_or_b64 exec, exec, s[2:3]
	v_mov_b32_e32 v36, 0
	v_and_b32_e32 v18, 7, v10
	v_mov_b32_e32 v37, 0
	v_mov_b32_e32 v35, 0
	;; [unrolled: 1-line block ×9, first 2 shown]
	s_waitcnt lgkmcnt(0)
	s_barrier
	s_and_saveexec_b64 s[2:3], s[0:1]
	s_cbranch_execz .LBB210_531
; %bb.268:
	s_ashr_i32 s0, s12, 31
	s_add_u32 s1, s28, s12
	s_addc_u32 s0, s29, s0
	v_and_b32_e32 v1, 0xfc, v11
	buffer_store_dword v17, off, s[48:51], 0 offset:92 ; 4-byte Folded Spill
	buffer_store_dword v14, off, s[48:51], 0 offset:84 ; 4-byte Folded Spill
	;; [unrolled: 1-line block ×4, first 2 shown]
	v_mov_b32_e32 v2, s0
	v_add_co_u32_e32 v3, vcc, s1, v1
	v_addc_co_u32_e32 v4, vcc, 0, v2, vcc
	buffer_load_dword v2, off, s[48:51], 0  ; 4-byte Folded Reload
	v_and_b32_e32 v0, 28, v11
	s_load_dword s17, s[18:19], 0x0
	s_add_i32 s19, s21, -1
	s_lshl_b64 s[0:1], s[26:27], 2
	s_add_u32 s0, s24, s0
	s_addc_u32 s1, s25, s1
	v_mov_b32_e32 v5, 0
	s_mov_b32 s16, s13
	s_waitcnt lgkmcnt(0)
	s_mov_b32 s18, s17
	s_mov_b64 s[4:5], 0
	s_movk_i32 s24, 0x80
	s_movk_i32 s25, 0x7f
	s_brev_b32 s26, 1
	s_mov_b32 s27, 0xffffff
	v_bfrev_b32_e32 v49, 60
	v_bfrev_b32_e32 v6, 1
	v_mov_b32_e32 v12, 0x7f800001
	v_mov_b32_e32 v52, 7
	;; [unrolled: 1-line block ×13, first 2 shown]
	buffer_store_dword v18, off, s[48:51], 0 offset:100 ; 4-byte Folded Spill
	buffer_store_dword v3, off, s[48:51], 0 offset:60 ; 4-byte Folded Spill
	s_nop 0
	buffer_store_dword v4, off, s[48:51], 0 offset:64 ; 4-byte Folded Spill
	s_waitcnt vmcnt(3)
	v_lshlrev_b32_e32 v1, 5, v2
	v_or3_b32 v38, v1, v0, 3
	v_lshlrev_b32_e32 v0, 4, v18
	v_lshl_or_b32 v0, v2, 7, v0
	v_add_u32_e32 v39, 0x150, v0
	v_and_b32_e32 v0, 60, v13
	v_mov_b32_e32 v1, s1
	v_add_co_u32_e32 v9, vcc, s0, v0
	v_addc_co_u32_e32 v10, vcc, 0, v1, vcc
	s_branch .LBB210_270
.LBB210_269:                            ;   in Loop: Header=BB210_270 Depth=1
	s_or_b64 exec, exec, s[0:1]
	s_waitcnt lgkmcnt(0)
	v_mul_f32_e32 v16, v1, v48
	v_fmac_f32_e32 v16, v2, v47
	v_fmac_f32_e32 v16, v3, v23
	;; [unrolled: 1-line block ×3, first 2 shown]
	v_add_f32_e32 v29, v29, v16
	v_mul_f32_e32 v16, v1, v46
	v_fmac_f32_e32 v16, v2, v43
	v_fmac_f32_e32 v16, v3, v45
	;; [unrolled: 1-line block ×3, first 2 shown]
	v_add_f32_e32 v30, v30, v16
	v_mul_f32_e32 v16, v1, v40
	v_fmac_f32_e32 v16, v2, v7
	v_mul_f32_e32 v7, v1, v27
	v_fmac_f32_e32 v7, v2, v42
	v_fmac_f32_e32 v7, v3, v26
	;; [unrolled: 1-line block ×3, first 2 shown]
	v_add_f32_e32 v32, v32, v7
	v_mul_f32_e32 v7, v1, v24
	v_fmac_f32_e32 v7, v2, v62
	v_fmac_f32_e32 v7, v3, v0
	v_mul_f32_e32 v0, v1, v61
	v_fmac_f32_e32 v0, v2, v58
	v_fmac_f32_e32 v0, v3, v60
	v_fmac_f32_e32 v0, v4, v59
	v_add_f32_e32 v34, v34, v0
	v_mul_f32_e32 v0, v1, v57
	v_fmac_f32_e32 v0, v2, v54
	v_fmac_f32_e32 v0, v3, v56
	;; [unrolled: 1-line block ×4, first 2 shown]
	v_add_f32_e32 v35, v35, v0
	buffer_load_dword v0, off, s[48:51], 0 offset:52 ; 4-byte Folded Reload
	v_add_f32_e32 v33, v33, v7
	buffer_load_dword v7, off, s[48:51], 0 offset:28 ; 4-byte Folded Reload
	v_fmac_f32_e32 v16, v3, v41
	v_fmac_f32_e32 v16, v4, v8
	v_add_f32_e32 v31, v31, v16
	v_add_u32_e32 v38, 64, v38
	v_add_u32_e32 v39, 0x100, v39
	s_waitcnt vmcnt(1)
	v_mul_f32_e32 v0, v1, v0
	s_waitcnt vmcnt(0)
	v_fmac_f32_e32 v0, v2, v7
	buffer_load_dword v7, off, s[48:51], 0 offset:44 ; 4-byte Folded Reload
	s_waitcnt vmcnt(0)
	v_fmac_f32_e32 v0, v3, v7
	buffer_load_dword v7, off, s[48:51], 0 offset:36 ; 4-byte Folded Reload
	s_waitcnt vmcnt(0)
	v_fmac_f32_e32 v0, v4, v7
	v_add_f32_e32 v37, v37, v0
	buffer_load_dword v0, off, s[48:51], 0 offset:20 ; 4-byte Folded Reload
	buffer_load_dword v7, off, s[48:51], 0 offset:12 ; 4-byte Folded Reload
	s_waitcnt vmcnt(1)
	v_mul_f32_e32 v0, v1, v0
	v_fmac_f32_e32 v0, v2, v53
	s_waitcnt vmcnt(0)
	v_fmac_f32_e32 v0, v3, v7
	buffer_load_dword v7, off, s[48:51], 0 offset:4 ; 4-byte Folded Reload
	s_waitcnt vmcnt(0)
	v_fmac_f32_e32 v0, v4, v7
	v_add_f32_e32 v36, v36, v0
	v_mul_f32_e32 v0, v1, v15
	v_fmac_f32_e32 v0, v2, v11
	v_fmac_f32_e32 v0, v3, v14
	;; [unrolled: 1-line block ×3, first 2 shown]
	v_add_f32_e32 v28, v28, v0
	buffer_load_dword v0, off, s[48:51], 0  ; 4-byte Folded Reload
	s_waitcnt vmcnt(0)
	v_add_u32_e32 v0, 2, v0
	v_cmp_le_i32_e32 vcc, s21, v0
	s_or_b64 s[4:5], vcc, s[4:5]
	v_add_co_u32_e32 v9, vcc, 8, v9
	v_addc_co_u32_e32 v10, vcc, 0, v10, vcc
	buffer_store_dword v0, off, s[48:51], 0 ; 4-byte Folded Spill
	s_andn2_b64 exec, exec, s[4:5]
	s_cbranch_execz .LBB210_530
.LBB210_270:                            ; =>This Inner Loop Header: Depth=1
	global_load_dword v0, v[9:10], off
	buffer_load_dword v1, off, s[48:51], 0 offset:60 ; 4-byte Folded Reload
	buffer_load_dword v2, off, s[48:51], 0 offset:64 ; 4-byte Folded Reload
	v_mov_b32_e32 v18, 0
	v_mov_b32_e32 v16, 0
	;; [unrolled: 1-line block ×4, first 2 shown]
	s_waitcnt vmcnt(0)
	v_mad_i64_i32 v[13:14], s[0:1], v0, s16, v[1:2]
	ds_read_b128 v[1:4], v39
	global_load_dword v15, v[13:14], off
	s_waitcnt vmcnt(0)
	v_cmp_ne_u16_sdwa s[6:7], v15, v5 src0_sel:BYTE_0 src1_sel:DWORD
	s_and_saveexec_b64 s[0:1], s[6:7]
	s_cbranch_execz .LBB210_276
; %bb.271:                              ;   in Loop: Header=BB210_270 Depth=1
	v_bfrev_b32_e32 v16, 1
	v_mov_b32_e32 v17, 0
	v_cmp_ne_u16_sdwa s[12:13], v15, s24 src0_sel:BYTE_0 src1_sel:DWORD
	s_and_saveexec_b64 s[6:7], s[12:13]
	s_cbranch_execz .LBB210_275
; %bb.272:                              ;   in Loop: Header=BB210_270 Depth=1
	v_and_b32_e32 v0, 0x7f, v15
	v_mov_b32_e32 v16, 0x7f800001
	v_mov_b32_e32 v17, 0
	v_cmp_ne_u32_e32 vcc, s25, v0
	s_and_saveexec_b64 s[12:13], vcc
	s_cbranch_execz .LBB210_274
; %bb.273:                              ;   in Loop: Header=BB210_270 Depth=1
	v_and_b32_e32 v11, 7, v15
	v_ffbh_u32_e32 v7, v11
	v_min_u32_e32 v17, 32, v7
	v_lshrrev_b32_e32 v16, 3, v0
	v_subrev_u32_e32 v7, 28, v17
	v_lshlrev_b64 v[7:8], v7, v[15:16]
	v_sub_u32_e32 v8, 29, v17
	v_and_b32_e32 v7, 7, v7
	v_cmp_gt_u32_e32 vcc, 8, v0
	v_cndmask_b32_e32 v0, v16, v8, vcc
	v_cndmask_b32_e32 v7, v11, v7, vcc
	v_lshlrev_b32_e32 v7, 20, v7
	v_and_b32_sdwa v8, sext(v15), s26 dst_sel:DWORD dst_unused:UNUSED_PAD src0_sel:BYTE_0 src1_sel:DWORD
	v_lshl_add_u32 v0, v0, 23, v49
	v_or3_b32 v16, v8, v0, v7
	v_mov_b32_e32 v17, v5
.LBB210_274:                            ;   in Loop: Header=BB210_270 Depth=1
	s_or_b64 exec, exec, s[12:13]
.LBB210_275:                            ;   in Loop: Header=BB210_270 Depth=1
	s_or_b64 exec, exec, s[6:7]
.LBB210_276:                            ;   in Loop: Header=BB210_270 Depth=1
	s_or_b64 exec, exec, s[0:1]
	v_cmp_ne_u16_sdwa s[6:7], v15, v5 src0_sel:BYTE_1 src1_sel:DWORD
	s_and_saveexec_b64 s[0:1], s[6:7]
	s_cbranch_execz .LBB210_282
; %bb.277:                              ;   in Loop: Header=BB210_270 Depth=1
	v_mov_b32_e32 v19, v6
	v_cmp_ne_u16_sdwa s[12:13], v15, s24 src0_sel:BYTE_1 src1_sel:DWORD
	v_mov_b32_e32 v18, v5
	s_and_saveexec_b64 s[6:7], s[12:13]
	s_cbranch_execz .LBB210_281
; %bb.278:                              ;   in Loop: Header=BB210_270 Depth=1
	v_and_b32_sdwa v0, v15, s25 dst_sel:DWORD dst_unused:UNUSED_PAD src0_sel:BYTE_1 src1_sel:DWORD
	v_mov_b32_e32 v11, v5
	v_mov_b32_e32 v19, v12
	v_cmp_ne_u32_e32 vcc, s25, v0
	v_mov_b32_e32 v18, v11
	s_and_saveexec_b64 s[12:13], vcc
	s_cbranch_execz .LBB210_280
; %bb.279:                              ;   in Loop: Header=BB210_270 Depth=1
	v_and_b32_sdwa v7, v15, v52 dst_sel:DWORD dst_unused:UNUSED_PAD src0_sel:BYTE_1 src1_sel:DWORD
	v_ffbh_u32_e32 v18, v7
	v_min_u32_e32 v20, 32, v18
	v_mov_b32_e32 v8, v5
	v_subrev_u32_e32 v18, 28, v20
	v_lshlrev_b64 v[18:19], v18, v[7:8]
	v_lshrrev_b32_e32 v11, 3, v0
	v_sub_u32_e32 v8, 29, v20
	v_cmp_gt_u32_e32 vcc, 8, v0
	v_and_b32_e32 v18, 7, v18
	v_cndmask_b32_e32 v0, v11, v8, vcc
	v_cndmask_b32_e32 v7, v7, v18, vcc
	v_lshlrev_b32_e32 v8, 16, v15
	v_lshl_add_u32 v0, v0, 23, v49
	v_and_or_b32 v0, v8, s26, v0
	v_lshlrev_b32_e32 v7, 20, v7
	v_or_b32_e32 v19, v0, v7
	v_mov_b32_e32 v18, v5
.LBB210_280:                            ;   in Loop: Header=BB210_270 Depth=1
	s_or_b64 exec, exec, s[12:13]
.LBB210_281:                            ;   in Loop: Header=BB210_270 Depth=1
	s_or_b64 exec, exec, s[6:7]
.LBB210_282:                            ;   in Loop: Header=BB210_270 Depth=1
	s_or_b64 exec, exec, s[0:1]
	v_lshrrev_b32_e32 v11, 16, v15
	v_mov_b32_e32 v22, 0
	v_mov_b32_e32 v20, 0
	;; [unrolled: 1-line block ×4, first 2 shown]
	v_cmp_ne_u16_sdwa s[6:7], v11, v5 src0_sel:BYTE_0 src1_sel:DWORD
	s_and_saveexec_b64 s[0:1], s[6:7]
	s_cbranch_execz .LBB210_288
; %bb.283:                              ;   in Loop: Header=BB210_270 Depth=1
	v_bfrev_b32_e32 v20, 1
	v_mov_b32_e32 v21, 0
	v_cmp_ne_u16_sdwa s[12:13], v11, s24 src0_sel:BYTE_0 src1_sel:DWORD
	s_and_saveexec_b64 s[6:7], s[12:13]
	s_cbranch_execz .LBB210_287
; %bb.284:                              ;   in Loop: Header=BB210_270 Depth=1
	v_bfe_u32 v0, v15, 16, 7
	v_mov_b32_e32 v20, 0x7f800001
	v_mov_b32_e32 v21, 0
	v_cmp_ne_u32_e32 vcc, s25, v0
	s_and_saveexec_b64 s[12:13], vcc
	s_cbranch_execz .LBB210_286
; %bb.285:                              ;   in Loop: Header=BB210_270 Depth=1
	v_and_b32_e32 v20, 7, v11
	v_ffbh_u32_e32 v7, v20
	v_min_u32_e32 v24, 32, v7
	v_subrev_u32_e32 v7, 28, v24
	v_lshlrev_b64 v[7:8], v7, v[11:12]
	v_lshrrev_b32_e32 v21, 3, v0
	v_sub_u32_e32 v8, 29, v24
	v_and_b32_e32 v7, 7, v7
	v_cmp_gt_u32_e32 vcc, 8, v0
	v_cndmask_b32_e32 v0, v21, v8, vcc
	v_cndmask_b32_e32 v7, v20, v7, vcc
	v_lshlrev_b32_e32 v7, 20, v7
	v_and_b32_sdwa v8, sext(v11), s26 dst_sel:DWORD dst_unused:UNUSED_PAD src0_sel:BYTE_0 src1_sel:DWORD
	v_lshl_add_u32 v0, v0, 23, v49
	v_or3_b32 v20, v8, v0, v7
	v_mov_b32_e32 v21, v5
.LBB210_286:                            ;   in Loop: Header=BB210_270 Depth=1
	s_or_b64 exec, exec, s[12:13]
.LBB210_287:                            ;   in Loop: Header=BB210_270 Depth=1
	s_or_b64 exec, exec, s[6:7]
.LBB210_288:                            ;   in Loop: Header=BB210_270 Depth=1
	s_or_b64 exec, exec, s[0:1]
	v_cmp_lt_u32_e32 vcc, s27, v15
	s_and_saveexec_b64 s[0:1], vcc
	s_cbranch_execz .LBB210_294
; %bb.289:                              ;   in Loop: Header=BB210_270 Depth=1
	v_mov_b32_e32 v23, v6
	v_cmp_ne_u32_sdwa s[12:13], v15, s24 src0_sel:BYTE_3 src1_sel:DWORD
	v_mov_b32_e32 v22, v5
	s_and_saveexec_b64 s[6:7], s[12:13]
	s_cbranch_execz .LBB210_293
; %bb.290:                              ;   in Loop: Header=BB210_270 Depth=1
	v_bfe_u32 v0, v15, 24, 7
	v_mov_b32_e32 v11, v5
	v_mov_b32_e32 v23, v12
	v_cmp_ne_u32_e32 vcc, s25, v0
	v_mov_b32_e32 v22, v11
	s_and_saveexec_b64 s[12:13], vcc
	s_cbranch_execz .LBB210_292
; %bb.291:                              ;   in Loop: Header=BB210_270 Depth=1
	v_and_b32_sdwa v7, v15, v52 dst_sel:DWORD dst_unused:UNUSED_PAD src0_sel:BYTE_3 src1_sel:DWORD
	v_ffbh_u32_e32 v22, v7
	v_min_u32_e32 v24, 32, v22
	v_mov_b32_e32 v8, v5
	v_subrev_u32_e32 v22, 28, v24
	v_lshlrev_b64 v[22:23], v22, v[7:8]
	v_lshrrev_b32_e32 v11, 3, v0
	v_sub_u32_e32 v8, 29, v24
	v_cmp_gt_u32_e32 vcc, 8, v0
	v_and_b32_e32 v22, 7, v22
	v_cndmask_b32_e32 v0, v11, v8, vcc
	v_cndmask_b32_e32 v7, v7, v22, vcc
	v_lshlrev_b32_sdwa v8, v51, v15 dst_sel:DWORD dst_unused:UNUSED_PAD src0_sel:DWORD src1_sel:BYTE_3
	v_lshl_add_u32 v0, v0, 23, v49
	v_and_or_b32 v0, v8, s26, v0
	v_lshlrev_b32_e32 v7, 20, v7
	v_or_b32_e32 v23, v0, v7
	v_mov_b32_e32 v22, v5
.LBB210_292:                            ;   in Loop: Header=BB210_270 Depth=1
	s_or_b64 exec, exec, s[12:13]
.LBB210_293:                            ;   in Loop: Header=BB210_270 Depth=1
	s_or_b64 exec, exec, s[6:7]
.LBB210_294:                            ;   in Loop: Header=BB210_270 Depth=1
	s_or_b64 exec, exec, s[0:1]
	buffer_load_dword v0, off, s[48:51], 0  ; 4-byte Folded Reload
	v_or_b32_e32 v7, v18, v16
	s_waitcnt vmcnt(0)
	v_cmp_eq_u32_e32 vcc, s19, v0
	v_or_b32_e32 v0, v19, v17
	v_mul_f32_e32 v53, s18, v0
	v_mul_f32_e32 v0, s17, v7
	buffer_store_dword v0, off, s[48:51], 0 offset:20 ; 4-byte Folded Spill
	v_or_b32_e32 v0, v23, v21
	v_or_b32_e32 v7, v22, v20
	v_mul_f32_e32 v7, s17, v7
	v_mul_f32_e32 v0, s18, v0
	buffer_store_dword v7, off, s[48:51], 0 offset:12 ; 4-byte Folded Spill
	buffer_store_dword v0, off, s[48:51], 0 offset:4 ; 4-byte Folded Spill
	s_and_saveexec_b64 s[6:7], vcc
	s_cbranch_execz .LBB210_296
; %bb.295:                              ;   in Loop: Header=BB210_270 Depth=1
	v_add_u32_e32 v0, -3, v38
	v_cmp_gt_i32_e64 s[0:1], s30, v0
	buffer_load_dword v0, off, s[48:51], 0 offset:20 ; 4-byte Folded Reload
	s_waitcnt vmcnt(0)
	v_cndmask_b32_e64 v0, 0, v0, s[0:1]
	buffer_store_dword v0, off, s[48:51], 0 offset:20 ; 4-byte Folded Spill
	v_add_u32_e32 v0, -2, v38
	v_cmp_gt_i32_e64 s[0:1], s30, v0
	v_add_u32_e32 v0, -1, v38
	v_cndmask_b32_e64 v53, 0, v53, s[0:1]
	v_cmp_gt_i32_e64 s[0:1], s30, v0
	buffer_load_dword v0, off, s[48:51], 0 offset:12 ; 4-byte Folded Reload
	s_waitcnt vmcnt(0)
	v_cndmask_b32_e64 v0, 0, v0, s[0:1]
	buffer_store_dword v0, off, s[48:51], 0 offset:12 ; 4-byte Folded Spill
	buffer_load_dword v0, off, s[48:51], 0 offset:4 ; 4-byte Folded Reload
	v_cmp_gt_i32_e64 s[0:1], s30, v38
	s_waitcnt vmcnt(0)
	v_cndmask_b32_e64 v0, 0, v0, s[0:1]
	buffer_store_dword v0, off, s[48:51], 0 offset:4 ; 4-byte Folded Spill
.LBB210_296:                            ;   in Loop: Header=BB210_270 Depth=1
	s_or_b64 exec, exec, s[6:7]
	global_load_dword v15, v[13:14], off offset:256
	v_mov_b32_e32 v18, 0
	v_mov_b32_e32 v16, 0
	;; [unrolled: 1-line block ×4, first 2 shown]
	s_waitcnt vmcnt(0)
	v_cmp_ne_u16_sdwa s[0:1], v15, v5 src0_sel:BYTE_0 src1_sel:DWORD
	s_and_saveexec_b64 s[6:7], s[0:1]
	s_cbranch_execz .LBB210_302
; %bb.297:                              ;   in Loop: Header=BB210_270 Depth=1
	v_bfrev_b32_e32 v16, 1
	v_mov_b32_e32 v17, 0
	v_cmp_ne_u16_sdwa s[0:1], v15, s24 src0_sel:BYTE_0 src1_sel:DWORD
	s_and_saveexec_b64 s[12:13], s[0:1]
	s_cbranch_execz .LBB210_301
; %bb.298:                              ;   in Loop: Header=BB210_270 Depth=1
	v_and_b32_e32 v0, 0x7f, v15
	v_mov_b32_e32 v16, 0x7f800001
	v_mov_b32_e32 v17, 0
	v_cmp_ne_u32_e64 s[0:1], s25, v0
	s_and_saveexec_b64 s[14:15], s[0:1]
	s_cbranch_execz .LBB210_300
; %bb.299:                              ;   in Loop: Header=BB210_270 Depth=1
	v_and_b32_e32 v11, 7, v15
	v_ffbh_u32_e32 v7, v11
	v_min_u32_e32 v17, 32, v7
	v_lshrrev_b32_e32 v16, 3, v0
	v_subrev_u32_e32 v7, 28, v17
	v_lshlrev_b64 v[7:8], v7, v[15:16]
	v_sub_u32_e32 v8, 29, v17
	v_and_b32_e32 v7, 7, v7
	v_cmp_gt_u32_e64 s[0:1], 8, v0
	v_cndmask_b32_e64 v0, v16, v8, s[0:1]
	v_cndmask_b32_e64 v7, v11, v7, s[0:1]
	v_lshlrev_b32_e32 v7, 20, v7
	v_and_b32_sdwa v8, sext(v15), s26 dst_sel:DWORD dst_unused:UNUSED_PAD src0_sel:BYTE_0 src1_sel:DWORD
	v_lshl_add_u32 v0, v0, 23, v49
	v_or3_b32 v16, v8, v0, v7
	v_mov_b32_e32 v17, v5
.LBB210_300:                            ;   in Loop: Header=BB210_270 Depth=1
	s_or_b64 exec, exec, s[14:15]
.LBB210_301:                            ;   in Loop: Header=BB210_270 Depth=1
	s_or_b64 exec, exec, s[12:13]
.LBB210_302:                            ;   in Loop: Header=BB210_270 Depth=1
	s_or_b64 exec, exec, s[6:7]
	v_cmp_ne_u16_sdwa s[0:1], v15, v5 src0_sel:BYTE_1 src1_sel:DWORD
	s_and_saveexec_b64 s[6:7], s[0:1]
	s_cbranch_execz .LBB210_308
; %bb.303:                              ;   in Loop: Header=BB210_270 Depth=1
	v_mov_b32_e32 v19, v6
	v_cmp_ne_u16_sdwa s[0:1], v15, s24 src0_sel:BYTE_1 src1_sel:DWORD
	v_mov_b32_e32 v18, v5
	s_and_saveexec_b64 s[12:13], s[0:1]
	s_cbranch_execz .LBB210_307
; %bb.304:                              ;   in Loop: Header=BB210_270 Depth=1
	v_and_b32_sdwa v0, v15, s25 dst_sel:DWORD dst_unused:UNUSED_PAD src0_sel:BYTE_1 src1_sel:DWORD
	v_mov_b32_e32 v11, v5
	v_mov_b32_e32 v19, v12
	v_cmp_ne_u32_e64 s[0:1], s25, v0
	v_mov_b32_e32 v18, v11
	s_and_saveexec_b64 s[14:15], s[0:1]
	s_cbranch_execz .LBB210_306
; %bb.305:                              ;   in Loop: Header=BB210_270 Depth=1
	v_and_b32_sdwa v7, v15, v52 dst_sel:DWORD dst_unused:UNUSED_PAD src0_sel:BYTE_1 src1_sel:DWORD
	v_ffbh_u32_e32 v18, v7
	v_min_u32_e32 v20, 32, v18
	v_mov_b32_e32 v8, v5
	v_subrev_u32_e32 v18, 28, v20
	v_lshlrev_b64 v[18:19], v18, v[7:8]
	v_lshrrev_b32_e32 v11, 3, v0
	v_sub_u32_e32 v8, 29, v20
	v_cmp_gt_u32_e64 s[0:1], 8, v0
	v_and_b32_e32 v18, 7, v18
	v_cndmask_b32_e64 v0, v11, v8, s[0:1]
	v_cndmask_b32_e64 v7, v7, v18, s[0:1]
	v_lshlrev_b32_e32 v8, 16, v15
	v_lshl_add_u32 v0, v0, 23, v49
	v_and_or_b32 v0, v8, s26, v0
	v_lshlrev_b32_e32 v7, 20, v7
	v_or_b32_e32 v19, v0, v7
	v_mov_b32_e32 v18, v5
.LBB210_306:                            ;   in Loop: Header=BB210_270 Depth=1
	s_or_b64 exec, exec, s[14:15]
.LBB210_307:                            ;   in Loop: Header=BB210_270 Depth=1
	s_or_b64 exec, exec, s[12:13]
.LBB210_308:                            ;   in Loop: Header=BB210_270 Depth=1
	s_or_b64 exec, exec, s[6:7]
	v_lshrrev_b32_e32 v11, 16, v15
	v_mov_b32_e32 v22, 0
	v_mov_b32_e32 v20, 0
	;; [unrolled: 1-line block ×4, first 2 shown]
	v_cmp_ne_u16_sdwa s[0:1], v11, v5 src0_sel:BYTE_0 src1_sel:DWORD
	s_and_saveexec_b64 s[6:7], s[0:1]
	s_cbranch_execz .LBB210_314
; %bb.309:                              ;   in Loop: Header=BB210_270 Depth=1
	v_bfrev_b32_e32 v20, 1
	v_mov_b32_e32 v21, 0
	v_cmp_ne_u16_sdwa s[0:1], v11, s24 src0_sel:BYTE_0 src1_sel:DWORD
	s_and_saveexec_b64 s[12:13], s[0:1]
	s_cbranch_execz .LBB210_313
; %bb.310:                              ;   in Loop: Header=BB210_270 Depth=1
	v_bfe_u32 v0, v15, 16, 7
	v_mov_b32_e32 v20, 0x7f800001
	v_mov_b32_e32 v21, 0
	v_cmp_ne_u32_e64 s[0:1], s25, v0
	s_and_saveexec_b64 s[14:15], s[0:1]
	s_cbranch_execz .LBB210_312
; %bb.311:                              ;   in Loop: Header=BB210_270 Depth=1
	v_and_b32_e32 v20, 7, v11
	v_ffbh_u32_e32 v7, v20
	v_min_u32_e32 v24, 32, v7
	v_subrev_u32_e32 v7, 28, v24
	v_lshlrev_b64 v[7:8], v7, v[11:12]
	v_lshrrev_b32_e32 v21, 3, v0
	v_sub_u32_e32 v8, 29, v24
	v_and_b32_e32 v7, 7, v7
	v_cmp_gt_u32_e64 s[0:1], 8, v0
	v_cndmask_b32_e64 v0, v21, v8, s[0:1]
	v_cndmask_b32_e64 v7, v20, v7, s[0:1]
	v_lshlrev_b32_e32 v7, 20, v7
	v_and_b32_sdwa v8, sext(v11), s26 dst_sel:DWORD dst_unused:UNUSED_PAD src0_sel:BYTE_0 src1_sel:DWORD
	v_lshl_add_u32 v0, v0, 23, v49
	v_or3_b32 v20, v8, v0, v7
	v_mov_b32_e32 v21, v5
.LBB210_312:                            ;   in Loop: Header=BB210_270 Depth=1
	s_or_b64 exec, exec, s[14:15]
.LBB210_313:                            ;   in Loop: Header=BB210_270 Depth=1
	s_or_b64 exec, exec, s[12:13]
.LBB210_314:                            ;   in Loop: Header=BB210_270 Depth=1
	s_or_b64 exec, exec, s[6:7]
	v_cmp_lt_u32_e64 s[0:1], s27, v15
	s_and_saveexec_b64 s[6:7], s[0:1]
	s_cbranch_execz .LBB210_320
; %bb.315:                              ;   in Loop: Header=BB210_270 Depth=1
	v_mov_b32_e32 v23, v6
	v_cmp_ne_u32_sdwa s[0:1], v15, s24 src0_sel:BYTE_3 src1_sel:DWORD
	v_mov_b32_e32 v22, v5
	s_and_saveexec_b64 s[12:13], s[0:1]
	s_cbranch_execz .LBB210_319
; %bb.316:                              ;   in Loop: Header=BB210_270 Depth=1
	v_bfe_u32 v0, v15, 24, 7
	v_mov_b32_e32 v11, v5
	v_mov_b32_e32 v23, v12
	v_cmp_ne_u32_e64 s[0:1], s25, v0
	v_mov_b32_e32 v22, v11
	s_and_saveexec_b64 s[14:15], s[0:1]
	s_cbranch_execz .LBB210_318
; %bb.317:                              ;   in Loop: Header=BB210_270 Depth=1
	v_and_b32_sdwa v7, v15, v52 dst_sel:DWORD dst_unused:UNUSED_PAD src0_sel:BYTE_3 src1_sel:DWORD
	v_ffbh_u32_e32 v22, v7
	v_min_u32_e32 v24, 32, v22
	v_mov_b32_e32 v8, v5
	v_subrev_u32_e32 v22, 28, v24
	v_lshlrev_b64 v[22:23], v22, v[7:8]
	v_lshrrev_b32_e32 v11, 3, v0
	v_sub_u32_e32 v8, 29, v24
	v_cmp_gt_u32_e64 s[0:1], 8, v0
	v_and_b32_e32 v22, 7, v22
	v_cndmask_b32_e64 v0, v11, v8, s[0:1]
	v_cndmask_b32_e64 v7, v7, v22, s[0:1]
	v_lshlrev_b32_sdwa v8, v51, v15 dst_sel:DWORD dst_unused:UNUSED_PAD src0_sel:DWORD src1_sel:BYTE_3
	v_lshl_add_u32 v0, v0, 23, v49
	v_and_or_b32 v0, v8, s26, v0
	v_lshlrev_b32_e32 v7, 20, v7
	v_or_b32_e32 v23, v0, v7
	v_mov_b32_e32 v22, v5
.LBB210_318:                            ;   in Loop: Header=BB210_270 Depth=1
	s_or_b64 exec, exec, s[14:15]
.LBB210_319:                            ;   in Loop: Header=BB210_270 Depth=1
	s_or_b64 exec, exec, s[12:13]
.LBB210_320:                            ;   in Loop: Header=BB210_270 Depth=1
	s_or_b64 exec, exec, s[6:7]
	v_or_b32_e32 v0, v19, v17
	v_or_b32_e32 v7, v18, v16
	v_mul_f32_e32 v0, s18, v0
	buffer_store_dword v0, off, s[48:51], 0 offset:28 ; 4-byte Folded Spill
	v_mul_f32_e32 v0, s17, v7
	buffer_store_dword v0, off, s[48:51], 0 offset:52 ; 4-byte Folded Spill
	v_or_b32_e32 v0, v23, v21
	v_or_b32_e32 v7, v22, v20
	v_mul_f32_e32 v7, s17, v7
	v_mul_f32_e32 v0, s18, v0
	buffer_store_dword v7, off, s[48:51], 0 offset:44 ; 4-byte Folded Spill
	buffer_store_dword v0, off, s[48:51], 0 offset:36 ; 4-byte Folded Spill
	s_and_saveexec_b64 s[6:7], vcc
	s_cbranch_execz .LBB210_322
; %bb.321:                              ;   in Loop: Header=BB210_270 Depth=1
	v_add_u32_e32 v0, -3, v38
	v_cmp_gt_i32_e64 s[0:1], s30, v0
	buffer_load_dword v0, off, s[48:51], 0 offset:52 ; 4-byte Folded Reload
	s_waitcnt vmcnt(0)
	v_cndmask_b32_e64 v0, 0, v0, s[0:1]
	buffer_store_dword v0, off, s[48:51], 0 offset:52 ; 4-byte Folded Spill
	v_add_u32_e32 v0, -2, v38
	v_cmp_gt_i32_e64 s[0:1], s30, v0
	buffer_load_dword v0, off, s[48:51], 0 offset:28 ; 4-byte Folded Reload
	s_waitcnt vmcnt(0)
	v_cndmask_b32_e64 v0, 0, v0, s[0:1]
	buffer_store_dword v0, off, s[48:51], 0 offset:28 ; 4-byte Folded Spill
	;; [unrolled: 6-line block ×3, first 2 shown]
	buffer_load_dword v0, off, s[48:51], 0 offset:36 ; 4-byte Folded Reload
	v_cmp_gt_i32_e64 s[0:1], s30, v38
	s_waitcnt vmcnt(0)
	v_cndmask_b32_e64 v0, 0, v0, s[0:1]
	buffer_store_dword v0, off, s[48:51], 0 offset:36 ; 4-byte Folded Spill
.LBB210_322:                            ;   in Loop: Header=BB210_270 Depth=1
	s_or_b64 exec, exec, s[6:7]
	global_load_dword v15, v[13:14], off offset:512
	v_mov_b32_e32 v18, 0
	v_mov_b32_e32 v16, 0
	;; [unrolled: 1-line block ×4, first 2 shown]
	s_waitcnt vmcnt(0)
	v_cmp_ne_u16_sdwa s[0:1], v15, v5 src0_sel:BYTE_0 src1_sel:DWORD
	s_and_saveexec_b64 s[6:7], s[0:1]
	s_cbranch_execz .LBB210_328
; %bb.323:                              ;   in Loop: Header=BB210_270 Depth=1
	v_bfrev_b32_e32 v16, 1
	v_mov_b32_e32 v17, 0
	v_cmp_ne_u16_sdwa s[0:1], v15, s24 src0_sel:BYTE_0 src1_sel:DWORD
	s_and_saveexec_b64 s[12:13], s[0:1]
	s_cbranch_execz .LBB210_327
; %bb.324:                              ;   in Loop: Header=BB210_270 Depth=1
	v_and_b32_e32 v0, 0x7f, v15
	v_mov_b32_e32 v16, 0x7f800001
	v_mov_b32_e32 v17, 0
	v_cmp_ne_u32_e64 s[0:1], s25, v0
	s_and_saveexec_b64 s[14:15], s[0:1]
	s_cbranch_execz .LBB210_326
; %bb.325:                              ;   in Loop: Header=BB210_270 Depth=1
	v_and_b32_e32 v11, 7, v15
	v_ffbh_u32_e32 v7, v11
	v_min_u32_e32 v17, 32, v7
	v_lshrrev_b32_e32 v16, 3, v0
	v_subrev_u32_e32 v7, 28, v17
	v_lshlrev_b64 v[7:8], v7, v[15:16]
	v_sub_u32_e32 v8, 29, v17
	v_and_b32_e32 v7, 7, v7
	v_cmp_gt_u32_e64 s[0:1], 8, v0
	v_cndmask_b32_e64 v0, v16, v8, s[0:1]
	v_cndmask_b32_e64 v7, v11, v7, s[0:1]
	v_lshlrev_b32_e32 v7, 20, v7
	v_and_b32_sdwa v8, sext(v15), s26 dst_sel:DWORD dst_unused:UNUSED_PAD src0_sel:BYTE_0 src1_sel:DWORD
	v_lshl_add_u32 v0, v0, 23, v49
	v_or3_b32 v16, v8, v0, v7
	v_mov_b32_e32 v17, v5
.LBB210_326:                            ;   in Loop: Header=BB210_270 Depth=1
	s_or_b64 exec, exec, s[14:15]
.LBB210_327:                            ;   in Loop: Header=BB210_270 Depth=1
	s_or_b64 exec, exec, s[12:13]
.LBB210_328:                            ;   in Loop: Header=BB210_270 Depth=1
	s_or_b64 exec, exec, s[6:7]
	v_cmp_ne_u16_sdwa s[0:1], v15, v5 src0_sel:BYTE_1 src1_sel:DWORD
	s_and_saveexec_b64 s[6:7], s[0:1]
	s_cbranch_execz .LBB210_334
; %bb.329:                              ;   in Loop: Header=BB210_270 Depth=1
	v_mov_b32_e32 v19, v6
	v_cmp_ne_u16_sdwa s[0:1], v15, s24 src0_sel:BYTE_1 src1_sel:DWORD
	v_mov_b32_e32 v18, v5
	s_and_saveexec_b64 s[12:13], s[0:1]
	s_cbranch_execz .LBB210_333
; %bb.330:                              ;   in Loop: Header=BB210_270 Depth=1
	v_and_b32_sdwa v0, v15, s25 dst_sel:DWORD dst_unused:UNUSED_PAD src0_sel:BYTE_1 src1_sel:DWORD
	v_mov_b32_e32 v11, v5
	v_mov_b32_e32 v19, v12
	v_cmp_ne_u32_e64 s[0:1], s25, v0
	v_mov_b32_e32 v18, v11
	s_and_saveexec_b64 s[14:15], s[0:1]
	s_cbranch_execz .LBB210_332
; %bb.331:                              ;   in Loop: Header=BB210_270 Depth=1
	v_and_b32_sdwa v7, v15, v52 dst_sel:DWORD dst_unused:UNUSED_PAD src0_sel:BYTE_1 src1_sel:DWORD
	v_ffbh_u32_e32 v18, v7
	v_min_u32_e32 v20, 32, v18
	v_mov_b32_e32 v8, v5
	v_subrev_u32_e32 v18, 28, v20
	v_lshlrev_b64 v[18:19], v18, v[7:8]
	v_lshrrev_b32_e32 v11, 3, v0
	v_sub_u32_e32 v8, 29, v20
	v_cmp_gt_u32_e64 s[0:1], 8, v0
	v_and_b32_e32 v18, 7, v18
	v_cndmask_b32_e64 v0, v11, v8, s[0:1]
	v_cndmask_b32_e64 v7, v7, v18, s[0:1]
	v_lshlrev_b32_e32 v8, 16, v15
	v_lshl_add_u32 v0, v0, 23, v49
	v_and_or_b32 v0, v8, s26, v0
	v_lshlrev_b32_e32 v7, 20, v7
	v_or_b32_e32 v19, v0, v7
	v_mov_b32_e32 v18, v5
.LBB210_332:                            ;   in Loop: Header=BB210_270 Depth=1
	s_or_b64 exec, exec, s[14:15]
.LBB210_333:                            ;   in Loop: Header=BB210_270 Depth=1
	s_or_b64 exec, exec, s[12:13]
.LBB210_334:                            ;   in Loop: Header=BB210_270 Depth=1
	s_or_b64 exec, exec, s[6:7]
	v_lshrrev_b32_e32 v11, 16, v15
	v_mov_b32_e32 v22, 0
	v_mov_b32_e32 v20, 0
	;; [unrolled: 1-line block ×4, first 2 shown]
	v_cmp_ne_u16_sdwa s[0:1], v11, v5 src0_sel:BYTE_0 src1_sel:DWORD
	s_and_saveexec_b64 s[6:7], s[0:1]
	s_cbranch_execz .LBB210_340
; %bb.335:                              ;   in Loop: Header=BB210_270 Depth=1
	v_bfrev_b32_e32 v20, 1
	v_mov_b32_e32 v21, 0
	v_cmp_ne_u16_sdwa s[0:1], v11, s24 src0_sel:BYTE_0 src1_sel:DWORD
	s_and_saveexec_b64 s[12:13], s[0:1]
	s_cbranch_execz .LBB210_339
; %bb.336:                              ;   in Loop: Header=BB210_270 Depth=1
	v_bfe_u32 v0, v15, 16, 7
	v_mov_b32_e32 v20, 0x7f800001
	v_mov_b32_e32 v21, 0
	v_cmp_ne_u32_e64 s[0:1], s25, v0
	s_and_saveexec_b64 s[14:15], s[0:1]
	s_cbranch_execz .LBB210_338
; %bb.337:                              ;   in Loop: Header=BB210_270 Depth=1
	v_and_b32_e32 v20, 7, v11
	v_ffbh_u32_e32 v7, v20
	v_min_u32_e32 v24, 32, v7
	v_subrev_u32_e32 v7, 28, v24
	v_lshlrev_b64 v[7:8], v7, v[11:12]
	v_lshrrev_b32_e32 v21, 3, v0
	v_sub_u32_e32 v8, 29, v24
	v_and_b32_e32 v7, 7, v7
	v_cmp_gt_u32_e64 s[0:1], 8, v0
	v_cndmask_b32_e64 v0, v21, v8, s[0:1]
	v_cndmask_b32_e64 v7, v20, v7, s[0:1]
	v_lshlrev_b32_e32 v7, 20, v7
	v_and_b32_sdwa v8, sext(v11), s26 dst_sel:DWORD dst_unused:UNUSED_PAD src0_sel:BYTE_0 src1_sel:DWORD
	v_lshl_add_u32 v0, v0, 23, v49
	v_or3_b32 v20, v8, v0, v7
	v_mov_b32_e32 v21, v5
.LBB210_338:                            ;   in Loop: Header=BB210_270 Depth=1
	s_or_b64 exec, exec, s[14:15]
.LBB210_339:                            ;   in Loop: Header=BB210_270 Depth=1
	s_or_b64 exec, exec, s[12:13]
.LBB210_340:                            ;   in Loop: Header=BB210_270 Depth=1
	s_or_b64 exec, exec, s[6:7]
	v_cmp_lt_u32_e64 s[0:1], s27, v15
	s_and_saveexec_b64 s[6:7], s[0:1]
	s_cbranch_execz .LBB210_346
; %bb.341:                              ;   in Loop: Header=BB210_270 Depth=1
	v_mov_b32_e32 v23, v6
	v_cmp_ne_u32_sdwa s[0:1], v15, s24 src0_sel:BYTE_3 src1_sel:DWORD
	v_mov_b32_e32 v22, v5
	s_and_saveexec_b64 s[12:13], s[0:1]
	s_cbranch_execz .LBB210_345
; %bb.342:                              ;   in Loop: Header=BB210_270 Depth=1
	v_bfe_u32 v0, v15, 24, 7
	v_mov_b32_e32 v11, v5
	v_mov_b32_e32 v23, v12
	v_cmp_ne_u32_e64 s[0:1], s25, v0
	v_mov_b32_e32 v22, v11
	s_and_saveexec_b64 s[14:15], s[0:1]
	s_cbranch_execz .LBB210_344
; %bb.343:                              ;   in Loop: Header=BB210_270 Depth=1
	v_and_b32_sdwa v7, v15, v52 dst_sel:DWORD dst_unused:UNUSED_PAD src0_sel:BYTE_3 src1_sel:DWORD
	v_ffbh_u32_e32 v22, v7
	v_min_u32_e32 v24, 32, v22
	v_mov_b32_e32 v8, v5
	v_subrev_u32_e32 v22, 28, v24
	v_lshlrev_b64 v[22:23], v22, v[7:8]
	v_lshrrev_b32_e32 v11, 3, v0
	v_sub_u32_e32 v8, 29, v24
	v_cmp_gt_u32_e64 s[0:1], 8, v0
	v_and_b32_e32 v22, 7, v22
	v_cndmask_b32_e64 v0, v11, v8, s[0:1]
	v_cndmask_b32_e64 v7, v7, v22, s[0:1]
	v_lshlrev_b32_sdwa v8, v51, v15 dst_sel:DWORD dst_unused:UNUSED_PAD src0_sel:DWORD src1_sel:BYTE_3
	v_lshl_add_u32 v0, v0, 23, v49
	v_and_or_b32 v0, v8, s26, v0
	v_lshlrev_b32_e32 v7, 20, v7
	v_or_b32_e32 v23, v0, v7
	v_mov_b32_e32 v22, v5
.LBB210_344:                            ;   in Loop: Header=BB210_270 Depth=1
	s_or_b64 exec, exec, s[14:15]
.LBB210_345:                            ;   in Loop: Header=BB210_270 Depth=1
	s_or_b64 exec, exec, s[12:13]
.LBB210_346:                            ;   in Loop: Header=BB210_270 Depth=1
	s_or_b64 exec, exec, s[6:7]
	v_or_b32_e32 v0, v19, v17
	v_or_b32_e32 v7, v18, v16
	v_mul_f32_e32 v54, s18, v0
	v_mul_f32_e32 v57, s17, v7
	v_or_b32_e32 v0, v23, v21
	v_or_b32_e32 v7, v22, v20
	v_mul_f32_e32 v56, s17, v7
	v_mul_f32_e32 v55, s18, v0
	s_and_saveexec_b64 s[6:7], vcc
	s_cbranch_execz .LBB210_348
; %bb.347:                              ;   in Loop: Header=BB210_270 Depth=1
	v_add_u32_e32 v0, -3, v38
	v_cmp_gt_i32_e64 s[0:1], s30, v0
	v_add_u32_e32 v0, -2, v38
	v_cndmask_b32_e64 v57, 0, v57, s[0:1]
	v_cmp_gt_i32_e64 s[0:1], s30, v0
	v_add_u32_e32 v0, -1, v38
	v_cndmask_b32_e64 v54, 0, v54, s[0:1]
	v_cmp_gt_i32_e64 s[0:1], s30, v0
	v_cndmask_b32_e64 v56, 0, v56, s[0:1]
	v_cmp_gt_i32_e64 s[0:1], s30, v38
	v_cndmask_b32_e64 v55, 0, v55, s[0:1]
.LBB210_348:                            ;   in Loop: Header=BB210_270 Depth=1
	s_or_b64 exec, exec, s[6:7]
	global_load_dword v15, v[13:14], off offset:768
	v_mov_b32_e32 v18, 0
	v_mov_b32_e32 v16, 0
	;; [unrolled: 1-line block ×4, first 2 shown]
	s_waitcnt vmcnt(0)
	v_cmp_ne_u16_sdwa s[0:1], v15, v5 src0_sel:BYTE_0 src1_sel:DWORD
	s_and_saveexec_b64 s[6:7], s[0:1]
	s_cbranch_execz .LBB210_354
; %bb.349:                              ;   in Loop: Header=BB210_270 Depth=1
	v_bfrev_b32_e32 v16, 1
	v_mov_b32_e32 v17, 0
	v_cmp_ne_u16_sdwa s[0:1], v15, s24 src0_sel:BYTE_0 src1_sel:DWORD
	s_and_saveexec_b64 s[12:13], s[0:1]
	s_cbranch_execz .LBB210_353
; %bb.350:                              ;   in Loop: Header=BB210_270 Depth=1
	v_and_b32_e32 v0, 0x7f, v15
	v_mov_b32_e32 v16, 0x7f800001
	v_mov_b32_e32 v17, 0
	v_cmp_ne_u32_e64 s[0:1], s25, v0
	s_and_saveexec_b64 s[14:15], s[0:1]
	s_cbranch_execz .LBB210_352
; %bb.351:                              ;   in Loop: Header=BB210_270 Depth=1
	v_and_b32_e32 v11, 7, v15
	v_ffbh_u32_e32 v7, v11
	v_min_u32_e32 v17, 32, v7
	v_lshrrev_b32_e32 v16, 3, v0
	v_subrev_u32_e32 v7, 28, v17
	v_lshlrev_b64 v[7:8], v7, v[15:16]
	v_sub_u32_e32 v8, 29, v17
	v_and_b32_e32 v7, 7, v7
	v_cmp_gt_u32_e64 s[0:1], 8, v0
	v_cndmask_b32_e64 v0, v16, v8, s[0:1]
	v_cndmask_b32_e64 v7, v11, v7, s[0:1]
	v_lshlrev_b32_e32 v7, 20, v7
	v_and_b32_sdwa v8, sext(v15), s26 dst_sel:DWORD dst_unused:UNUSED_PAD src0_sel:BYTE_0 src1_sel:DWORD
	v_lshl_add_u32 v0, v0, 23, v49
	v_or3_b32 v16, v8, v0, v7
	v_mov_b32_e32 v17, v5
.LBB210_352:                            ;   in Loop: Header=BB210_270 Depth=1
	s_or_b64 exec, exec, s[14:15]
.LBB210_353:                            ;   in Loop: Header=BB210_270 Depth=1
	s_or_b64 exec, exec, s[12:13]
.LBB210_354:                            ;   in Loop: Header=BB210_270 Depth=1
	s_or_b64 exec, exec, s[6:7]
	v_cmp_ne_u16_sdwa s[0:1], v15, v5 src0_sel:BYTE_1 src1_sel:DWORD
	s_and_saveexec_b64 s[6:7], s[0:1]
	s_cbranch_execz .LBB210_360
; %bb.355:                              ;   in Loop: Header=BB210_270 Depth=1
	v_mov_b32_e32 v19, v6
	v_cmp_ne_u16_sdwa s[0:1], v15, s24 src0_sel:BYTE_1 src1_sel:DWORD
	v_mov_b32_e32 v18, v5
	s_and_saveexec_b64 s[12:13], s[0:1]
	s_cbranch_execz .LBB210_359
; %bb.356:                              ;   in Loop: Header=BB210_270 Depth=1
	v_and_b32_sdwa v0, v15, s25 dst_sel:DWORD dst_unused:UNUSED_PAD src0_sel:BYTE_1 src1_sel:DWORD
	v_mov_b32_e32 v11, v5
	v_mov_b32_e32 v19, v12
	v_cmp_ne_u32_e64 s[0:1], s25, v0
	v_mov_b32_e32 v18, v11
	s_and_saveexec_b64 s[14:15], s[0:1]
	s_cbranch_execz .LBB210_358
; %bb.357:                              ;   in Loop: Header=BB210_270 Depth=1
	v_and_b32_sdwa v7, v15, v52 dst_sel:DWORD dst_unused:UNUSED_PAD src0_sel:BYTE_1 src1_sel:DWORD
	v_ffbh_u32_e32 v18, v7
	v_min_u32_e32 v20, 32, v18
	v_mov_b32_e32 v8, v5
	v_subrev_u32_e32 v18, 28, v20
	v_lshlrev_b64 v[18:19], v18, v[7:8]
	v_lshrrev_b32_e32 v11, 3, v0
	v_sub_u32_e32 v8, 29, v20
	v_cmp_gt_u32_e64 s[0:1], 8, v0
	v_and_b32_e32 v18, 7, v18
	v_cndmask_b32_e64 v0, v11, v8, s[0:1]
	v_cndmask_b32_e64 v7, v7, v18, s[0:1]
	v_lshlrev_b32_e32 v8, 16, v15
	v_lshl_add_u32 v0, v0, 23, v49
	v_and_or_b32 v0, v8, s26, v0
	v_lshlrev_b32_e32 v7, 20, v7
	v_or_b32_e32 v19, v0, v7
	v_mov_b32_e32 v18, v5
.LBB210_358:                            ;   in Loop: Header=BB210_270 Depth=1
	s_or_b64 exec, exec, s[14:15]
.LBB210_359:                            ;   in Loop: Header=BB210_270 Depth=1
	s_or_b64 exec, exec, s[12:13]
.LBB210_360:                            ;   in Loop: Header=BB210_270 Depth=1
	s_or_b64 exec, exec, s[6:7]
	v_lshrrev_b32_e32 v11, 16, v15
	v_mov_b32_e32 v22, 0
	v_mov_b32_e32 v20, 0
	v_mov_b32_e32 v23, 0
	v_mov_b32_e32 v21, 0
	v_cmp_ne_u16_sdwa s[0:1], v11, v5 src0_sel:BYTE_0 src1_sel:DWORD
	s_and_saveexec_b64 s[6:7], s[0:1]
	s_cbranch_execz .LBB210_366
; %bb.361:                              ;   in Loop: Header=BB210_270 Depth=1
	v_bfrev_b32_e32 v20, 1
	v_mov_b32_e32 v21, 0
	v_cmp_ne_u16_sdwa s[0:1], v11, s24 src0_sel:BYTE_0 src1_sel:DWORD
	s_and_saveexec_b64 s[12:13], s[0:1]
	s_cbranch_execz .LBB210_365
; %bb.362:                              ;   in Loop: Header=BB210_270 Depth=1
	v_bfe_u32 v0, v15, 16, 7
	v_mov_b32_e32 v20, 0x7f800001
	v_mov_b32_e32 v21, 0
	v_cmp_ne_u32_e64 s[0:1], s25, v0
	s_and_saveexec_b64 s[14:15], s[0:1]
	s_cbranch_execz .LBB210_364
; %bb.363:                              ;   in Loop: Header=BB210_270 Depth=1
	v_and_b32_e32 v20, 7, v11
	v_lshrrev_b32_e32 v21, 3, v0
	v_cmp_gt_u32_e64 s[0:1], 8, v0
	v_ffbh_u32_e32 v0, v20
	v_min_u32_e32 v0, 32, v0
	v_subrev_u32_e32 v7, 28, v0
	v_lshlrev_b64 v[7:8], v7, v[11:12]
	v_sub_u32_e32 v0, 29, v0
	v_and_b32_e32 v7, 7, v7
	v_cndmask_b32_e64 v0, v21, v0, s[0:1]
	v_cndmask_b32_e64 v7, v20, v7, s[0:1]
	v_lshlrev_b32_e32 v7, 20, v7
	v_and_b32_sdwa v8, sext(v11), s26 dst_sel:DWORD dst_unused:UNUSED_PAD src0_sel:BYTE_0 src1_sel:DWORD
	v_lshl_add_u32 v0, v0, 23, v49
	v_or3_b32 v20, v8, v0, v7
	v_mov_b32_e32 v21, v5
.LBB210_364:                            ;   in Loop: Header=BB210_270 Depth=1
	s_or_b64 exec, exec, s[14:15]
.LBB210_365:                            ;   in Loop: Header=BB210_270 Depth=1
	s_or_b64 exec, exec, s[12:13]
.LBB210_366:                            ;   in Loop: Header=BB210_270 Depth=1
	s_or_b64 exec, exec, s[6:7]
	v_cmp_lt_u32_e64 s[0:1], s27, v15
	s_and_saveexec_b64 s[6:7], s[0:1]
	s_cbranch_execz .LBB210_372
; %bb.367:                              ;   in Loop: Header=BB210_270 Depth=1
	v_mov_b32_e32 v23, v6
	v_cmp_ne_u32_sdwa s[0:1], v15, s24 src0_sel:BYTE_3 src1_sel:DWORD
	v_mov_b32_e32 v22, v5
	s_and_saveexec_b64 s[12:13], s[0:1]
	s_cbranch_execz .LBB210_371
; %bb.368:                              ;   in Loop: Header=BB210_270 Depth=1
	v_bfe_u32 v0, v15, 24, 7
	v_mov_b32_e32 v11, v5
	v_mov_b32_e32 v23, v12
	v_cmp_ne_u32_e64 s[0:1], s25, v0
	v_mov_b32_e32 v22, v11
	s_and_saveexec_b64 s[14:15], s[0:1]
	s_cbranch_execz .LBB210_370
; %bb.369:                              ;   in Loop: Header=BB210_270 Depth=1
	v_and_b32_sdwa v7, v15, v52 dst_sel:DWORD dst_unused:UNUSED_PAD src0_sel:BYTE_3 src1_sel:DWORD
	v_lshrrev_b32_e32 v11, 3, v0
	v_cmp_gt_u32_e64 s[0:1], 8, v0
	v_ffbh_u32_e32 v0, v7
	v_min_u32_e32 v0, 32, v0
	v_mov_b32_e32 v8, v5
	v_subrev_u32_e32 v22, 28, v0
	v_lshlrev_b64 v[22:23], v22, v[7:8]
	v_sub_u32_e32 v0, 29, v0
	v_and_b32_e32 v8, 7, v22
	v_cndmask_b32_e64 v0, v11, v0, s[0:1]
	v_cndmask_b32_e64 v7, v7, v8, s[0:1]
	v_lshlrev_b32_sdwa v8, v51, v15 dst_sel:DWORD dst_unused:UNUSED_PAD src0_sel:DWORD src1_sel:BYTE_3
	v_lshl_add_u32 v0, v0, 23, v49
	v_and_or_b32 v0, v8, s26, v0
	v_lshlrev_b32_e32 v7, 20, v7
	v_or_b32_e32 v23, v0, v7
	v_mov_b32_e32 v22, v5
.LBB210_370:                            ;   in Loop: Header=BB210_270 Depth=1
	s_or_b64 exec, exec, s[14:15]
.LBB210_371:                            ;   in Loop: Header=BB210_270 Depth=1
	s_or_b64 exec, exec, s[12:13]
.LBB210_372:                            ;   in Loop: Header=BB210_270 Depth=1
	s_or_b64 exec, exec, s[6:7]
	v_or_b32_e32 v0, v19, v17
	v_or_b32_e32 v7, v18, v16
	v_mul_f32_e32 v58, s18, v0
	v_mul_f32_e32 v61, s17, v7
	v_or_b32_e32 v0, v23, v21
	v_or_b32_e32 v7, v22, v20
	v_mul_f32_e32 v60, s17, v7
	v_mul_f32_e32 v59, s18, v0
	s_and_saveexec_b64 s[6:7], vcc
	s_cbranch_execz .LBB210_374
; %bb.373:                              ;   in Loop: Header=BB210_270 Depth=1
	v_add_u32_e32 v0, -3, v38
	v_cmp_gt_i32_e64 s[0:1], s30, v0
	v_add_u32_e32 v0, -2, v38
	v_cndmask_b32_e64 v61, 0, v61, s[0:1]
	v_cmp_gt_i32_e64 s[0:1], s30, v0
	v_add_u32_e32 v0, -1, v38
	v_cndmask_b32_e64 v58, 0, v58, s[0:1]
	v_cmp_gt_i32_e64 s[0:1], s30, v0
	v_cndmask_b32_e64 v60, 0, v60, s[0:1]
	v_cmp_gt_i32_e64 s[0:1], s30, v38
	v_cndmask_b32_e64 v59, 0, v59, s[0:1]
.LBB210_374:                            ;   in Loop: Header=BB210_270 Depth=1
	s_or_b64 exec, exec, s[6:7]
	global_load_dword v15, v[13:14], off offset:1024
	v_mov_b32_e32 v18, 0
	v_mov_b32_e32 v16, 0
	;; [unrolled: 1-line block ×4, first 2 shown]
	s_waitcnt vmcnt(0)
	v_cmp_ne_u16_sdwa s[0:1], v15, v5 src0_sel:BYTE_0 src1_sel:DWORD
	s_and_saveexec_b64 s[6:7], s[0:1]
	s_cbranch_execz .LBB210_380
; %bb.375:                              ;   in Loop: Header=BB210_270 Depth=1
	v_bfrev_b32_e32 v16, 1
	v_mov_b32_e32 v17, 0
	v_cmp_ne_u16_sdwa s[0:1], v15, s24 src0_sel:BYTE_0 src1_sel:DWORD
	s_and_saveexec_b64 s[12:13], s[0:1]
	s_cbranch_execz .LBB210_379
; %bb.376:                              ;   in Loop: Header=BB210_270 Depth=1
	v_and_b32_e32 v0, 0x7f, v15
	v_mov_b32_e32 v16, 0x7f800001
	v_mov_b32_e32 v17, 0
	v_cmp_ne_u32_e64 s[0:1], s25, v0
	s_and_saveexec_b64 s[14:15], s[0:1]
	s_cbranch_execz .LBB210_378
; %bb.377:                              ;   in Loop: Header=BB210_270 Depth=1
	v_and_b32_e32 v11, 7, v15
	v_ffbh_u32_e32 v7, v11
	v_min_u32_e32 v17, 32, v7
	v_lshrrev_b32_e32 v16, 3, v0
	v_subrev_u32_e32 v7, 28, v17
	v_lshlrev_b64 v[7:8], v7, v[15:16]
	v_sub_u32_e32 v8, 29, v17
	v_and_b32_e32 v7, 7, v7
	v_cmp_gt_u32_e64 s[0:1], 8, v0
	v_cndmask_b32_e64 v0, v16, v8, s[0:1]
	v_cndmask_b32_e64 v7, v11, v7, s[0:1]
	v_lshlrev_b32_e32 v7, 20, v7
	v_and_b32_sdwa v8, sext(v15), s26 dst_sel:DWORD dst_unused:UNUSED_PAD src0_sel:BYTE_0 src1_sel:DWORD
	v_lshl_add_u32 v0, v0, 23, v49
	v_or3_b32 v16, v8, v0, v7
	v_mov_b32_e32 v17, v5
.LBB210_378:                            ;   in Loop: Header=BB210_270 Depth=1
	s_or_b64 exec, exec, s[14:15]
.LBB210_379:                            ;   in Loop: Header=BB210_270 Depth=1
	s_or_b64 exec, exec, s[12:13]
.LBB210_380:                            ;   in Loop: Header=BB210_270 Depth=1
	s_or_b64 exec, exec, s[6:7]
	v_cmp_ne_u16_sdwa s[0:1], v15, v5 src0_sel:BYTE_1 src1_sel:DWORD
	s_and_saveexec_b64 s[6:7], s[0:1]
	s_cbranch_execz .LBB210_386
; %bb.381:                              ;   in Loop: Header=BB210_270 Depth=1
	v_mov_b32_e32 v19, v6
	v_cmp_ne_u16_sdwa s[0:1], v15, s24 src0_sel:BYTE_1 src1_sel:DWORD
	v_mov_b32_e32 v18, v5
	s_and_saveexec_b64 s[12:13], s[0:1]
	s_cbranch_execz .LBB210_385
; %bb.382:                              ;   in Loop: Header=BB210_270 Depth=1
	v_and_b32_sdwa v0, v15, s25 dst_sel:DWORD dst_unused:UNUSED_PAD src0_sel:BYTE_1 src1_sel:DWORD
	v_mov_b32_e32 v11, v5
	v_mov_b32_e32 v19, v12
	v_cmp_ne_u32_e64 s[0:1], s25, v0
	v_mov_b32_e32 v18, v11
	s_and_saveexec_b64 s[14:15], s[0:1]
	s_cbranch_execz .LBB210_384
; %bb.383:                              ;   in Loop: Header=BB210_270 Depth=1
	v_and_b32_sdwa v7, v15, v52 dst_sel:DWORD dst_unused:UNUSED_PAD src0_sel:BYTE_1 src1_sel:DWORD
	v_lshrrev_b32_e32 v11, 3, v0
	v_cmp_gt_u32_e64 s[0:1], 8, v0
	v_ffbh_u32_e32 v0, v7
	v_min_u32_e32 v0, 32, v0
	v_mov_b32_e32 v8, v5
	v_subrev_u32_e32 v18, 28, v0
	v_lshlrev_b64 v[18:19], v18, v[7:8]
	v_sub_u32_e32 v0, 29, v0
	v_and_b32_e32 v8, 7, v18
	v_cndmask_b32_e64 v0, v11, v0, s[0:1]
	v_cndmask_b32_e64 v7, v7, v8, s[0:1]
	v_lshlrev_b32_e32 v8, 16, v15
	v_lshl_add_u32 v0, v0, 23, v49
	v_and_or_b32 v0, v8, s26, v0
	v_lshlrev_b32_e32 v7, 20, v7
	v_or_b32_e32 v19, v0, v7
	v_mov_b32_e32 v18, v5
.LBB210_384:                            ;   in Loop: Header=BB210_270 Depth=1
	s_or_b64 exec, exec, s[14:15]
.LBB210_385:                            ;   in Loop: Header=BB210_270 Depth=1
	s_or_b64 exec, exec, s[12:13]
.LBB210_386:                            ;   in Loop: Header=BB210_270 Depth=1
	s_or_b64 exec, exec, s[6:7]
	v_lshrrev_b32_e32 v11, 16, v15
	v_mov_b32_e32 v22, 0
	v_mov_b32_e32 v20, 0
	;; [unrolled: 1-line block ×4, first 2 shown]
	v_cmp_ne_u16_sdwa s[0:1], v11, v5 src0_sel:BYTE_0 src1_sel:DWORD
	s_and_saveexec_b64 s[6:7], s[0:1]
	s_cbranch_execz .LBB210_392
; %bb.387:                              ;   in Loop: Header=BB210_270 Depth=1
	v_bfrev_b32_e32 v20, 1
	v_mov_b32_e32 v21, 0
	v_cmp_ne_u16_sdwa s[0:1], v11, s24 src0_sel:BYTE_0 src1_sel:DWORD
	s_and_saveexec_b64 s[12:13], s[0:1]
	s_cbranch_execz .LBB210_391
; %bb.388:                              ;   in Loop: Header=BB210_270 Depth=1
	v_bfe_u32 v0, v15, 16, 7
	v_mov_b32_e32 v20, 0x7f800001
	v_mov_b32_e32 v21, 0
	v_cmp_ne_u32_e64 s[0:1], s25, v0
	s_and_saveexec_b64 s[14:15], s[0:1]
	s_cbranch_execz .LBB210_390
; %bb.389:                              ;   in Loop: Header=BB210_270 Depth=1
	v_and_b32_e32 v20, 7, v11
	v_lshrrev_b32_e32 v21, 3, v0
	v_cmp_gt_u32_e64 s[0:1], 8, v0
	v_ffbh_u32_e32 v0, v20
	v_min_u32_e32 v0, 32, v0
	v_subrev_u32_e32 v7, 28, v0
	v_lshlrev_b64 v[7:8], v7, v[11:12]
	v_sub_u32_e32 v0, 29, v0
	v_and_b32_e32 v7, 7, v7
	v_cndmask_b32_e64 v0, v21, v0, s[0:1]
	v_cndmask_b32_e64 v7, v20, v7, s[0:1]
	v_lshlrev_b32_e32 v7, 20, v7
	v_and_b32_sdwa v8, sext(v11), s26 dst_sel:DWORD dst_unused:UNUSED_PAD src0_sel:BYTE_0 src1_sel:DWORD
	v_lshl_add_u32 v0, v0, 23, v49
	v_or3_b32 v20, v8, v0, v7
	v_mov_b32_e32 v21, v5
.LBB210_390:                            ;   in Loop: Header=BB210_270 Depth=1
	s_or_b64 exec, exec, s[14:15]
.LBB210_391:                            ;   in Loop: Header=BB210_270 Depth=1
	s_or_b64 exec, exec, s[12:13]
.LBB210_392:                            ;   in Loop: Header=BB210_270 Depth=1
	s_or_b64 exec, exec, s[6:7]
	v_cmp_lt_u32_e64 s[0:1], s27, v15
	s_and_saveexec_b64 s[6:7], s[0:1]
	s_cbranch_execz .LBB210_398
; %bb.393:                              ;   in Loop: Header=BB210_270 Depth=1
	v_mov_b32_e32 v23, v6
	v_cmp_ne_u32_sdwa s[0:1], v15, s24 src0_sel:BYTE_3 src1_sel:DWORD
	v_mov_b32_e32 v22, v5
	s_and_saveexec_b64 s[12:13], s[0:1]
	s_cbranch_execz .LBB210_397
; %bb.394:                              ;   in Loop: Header=BB210_270 Depth=1
	v_bfe_u32 v0, v15, 24, 7
	v_mov_b32_e32 v11, v5
	v_mov_b32_e32 v23, v12
	v_cmp_ne_u32_e64 s[0:1], s25, v0
	v_mov_b32_e32 v22, v11
	s_and_saveexec_b64 s[14:15], s[0:1]
	s_cbranch_execz .LBB210_396
; %bb.395:                              ;   in Loop: Header=BB210_270 Depth=1
	v_and_b32_sdwa v7, v15, v52 dst_sel:DWORD dst_unused:UNUSED_PAD src0_sel:BYTE_3 src1_sel:DWORD
	v_lshrrev_b32_e32 v11, 3, v0
	v_cmp_gt_u32_e64 s[0:1], 8, v0
	v_ffbh_u32_e32 v0, v7
	v_min_u32_e32 v0, 32, v0
	v_mov_b32_e32 v8, v5
	v_subrev_u32_e32 v22, 28, v0
	v_lshlrev_b64 v[22:23], v22, v[7:8]
	v_sub_u32_e32 v0, 29, v0
	v_and_b32_e32 v8, 7, v22
	v_cndmask_b32_e64 v0, v11, v0, s[0:1]
	v_cndmask_b32_e64 v7, v7, v8, s[0:1]
	v_lshlrev_b32_sdwa v8, v51, v15 dst_sel:DWORD dst_unused:UNUSED_PAD src0_sel:DWORD src1_sel:BYTE_3
	v_lshl_add_u32 v0, v0, 23, v49
	v_and_or_b32 v0, v8, s26, v0
	v_lshlrev_b32_e32 v7, 20, v7
	v_or_b32_e32 v23, v0, v7
	v_mov_b32_e32 v22, v5
.LBB210_396:                            ;   in Loop: Header=BB210_270 Depth=1
	s_or_b64 exec, exec, s[14:15]
.LBB210_397:                            ;   in Loop: Header=BB210_270 Depth=1
	s_or_b64 exec, exec, s[12:13]
.LBB210_398:                            ;   in Loop: Header=BB210_270 Depth=1
	s_or_b64 exec, exec, s[6:7]
	v_or_b32_e32 v0, v19, v17
	v_or_b32_e32 v7, v18, v16
	v_mul_f32_e32 v62, s18, v0
	v_mul_f32_e32 v24, s17, v7
	v_or_b32_e32 v7, v23, v21
	v_or_b32_e32 v0, v22, v20
	v_mul_f32_e32 v0, s17, v0
	v_mul_f32_e32 v63, s18, v7
	s_and_saveexec_b64 s[6:7], vcc
	s_cbranch_execz .LBB210_400
; %bb.399:                              ;   in Loop: Header=BB210_270 Depth=1
	v_add_u32_e32 v7, -3, v38
	v_cmp_gt_i32_e64 s[0:1], s30, v7
	v_add_u32_e32 v7, -2, v38
	v_cndmask_b32_e64 v24, 0, v24, s[0:1]
	v_cmp_gt_i32_e64 s[0:1], s30, v7
	v_add_u32_e32 v7, -1, v38
	v_cndmask_b32_e64 v62, 0, v62, s[0:1]
	v_cmp_gt_i32_e64 s[0:1], s30, v7
	v_cndmask_b32_e64 v0, 0, v0, s[0:1]
	v_cmp_gt_i32_e64 s[0:1], s30, v38
	v_cndmask_b32_e64 v63, 0, v63, s[0:1]
.LBB210_400:                            ;   in Loop: Header=BB210_270 Depth=1
	s_or_b64 exec, exec, s[6:7]
	global_load_dword v15, v[13:14], off offset:1280
	v_mov_b32_e32 v18, 0
	v_mov_b32_e32 v16, 0
	;; [unrolled: 1-line block ×4, first 2 shown]
	s_waitcnt vmcnt(0)
	v_cmp_ne_u16_sdwa s[0:1], v15, v5 src0_sel:BYTE_0 src1_sel:DWORD
	s_and_saveexec_b64 s[6:7], s[0:1]
	s_cbranch_execz .LBB210_406
; %bb.401:                              ;   in Loop: Header=BB210_270 Depth=1
	v_bfrev_b32_e32 v16, 1
	v_mov_b32_e32 v17, 0
	v_cmp_ne_u16_sdwa s[0:1], v15, s24 src0_sel:BYTE_0 src1_sel:DWORD
	s_and_saveexec_b64 s[12:13], s[0:1]
	s_cbranch_execz .LBB210_405
; %bb.402:                              ;   in Loop: Header=BB210_270 Depth=1
	v_and_b32_e32 v7, 0x7f, v15
	v_mov_b32_e32 v16, 0x7f800001
	v_mov_b32_e32 v17, 0
	v_cmp_ne_u32_e64 s[0:1], s25, v7
	s_and_saveexec_b64 s[14:15], s[0:1]
	s_cbranch_execz .LBB210_404
; %bb.403:                              ;   in Loop: Header=BB210_270 Depth=1
	v_and_b32_e32 v11, 7, v15
	v_lshrrev_b32_e32 v16, 3, v7
	v_cmp_gt_u32_e64 s[0:1], 8, v7
	v_ffbh_u32_e32 v7, v11
	v_min_u32_e32 v17, 32, v7
	v_subrev_u32_e32 v7, 28, v17
	v_lshlrev_b64 v[7:8], v7, v[15:16]
	v_sub_u32_e32 v8, 29, v17
	v_and_b32_e32 v7, 7, v7
	v_cndmask_b32_e64 v8, v16, v8, s[0:1]
	v_cndmask_b32_e64 v7, v11, v7, s[0:1]
	v_lshlrev_b32_e32 v7, 20, v7
	v_and_b32_sdwa v11, sext(v15), s26 dst_sel:DWORD dst_unused:UNUSED_PAD src0_sel:BYTE_0 src1_sel:DWORD
	v_lshl_add_u32 v8, v8, 23, v49
	v_or3_b32 v16, v11, v8, v7
	v_mov_b32_e32 v17, v5
.LBB210_404:                            ;   in Loop: Header=BB210_270 Depth=1
	s_or_b64 exec, exec, s[14:15]
.LBB210_405:                            ;   in Loop: Header=BB210_270 Depth=1
	s_or_b64 exec, exec, s[12:13]
.LBB210_406:                            ;   in Loop: Header=BB210_270 Depth=1
	s_or_b64 exec, exec, s[6:7]
	v_cmp_ne_u16_sdwa s[0:1], v15, v5 src0_sel:BYTE_1 src1_sel:DWORD
	s_and_saveexec_b64 s[6:7], s[0:1]
	s_cbranch_execz .LBB210_412
; %bb.407:                              ;   in Loop: Header=BB210_270 Depth=1
	v_mov_b32_e32 v19, v6
	v_cmp_ne_u16_sdwa s[0:1], v15, s24 src0_sel:BYTE_1 src1_sel:DWORD
	v_mov_b32_e32 v18, v5
	s_and_saveexec_b64 s[12:13], s[0:1]
	s_cbranch_execz .LBB210_411
; %bb.408:                              ;   in Loop: Header=BB210_270 Depth=1
	v_and_b32_sdwa v7, v15, s25 dst_sel:DWORD dst_unused:UNUSED_PAD src0_sel:BYTE_1 src1_sel:DWORD
	v_mov_b32_e32 v11, v5
	v_mov_b32_e32 v19, v12
	v_cmp_ne_u32_e64 s[0:1], s25, v7
	v_mov_b32_e32 v18, v11
	s_and_saveexec_b64 s[14:15], s[0:1]
	s_cbranch_execz .LBB210_410
; %bb.409:                              ;   in Loop: Header=BB210_270 Depth=1
	v_and_b32_sdwa v18, v15, v52 dst_sel:DWORD dst_unused:UNUSED_PAD src0_sel:BYTE_1 src1_sel:DWORD
	v_lshrrev_b32_e32 v11, 3, v7
	v_cmp_gt_u32_e64 s[0:1], 8, v7
	v_ffbh_u32_e32 v7, v18
	v_min_u32_e32 v20, 32, v7
	v_mov_b32_e32 v19, v5
	v_subrev_u32_e32 v7, 28, v20
	v_lshlrev_b64 v[7:8], v7, v[18:19]
	v_sub_u32_e32 v8, 29, v20
	v_and_b32_e32 v7, 7, v7
	v_cndmask_b32_e64 v8, v11, v8, s[0:1]
	v_cndmask_b32_e64 v7, v18, v7, s[0:1]
	v_lshlrev_b32_e32 v11, 16, v15
	v_lshl_add_u32 v8, v8, 23, v49
	v_and_or_b32 v8, v11, s26, v8
	v_lshlrev_b32_e32 v7, 20, v7
	v_or_b32_e32 v19, v8, v7
	v_mov_b32_e32 v18, v5
.LBB210_410:                            ;   in Loop: Header=BB210_270 Depth=1
	s_or_b64 exec, exec, s[14:15]
.LBB210_411:                            ;   in Loop: Header=BB210_270 Depth=1
	s_or_b64 exec, exec, s[12:13]
.LBB210_412:                            ;   in Loop: Header=BB210_270 Depth=1
	s_or_b64 exec, exec, s[6:7]
	v_lshrrev_b32_e32 v11, 16, v15
	v_mov_b32_e32 v22, 0
	v_mov_b32_e32 v20, 0
	;; [unrolled: 1-line block ×4, first 2 shown]
	v_cmp_ne_u16_sdwa s[0:1], v11, v5 src0_sel:BYTE_0 src1_sel:DWORD
	s_and_saveexec_b64 s[6:7], s[0:1]
	s_cbranch_execz .LBB210_418
; %bb.413:                              ;   in Loop: Header=BB210_270 Depth=1
	v_bfrev_b32_e32 v20, 1
	v_mov_b32_e32 v21, 0
	v_cmp_ne_u16_sdwa s[0:1], v11, s24 src0_sel:BYTE_0 src1_sel:DWORD
	s_and_saveexec_b64 s[12:13], s[0:1]
	s_cbranch_execz .LBB210_417
; %bb.414:                              ;   in Loop: Header=BB210_270 Depth=1
	v_bfe_u32 v7, v15, 16, 7
	v_mov_b32_e32 v20, 0x7f800001
	v_mov_b32_e32 v21, 0
	v_cmp_ne_u32_e64 s[0:1], s25, v7
	s_and_saveexec_b64 s[14:15], s[0:1]
	s_cbranch_execz .LBB210_416
; %bb.415:                              ;   in Loop: Header=BB210_270 Depth=1
	v_and_b32_e32 v20, 7, v11
	v_lshrrev_b32_e32 v21, 3, v7
	v_cmp_gt_u32_e64 s[0:1], 8, v7
	v_ffbh_u32_e32 v7, v20
	v_min_u32_e32 v25, 32, v7
	v_subrev_u32_e32 v7, 28, v25
	v_lshlrev_b64 v[7:8], v7, v[11:12]
	v_sub_u32_e32 v8, 29, v25
	v_and_b32_e32 v7, 7, v7
	v_cndmask_b32_e64 v8, v21, v8, s[0:1]
	v_cndmask_b32_e64 v7, v20, v7, s[0:1]
	v_lshlrev_b32_e32 v7, 20, v7
	v_and_b32_sdwa v11, sext(v11), s26 dst_sel:DWORD dst_unused:UNUSED_PAD src0_sel:BYTE_0 src1_sel:DWORD
	v_lshl_add_u32 v8, v8, 23, v49
	v_or3_b32 v20, v11, v8, v7
	v_mov_b32_e32 v21, v5
.LBB210_416:                            ;   in Loop: Header=BB210_270 Depth=1
	s_or_b64 exec, exec, s[14:15]
.LBB210_417:                            ;   in Loop: Header=BB210_270 Depth=1
	s_or_b64 exec, exec, s[12:13]
.LBB210_418:                            ;   in Loop: Header=BB210_270 Depth=1
	s_or_b64 exec, exec, s[6:7]
	v_cmp_lt_u32_e64 s[0:1], s27, v15
	s_and_saveexec_b64 s[6:7], s[0:1]
	s_cbranch_execz .LBB210_424
; %bb.419:                              ;   in Loop: Header=BB210_270 Depth=1
	v_mov_b32_e32 v23, v6
	v_cmp_ne_u32_sdwa s[0:1], v15, s24 src0_sel:BYTE_3 src1_sel:DWORD
	v_mov_b32_e32 v22, v5
	s_and_saveexec_b64 s[12:13], s[0:1]
	s_cbranch_execz .LBB210_423
; %bb.420:                              ;   in Loop: Header=BB210_270 Depth=1
	v_bfe_u32 v7, v15, 24, 7
	v_mov_b32_e32 v11, v5
	v_mov_b32_e32 v23, v12
	v_cmp_ne_u32_e64 s[0:1], s25, v7
	v_mov_b32_e32 v22, v11
	s_and_saveexec_b64 s[14:15], s[0:1]
	s_cbranch_execz .LBB210_422
; %bb.421:                              ;   in Loop: Header=BB210_270 Depth=1
	v_and_b32_sdwa v22, v15, v52 dst_sel:DWORD dst_unused:UNUSED_PAD src0_sel:BYTE_3 src1_sel:DWORD
	v_lshrrev_b32_e32 v11, 3, v7
	v_cmp_gt_u32_e64 s[0:1], 8, v7
	v_ffbh_u32_e32 v7, v22
	v_min_u32_e32 v25, 32, v7
	v_mov_b32_e32 v23, v5
	v_subrev_u32_e32 v7, 28, v25
	v_lshlrev_b64 v[7:8], v7, v[22:23]
	v_sub_u32_e32 v8, 29, v25
	v_and_b32_e32 v7, 7, v7
	v_cndmask_b32_e64 v8, v11, v8, s[0:1]
	v_cndmask_b32_e64 v7, v22, v7, s[0:1]
	v_lshlrev_b32_sdwa v11, v51, v15 dst_sel:DWORD dst_unused:UNUSED_PAD src0_sel:DWORD src1_sel:BYTE_3
	v_lshl_add_u32 v8, v8, 23, v49
	v_and_or_b32 v8, v11, s26, v8
	v_lshlrev_b32_e32 v7, 20, v7
	v_or_b32_e32 v23, v8, v7
	v_mov_b32_e32 v22, v5
.LBB210_422:                            ;   in Loop: Header=BB210_270 Depth=1
	s_or_b64 exec, exec, s[14:15]
.LBB210_423:                            ;   in Loop: Header=BB210_270 Depth=1
	s_or_b64 exec, exec, s[12:13]
.LBB210_424:                            ;   in Loop: Header=BB210_270 Depth=1
	s_or_b64 exec, exec, s[6:7]
	v_or_b32_e32 v7, v19, v17
	v_or_b32_e32 v8, v18, v16
	v_mul_f32_e32 v42, s18, v7
	v_mul_f32_e32 v27, s17, v8
	v_or_b32_e32 v7, v23, v21
	v_or_b32_e32 v8, v22, v20
	v_mul_f32_e32 v26, s17, v8
	v_mul_f32_e32 v25, s18, v7
	s_and_saveexec_b64 s[6:7], vcc
	s_cbranch_execz .LBB210_426
; %bb.425:                              ;   in Loop: Header=BB210_270 Depth=1
	v_add_u32_e32 v7, -3, v38
	v_cmp_gt_i32_e64 s[0:1], s30, v7
	v_add_u32_e32 v7, -2, v38
	v_cndmask_b32_e64 v27, 0, v27, s[0:1]
	v_cmp_gt_i32_e64 s[0:1], s30, v7
	v_add_u32_e32 v7, -1, v38
	v_cndmask_b32_e64 v42, 0, v42, s[0:1]
	v_cmp_gt_i32_e64 s[0:1], s30, v7
	v_cndmask_b32_e64 v26, 0, v26, s[0:1]
	v_cmp_gt_i32_e64 s[0:1], s30, v38
	v_cndmask_b32_e64 v25, 0, v25, s[0:1]
.LBB210_426:                            ;   in Loop: Header=BB210_270 Depth=1
	s_or_b64 exec, exec, s[6:7]
	global_load_dword v15, v[13:14], off offset:1536
	v_mov_b32_e32 v18, 0
	v_mov_b32_e32 v16, 0
	;; [unrolled: 1-line block ×4, first 2 shown]
	s_waitcnt vmcnt(0)
	v_cmp_ne_u16_sdwa s[0:1], v15, v5 src0_sel:BYTE_0 src1_sel:DWORD
	s_and_saveexec_b64 s[6:7], s[0:1]
	s_cbranch_execz .LBB210_432
; %bb.427:                              ;   in Loop: Header=BB210_270 Depth=1
	v_bfrev_b32_e32 v16, 1
	v_mov_b32_e32 v17, 0
	v_cmp_ne_u16_sdwa s[0:1], v15, s24 src0_sel:BYTE_0 src1_sel:DWORD
	s_and_saveexec_b64 s[12:13], s[0:1]
	s_cbranch_execz .LBB210_431
; %bb.428:                              ;   in Loop: Header=BB210_270 Depth=1
	v_and_b32_e32 v7, 0x7f, v15
	v_mov_b32_e32 v16, 0x7f800001
	v_mov_b32_e32 v17, 0
	v_cmp_ne_u32_e64 s[0:1], s25, v7
	s_and_saveexec_b64 s[14:15], s[0:1]
	s_cbranch_execz .LBB210_430
; %bb.429:                              ;   in Loop: Header=BB210_270 Depth=1
	v_and_b32_e32 v11, 7, v15
	v_lshrrev_b32_e32 v16, 3, v7
	v_cmp_gt_u32_e64 s[0:1], 8, v7
	v_ffbh_u32_e32 v7, v11
	v_min_u32_e32 v17, 32, v7
	v_subrev_u32_e32 v7, 28, v17
	v_lshlrev_b64 v[7:8], v7, v[15:16]
	v_sub_u32_e32 v8, 29, v17
	v_and_b32_e32 v7, 7, v7
	v_cndmask_b32_e64 v8, v16, v8, s[0:1]
	v_cndmask_b32_e64 v7, v11, v7, s[0:1]
	v_lshlrev_b32_e32 v7, 20, v7
	v_and_b32_sdwa v11, sext(v15), s26 dst_sel:DWORD dst_unused:UNUSED_PAD src0_sel:BYTE_0 src1_sel:DWORD
	v_lshl_add_u32 v8, v8, 23, v49
	v_or3_b32 v16, v11, v8, v7
	v_mov_b32_e32 v17, v5
.LBB210_430:                            ;   in Loop: Header=BB210_270 Depth=1
	s_or_b64 exec, exec, s[14:15]
.LBB210_431:                            ;   in Loop: Header=BB210_270 Depth=1
	s_or_b64 exec, exec, s[12:13]
.LBB210_432:                            ;   in Loop: Header=BB210_270 Depth=1
	s_or_b64 exec, exec, s[6:7]
	v_cmp_ne_u16_sdwa s[0:1], v15, v5 src0_sel:BYTE_1 src1_sel:DWORD
	s_and_saveexec_b64 s[6:7], s[0:1]
	s_cbranch_execz .LBB210_438
; %bb.433:                              ;   in Loop: Header=BB210_270 Depth=1
	v_mov_b32_e32 v19, v6
	v_cmp_ne_u16_sdwa s[0:1], v15, s24 src0_sel:BYTE_1 src1_sel:DWORD
	v_mov_b32_e32 v18, v5
	s_and_saveexec_b64 s[12:13], s[0:1]
	s_cbranch_execz .LBB210_437
; %bb.434:                              ;   in Loop: Header=BB210_270 Depth=1
	v_and_b32_sdwa v7, v15, s25 dst_sel:DWORD dst_unused:UNUSED_PAD src0_sel:BYTE_1 src1_sel:DWORD
	v_mov_b32_e32 v11, v5
	v_mov_b32_e32 v19, v12
	v_cmp_ne_u32_e64 s[0:1], s25, v7
	v_mov_b32_e32 v18, v11
	s_and_saveexec_b64 s[14:15], s[0:1]
	s_cbranch_execz .LBB210_436
; %bb.435:                              ;   in Loop: Header=BB210_270 Depth=1
	v_and_b32_sdwa v18, v15, v52 dst_sel:DWORD dst_unused:UNUSED_PAD src0_sel:BYTE_1 src1_sel:DWORD
	v_lshrrev_b32_e32 v11, 3, v7
	v_cmp_gt_u32_e64 s[0:1], 8, v7
	v_ffbh_u32_e32 v7, v18
	v_min_u32_e32 v20, 32, v7
	v_mov_b32_e32 v19, v5
	v_subrev_u32_e32 v7, 28, v20
	v_lshlrev_b64 v[7:8], v7, v[18:19]
	v_sub_u32_e32 v8, 29, v20
	v_and_b32_e32 v7, 7, v7
	v_cndmask_b32_e64 v8, v11, v8, s[0:1]
	v_cndmask_b32_e64 v7, v18, v7, s[0:1]
	v_lshlrev_b32_e32 v11, 16, v15
	v_lshl_add_u32 v8, v8, 23, v49
	v_and_or_b32 v8, v11, s26, v8
	v_lshlrev_b32_e32 v7, 20, v7
	v_or_b32_e32 v19, v8, v7
	v_mov_b32_e32 v18, v5
.LBB210_436:                            ;   in Loop: Header=BB210_270 Depth=1
	s_or_b64 exec, exec, s[14:15]
.LBB210_437:                            ;   in Loop: Header=BB210_270 Depth=1
	s_or_b64 exec, exec, s[12:13]
.LBB210_438:                            ;   in Loop: Header=BB210_270 Depth=1
	s_or_b64 exec, exec, s[6:7]
	v_lshrrev_b32_e32 v11, 16, v15
	v_mov_b32_e32 v22, 0
	v_mov_b32_e32 v20, 0
	;; [unrolled: 1-line block ×4, first 2 shown]
	v_cmp_ne_u16_sdwa s[0:1], v11, v5 src0_sel:BYTE_0 src1_sel:DWORD
	s_and_saveexec_b64 s[6:7], s[0:1]
	s_cbranch_execz .LBB210_444
; %bb.439:                              ;   in Loop: Header=BB210_270 Depth=1
	v_bfrev_b32_e32 v20, 1
	v_mov_b32_e32 v21, 0
	v_cmp_ne_u16_sdwa s[0:1], v11, s24 src0_sel:BYTE_0 src1_sel:DWORD
	s_and_saveexec_b64 s[12:13], s[0:1]
	s_cbranch_execz .LBB210_443
; %bb.440:                              ;   in Loop: Header=BB210_270 Depth=1
	v_bfe_u32 v7, v15, 16, 7
	v_mov_b32_e32 v20, 0x7f800001
	v_mov_b32_e32 v21, 0
	v_cmp_ne_u32_e64 s[0:1], s25, v7
	s_and_saveexec_b64 s[14:15], s[0:1]
	s_cbranch_execz .LBB210_442
; %bb.441:                              ;   in Loop: Header=BB210_270 Depth=1
	v_and_b32_e32 v20, 7, v11
	v_lshrrev_b32_e32 v21, 3, v7
	v_cmp_gt_u32_e64 s[0:1], 8, v7
	v_ffbh_u32_e32 v7, v20
	v_min_u32_e32 v40, 32, v7
	v_subrev_u32_e32 v7, 28, v40
	v_lshlrev_b64 v[7:8], v7, v[11:12]
	v_sub_u32_e32 v8, 29, v40
	v_and_b32_e32 v7, 7, v7
	v_cndmask_b32_e64 v8, v21, v8, s[0:1]
	v_cndmask_b32_e64 v7, v20, v7, s[0:1]
	v_lshlrev_b32_e32 v7, 20, v7
	v_and_b32_sdwa v11, sext(v11), s26 dst_sel:DWORD dst_unused:UNUSED_PAD src0_sel:BYTE_0 src1_sel:DWORD
	v_lshl_add_u32 v8, v8, 23, v49
	v_or3_b32 v20, v11, v8, v7
	v_mov_b32_e32 v21, v5
.LBB210_442:                            ;   in Loop: Header=BB210_270 Depth=1
	s_or_b64 exec, exec, s[14:15]
.LBB210_443:                            ;   in Loop: Header=BB210_270 Depth=1
	s_or_b64 exec, exec, s[12:13]
.LBB210_444:                            ;   in Loop: Header=BB210_270 Depth=1
	s_or_b64 exec, exec, s[6:7]
	v_cmp_lt_u32_e64 s[0:1], s27, v15
	s_and_saveexec_b64 s[6:7], s[0:1]
	s_cbranch_execz .LBB210_450
; %bb.445:                              ;   in Loop: Header=BB210_270 Depth=1
	v_mov_b32_e32 v23, v6
	v_cmp_ne_u32_sdwa s[0:1], v15, s24 src0_sel:BYTE_3 src1_sel:DWORD
	v_mov_b32_e32 v22, v5
	s_and_saveexec_b64 s[12:13], s[0:1]
	s_cbranch_execz .LBB210_449
; %bb.446:                              ;   in Loop: Header=BB210_270 Depth=1
	v_bfe_u32 v7, v15, 24, 7
	v_mov_b32_e32 v11, v5
	v_mov_b32_e32 v23, v12
	v_cmp_ne_u32_e64 s[0:1], s25, v7
	v_mov_b32_e32 v22, v11
	s_and_saveexec_b64 s[14:15], s[0:1]
	s_cbranch_execz .LBB210_448
; %bb.447:                              ;   in Loop: Header=BB210_270 Depth=1
	v_and_b32_sdwa v22, v15, v52 dst_sel:DWORD dst_unused:UNUSED_PAD src0_sel:BYTE_3 src1_sel:DWORD
	v_lshrrev_b32_e32 v11, 3, v7
	v_cmp_gt_u32_e64 s[0:1], 8, v7
	v_ffbh_u32_e32 v7, v22
	v_min_u32_e32 v40, 32, v7
	v_mov_b32_e32 v23, v5
	v_subrev_u32_e32 v7, 28, v40
	v_lshlrev_b64 v[7:8], v7, v[22:23]
	v_sub_u32_e32 v8, 29, v40
	v_and_b32_e32 v7, 7, v7
	v_cndmask_b32_e64 v8, v11, v8, s[0:1]
	v_cndmask_b32_e64 v7, v22, v7, s[0:1]
	v_lshlrev_b32_sdwa v11, v51, v15 dst_sel:DWORD dst_unused:UNUSED_PAD src0_sel:DWORD src1_sel:BYTE_3
	v_lshl_add_u32 v8, v8, 23, v49
	v_and_or_b32 v8, v11, s26, v8
	v_lshlrev_b32_e32 v7, 20, v7
	v_or_b32_e32 v23, v8, v7
	v_mov_b32_e32 v22, v5
.LBB210_448:                            ;   in Loop: Header=BB210_270 Depth=1
	s_or_b64 exec, exec, s[14:15]
.LBB210_449:                            ;   in Loop: Header=BB210_270 Depth=1
	s_or_b64 exec, exec, s[12:13]
.LBB210_450:                            ;   in Loop: Header=BB210_270 Depth=1
	s_or_b64 exec, exec, s[6:7]
	v_or_b32_e32 v8, v18, v16
	v_or_b32_e32 v7, v19, v17
	v_mul_f32_e32 v40, s17, v8
	v_or_b32_e32 v8, v23, v21
	v_or_b32_e32 v11, v22, v20
	v_mul_f32_e32 v7, s18, v7
	v_mul_f32_e32 v41, s17, v11
	;; [unrolled: 1-line block ×3, first 2 shown]
	s_and_saveexec_b64 s[6:7], vcc
	s_cbranch_execz .LBB210_452
; %bb.451:                              ;   in Loop: Header=BB210_270 Depth=1
	v_add_u32_e32 v11, -3, v38
	v_cmp_gt_i32_e64 s[0:1], s30, v11
	v_add_u32_e32 v11, -2, v38
	v_cndmask_b32_e64 v40, 0, v40, s[0:1]
	v_cmp_gt_i32_e64 s[0:1], s30, v11
	v_add_u32_e32 v11, -1, v38
	v_cndmask_b32_e64 v7, 0, v7, s[0:1]
	v_cmp_gt_i32_e64 s[0:1], s30, v11
	v_cndmask_b32_e64 v41, 0, v41, s[0:1]
	v_cmp_gt_i32_e64 s[0:1], s30, v38
	v_cndmask_b32_e64 v8, 0, v8, s[0:1]
.LBB210_452:                            ;   in Loop: Header=BB210_270 Depth=1
	s_or_b64 exec, exec, s[6:7]
	global_load_dword v15, v[13:14], off offset:1792
	v_mov_b32_e32 v18, 0
	v_mov_b32_e32 v16, 0
	v_mov_b32_e32 v19, 0
	v_mov_b32_e32 v17, 0
	s_waitcnt vmcnt(0)
	v_cmp_ne_u16_sdwa s[0:1], v15, v5 src0_sel:BYTE_0 src1_sel:DWORD
	s_and_saveexec_b64 s[6:7], s[0:1]
	s_cbranch_execz .LBB210_458
; %bb.453:                              ;   in Loop: Header=BB210_270 Depth=1
	v_bfrev_b32_e32 v16, 1
	v_mov_b32_e32 v17, 0
	v_cmp_ne_u16_sdwa s[0:1], v15, s24 src0_sel:BYTE_0 src1_sel:DWORD
	s_and_saveexec_b64 s[12:13], s[0:1]
	s_cbranch_execz .LBB210_457
; %bb.454:                              ;   in Loop: Header=BB210_270 Depth=1
	v_and_b32_e32 v11, 0x7f, v15
	v_mov_b32_e32 v16, 0x7f800001
	v_mov_b32_e32 v17, 0
	v_cmp_ne_u32_e64 s[0:1], s25, v11
	s_and_saveexec_b64 s[14:15], s[0:1]
	s_cbranch_execz .LBB210_456
; %bb.455:                              ;   in Loop: Header=BB210_270 Depth=1
	v_and_b32_e32 v20, 7, v15
	v_lshrrev_b32_e32 v21, 3, v11
	v_cmp_gt_u32_e64 s[0:1], 8, v11
	v_ffbh_u32_e32 v11, v20
	v_min_u32_e32 v11, 32, v11
	v_subrev_u32_e32 v16, 28, v11
	v_lshlrev_b64 v[16:17], v16, v[15:16]
	v_sub_u32_e32 v11, 29, v11
	v_and_b32_e32 v16, 7, v16
	v_cndmask_b32_e64 v11, v21, v11, s[0:1]
	v_cndmask_b32_e64 v16, v20, v16, s[0:1]
	v_lshlrev_b32_e32 v16, 20, v16
	v_and_b32_sdwa v17, sext(v15), s26 dst_sel:DWORD dst_unused:UNUSED_PAD src0_sel:BYTE_0 src1_sel:DWORD
	v_lshl_add_u32 v11, v11, 23, v49
	v_or3_b32 v16, v17, v11, v16
	v_mov_b32_e32 v17, v5
.LBB210_456:                            ;   in Loop: Header=BB210_270 Depth=1
	s_or_b64 exec, exec, s[14:15]
.LBB210_457:                            ;   in Loop: Header=BB210_270 Depth=1
	s_or_b64 exec, exec, s[12:13]
.LBB210_458:                            ;   in Loop: Header=BB210_270 Depth=1
	s_or_b64 exec, exec, s[6:7]
	v_cmp_ne_u16_sdwa s[0:1], v15, v5 src0_sel:BYTE_1 src1_sel:DWORD
	s_and_saveexec_b64 s[6:7], s[0:1]
	s_cbranch_execz .LBB210_464
; %bb.459:                              ;   in Loop: Header=BB210_270 Depth=1
	v_mov_b32_e32 v19, v6
	v_cmp_ne_u16_sdwa s[0:1], v15, s24 src0_sel:BYTE_1 src1_sel:DWORD
	v_mov_b32_e32 v18, v5
	s_and_saveexec_b64 s[12:13], s[0:1]
	s_cbranch_execz .LBB210_463
; %bb.460:                              ;   in Loop: Header=BB210_270 Depth=1
	v_and_b32_sdwa v20, v15, s25 dst_sel:DWORD dst_unused:UNUSED_PAD src0_sel:BYTE_1 src1_sel:DWORD
	v_mov_b32_e32 v11, v5
	v_mov_b32_e32 v19, v12
	v_cmp_ne_u32_e64 s[0:1], s25, v20
	v_mov_b32_e32 v18, v11
	s_and_saveexec_b64 s[14:15], s[0:1]
	s_cbranch_execz .LBB210_462
; %bb.461:                              ;   in Loop: Header=BB210_270 Depth=1
	v_and_b32_sdwa v18, v15, v52 dst_sel:DWORD dst_unused:UNUSED_PAD src0_sel:BYTE_1 src1_sel:DWORD
	v_lshrrev_b32_e32 v11, 3, v20
	v_cmp_gt_u32_e64 s[0:1], 8, v20
	v_ffbh_u32_e32 v20, v18
	v_min_u32_e32 v21, 32, v20
	v_mov_b32_e32 v19, v5
	v_subrev_u32_e32 v20, 28, v21
	v_lshlrev_b64 v[19:20], v20, v[18:19]
	v_sub_u32_e32 v20, 29, v21
	v_and_b32_e32 v19, 7, v19
	v_cndmask_b32_e64 v11, v11, v20, s[0:1]
	v_cndmask_b32_e64 v18, v18, v19, s[0:1]
	v_lshlrev_b32_e32 v19, 16, v15
	v_lshl_add_u32 v11, v11, 23, v49
	v_and_or_b32 v11, v19, s26, v11
	v_lshlrev_b32_e32 v18, 20, v18
	v_or_b32_e32 v19, v11, v18
	v_mov_b32_e32 v18, v5
.LBB210_462:                            ;   in Loop: Header=BB210_270 Depth=1
	s_or_b64 exec, exec, s[14:15]
.LBB210_463:                            ;   in Loop: Header=BB210_270 Depth=1
	s_or_b64 exec, exec, s[12:13]
.LBB210_464:                            ;   in Loop: Header=BB210_270 Depth=1
	s_or_b64 exec, exec, s[6:7]
	v_lshrrev_b32_e32 v11, 16, v15
	v_mov_b32_e32 v22, 0
	v_mov_b32_e32 v20, 0
	;; [unrolled: 1-line block ×4, first 2 shown]
	v_cmp_ne_u16_sdwa s[0:1], v11, v5 src0_sel:BYTE_0 src1_sel:DWORD
	s_and_saveexec_b64 s[6:7], s[0:1]
	s_cbranch_execz .LBB210_470
; %bb.465:                              ;   in Loop: Header=BB210_270 Depth=1
	v_bfrev_b32_e32 v20, 1
	v_mov_b32_e32 v21, 0
	v_cmp_ne_u16_sdwa s[0:1], v11, s24 src0_sel:BYTE_0 src1_sel:DWORD
	s_and_saveexec_b64 s[12:13], s[0:1]
	s_cbranch_execz .LBB210_469
; %bb.466:                              ;   in Loop: Header=BB210_270 Depth=1
	v_bfe_u32 v43, v15, 16, 7
	v_mov_b32_e32 v20, 0x7f800001
	v_mov_b32_e32 v21, 0
	v_cmp_ne_u32_e64 s[0:1], s25, v43
	s_and_saveexec_b64 s[14:15], s[0:1]
	s_cbranch_execz .LBB210_468
; %bb.467:                              ;   in Loop: Header=BB210_270 Depth=1
	v_and_b32_e32 v44, 7, v11
	v_ffbh_u32_e32 v20, v44
	v_lshrrev_b32_e32 v45, 3, v43
	v_cmp_gt_u32_e64 s[0:1], 8, v43
	v_min_u32_e32 v43, 32, v20
	v_subrev_u32_e32 v20, 28, v43
	v_lshlrev_b64 v[20:21], v20, v[11:12]
	v_sub_u32_e32 v21, 29, v43
	v_and_b32_e32 v20, 7, v20
	v_cndmask_b32_e64 v21, v45, v21, s[0:1]
	v_cndmask_b32_e64 v20, v44, v20, s[0:1]
	v_lshlrev_b32_e32 v20, 20, v20
	v_and_b32_sdwa v11, sext(v11), s26 dst_sel:DWORD dst_unused:UNUSED_PAD src0_sel:BYTE_0 src1_sel:DWORD
	v_lshl_add_u32 v21, v21, 23, v49
	v_or3_b32 v20, v11, v21, v20
	v_mov_b32_e32 v21, v5
.LBB210_468:                            ;   in Loop: Header=BB210_270 Depth=1
	s_or_b64 exec, exec, s[14:15]
.LBB210_469:                            ;   in Loop: Header=BB210_270 Depth=1
	s_or_b64 exec, exec, s[12:13]
.LBB210_470:                            ;   in Loop: Header=BB210_270 Depth=1
	s_or_b64 exec, exec, s[6:7]
	v_cmp_lt_u32_e64 s[0:1], s27, v15
	s_and_saveexec_b64 s[6:7], s[0:1]
	s_cbranch_execz .LBB210_476
; %bb.471:                              ;   in Loop: Header=BB210_270 Depth=1
	v_mov_b32_e32 v23, v6
	v_cmp_ne_u32_sdwa s[0:1], v15, s24 src0_sel:BYTE_3 src1_sel:DWORD
	v_mov_b32_e32 v22, v5
	s_and_saveexec_b64 s[12:13], s[0:1]
	s_cbranch_execz .LBB210_475
; %bb.472:                              ;   in Loop: Header=BB210_270 Depth=1
	v_bfe_u32 v43, v15, 24, 7
	v_mov_b32_e32 v11, v5
	v_mov_b32_e32 v23, v12
	v_cmp_ne_u32_e64 s[0:1], s25, v43
	v_mov_b32_e32 v22, v11
	s_and_saveexec_b64 s[14:15], s[0:1]
	s_cbranch_execz .LBB210_474
; %bb.473:                              ;   in Loop: Header=BB210_270 Depth=1
	v_and_b32_sdwa v22, v15, v52 dst_sel:DWORD dst_unused:UNUSED_PAD src0_sel:BYTE_3 src1_sel:DWORD
	v_lshrrev_b32_e32 v11, 3, v43
	v_cmp_gt_u32_e64 s[0:1], 8, v43
	v_ffbh_u32_e32 v43, v22
	v_min_u32_e32 v45, 32, v43
	v_mov_b32_e32 v23, v5
	v_subrev_u32_e32 v43, 28, v45
	v_lshlrev_b64 v[43:44], v43, v[22:23]
	v_sub_u32_e32 v23, 29, v45
	v_and_b32_e32 v43, 7, v43
	v_cndmask_b32_e64 v11, v11, v23, s[0:1]
	v_cndmask_b32_e64 v22, v22, v43, s[0:1]
	v_lshlrev_b32_sdwa v15, v51, v15 dst_sel:DWORD dst_unused:UNUSED_PAD src0_sel:DWORD src1_sel:BYTE_3
	v_lshl_add_u32 v11, v11, 23, v49
	v_and_or_b32 v11, v15, s26, v11
	v_lshlrev_b32_e32 v15, 20, v22
	v_or_b32_e32 v23, v11, v15
	v_mov_b32_e32 v22, v5
.LBB210_474:                            ;   in Loop: Header=BB210_270 Depth=1
	s_or_b64 exec, exec, s[14:15]
.LBB210_475:                            ;   in Loop: Header=BB210_270 Depth=1
	s_or_b64 exec, exec, s[12:13]
.LBB210_476:                            ;   in Loop: Header=BB210_270 Depth=1
	s_or_b64 exec, exec, s[6:7]
	v_or_b32_e32 v11, v19, v17
	v_or_b32_e32 v15, v18, v16
	v_mul_f32_e32 v43, s18, v11
	v_mul_f32_e32 v46, s17, v15
	v_or_b32_e32 v11, v23, v21
	v_or_b32_e32 v15, v22, v20
	v_mul_f32_e32 v45, s17, v15
	v_mul_f32_e32 v44, s18, v11
	s_and_saveexec_b64 s[6:7], vcc
	s_cbranch_execz .LBB210_478
; %bb.477:                              ;   in Loop: Header=BB210_270 Depth=1
	v_add_u32_e32 v11, -3, v38
	v_cmp_gt_i32_e64 s[0:1], s30, v11
	v_add_u32_e32 v11, -2, v38
	v_cndmask_b32_e64 v46, 0, v46, s[0:1]
	v_cmp_gt_i32_e64 s[0:1], s30, v11
	v_add_u32_e32 v11, -1, v38
	v_cndmask_b32_e64 v43, 0, v43, s[0:1]
	v_cmp_gt_i32_e64 s[0:1], s30, v11
	v_cndmask_b32_e64 v45, 0, v45, s[0:1]
	v_cmp_gt_i32_e64 s[0:1], s30, v38
	v_cndmask_b32_e64 v44, 0, v44, s[0:1]
.LBB210_478:                            ;   in Loop: Header=BB210_270 Depth=1
	s_or_b64 exec, exec, s[6:7]
	global_load_dword v15, v[13:14], off offset:2048
	v_mov_b32_e32 v18, 0
	v_mov_b32_e32 v16, 0
	;; [unrolled: 1-line block ×4, first 2 shown]
	s_waitcnt vmcnt(0)
	v_cmp_ne_u16_sdwa s[0:1], v15, v5 src0_sel:BYTE_0 src1_sel:DWORD
	s_and_saveexec_b64 s[6:7], s[0:1]
	s_cbranch_execz .LBB210_484
; %bb.479:                              ;   in Loop: Header=BB210_270 Depth=1
	v_bfrev_b32_e32 v16, 1
	v_mov_b32_e32 v17, 0
	v_cmp_ne_u16_sdwa s[0:1], v15, s24 src0_sel:BYTE_0 src1_sel:DWORD
	s_and_saveexec_b64 s[12:13], s[0:1]
	s_cbranch_execz .LBB210_483
; %bb.480:                              ;   in Loop: Header=BB210_270 Depth=1
	v_and_b32_e32 v11, 0x7f, v15
	v_mov_b32_e32 v16, 0x7f800001
	v_mov_b32_e32 v17, 0
	v_cmp_ne_u32_e64 s[0:1], s25, v11
	s_and_saveexec_b64 s[14:15], s[0:1]
	s_cbranch_execz .LBB210_482
; %bb.481:                              ;   in Loop: Header=BB210_270 Depth=1
	v_and_b32_e32 v20, 7, v15
	v_lshrrev_b32_e32 v21, 3, v11
	v_cmp_gt_u32_e64 s[0:1], 8, v11
	v_ffbh_u32_e32 v11, v20
	v_min_u32_e32 v11, 32, v11
	v_subrev_u32_e32 v16, 28, v11
	v_lshlrev_b64 v[16:17], v16, v[15:16]
	v_sub_u32_e32 v11, 29, v11
	v_and_b32_e32 v16, 7, v16
	v_cndmask_b32_e64 v11, v21, v11, s[0:1]
	v_cndmask_b32_e64 v16, v20, v16, s[0:1]
	v_lshlrev_b32_e32 v16, 20, v16
	v_and_b32_sdwa v17, sext(v15), s26 dst_sel:DWORD dst_unused:UNUSED_PAD src0_sel:BYTE_0 src1_sel:DWORD
	v_lshl_add_u32 v11, v11, 23, v49
	v_or3_b32 v16, v17, v11, v16
	v_mov_b32_e32 v17, v5
.LBB210_482:                            ;   in Loop: Header=BB210_270 Depth=1
	s_or_b64 exec, exec, s[14:15]
.LBB210_483:                            ;   in Loop: Header=BB210_270 Depth=1
	s_or_b64 exec, exec, s[12:13]
.LBB210_484:                            ;   in Loop: Header=BB210_270 Depth=1
	s_or_b64 exec, exec, s[6:7]
	v_cmp_ne_u16_sdwa s[0:1], v15, v5 src0_sel:BYTE_1 src1_sel:DWORD
	s_and_saveexec_b64 s[6:7], s[0:1]
	s_cbranch_execz .LBB210_490
; %bb.485:                              ;   in Loop: Header=BB210_270 Depth=1
	v_mov_b32_e32 v19, v6
	v_cmp_ne_u16_sdwa s[0:1], v15, s24 src0_sel:BYTE_1 src1_sel:DWORD
	v_mov_b32_e32 v18, v5
	s_and_saveexec_b64 s[12:13], s[0:1]
	s_cbranch_execz .LBB210_489
; %bb.486:                              ;   in Loop: Header=BB210_270 Depth=1
	v_and_b32_sdwa v20, v15, s25 dst_sel:DWORD dst_unused:UNUSED_PAD src0_sel:BYTE_1 src1_sel:DWORD
	v_mov_b32_e32 v11, v5
	v_mov_b32_e32 v19, v12
	v_cmp_ne_u32_e64 s[0:1], s25, v20
	v_mov_b32_e32 v18, v11
	s_and_saveexec_b64 s[14:15], s[0:1]
	s_cbranch_execz .LBB210_488
; %bb.487:                              ;   in Loop: Header=BB210_270 Depth=1
	v_and_b32_sdwa v18, v15, v52 dst_sel:DWORD dst_unused:UNUSED_PAD src0_sel:BYTE_1 src1_sel:DWORD
	v_lshrrev_b32_e32 v11, 3, v20
	v_cmp_gt_u32_e64 s[0:1], 8, v20
	v_ffbh_u32_e32 v20, v18
	v_min_u32_e32 v21, 32, v20
	v_mov_b32_e32 v19, v5
	v_subrev_u32_e32 v20, 28, v21
	v_lshlrev_b64 v[19:20], v20, v[18:19]
	v_sub_u32_e32 v20, 29, v21
	v_and_b32_e32 v19, 7, v19
	v_cndmask_b32_e64 v11, v11, v20, s[0:1]
	v_cndmask_b32_e64 v18, v18, v19, s[0:1]
	v_lshlrev_b32_e32 v19, 16, v15
	v_lshl_add_u32 v11, v11, 23, v49
	v_and_or_b32 v11, v19, s26, v11
	v_lshlrev_b32_e32 v18, 20, v18
	v_or_b32_e32 v19, v11, v18
	v_mov_b32_e32 v18, v5
.LBB210_488:                            ;   in Loop: Header=BB210_270 Depth=1
	s_or_b64 exec, exec, s[14:15]
.LBB210_489:                            ;   in Loop: Header=BB210_270 Depth=1
	s_or_b64 exec, exec, s[12:13]
.LBB210_490:                            ;   in Loop: Header=BB210_270 Depth=1
	s_or_b64 exec, exec, s[6:7]
	v_lshrrev_b32_e32 v11, 16, v15
	v_mov_b32_e32 v22, 0
	v_mov_b32_e32 v20, 0
	;; [unrolled: 1-line block ×4, first 2 shown]
	v_cmp_ne_u16_sdwa s[0:1], v11, v5 src0_sel:BYTE_0 src1_sel:DWORD
	s_and_saveexec_b64 s[6:7], s[0:1]
	s_cbranch_execz .LBB210_496
; %bb.491:                              ;   in Loop: Header=BB210_270 Depth=1
	v_bfrev_b32_e32 v20, 1
	v_mov_b32_e32 v21, 0
	v_cmp_ne_u16_sdwa s[0:1], v11, s24 src0_sel:BYTE_0 src1_sel:DWORD
	s_and_saveexec_b64 s[12:13], s[0:1]
	s_cbranch_execz .LBB210_495
; %bb.492:                              ;   in Loop: Header=BB210_270 Depth=1
	v_bfe_u32 v47, v15, 16, 7
	v_mov_b32_e32 v20, 0x7f800001
	v_mov_b32_e32 v21, 0
	v_cmp_ne_u32_e64 s[0:1], s25, v47
	s_and_saveexec_b64 s[14:15], s[0:1]
	s_cbranch_execz .LBB210_494
; %bb.493:                              ;   in Loop: Header=BB210_270 Depth=1
	v_and_b32_e32 v48, 7, v11
	v_ffbh_u32_e32 v20, v48
	v_lshrrev_b32_e32 v49, 3, v47
	v_cmp_gt_u32_e64 s[0:1], 8, v47
	v_min_u32_e32 v47, 32, v20
	v_subrev_u32_e32 v20, 28, v47
	v_lshlrev_b64 v[20:21], v20, v[11:12]
	v_sub_u32_e32 v21, 29, v47
	v_and_b32_e32 v20, 7, v20
	v_cndmask_b32_e64 v21, v49, v21, s[0:1]
	v_bfrev_b32_e32 v49, 60
	v_cndmask_b32_e64 v20, v48, v20, s[0:1]
	v_lshlrev_b32_e32 v20, 20, v20
	v_and_b32_sdwa v11, sext(v11), s26 dst_sel:DWORD dst_unused:UNUSED_PAD src0_sel:BYTE_0 src1_sel:DWORD
	v_lshl_add_u32 v21, v21, 23, v49
	v_or3_b32 v20, v11, v21, v20
	v_mov_b32_e32 v21, v5
.LBB210_494:                            ;   in Loop: Header=BB210_270 Depth=1
	s_or_b64 exec, exec, s[14:15]
.LBB210_495:                            ;   in Loop: Header=BB210_270 Depth=1
	s_or_b64 exec, exec, s[12:13]
.LBB210_496:                            ;   in Loop: Header=BB210_270 Depth=1
	s_or_b64 exec, exec, s[6:7]
	v_cmp_lt_u32_e64 s[0:1], s27, v15
	s_and_saveexec_b64 s[6:7], s[0:1]
	s_cbranch_execz .LBB210_502
; %bb.497:                              ;   in Loop: Header=BB210_270 Depth=1
	v_mov_b32_e32 v23, v6
	v_cmp_ne_u32_sdwa s[0:1], v15, s24 src0_sel:BYTE_3 src1_sel:DWORD
	v_mov_b32_e32 v22, v5
	s_and_saveexec_b64 s[12:13], s[0:1]
	s_cbranch_execz .LBB210_501
; %bb.498:                              ;   in Loop: Header=BB210_270 Depth=1
	v_bfe_u32 v47, v15, 24, 7
	v_mov_b32_e32 v11, v5
	v_mov_b32_e32 v23, v12
	v_cmp_ne_u32_e64 s[0:1], s25, v47
	v_mov_b32_e32 v22, v11
	s_and_saveexec_b64 s[14:15], s[0:1]
	s_cbranch_execz .LBB210_500
; %bb.499:                              ;   in Loop: Header=BB210_270 Depth=1
	v_and_b32_sdwa v22, v15, v52 dst_sel:DWORD dst_unused:UNUSED_PAD src0_sel:BYTE_3 src1_sel:DWORD
	v_lshrrev_b32_e32 v11, 3, v47
	v_cmp_gt_u32_e64 s[0:1], 8, v47
	v_ffbh_u32_e32 v47, v22
	v_min_u32_e32 v49, 32, v47
	v_mov_b32_e32 v23, v5
	v_subrev_u32_e32 v47, 28, v49
	v_lshlrev_b64 v[47:48], v47, v[22:23]
	v_sub_u32_e32 v23, 29, v49
	v_bfrev_b32_e32 v49, 60
	v_and_b32_e32 v47, 7, v47
	v_cndmask_b32_e64 v11, v11, v23, s[0:1]
	v_cndmask_b32_e64 v22, v22, v47, s[0:1]
	v_lshlrev_b32_sdwa v15, v51, v15 dst_sel:DWORD dst_unused:UNUSED_PAD src0_sel:DWORD src1_sel:BYTE_3
	v_lshl_add_u32 v11, v11, 23, v49
	v_and_or_b32 v11, v15, s26, v11
	v_lshlrev_b32_e32 v15, 20, v22
	v_or_b32_e32 v23, v11, v15
	v_mov_b32_e32 v22, v5
.LBB210_500:                            ;   in Loop: Header=BB210_270 Depth=1
	s_or_b64 exec, exec, s[14:15]
.LBB210_501:                            ;   in Loop: Header=BB210_270 Depth=1
	s_or_b64 exec, exec, s[12:13]
.LBB210_502:                            ;   in Loop: Header=BB210_270 Depth=1
	s_or_b64 exec, exec, s[6:7]
	v_or_b32_e32 v11, v19, v17
	v_or_b32_e32 v15, v18, v16
	v_mul_f32_e32 v47, s18, v11
	v_mul_f32_e32 v48, s17, v15
	v_or_b32_e32 v11, v23, v21
	v_or_b32_e32 v15, v22, v20
	v_mul_f32_e32 v23, s17, v15
	v_mul_f32_e32 v22, s18, v11
	s_and_saveexec_b64 s[6:7], vcc
	s_cbranch_execz .LBB210_504
; %bb.503:                              ;   in Loop: Header=BB210_270 Depth=1
	v_add_u32_e32 v11, -3, v38
	v_cmp_gt_i32_e64 s[0:1], s30, v11
	v_add_u32_e32 v11, -2, v38
	v_cndmask_b32_e64 v48, 0, v48, s[0:1]
	v_cmp_gt_i32_e64 s[0:1], s30, v11
	v_add_u32_e32 v11, -1, v38
	v_cndmask_b32_e64 v47, 0, v47, s[0:1]
	v_cmp_gt_i32_e64 s[0:1], s30, v11
	v_cndmask_b32_e64 v23, 0, v23, s[0:1]
	v_cmp_gt_i32_e64 s[0:1], s30, v38
	v_cndmask_b32_e64 v22, 0, v22, s[0:1]
.LBB210_504:                            ;   in Loop: Header=BB210_270 Depth=1
	s_or_b64 exec, exec, s[6:7]
	global_load_dword v13, v[13:14], off offset:2304
	v_mov_b32_e32 v16, 0
	v_mov_b32_e32 v14, 0
	;; [unrolled: 1-line block ×4, first 2 shown]
	s_waitcnt vmcnt(0)
	v_cmp_ne_u16_sdwa s[0:1], v13, v5 src0_sel:BYTE_0 src1_sel:DWORD
	s_and_saveexec_b64 s[6:7], s[0:1]
	s_cbranch_execz .LBB210_510
; %bb.505:                              ;   in Loop: Header=BB210_270 Depth=1
	v_bfrev_b32_e32 v14, 1
	v_mov_b32_e32 v15, 0
	v_cmp_ne_u16_sdwa s[0:1], v13, s24 src0_sel:BYTE_0 src1_sel:DWORD
	s_and_saveexec_b64 s[12:13], s[0:1]
	s_cbranch_execz .LBB210_509
; %bb.506:                              ;   in Loop: Header=BB210_270 Depth=1
	v_and_b32_e32 v11, 0x7f, v13
	v_mov_b32_e32 v14, 0x7f800001
	v_mov_b32_e32 v15, 0
	v_cmp_ne_u32_e64 s[0:1], s25, v11
	s_and_saveexec_b64 s[14:15], s[0:1]
	s_cbranch_execz .LBB210_508
; %bb.507:                              ;   in Loop: Header=BB210_270 Depth=1
	v_and_b32_e32 v18, 7, v13
	v_lshrrev_b32_e32 v19, 3, v11
	v_cmp_gt_u32_e64 s[0:1], 8, v11
	v_ffbh_u32_e32 v11, v18
	v_min_u32_e32 v11, 32, v11
	v_subrev_u32_e32 v14, 28, v11
	v_lshlrev_b64 v[14:15], v14, v[13:14]
	v_sub_u32_e32 v11, 29, v11
	v_and_b32_e32 v14, 7, v14
	v_cndmask_b32_e64 v11, v19, v11, s[0:1]
	v_cndmask_b32_e64 v14, v18, v14, s[0:1]
	v_lshlrev_b32_e32 v14, 20, v14
	v_and_b32_sdwa v15, sext(v13), s26 dst_sel:DWORD dst_unused:UNUSED_PAD src0_sel:BYTE_0 src1_sel:DWORD
	v_lshl_add_u32 v11, v11, 23, v49
	v_or3_b32 v14, v15, v11, v14
	v_mov_b32_e32 v15, v5
.LBB210_508:                            ;   in Loop: Header=BB210_270 Depth=1
	s_or_b64 exec, exec, s[14:15]
.LBB210_509:                            ;   in Loop: Header=BB210_270 Depth=1
	s_or_b64 exec, exec, s[12:13]
.LBB210_510:                            ;   in Loop: Header=BB210_270 Depth=1
	s_or_b64 exec, exec, s[6:7]
	v_cmp_ne_u16_sdwa s[0:1], v13, v5 src0_sel:BYTE_1 src1_sel:DWORD
	s_and_saveexec_b64 s[6:7], s[0:1]
	s_cbranch_execz .LBB210_516
; %bb.511:                              ;   in Loop: Header=BB210_270 Depth=1
	v_mov_b32_e32 v17, v6
	v_cmp_ne_u16_sdwa s[0:1], v13, s24 src0_sel:BYTE_1 src1_sel:DWORD
	v_mov_b32_e32 v16, v5
	s_and_saveexec_b64 s[12:13], s[0:1]
	s_cbranch_execz .LBB210_515
; %bb.512:                              ;   in Loop: Header=BB210_270 Depth=1
	v_and_b32_sdwa v18, v13, s25 dst_sel:DWORD dst_unused:UNUSED_PAD src0_sel:BYTE_1 src1_sel:DWORD
	v_mov_b32_e32 v11, v5
	v_mov_b32_e32 v17, v12
	v_cmp_ne_u32_e64 s[0:1], s25, v18
	v_mov_b32_e32 v16, v11
	s_and_saveexec_b64 s[14:15], s[0:1]
	s_cbranch_execz .LBB210_514
; %bb.513:                              ;   in Loop: Header=BB210_270 Depth=1
	v_and_b32_sdwa v16, v13, v52 dst_sel:DWORD dst_unused:UNUSED_PAD src0_sel:BYTE_1 src1_sel:DWORD
	v_lshrrev_b32_e32 v11, 3, v18
	v_cmp_gt_u32_e64 s[0:1], 8, v18
	v_ffbh_u32_e32 v18, v16
	v_min_u32_e32 v19, 32, v18
	v_mov_b32_e32 v17, v5
	v_subrev_u32_e32 v18, 28, v19
	v_lshlrev_b64 v[17:18], v18, v[16:17]
	v_sub_u32_e32 v18, 29, v19
	v_and_b32_e32 v17, 7, v17
	v_cndmask_b32_e64 v11, v11, v18, s[0:1]
	v_cndmask_b32_e64 v16, v16, v17, s[0:1]
	v_lshlrev_b32_e32 v17, 16, v13
	v_lshl_add_u32 v11, v11, 23, v49
	v_and_or_b32 v11, v17, s26, v11
	v_lshlrev_b32_e32 v16, 20, v16
	v_or_b32_e32 v17, v11, v16
	v_mov_b32_e32 v16, v5
.LBB210_514:                            ;   in Loop: Header=BB210_270 Depth=1
	s_or_b64 exec, exec, s[14:15]
.LBB210_515:                            ;   in Loop: Header=BB210_270 Depth=1
	s_or_b64 exec, exec, s[12:13]
.LBB210_516:                            ;   in Loop: Header=BB210_270 Depth=1
	s_or_b64 exec, exec, s[6:7]
	v_lshrrev_b32_e32 v11, 16, v13
	v_mov_b32_e32 v20, 0
	v_mov_b32_e32 v18, 0
	;; [unrolled: 1-line block ×4, first 2 shown]
	v_cmp_ne_u16_sdwa s[0:1], v11, v5 src0_sel:BYTE_0 src1_sel:DWORD
	s_and_saveexec_b64 s[6:7], s[0:1]
	s_cbranch_execz .LBB210_522
; %bb.517:                              ;   in Loop: Header=BB210_270 Depth=1
	v_bfrev_b32_e32 v18, 1
	v_mov_b32_e32 v19, 0
	v_cmp_ne_u16_sdwa s[0:1], v11, s24 src0_sel:BYTE_0 src1_sel:DWORD
	s_and_saveexec_b64 s[12:13], s[0:1]
	s_cbranch_execz .LBB210_521
; %bb.518:                              ;   in Loop: Header=BB210_270 Depth=1
	v_bfe_u32 v49, v13, 16, 7
	v_mov_b32_e32 v18, 0x7f800001
	v_bfrev_b32_e32 v52, 60
	v_mov_b32_e32 v19, 0
	v_cmp_ne_u32_e64 s[0:1], s25, v49
	s_and_saveexec_b64 s[14:15], s[0:1]
	s_cbranch_execz .LBB210_520
; %bb.519:                              ;   in Loop: Header=BB210_270 Depth=1
	v_and_b32_e32 v50, 7, v11
	v_ffbh_u32_e32 v18, v50
	v_lshrrev_b32_e32 v51, 3, v49
	v_cmp_gt_u32_e64 s[0:1], 8, v49
	v_min_u32_e32 v49, 32, v18
	v_subrev_u32_e32 v18, 28, v49
	v_lshlrev_b64 v[18:19], v18, v[11:12]
	v_sub_u32_e32 v19, 29, v49
	v_and_b32_e32 v18, 7, v18
	v_cndmask_b32_e64 v19, v51, v19, s[0:1]
	v_cndmask_b32_e64 v18, v50, v18, s[0:1]
	v_lshlrev_b32_e32 v18, 20, v18
	v_and_b32_sdwa v11, sext(v11), s26 dst_sel:DWORD dst_unused:UNUSED_PAD src0_sel:BYTE_0 src1_sel:DWORD
	v_lshl_add_u32 v19, v19, 23, v52
	v_mov_b32_e32 v51, 24
	v_or3_b32 v18, v11, v19, v18
	v_mov_b32_e32 v19, v5
.LBB210_520:                            ;   in Loop: Header=BB210_270 Depth=1
	s_or_b64 exec, exec, s[14:15]
	v_bfrev_b32_e32 v49, 60
	v_mov_b32_e32 v52, 7
.LBB210_521:                            ;   in Loop: Header=BB210_270 Depth=1
	s_or_b64 exec, exec, s[12:13]
.LBB210_522:                            ;   in Loop: Header=BB210_270 Depth=1
	s_or_b64 exec, exec, s[6:7]
	v_cmp_lt_u32_e64 s[0:1], s27, v13
	s_and_saveexec_b64 s[6:7], s[0:1]
	s_cbranch_execz .LBB210_528
; %bb.523:                              ;   in Loop: Header=BB210_270 Depth=1
	v_mov_b32_e32 v21, v6
	v_cmp_ne_u32_sdwa s[0:1], v13, s24 src0_sel:BYTE_3 src1_sel:DWORD
	v_mov_b32_e32 v20, v5
	s_and_saveexec_b64 s[12:13], s[0:1]
	s_cbranch_execz .LBB210_527
; %bb.524:                              ;   in Loop: Header=BB210_270 Depth=1
	v_bfe_u32 v49, v13, 24, 7
	v_mov_b32_e32 v11, v5
	v_mov_b32_e32 v21, v12
	;; [unrolled: 1-line block ×3, first 2 shown]
	v_bfrev_b32_e32 v52, 60
	v_cmp_ne_u32_e64 s[0:1], s25, v49
	v_mov_b32_e32 v20, v11
	s_and_saveexec_b64 s[14:15], s[0:1]
	s_cbranch_execz .LBB210_526
; %bb.525:                              ;   in Loop: Header=BB210_270 Depth=1
	v_and_b32_sdwa v20, v13, v50 dst_sel:DWORD dst_unused:UNUSED_PAD src0_sel:BYTE_3 src1_sel:DWORD
	v_lshrrev_b32_e32 v11, 3, v49
	v_cmp_gt_u32_e64 s[0:1], 8, v49
	v_ffbh_u32_e32 v49, v20
	v_min_u32_e32 v51, 32, v49
	v_mov_b32_e32 v21, v5
	v_subrev_u32_e32 v49, 28, v51
	v_lshlrev_b64 v[49:50], v49, v[20:21]
	v_sub_u32_e32 v21, 29, v51
	v_mov_b32_e32 v51, 24
	v_and_b32_e32 v49, 7, v49
	v_cndmask_b32_e64 v11, v11, v21, s[0:1]
	v_cndmask_b32_e64 v20, v20, v49, s[0:1]
	v_lshlrev_b32_sdwa v13, v51, v13 dst_sel:DWORD dst_unused:UNUSED_PAD src0_sel:DWORD src1_sel:BYTE_3
	v_lshl_add_u32 v11, v11, 23, v52
	v_and_or_b32 v11, v13, s26, v11
	v_lshlrev_b32_e32 v13, 20, v20
	v_or_b32_e32 v21, v11, v13
	v_mov_b32_e32 v20, v5
.LBB210_526:                            ;   in Loop: Header=BB210_270 Depth=1
	s_or_b64 exec, exec, s[14:15]
	v_bfrev_b32_e32 v49, 60
	v_mov_b32_e32 v52, 7
.LBB210_527:                            ;   in Loop: Header=BB210_270 Depth=1
	s_or_b64 exec, exec, s[12:13]
.LBB210_528:                            ;   in Loop: Header=BB210_270 Depth=1
	s_or_b64 exec, exec, s[6:7]
	v_or_b32_e32 v13, v16, v14
	v_or_b32_e32 v11, v17, v15
	v_mul_f32_e32 v15, s17, v13
	v_or_b32_e32 v13, v21, v19
	v_or_b32_e32 v14, v20, v18
	v_mul_f32_e32 v11, s18, v11
	v_mul_f32_e32 v14, s17, v14
	;; [unrolled: 1-line block ×3, first 2 shown]
	s_and_saveexec_b64 s[0:1], vcc
	s_cbranch_execz .LBB210_269
; %bb.529:                              ;   in Loop: Header=BB210_270 Depth=1
	v_add_u32_e32 v16, -3, v38
	v_cmp_gt_i32_e32 vcc, s30, v16
	v_add_u32_e32 v16, -2, v38
	v_cndmask_b32_e32 v15, 0, v15, vcc
	v_cmp_gt_i32_e32 vcc, s30, v16
	v_add_u32_e32 v16, -1, v38
	v_cndmask_b32_e32 v11, 0, v11, vcc
	v_cmp_gt_i32_e32 vcc, s30, v16
	v_cndmask_b32_e32 v14, 0, v14, vcc
	v_cmp_gt_i32_e32 vcc, s30, v38
	v_cndmask_b32_e32 v13, 0, v13, vcc
	s_branch .LBB210_269
.LBB210_530:
	s_or_b64 exec, exec, s[4:5]
	buffer_load_dword v16, off, s[48:51], 0 offset:68 ; 4-byte Folded Reload
	buffer_load_dword v12, off, s[48:51], 0 offset:76 ; 4-byte Folded Reload
	;; [unrolled: 1-line block ×5, first 2 shown]
.LBB210_531:
	s_or_b64 exec, exec, s[2:3]
	s_waitcnt vmcnt(3)
	ds_bpermute_b32 v0, v12, v36
	ds_bpermute_b32 v1, v12, v37
	;; [unrolled: 1-line block ×5, first 2 shown]
	s_waitcnt lgkmcnt(4)
	v_add_f32_e32 v0, v36, v0
	s_waitcnt vmcnt(2)
	ds_bpermute_b32 v4, v14, v0
	s_waitcnt lgkmcnt(4)
	v_add_f32_e32 v1, v37, v1
	ds_bpermute_b32 v5, v14, v1
	s_waitcnt lgkmcnt(4)
	v_add_f32_e32 v2, v35, v2
	s_waitcnt lgkmcnt(3)
	v_add_f32_e32 v3, v34, v3
	;; [unrolled: 2-line block ×3, first 2 shown]
	s_waitcnt vmcnt(1)
	ds_bpermute_b32 v4, v17, v0
	s_waitcnt lgkmcnt(1)
	v_add_f32_e32 v1, v1, v5
	ds_bpermute_b32 v5, v17, v1
	ds_bpermute_b32 v6, v14, v2
	;; [unrolled: 1-line block ×3, first 2 shown]
	s_waitcnt lgkmcnt(3)
	v_add_f32_e32 v0, v0, v4
	ds_bpermute_b32 v4, v14, v3
	s_waitcnt lgkmcnt(3)
	v_add_f32_e32 v1, v1, v5
	v_add_f32_e32 v5, v33, v7
	s_waitcnt lgkmcnt(2)
	v_add_f32_e32 v2, v2, v6
	ds_bpermute_b32 v7, v14, v5
	s_waitcnt lgkmcnt(1)
	v_add_f32_e32 v3, v3, v4
	ds_bpermute_b32 v4, v12, v32
	ds_bpermute_b32 v6, v17, v2
	s_waitcnt lgkmcnt(0)
	v_add_f32_e32 v5, v5, v7
	ds_bpermute_b32 v7, v12, v31
	v_add_f32_e32 v9, v32, v4
	v_add_f32_e32 v2, v2, v6
	ds_bpermute_b32 v6, v17, v3
	ds_bpermute_b32 v8, v17, v5
	;; [unrolled: 1-line block ×3, first 2 shown]
	s_waitcnt vmcnt(0) lgkmcnt(0)
	s_barrier
	v_add_f32_e32 v3, v3, v6
	v_add_f32_e32 v6, v31, v7
	;; [unrolled: 1-line block ×4, first 2 shown]
	ds_bpermute_b32 v9, v12, v30
	ds_bpermute_b32 v7, v14, v6
	v_add_f32_e32 v11, v28, v11
	ds_bpermute_b32 v8, v17, v5
	s_waitcnt lgkmcnt(2)
	v_add_f32_e32 v9, v30, v9
	s_waitcnt lgkmcnt(1)
	v_add_f32_e32 v6, v6, v7
	ds_bpermute_b32 v7, v12, v29
	ds_bpermute_b32 v12, v14, v9
	;; [unrolled: 1-line block ×3, first 2 shown]
	s_waitcnt lgkmcnt(3)
	v_add_f32_e32 v5, v5, v8
	s_waitcnt lgkmcnt(2)
	v_add_f32_e32 v7, v29, v7
	;; [unrolled: 2-line block ×3, first 2 shown]
	ds_bpermute_b32 v13, v14, v7
	ds_bpermute_b32 v12, v17, v9
	;; [unrolled: 1-line block ×3, first 2 shown]
	s_waitcnt lgkmcnt(3)
	v_add_f32_e32 v6, v6, v10
	s_waitcnt lgkmcnt(2)
	v_add_f32_e32 v13, v7, v13
	;; [unrolled: 2-line block ×3, first 2 shown]
	buffer_load_dword v12, off, s[48:51], 0 offset:304 ; 4-byte Folded Reload
	s_waitcnt lgkmcnt(0)
	v_add_f32_e32 v11, v11, v14
	ds_bpermute_b32 v14, v17, v11
	ds_bpermute_b32 v15, v17, v13
	s_waitcnt lgkmcnt(1)
	v_add_f32_e32 v9, v11, v14
	s_waitcnt lgkmcnt(0)
	v_add_f32_e32 v8, v13, v15
	s_waitcnt vmcnt(0)
	v_and_b32_e32 v11, 0x3c7, v12
	v_cmp_eq_u32_e32 vcc, 64, v11
	s_and_saveexec_b64 s[0:1], vcc
	s_cbranch_execz .LBB210_533
; %bb.532:
	v_lshrrev_b32_e32 v10, 1, v16
	v_add_u32_e32 v10, 0x150, v10
	ds_write2_b32 v10, v0, v1 offset1:8
	ds_write2_b32 v10, v2, v3 offset0:16 offset1:24
	ds_write2_b32 v10, v4, v5 offset0:32 offset1:40
	ds_write2_b32 v10, v6, v7 offset0:48 offset1:56
	ds_write2_b32 v10, v8, v9 offset0:64 offset1:72
.LBB210_533:
	s_or_b64 exec, exec, s[0:1]
	v_cmp_gt_u32_e32 vcc, 64, v12
	v_lshrrev_b32_e32 v10, 3, v12
	s_waitcnt lgkmcnt(0)
	s_barrier
	s_and_saveexec_b64 s[0:1], vcc
	s_cbranch_execz .LBB210_546
; %bb.534:
	v_mov_b32_e32 v12, 0x150
	v_cmp_eq_u32_e32 vcc, 0, v18
	v_lshl_add_u32 v12, v10, 2, v12
	s_and_saveexec_b64 s[2:3], vcc
	s_cbranch_execnz .LBB210_549
; %bb.535:
	s_or_b64 exec, exec, s[2:3]
	s_and_saveexec_b64 s[2:3], vcc
	s_cbranch_execnz .LBB210_550
.LBB210_536:
	s_or_b64 exec, exec, s[2:3]
	s_and_saveexec_b64 s[2:3], vcc
	s_cbranch_execnz .LBB210_551
.LBB210_537:
	s_or_b64 exec, exec, s[2:3]
	s_and_saveexec_b64 s[2:3], vcc
	s_cbranch_execnz .LBB210_552
.LBB210_538:
	s_or_b64 exec, exec, s[2:3]
	s_and_saveexec_b64 s[2:3], vcc
	s_cbranch_execnz .LBB210_553
.LBB210_539:
	s_or_b64 exec, exec, s[2:3]
	s_and_saveexec_b64 s[2:3], vcc
	s_cbranch_execnz .LBB210_554
.LBB210_540:
	s_or_b64 exec, exec, s[2:3]
	s_and_saveexec_b64 s[2:3], vcc
	s_cbranch_execnz .LBB210_555
.LBB210_541:
	s_or_b64 exec, exec, s[2:3]
	s_and_saveexec_b64 s[2:3], vcc
	s_cbranch_execnz .LBB210_556
.LBB210_542:
	s_or_b64 exec, exec, s[2:3]
	s_and_saveexec_b64 s[2:3], vcc
	s_cbranch_execnz .LBB210_557
.LBB210_543:
	s_or_b64 exec, exec, s[2:3]
	s_and_saveexec_b64 s[2:3], vcc
	s_cbranch_execz .LBB210_545
.LBB210_544:
	ds_read_b32 v12, v12 offset:288
	s_waitcnt lgkmcnt(0)
	v_add_f32_e32 v9, v9, v12
.LBB210_545:
	s_or_b64 exec, exec, s[2:3]
.LBB210_546:
	s_or_b64 exec, exec, s[0:1]
	v_cmp_eq_u32_e32 vcc, 0, v11
	s_barrier
	s_and_saveexec_b64 s[0:1], vcc
	s_cbranch_execz .LBB210_548
; %bb.547:
	s_mul_i32 s0, s10, s11
	s_mul_i32 s0, s0, s9
	s_mulk_i32 s0, 0x50
	s_ashr_i32 s1, s0, 31
	s_lshl_b64 s[0:1], s[0:1], 2
	s_add_u32 s2, s22, s0
	s_mul_i32 s0, s11, s20
	s_addc_u32 s3, s23, s1
	s_ashr_i32 s1, s0, 31
	s_lshl_b64 s[0:1], s[0:1], 2
	s_add_u32 s2, s2, s0
	s_mul_i32 s0, s8, 0x50
	s_addc_u32 s3, s3, s1
	s_ashr_i32 s1, s0, 31
	s_lshl_b64 s[0:1], s[0:1], 2
	s_add_u32 s0, s2, s0
	s_addc_u32 s1, s3, s1
	v_lshlrev_b32_e32 v10, 2, v10
	global_store_dword v10, v0, s[0:1]
	global_store_dword v10, v1, s[0:1] offset:32
	global_store_dword v10, v2, s[0:1] offset:64
	;; [unrolled: 1-line block ×9, first 2 shown]
.LBB210_548:
	s_endpgm
.LBB210_549:
	ds_read_b32 v13, v12
	s_waitcnt lgkmcnt(0)
	v_add_f32_e32 v0, v0, v13
	s_or_b64 exec, exec, s[2:3]
	s_and_saveexec_b64 s[2:3], vcc
	s_cbranch_execz .LBB210_536
.LBB210_550:
	ds_read_b32 v13, v12 offset:32
	s_waitcnt lgkmcnt(0)
	v_add_f32_e32 v1, v1, v13
	s_or_b64 exec, exec, s[2:3]
	s_and_saveexec_b64 s[2:3], vcc
	s_cbranch_execz .LBB210_537
.LBB210_551:
	ds_read_b32 v13, v12 offset:64
	s_waitcnt lgkmcnt(0)
	v_add_f32_e32 v2, v2, v13
	s_or_b64 exec, exec, s[2:3]
	s_and_saveexec_b64 s[2:3], vcc
	s_cbranch_execz .LBB210_538
.LBB210_552:
	ds_read_b32 v13, v12 offset:96
	s_waitcnt lgkmcnt(0)
	v_add_f32_e32 v3, v3, v13
	s_or_b64 exec, exec, s[2:3]
	s_and_saveexec_b64 s[2:3], vcc
	s_cbranch_execz .LBB210_539
.LBB210_553:
	ds_read_b32 v13, v12 offset:128
	s_waitcnt lgkmcnt(0)
	v_add_f32_e32 v4, v4, v13
	s_or_b64 exec, exec, s[2:3]
	s_and_saveexec_b64 s[2:3], vcc
	s_cbranch_execz .LBB210_540
.LBB210_554:
	ds_read_b32 v13, v12 offset:160
	s_waitcnt lgkmcnt(0)
	v_add_f32_e32 v5, v5, v13
	s_or_b64 exec, exec, s[2:3]
	s_and_saveexec_b64 s[2:3], vcc
	s_cbranch_execz .LBB210_541
.LBB210_555:
	ds_read_b32 v13, v12 offset:192
	s_waitcnt lgkmcnt(0)
	v_add_f32_e32 v6, v6, v13
	s_or_b64 exec, exec, s[2:3]
	s_and_saveexec_b64 s[2:3], vcc
	s_cbranch_execz .LBB210_542
.LBB210_556:
	ds_read_b32 v13, v12 offset:224
	s_waitcnt lgkmcnt(0)
	v_add_f32_e32 v7, v7, v13
	s_or_b64 exec, exec, s[2:3]
	s_and_saveexec_b64 s[2:3], vcc
	s_cbranch_execz .LBB210_543
.LBB210_557:
	ds_read_b32 v13, v12 offset:256
	s_waitcnt lgkmcnt(0)
	v_add_f32_e32 v8, v8, v13
	s_or_b64 exec, exec, s[2:3]
	s_and_saveexec_b64 s[2:3], vcc
	s_cbranch_execnz .LBB210_544
	s_branch .LBB210_545
	.section	.rodata,"a",@progbits
	.p2align	6, 0x0
	.amdhsa_kernel _ZN4vllm25paged_attention_v1_kernelIfhLi80ELi32ELi128ELNS_18Fp8KVCacheDataTypeE1ELb0EEEvPT_PKS2_PKT0_S8_ifPKiSA_iPKfiiiSC_SC_iiiii
		.amdhsa_group_segment_fixed_size 336
		.amdhsa_private_segment_fixed_size 332
		.amdhsa_kernarg_size 384
		.amdhsa_user_sgpr_count 6
		.amdhsa_user_sgpr_private_segment_buffer 1
		.amdhsa_user_sgpr_dispatch_ptr 0
		.amdhsa_user_sgpr_queue_ptr 0
		.amdhsa_user_sgpr_kernarg_segment_ptr 1
		.amdhsa_user_sgpr_dispatch_id 0
		.amdhsa_user_sgpr_flat_scratch_init 0
		.amdhsa_user_sgpr_private_segment_size 0
		.amdhsa_uses_dynamic_stack 0
		.amdhsa_system_sgpr_private_segment_wavefront_offset 1
		.amdhsa_system_sgpr_workgroup_id_x 1
		.amdhsa_system_sgpr_workgroup_id_y 1
		.amdhsa_system_sgpr_workgroup_id_z 1
		.amdhsa_system_sgpr_workgroup_info 0
		.amdhsa_system_vgpr_workitem_id 0
		.amdhsa_next_free_vgpr 64
		.amdhsa_next_free_sgpr 52
		.amdhsa_reserve_vcc 1
		.amdhsa_reserve_flat_scratch 0
		.amdhsa_float_round_mode_32 0
		.amdhsa_float_round_mode_16_64 0
		.amdhsa_float_denorm_mode_32 3
		.amdhsa_float_denorm_mode_16_64 3
		.amdhsa_dx10_clamp 1
		.amdhsa_ieee_mode 1
		.amdhsa_fp16_overflow 0
		.amdhsa_exception_fp_ieee_invalid_op 0
		.amdhsa_exception_fp_denorm_src 0
		.amdhsa_exception_fp_ieee_div_zero 0
		.amdhsa_exception_fp_ieee_overflow 0
		.amdhsa_exception_fp_ieee_underflow 0
		.amdhsa_exception_fp_ieee_inexact 0
		.amdhsa_exception_int_div_zero 0
	.end_amdhsa_kernel
	.section	.text._ZN4vllm25paged_attention_v1_kernelIfhLi80ELi32ELi128ELNS_18Fp8KVCacheDataTypeE1ELb0EEEvPT_PKS2_PKT0_S8_ifPKiSA_iPKfiiiSC_SC_iiiii,"axG",@progbits,_ZN4vllm25paged_attention_v1_kernelIfhLi80ELi32ELi128ELNS_18Fp8KVCacheDataTypeE1ELb0EEEvPT_PKS2_PKT0_S8_ifPKiSA_iPKfiiiSC_SC_iiiii,comdat
.Lfunc_end210:
	.size	_ZN4vllm25paged_attention_v1_kernelIfhLi80ELi32ELi128ELNS_18Fp8KVCacheDataTypeE1ELb0EEEvPT_PKS2_PKT0_S8_ifPKiSA_iPKfiiiSC_SC_iiiii, .Lfunc_end210-_ZN4vllm25paged_attention_v1_kernelIfhLi80ELi32ELi128ELNS_18Fp8KVCacheDataTypeE1ELb0EEEvPT_PKS2_PKT0_S8_ifPKiSA_iPKfiiiSC_SC_iiiii
                                        ; -- End function
	.set _ZN4vllm25paged_attention_v1_kernelIfhLi80ELi32ELi128ELNS_18Fp8KVCacheDataTypeE1ELb0EEEvPT_PKS2_PKT0_S8_ifPKiSA_iPKfiiiSC_SC_iiiii.num_vgpr, 64
	.set _ZN4vllm25paged_attention_v1_kernelIfhLi80ELi32ELi128ELNS_18Fp8KVCacheDataTypeE1ELb0EEEvPT_PKS2_PKT0_S8_ifPKiSA_iPKfiiiSC_SC_iiiii.num_agpr, 0
	.set _ZN4vllm25paged_attention_v1_kernelIfhLi80ELi32ELi128ELNS_18Fp8KVCacheDataTypeE1ELb0EEEvPT_PKS2_PKT0_S8_ifPKiSA_iPKfiiiSC_SC_iiiii.numbered_sgpr, 52
	.set _ZN4vllm25paged_attention_v1_kernelIfhLi80ELi32ELi128ELNS_18Fp8KVCacheDataTypeE1ELb0EEEvPT_PKS2_PKT0_S8_ifPKiSA_iPKfiiiSC_SC_iiiii.num_named_barrier, 0
	.set _ZN4vllm25paged_attention_v1_kernelIfhLi80ELi32ELi128ELNS_18Fp8KVCacheDataTypeE1ELb0EEEvPT_PKS2_PKT0_S8_ifPKiSA_iPKfiiiSC_SC_iiiii.private_seg_size, 332
	.set _ZN4vllm25paged_attention_v1_kernelIfhLi80ELi32ELi128ELNS_18Fp8KVCacheDataTypeE1ELb0EEEvPT_PKS2_PKT0_S8_ifPKiSA_iPKfiiiSC_SC_iiiii.uses_vcc, 1
	.set _ZN4vllm25paged_attention_v1_kernelIfhLi80ELi32ELi128ELNS_18Fp8KVCacheDataTypeE1ELb0EEEvPT_PKS2_PKT0_S8_ifPKiSA_iPKfiiiSC_SC_iiiii.uses_flat_scratch, 0
	.set _ZN4vllm25paged_attention_v1_kernelIfhLi80ELi32ELi128ELNS_18Fp8KVCacheDataTypeE1ELb0EEEvPT_PKS2_PKT0_S8_ifPKiSA_iPKfiiiSC_SC_iiiii.has_dyn_sized_stack, 0
	.set _ZN4vllm25paged_attention_v1_kernelIfhLi80ELi32ELi128ELNS_18Fp8KVCacheDataTypeE1ELb0EEEvPT_PKS2_PKT0_S8_ifPKiSA_iPKfiiiSC_SC_iiiii.has_recursion, 0
	.set _ZN4vllm25paged_attention_v1_kernelIfhLi80ELi32ELi128ELNS_18Fp8KVCacheDataTypeE1ELb0EEEvPT_PKS2_PKT0_S8_ifPKiSA_iPKfiiiSC_SC_iiiii.has_indirect_call, 0
	.section	.AMDGPU.csdata,"",@progbits
; Kernel info:
; codeLenInByte = 24504
; TotalNumSgprs: 56
; NumVgprs: 64
; ScratchSize: 332
; MemoryBound: 0
; FloatMode: 240
; IeeeMode: 1
; LDSByteSize: 336 bytes/workgroup (compile time only)
; SGPRBlocks: 6
; VGPRBlocks: 15
; NumSGPRsForWavesPerEU: 56
; NumVGPRsForWavesPerEU: 64
; Occupancy: 4
; WaveLimiterHint : 1
; COMPUTE_PGM_RSRC2:SCRATCH_EN: 1
; COMPUTE_PGM_RSRC2:USER_SGPR: 6
; COMPUTE_PGM_RSRC2:TRAP_HANDLER: 0
; COMPUTE_PGM_RSRC2:TGID_X_EN: 1
; COMPUTE_PGM_RSRC2:TGID_Y_EN: 1
; COMPUTE_PGM_RSRC2:TGID_Z_EN: 1
; COMPUTE_PGM_RSRC2:TIDIG_COMP_CNT: 0
	.section	.text._ZN4vllm25paged_attention_v1_kernelIfhLi96ELi32ELi128ELNS_18Fp8KVCacheDataTypeE1ELb0EEEvPT_PKS2_PKT0_S8_ifPKiSA_iPKfiiiSC_SC_iiiii,"axG",@progbits,_ZN4vllm25paged_attention_v1_kernelIfhLi96ELi32ELi128ELNS_18Fp8KVCacheDataTypeE1ELb0EEEvPT_PKS2_PKT0_S8_ifPKiSA_iPKfiiiSC_SC_iiiii,comdat
	.protected	_ZN4vllm25paged_attention_v1_kernelIfhLi96ELi32ELi128ELNS_18Fp8KVCacheDataTypeE1ELb0EEEvPT_PKS2_PKT0_S8_ifPKiSA_iPKfiiiSC_SC_iiiii ; -- Begin function _ZN4vllm25paged_attention_v1_kernelIfhLi96ELi32ELi128ELNS_18Fp8KVCacheDataTypeE1ELb0EEEvPT_PKS2_PKT0_S8_ifPKiSA_iPKfiiiSC_SC_iiiii
	.globl	_ZN4vllm25paged_attention_v1_kernelIfhLi96ELi32ELi128ELNS_18Fp8KVCacheDataTypeE1ELb0EEEvPT_PKS2_PKT0_S8_ifPKiSA_iPKfiiiSC_SC_iiiii
	.p2align	8
	.type	_ZN4vllm25paged_attention_v1_kernelIfhLi96ELi32ELi128ELNS_18Fp8KVCacheDataTypeE1ELb0EEEvPT_PKS2_PKT0_S8_ifPKiSA_iPKfiiiSC_SC_iiiii,@function
_ZN4vllm25paged_attention_v1_kernelIfhLi96ELi32ELi128ELNS_18Fp8KVCacheDataTypeE1ELb0EEEvPT_PKS2_PKT0_S8_ifPKiSA_iPKfiiiSC_SC_iiiii: ; @_ZN4vllm25paged_attention_v1_kernelIfhLi96ELi32ELi128ELNS_18Fp8KVCacheDataTypeE1ELb0EEEvPT_PKS2_PKT0_S8_ifPKiSA_iPKfiiiSC_SC_iiiii
; %bb.0:
	s_mov_b64 s[50:51], s[2:3]
	s_mov_b64 s[48:49], s[0:1]
	s_add_u32 s48, s48, s9
	s_load_dword s9, s[4:5], 0x80
	s_load_dwordx2 s[0:1], s[4:5], 0x30
	s_load_dwordx2 s[30:31], s[4:5], 0x20
	s_addc_u32 s49, s49, 0
	s_mov_b32 s10, s7
	s_ashr_i32 s11, s7, 31
	s_lshl_b64 s[2:3], s[10:11], 2
	s_waitcnt lgkmcnt(0)
	s_add_u32 s0, s0, s2
	s_addc_u32 s1, s1, s3
	s_abs_i32 s2, s30
	v_mov_b32_e32 v10, v0
	v_cvt_f32_u32_e32 v0, s2
	s_sub_i32 s11, 0, s2
	s_abs_i32 s7, s9
	s_xor_b32 s3, s9, s30
	v_rcp_iflag_f32_e32 v0, v0
	s_ashr_i32 s3, s3, 31
	s_mov_b32 s33, 0
	v_mul_f32_e32 v0, 0x4f7ffffe, v0
	v_cvt_u32_f32_e32 v0, v0
	v_readfirstlane_b32 s12, v0
	s_mul_i32 s11, s11, s12
	s_mul_hi_u32 s11, s12, s11
	s_add_i32 s12, s12, s11
	s_mul_hi_u32 s11, s7, s12
	s_mul_i32 s12, s11, s2
	s_sub_i32 s7, s7, s12
	s_add_i32 s12, s11, 1
	s_sub_i32 s13, s7, s2
	s_cmp_ge_u32 s7, s2
	s_cselect_b32 s11, s12, s11
	s_cselect_b32 s7, s13, s7
	s_add_i32 s12, s11, 1
	s_cmp_ge_u32 s7, s2
	s_cselect_b32 s2, s12, s11
	s_xor_b32 s2, s2, s3
	s_sub_i32 s12, s2, s3
	s_abs_i32 s11, s12
	v_cvt_f32_u32_e32 v0, s11
	s_load_dwordx2 s[2:3], s[4:5], 0x40
	s_sub_i32 s7, 0, s11
	s_abs_i32 s16, s6
	v_rcp_iflag_f32_e32 v0, v0
	v_mul_f32_e32 v0, 0x4f7ffffe, v0
	v_cvt_u32_f32_e32 v0, v0
	v_readfirstlane_b32 s13, v0
	s_mul_i32 s7, s7, s13
	s_mul_hi_u32 s7, s13, s7
	s_add_i32 s13, s13, s7
	s_waitcnt lgkmcnt(0)
	s_cmp_eq_u64 s[2:3], 0
	s_mul_hi_u32 s17, s16, s13
	s_cbranch_scc1 .LBB211_2
; %bb.1:
	s_ashr_i32 s7, s6, 31
	s_lshl_b64 s[14:15], s[6:7], 2
	s_add_u32 s2, s2, s14
	s_addc_u32 s3, s3, s15
	s_load_dword s33, s[2:3], 0x0
.LBB211_2:
	s_load_dword s30, s[0:1], 0x0
	s_ashr_i32 s3, s12, 31
	s_load_dwordx4 s[12:15], s[4:5], 0x48
	s_ashr_i32 s2, s6, 31
	v_and_b32_e32 v0, 1, v10
	s_mul_i32 s20, s6, 0x60
	v_cmp_gt_u32_e32 vcc, 48, v10
	v_lshlrev_b32_e32 v11, 2, v10
	s_and_saveexec_b64 s[0:1], vcc
	s_cbranch_execz .LBB211_4
; %bb.3:
	s_load_dwordx2 s[6:7], s[4:5], 0x8
	s_waitcnt lgkmcnt(0)
	s_mul_i32 s18, s12, s10
	s_ashr_i32 s19, s18, 31
	s_lshl_b64 s[18:19], s[18:19], 2
	v_lshlrev_b32_e32 v1, 3, v10
	s_add_u32 s12, s6, s18
	s_addc_u32 s15, s7, s19
	s_ashr_i32 s21, s20, 31
	s_lshl_b64 s[6:7], s[20:21], 2
	s_add_u32 s6, s12, s6
	s_addc_u32 s7, s15, s7
	global_load_dwordx2 v[1:2], v1, s[6:7]
	v_and_b32_e32 v3, 0xff8, v11
	s_movk_i32 s6, 0xc0
	v_mad_u32_u24 v3, v0, s6, v3
	s_waitcnt vmcnt(0)
	ds_write_b64 v3, v[1:2]
.LBB211_4:
	s_or_b64 exec, exec, s[0:1]
	s_waitcnt lgkmcnt(0)
	s_add_i32 s1, s30, 31
	s_ashr_i32 s6, s1, 31
	s_lshr_b32 s6, s6, 27
	s_add_i32 s1, s1, s6
	s_ashr_i32 s21, s1, 5
	s_xor_b32 s1, s2, s3
	s_mul_i32 s2, s17, s11
	s_sub_i32 s2, s16, s2
	s_add_i32 s3, s17, 1
	s_sub_i32 s6, s2, s11
	s_load_dwordx2 s[24:25], s[4:5], 0x28
	s_load_dword s0, s[4:5], 0x38
	s_cmp_ge_u32 s2, s11
	s_cselect_b32 s3, s3, s17
	s_cselect_b32 s2, s6, s2
	s_add_i32 s6, s3, 1
	s_cmp_ge_u32 s2, s11
	s_cselect_b32 s2, s6, s3
	v_lshrrev_b32_e32 v63, 6, v10
	s_xor_b32 s2, s2, s1
	s_waitcnt lgkmcnt(0)
	s_mul_i32 s26, s0, s10
	s_sub_i32 s12, s2, s1
	s_ashr_i32 s27, s26, 31
	v_cmp_gt_i32_e64 s[0:1], s21, v63
	v_cmp_le_i32_e32 vcc, s21, v63
	v_mbcnt_lo_u32_b32 v1, -1, 0
	s_barrier
                                        ; implicit-def: $vgpr14
                                        ; implicit-def: $vgpr7
                                        ; implicit-def: $vgpr8
	s_and_saveexec_b64 s[2:3], vcc
	s_xor_b64 s[2:3], exec, s[2:3]
; %bb.5:
	v_mbcnt_hi_u32_b32 v14, -1, v1
	v_and_b32_e32 v7, 64, v14
	v_add_u32_e32 v8, 64, v7
                                        ; implicit-def: $vgpr0
                                        ; implicit-def: $vgpr1
; %bb.6:
	s_or_saveexec_b64 s[6:7], s[2:3]
	s_load_dwordx2 s[22:23], s[4:5], 0x0
	s_load_dwordx2 s[28:29], s[4:5], 0x18
	s_load_dword s11, s[4:5], 0x88
	s_load_dwordx4 s[16:19], s[4:5], 0x58
	v_mov_b32_e32 v2, 0xff7fffff
	s_mul_i32 s12, s12, s14
	v_lshrrev_b32_e32 v12, 4, v10
	buffer_store_dword v10, off, s[48:51], 0 offset:396 ; 4-byte Folded Spill
	s_xor_b64 exec, exec, s[6:7]
	s_cbranch_execz .LBB211_300
; %bb.7:
	v_mul_u32_u24_e32 v6, 0xc0, v0
	v_bfe_u32 v2, v10, 1, 5
	ds_read_b128 v[7:10], v6
	buffer_store_dword v11, off, s[48:51], 0 offset:400 ; 4-byte Folded Spill
	s_load_dwordx2 s[2:3], s[4:5], 0x10
	s_ashr_i32 s4, s12, 31
	s_waitcnt lgkmcnt(0)
	buffer_store_dword v7, off, s[48:51], 0 offset:192 ; 4-byte Folded Spill
	s_nop 0
	buffer_store_dword v8, off, s[48:51], 0 offset:196 ; 4-byte Folded Spill
	buffer_store_dword v9, off, s[48:51], 0 offset:200 ; 4-byte Folded Spill
	;; [unrolled: 1-line block ×3, first 2 shown]
	ds_read_b128 v[7:10], v6 offset:16
	s_add_u32 s2, s2, s12
	s_addc_u32 s3, s3, s4
	v_lshlrev_b32_e32 v3, 4, v2
	s_waitcnt lgkmcnt(0)
	buffer_store_dword v7, off, s[48:51], 0 offset:208 ; 4-byte Folded Spill
	s_nop 0
	buffer_store_dword v8, off, s[48:51], 0 offset:212 ; 4-byte Folded Spill
	buffer_store_dword v9, off, s[48:51], 0 offset:216 ; 4-byte Folded Spill
	buffer_store_dword v10, off, s[48:51], 0 offset:220 ; 4-byte Folded Spill
	ds_read_b128 v[7:10], v6 offset:32
	v_add_co_u32_e32 v3, vcc, s2, v3
	v_mov_b32_e32 v4, s3
	s_waitcnt lgkmcnt(0)
	buffer_store_dword v7, off, s[48:51], 0 offset:224 ; 4-byte Folded Spill
	s_nop 0
	buffer_store_dword v8, off, s[48:51], 0 offset:228 ; 4-byte Folded Spill
	buffer_store_dword v9, off, s[48:51], 0 offset:232 ; 4-byte Folded Spill
	;; [unrolled: 1-line block ×3, first 2 shown]
	ds_read_b128 v[7:10], v6 offset:48
	v_addc_co_u32_e32 v4, vcc, 0, v4, vcc
	v_lshlrev_b32_e32 v5, 1, v0
	s_waitcnt lgkmcnt(0)
	buffer_store_dword v7, off, s[48:51], 0 offset:240 ; 4-byte Folded Spill
	s_nop 0
	buffer_store_dword v8, off, s[48:51], 0 offset:244 ; 4-byte Folded Spill
	buffer_store_dword v9, off, s[48:51], 0 offset:248 ; 4-byte Folded Spill
	;; [unrolled: 1-line block ×3, first 2 shown]
	ds_read_b128 v[7:10], v6 offset:64
	s_sub_i32 s41, 1, s30
	s_mov_b32 s38, s13
	v_mov_b32_e32 v49, 0
	s_waitcnt lgkmcnt(0)
	buffer_store_dword v7, off, s[48:51], 0 offset:256 ; 4-byte Folded Spill
	s_nop 0
	buffer_store_dword v8, off, s[48:51], 0 offset:260 ; 4-byte Folded Spill
	buffer_store_dword v9, off, s[48:51], 0 offset:264 ; 4-byte Folded Spill
	;; [unrolled: 1-line block ×3, first 2 shown]
	ds_read_b128 v[7:10], v6 offset:80
	v_cmp_neq_f32_e64 s[2:3], s33, 0
	s_movk_i32 s42, 0x80
	s_movk_i32 s43, 0x7f
	s_waitcnt lgkmcnt(0)
	buffer_store_dword v7, off, s[48:51], 0 offset:272 ; 4-byte Folded Spill
	s_nop 0
	buffer_store_dword v8, off, s[48:51], 0 offset:276 ; 4-byte Folded Spill
	buffer_store_dword v9, off, s[48:51], 0 offset:280 ; 4-byte Folded Spill
	;; [unrolled: 1-line block ×3, first 2 shown]
	ds_read_b128 v[7:10], v6 offset:96
	s_brev_b32 s44, 1
	v_bfrev_b32_e32 v50, 1
	v_mov_b32_e32 v32, 0x7f800001
	s_waitcnt lgkmcnt(0)
	buffer_store_dword v7, off, s[48:51], 0 offset:288 ; 4-byte Folded Spill
	s_nop 0
	buffer_store_dword v8, off, s[48:51], 0 offset:292 ; 4-byte Folded Spill
	buffer_store_dword v9, off, s[48:51], 0 offset:296 ; 4-byte Folded Spill
	buffer_store_dword v10, off, s[48:51], 0 offset:300 ; 4-byte Folded Spill
	ds_read_b128 v[7:10], v6 offset:112
	s_waitcnt lgkmcnt(0)
	buffer_store_dword v7, off, s[48:51], 0 offset:304 ; 4-byte Folded Spill
	s_nop 0
	buffer_store_dword v8, off, s[48:51], 0 offset:308 ; 4-byte Folded Spill
	buffer_store_dword v9, off, s[48:51], 0 offset:312 ; 4-byte Folded Spill
	buffer_store_dword v10, off, s[48:51], 0 offset:316 ; 4-byte Folded Spill
	ds_read_b128 v[7:10], v6 offset:128
	s_waitcnt lgkmcnt(0)
	buffer_store_dword v7, off, s[48:51], 0 offset:320 ; 4-byte Folded Spill
	s_nop 0
	buffer_store_dword v8, off, s[48:51], 0 offset:324 ; 4-byte Folded Spill
	buffer_store_dword v9, off, s[48:51], 0 offset:328 ; 4-byte Folded Spill
	buffer_store_dword v10, off, s[48:51], 0 offset:332 ; 4-byte Folded Spill
	ds_read_b128 v[7:10], v6 offset:144
	s_waitcnt lgkmcnt(0)
	buffer_store_dword v7, off, s[48:51], 0 offset:336 ; 4-byte Folded Spill
	s_nop 0
	buffer_store_dword v8, off, s[48:51], 0 offset:340 ; 4-byte Folded Spill
	buffer_store_dword v9, off, s[48:51], 0 offset:344 ; 4-byte Folded Spill
	buffer_store_dword v10, off, s[48:51], 0 offset:348 ; 4-byte Folded Spill
	ds_read_b128 v[7:10], v6 offset:160
	s_waitcnt lgkmcnt(0)
	buffer_store_dword v7, off, s[48:51], 0 offset:352 ; 4-byte Folded Spill
	s_nop 0
	buffer_store_dword v8, off, s[48:51], 0 offset:356 ; 4-byte Folded Spill
	buffer_store_dword v9, off, s[48:51], 0 offset:360 ; 4-byte Folded Spill
	buffer_store_dword v10, off, s[48:51], 0 offset:364 ; 4-byte Folded Spill
	ds_read_b128 v[6:9], v6 offset:176
	s_waitcnt lgkmcnt(0)
	buffer_store_dword v6, off, s[48:51], 0 offset:368 ; 4-byte Folded Spill
	s_nop 0
	buffer_store_dword v7, off, s[48:51], 0 offset:372 ; 4-byte Folded Spill
	buffer_store_dword v8, off, s[48:51], 0 offset:376 ; 4-byte Folded Spill
	;; [unrolled: 1-line block ×3, first 2 shown]
	v_mbcnt_hi_u32_b32 v6, -1, v1
	v_and_b32_e32 v7, 64, v6
	v_xor_b32_e32 v1, 1, v6
	buffer_store_dword v7, off, s[48:51], 0 offset:412 ; 4-byte Folded Spill
	v_add_u32_e32 v7, 64, v7
	v_cmp_lt_i32_e32 vcc, v1, v7
	v_cndmask_b32_e32 v1, v6, v1, vcc
	v_lshlrev_b32_e32 v1, 2, v1
	v_cmp_eq_u32_e32 vcc, 0, v0
	v_add_co_u32_e64 v0, s[4:5], v3, v5
	buffer_store_dword v1, off, s[48:51], 0 offset:384 ; 4-byte Folded Spill
	v_addc_co_u32_e64 v1, s[4:5], 0, v4, s[4:5]
	buffer_store_dword v7, off, s[48:51], 0 offset:416 ; 4-byte Folded Spill
	buffer_store_dword v6, off, s[48:51], 0 offset:408 ; 4-byte Folded Spill
	s_load_dword s39, s[16:17], 0x0
	buffer_store_dword v0, off, s[48:51], 0 offset:388 ; 4-byte Folded Spill
	s_nop 0
	buffer_store_dword v1, off, s[48:51], 0 offset:392 ; 4-byte Folded Spill
	v_lshlrev_b32_e32 v1, 2, v2
	s_lshl_b64 s[4:5], s[26:27], 2
	v_lshl_or_b32 v0, v63, 5, v2
	v_lshl_or_b32 v1, v63, 7, v1
	s_add_u32 s4, s24, s4
	buffer_store_dword v0, off, s[48:51], 0 offset:176 ; 4-byte Folded Spill
	v_add_u32_e32 v0, 0x190, v1
	v_and_b32_e32 v1, 60, v12
	s_addc_u32 s14, s25, s5
	v_add_co_u32_e64 v53, s[4:5], s4, v1
	v_mov_b32_e32 v1, s14
	s_waitcnt lgkmcnt(0)
	s_mov_b32 s40, s39
	buffer_store_dword v0, off, s[48:51], 0 offset:180 ; 4-byte Folded Spill
	buffer_store_dword v12, off, s[48:51], 0 offset:404 ; 4-byte Folded Spill
	v_addc_co_u32_e64 v54, s[4:5], 0, v1, s[4:5]
	v_mov_b32_e32 v0, 0xff7fffff
	s_mov_b64 s[14:15], 0
	v_mov_b32_e32 v5, v63
	buffer_store_dword v0, off, s[48:51], 0 offset:188 ; 4-byte Folded Spill
	s_branch .LBB211_9
.LBB211_8:                              ;   in Loop: Header=BB211_9 Depth=1
	s_or_b64 exec, exec, s[16:17]
	buffer_load_dword v0, off, s[48:51], 0 offset:176 ; 4-byte Folded Reload
	s_waitcnt vmcnt(1)
	v_add_u32_e32 v5, 2, v5
	v_cmp_le_i32_e64 s[4:5], s21, v5
	s_or_b64 s[14:15], s[4:5], s[14:15]
	v_add_co_u32_e64 v53, s[4:5], 8, v53
	v_addc_co_u32_e64 v54, s[4:5], 0, v54, s[4:5]
	s_waitcnt vmcnt(0)
	v_add_u32_e32 v0, 64, v0
	buffer_store_dword v0, off, s[48:51], 0 offset:176 ; 4-byte Folded Spill
	buffer_load_dword v0, off, s[48:51], 0 offset:180 ; 4-byte Folded Reload
	s_waitcnt vmcnt(0)
	v_add_u32_e32 v0, 0x100, v0
	buffer_store_dword v0, off, s[48:51], 0 offset:180 ; 4-byte Folded Spill
	s_andn2_b64 exec, exec, s[14:15]
	s_cbranch_execz .LBB211_299
.LBB211_9:                              ; =>This Inner Loop Header: Depth=1
	buffer_store_dword v5, off, s[48:51], 0 offset:184 ; 4-byte Folded Spill
	global_load_dword v1, v[53:54], off
	s_waitcnt lgkmcnt(0)
	buffer_load_dword v2, off, s[48:51], 0 offset:388 ; 4-byte Folded Reload
	buffer_load_dword v3, off, s[48:51], 0 offset:392 ; 4-byte Folded Reload
	v_mov_b32_e32 v57, 0
	v_mov_b32_e32 v58, 0
	s_waitcnt vmcnt(0)
	v_mad_i64_i32 v[1:2], s[4:5], v1, s38, v[2:3]
	global_load_ushort v4, v[1:2], off
	s_waitcnt vmcnt(0)
	v_and_b32_e32 v3, 0xffff, v4
	v_cmp_ne_u16_sdwa s[4:5], v4, v49 src0_sel:BYTE_0 src1_sel:DWORD
	v_mov_b32_e32 v4, 0
	v_mov_b32_e32 v5, 0
	buffer_store_dword v4, off, s[48:51], 0 ; 4-byte Folded Spill
	s_nop 0
	buffer_store_dword v5, off, s[48:51], 0 offset:4 ; 4-byte Folded Spill
	s_and_saveexec_b64 s[16:17], s[4:5]
	s_cbranch_execz .LBB211_15
; %bb.10:                               ;   in Loop: Header=BB211_9 Depth=1
	v_bfrev_b32_e32 v57, 1
	v_mov_b32_e32 v58, 0
	v_cmp_ne_u16_sdwa s[4:5], v3, s42 src0_sel:BYTE_0 src1_sel:DWORD
	s_and_saveexec_b64 s[34:35], s[4:5]
	s_cbranch_execz .LBB211_14
; %bb.11:                               ;   in Loop: Header=BB211_9 Depth=1
	v_and_b32_e32 v4, 0x7f, v3
	v_mov_b32_e32 v57, 0x7f800001
	v_mov_b32_e32 v58, 0
	v_cmp_ne_u32_e64 s[4:5], s43, v4
	s_and_saveexec_b64 s[36:37], s[4:5]
	s_cbranch_execz .LBB211_13
; %bb.12:                               ;   in Loop: Header=BB211_9 Depth=1
	v_and_b32_e32 v6, 7, v3
	v_lshrrev_b32_e32 v7, 3, v4
	v_cmp_gt_u32_e64 s[4:5], 8, v4
	v_ffbh_u32_e32 v4, v6
	v_min_u32_e32 v8, 32, v4
	v_subrev_u32_e32 v4, 28, v8
	v_lshlrev_b64 v[4:5], v4, v[3:4]
	v_sub_u32_e32 v5, 29, v8
	v_and_b32_e32 v4, 7, v4
	v_cndmask_b32_e64 v5, v7, v5, s[4:5]
	v_cndmask_b32_e64 v4, v6, v4, s[4:5]
	v_bfrev_b32_e32 v0, 60
	v_lshlrev_b32_e32 v4, 20, v4
	v_and_b32_sdwa v6, sext(v3), s44 dst_sel:DWORD dst_unused:UNUSED_PAD src0_sel:BYTE_0 src1_sel:DWORD
	v_lshl_add_u32 v5, v5, 23, v0
	v_or3_b32 v57, v6, v5, v4
	v_mov_b32_e32 v58, v49
.LBB211_13:                             ;   in Loop: Header=BB211_9 Depth=1
	s_or_b64 exec, exec, s[36:37]
.LBB211_14:                             ;   in Loop: Header=BB211_9 Depth=1
	s_or_b64 exec, exec, s[34:35]
.LBB211_15:                             ;   in Loop: Header=BB211_9 Depth=1
	s_or_b64 exec, exec, s[16:17]
	v_cmp_ne_u16_sdwa s[4:5], v3, v49 src0_sel:BYTE_1 src1_sel:DWORD
	s_and_saveexec_b64 s[16:17], s[4:5]
	s_cbranch_execz .LBB211_21
; %bb.16:                               ;   in Loop: Header=BB211_9 Depth=1
	v_cmp_ne_u16_sdwa s[4:5], v3, s42 src0_sel:BYTE_1 src1_sel:DWORD
	buffer_store_dword v49, off, s[48:51], 0 ; 4-byte Folded Spill
	s_nop 0
	buffer_store_dword v50, off, s[48:51], 0 offset:4 ; 4-byte Folded Spill
	s_and_saveexec_b64 s[34:35], s[4:5]
	s_cbranch_execz .LBB211_20
; %bb.17:                               ;   in Loop: Header=BB211_9 Depth=1
	v_and_b32_sdwa v4, v3, s43 dst_sel:DWORD dst_unused:UNUSED_PAD src0_sel:BYTE_1 src1_sel:DWORD
	v_cmp_ne_u32_e64 s[4:5], s43, v4
	v_mov_b32_e32 v31, v49
	buffer_store_dword v31, off, s[48:51], 0 ; 4-byte Folded Spill
	s_nop 0
	buffer_store_dword v32, off, s[48:51], 0 offset:4 ; 4-byte Folded Spill
	s_and_saveexec_b64 s[36:37], s[4:5]
	s_cbranch_execz .LBB211_19
; %bb.18:                               ;   in Loop: Header=BB211_9 Depth=1
	v_mov_b32_e32 v0, 7
	v_and_b32_sdwa v5, v3, v0 dst_sel:DWORD dst_unused:UNUSED_PAD src0_sel:BYTE_1 src1_sel:DWORD
	v_lshrrev_b32_e32 v8, 3, v4
	v_cmp_gt_u32_e64 s[4:5], 8, v4
	v_ffbh_u32_e32 v4, v5
	v_min_u32_e32 v4, 32, v4
	v_mov_b32_e32 v6, v49
	v_subrev_u32_e32 v7, 28, v4
	v_lshlrev_b64 v[6:7], v7, v[5:6]
	v_sub_u32_e32 v4, 29, v4
	v_and_b32_e32 v6, 7, v6
	v_cndmask_b32_e64 v4, v8, v4, s[4:5]
	v_bfrev_b32_e32 v0, 60
	v_cndmask_b32_e64 v5, v5, v6, s[4:5]
	v_lshlrev_b32_e32 v3, 16, v3
	v_lshl_add_u32 v4, v4, 23, v0
	v_and_or_b32 v3, v3, s44, v4
	v_lshlrev_b32_e32 v4, 20, v5
	v_or_b32_e32 v4, v3, v4
	v_mov_b32_e32 v3, v49
	buffer_store_dword v3, off, s[48:51], 0 ; 4-byte Folded Spill
	s_nop 0
	buffer_store_dword v4, off, s[48:51], 0 offset:4 ; 4-byte Folded Spill
.LBB211_19:                             ;   in Loop: Header=BB211_9 Depth=1
	s_or_b64 exec, exec, s[36:37]
.LBB211_20:                             ;   in Loop: Header=BB211_9 Depth=1
	s_or_b64 exec, exec, s[34:35]
.LBB211_21:                             ;   in Loop: Header=BB211_9 Depth=1
	s_or_b64 exec, exec, s[16:17]
	global_load_ushort v4, v[1:2], off offset:4
	s_waitcnt vmcnt(0)
	v_and_b32_e32 v3, 0xffff, v4
	v_cmp_ne_u16_sdwa s[4:5], v4, v49 src0_sel:BYTE_0 src1_sel:DWORD
	v_mov_b32_e32 v4, 0
	v_mov_b32_e32 v5, 0
	buffer_store_dword v4, off, s[48:51], 0 offset:16 ; 4-byte Folded Spill
	s_nop 0
	buffer_store_dword v5, off, s[48:51], 0 offset:20 ; 4-byte Folded Spill
	v_mov_b32_e32 v4, 0
	v_mov_b32_e32 v5, 0
	buffer_store_dword v4, off, s[48:51], 0 offset:8 ; 4-byte Folded Spill
	s_nop 0
	buffer_store_dword v5, off, s[48:51], 0 offset:12 ; 4-byte Folded Spill
	s_and_saveexec_b64 s[16:17], s[4:5]
	s_cbranch_execz .LBB211_27
; %bb.22:                               ;   in Loop: Header=BB211_9 Depth=1
	v_bfrev_b32_e32 v4, 1
	v_mov_b32_e32 v5, 0
	v_cmp_ne_u16_sdwa s[4:5], v3, s42 src0_sel:BYTE_0 src1_sel:DWORD
	buffer_store_dword v4, off, s[48:51], 0 offset:8 ; 4-byte Folded Spill
	s_nop 0
	buffer_store_dword v5, off, s[48:51], 0 offset:12 ; 4-byte Folded Spill
	s_and_saveexec_b64 s[34:35], s[4:5]
	s_cbranch_execz .LBB211_26
; %bb.23:                               ;   in Loop: Header=BB211_9 Depth=1
	v_and_b32_e32 v4, 0x7f, v3
	v_mov_b32_e32 v5, 0x7f800001
	v_mov_b32_e32 v6, 0
	v_cmp_ne_u32_e64 s[4:5], s43, v4
	buffer_store_dword v5, off, s[48:51], 0 offset:8 ; 4-byte Folded Spill
	s_nop 0
	buffer_store_dword v6, off, s[48:51], 0 offset:12 ; 4-byte Folded Spill
	s_and_saveexec_b64 s[36:37], s[4:5]
	s_cbranch_execz .LBB211_25
; %bb.24:                               ;   in Loop: Header=BB211_9 Depth=1
	v_and_b32_e32 v6, 7, v3
	v_lshrrev_b32_e32 v7, 3, v4
	v_cmp_gt_u32_e64 s[4:5], 8, v4
	v_ffbh_u32_e32 v4, v6
	v_min_u32_e32 v8, 32, v4
	v_subrev_u32_e32 v4, 28, v8
	v_lshlrev_b64 v[4:5], v4, v[3:4]
	v_sub_u32_e32 v5, 29, v8
	v_and_b32_e32 v4, 7, v4
	v_cndmask_b32_e64 v5, v7, v5, s[4:5]
	v_cndmask_b32_e64 v4, v6, v4, s[4:5]
	v_bfrev_b32_e32 v0, 60
	v_lshlrev_b32_e32 v4, 20, v4
	v_and_b32_sdwa v6, sext(v3), s44 dst_sel:DWORD dst_unused:UNUSED_PAD src0_sel:BYTE_0 src1_sel:DWORD
	v_lshl_add_u32 v5, v5, 23, v0
	v_or3_b32 v4, v6, v5, v4
	v_mov_b32_e32 v5, v49
	buffer_store_dword v4, off, s[48:51], 0 offset:8 ; 4-byte Folded Spill
	s_nop 0
	buffer_store_dword v5, off, s[48:51], 0 offset:12 ; 4-byte Folded Spill
.LBB211_25:                             ;   in Loop: Header=BB211_9 Depth=1
	s_or_b64 exec, exec, s[36:37]
.LBB211_26:                             ;   in Loop: Header=BB211_9 Depth=1
	s_or_b64 exec, exec, s[34:35]
.LBB211_27:                             ;   in Loop: Header=BB211_9 Depth=1
	s_or_b64 exec, exec, s[16:17]
	v_cmp_ne_u16_sdwa s[4:5], v3, v49 src0_sel:BYTE_1 src1_sel:DWORD
	s_and_saveexec_b64 s[16:17], s[4:5]
	s_cbranch_execz .LBB211_33
; %bb.28:                               ;   in Loop: Header=BB211_9 Depth=1
	v_cmp_ne_u16_sdwa s[4:5], v3, s42 src0_sel:BYTE_1 src1_sel:DWORD
	buffer_store_dword v49, off, s[48:51], 0 offset:16 ; 4-byte Folded Spill
	s_nop 0
	buffer_store_dword v50, off, s[48:51], 0 offset:20 ; 4-byte Folded Spill
	s_and_saveexec_b64 s[34:35], s[4:5]
	s_cbranch_execz .LBB211_32
; %bb.29:                               ;   in Loop: Header=BB211_9 Depth=1
	v_and_b32_sdwa v4, v3, s43 dst_sel:DWORD dst_unused:UNUSED_PAD src0_sel:BYTE_1 src1_sel:DWORD
	v_cmp_ne_u32_e64 s[4:5], s43, v4
	v_mov_b32_e32 v31, v49
	buffer_store_dword v31, off, s[48:51], 0 offset:16 ; 4-byte Folded Spill
	s_nop 0
	buffer_store_dword v32, off, s[48:51], 0 offset:20 ; 4-byte Folded Spill
	s_and_saveexec_b64 s[36:37], s[4:5]
	s_cbranch_execz .LBB211_31
; %bb.30:                               ;   in Loop: Header=BB211_9 Depth=1
	v_mov_b32_e32 v0, 7
	v_and_b32_sdwa v5, v3, v0 dst_sel:DWORD dst_unused:UNUSED_PAD src0_sel:BYTE_1 src1_sel:DWORD
	v_lshrrev_b32_e32 v8, 3, v4
	v_cmp_gt_u32_e64 s[4:5], 8, v4
	v_ffbh_u32_e32 v4, v5
	v_min_u32_e32 v4, 32, v4
	v_mov_b32_e32 v6, v49
	v_subrev_u32_e32 v7, 28, v4
	v_lshlrev_b64 v[6:7], v7, v[5:6]
	v_sub_u32_e32 v4, 29, v4
	v_and_b32_e32 v6, 7, v6
	v_cndmask_b32_e64 v4, v8, v4, s[4:5]
	v_bfrev_b32_e32 v0, 60
	v_cndmask_b32_e64 v5, v5, v6, s[4:5]
	v_lshlrev_b32_e32 v3, 16, v3
	v_lshl_add_u32 v4, v4, 23, v0
	v_and_or_b32 v3, v3, s44, v4
	v_lshlrev_b32_e32 v4, 20, v5
	v_or_b32_e32 v4, v3, v4
	v_mov_b32_e32 v3, v49
	buffer_store_dword v3, off, s[48:51], 0 offset:16 ; 4-byte Folded Spill
	s_nop 0
	buffer_store_dword v4, off, s[48:51], 0 offset:20 ; 4-byte Folded Spill
.LBB211_31:                             ;   in Loop: Header=BB211_9 Depth=1
	s_or_b64 exec, exec, s[36:37]
.LBB211_32:                             ;   in Loop: Header=BB211_9 Depth=1
	s_or_b64 exec, exec, s[34:35]
.LBB211_33:                             ;   in Loop: Header=BB211_9 Depth=1
	s_or_b64 exec, exec, s[16:17]
	global_load_ushort v4, v[1:2], off offset:8
	s_waitcnt vmcnt(0)
	v_and_b32_e32 v3, 0xffff, v4
	v_cmp_ne_u16_sdwa s[4:5], v4, v49 src0_sel:BYTE_0 src1_sel:DWORD
	v_mov_b32_e32 v4, 0
	v_mov_b32_e32 v5, 0
	buffer_store_dword v4, off, s[48:51], 0 offset:32 ; 4-byte Folded Spill
	s_nop 0
	buffer_store_dword v5, off, s[48:51], 0 offset:36 ; 4-byte Folded Spill
	v_mov_b32_e32 v4, 0
	v_mov_b32_e32 v5, 0
	buffer_store_dword v4, off, s[48:51], 0 offset:24 ; 4-byte Folded Spill
	s_nop 0
	buffer_store_dword v5, off, s[48:51], 0 offset:28 ; 4-byte Folded Spill
	s_and_saveexec_b64 s[16:17], s[4:5]
	s_cbranch_execz .LBB211_39
; %bb.34:                               ;   in Loop: Header=BB211_9 Depth=1
	v_bfrev_b32_e32 v4, 1
	v_mov_b32_e32 v5, 0
	v_cmp_ne_u16_sdwa s[4:5], v3, s42 src0_sel:BYTE_0 src1_sel:DWORD
	buffer_store_dword v4, off, s[48:51], 0 offset:24 ; 4-byte Folded Spill
	s_nop 0
	buffer_store_dword v5, off, s[48:51], 0 offset:28 ; 4-byte Folded Spill
	s_and_saveexec_b64 s[34:35], s[4:5]
	s_cbranch_execz .LBB211_38
; %bb.35:                               ;   in Loop: Header=BB211_9 Depth=1
	v_and_b32_e32 v4, 0x7f, v3
	v_mov_b32_e32 v5, 0x7f800001
	v_mov_b32_e32 v6, 0
	v_cmp_ne_u32_e64 s[4:5], s43, v4
	buffer_store_dword v5, off, s[48:51], 0 offset:24 ; 4-byte Folded Spill
	s_nop 0
	buffer_store_dword v6, off, s[48:51], 0 offset:28 ; 4-byte Folded Spill
	s_and_saveexec_b64 s[36:37], s[4:5]
	s_cbranch_execz .LBB211_37
; %bb.36:                               ;   in Loop: Header=BB211_9 Depth=1
	v_and_b32_e32 v6, 7, v3
	v_lshrrev_b32_e32 v7, 3, v4
	v_cmp_gt_u32_e64 s[4:5], 8, v4
	v_ffbh_u32_e32 v4, v6
	v_min_u32_e32 v8, 32, v4
	v_subrev_u32_e32 v4, 28, v8
	v_lshlrev_b64 v[4:5], v4, v[3:4]
	v_sub_u32_e32 v5, 29, v8
	v_and_b32_e32 v4, 7, v4
	v_cndmask_b32_e64 v5, v7, v5, s[4:5]
	v_cndmask_b32_e64 v4, v6, v4, s[4:5]
	v_bfrev_b32_e32 v0, 60
	v_lshlrev_b32_e32 v4, 20, v4
	v_and_b32_sdwa v6, sext(v3), s44 dst_sel:DWORD dst_unused:UNUSED_PAD src0_sel:BYTE_0 src1_sel:DWORD
	v_lshl_add_u32 v5, v5, 23, v0
	v_or3_b32 v4, v6, v5, v4
	v_mov_b32_e32 v5, v49
	buffer_store_dword v4, off, s[48:51], 0 offset:24 ; 4-byte Folded Spill
	s_nop 0
	buffer_store_dword v5, off, s[48:51], 0 offset:28 ; 4-byte Folded Spill
.LBB211_37:                             ;   in Loop: Header=BB211_9 Depth=1
	s_or_b64 exec, exec, s[36:37]
.LBB211_38:                             ;   in Loop: Header=BB211_9 Depth=1
	s_or_b64 exec, exec, s[34:35]
.LBB211_39:                             ;   in Loop: Header=BB211_9 Depth=1
	s_or_b64 exec, exec, s[16:17]
	v_cmp_ne_u16_sdwa s[4:5], v3, v49 src0_sel:BYTE_1 src1_sel:DWORD
	s_and_saveexec_b64 s[16:17], s[4:5]
	s_cbranch_execz .LBB211_45
; %bb.40:                               ;   in Loop: Header=BB211_9 Depth=1
	v_cmp_ne_u16_sdwa s[4:5], v3, s42 src0_sel:BYTE_1 src1_sel:DWORD
	buffer_store_dword v49, off, s[48:51], 0 offset:32 ; 4-byte Folded Spill
	s_nop 0
	buffer_store_dword v50, off, s[48:51], 0 offset:36 ; 4-byte Folded Spill
	s_and_saveexec_b64 s[34:35], s[4:5]
	s_cbranch_execz .LBB211_44
; %bb.41:                               ;   in Loop: Header=BB211_9 Depth=1
	v_and_b32_sdwa v4, v3, s43 dst_sel:DWORD dst_unused:UNUSED_PAD src0_sel:BYTE_1 src1_sel:DWORD
	v_cmp_ne_u32_e64 s[4:5], s43, v4
	v_mov_b32_e32 v31, v49
	buffer_store_dword v31, off, s[48:51], 0 offset:32 ; 4-byte Folded Spill
	s_nop 0
	buffer_store_dword v32, off, s[48:51], 0 offset:36 ; 4-byte Folded Spill
	s_and_saveexec_b64 s[36:37], s[4:5]
	s_cbranch_execz .LBB211_43
; %bb.42:                               ;   in Loop: Header=BB211_9 Depth=1
	v_mov_b32_e32 v0, 7
	v_and_b32_sdwa v5, v3, v0 dst_sel:DWORD dst_unused:UNUSED_PAD src0_sel:BYTE_1 src1_sel:DWORD
	v_lshrrev_b32_e32 v8, 3, v4
	v_cmp_gt_u32_e64 s[4:5], 8, v4
	v_ffbh_u32_e32 v4, v5
	v_min_u32_e32 v4, 32, v4
	v_mov_b32_e32 v6, v49
	v_subrev_u32_e32 v7, 28, v4
	v_lshlrev_b64 v[6:7], v7, v[5:6]
	v_sub_u32_e32 v4, 29, v4
	v_and_b32_e32 v6, 7, v6
	v_cndmask_b32_e64 v4, v8, v4, s[4:5]
	v_bfrev_b32_e32 v0, 60
	v_cndmask_b32_e64 v5, v5, v6, s[4:5]
	v_lshlrev_b32_e32 v3, 16, v3
	v_lshl_add_u32 v4, v4, 23, v0
	v_and_or_b32 v3, v3, s44, v4
	v_lshlrev_b32_e32 v4, 20, v5
	v_or_b32_e32 v4, v3, v4
	v_mov_b32_e32 v3, v49
	buffer_store_dword v3, off, s[48:51], 0 offset:32 ; 4-byte Folded Spill
	s_nop 0
	buffer_store_dword v4, off, s[48:51], 0 offset:36 ; 4-byte Folded Spill
.LBB211_43:                             ;   in Loop: Header=BB211_9 Depth=1
	s_or_b64 exec, exec, s[36:37]
.LBB211_44:                             ;   in Loop: Header=BB211_9 Depth=1
	s_or_b64 exec, exec, s[34:35]
.LBB211_45:                             ;   in Loop: Header=BB211_9 Depth=1
	s_or_b64 exec, exec, s[16:17]
	global_load_ushort v4, v[1:2], off offset:12
	s_waitcnt vmcnt(0)
	v_and_b32_e32 v3, 0xffff, v4
	v_cmp_ne_u16_sdwa s[4:5], v4, v49 src0_sel:BYTE_0 src1_sel:DWORD
	v_mov_b32_e32 v4, 0
	v_mov_b32_e32 v5, 0
	buffer_store_dword v4, off, s[48:51], 0 offset:48 ; 4-byte Folded Spill
	s_nop 0
	buffer_store_dword v5, off, s[48:51], 0 offset:52 ; 4-byte Folded Spill
	v_mov_b32_e32 v4, 0
	v_mov_b32_e32 v5, 0
	buffer_store_dword v4, off, s[48:51], 0 offset:40 ; 4-byte Folded Spill
	s_nop 0
	buffer_store_dword v5, off, s[48:51], 0 offset:44 ; 4-byte Folded Spill
	s_and_saveexec_b64 s[16:17], s[4:5]
	s_cbranch_execz .LBB211_51
; %bb.46:                               ;   in Loop: Header=BB211_9 Depth=1
	v_bfrev_b32_e32 v4, 1
	v_mov_b32_e32 v5, 0
	v_cmp_ne_u16_sdwa s[4:5], v3, s42 src0_sel:BYTE_0 src1_sel:DWORD
	buffer_store_dword v4, off, s[48:51], 0 offset:40 ; 4-byte Folded Spill
	s_nop 0
	buffer_store_dword v5, off, s[48:51], 0 offset:44 ; 4-byte Folded Spill
	s_and_saveexec_b64 s[34:35], s[4:5]
	s_cbranch_execz .LBB211_50
; %bb.47:                               ;   in Loop: Header=BB211_9 Depth=1
	v_and_b32_e32 v4, 0x7f, v3
	v_mov_b32_e32 v5, 0x7f800001
	v_mov_b32_e32 v6, 0
	v_cmp_ne_u32_e64 s[4:5], s43, v4
	buffer_store_dword v5, off, s[48:51], 0 offset:40 ; 4-byte Folded Spill
	s_nop 0
	buffer_store_dword v6, off, s[48:51], 0 offset:44 ; 4-byte Folded Spill
	s_and_saveexec_b64 s[36:37], s[4:5]
	s_cbranch_execz .LBB211_49
; %bb.48:                               ;   in Loop: Header=BB211_9 Depth=1
	v_and_b32_e32 v6, 7, v3
	v_lshrrev_b32_e32 v7, 3, v4
	v_cmp_gt_u32_e64 s[4:5], 8, v4
	v_ffbh_u32_e32 v4, v6
	v_min_u32_e32 v8, 32, v4
	v_subrev_u32_e32 v4, 28, v8
	v_lshlrev_b64 v[4:5], v4, v[3:4]
	v_sub_u32_e32 v5, 29, v8
	v_and_b32_e32 v4, 7, v4
	v_cndmask_b32_e64 v5, v7, v5, s[4:5]
	v_cndmask_b32_e64 v4, v6, v4, s[4:5]
	v_bfrev_b32_e32 v0, 60
	v_lshlrev_b32_e32 v4, 20, v4
	v_and_b32_sdwa v6, sext(v3), s44 dst_sel:DWORD dst_unused:UNUSED_PAD src0_sel:BYTE_0 src1_sel:DWORD
	v_lshl_add_u32 v5, v5, 23, v0
	v_or3_b32 v4, v6, v5, v4
	v_mov_b32_e32 v5, v49
	buffer_store_dword v4, off, s[48:51], 0 offset:40 ; 4-byte Folded Spill
	s_nop 0
	buffer_store_dword v5, off, s[48:51], 0 offset:44 ; 4-byte Folded Spill
.LBB211_49:                             ;   in Loop: Header=BB211_9 Depth=1
	s_or_b64 exec, exec, s[36:37]
.LBB211_50:                             ;   in Loop: Header=BB211_9 Depth=1
	s_or_b64 exec, exec, s[34:35]
.LBB211_51:                             ;   in Loop: Header=BB211_9 Depth=1
	s_or_b64 exec, exec, s[16:17]
	v_cmp_ne_u16_sdwa s[4:5], v3, v49 src0_sel:BYTE_1 src1_sel:DWORD
	s_and_saveexec_b64 s[16:17], s[4:5]
	s_cbranch_execz .LBB211_57
; %bb.52:                               ;   in Loop: Header=BB211_9 Depth=1
	v_cmp_ne_u16_sdwa s[4:5], v3, s42 src0_sel:BYTE_1 src1_sel:DWORD
	buffer_store_dword v49, off, s[48:51], 0 offset:48 ; 4-byte Folded Spill
	s_nop 0
	buffer_store_dword v50, off, s[48:51], 0 offset:52 ; 4-byte Folded Spill
	s_and_saveexec_b64 s[34:35], s[4:5]
	s_cbranch_execz .LBB211_56
; %bb.53:                               ;   in Loop: Header=BB211_9 Depth=1
	v_and_b32_sdwa v4, v3, s43 dst_sel:DWORD dst_unused:UNUSED_PAD src0_sel:BYTE_1 src1_sel:DWORD
	v_cmp_ne_u32_e64 s[4:5], s43, v4
	v_mov_b32_e32 v31, v49
	buffer_store_dword v31, off, s[48:51], 0 offset:48 ; 4-byte Folded Spill
	s_nop 0
	buffer_store_dword v32, off, s[48:51], 0 offset:52 ; 4-byte Folded Spill
	s_and_saveexec_b64 s[36:37], s[4:5]
	s_cbranch_execz .LBB211_55
; %bb.54:                               ;   in Loop: Header=BB211_9 Depth=1
	v_mov_b32_e32 v0, 7
	v_and_b32_sdwa v5, v3, v0 dst_sel:DWORD dst_unused:UNUSED_PAD src0_sel:BYTE_1 src1_sel:DWORD
	v_lshrrev_b32_e32 v8, 3, v4
	v_cmp_gt_u32_e64 s[4:5], 8, v4
	v_ffbh_u32_e32 v4, v5
	v_min_u32_e32 v4, 32, v4
	v_mov_b32_e32 v6, v49
	v_subrev_u32_e32 v7, 28, v4
	v_lshlrev_b64 v[6:7], v7, v[5:6]
	v_sub_u32_e32 v4, 29, v4
	v_and_b32_e32 v6, 7, v6
	v_cndmask_b32_e64 v4, v8, v4, s[4:5]
	v_bfrev_b32_e32 v0, 60
	v_cndmask_b32_e64 v5, v5, v6, s[4:5]
	v_lshlrev_b32_e32 v3, 16, v3
	v_lshl_add_u32 v4, v4, 23, v0
	v_and_or_b32 v3, v3, s44, v4
	v_lshlrev_b32_e32 v4, 20, v5
	v_or_b32_e32 v4, v3, v4
	v_mov_b32_e32 v3, v49
	buffer_store_dword v3, off, s[48:51], 0 offset:48 ; 4-byte Folded Spill
	s_nop 0
	buffer_store_dword v4, off, s[48:51], 0 offset:52 ; 4-byte Folded Spill
.LBB211_55:                             ;   in Loop: Header=BB211_9 Depth=1
	s_or_b64 exec, exec, s[36:37]
.LBB211_56:                             ;   in Loop: Header=BB211_9 Depth=1
	s_or_b64 exec, exec, s[34:35]
.LBB211_57:                             ;   in Loop: Header=BB211_9 Depth=1
	s_or_b64 exec, exec, s[16:17]
	global_load_ushort v4, v[1:2], off offset:512
	s_waitcnt vmcnt(0)
	v_and_b32_e32 v3, 0xffff, v4
	v_cmp_ne_u16_sdwa s[4:5], v4, v49 src0_sel:BYTE_0 src1_sel:DWORD
	v_mov_b32_e32 v4, 0
	v_mov_b32_e32 v5, 0
	buffer_store_dword v4, off, s[48:51], 0 offset:64 ; 4-byte Folded Spill
	s_nop 0
	buffer_store_dword v5, off, s[48:51], 0 offset:68 ; 4-byte Folded Spill
	v_mov_b32_e32 v4, 0
	v_mov_b32_e32 v5, 0
	buffer_store_dword v4, off, s[48:51], 0 offset:56 ; 4-byte Folded Spill
	s_nop 0
	buffer_store_dword v5, off, s[48:51], 0 offset:60 ; 4-byte Folded Spill
	s_and_saveexec_b64 s[16:17], s[4:5]
	s_cbranch_execz .LBB211_63
; %bb.58:                               ;   in Loop: Header=BB211_9 Depth=1
	v_bfrev_b32_e32 v4, 1
	v_mov_b32_e32 v5, 0
	v_cmp_ne_u16_sdwa s[4:5], v3, s42 src0_sel:BYTE_0 src1_sel:DWORD
	buffer_store_dword v4, off, s[48:51], 0 offset:56 ; 4-byte Folded Spill
	s_nop 0
	buffer_store_dword v5, off, s[48:51], 0 offset:60 ; 4-byte Folded Spill
	s_and_saveexec_b64 s[34:35], s[4:5]
	s_cbranch_execz .LBB211_62
; %bb.59:                               ;   in Loop: Header=BB211_9 Depth=1
	v_and_b32_e32 v4, 0x7f, v3
	v_mov_b32_e32 v5, 0x7f800001
	v_mov_b32_e32 v6, 0
	v_cmp_ne_u32_e64 s[4:5], s43, v4
	buffer_store_dword v5, off, s[48:51], 0 offset:56 ; 4-byte Folded Spill
	s_nop 0
	buffer_store_dword v6, off, s[48:51], 0 offset:60 ; 4-byte Folded Spill
	s_and_saveexec_b64 s[36:37], s[4:5]
	s_cbranch_execz .LBB211_61
; %bb.60:                               ;   in Loop: Header=BB211_9 Depth=1
	v_and_b32_e32 v6, 7, v3
	v_lshrrev_b32_e32 v7, 3, v4
	v_cmp_gt_u32_e64 s[4:5], 8, v4
	v_ffbh_u32_e32 v4, v6
	v_min_u32_e32 v8, 32, v4
	v_subrev_u32_e32 v4, 28, v8
	v_lshlrev_b64 v[4:5], v4, v[3:4]
	v_sub_u32_e32 v5, 29, v8
	v_and_b32_e32 v4, 7, v4
	v_cndmask_b32_e64 v5, v7, v5, s[4:5]
	v_cndmask_b32_e64 v4, v6, v4, s[4:5]
	v_bfrev_b32_e32 v0, 60
	v_lshlrev_b32_e32 v4, 20, v4
	v_and_b32_sdwa v6, sext(v3), s44 dst_sel:DWORD dst_unused:UNUSED_PAD src0_sel:BYTE_0 src1_sel:DWORD
	v_lshl_add_u32 v5, v5, 23, v0
	v_or3_b32 v4, v6, v5, v4
	v_mov_b32_e32 v5, v49
	buffer_store_dword v4, off, s[48:51], 0 offset:56 ; 4-byte Folded Spill
	s_nop 0
	buffer_store_dword v5, off, s[48:51], 0 offset:60 ; 4-byte Folded Spill
.LBB211_61:                             ;   in Loop: Header=BB211_9 Depth=1
	s_or_b64 exec, exec, s[36:37]
.LBB211_62:                             ;   in Loop: Header=BB211_9 Depth=1
	s_or_b64 exec, exec, s[34:35]
.LBB211_63:                             ;   in Loop: Header=BB211_9 Depth=1
	s_or_b64 exec, exec, s[16:17]
	v_cmp_ne_u16_sdwa s[4:5], v3, v49 src0_sel:BYTE_1 src1_sel:DWORD
	s_and_saveexec_b64 s[16:17], s[4:5]
	s_cbranch_execz .LBB211_69
; %bb.64:                               ;   in Loop: Header=BB211_9 Depth=1
	v_cmp_ne_u16_sdwa s[4:5], v3, s42 src0_sel:BYTE_1 src1_sel:DWORD
	buffer_store_dword v49, off, s[48:51], 0 offset:64 ; 4-byte Folded Spill
	s_nop 0
	buffer_store_dword v50, off, s[48:51], 0 offset:68 ; 4-byte Folded Spill
	s_and_saveexec_b64 s[34:35], s[4:5]
	s_cbranch_execz .LBB211_68
; %bb.65:                               ;   in Loop: Header=BB211_9 Depth=1
	v_and_b32_sdwa v4, v3, s43 dst_sel:DWORD dst_unused:UNUSED_PAD src0_sel:BYTE_1 src1_sel:DWORD
	v_cmp_ne_u32_e64 s[4:5], s43, v4
	v_mov_b32_e32 v31, v49
	buffer_store_dword v31, off, s[48:51], 0 offset:64 ; 4-byte Folded Spill
	s_nop 0
	buffer_store_dword v32, off, s[48:51], 0 offset:68 ; 4-byte Folded Spill
	s_and_saveexec_b64 s[36:37], s[4:5]
	s_cbranch_execz .LBB211_67
; %bb.66:                               ;   in Loop: Header=BB211_9 Depth=1
	v_mov_b32_e32 v0, 7
	v_and_b32_sdwa v5, v3, v0 dst_sel:DWORD dst_unused:UNUSED_PAD src0_sel:BYTE_1 src1_sel:DWORD
	v_lshrrev_b32_e32 v8, 3, v4
	v_cmp_gt_u32_e64 s[4:5], 8, v4
	v_ffbh_u32_e32 v4, v5
	v_min_u32_e32 v4, 32, v4
	v_mov_b32_e32 v6, v49
	v_subrev_u32_e32 v7, 28, v4
	v_lshlrev_b64 v[6:7], v7, v[5:6]
	v_sub_u32_e32 v4, 29, v4
	v_and_b32_e32 v6, 7, v6
	v_cndmask_b32_e64 v4, v8, v4, s[4:5]
	v_bfrev_b32_e32 v0, 60
	v_cndmask_b32_e64 v5, v5, v6, s[4:5]
	v_lshlrev_b32_e32 v3, 16, v3
	v_lshl_add_u32 v4, v4, 23, v0
	v_and_or_b32 v3, v3, s44, v4
	v_lshlrev_b32_e32 v4, 20, v5
	v_or_b32_e32 v4, v3, v4
	v_mov_b32_e32 v3, v49
	buffer_store_dword v3, off, s[48:51], 0 offset:64 ; 4-byte Folded Spill
	s_nop 0
	buffer_store_dword v4, off, s[48:51], 0 offset:68 ; 4-byte Folded Spill
.LBB211_67:                             ;   in Loop: Header=BB211_9 Depth=1
	s_or_b64 exec, exec, s[36:37]
.LBB211_68:                             ;   in Loop: Header=BB211_9 Depth=1
	s_or_b64 exec, exec, s[34:35]
.LBB211_69:                             ;   in Loop: Header=BB211_9 Depth=1
	s_or_b64 exec, exec, s[16:17]
	global_load_ushort v4, v[1:2], off offset:516
	s_waitcnt vmcnt(0)
	v_and_b32_e32 v3, 0xffff, v4
	v_cmp_ne_u16_sdwa s[4:5], v4, v49 src0_sel:BYTE_0 src1_sel:DWORD
	v_mov_b32_e32 v4, 0
	v_mov_b32_e32 v5, 0
	buffer_store_dword v4, off, s[48:51], 0 offset:80 ; 4-byte Folded Spill
	s_nop 0
	buffer_store_dword v5, off, s[48:51], 0 offset:84 ; 4-byte Folded Spill
	v_mov_b32_e32 v4, 0
	v_mov_b32_e32 v5, 0
	buffer_store_dword v4, off, s[48:51], 0 offset:72 ; 4-byte Folded Spill
	s_nop 0
	buffer_store_dword v5, off, s[48:51], 0 offset:76 ; 4-byte Folded Spill
	s_and_saveexec_b64 s[16:17], s[4:5]
	s_cbranch_execz .LBB211_75
; %bb.70:                               ;   in Loop: Header=BB211_9 Depth=1
	v_bfrev_b32_e32 v4, 1
	v_mov_b32_e32 v5, 0
	v_cmp_ne_u16_sdwa s[4:5], v3, s42 src0_sel:BYTE_0 src1_sel:DWORD
	buffer_store_dword v4, off, s[48:51], 0 offset:72 ; 4-byte Folded Spill
	s_nop 0
	buffer_store_dword v5, off, s[48:51], 0 offset:76 ; 4-byte Folded Spill
	s_and_saveexec_b64 s[34:35], s[4:5]
	s_cbranch_execz .LBB211_74
; %bb.71:                               ;   in Loop: Header=BB211_9 Depth=1
	v_and_b32_e32 v4, 0x7f, v3
	v_mov_b32_e32 v5, 0x7f800001
	v_mov_b32_e32 v6, 0
	v_cmp_ne_u32_e64 s[4:5], s43, v4
	buffer_store_dword v5, off, s[48:51], 0 offset:72 ; 4-byte Folded Spill
	s_nop 0
	buffer_store_dword v6, off, s[48:51], 0 offset:76 ; 4-byte Folded Spill
	s_and_saveexec_b64 s[36:37], s[4:5]
	s_cbranch_execz .LBB211_73
; %bb.72:                               ;   in Loop: Header=BB211_9 Depth=1
	v_and_b32_e32 v6, 7, v3
	v_lshrrev_b32_e32 v7, 3, v4
	v_cmp_gt_u32_e64 s[4:5], 8, v4
	v_ffbh_u32_e32 v4, v6
	v_min_u32_e32 v8, 32, v4
	v_subrev_u32_e32 v4, 28, v8
	v_lshlrev_b64 v[4:5], v4, v[3:4]
	v_sub_u32_e32 v5, 29, v8
	v_and_b32_e32 v4, 7, v4
	v_cndmask_b32_e64 v5, v7, v5, s[4:5]
	v_cndmask_b32_e64 v4, v6, v4, s[4:5]
	v_bfrev_b32_e32 v0, 60
	v_lshlrev_b32_e32 v4, 20, v4
	v_and_b32_sdwa v6, sext(v3), s44 dst_sel:DWORD dst_unused:UNUSED_PAD src0_sel:BYTE_0 src1_sel:DWORD
	v_lshl_add_u32 v5, v5, 23, v0
	v_or3_b32 v4, v6, v5, v4
	v_mov_b32_e32 v5, v49
	buffer_store_dword v4, off, s[48:51], 0 offset:72 ; 4-byte Folded Spill
	s_nop 0
	buffer_store_dword v5, off, s[48:51], 0 offset:76 ; 4-byte Folded Spill
.LBB211_73:                             ;   in Loop: Header=BB211_9 Depth=1
	s_or_b64 exec, exec, s[36:37]
.LBB211_74:                             ;   in Loop: Header=BB211_9 Depth=1
	s_or_b64 exec, exec, s[34:35]
.LBB211_75:                             ;   in Loop: Header=BB211_9 Depth=1
	s_or_b64 exec, exec, s[16:17]
	v_cmp_ne_u16_sdwa s[4:5], v3, v49 src0_sel:BYTE_1 src1_sel:DWORD
	s_and_saveexec_b64 s[16:17], s[4:5]
	s_cbranch_execz .LBB211_81
; %bb.76:                               ;   in Loop: Header=BB211_9 Depth=1
	v_cmp_ne_u16_sdwa s[4:5], v3, s42 src0_sel:BYTE_1 src1_sel:DWORD
	buffer_store_dword v49, off, s[48:51], 0 offset:80 ; 4-byte Folded Spill
	s_nop 0
	buffer_store_dword v50, off, s[48:51], 0 offset:84 ; 4-byte Folded Spill
	s_and_saveexec_b64 s[34:35], s[4:5]
	s_cbranch_execz .LBB211_80
; %bb.77:                               ;   in Loop: Header=BB211_9 Depth=1
	v_and_b32_sdwa v4, v3, s43 dst_sel:DWORD dst_unused:UNUSED_PAD src0_sel:BYTE_1 src1_sel:DWORD
	v_cmp_ne_u32_e64 s[4:5], s43, v4
	v_mov_b32_e32 v31, v49
	buffer_store_dword v31, off, s[48:51], 0 offset:80 ; 4-byte Folded Spill
	s_nop 0
	buffer_store_dword v32, off, s[48:51], 0 offset:84 ; 4-byte Folded Spill
	s_and_saveexec_b64 s[36:37], s[4:5]
	s_cbranch_execz .LBB211_79
; %bb.78:                               ;   in Loop: Header=BB211_9 Depth=1
	v_mov_b32_e32 v0, 7
	v_and_b32_sdwa v5, v3, v0 dst_sel:DWORD dst_unused:UNUSED_PAD src0_sel:BYTE_1 src1_sel:DWORD
	v_lshrrev_b32_e32 v8, 3, v4
	v_cmp_gt_u32_e64 s[4:5], 8, v4
	v_ffbh_u32_e32 v4, v5
	v_min_u32_e32 v4, 32, v4
	v_mov_b32_e32 v6, v49
	v_subrev_u32_e32 v7, 28, v4
	v_lshlrev_b64 v[6:7], v7, v[5:6]
	v_sub_u32_e32 v4, 29, v4
	v_and_b32_e32 v6, 7, v6
	v_cndmask_b32_e64 v4, v8, v4, s[4:5]
	v_bfrev_b32_e32 v0, 60
	v_cndmask_b32_e64 v5, v5, v6, s[4:5]
	v_lshlrev_b32_e32 v3, 16, v3
	v_lshl_add_u32 v4, v4, 23, v0
	v_and_or_b32 v3, v3, s44, v4
	v_lshlrev_b32_e32 v4, 20, v5
	v_or_b32_e32 v4, v3, v4
	v_mov_b32_e32 v3, v49
	buffer_store_dword v3, off, s[48:51], 0 offset:80 ; 4-byte Folded Spill
	s_nop 0
	buffer_store_dword v4, off, s[48:51], 0 offset:84 ; 4-byte Folded Spill
.LBB211_79:                             ;   in Loop: Header=BB211_9 Depth=1
	s_or_b64 exec, exec, s[36:37]
.LBB211_80:                             ;   in Loop: Header=BB211_9 Depth=1
	s_or_b64 exec, exec, s[34:35]
.LBB211_81:                             ;   in Loop: Header=BB211_9 Depth=1
	s_or_b64 exec, exec, s[16:17]
	global_load_ushort v4, v[1:2], off offset:520
	s_waitcnt vmcnt(0)
	v_and_b32_e32 v3, 0xffff, v4
	v_cmp_ne_u16_sdwa s[4:5], v4, v49 src0_sel:BYTE_0 src1_sel:DWORD
	v_mov_b32_e32 v4, 0
	v_mov_b32_e32 v5, 0
	buffer_store_dword v4, off, s[48:51], 0 offset:96 ; 4-byte Folded Spill
	s_nop 0
	buffer_store_dword v5, off, s[48:51], 0 offset:100 ; 4-byte Folded Spill
	v_mov_b32_e32 v4, 0
	v_mov_b32_e32 v5, 0
	buffer_store_dword v4, off, s[48:51], 0 offset:88 ; 4-byte Folded Spill
	s_nop 0
	buffer_store_dword v5, off, s[48:51], 0 offset:92 ; 4-byte Folded Spill
	s_and_saveexec_b64 s[16:17], s[4:5]
	s_cbranch_execz .LBB211_87
; %bb.82:                               ;   in Loop: Header=BB211_9 Depth=1
	v_bfrev_b32_e32 v4, 1
	v_mov_b32_e32 v5, 0
	v_cmp_ne_u16_sdwa s[4:5], v3, s42 src0_sel:BYTE_0 src1_sel:DWORD
	buffer_store_dword v4, off, s[48:51], 0 offset:88 ; 4-byte Folded Spill
	s_nop 0
	buffer_store_dword v5, off, s[48:51], 0 offset:92 ; 4-byte Folded Spill
	s_and_saveexec_b64 s[34:35], s[4:5]
	s_cbranch_execz .LBB211_86
; %bb.83:                               ;   in Loop: Header=BB211_9 Depth=1
	v_and_b32_e32 v4, 0x7f, v3
	v_mov_b32_e32 v5, 0x7f800001
	v_mov_b32_e32 v6, 0
	v_cmp_ne_u32_e64 s[4:5], s43, v4
	buffer_store_dword v5, off, s[48:51], 0 offset:88 ; 4-byte Folded Spill
	s_nop 0
	buffer_store_dword v6, off, s[48:51], 0 offset:92 ; 4-byte Folded Spill
	s_and_saveexec_b64 s[36:37], s[4:5]
	s_cbranch_execz .LBB211_85
; %bb.84:                               ;   in Loop: Header=BB211_9 Depth=1
	v_and_b32_e32 v6, 7, v3
	v_lshrrev_b32_e32 v7, 3, v4
	v_cmp_gt_u32_e64 s[4:5], 8, v4
	v_ffbh_u32_e32 v4, v6
	v_min_u32_e32 v8, 32, v4
	v_subrev_u32_e32 v4, 28, v8
	v_lshlrev_b64 v[4:5], v4, v[3:4]
	v_sub_u32_e32 v5, 29, v8
	v_and_b32_e32 v4, 7, v4
	v_cndmask_b32_e64 v5, v7, v5, s[4:5]
	v_cndmask_b32_e64 v4, v6, v4, s[4:5]
	v_bfrev_b32_e32 v0, 60
	v_lshlrev_b32_e32 v4, 20, v4
	v_and_b32_sdwa v6, sext(v3), s44 dst_sel:DWORD dst_unused:UNUSED_PAD src0_sel:BYTE_0 src1_sel:DWORD
	v_lshl_add_u32 v5, v5, 23, v0
	v_or3_b32 v4, v6, v5, v4
	v_mov_b32_e32 v5, v49
	buffer_store_dword v4, off, s[48:51], 0 offset:88 ; 4-byte Folded Spill
	s_nop 0
	buffer_store_dword v5, off, s[48:51], 0 offset:92 ; 4-byte Folded Spill
.LBB211_85:                             ;   in Loop: Header=BB211_9 Depth=1
	s_or_b64 exec, exec, s[36:37]
.LBB211_86:                             ;   in Loop: Header=BB211_9 Depth=1
	s_or_b64 exec, exec, s[34:35]
.LBB211_87:                             ;   in Loop: Header=BB211_9 Depth=1
	s_or_b64 exec, exec, s[16:17]
	v_cmp_ne_u16_sdwa s[4:5], v3, v49 src0_sel:BYTE_1 src1_sel:DWORD
	s_and_saveexec_b64 s[16:17], s[4:5]
	s_cbranch_execz .LBB211_93
; %bb.88:                               ;   in Loop: Header=BB211_9 Depth=1
	v_cmp_ne_u16_sdwa s[4:5], v3, s42 src0_sel:BYTE_1 src1_sel:DWORD
	buffer_store_dword v49, off, s[48:51], 0 offset:96 ; 4-byte Folded Spill
	s_nop 0
	buffer_store_dword v50, off, s[48:51], 0 offset:100 ; 4-byte Folded Spill
	s_and_saveexec_b64 s[34:35], s[4:5]
	s_cbranch_execz .LBB211_92
; %bb.89:                               ;   in Loop: Header=BB211_9 Depth=1
	v_and_b32_sdwa v4, v3, s43 dst_sel:DWORD dst_unused:UNUSED_PAD src0_sel:BYTE_1 src1_sel:DWORD
	v_cmp_ne_u32_e64 s[4:5], s43, v4
	v_mov_b32_e32 v31, v49
	buffer_store_dword v31, off, s[48:51], 0 offset:96 ; 4-byte Folded Spill
	s_nop 0
	buffer_store_dword v32, off, s[48:51], 0 offset:100 ; 4-byte Folded Spill
	s_and_saveexec_b64 s[36:37], s[4:5]
	s_cbranch_execz .LBB211_91
; %bb.90:                               ;   in Loop: Header=BB211_9 Depth=1
	v_mov_b32_e32 v0, 7
	v_and_b32_sdwa v5, v3, v0 dst_sel:DWORD dst_unused:UNUSED_PAD src0_sel:BYTE_1 src1_sel:DWORD
	v_lshrrev_b32_e32 v8, 3, v4
	v_cmp_gt_u32_e64 s[4:5], 8, v4
	v_ffbh_u32_e32 v4, v5
	v_min_u32_e32 v4, 32, v4
	v_mov_b32_e32 v6, v49
	v_subrev_u32_e32 v7, 28, v4
	v_lshlrev_b64 v[6:7], v7, v[5:6]
	v_sub_u32_e32 v4, 29, v4
	v_and_b32_e32 v6, 7, v6
	v_cndmask_b32_e64 v4, v8, v4, s[4:5]
	v_bfrev_b32_e32 v0, 60
	v_cndmask_b32_e64 v5, v5, v6, s[4:5]
	v_lshlrev_b32_e32 v3, 16, v3
	v_lshl_add_u32 v4, v4, 23, v0
	v_and_or_b32 v3, v3, s44, v4
	v_lshlrev_b32_e32 v4, 20, v5
	v_or_b32_e32 v4, v3, v4
	v_mov_b32_e32 v3, v49
	buffer_store_dword v3, off, s[48:51], 0 offset:96 ; 4-byte Folded Spill
	s_nop 0
	buffer_store_dword v4, off, s[48:51], 0 offset:100 ; 4-byte Folded Spill
.LBB211_91:                             ;   in Loop: Header=BB211_9 Depth=1
	s_or_b64 exec, exec, s[36:37]
.LBB211_92:                             ;   in Loop: Header=BB211_9 Depth=1
	s_or_b64 exec, exec, s[34:35]
.LBB211_93:                             ;   in Loop: Header=BB211_9 Depth=1
	s_or_b64 exec, exec, s[16:17]
	global_load_ushort v4, v[1:2], off offset:524
	s_waitcnt vmcnt(0)
	v_and_b32_e32 v3, 0xffff, v4
	v_cmp_ne_u16_sdwa s[4:5], v4, v49 src0_sel:BYTE_0 src1_sel:DWORD
	v_mov_b32_e32 v4, 0
	v_mov_b32_e32 v5, 0
	buffer_store_dword v4, off, s[48:51], 0 offset:112 ; 4-byte Folded Spill
	s_nop 0
	buffer_store_dword v5, off, s[48:51], 0 offset:116 ; 4-byte Folded Spill
	v_mov_b32_e32 v4, 0
	v_mov_b32_e32 v5, 0
	buffer_store_dword v4, off, s[48:51], 0 offset:104 ; 4-byte Folded Spill
	s_nop 0
	buffer_store_dword v5, off, s[48:51], 0 offset:108 ; 4-byte Folded Spill
	s_and_saveexec_b64 s[16:17], s[4:5]
	s_cbranch_execz .LBB211_99
; %bb.94:                               ;   in Loop: Header=BB211_9 Depth=1
	v_bfrev_b32_e32 v4, 1
	v_mov_b32_e32 v5, 0
	v_cmp_ne_u16_sdwa s[4:5], v3, s42 src0_sel:BYTE_0 src1_sel:DWORD
	buffer_store_dword v4, off, s[48:51], 0 offset:104 ; 4-byte Folded Spill
	s_nop 0
	buffer_store_dword v5, off, s[48:51], 0 offset:108 ; 4-byte Folded Spill
	s_and_saveexec_b64 s[34:35], s[4:5]
	s_cbranch_execz .LBB211_98
; %bb.95:                               ;   in Loop: Header=BB211_9 Depth=1
	v_and_b32_e32 v4, 0x7f, v3
	v_mov_b32_e32 v5, 0x7f800001
	v_mov_b32_e32 v6, 0
	v_cmp_ne_u32_e64 s[4:5], s43, v4
	buffer_store_dword v5, off, s[48:51], 0 offset:104 ; 4-byte Folded Spill
	s_nop 0
	buffer_store_dword v6, off, s[48:51], 0 offset:108 ; 4-byte Folded Spill
	s_and_saveexec_b64 s[36:37], s[4:5]
	s_cbranch_execz .LBB211_97
; %bb.96:                               ;   in Loop: Header=BB211_9 Depth=1
	v_and_b32_e32 v6, 7, v3
	v_lshrrev_b32_e32 v7, 3, v4
	v_cmp_gt_u32_e64 s[4:5], 8, v4
	v_ffbh_u32_e32 v4, v6
	v_min_u32_e32 v8, 32, v4
	v_subrev_u32_e32 v4, 28, v8
	v_lshlrev_b64 v[4:5], v4, v[3:4]
	v_sub_u32_e32 v5, 29, v8
	v_and_b32_e32 v4, 7, v4
	v_cndmask_b32_e64 v5, v7, v5, s[4:5]
	v_cndmask_b32_e64 v4, v6, v4, s[4:5]
	v_bfrev_b32_e32 v0, 60
	v_lshlrev_b32_e32 v4, 20, v4
	v_and_b32_sdwa v6, sext(v3), s44 dst_sel:DWORD dst_unused:UNUSED_PAD src0_sel:BYTE_0 src1_sel:DWORD
	v_lshl_add_u32 v5, v5, 23, v0
	v_or3_b32 v4, v6, v5, v4
	v_mov_b32_e32 v5, v49
	buffer_store_dword v4, off, s[48:51], 0 offset:104 ; 4-byte Folded Spill
	s_nop 0
	buffer_store_dword v5, off, s[48:51], 0 offset:108 ; 4-byte Folded Spill
.LBB211_97:                             ;   in Loop: Header=BB211_9 Depth=1
	s_or_b64 exec, exec, s[36:37]
.LBB211_98:                             ;   in Loop: Header=BB211_9 Depth=1
	s_or_b64 exec, exec, s[34:35]
.LBB211_99:                             ;   in Loop: Header=BB211_9 Depth=1
	s_or_b64 exec, exec, s[16:17]
	v_cmp_ne_u16_sdwa s[4:5], v3, v49 src0_sel:BYTE_1 src1_sel:DWORD
	s_and_saveexec_b64 s[16:17], s[4:5]
	s_cbranch_execz .LBB211_105
; %bb.100:                              ;   in Loop: Header=BB211_9 Depth=1
	v_cmp_ne_u16_sdwa s[4:5], v3, s42 src0_sel:BYTE_1 src1_sel:DWORD
	buffer_store_dword v49, off, s[48:51], 0 offset:112 ; 4-byte Folded Spill
	s_nop 0
	buffer_store_dword v50, off, s[48:51], 0 offset:116 ; 4-byte Folded Spill
	s_and_saveexec_b64 s[34:35], s[4:5]
	s_cbranch_execz .LBB211_104
; %bb.101:                              ;   in Loop: Header=BB211_9 Depth=1
	v_and_b32_sdwa v4, v3, s43 dst_sel:DWORD dst_unused:UNUSED_PAD src0_sel:BYTE_1 src1_sel:DWORD
	v_cmp_ne_u32_e64 s[4:5], s43, v4
	v_mov_b32_e32 v31, v49
	buffer_store_dword v31, off, s[48:51], 0 offset:112 ; 4-byte Folded Spill
	s_nop 0
	buffer_store_dword v32, off, s[48:51], 0 offset:116 ; 4-byte Folded Spill
	s_and_saveexec_b64 s[36:37], s[4:5]
	s_cbranch_execz .LBB211_103
; %bb.102:                              ;   in Loop: Header=BB211_9 Depth=1
	v_mov_b32_e32 v0, 7
	v_and_b32_sdwa v5, v3, v0 dst_sel:DWORD dst_unused:UNUSED_PAD src0_sel:BYTE_1 src1_sel:DWORD
	v_lshrrev_b32_e32 v8, 3, v4
	v_cmp_gt_u32_e64 s[4:5], 8, v4
	v_ffbh_u32_e32 v4, v5
	v_min_u32_e32 v4, 32, v4
	v_mov_b32_e32 v6, v49
	v_subrev_u32_e32 v7, 28, v4
	v_lshlrev_b64 v[6:7], v7, v[5:6]
	v_sub_u32_e32 v4, 29, v4
	v_and_b32_e32 v6, 7, v6
	v_cndmask_b32_e64 v4, v8, v4, s[4:5]
	v_bfrev_b32_e32 v0, 60
	v_cndmask_b32_e64 v5, v5, v6, s[4:5]
	v_lshlrev_b32_e32 v3, 16, v3
	v_lshl_add_u32 v4, v4, 23, v0
	v_and_or_b32 v3, v3, s44, v4
	v_lshlrev_b32_e32 v4, 20, v5
	v_or_b32_e32 v4, v3, v4
	v_mov_b32_e32 v3, v49
	buffer_store_dword v3, off, s[48:51], 0 offset:112 ; 4-byte Folded Spill
	s_nop 0
	buffer_store_dword v4, off, s[48:51], 0 offset:116 ; 4-byte Folded Spill
.LBB211_103:                            ;   in Loop: Header=BB211_9 Depth=1
	s_or_b64 exec, exec, s[36:37]
.LBB211_104:                            ;   in Loop: Header=BB211_9 Depth=1
	s_or_b64 exec, exec, s[34:35]
.LBB211_105:                            ;   in Loop: Header=BB211_9 Depth=1
	s_or_b64 exec, exec, s[16:17]
	global_load_ushort v4, v[1:2], off offset:1024
	s_waitcnt vmcnt(0)
	v_and_b32_e32 v3, 0xffff, v4
	v_cmp_ne_u16_sdwa s[4:5], v4, v49 src0_sel:BYTE_0 src1_sel:DWORD
	v_mov_b32_e32 v4, 0
	v_mov_b32_e32 v5, 0
	buffer_store_dword v4, off, s[48:51], 0 offset:128 ; 4-byte Folded Spill
	s_nop 0
	buffer_store_dword v5, off, s[48:51], 0 offset:132 ; 4-byte Folded Spill
	v_mov_b32_e32 v4, 0
	v_mov_b32_e32 v5, 0
	buffer_store_dword v4, off, s[48:51], 0 offset:120 ; 4-byte Folded Spill
	s_nop 0
	buffer_store_dword v5, off, s[48:51], 0 offset:124 ; 4-byte Folded Spill
	s_and_saveexec_b64 s[16:17], s[4:5]
	s_cbranch_execz .LBB211_111
; %bb.106:                              ;   in Loop: Header=BB211_9 Depth=1
	v_bfrev_b32_e32 v4, 1
	v_mov_b32_e32 v5, 0
	v_cmp_ne_u16_sdwa s[4:5], v3, s42 src0_sel:BYTE_0 src1_sel:DWORD
	buffer_store_dword v4, off, s[48:51], 0 offset:120 ; 4-byte Folded Spill
	s_nop 0
	buffer_store_dword v5, off, s[48:51], 0 offset:124 ; 4-byte Folded Spill
	s_and_saveexec_b64 s[34:35], s[4:5]
	s_cbranch_execz .LBB211_110
; %bb.107:                              ;   in Loop: Header=BB211_9 Depth=1
	v_and_b32_e32 v4, 0x7f, v3
	v_mov_b32_e32 v5, 0x7f800001
	v_mov_b32_e32 v6, 0
	v_cmp_ne_u32_e64 s[4:5], s43, v4
	buffer_store_dword v5, off, s[48:51], 0 offset:120 ; 4-byte Folded Spill
	s_nop 0
	buffer_store_dword v6, off, s[48:51], 0 offset:124 ; 4-byte Folded Spill
	s_and_saveexec_b64 s[36:37], s[4:5]
	s_cbranch_execz .LBB211_109
; %bb.108:                              ;   in Loop: Header=BB211_9 Depth=1
	v_and_b32_e32 v6, 7, v3
	v_lshrrev_b32_e32 v7, 3, v4
	v_cmp_gt_u32_e64 s[4:5], 8, v4
	v_ffbh_u32_e32 v4, v6
	v_min_u32_e32 v8, 32, v4
	v_subrev_u32_e32 v4, 28, v8
	v_lshlrev_b64 v[4:5], v4, v[3:4]
	v_sub_u32_e32 v5, 29, v8
	v_and_b32_e32 v4, 7, v4
	v_cndmask_b32_e64 v5, v7, v5, s[4:5]
	v_cndmask_b32_e64 v4, v6, v4, s[4:5]
	v_bfrev_b32_e32 v0, 60
	v_lshlrev_b32_e32 v4, 20, v4
	v_and_b32_sdwa v6, sext(v3), s44 dst_sel:DWORD dst_unused:UNUSED_PAD src0_sel:BYTE_0 src1_sel:DWORD
	v_lshl_add_u32 v5, v5, 23, v0
	v_or3_b32 v4, v6, v5, v4
	v_mov_b32_e32 v5, v49
	buffer_store_dword v4, off, s[48:51], 0 offset:120 ; 4-byte Folded Spill
	s_nop 0
	buffer_store_dword v5, off, s[48:51], 0 offset:124 ; 4-byte Folded Spill
.LBB211_109:                            ;   in Loop: Header=BB211_9 Depth=1
	s_or_b64 exec, exec, s[36:37]
.LBB211_110:                            ;   in Loop: Header=BB211_9 Depth=1
	s_or_b64 exec, exec, s[34:35]
.LBB211_111:                            ;   in Loop: Header=BB211_9 Depth=1
	s_or_b64 exec, exec, s[16:17]
	v_cmp_ne_u16_sdwa s[4:5], v3, v49 src0_sel:BYTE_1 src1_sel:DWORD
	s_and_saveexec_b64 s[16:17], s[4:5]
	s_cbranch_execz .LBB211_117
; %bb.112:                              ;   in Loop: Header=BB211_9 Depth=1
	v_cmp_ne_u16_sdwa s[4:5], v3, s42 src0_sel:BYTE_1 src1_sel:DWORD
	buffer_store_dword v49, off, s[48:51], 0 offset:128 ; 4-byte Folded Spill
	s_nop 0
	buffer_store_dword v50, off, s[48:51], 0 offset:132 ; 4-byte Folded Spill
	s_and_saveexec_b64 s[34:35], s[4:5]
	s_cbranch_execz .LBB211_116
; %bb.113:                              ;   in Loop: Header=BB211_9 Depth=1
	v_and_b32_sdwa v4, v3, s43 dst_sel:DWORD dst_unused:UNUSED_PAD src0_sel:BYTE_1 src1_sel:DWORD
	v_cmp_ne_u32_e64 s[4:5], s43, v4
	v_mov_b32_e32 v31, v49
	buffer_store_dword v31, off, s[48:51], 0 offset:128 ; 4-byte Folded Spill
	s_nop 0
	buffer_store_dword v32, off, s[48:51], 0 offset:132 ; 4-byte Folded Spill
	s_and_saveexec_b64 s[36:37], s[4:5]
	s_cbranch_execz .LBB211_115
; %bb.114:                              ;   in Loop: Header=BB211_9 Depth=1
	v_mov_b32_e32 v0, 7
	v_and_b32_sdwa v5, v3, v0 dst_sel:DWORD dst_unused:UNUSED_PAD src0_sel:BYTE_1 src1_sel:DWORD
	v_lshrrev_b32_e32 v8, 3, v4
	v_cmp_gt_u32_e64 s[4:5], 8, v4
	v_ffbh_u32_e32 v4, v5
	v_min_u32_e32 v4, 32, v4
	v_mov_b32_e32 v6, v49
	v_subrev_u32_e32 v7, 28, v4
	v_lshlrev_b64 v[6:7], v7, v[5:6]
	v_sub_u32_e32 v4, 29, v4
	v_and_b32_e32 v6, 7, v6
	v_cndmask_b32_e64 v4, v8, v4, s[4:5]
	v_bfrev_b32_e32 v0, 60
	v_cndmask_b32_e64 v5, v5, v6, s[4:5]
	v_lshlrev_b32_e32 v3, 16, v3
	v_lshl_add_u32 v4, v4, 23, v0
	v_and_or_b32 v3, v3, s44, v4
	v_lshlrev_b32_e32 v4, 20, v5
	v_or_b32_e32 v4, v3, v4
	v_mov_b32_e32 v3, v49
	buffer_store_dword v3, off, s[48:51], 0 offset:128 ; 4-byte Folded Spill
	s_nop 0
	buffer_store_dword v4, off, s[48:51], 0 offset:132 ; 4-byte Folded Spill
.LBB211_115:                            ;   in Loop: Header=BB211_9 Depth=1
	s_or_b64 exec, exec, s[36:37]
.LBB211_116:                            ;   in Loop: Header=BB211_9 Depth=1
	s_or_b64 exec, exec, s[34:35]
.LBB211_117:                            ;   in Loop: Header=BB211_9 Depth=1
	s_or_b64 exec, exec, s[16:17]
	global_load_ushort v4, v[1:2], off offset:1028
	s_waitcnt vmcnt(0)
	v_and_b32_e32 v3, 0xffff, v4
	v_cmp_ne_u16_sdwa s[4:5], v4, v49 src0_sel:BYTE_0 src1_sel:DWORD
	v_mov_b32_e32 v4, 0
	v_mov_b32_e32 v5, 0
	buffer_store_dword v4, off, s[48:51], 0 offset:144 ; 4-byte Folded Spill
	s_nop 0
	buffer_store_dword v5, off, s[48:51], 0 offset:148 ; 4-byte Folded Spill
	v_mov_b32_e32 v4, 0
	v_mov_b32_e32 v5, 0
	buffer_store_dword v4, off, s[48:51], 0 offset:136 ; 4-byte Folded Spill
	s_nop 0
	buffer_store_dword v5, off, s[48:51], 0 offset:140 ; 4-byte Folded Spill
	s_and_saveexec_b64 s[16:17], s[4:5]
	s_cbranch_execz .LBB211_123
; %bb.118:                              ;   in Loop: Header=BB211_9 Depth=1
	v_bfrev_b32_e32 v4, 1
	v_mov_b32_e32 v5, 0
	v_cmp_ne_u16_sdwa s[4:5], v3, s42 src0_sel:BYTE_0 src1_sel:DWORD
	buffer_store_dword v4, off, s[48:51], 0 offset:136 ; 4-byte Folded Spill
	s_nop 0
	buffer_store_dword v5, off, s[48:51], 0 offset:140 ; 4-byte Folded Spill
	s_and_saveexec_b64 s[34:35], s[4:5]
	s_cbranch_execz .LBB211_122
; %bb.119:                              ;   in Loop: Header=BB211_9 Depth=1
	v_and_b32_e32 v4, 0x7f, v3
	v_mov_b32_e32 v5, 0x7f800001
	v_mov_b32_e32 v6, 0
	v_cmp_ne_u32_e64 s[4:5], s43, v4
	buffer_store_dword v5, off, s[48:51], 0 offset:136 ; 4-byte Folded Spill
	s_nop 0
	buffer_store_dword v6, off, s[48:51], 0 offset:140 ; 4-byte Folded Spill
	s_and_saveexec_b64 s[36:37], s[4:5]
	s_cbranch_execz .LBB211_121
; %bb.120:                              ;   in Loop: Header=BB211_9 Depth=1
	v_and_b32_e32 v6, 7, v3
	v_lshrrev_b32_e32 v7, 3, v4
	v_cmp_gt_u32_e64 s[4:5], 8, v4
	v_ffbh_u32_e32 v4, v6
	v_min_u32_e32 v8, 32, v4
	v_subrev_u32_e32 v4, 28, v8
	v_lshlrev_b64 v[4:5], v4, v[3:4]
	v_sub_u32_e32 v5, 29, v8
	v_and_b32_e32 v4, 7, v4
	v_cndmask_b32_e64 v5, v7, v5, s[4:5]
	v_cndmask_b32_e64 v4, v6, v4, s[4:5]
	v_bfrev_b32_e32 v0, 60
	v_lshlrev_b32_e32 v4, 20, v4
	v_and_b32_sdwa v6, sext(v3), s44 dst_sel:DWORD dst_unused:UNUSED_PAD src0_sel:BYTE_0 src1_sel:DWORD
	v_lshl_add_u32 v5, v5, 23, v0
	v_or3_b32 v4, v6, v5, v4
	v_mov_b32_e32 v5, v49
	buffer_store_dword v4, off, s[48:51], 0 offset:136 ; 4-byte Folded Spill
	s_nop 0
	buffer_store_dword v5, off, s[48:51], 0 offset:140 ; 4-byte Folded Spill
.LBB211_121:                            ;   in Loop: Header=BB211_9 Depth=1
	s_or_b64 exec, exec, s[36:37]
.LBB211_122:                            ;   in Loop: Header=BB211_9 Depth=1
	s_or_b64 exec, exec, s[34:35]
.LBB211_123:                            ;   in Loop: Header=BB211_9 Depth=1
	s_or_b64 exec, exec, s[16:17]
	v_cmp_ne_u16_sdwa s[4:5], v3, v49 src0_sel:BYTE_1 src1_sel:DWORD
	s_and_saveexec_b64 s[16:17], s[4:5]
	s_cbranch_execz .LBB211_129
; %bb.124:                              ;   in Loop: Header=BB211_9 Depth=1
	v_cmp_ne_u16_sdwa s[4:5], v3, s42 src0_sel:BYTE_1 src1_sel:DWORD
	buffer_store_dword v49, off, s[48:51], 0 offset:144 ; 4-byte Folded Spill
	s_nop 0
	buffer_store_dword v50, off, s[48:51], 0 offset:148 ; 4-byte Folded Spill
	s_and_saveexec_b64 s[34:35], s[4:5]
	s_cbranch_execz .LBB211_128
; %bb.125:                              ;   in Loop: Header=BB211_9 Depth=1
	v_and_b32_sdwa v4, v3, s43 dst_sel:DWORD dst_unused:UNUSED_PAD src0_sel:BYTE_1 src1_sel:DWORD
	v_cmp_ne_u32_e64 s[4:5], s43, v4
	v_mov_b32_e32 v31, v49
	buffer_store_dword v31, off, s[48:51], 0 offset:144 ; 4-byte Folded Spill
	s_nop 0
	buffer_store_dword v32, off, s[48:51], 0 offset:148 ; 4-byte Folded Spill
	s_and_saveexec_b64 s[36:37], s[4:5]
	s_cbranch_execz .LBB211_127
; %bb.126:                              ;   in Loop: Header=BB211_9 Depth=1
	v_mov_b32_e32 v0, 7
	v_and_b32_sdwa v5, v3, v0 dst_sel:DWORD dst_unused:UNUSED_PAD src0_sel:BYTE_1 src1_sel:DWORD
	v_lshrrev_b32_e32 v8, 3, v4
	v_cmp_gt_u32_e64 s[4:5], 8, v4
	v_ffbh_u32_e32 v4, v5
	v_min_u32_e32 v4, 32, v4
	v_mov_b32_e32 v6, v49
	v_subrev_u32_e32 v7, 28, v4
	v_lshlrev_b64 v[6:7], v7, v[5:6]
	v_sub_u32_e32 v4, 29, v4
	v_and_b32_e32 v6, 7, v6
	v_cndmask_b32_e64 v4, v8, v4, s[4:5]
	v_bfrev_b32_e32 v0, 60
	v_cndmask_b32_e64 v5, v5, v6, s[4:5]
	v_lshlrev_b32_e32 v3, 16, v3
	v_lshl_add_u32 v4, v4, 23, v0
	v_and_or_b32 v3, v3, s44, v4
	v_lshlrev_b32_e32 v4, 20, v5
	v_or_b32_e32 v4, v3, v4
	v_mov_b32_e32 v3, v49
	buffer_store_dword v3, off, s[48:51], 0 offset:144 ; 4-byte Folded Spill
	s_nop 0
	buffer_store_dword v4, off, s[48:51], 0 offset:148 ; 4-byte Folded Spill
.LBB211_127:                            ;   in Loop: Header=BB211_9 Depth=1
	s_or_b64 exec, exec, s[36:37]
.LBB211_128:                            ;   in Loop: Header=BB211_9 Depth=1
	s_or_b64 exec, exec, s[34:35]
.LBB211_129:                            ;   in Loop: Header=BB211_9 Depth=1
	s_or_b64 exec, exec, s[16:17]
	global_load_ushort v4, v[1:2], off offset:1032
	s_waitcnt vmcnt(0)
	v_and_b32_e32 v3, 0xffff, v4
	v_cmp_ne_u16_sdwa s[4:5], v4, v49 src0_sel:BYTE_0 src1_sel:DWORD
	v_mov_b32_e32 v4, 0
	v_mov_b32_e32 v5, 0
	buffer_store_dword v4, off, s[48:51], 0 offset:160 ; 4-byte Folded Spill
	s_nop 0
	buffer_store_dword v5, off, s[48:51], 0 offset:164 ; 4-byte Folded Spill
	v_mov_b32_e32 v4, 0
	v_mov_b32_e32 v5, 0
	buffer_store_dword v4, off, s[48:51], 0 offset:152 ; 4-byte Folded Spill
	s_nop 0
	buffer_store_dword v5, off, s[48:51], 0 offset:156 ; 4-byte Folded Spill
	s_and_saveexec_b64 s[16:17], s[4:5]
	s_cbranch_execz .LBB211_135
; %bb.130:                              ;   in Loop: Header=BB211_9 Depth=1
	v_bfrev_b32_e32 v4, 1
	v_mov_b32_e32 v5, 0
	v_cmp_ne_u16_sdwa s[4:5], v3, s42 src0_sel:BYTE_0 src1_sel:DWORD
	buffer_store_dword v4, off, s[48:51], 0 offset:152 ; 4-byte Folded Spill
	s_nop 0
	buffer_store_dword v5, off, s[48:51], 0 offset:156 ; 4-byte Folded Spill
	s_and_saveexec_b64 s[34:35], s[4:5]
	s_cbranch_execz .LBB211_134
; %bb.131:                              ;   in Loop: Header=BB211_9 Depth=1
	v_and_b32_e32 v4, 0x7f, v3
	v_mov_b32_e32 v5, 0x7f800001
	v_mov_b32_e32 v6, 0
	v_cmp_ne_u32_e64 s[4:5], s43, v4
	buffer_store_dword v5, off, s[48:51], 0 offset:152 ; 4-byte Folded Spill
	s_nop 0
	buffer_store_dword v6, off, s[48:51], 0 offset:156 ; 4-byte Folded Spill
	s_and_saveexec_b64 s[36:37], s[4:5]
	s_cbranch_execz .LBB211_133
; %bb.132:                              ;   in Loop: Header=BB211_9 Depth=1
	v_and_b32_e32 v6, 7, v3
	v_lshrrev_b32_e32 v7, 3, v4
	v_cmp_gt_u32_e64 s[4:5], 8, v4
	v_ffbh_u32_e32 v4, v6
	v_min_u32_e32 v8, 32, v4
	v_subrev_u32_e32 v4, 28, v8
	v_lshlrev_b64 v[4:5], v4, v[3:4]
	v_sub_u32_e32 v5, 29, v8
	v_and_b32_e32 v4, 7, v4
	v_cndmask_b32_e64 v5, v7, v5, s[4:5]
	v_cndmask_b32_e64 v4, v6, v4, s[4:5]
	v_bfrev_b32_e32 v0, 60
	v_lshlrev_b32_e32 v4, 20, v4
	v_and_b32_sdwa v6, sext(v3), s44 dst_sel:DWORD dst_unused:UNUSED_PAD src0_sel:BYTE_0 src1_sel:DWORD
	v_lshl_add_u32 v5, v5, 23, v0
	v_or3_b32 v4, v6, v5, v4
	v_mov_b32_e32 v5, v49
	buffer_store_dword v4, off, s[48:51], 0 offset:152 ; 4-byte Folded Spill
	s_nop 0
	buffer_store_dword v5, off, s[48:51], 0 offset:156 ; 4-byte Folded Spill
.LBB211_133:                            ;   in Loop: Header=BB211_9 Depth=1
	s_or_b64 exec, exec, s[36:37]
.LBB211_134:                            ;   in Loop: Header=BB211_9 Depth=1
	s_or_b64 exec, exec, s[34:35]
.LBB211_135:                            ;   in Loop: Header=BB211_9 Depth=1
	s_or_b64 exec, exec, s[16:17]
	v_cmp_ne_u16_sdwa s[4:5], v3, v49 src0_sel:BYTE_1 src1_sel:DWORD
	s_and_saveexec_b64 s[16:17], s[4:5]
	s_cbranch_execz .LBB211_141
; %bb.136:                              ;   in Loop: Header=BB211_9 Depth=1
	v_cmp_ne_u16_sdwa s[4:5], v3, s42 src0_sel:BYTE_1 src1_sel:DWORD
	buffer_store_dword v49, off, s[48:51], 0 offset:160 ; 4-byte Folded Spill
	s_nop 0
	buffer_store_dword v50, off, s[48:51], 0 offset:164 ; 4-byte Folded Spill
	s_and_saveexec_b64 s[34:35], s[4:5]
	s_cbranch_execz .LBB211_140
; %bb.137:                              ;   in Loop: Header=BB211_9 Depth=1
	v_and_b32_sdwa v4, v3, s43 dst_sel:DWORD dst_unused:UNUSED_PAD src0_sel:BYTE_1 src1_sel:DWORD
	v_cmp_ne_u32_e64 s[4:5], s43, v4
	v_mov_b32_e32 v31, v49
	buffer_store_dword v31, off, s[48:51], 0 offset:160 ; 4-byte Folded Spill
	s_nop 0
	buffer_store_dword v32, off, s[48:51], 0 offset:164 ; 4-byte Folded Spill
	s_and_saveexec_b64 s[36:37], s[4:5]
	s_cbranch_execz .LBB211_139
; %bb.138:                              ;   in Loop: Header=BB211_9 Depth=1
	v_mov_b32_e32 v0, 7
	v_and_b32_sdwa v5, v3, v0 dst_sel:DWORD dst_unused:UNUSED_PAD src0_sel:BYTE_1 src1_sel:DWORD
	v_lshrrev_b32_e32 v8, 3, v4
	v_cmp_gt_u32_e64 s[4:5], 8, v4
	v_ffbh_u32_e32 v4, v5
	v_min_u32_e32 v4, 32, v4
	v_mov_b32_e32 v6, v49
	v_subrev_u32_e32 v7, 28, v4
	v_lshlrev_b64 v[6:7], v7, v[5:6]
	v_sub_u32_e32 v4, 29, v4
	v_and_b32_e32 v6, 7, v6
	v_cndmask_b32_e64 v4, v8, v4, s[4:5]
	v_bfrev_b32_e32 v0, 60
	v_cndmask_b32_e64 v5, v5, v6, s[4:5]
	v_lshlrev_b32_e32 v3, 16, v3
	v_lshl_add_u32 v4, v4, 23, v0
	v_and_or_b32 v3, v3, s44, v4
	v_lshlrev_b32_e32 v4, 20, v5
	v_or_b32_e32 v4, v3, v4
	v_mov_b32_e32 v3, v49
	buffer_store_dword v3, off, s[48:51], 0 offset:160 ; 4-byte Folded Spill
	s_nop 0
	buffer_store_dword v4, off, s[48:51], 0 offset:164 ; 4-byte Folded Spill
.LBB211_139:                            ;   in Loop: Header=BB211_9 Depth=1
	s_or_b64 exec, exec, s[36:37]
.LBB211_140:                            ;   in Loop: Header=BB211_9 Depth=1
	s_or_b64 exec, exec, s[34:35]
.LBB211_141:                            ;   in Loop: Header=BB211_9 Depth=1
	s_or_b64 exec, exec, s[16:17]
	global_load_ushort v4, v[1:2], off offset:1036
	v_mov_b32_e32 v41, 0
	v_mov_b32_e32 v42, 0
	s_waitcnt vmcnt(0)
	v_and_b32_e32 v3, 0xffff, v4
	v_cmp_ne_u16_sdwa s[4:5], v4, v49 src0_sel:BYTE_0 src1_sel:DWORD
	v_mov_b32_e32 v4, 0
	v_mov_b32_e32 v5, 0
	buffer_store_dword v4, off, s[48:51], 0 offset:168 ; 4-byte Folded Spill
	s_nop 0
	buffer_store_dword v5, off, s[48:51], 0 offset:172 ; 4-byte Folded Spill
	s_and_saveexec_b64 s[16:17], s[4:5]
	s_cbranch_execz .LBB211_147
; %bb.142:                              ;   in Loop: Header=BB211_9 Depth=1
	v_bfrev_b32_e32 v4, 1
	v_mov_b32_e32 v5, 0
	v_cmp_ne_u16_sdwa s[4:5], v3, s42 src0_sel:BYTE_0 src1_sel:DWORD
	buffer_store_dword v4, off, s[48:51], 0 offset:168 ; 4-byte Folded Spill
	s_nop 0
	buffer_store_dword v5, off, s[48:51], 0 offset:172 ; 4-byte Folded Spill
	s_and_saveexec_b64 s[34:35], s[4:5]
	s_cbranch_execz .LBB211_146
; %bb.143:                              ;   in Loop: Header=BB211_9 Depth=1
	v_and_b32_e32 v4, 0x7f, v3
	v_mov_b32_e32 v5, 0x7f800001
	v_mov_b32_e32 v6, 0
	v_cmp_ne_u32_e64 s[4:5], s43, v4
	buffer_store_dword v5, off, s[48:51], 0 offset:168 ; 4-byte Folded Spill
	s_nop 0
	buffer_store_dword v6, off, s[48:51], 0 offset:172 ; 4-byte Folded Spill
	s_and_saveexec_b64 s[36:37], s[4:5]
	s_cbranch_execz .LBB211_145
; %bb.144:                              ;   in Loop: Header=BB211_9 Depth=1
	v_and_b32_e32 v6, 7, v3
	v_lshrrev_b32_e32 v7, 3, v4
	v_cmp_gt_u32_e64 s[4:5], 8, v4
	v_ffbh_u32_e32 v4, v6
	v_min_u32_e32 v8, 32, v4
	v_subrev_u32_e32 v4, 28, v8
	v_lshlrev_b64 v[4:5], v4, v[3:4]
	v_sub_u32_e32 v5, 29, v8
	v_and_b32_e32 v4, 7, v4
	v_cndmask_b32_e64 v5, v7, v5, s[4:5]
	v_cndmask_b32_e64 v4, v6, v4, s[4:5]
	v_bfrev_b32_e32 v0, 60
	v_lshlrev_b32_e32 v4, 20, v4
	v_and_b32_sdwa v6, sext(v3), s44 dst_sel:DWORD dst_unused:UNUSED_PAD src0_sel:BYTE_0 src1_sel:DWORD
	v_lshl_add_u32 v5, v5, 23, v0
	v_or3_b32 v4, v6, v5, v4
	v_mov_b32_e32 v5, v49
	buffer_store_dword v4, off, s[48:51], 0 offset:168 ; 4-byte Folded Spill
	s_nop 0
	buffer_store_dword v5, off, s[48:51], 0 offset:172 ; 4-byte Folded Spill
.LBB211_145:                            ;   in Loop: Header=BB211_9 Depth=1
	s_or_b64 exec, exec, s[36:37]
.LBB211_146:                            ;   in Loop: Header=BB211_9 Depth=1
	s_or_b64 exec, exec, s[34:35]
.LBB211_147:                            ;   in Loop: Header=BB211_9 Depth=1
	s_or_b64 exec, exec, s[16:17]
	v_cmp_ne_u16_sdwa s[4:5], v3, v49 src0_sel:BYTE_1 src1_sel:DWORD
	s_and_saveexec_b64 s[16:17], s[4:5]
	s_cbranch_execz .LBB211_153
; %bb.148:                              ;   in Loop: Header=BB211_9 Depth=1
	v_mov_b32_e32 v41, v49
	v_cmp_ne_u16_sdwa s[4:5], v3, s42 src0_sel:BYTE_1 src1_sel:DWORD
	v_mov_b32_e32 v42, v50
	s_and_saveexec_b64 s[34:35], s[4:5]
	s_cbranch_execz .LBB211_152
; %bb.149:                              ;   in Loop: Header=BB211_9 Depth=1
	v_and_b32_sdwa v4, v3, s43 dst_sel:DWORD dst_unused:UNUSED_PAD src0_sel:BYTE_1 src1_sel:DWORD
	v_mov_b32_e32 v31, v49
	v_mov_b32_e32 v42, v32
	v_cmp_ne_u32_e64 s[4:5], s43, v4
	v_mov_b32_e32 v41, v31
	s_and_saveexec_b64 s[36:37], s[4:5]
	s_cbranch_execz .LBB211_151
; %bb.150:                              ;   in Loop: Header=BB211_9 Depth=1
	v_mov_b32_e32 v0, 7
	v_and_b32_sdwa v5, v3, v0 dst_sel:DWORD dst_unused:UNUSED_PAD src0_sel:BYTE_1 src1_sel:DWORD
	v_lshrrev_b32_e32 v8, 3, v4
	v_cmp_gt_u32_e64 s[4:5], 8, v4
	v_ffbh_u32_e32 v4, v5
	v_min_u32_e32 v4, 32, v4
	v_mov_b32_e32 v6, v49
	v_subrev_u32_e32 v7, 28, v4
	v_lshlrev_b64 v[6:7], v7, v[5:6]
	v_sub_u32_e32 v4, 29, v4
	v_and_b32_e32 v6, 7, v6
	v_cndmask_b32_e64 v4, v8, v4, s[4:5]
	v_bfrev_b32_e32 v0, 60
	v_cndmask_b32_e64 v5, v5, v6, s[4:5]
	v_lshlrev_b32_e32 v3, 16, v3
	v_lshl_add_u32 v4, v4, 23, v0
	v_and_or_b32 v3, v3, s44, v4
	v_lshlrev_b32_e32 v4, 20, v5
	v_or_b32_e32 v42, v3, v4
	v_mov_b32_e32 v41, v49
.LBB211_151:                            ;   in Loop: Header=BB211_9 Depth=1
	s_or_b64 exec, exec, s[36:37]
.LBB211_152:                            ;   in Loop: Header=BB211_9 Depth=1
	s_or_b64 exec, exec, s[34:35]
.LBB211_153:                            ;   in Loop: Header=BB211_9 Depth=1
	s_or_b64 exec, exec, s[16:17]
	global_load_ushort v4, v[1:2], off offset:1536
	v_mov_b32_e32 v45, 0
	v_mov_b32_e32 v43, 0
	;; [unrolled: 1-line block ×4, first 2 shown]
	s_waitcnt vmcnt(0)
	v_and_b32_e32 v3, 0xffff, v4
	v_cmp_ne_u16_sdwa s[4:5], v4, v49 src0_sel:BYTE_0 src1_sel:DWORD
	s_and_saveexec_b64 s[16:17], s[4:5]
	s_cbranch_execz .LBB211_159
; %bb.154:                              ;   in Loop: Header=BB211_9 Depth=1
	v_bfrev_b32_e32 v43, 1
	v_mov_b32_e32 v44, 0
	v_cmp_ne_u16_sdwa s[4:5], v3, s42 src0_sel:BYTE_0 src1_sel:DWORD
	s_and_saveexec_b64 s[34:35], s[4:5]
	s_cbranch_execz .LBB211_158
; %bb.155:                              ;   in Loop: Header=BB211_9 Depth=1
	v_and_b32_e32 v4, 0x7f, v3
	v_mov_b32_e32 v43, 0x7f800001
	v_mov_b32_e32 v44, 0
	v_cmp_ne_u32_e64 s[4:5], s43, v4
	s_and_saveexec_b64 s[36:37], s[4:5]
	s_cbranch_execz .LBB211_157
; %bb.156:                              ;   in Loop: Header=BB211_9 Depth=1
	v_and_b32_e32 v6, 7, v3
	v_lshrrev_b32_e32 v7, 3, v4
	v_cmp_gt_u32_e64 s[4:5], 8, v4
	v_ffbh_u32_e32 v4, v6
	v_min_u32_e32 v8, 32, v4
	v_subrev_u32_e32 v4, 28, v8
	v_lshlrev_b64 v[4:5], v4, v[3:4]
	v_sub_u32_e32 v5, 29, v8
	v_and_b32_e32 v4, 7, v4
	v_cndmask_b32_e64 v5, v7, v5, s[4:5]
	v_cndmask_b32_e64 v4, v6, v4, s[4:5]
	v_bfrev_b32_e32 v0, 60
	v_lshlrev_b32_e32 v4, 20, v4
	v_and_b32_sdwa v6, sext(v3), s44 dst_sel:DWORD dst_unused:UNUSED_PAD src0_sel:BYTE_0 src1_sel:DWORD
	v_lshl_add_u32 v5, v5, 23, v0
	v_or3_b32 v43, v6, v5, v4
	v_mov_b32_e32 v44, v49
.LBB211_157:                            ;   in Loop: Header=BB211_9 Depth=1
	s_or_b64 exec, exec, s[36:37]
.LBB211_158:                            ;   in Loop: Header=BB211_9 Depth=1
	s_or_b64 exec, exec, s[34:35]
.LBB211_159:                            ;   in Loop: Header=BB211_9 Depth=1
	s_or_b64 exec, exec, s[16:17]
	v_cmp_ne_u16_sdwa s[4:5], v3, v49 src0_sel:BYTE_1 src1_sel:DWORD
	s_and_saveexec_b64 s[16:17], s[4:5]
	s_cbranch_execz .LBB211_165
; %bb.160:                              ;   in Loop: Header=BB211_9 Depth=1
	v_mov_b32_e32 v45, v49
	v_cmp_ne_u16_sdwa s[4:5], v3, s42 src0_sel:BYTE_1 src1_sel:DWORD
	v_mov_b32_e32 v46, v50
	s_and_saveexec_b64 s[34:35], s[4:5]
	s_cbranch_execz .LBB211_164
; %bb.161:                              ;   in Loop: Header=BB211_9 Depth=1
	v_and_b32_sdwa v4, v3, s43 dst_sel:DWORD dst_unused:UNUSED_PAD src0_sel:BYTE_1 src1_sel:DWORD
	v_mov_b32_e32 v31, v49
	v_mov_b32_e32 v46, v32
	v_cmp_ne_u32_e64 s[4:5], s43, v4
	v_mov_b32_e32 v45, v31
	s_and_saveexec_b64 s[36:37], s[4:5]
	s_cbranch_execz .LBB211_163
; %bb.162:                              ;   in Loop: Header=BB211_9 Depth=1
	v_mov_b32_e32 v0, 7
	v_and_b32_sdwa v5, v3, v0 dst_sel:DWORD dst_unused:UNUSED_PAD src0_sel:BYTE_1 src1_sel:DWORD
	v_lshrrev_b32_e32 v8, 3, v4
	v_cmp_gt_u32_e64 s[4:5], 8, v4
	v_ffbh_u32_e32 v4, v5
	v_min_u32_e32 v4, 32, v4
	v_mov_b32_e32 v6, v49
	v_subrev_u32_e32 v7, 28, v4
	v_lshlrev_b64 v[6:7], v7, v[5:6]
	v_sub_u32_e32 v4, 29, v4
	v_and_b32_e32 v6, 7, v6
	v_cndmask_b32_e64 v4, v8, v4, s[4:5]
	v_bfrev_b32_e32 v0, 60
	v_cndmask_b32_e64 v5, v5, v6, s[4:5]
	v_lshlrev_b32_e32 v3, 16, v3
	v_lshl_add_u32 v4, v4, 23, v0
	v_and_or_b32 v3, v3, s44, v4
	v_lshlrev_b32_e32 v4, 20, v5
	v_or_b32_e32 v46, v3, v4
	v_mov_b32_e32 v45, v49
.LBB211_163:                            ;   in Loop: Header=BB211_9 Depth=1
	s_or_b64 exec, exec, s[36:37]
.LBB211_164:                            ;   in Loop: Header=BB211_9 Depth=1
	s_or_b64 exec, exec, s[34:35]
.LBB211_165:                            ;   in Loop: Header=BB211_9 Depth=1
	s_or_b64 exec, exec, s[16:17]
	global_load_ushort v4, v[1:2], off offset:1540
	v_mov_b32_e32 v38, 0
	v_mov_b32_e32 v47, 0
	;; [unrolled: 1-line block ×4, first 2 shown]
	s_waitcnt vmcnt(0)
	v_and_b32_e32 v3, 0xffff, v4
	v_cmp_ne_u16_sdwa s[4:5], v4, v49 src0_sel:BYTE_0 src1_sel:DWORD
	s_and_saveexec_b64 s[16:17], s[4:5]
	s_cbranch_execz .LBB211_171
; %bb.166:                              ;   in Loop: Header=BB211_9 Depth=1
	v_bfrev_b32_e32 v47, 1
	v_mov_b32_e32 v48, 0
	v_cmp_ne_u16_sdwa s[4:5], v3, s42 src0_sel:BYTE_0 src1_sel:DWORD
	s_and_saveexec_b64 s[34:35], s[4:5]
	s_cbranch_execz .LBB211_170
; %bb.167:                              ;   in Loop: Header=BB211_9 Depth=1
	v_and_b32_e32 v4, 0x7f, v3
	v_mov_b32_e32 v47, 0x7f800001
	v_mov_b32_e32 v48, 0
	v_cmp_ne_u32_e64 s[4:5], s43, v4
	s_and_saveexec_b64 s[36:37], s[4:5]
	s_cbranch_execz .LBB211_169
; %bb.168:                              ;   in Loop: Header=BB211_9 Depth=1
	v_and_b32_e32 v6, 7, v3
	v_lshrrev_b32_e32 v7, 3, v4
	v_cmp_gt_u32_e64 s[4:5], 8, v4
	v_ffbh_u32_e32 v4, v6
	v_min_u32_e32 v8, 32, v4
	v_subrev_u32_e32 v4, 28, v8
	v_lshlrev_b64 v[4:5], v4, v[3:4]
	v_sub_u32_e32 v5, 29, v8
	v_and_b32_e32 v4, 7, v4
	v_cndmask_b32_e64 v5, v7, v5, s[4:5]
	v_cndmask_b32_e64 v4, v6, v4, s[4:5]
	v_bfrev_b32_e32 v0, 60
	v_lshlrev_b32_e32 v4, 20, v4
	v_and_b32_sdwa v6, sext(v3), s44 dst_sel:DWORD dst_unused:UNUSED_PAD src0_sel:BYTE_0 src1_sel:DWORD
	v_lshl_add_u32 v5, v5, 23, v0
	v_or3_b32 v47, v6, v5, v4
	v_mov_b32_e32 v48, v49
.LBB211_169:                            ;   in Loop: Header=BB211_9 Depth=1
	s_or_b64 exec, exec, s[36:37]
.LBB211_170:                            ;   in Loop: Header=BB211_9 Depth=1
	s_or_b64 exec, exec, s[34:35]
.LBB211_171:                            ;   in Loop: Header=BB211_9 Depth=1
	s_or_b64 exec, exec, s[16:17]
	v_cmp_ne_u16_sdwa s[4:5], v3, v49 src0_sel:BYTE_1 src1_sel:DWORD
	s_and_saveexec_b64 s[16:17], s[4:5]
	s_cbranch_execz .LBB211_177
; %bb.172:                              ;   in Loop: Header=BB211_9 Depth=1
	v_mov_b32_e32 v38, v49
	v_cmp_ne_u16_sdwa s[4:5], v3, s42 src0_sel:BYTE_1 src1_sel:DWORD
	v_mov_b32_e32 v39, v50
	s_and_saveexec_b64 s[34:35], s[4:5]
	s_cbranch_execz .LBB211_176
; %bb.173:                              ;   in Loop: Header=BB211_9 Depth=1
	v_and_b32_sdwa v4, v3, s43 dst_sel:DWORD dst_unused:UNUSED_PAD src0_sel:BYTE_1 src1_sel:DWORD
	v_mov_b32_e32 v31, v49
	v_mov_b32_e32 v39, v32
	v_cmp_ne_u32_e64 s[4:5], s43, v4
	v_mov_b32_e32 v38, v31
	s_and_saveexec_b64 s[36:37], s[4:5]
	s_cbranch_execz .LBB211_175
; %bb.174:                              ;   in Loop: Header=BB211_9 Depth=1
	v_mov_b32_e32 v0, 7
	v_and_b32_sdwa v5, v3, v0 dst_sel:DWORD dst_unused:UNUSED_PAD src0_sel:BYTE_1 src1_sel:DWORD
	v_lshrrev_b32_e32 v8, 3, v4
	v_cmp_gt_u32_e64 s[4:5], 8, v4
	v_ffbh_u32_e32 v4, v5
	v_min_u32_e32 v4, 32, v4
	v_mov_b32_e32 v6, v49
	v_subrev_u32_e32 v7, 28, v4
	v_lshlrev_b64 v[6:7], v7, v[5:6]
	v_sub_u32_e32 v4, 29, v4
	v_and_b32_e32 v6, 7, v6
	v_cndmask_b32_e64 v4, v8, v4, s[4:5]
	v_bfrev_b32_e32 v0, 60
	v_cndmask_b32_e64 v5, v5, v6, s[4:5]
	v_lshlrev_b32_e32 v3, 16, v3
	v_lshl_add_u32 v4, v4, 23, v0
	v_and_or_b32 v3, v3, s44, v4
	v_lshlrev_b32_e32 v4, 20, v5
	v_or_b32_e32 v39, v3, v4
	v_mov_b32_e32 v38, v49
.LBB211_175:                            ;   in Loop: Header=BB211_9 Depth=1
	s_or_b64 exec, exec, s[36:37]
.LBB211_176:                            ;   in Loop: Header=BB211_9 Depth=1
	s_or_b64 exec, exec, s[34:35]
.LBB211_177:                            ;   in Loop: Header=BB211_9 Depth=1
	s_or_b64 exec, exec, s[16:17]
	global_load_ushort v4, v[1:2], off offset:1544
	v_mov_b32_e32 v61, 0
	v_mov_b32_e32 v59, 0
	v_mov_b32_e32 v62, 0
	v_mov_b32_e32 v60, 0
	s_waitcnt vmcnt(0)
	v_and_b32_e32 v3, 0xffff, v4
	v_cmp_ne_u16_sdwa s[4:5], v4, v49 src0_sel:BYTE_0 src1_sel:DWORD
	s_and_saveexec_b64 s[16:17], s[4:5]
	s_cbranch_execz .LBB211_183
; %bb.178:                              ;   in Loop: Header=BB211_9 Depth=1
	v_bfrev_b32_e32 v59, 1
	v_mov_b32_e32 v60, 0
	v_cmp_ne_u16_sdwa s[4:5], v3, s42 src0_sel:BYTE_0 src1_sel:DWORD
	s_and_saveexec_b64 s[34:35], s[4:5]
	s_cbranch_execz .LBB211_182
; %bb.179:                              ;   in Loop: Header=BB211_9 Depth=1
	v_and_b32_e32 v4, 0x7f, v3
	v_mov_b32_e32 v59, 0x7f800001
	v_mov_b32_e32 v60, 0
	v_cmp_ne_u32_e64 s[4:5], s43, v4
	s_and_saveexec_b64 s[36:37], s[4:5]
	s_cbranch_execz .LBB211_181
; %bb.180:                              ;   in Loop: Header=BB211_9 Depth=1
	v_and_b32_e32 v6, 7, v3
	v_lshrrev_b32_e32 v7, 3, v4
	v_cmp_gt_u32_e64 s[4:5], 8, v4
	v_ffbh_u32_e32 v4, v6
	v_min_u32_e32 v8, 32, v4
	v_subrev_u32_e32 v4, 28, v8
	v_lshlrev_b64 v[4:5], v4, v[3:4]
	v_sub_u32_e32 v5, 29, v8
	v_and_b32_e32 v4, 7, v4
	v_cndmask_b32_e64 v5, v7, v5, s[4:5]
	v_cndmask_b32_e64 v4, v6, v4, s[4:5]
	v_bfrev_b32_e32 v0, 60
	v_lshlrev_b32_e32 v4, 20, v4
	v_and_b32_sdwa v6, sext(v3), s44 dst_sel:DWORD dst_unused:UNUSED_PAD src0_sel:BYTE_0 src1_sel:DWORD
	v_lshl_add_u32 v5, v5, 23, v0
	v_or3_b32 v59, v6, v5, v4
	v_mov_b32_e32 v60, v49
.LBB211_181:                            ;   in Loop: Header=BB211_9 Depth=1
	s_or_b64 exec, exec, s[36:37]
.LBB211_182:                            ;   in Loop: Header=BB211_9 Depth=1
	s_or_b64 exec, exec, s[34:35]
.LBB211_183:                            ;   in Loop: Header=BB211_9 Depth=1
	s_or_b64 exec, exec, s[16:17]
	v_cmp_ne_u16_sdwa s[4:5], v3, v49 src0_sel:BYTE_1 src1_sel:DWORD
	s_and_saveexec_b64 s[16:17], s[4:5]
	s_cbranch_execz .LBB211_189
; %bb.184:                              ;   in Loop: Header=BB211_9 Depth=1
	v_mov_b32_e32 v62, v50
	v_cmp_ne_u16_sdwa s[4:5], v3, s42 src0_sel:BYTE_1 src1_sel:DWORD
	v_mov_b32_e32 v61, v49
	s_and_saveexec_b64 s[34:35], s[4:5]
	s_cbranch_execz .LBB211_188
; %bb.185:                              ;   in Loop: Header=BB211_9 Depth=1
	v_and_b32_sdwa v4, v3, s43 dst_sel:DWORD dst_unused:UNUSED_PAD src0_sel:BYTE_1 src1_sel:DWORD
	v_mov_b32_e32 v31, v49
	v_mov_b32_e32 v62, v32
	v_cmp_ne_u32_e64 s[4:5], s43, v4
	v_mov_b32_e32 v61, v31
	s_and_saveexec_b64 s[36:37], s[4:5]
	s_cbranch_execz .LBB211_187
; %bb.186:                              ;   in Loop: Header=BB211_9 Depth=1
	v_mov_b32_e32 v0, 7
	v_and_b32_sdwa v5, v3, v0 dst_sel:DWORD dst_unused:UNUSED_PAD src0_sel:BYTE_1 src1_sel:DWORD
	v_lshrrev_b32_e32 v8, 3, v4
	v_cmp_gt_u32_e64 s[4:5], 8, v4
	v_ffbh_u32_e32 v4, v5
	v_min_u32_e32 v4, 32, v4
	v_mov_b32_e32 v6, v49
	v_subrev_u32_e32 v7, 28, v4
	v_lshlrev_b64 v[6:7], v7, v[5:6]
	v_sub_u32_e32 v4, 29, v4
	v_and_b32_e32 v6, 7, v6
	v_cndmask_b32_e64 v4, v8, v4, s[4:5]
	v_bfrev_b32_e32 v0, 60
	v_cndmask_b32_e64 v5, v5, v6, s[4:5]
	v_lshlrev_b32_e32 v3, 16, v3
	v_lshl_add_u32 v4, v4, 23, v0
	v_and_or_b32 v3, v3, s44, v4
	v_lshlrev_b32_e32 v4, 20, v5
	v_or_b32_e32 v62, v3, v4
	v_mov_b32_e32 v61, v49
.LBB211_187:                            ;   in Loop: Header=BB211_9 Depth=1
	s_or_b64 exec, exec, s[36:37]
.LBB211_188:                            ;   in Loop: Header=BB211_9 Depth=1
	s_or_b64 exec, exec, s[34:35]
.LBB211_189:                            ;   in Loop: Header=BB211_9 Depth=1
	s_or_b64 exec, exec, s[16:17]
	global_load_ushort v3, v[1:2], off offset:1548
	v_mov_b32_e32 v51, 0
	v_mov_b32_e32 v52, 0
	s_waitcnt vmcnt(0)
	v_and_b32_e32 v5, 0xffff, v3
	v_cmp_ne_u16_sdwa s[4:5], v3, v49 src0_sel:BYTE_0 src1_sel:DWORD
	v_mov_b32_e32 v3, 0
	v_mov_b32_e32 v4, 0
	s_and_saveexec_b64 s[16:17], s[4:5]
	s_cbranch_execz .LBB211_195
; %bb.190:                              ;   in Loop: Header=BB211_9 Depth=1
	v_bfrev_b32_e32 v51, 1
	v_mov_b32_e32 v52, 0
	v_cmp_ne_u16_sdwa s[4:5], v5, s42 src0_sel:BYTE_0 src1_sel:DWORD
	s_and_saveexec_b64 s[34:35], s[4:5]
	s_cbranch_execz .LBB211_194
; %bb.191:                              ;   in Loop: Header=BB211_9 Depth=1
	v_and_b32_e32 v6, 0x7f, v5
	v_mov_b32_e32 v51, 0x7f800001
	v_mov_b32_e32 v52, 0
	v_cmp_ne_u32_e64 s[4:5], s43, v6
	s_and_saveexec_b64 s[36:37], s[4:5]
	s_cbranch_execz .LBB211_193
; %bb.192:                              ;   in Loop: Header=BB211_9 Depth=1
	v_and_b32_e32 v8, 7, v5
	v_lshrrev_b32_e32 v9, 3, v6
	v_cmp_gt_u32_e64 s[4:5], 8, v6
	v_ffbh_u32_e32 v6, v8
	v_min_u32_e32 v10, 32, v6
	v_subrev_u32_e32 v6, 28, v10
	v_lshlrev_b64 v[6:7], v6, v[5:6]
	v_sub_u32_e32 v7, 29, v10
	v_and_b32_e32 v6, 7, v6
	v_cndmask_b32_e64 v7, v9, v7, s[4:5]
	v_cndmask_b32_e64 v6, v8, v6, s[4:5]
	v_bfrev_b32_e32 v0, 60
	v_lshlrev_b32_e32 v6, 20, v6
	v_and_b32_sdwa v8, sext(v5), s44 dst_sel:DWORD dst_unused:UNUSED_PAD src0_sel:BYTE_0 src1_sel:DWORD
	v_lshl_add_u32 v7, v7, 23, v0
	v_or3_b32 v51, v8, v7, v6
	v_mov_b32_e32 v52, v49
.LBB211_193:                            ;   in Loop: Header=BB211_9 Depth=1
	s_or_b64 exec, exec, s[36:37]
.LBB211_194:                            ;   in Loop: Header=BB211_9 Depth=1
	s_or_b64 exec, exec, s[34:35]
.LBB211_195:                            ;   in Loop: Header=BB211_9 Depth=1
	s_or_b64 exec, exec, s[16:17]
	v_cmp_ne_u16_sdwa s[4:5], v5, v49 src0_sel:BYTE_1 src1_sel:DWORD
	s_and_saveexec_b64 s[16:17], s[4:5]
	s_cbranch_execz .LBB211_201
; %bb.196:                              ;   in Loop: Header=BB211_9 Depth=1
	v_mov_b32_e32 v3, v49
	v_cmp_ne_u16_sdwa s[4:5], v5, s42 src0_sel:BYTE_1 src1_sel:DWORD
	v_mov_b32_e32 v4, v50
	s_and_saveexec_b64 s[34:35], s[4:5]
	s_cbranch_execz .LBB211_200
; %bb.197:                              ;   in Loop: Header=BB211_9 Depth=1
	v_mov_b32_e32 v31, v49
	v_and_b32_sdwa v6, v5, s43 dst_sel:DWORD dst_unused:UNUSED_PAD src0_sel:BYTE_1 src1_sel:DWORD
	v_mov_b32_e32 v3, v31
	v_cmp_ne_u32_e64 s[4:5], s43, v6
	v_mov_b32_e32 v4, v32
	s_and_saveexec_b64 s[36:37], s[4:5]
	s_cbranch_execz .LBB211_199
; %bb.198:                              ;   in Loop: Header=BB211_9 Depth=1
	v_mov_b32_e32 v0, 7
	v_and_b32_sdwa v3, v5, v0 dst_sel:DWORD dst_unused:UNUSED_PAD src0_sel:BYTE_1 src1_sel:DWORD
	v_lshrrev_b32_e32 v8, 3, v6
	v_cmp_gt_u32_e64 s[4:5], 8, v6
	v_ffbh_u32_e32 v6, v3
	v_min_u32_e32 v9, 32, v6
	v_mov_b32_e32 v4, v49
	v_subrev_u32_e32 v6, 28, v9
	v_lshlrev_b64 v[6:7], v6, v[3:4]
	v_sub_u32_e32 v4, 29, v9
	v_and_b32_e32 v6, 7, v6
	v_cndmask_b32_e64 v4, v8, v4, s[4:5]
	v_bfrev_b32_e32 v0, 60
	v_cndmask_b32_e64 v3, v3, v6, s[4:5]
	v_lshlrev_b32_e32 v5, 16, v5
	v_lshl_add_u32 v4, v4, 23, v0
	v_and_or_b32 v4, v5, s44, v4
	v_lshlrev_b32_e32 v3, 20, v3
	v_or_b32_e32 v4, v4, v3
	v_mov_b32_e32 v3, v49
.LBB211_199:                            ;   in Loop: Header=BB211_9 Depth=1
	s_or_b64 exec, exec, s[36:37]
.LBB211_200:                            ;   in Loop: Header=BB211_9 Depth=1
	s_or_b64 exec, exec, s[34:35]
.LBB211_201:                            ;   in Loop: Header=BB211_9 Depth=1
	s_or_b64 exec, exec, s[16:17]
	global_load_ushort v5, v[1:2], off offset:2048
	v_mov_b32_e32 v7, 0
	v_mov_b32_e32 v8, 0
	s_waitcnt vmcnt(0)
	v_and_b32_e32 v9, 0xffff, v5
	v_cmp_ne_u16_sdwa s[4:5], v5, v49 src0_sel:BYTE_0 src1_sel:DWORD
	v_mov_b32_e32 v5, 0
	v_mov_b32_e32 v6, 0
	s_and_saveexec_b64 s[16:17], s[4:5]
	s_cbranch_execz .LBB211_207
; %bb.202:                              ;   in Loop: Header=BB211_9 Depth=1
	v_bfrev_b32_e32 v5, 1
	v_mov_b32_e32 v6, 0
	v_cmp_ne_u16_sdwa s[4:5], v9, s42 src0_sel:BYTE_0 src1_sel:DWORD
	s_and_saveexec_b64 s[34:35], s[4:5]
	s_cbranch_execz .LBB211_206
; %bb.203:                              ;   in Loop: Header=BB211_9 Depth=1
	v_and_b32_e32 v10, 0x7f, v9
	v_mov_b32_e32 v5, 0x7f800001
	v_mov_b32_e32 v6, 0
	v_cmp_ne_u32_e64 s[4:5], s43, v10
	s_and_saveexec_b64 s[36:37], s[4:5]
	s_cbranch_execz .LBB211_205
; %bb.204:                              ;   in Loop: Header=BB211_9 Depth=1
	v_and_b32_e32 v11, 7, v9
	v_ffbh_u32_e32 v5, v11
	v_lshrrev_b32_e32 v12, 3, v10
	v_cmp_gt_u32_e64 s[4:5], 8, v10
	v_min_u32_e32 v10, 32, v5
	v_subrev_u32_e32 v5, 28, v10
	v_lshlrev_b64 v[5:6], v5, v[9:10]
	v_sub_u32_e32 v6, 29, v10
	v_and_b32_e32 v5, 7, v5
	v_cndmask_b32_e64 v6, v12, v6, s[4:5]
	v_cndmask_b32_e64 v5, v11, v5, s[4:5]
	v_bfrev_b32_e32 v0, 60
	v_lshlrev_b32_e32 v5, 20, v5
	v_and_b32_sdwa v10, sext(v9), s44 dst_sel:DWORD dst_unused:UNUSED_PAD src0_sel:BYTE_0 src1_sel:DWORD
	v_lshl_add_u32 v6, v6, 23, v0
	v_or3_b32 v5, v10, v6, v5
	v_mov_b32_e32 v6, v49
.LBB211_205:                            ;   in Loop: Header=BB211_9 Depth=1
	s_or_b64 exec, exec, s[36:37]
.LBB211_206:                            ;   in Loop: Header=BB211_9 Depth=1
	s_or_b64 exec, exec, s[34:35]
.LBB211_207:                            ;   in Loop: Header=BB211_9 Depth=1
	s_or_b64 exec, exec, s[16:17]
	v_cmp_ne_u16_sdwa s[4:5], v9, v49 src0_sel:BYTE_1 src1_sel:DWORD
	s_and_saveexec_b64 s[16:17], s[4:5]
	s_cbranch_execz .LBB211_213
; %bb.208:                              ;   in Loop: Header=BB211_9 Depth=1
	v_mov_b32_e32 v7, v49
	v_cmp_ne_u16_sdwa s[4:5], v9, s42 src0_sel:BYTE_1 src1_sel:DWORD
	v_mov_b32_e32 v8, v50
	s_and_saveexec_b64 s[34:35], s[4:5]
	s_cbranch_execz .LBB211_212
; %bb.209:                              ;   in Loop: Header=BB211_9 Depth=1
	v_mov_b32_e32 v31, v49
	v_and_b32_sdwa v10, v9, s43 dst_sel:DWORD dst_unused:UNUSED_PAD src0_sel:BYTE_1 src1_sel:DWORD
	v_mov_b32_e32 v7, v31
	v_cmp_ne_u32_e64 s[4:5], s43, v10
	v_mov_b32_e32 v8, v32
	s_and_saveexec_b64 s[36:37], s[4:5]
	s_cbranch_execz .LBB211_211
; %bb.210:                              ;   in Loop: Header=BB211_9 Depth=1
	v_mov_b32_e32 v0, 7
	v_and_b32_sdwa v7, v9, v0 dst_sel:DWORD dst_unused:UNUSED_PAD src0_sel:BYTE_1 src1_sel:DWORD
	v_lshrrev_b32_e32 v12, 3, v10
	v_cmp_gt_u32_e64 s[4:5], 8, v10
	v_ffbh_u32_e32 v10, v7
	v_min_u32_e32 v13, 32, v10
	v_mov_b32_e32 v8, v49
	v_subrev_u32_e32 v10, 28, v13
	v_lshlrev_b64 v[10:11], v10, v[7:8]
	v_sub_u32_e32 v8, 29, v13
	v_and_b32_e32 v10, 7, v10
	v_cndmask_b32_e64 v8, v12, v8, s[4:5]
	v_bfrev_b32_e32 v0, 60
	v_cndmask_b32_e64 v7, v7, v10, s[4:5]
	v_lshlrev_b32_e32 v9, 16, v9
	v_lshl_add_u32 v8, v8, 23, v0
	v_and_or_b32 v8, v9, s44, v8
	v_lshlrev_b32_e32 v7, 20, v7
	v_or_b32_e32 v8, v8, v7
	v_mov_b32_e32 v7, v49
.LBB211_211:                            ;   in Loop: Header=BB211_9 Depth=1
	s_or_b64 exec, exec, s[36:37]
.LBB211_212:                            ;   in Loop: Header=BB211_9 Depth=1
	s_or_b64 exec, exec, s[34:35]
.LBB211_213:                            ;   in Loop: Header=BB211_9 Depth=1
	s_or_b64 exec, exec, s[16:17]
	global_load_ushort v9, v[1:2], off offset:2052
	v_mov_b32_e32 v11, 0
	v_mov_b32_e32 v12, 0
	s_waitcnt vmcnt(0)
	v_and_b32_e32 v13, 0xffff, v9
	v_cmp_ne_u16_sdwa s[4:5], v9, v49 src0_sel:BYTE_0 src1_sel:DWORD
	v_mov_b32_e32 v9, 0
	v_mov_b32_e32 v10, 0
	s_and_saveexec_b64 s[16:17], s[4:5]
	s_cbranch_execz .LBB211_219
; %bb.214:                              ;   in Loop: Header=BB211_9 Depth=1
	v_bfrev_b32_e32 v9, 1
	v_mov_b32_e32 v10, 0
	v_cmp_ne_u16_sdwa s[4:5], v13, s42 src0_sel:BYTE_0 src1_sel:DWORD
	s_and_saveexec_b64 s[34:35], s[4:5]
	s_cbranch_execz .LBB211_218
; %bb.215:                              ;   in Loop: Header=BB211_9 Depth=1
	v_and_b32_e32 v14, 0x7f, v13
	v_mov_b32_e32 v9, 0x7f800001
	v_mov_b32_e32 v10, 0
	v_cmp_ne_u32_e64 s[4:5], s43, v14
	s_and_saveexec_b64 s[36:37], s[4:5]
	s_cbranch_execz .LBB211_217
; %bb.216:                              ;   in Loop: Header=BB211_9 Depth=1
	v_and_b32_e32 v15, 7, v13
	v_ffbh_u32_e32 v9, v15
	v_lshrrev_b32_e32 v16, 3, v14
	v_cmp_gt_u32_e64 s[4:5], 8, v14
	v_min_u32_e32 v14, 32, v9
	v_subrev_u32_e32 v9, 28, v14
	v_lshlrev_b64 v[9:10], v9, v[13:14]
	v_sub_u32_e32 v10, 29, v14
	v_and_b32_e32 v9, 7, v9
	v_cndmask_b32_e64 v10, v16, v10, s[4:5]
	v_cndmask_b32_e64 v9, v15, v9, s[4:5]
	v_bfrev_b32_e32 v0, 60
	v_lshlrev_b32_e32 v9, 20, v9
	v_and_b32_sdwa v14, sext(v13), s44 dst_sel:DWORD dst_unused:UNUSED_PAD src0_sel:BYTE_0 src1_sel:DWORD
	v_lshl_add_u32 v10, v10, 23, v0
	v_or3_b32 v9, v14, v10, v9
	v_mov_b32_e32 v10, v49
.LBB211_217:                            ;   in Loop: Header=BB211_9 Depth=1
	s_or_b64 exec, exec, s[36:37]
.LBB211_218:                            ;   in Loop: Header=BB211_9 Depth=1
	s_or_b64 exec, exec, s[34:35]
.LBB211_219:                            ;   in Loop: Header=BB211_9 Depth=1
	s_or_b64 exec, exec, s[16:17]
	v_cmp_ne_u16_sdwa s[4:5], v13, v49 src0_sel:BYTE_1 src1_sel:DWORD
	s_and_saveexec_b64 s[16:17], s[4:5]
	s_cbranch_execz .LBB211_225
; %bb.220:                              ;   in Loop: Header=BB211_9 Depth=1
	v_mov_b32_e32 v11, v49
	v_cmp_ne_u16_sdwa s[4:5], v13, s42 src0_sel:BYTE_1 src1_sel:DWORD
	v_mov_b32_e32 v12, v50
	s_and_saveexec_b64 s[34:35], s[4:5]
	s_cbranch_execz .LBB211_224
; %bb.221:                              ;   in Loop: Header=BB211_9 Depth=1
	v_mov_b32_e32 v31, v49
	v_and_b32_sdwa v14, v13, s43 dst_sel:DWORD dst_unused:UNUSED_PAD src0_sel:BYTE_1 src1_sel:DWORD
	v_mov_b32_e32 v11, v31
	v_cmp_ne_u32_e64 s[4:5], s43, v14
	v_mov_b32_e32 v12, v32
	s_and_saveexec_b64 s[36:37], s[4:5]
	s_cbranch_execz .LBB211_223
; %bb.222:                              ;   in Loop: Header=BB211_9 Depth=1
	v_mov_b32_e32 v0, 7
	v_and_b32_sdwa v11, v13, v0 dst_sel:DWORD dst_unused:UNUSED_PAD src0_sel:BYTE_1 src1_sel:DWORD
	v_lshrrev_b32_e32 v16, 3, v14
	v_cmp_gt_u32_e64 s[4:5], 8, v14
	v_ffbh_u32_e32 v14, v11
	v_min_u32_e32 v17, 32, v14
	v_mov_b32_e32 v12, v49
	v_subrev_u32_e32 v14, 28, v17
	v_lshlrev_b64 v[14:15], v14, v[11:12]
	v_sub_u32_e32 v12, 29, v17
	v_and_b32_e32 v14, 7, v14
	v_cndmask_b32_e64 v12, v16, v12, s[4:5]
	v_bfrev_b32_e32 v0, 60
	v_cndmask_b32_e64 v11, v11, v14, s[4:5]
	v_lshlrev_b32_e32 v13, 16, v13
	v_lshl_add_u32 v12, v12, 23, v0
	v_and_or_b32 v12, v13, s44, v12
	v_lshlrev_b32_e32 v11, 20, v11
	v_or_b32_e32 v12, v12, v11
	v_mov_b32_e32 v11, v49
.LBB211_223:                            ;   in Loop: Header=BB211_9 Depth=1
	s_or_b64 exec, exec, s[36:37]
.LBB211_224:                            ;   in Loop: Header=BB211_9 Depth=1
	s_or_b64 exec, exec, s[34:35]
.LBB211_225:                            ;   in Loop: Header=BB211_9 Depth=1
	s_or_b64 exec, exec, s[16:17]
	global_load_ushort v13, v[1:2], off offset:2056
	v_mov_b32_e32 v55, 0
	v_mov_b32_e32 v56, 0
	s_waitcnt vmcnt(0)
	v_and_b32_e32 v15, 0xffff, v13
	v_cmp_ne_u16_sdwa s[4:5], v13, v49 src0_sel:BYTE_0 src1_sel:DWORD
	v_mov_b32_e32 v13, 0
	v_mov_b32_e32 v14, 0
	s_and_saveexec_b64 s[16:17], s[4:5]
	s_cbranch_execz .LBB211_231
; %bb.226:                              ;   in Loop: Header=BB211_9 Depth=1
	v_bfrev_b32_e32 v13, 1
	v_mov_b32_e32 v14, 0
	v_cmp_ne_u16_sdwa s[4:5], v15, s42 src0_sel:BYTE_0 src1_sel:DWORD
	s_and_saveexec_b64 s[34:35], s[4:5]
	s_cbranch_execz .LBB211_230
; %bb.227:                              ;   in Loop: Header=BB211_9 Depth=1
	v_and_b32_e32 v16, 0x7f, v15
	v_mov_b32_e32 v13, 0x7f800001
	v_mov_b32_e32 v14, 0
	v_cmp_ne_u32_e64 s[4:5], s43, v16
	s_and_saveexec_b64 s[36:37], s[4:5]
	s_cbranch_execz .LBB211_229
; %bb.228:                              ;   in Loop: Header=BB211_9 Depth=1
	v_and_b32_e32 v17, 7, v15
	v_ffbh_u32_e32 v13, v17
	v_lshrrev_b32_e32 v18, 3, v16
	v_cmp_gt_u32_e64 s[4:5], 8, v16
	v_min_u32_e32 v16, 32, v13
	v_subrev_u32_e32 v13, 28, v16
	v_lshlrev_b64 v[13:14], v13, v[15:16]
	v_sub_u32_e32 v14, 29, v16
	v_and_b32_e32 v13, 7, v13
	v_cndmask_b32_e64 v14, v18, v14, s[4:5]
	v_cndmask_b32_e64 v13, v17, v13, s[4:5]
	v_bfrev_b32_e32 v0, 60
	v_lshlrev_b32_e32 v13, 20, v13
	v_and_b32_sdwa v16, sext(v15), s44 dst_sel:DWORD dst_unused:UNUSED_PAD src0_sel:BYTE_0 src1_sel:DWORD
	v_lshl_add_u32 v14, v14, 23, v0
	v_or3_b32 v13, v16, v14, v13
	v_mov_b32_e32 v14, v49
.LBB211_229:                            ;   in Loop: Header=BB211_9 Depth=1
	s_or_b64 exec, exec, s[36:37]
.LBB211_230:                            ;   in Loop: Header=BB211_9 Depth=1
	s_or_b64 exec, exec, s[34:35]
.LBB211_231:                            ;   in Loop: Header=BB211_9 Depth=1
	s_or_b64 exec, exec, s[16:17]
	v_cmp_ne_u16_sdwa s[4:5], v15, v49 src0_sel:BYTE_1 src1_sel:DWORD
	s_and_saveexec_b64 s[16:17], s[4:5]
	s_cbranch_execz .LBB211_237
; %bb.232:                              ;   in Loop: Header=BB211_9 Depth=1
	v_mov_b32_e32 v56, v50
	v_cmp_ne_u16_sdwa s[4:5], v15, s42 src0_sel:BYTE_1 src1_sel:DWORD
	v_mov_b32_e32 v55, v49
	s_and_saveexec_b64 s[34:35], s[4:5]
	s_cbranch_execz .LBB211_236
; %bb.233:                              ;   in Loop: Header=BB211_9 Depth=1
	v_and_b32_sdwa v16, v15, s43 dst_sel:DWORD dst_unused:UNUSED_PAD src0_sel:BYTE_1 src1_sel:DWORD
	v_mov_b32_e32 v31, v49
	v_mov_b32_e32 v56, v32
	v_cmp_ne_u32_e64 s[4:5], s43, v16
	v_mov_b32_e32 v55, v31
	s_and_saveexec_b64 s[36:37], s[4:5]
	s_cbranch_execz .LBB211_235
; %bb.234:                              ;   in Loop: Header=BB211_9 Depth=1
	v_mov_b32_e32 v0, 7
	v_and_b32_sdwa v17, v15, v0 dst_sel:DWORD dst_unused:UNUSED_PAD src0_sel:BYTE_1 src1_sel:DWORD
	v_lshrrev_b32_e32 v20, 3, v16
	v_cmp_gt_u32_e64 s[4:5], 8, v16
	v_ffbh_u32_e32 v16, v17
	v_min_u32_e32 v16, 32, v16
	v_mov_b32_e32 v18, v49
	v_subrev_u32_e32 v19, 28, v16
	v_lshlrev_b64 v[18:19], v19, v[17:18]
	v_sub_u32_e32 v16, 29, v16
	v_and_b32_e32 v18, 7, v18
	v_cndmask_b32_e64 v16, v20, v16, s[4:5]
	v_bfrev_b32_e32 v0, 60
	v_cndmask_b32_e64 v17, v17, v18, s[4:5]
	v_lshlrev_b32_e32 v15, 16, v15
	v_lshl_add_u32 v16, v16, 23, v0
	v_and_or_b32 v15, v15, s44, v16
	v_lshlrev_b32_e32 v16, 20, v17
	v_or_b32_e32 v56, v15, v16
	v_mov_b32_e32 v55, v49
.LBB211_235:                            ;   in Loop: Header=BB211_9 Depth=1
	s_or_b64 exec, exec, s[36:37]
.LBB211_236:                            ;   in Loop: Header=BB211_9 Depth=1
	s_or_b64 exec, exec, s[34:35]
.LBB211_237:                            ;   in Loop: Header=BB211_9 Depth=1
	s_or_b64 exec, exec, s[16:17]
	global_load_ushort v15, v[1:2], off offset:2060
	v_mov_b32_e32 v17, 0
	v_mov_b32_e32 v18, 0
	s_waitcnt vmcnt(0)
	v_and_b32_e32 v19, 0xffff, v15
	v_cmp_ne_u16_sdwa s[4:5], v15, v49 src0_sel:BYTE_0 src1_sel:DWORD
	v_mov_b32_e32 v15, 0
	v_mov_b32_e32 v16, 0
	s_and_saveexec_b64 s[16:17], s[4:5]
	s_cbranch_execz .LBB211_243
; %bb.238:                              ;   in Loop: Header=BB211_9 Depth=1
	v_bfrev_b32_e32 v15, 1
	v_mov_b32_e32 v16, 0
	v_cmp_ne_u16_sdwa s[4:5], v19, s42 src0_sel:BYTE_0 src1_sel:DWORD
	s_and_saveexec_b64 s[34:35], s[4:5]
	s_cbranch_execz .LBB211_242
; %bb.239:                              ;   in Loop: Header=BB211_9 Depth=1
	v_and_b32_e32 v20, 0x7f, v19
	v_mov_b32_e32 v15, 0x7f800001
	v_mov_b32_e32 v16, 0
	v_cmp_ne_u32_e64 s[4:5], s43, v20
	s_and_saveexec_b64 s[36:37], s[4:5]
	s_cbranch_execz .LBB211_241
; %bb.240:                              ;   in Loop: Header=BB211_9 Depth=1
	v_and_b32_e32 v21, 7, v19
	v_ffbh_u32_e32 v15, v21
	v_lshrrev_b32_e32 v22, 3, v20
	v_cmp_gt_u32_e64 s[4:5], 8, v20
	v_min_u32_e32 v20, 32, v15
	v_subrev_u32_e32 v15, 28, v20
	v_lshlrev_b64 v[15:16], v15, v[19:20]
	v_sub_u32_e32 v16, 29, v20
	v_and_b32_e32 v15, 7, v15
	v_cndmask_b32_e64 v16, v22, v16, s[4:5]
	v_cndmask_b32_e64 v15, v21, v15, s[4:5]
	v_bfrev_b32_e32 v0, 60
	v_lshlrev_b32_e32 v15, 20, v15
	v_and_b32_sdwa v20, sext(v19), s44 dst_sel:DWORD dst_unused:UNUSED_PAD src0_sel:BYTE_0 src1_sel:DWORD
	v_lshl_add_u32 v16, v16, 23, v0
	v_or3_b32 v15, v20, v16, v15
	v_mov_b32_e32 v16, v49
.LBB211_241:                            ;   in Loop: Header=BB211_9 Depth=1
	s_or_b64 exec, exec, s[36:37]
.LBB211_242:                            ;   in Loop: Header=BB211_9 Depth=1
	s_or_b64 exec, exec, s[34:35]
.LBB211_243:                            ;   in Loop: Header=BB211_9 Depth=1
	s_or_b64 exec, exec, s[16:17]
	v_cmp_ne_u16_sdwa s[4:5], v19, v49 src0_sel:BYTE_1 src1_sel:DWORD
	s_and_saveexec_b64 s[16:17], s[4:5]
	s_cbranch_execz .LBB211_249
; %bb.244:                              ;   in Loop: Header=BB211_9 Depth=1
	v_mov_b32_e32 v17, v49
	v_cmp_ne_u16_sdwa s[4:5], v19, s42 src0_sel:BYTE_1 src1_sel:DWORD
	v_mov_b32_e32 v18, v50
	s_and_saveexec_b64 s[34:35], s[4:5]
	s_cbranch_execz .LBB211_248
; %bb.245:                              ;   in Loop: Header=BB211_9 Depth=1
	v_mov_b32_e32 v31, v49
	v_and_b32_sdwa v20, v19, s43 dst_sel:DWORD dst_unused:UNUSED_PAD src0_sel:BYTE_1 src1_sel:DWORD
	v_mov_b32_e32 v17, v31
	v_cmp_ne_u32_e64 s[4:5], s43, v20
	v_mov_b32_e32 v18, v32
	s_and_saveexec_b64 s[36:37], s[4:5]
	s_cbranch_execz .LBB211_247
; %bb.246:                              ;   in Loop: Header=BB211_9 Depth=1
	v_mov_b32_e32 v0, 7
	v_and_b32_sdwa v17, v19, v0 dst_sel:DWORD dst_unused:UNUSED_PAD src0_sel:BYTE_1 src1_sel:DWORD
	v_lshrrev_b32_e32 v22, 3, v20
	v_cmp_gt_u32_e64 s[4:5], 8, v20
	v_ffbh_u32_e32 v20, v17
	v_min_u32_e32 v23, 32, v20
	v_mov_b32_e32 v18, v49
	v_subrev_u32_e32 v20, 28, v23
	v_lshlrev_b64 v[20:21], v20, v[17:18]
	v_sub_u32_e32 v18, 29, v23
	v_and_b32_e32 v20, 7, v20
	v_cndmask_b32_e64 v18, v22, v18, s[4:5]
	v_bfrev_b32_e32 v0, 60
	v_cndmask_b32_e64 v17, v17, v20, s[4:5]
	v_lshlrev_b32_e32 v19, 16, v19
	v_lshl_add_u32 v18, v18, 23, v0
	v_and_or_b32 v18, v19, s44, v18
	v_lshlrev_b32_e32 v17, 20, v17
	v_or_b32_e32 v18, v18, v17
	v_mov_b32_e32 v17, v49
.LBB211_247:                            ;   in Loop: Header=BB211_9 Depth=1
	s_or_b64 exec, exec, s[36:37]
.LBB211_248:                            ;   in Loop: Header=BB211_9 Depth=1
	s_or_b64 exec, exec, s[34:35]
.LBB211_249:                            ;   in Loop: Header=BB211_9 Depth=1
	s_or_b64 exec, exec, s[16:17]
	global_load_ushort v19, v[1:2], off offset:2560
	v_mov_b32_e32 v21, 0
	v_mov_b32_e32 v22, 0
	s_waitcnt vmcnt(0)
	v_and_b32_e32 v23, 0xffff, v19
	v_cmp_ne_u16_sdwa s[4:5], v19, v49 src0_sel:BYTE_0 src1_sel:DWORD
	v_mov_b32_e32 v19, 0
	v_mov_b32_e32 v20, 0
	s_and_saveexec_b64 s[16:17], s[4:5]
	s_cbranch_execz .LBB211_255
; %bb.250:                              ;   in Loop: Header=BB211_9 Depth=1
	v_bfrev_b32_e32 v19, 1
	v_mov_b32_e32 v20, 0
	v_cmp_ne_u16_sdwa s[4:5], v23, s42 src0_sel:BYTE_0 src1_sel:DWORD
	s_and_saveexec_b64 s[34:35], s[4:5]
	s_cbranch_execz .LBB211_254
; %bb.251:                              ;   in Loop: Header=BB211_9 Depth=1
	v_and_b32_e32 v24, 0x7f, v23
	v_mov_b32_e32 v19, 0x7f800001
	v_mov_b32_e32 v20, 0
	v_cmp_ne_u32_e64 s[4:5], s43, v24
	s_and_saveexec_b64 s[36:37], s[4:5]
	s_cbranch_execz .LBB211_253
; %bb.252:                              ;   in Loop: Header=BB211_9 Depth=1
	v_and_b32_e32 v25, 7, v23
	v_ffbh_u32_e32 v19, v25
	v_lshrrev_b32_e32 v26, 3, v24
	v_cmp_gt_u32_e64 s[4:5], 8, v24
	v_min_u32_e32 v24, 32, v19
	v_subrev_u32_e32 v19, 28, v24
	v_lshlrev_b64 v[19:20], v19, v[23:24]
	v_sub_u32_e32 v20, 29, v24
	v_and_b32_e32 v19, 7, v19
	v_cndmask_b32_e64 v20, v26, v20, s[4:5]
	v_cndmask_b32_e64 v19, v25, v19, s[4:5]
	v_bfrev_b32_e32 v0, 60
	v_lshlrev_b32_e32 v19, 20, v19
	v_and_b32_sdwa v24, sext(v23), s44 dst_sel:DWORD dst_unused:UNUSED_PAD src0_sel:BYTE_0 src1_sel:DWORD
	v_lshl_add_u32 v20, v20, 23, v0
	v_or3_b32 v19, v24, v20, v19
	v_mov_b32_e32 v20, v49
.LBB211_253:                            ;   in Loop: Header=BB211_9 Depth=1
	s_or_b64 exec, exec, s[36:37]
.LBB211_254:                            ;   in Loop: Header=BB211_9 Depth=1
	s_or_b64 exec, exec, s[34:35]
.LBB211_255:                            ;   in Loop: Header=BB211_9 Depth=1
	s_or_b64 exec, exec, s[16:17]
	v_cmp_ne_u16_sdwa s[4:5], v23, v49 src0_sel:BYTE_1 src1_sel:DWORD
	s_and_saveexec_b64 s[16:17], s[4:5]
	s_cbranch_execz .LBB211_261
; %bb.256:                              ;   in Loop: Header=BB211_9 Depth=1
	v_mov_b32_e32 v21, v49
	v_cmp_ne_u16_sdwa s[4:5], v23, s42 src0_sel:BYTE_1 src1_sel:DWORD
	v_mov_b32_e32 v22, v50
	s_and_saveexec_b64 s[34:35], s[4:5]
	s_cbranch_execz .LBB211_260
; %bb.257:                              ;   in Loop: Header=BB211_9 Depth=1
	v_mov_b32_e32 v31, v49
	v_and_b32_sdwa v24, v23, s43 dst_sel:DWORD dst_unused:UNUSED_PAD src0_sel:BYTE_1 src1_sel:DWORD
	v_mov_b32_e32 v21, v31
	v_cmp_ne_u32_e64 s[4:5], s43, v24
	v_mov_b32_e32 v22, v32
	s_and_saveexec_b64 s[36:37], s[4:5]
	s_cbranch_execz .LBB211_259
; %bb.258:                              ;   in Loop: Header=BB211_9 Depth=1
	v_mov_b32_e32 v0, 7
	v_and_b32_sdwa v21, v23, v0 dst_sel:DWORD dst_unused:UNUSED_PAD src0_sel:BYTE_1 src1_sel:DWORD
	v_lshrrev_b32_e32 v26, 3, v24
	v_cmp_gt_u32_e64 s[4:5], 8, v24
	v_ffbh_u32_e32 v24, v21
	v_min_u32_e32 v27, 32, v24
	v_mov_b32_e32 v22, v49
	v_subrev_u32_e32 v24, 28, v27
	v_lshlrev_b64 v[24:25], v24, v[21:22]
	v_sub_u32_e32 v22, 29, v27
	v_and_b32_e32 v24, 7, v24
	v_cndmask_b32_e64 v22, v26, v22, s[4:5]
	v_bfrev_b32_e32 v0, 60
	v_cndmask_b32_e64 v21, v21, v24, s[4:5]
	v_lshlrev_b32_e32 v23, 16, v23
	v_lshl_add_u32 v22, v22, 23, v0
	v_and_or_b32 v22, v23, s44, v22
	v_lshlrev_b32_e32 v21, 20, v21
	v_or_b32_e32 v22, v22, v21
	v_mov_b32_e32 v21, v49
.LBB211_259:                            ;   in Loop: Header=BB211_9 Depth=1
	s_or_b64 exec, exec, s[36:37]
.LBB211_260:                            ;   in Loop: Header=BB211_9 Depth=1
	s_or_b64 exec, exec, s[34:35]
.LBB211_261:                            ;   in Loop: Header=BB211_9 Depth=1
	s_or_b64 exec, exec, s[16:17]
	global_load_ushort v23, v[1:2], off offset:2564
	v_mov_b32_e32 v25, 0
	v_mov_b32_e32 v26, 0
	s_waitcnt vmcnt(0)
	v_and_b32_e32 v27, 0xffff, v23
	v_cmp_ne_u16_sdwa s[4:5], v23, v49 src0_sel:BYTE_0 src1_sel:DWORD
	v_mov_b32_e32 v23, 0
	v_mov_b32_e32 v24, 0
	s_and_saveexec_b64 s[16:17], s[4:5]
	s_cbranch_execz .LBB211_267
; %bb.262:                              ;   in Loop: Header=BB211_9 Depth=1
	v_bfrev_b32_e32 v23, 1
	v_mov_b32_e32 v24, 0
	v_cmp_ne_u16_sdwa s[4:5], v27, s42 src0_sel:BYTE_0 src1_sel:DWORD
	s_and_saveexec_b64 s[34:35], s[4:5]
	s_cbranch_execz .LBB211_266
; %bb.263:                              ;   in Loop: Header=BB211_9 Depth=1
	v_and_b32_e32 v28, 0x7f, v27
	v_mov_b32_e32 v23, 0x7f800001
	v_mov_b32_e32 v24, 0
	v_cmp_ne_u32_e64 s[4:5], s43, v28
	s_and_saveexec_b64 s[36:37], s[4:5]
	s_cbranch_execz .LBB211_265
; %bb.264:                              ;   in Loop: Header=BB211_9 Depth=1
	v_and_b32_e32 v29, 7, v27
	v_ffbh_u32_e32 v23, v29
	v_lshrrev_b32_e32 v30, 3, v28
	v_cmp_gt_u32_e64 s[4:5], 8, v28
	v_min_u32_e32 v28, 32, v23
	v_subrev_u32_e32 v23, 28, v28
	v_lshlrev_b64 v[23:24], v23, v[27:28]
	v_sub_u32_e32 v24, 29, v28
	v_and_b32_e32 v23, 7, v23
	v_cndmask_b32_e64 v24, v30, v24, s[4:5]
	v_cndmask_b32_e64 v23, v29, v23, s[4:5]
	v_bfrev_b32_e32 v0, 60
	v_lshlrev_b32_e32 v23, 20, v23
	v_and_b32_sdwa v28, sext(v27), s44 dst_sel:DWORD dst_unused:UNUSED_PAD src0_sel:BYTE_0 src1_sel:DWORD
	v_lshl_add_u32 v24, v24, 23, v0
	v_or3_b32 v23, v28, v24, v23
	v_mov_b32_e32 v24, v49
.LBB211_265:                            ;   in Loop: Header=BB211_9 Depth=1
	s_or_b64 exec, exec, s[36:37]
.LBB211_266:                            ;   in Loop: Header=BB211_9 Depth=1
	s_or_b64 exec, exec, s[34:35]
.LBB211_267:                            ;   in Loop: Header=BB211_9 Depth=1
	s_or_b64 exec, exec, s[16:17]
	v_cmp_ne_u16_sdwa s[4:5], v27, v49 src0_sel:BYTE_1 src1_sel:DWORD
	s_and_saveexec_b64 s[16:17], s[4:5]
	s_cbranch_execz .LBB211_273
; %bb.268:                              ;   in Loop: Header=BB211_9 Depth=1
	v_mov_b32_e32 v25, v49
	v_cmp_ne_u16_sdwa s[4:5], v27, s42 src0_sel:BYTE_1 src1_sel:DWORD
	v_mov_b32_e32 v26, v50
	s_and_saveexec_b64 s[34:35], s[4:5]
	s_cbranch_execz .LBB211_272
; %bb.269:                              ;   in Loop: Header=BB211_9 Depth=1
	v_mov_b32_e32 v31, v49
	v_and_b32_sdwa v28, v27, s43 dst_sel:DWORD dst_unused:UNUSED_PAD src0_sel:BYTE_1 src1_sel:DWORD
	v_mov_b32_e32 v25, v31
	v_cmp_ne_u32_e64 s[4:5], s43, v28
	v_mov_b32_e32 v26, v32
	s_and_saveexec_b64 s[36:37], s[4:5]
	s_cbranch_execz .LBB211_271
; %bb.270:                              ;   in Loop: Header=BB211_9 Depth=1
	v_mov_b32_e32 v0, 7
	v_and_b32_sdwa v25, v27, v0 dst_sel:DWORD dst_unused:UNUSED_PAD src0_sel:BYTE_1 src1_sel:DWORD
	v_lshrrev_b32_e32 v30, 3, v28
	v_cmp_gt_u32_e64 s[4:5], 8, v28
	v_ffbh_u32_e32 v28, v25
	v_min_u32_e32 v31, 32, v28
	v_mov_b32_e32 v26, v49
	v_subrev_u32_e32 v28, 28, v31
	v_lshlrev_b64 v[28:29], v28, v[25:26]
	v_sub_u32_e32 v26, 29, v31
	v_and_b32_e32 v28, 7, v28
	v_cndmask_b32_e64 v26, v30, v26, s[4:5]
	v_bfrev_b32_e32 v0, 60
	v_cndmask_b32_e64 v25, v25, v28, s[4:5]
	v_lshlrev_b32_e32 v27, 16, v27
	v_lshl_add_u32 v26, v26, 23, v0
	v_and_or_b32 v26, v27, s44, v26
	v_lshlrev_b32_e32 v25, 20, v25
	v_or_b32_e32 v26, v26, v25
	v_mov_b32_e32 v25, v49
.LBB211_271:                            ;   in Loop: Header=BB211_9 Depth=1
	s_or_b64 exec, exec, s[36:37]
.LBB211_272:                            ;   in Loop: Header=BB211_9 Depth=1
	s_or_b64 exec, exec, s[34:35]
.LBB211_273:                            ;   in Loop: Header=BB211_9 Depth=1
	s_or_b64 exec, exec, s[16:17]
	global_load_ushort v27, v[1:2], off offset:2568
	v_mov_b32_e32 v29, 0
	v_mov_b32_e32 v30, 0
	s_waitcnt vmcnt(0)
	v_and_b32_e32 v33, 0xffff, v27
	v_cmp_ne_u16_sdwa s[4:5], v27, v49 src0_sel:BYTE_0 src1_sel:DWORD
	v_mov_b32_e32 v27, 0
	v_mov_b32_e32 v28, 0
	s_and_saveexec_b64 s[16:17], s[4:5]
	s_cbranch_execz .LBB211_279
; %bb.274:                              ;   in Loop: Header=BB211_9 Depth=1
	v_bfrev_b32_e32 v27, 1
	v_mov_b32_e32 v28, 0
	v_cmp_ne_u16_sdwa s[4:5], v33, s42 src0_sel:BYTE_0 src1_sel:DWORD
	s_and_saveexec_b64 s[34:35], s[4:5]
	s_cbranch_execz .LBB211_278
; %bb.275:                              ;   in Loop: Header=BB211_9 Depth=1
	v_and_b32_e32 v31, 0x7f, v33
	v_mov_b32_e32 v27, 0x7f800001
	v_mov_b32_e32 v28, 0
	v_cmp_ne_u32_e64 s[4:5], s43, v31
	s_and_saveexec_b64 s[36:37], s[4:5]
	s_cbranch_execz .LBB211_277
; %bb.276:                              ;   in Loop: Header=BB211_9 Depth=1
	v_and_b32_e32 v34, 7, v33
	v_ffbh_u32_e32 v27, v34
	v_lshrrev_b32_e32 v35, 3, v31
	v_cmp_gt_u32_e64 s[4:5], 8, v31
	v_min_u32_e32 v31, 32, v27
	v_subrev_u32_e32 v27, 28, v31
	v_lshlrev_b64 v[27:28], v27, v[33:34]
	v_sub_u32_e32 v28, 29, v31
	v_and_b32_e32 v27, 7, v27
	v_cndmask_b32_e64 v28, v35, v28, s[4:5]
	v_cndmask_b32_e64 v27, v34, v27, s[4:5]
	v_bfrev_b32_e32 v0, 60
	v_lshlrev_b32_e32 v27, 20, v27
	v_and_b32_sdwa v31, sext(v33), s44 dst_sel:DWORD dst_unused:UNUSED_PAD src0_sel:BYTE_0 src1_sel:DWORD
	v_lshl_add_u32 v28, v28, 23, v0
	v_or3_b32 v27, v31, v28, v27
	v_mov_b32_e32 v28, v49
.LBB211_277:                            ;   in Loop: Header=BB211_9 Depth=1
	s_or_b64 exec, exec, s[36:37]
.LBB211_278:                            ;   in Loop: Header=BB211_9 Depth=1
	s_or_b64 exec, exec, s[34:35]
.LBB211_279:                            ;   in Loop: Header=BB211_9 Depth=1
	s_or_b64 exec, exec, s[16:17]
	v_cmp_ne_u16_sdwa s[4:5], v33, v49 src0_sel:BYTE_1 src1_sel:DWORD
	s_and_saveexec_b64 s[16:17], s[4:5]
	s_cbranch_execz .LBB211_285
; %bb.280:                              ;   in Loop: Header=BB211_9 Depth=1
	v_mov_b32_e32 v29, v49
	v_cmp_ne_u16_sdwa s[4:5], v33, s42 src0_sel:BYTE_1 src1_sel:DWORD
	v_mov_b32_e32 v30, v50
	s_and_saveexec_b64 s[34:35], s[4:5]
	s_cbranch_execz .LBB211_284
; %bb.281:                              ;   in Loop: Header=BB211_9 Depth=1
	v_mov_b32_e32 v31, v49
	v_and_b32_sdwa v34, v33, s43 dst_sel:DWORD dst_unused:UNUSED_PAD src0_sel:BYTE_1 src1_sel:DWORD
	v_mov_b32_e32 v29, v31
	v_cmp_ne_u32_e64 s[4:5], s43, v34
	v_mov_b32_e32 v30, v32
	s_and_saveexec_b64 s[36:37], s[4:5]
	s_cbranch_execz .LBB211_283
; %bb.282:                              ;   in Loop: Header=BB211_9 Depth=1
	v_mov_b32_e32 v0, 7
	v_and_b32_sdwa v29, v33, v0 dst_sel:DWORD dst_unused:UNUSED_PAD src0_sel:BYTE_1 src1_sel:DWORD
	v_ffbh_u32_e32 v31, v29
	v_lshrrev_b32_e32 v35, 3, v34
	v_cmp_gt_u32_e64 s[4:5], 8, v34
	v_min_u32_e32 v34, 32, v31
	v_mov_b32_e32 v30, v49
	v_subrev_u32_e32 v31, 28, v34
	v_lshlrev_b64 v[30:31], v31, v[29:30]
	v_sub_u32_e32 v31, 29, v34
	v_and_b32_e32 v30, 7, v30
	v_cndmask_b32_e64 v31, v35, v31, s[4:5]
	v_bfrev_b32_e32 v0, 60
	v_cndmask_b32_e64 v29, v29, v30, s[4:5]
	v_lshlrev_b32_e32 v30, 16, v33
	v_lshl_add_u32 v31, v31, 23, v0
	v_and_or_b32 v30, v30, s44, v31
	v_lshlrev_b32_e32 v29, 20, v29
	v_or_b32_e32 v30, v30, v29
	v_mov_b32_e32 v29, v49
.LBB211_283:                            ;   in Loop: Header=BB211_9 Depth=1
	s_or_b64 exec, exec, s[36:37]
.LBB211_284:                            ;   in Loop: Header=BB211_9 Depth=1
	s_or_b64 exec, exec, s[34:35]
.LBB211_285:                            ;   in Loop: Header=BB211_9 Depth=1
	s_or_b64 exec, exec, s[16:17]
	global_load_ushort v1, v[1:2], off offset:2572
	v_mov_b32_e32 v33, 0
	v_mov_b32_e32 v34, 0
	s_waitcnt vmcnt(0)
	v_and_b32_e32 v35, 0xffff, v1
	v_cmp_ne_u16_sdwa s[4:5], v1, v49 src0_sel:BYTE_0 src1_sel:DWORD
	v_mov_b32_e32 v1, 0
	v_mov_b32_e32 v2, 0
	s_and_saveexec_b64 s[16:17], s[4:5]
	s_cbranch_execz .LBB211_291
; %bb.286:                              ;   in Loop: Header=BB211_9 Depth=1
	v_bfrev_b32_e32 v1, 1
	v_mov_b32_e32 v2, 0
	v_cmp_ne_u16_sdwa s[4:5], v35, s42 src0_sel:BYTE_0 src1_sel:DWORD
	s_and_saveexec_b64 s[34:35], s[4:5]
	s_cbranch_execz .LBB211_290
; %bb.287:                              ;   in Loop: Header=BB211_9 Depth=1
	v_and_b32_e32 v31, 0x7f, v35
	v_mov_b32_e32 v1, 0x7f800001
	v_mov_b32_e32 v2, 0
	v_cmp_ne_u32_e64 s[4:5], s43, v31
	s_and_saveexec_b64 s[36:37], s[4:5]
	s_cbranch_execz .LBB211_289
; %bb.288:                              ;   in Loop: Header=BB211_9 Depth=1
	v_and_b32_e32 v36, 7, v35
	v_ffbh_u32_e32 v1, v36
	v_lshrrev_b32_e32 v37, 3, v31
	v_cmp_gt_u32_e64 s[4:5], 8, v31
	v_min_u32_e32 v31, 32, v1
	v_subrev_u32_e32 v1, 28, v31
	v_lshlrev_b64 v[1:2], v1, v[35:36]
	v_sub_u32_e32 v2, 29, v31
	v_and_b32_e32 v1, 7, v1
	v_cndmask_b32_e64 v2, v37, v2, s[4:5]
	v_cndmask_b32_e64 v1, v36, v1, s[4:5]
	v_bfrev_b32_e32 v0, 60
	v_lshlrev_b32_e32 v1, 20, v1
	v_and_b32_sdwa v31, sext(v35), s44 dst_sel:DWORD dst_unused:UNUSED_PAD src0_sel:BYTE_0 src1_sel:DWORD
	v_lshl_add_u32 v2, v2, 23, v0
	v_or3_b32 v1, v31, v2, v1
	v_mov_b32_e32 v2, v49
.LBB211_289:                            ;   in Loop: Header=BB211_9 Depth=1
	s_or_b64 exec, exec, s[36:37]
.LBB211_290:                            ;   in Loop: Header=BB211_9 Depth=1
	s_or_b64 exec, exec, s[34:35]
.LBB211_291:                            ;   in Loop: Header=BB211_9 Depth=1
	s_or_b64 exec, exec, s[16:17]
	v_cmp_ne_u16_sdwa s[4:5], v35, v49 src0_sel:BYTE_1 src1_sel:DWORD
	s_and_saveexec_b64 s[16:17], s[4:5]
	s_cbranch_execz .LBB211_297
; %bb.292:                              ;   in Loop: Header=BB211_9 Depth=1
	v_mov_b32_e32 v33, v49
	v_cmp_ne_u16_sdwa s[4:5], v35, s42 src0_sel:BYTE_1 src1_sel:DWORD
	v_mov_b32_e32 v34, v50
	s_and_saveexec_b64 s[34:35], s[4:5]
	s_cbranch_execz .LBB211_296
; %bb.293:                              ;   in Loop: Header=BB211_9 Depth=1
	v_mov_b32_e32 v0, v63
	v_and_b32_sdwa v63, v35, s43 dst_sel:DWORD dst_unused:UNUSED_PAD src0_sel:BYTE_1 src1_sel:DWORD
	v_mov_b32_e32 v31, v49
	v_mov_b32_e32 v34, v32
	v_cmp_ne_u32_e64 s[4:5], s43, v63
	v_mov_b32_e32 v33, v31
	s_and_saveexec_b64 s[36:37], s[4:5]
	s_cbranch_execz .LBB211_295
; %bb.294:                              ;   in Loop: Header=BB211_9 Depth=1
	v_mov_b32_e32 v31, 7
	v_and_b32_sdwa v33, v35, v31 dst_sel:DWORD dst_unused:UNUSED_PAD src0_sel:BYTE_1 src1_sel:DWORD
	v_ffbh_u32_e32 v36, v33
	v_lshrrev_b32_e32 v31, 3, v63
	v_cmp_gt_u32_e64 s[4:5], 8, v63
	v_min_u32_e32 v63, 32, v36
	v_mov_b32_e32 v34, v49
	v_subrev_u32_e32 v36, 28, v63
	v_lshlrev_b64 v[36:37], v36, v[33:34]
	v_sub_u32_e32 v34, 29, v63
	v_and_b32_e32 v36, 7, v36
	v_cndmask_b32_e64 v31, v31, v34, s[4:5]
	v_lshlrev_b32_e32 v34, 16, v35
	v_bfrev_b32_e32 v35, 60
	v_cndmask_b32_e64 v33, v33, v36, s[4:5]
	v_lshl_add_u32 v31, v31, 23, v35
	v_and_or_b32 v31, v34, s44, v31
	v_lshlrev_b32_e32 v33, 20, v33
	v_or_b32_e32 v34, v31, v33
	v_mov_b32_e32 v33, v49
.LBB211_295:                            ;   in Loop: Header=BB211_9 Depth=1
	s_or_b64 exec, exec, s[36:37]
	v_mov_b32_e32 v63, v0
.LBB211_296:                            ;   in Loop: Header=BB211_9 Depth=1
	s_or_b64 exec, exec, s[34:35]
.LBB211_297:                            ;   in Loop: Header=BB211_9 Depth=1
	s_or_b64 exec, exec, s[16:17]
	v_or_b32_e32 v16, v18, v16
	v_or_b32_e32 v15, v17, v15
	buffer_load_dword v17, off, s[48:51], 0 offset:168 ; 4-byte Folded Reload
	buffer_load_dword v18, off, s[48:51], 0 offset:172 ; 4-byte Folded Reload
	v_or_b32_e32 v28, v30, v28
	v_or_b32_e32 v24, v26, v24
	;; [unrolled: 1-line block ×20, first 2 shown]
	v_mul_f32_e32 v22, s39, v22
	v_mul_f32_e32 v21, s40, v21
	;; [unrolled: 1-line block ×7, first 2 shown]
	s_waitcnt vmcnt(1)
	v_or_b32_e32 v26, v41, v17
	s_waitcnt vmcnt(0)
	v_or_b32_e32 v25, v42, v18
	buffer_load_dword v17, off, s[48:51], 0 offset:152 ; 4-byte Folded Reload
	buffer_load_dword v18, off, s[48:51], 0 offset:156 ; 4-byte Folded Reload
	;; [unrolled: 1-line block ×4, first 2 shown]
	v_mul_f32_e32 v26, s39, v26
	v_mul_f32_e32 v25, s40, v25
	s_waitcnt vmcnt(1)
	v_or_b32_e32 v30, v30, v17
	s_waitcnt vmcnt(0)
	v_or_b32_e32 v29, v31, v18
	buffer_load_dword v17, off, s[48:51], 0 offset:136 ; 4-byte Folded Reload
	buffer_load_dword v18, off, s[48:51], 0 offset:140 ; 4-byte Folded Reload
	buffer_load_dword v35, off, s[48:51], 0 offset:144 ; 4-byte Folded Reload
	buffer_load_dword v36, off, s[48:51], 0 offset:148 ; 4-byte Folded Reload
	v_mul_f32_e32 v30, s39, v30
	v_mul_f32_e32 v29, s40, v29
	s_waitcnt vmcnt(1)
	v_or_b32_e32 v35, v35, v17
	s_waitcnt vmcnt(0)
	v_or_b32_e32 v31, v36, v18
	buffer_load_dword v17, off, s[48:51], 0 offset:120 ; 4-byte Folded Reload
	buffer_load_dword v18, off, s[48:51], 0 offset:124 ; 4-byte Folded Reload
	;; [unrolled: 1-line block ×4, first 2 shown]
	v_mul_f32_e32 v31, s40, v31
	s_waitcnt vmcnt(1)
	v_or_b32_e32 v37, v37, v17
	s_waitcnt vmcnt(0)
	v_or_b32_e32 v36, v38, v18
	buffer_load_dword v17, off, s[48:51], 0 offset:104 ; 4-byte Folded Reload
	buffer_load_dword v18, off, s[48:51], 0 offset:108 ; 4-byte Folded Reload
	buffer_load_dword v38, off, s[48:51], 0 offset:112 ; 4-byte Folded Reload
	buffer_load_dword v39, off, s[48:51], 0 offset:116 ; 4-byte Folded Reload
	s_waitcnt vmcnt(1)
	v_or_b32_e32 v40, v38, v17
	s_waitcnt vmcnt(0)
	v_or_b32_e32 v39, v39, v18
	buffer_load_dword v17, off, s[48:51], 0 offset:88 ; 4-byte Folded Reload
	buffer_load_dword v18, off, s[48:51], 0 offset:92 ; 4-byte Folded Reload
	buffer_load_dword v42, off, s[48:51], 0 offset:96 ; 4-byte Folded Reload
	buffer_load_dword v43, off, s[48:51], 0 offset:100 ; 4-byte Folded Reload
	;; [unrolled: 8-line block ×7, first 2 shown]
	s_waitcnt vmcnt(1)
	v_or_b32_e32 v56, v59, v17
	s_waitcnt vmcnt(0)
	v_or_b32_e32 v55, v60, v18
	v_mov_b32_e32 v17, v57
	v_mov_b32_e32 v18, v58
	buffer_load_dword v58, off, s[48:51], 0 ; 4-byte Folded Reload
	buffer_load_dword v59, off, s[48:51], 0 offset:4 ; 4-byte Folded Reload
	s_waitcnt vmcnt(1)
	v_or_b32_e32 v58, v58, v17
	s_waitcnt vmcnt(0)
	v_or_b32_e32 v57, v59, v18
	v_or_b32_e32 v17, v34, v2
	v_mul_f32_e32 v2, s39, v58
	buffer_load_dword v58, off, s[48:51], 0 offset:192 ; 4-byte Folded Reload
	buffer_load_dword v59, off, s[48:51], 0 offset:196 ; 4-byte Folded Reload
	;; [unrolled: 1-line block ×4, first 2 shown]
	v_or_b32_e32 v18, v33, v1
	v_mul_f32_e32 v1, s39, v56
	v_mul_f32_e32 v33, s40, v57
	s_waitcnt vmcnt(1)
	v_mul_f32_e32 v1, v60, v1
	v_fmac_f32_e32 v1, v58, v2
	v_mul_f32_e32 v2, s40, v55
	buffer_load_dword v55, off, s[48:51], 0 offset:208 ; 4-byte Folded Reload
	buffer_load_dword v56, off, s[48:51], 0 offset:212 ; 4-byte Folded Reload
	;; [unrolled: 1-line block ×4, first 2 shown]
	s_waitcnt vmcnt(4)
	v_mul_f32_e32 v2, v61, v2
	v_fmac_f32_e32 v2, v59, v33
	v_mul_f32_e32 v33, s39, v52
	s_waitcnt vmcnt(3)
	v_fmac_f32_e32 v1, v55, v33
	v_mul_f32_e32 v33, s40, v51
	s_waitcnt vmcnt(2)
	v_fmac_f32_e32 v2, v56, v33
	v_mul_f32_e32 v33, s39, v48
	s_waitcnt vmcnt(1)
	v_fmac_f32_e32 v1, v57, v33
	v_mul_f32_e32 v33, s40, v47
	s_waitcnt vmcnt(0)
	v_fmac_f32_e32 v2, v58, v33
	buffer_load_dword v55, off, s[48:51], 0 offset:224 ; 4-byte Folded Reload
	buffer_load_dword v56, off, s[48:51], 0 offset:228 ; 4-byte Folded Reload
	;; [unrolled: 1-line block ×4, first 2 shown]
	v_mul_f32_e32 v33, s39, v46
	s_waitcnt vmcnt(3)
	v_fmac_f32_e32 v1, v55, v33
	v_mul_f32_e32 v33, s40, v45
	s_waitcnt vmcnt(2)
	v_fmac_f32_e32 v2, v56, v33
	;; [unrolled: 3-line block ×4, first 2 shown]
	v_mul_f32_e32 v33, s39, v42
	buffer_load_dword v42, off, s[48:51], 0 offset:240 ; 4-byte Folded Reload
	buffer_load_dword v43, off, s[48:51], 0 offset:244 ; 4-byte Folded Reload
	;; [unrolled: 1-line block ×4, first 2 shown]
	s_waitcnt vmcnt(3)
	v_fmac_f32_e32 v1, v42, v33
	v_mul_f32_e32 v33, s40, v41
	s_waitcnt vmcnt(2)
	v_fmac_f32_e32 v2, v43, v33
	v_mul_f32_e32 v33, s39, v40
	;; [unrolled: 3-line block ×3, first 2 shown]
	buffer_load_dword v39, off, s[48:51], 0 offset:256 ; 4-byte Folded Reload
	buffer_load_dword v40, off, s[48:51], 0 offset:260 ; 4-byte Folded Reload
	buffer_load_dword v41, off, s[48:51], 0 offset:264 ; 4-byte Folded Reload
	buffer_load_dword v42, off, s[48:51], 0 offset:268 ; 4-byte Folded Reload
	s_waitcnt vmcnt(4)
	v_fmac_f32_e32 v2, v45, v33
	v_mul_f32_e32 v33, s39, v37
	s_waitcnt vmcnt(3)
	v_fmac_f32_e32 v1, v39, v33
	v_mul_f32_e32 v33, s40, v36
	;; [unrolled: 3-line block ×3, first 2 shown]
	s_waitcnt vmcnt(1)
	v_fmac_f32_e32 v1, v41, v33
	buffer_load_dword v33, off, s[48:51], 0 offset:272 ; 4-byte Folded Reload
	buffer_load_dword v34, off, s[48:51], 0 offset:276 ; 4-byte Folded Reload
	;; [unrolled: 1-line block ×4, first 2 shown]
	s_waitcnt vmcnt(4)
	v_fmac_f32_e32 v2, v42, v31
	s_waitcnt vmcnt(3)
	v_fmac_f32_e32 v1, v33, v30
	;; [unrolled: 2-line block ×5, first 2 shown]
	buffer_load_dword v33, off, s[48:51], 0 offset:288 ; 4-byte Folded Reload
	buffer_load_dword v34, off, s[48:51], 0 offset:292 ; 4-byte Folded Reload
	;; [unrolled: 1-line block ×4, first 2 shown]
	s_waitcnt vmcnt(3)
	v_fmac_f32_e32 v1, v33, v22
	s_waitcnt vmcnt(2)
	v_fmac_f32_e32 v2, v34, v21
	;; [unrolled: 2-line block ×4, first 2 shown]
	buffer_load_dword v33, off, s[48:51], 0 offset:304 ; 4-byte Folded Reload
	buffer_load_dword v34, off, s[48:51], 0 offset:308 ; 4-byte Folded Reload
	;; [unrolled: 1-line block ×4, first 2 shown]
	s_waitcnt vmcnt(3)
	v_fmac_f32_e32 v1, v33, v8
	s_waitcnt vmcnt(2)
	v_fmac_f32_e32 v2, v34, v7
	;; [unrolled: 2-line block ×3, first 2 shown]
	v_mul_f32_e32 v3, s40, v4
	s_waitcnt vmcnt(0)
	v_fmac_f32_e32 v2, v36, v3
	buffer_load_dword v33, off, s[48:51], 0 offset:320 ; 4-byte Folded Reload
	buffer_load_dword v34, off, s[48:51], 0 offset:324 ; 4-byte Folded Reload
	;; [unrolled: 1-line block ×4, first 2 shown]
	v_mul_f32_e32 v3, s39, v5
	v_mul_f32_e32 v7, s40, v20
	;; [unrolled: 1-line block ×5, first 2 shown]
	s_waitcnt vmcnt(3)
	v_fmac_f32_e32 v1, v33, v3
	v_mul_f32_e32 v3, s40, v6
	s_waitcnt vmcnt(2)
	v_fmac_f32_e32 v2, v34, v3
	v_mul_f32_e32 v3, s39, v9
	;; [unrolled: 3-line block ×3, first 2 shown]
	buffer_load_dword v9, off, s[48:51], 0 offset:336 ; 4-byte Folded Reload
	buffer_load_dword v10, off, s[48:51], 0 offset:340 ; 4-byte Folded Reload
	buffer_load_dword v11, off, s[48:51], 0 offset:344 ; 4-byte Folded Reload
	buffer_load_dword v12, off, s[48:51], 0 offset:348 ; 4-byte Folded Reload
	s_waitcnt vmcnt(4)
	v_fmac_f32_e32 v2, v36, v3
	v_mul_f32_e32 v3, s39, v13
	v_mul_f32_e32 v6, s39, v23
	s_waitcnt vmcnt(3)
	v_fmac_f32_e32 v1, v9, v3
	v_mul_f32_e32 v3, s40, v14
	s_waitcnt vmcnt(2)
	v_fmac_f32_e32 v2, v10, v3
	v_mul_f32_e32 v9, s40, v16
	v_mul_f32_e32 v3, s39, v15
	s_waitcnt vmcnt(0)
	v_fmac_f32_e32 v2, v12, v9
	buffer_load_dword v12, off, s[48:51], 0 offset:352 ; 4-byte Folded Reload
	buffer_load_dword v13, off, s[48:51], 0 offset:356 ; 4-byte Folded Reload
	;; [unrolled: 1-line block ×4, first 2 shown]
	v_fmac_f32_e32 v1, v11, v3
	v_mul_f32_e32 v3, s40, v28
	v_mul_f32_e32 v10, s40, v17
	;; [unrolled: 1-line block ×3, first 2 shown]
	s_waitcnt vmcnt(3)
	v_fmac_f32_e32 v1, v12, v8
	s_waitcnt vmcnt(2)
	v_fmac_f32_e32 v2, v13, v7
	;; [unrolled: 2-line block ×4, first 2 shown]
	buffer_load_dword v5, off, s[48:51], 0 offset:368 ; 4-byte Folded Reload
	buffer_load_dword v6, off, s[48:51], 0 offset:372 ; 4-byte Folded Reload
	;; [unrolled: 1-line block ×5, first 2 shown]
	s_waitcnt vmcnt(4)
	v_fmac_f32_e32 v1, v5, v4
	s_waitcnt vmcnt(3)
	v_fmac_f32_e32 v2, v6, v3
	;; [unrolled: 2-line block ×4, first 2 shown]
	v_add_f32_e32 v1, v1, v2
	s_waitcnt vmcnt(0)
	ds_bpermute_b32 v2, v0, v1
	s_mov_b64 s[16:17], exec
	buffer_load_dword v5, off, s[48:51], 0 offset:184 ; 4-byte Folded Reload
	s_and_b64 s[4:5], s[16:17], vcc
	s_mov_b64 exec, s[4:5]
	s_cbranch_execz .LBB211_8
; %bb.298:                              ;   in Loop: Header=BB211_9 Depth=1
	buffer_load_dword v4, off, s[48:51], 0 offset:176 ; 4-byte Folded Reload
	buffer_load_dword v0, off, s[48:51], 0 offset:188 ; 4-byte Folded Reload
	s_waitcnt lgkmcnt(0)
	v_add_f32_e32 v1, v1, v2
	s_waitcnt vmcnt(1)
	v_add_u32_e32 v3, s41, v4
	v_cmp_gt_i32_e64 s[4:5], s30, v4
	buffer_load_dword v4, off, s[48:51], 0 offset:180 ; 4-byte Folded Reload
	v_cvt_f32_i32_e32 v3, v3
	s_waitcnt vmcnt(1)
	v_max_f32_e32 v2, v0, v0
	v_mul_f32_e32 v3, s33, v3
	v_cndmask_b32_e64 v3, 0, v3, s[2:3]
	v_fmac_f32_e32 v3, s31, v1
	v_cndmask_b32_e64 v1, 0, v3, s[4:5]
	s_waitcnt vmcnt(0)
	ds_write_b32 v4, v1
	v_max_f32_e32 v1, v2, v3
	v_cndmask_b32_e64 v0, v0, v1, s[4:5]
	buffer_store_dword v0, off, s[48:51], 0 offset:188 ; 4-byte Folded Spill
	s_branch .LBB211_8
.LBB211_299:
	s_or_b64 exec, exec, s[14:15]
	buffer_load_dword v10, off, s[48:51], 0 offset:396 ; 4-byte Folded Reload
	buffer_load_dword v11, off, s[48:51], 0 offset:400 ; 4-byte Folded Reload
	;; [unrolled: 1-line block ×6, first 2 shown]
	s_waitcnt lgkmcnt(0)
	buffer_load_dword v2, off, s[48:51], 0 offset:188 ; 4-byte Folded Reload
.LBB211_300:
	s_or_b64 exec, exec, s[6:7]
	s_waitcnt vmcnt(3)
	v_xor_b32_e32 v0, 32, v14
	s_waitcnt vmcnt(1)
	v_cmp_lt_i32_e32 vcc, v0, v8
	v_cndmask_b32_e32 v0, v14, v0, vcc
	v_lshlrev_b32_e32 v0, 2, v0
	s_waitcnt vmcnt(0)
	ds_bpermute_b32 v1, v0, v2
	v_xor_b32_e32 v3, 16, v14
	v_max_f32_e32 v2, v2, v2
	v_cmp_lt_i32_e32 vcc, v3, v8
	v_xor_b32_e32 v4, 8, v14
	s_waitcnt lgkmcnt(0)
	v_max_f32_e32 v1, v1, v1
	v_max_f32_e32 v2, v2, v1
	v_cndmask_b32_e32 v1, v14, v3, vcc
	v_lshlrev_b32_e32 v1, 2, v1
	ds_bpermute_b32 v3, v1, v2
	v_cmp_lt_i32_e32 vcc, v4, v8
	v_xor_b32_e32 v5, 4, v14
	v_and_b32_e32 v18, 63, v10
	s_waitcnt lgkmcnt(0)
	v_max_f32_e32 v3, v3, v3
	v_max_f32_e32 v3, v2, v3
	v_cndmask_b32_e32 v2, v14, v4, vcc
	v_lshlrev_b32_e32 v2, 2, v2
	ds_bpermute_b32 v4, v2, v3
	v_cmp_lt_i32_e32 vcc, v5, v8
	s_waitcnt lgkmcnt(0)
	v_max_f32_e32 v4, v4, v4
	v_max_f32_e32 v3, v3, v4
	v_cndmask_b32_e32 v4, v14, v5, vcc
	v_lshlrev_b32_e32 v13, 2, v4
	ds_bpermute_b32 v4, v13, v3
	v_xor_b32_e32 v5, 2, v14
	v_cmp_lt_i32_e32 vcc, v5, v8
	s_waitcnt lgkmcnt(0)
	v_max_f32_e32 v4, v4, v4
	v_max_f32_e32 v4, v3, v4
	v_cndmask_b32_e32 v3, v14, v5, vcc
	v_lshlrev_b32_e32 v16, 2, v3
	ds_bpermute_b32 v5, v16, v4
	v_cmp_eq_u32_e32 vcc, 0, v18
	v_lshlrev_b32_e32 v3, 2, v63
	s_and_saveexec_b64 s[2:3], vcc
	s_cbranch_execz .LBB211_302
; %bb.301:
	s_waitcnt lgkmcnt(0)
	v_max_f32_e32 v5, v5, v5
	v_max_f32_e32 v4, v4, v4
	;; [unrolled: 1-line block ×3, first 2 shown]
	ds_write_b32 v3, v4 offset:384
.LBB211_302:
	s_or_b64 exec, exec, s[2:3]
	v_cmp_gt_u32_e64 s[2:3], 2, v18
	s_waitcnt lgkmcnt(0)
	v_mov_b32_e32 v5, 0xff7fffff
	v_lshlrev_b32_e32 v4, 2, v18
	s_barrier
	s_and_saveexec_b64 s[4:5], s[2:3]
; %bb.303:
	ds_read_b32 v5, v4 offset:384
; %bb.304:
	s_or_b64 exec, exec, s[4:5]
	v_xor_b32_e32 v6, 1, v14
	v_cmp_lt_i32_e64 s[4:5], v6, v8
	v_cndmask_b32_e64 v6, v14, v6, s[4:5]
	v_lshlrev_b32_e32 v19, 2, v6
	s_waitcnt lgkmcnt(0)
	ds_bpermute_b32 v6, v19, v5
	v_max_f32_e32 v5, v5, v5
	s_lshl_b32 s4, s21, 5
	s_min_i32 s31, s4, s30
	v_cmp_gt_i32_e64 s[4:5], s31, v10
	s_waitcnt lgkmcnt(0)
	v_max_f32_e32 v6, v6, v6
	v_max_f32_e32 v5, v5, v6
	v_lshlrev_b32_e32 v6, 2, v7
	ds_bpermute_b32 v6, v6, v5
	v_mov_b32_e32 v5, 0
	s_and_saveexec_b64 s[14:15], s[4:5]
	s_cbranch_execz .LBB211_308
; %bb.305:
	v_mov_b32_e32 v5, 0x190
	v_lshl_add_u32 v7, v10, 2, v5
	v_mov_b32_e32 v5, 0
	s_mov_b64 s[16:17], 0
	v_mov_b32_e32 v8, v10
.LBB211_306:                            ; =>This Inner Loop Header: Depth=1
	ds_read_b32 v9, v7
	v_add_u32_e32 v8, 0x80, v8
	v_cmp_le_i32_e64 s[6:7], s31, v8
	s_or_b64 s[16:17], s[6:7], s[16:17]
	s_waitcnt lgkmcnt(0)
	v_sub_f32_e32 v9, v9, v6
	v_mul_f32_e32 v9, 0x3fb8aa3b, v9
	v_exp_f32_e32 v9, v9
	ds_write_b32 v7, v9
	v_add_f32_e32 v5, v5, v9
	v_add_u32_e32 v7, 0x200, v7
	s_andn2_b64 exec, exec, s[16:17]
	s_cbranch_execnz .LBB211_306
; %bb.307:
	s_or_b64 exec, exec, s[16:17]
.LBB211_308:
	s_or_b64 exec, exec, s[14:15]
	ds_bpermute_b32 v0, v0, v5
	s_waitcnt lgkmcnt(0)
	v_add_f32_e32 v0, v5, v0
	ds_bpermute_b32 v1, v1, v0
	s_waitcnt lgkmcnt(0)
	v_add_f32_e32 v0, v0, v1
	;; [unrolled: 3-line block ×6, first 2 shown]
	s_and_saveexec_b64 s[6:7], vcc
; %bb.309:
	ds_write_b32 v3, v0 offset:392
; %bb.310:
	s_or_b64 exec, exec, s[6:7]
	s_waitcnt lgkmcnt(0)
	s_barrier
	s_and_saveexec_b64 s[6:7], s[2:3]
; %bb.311:
	ds_read_b32 v0, v4 offset:392
; %bb.312:
	s_or_b64 exec, exec, s[6:7]
	s_waitcnt lgkmcnt(0)
	ds_bpermute_b32 v1, v19, v0
	v_lshlrev_b32_e32 v2, 2, v14
	s_waitcnt lgkmcnt(0)
	v_add_f32_e32 v0, v0, v1
	v_and_b32_e32 v1, 0xffffff00, v2
	ds_bpermute_b32 v0, v1, v0
	s_and_saveexec_b64 s[2:3], s[4:5]
	s_cbranch_execz .LBB211_315
; %bb.313:
	s_waitcnt lgkmcnt(0)
	v_add_f32_e32 v1, 0x358637bd, v0
	v_div_scale_f32 v0, s[4:5], v1, v1, 1.0
	v_div_scale_f32 v2, vcc, 1.0, v1, 1.0
	s_mov_b64 s[4:5], 0
	v_rcp_f32_e32 v3, v0
	v_fma_f32 v4, -v0, v3, 1.0
	v_fmac_f32_e32 v3, v4, v3
	v_mul_f32_e32 v4, v2, v3
	v_fma_f32 v5, -v0, v4, v2
	v_fmac_f32_e32 v4, v5, v3
	v_fma_f32 v0, -v0, v4, v2
	v_div_fmas_f32 v2, v0, v3, v4
	v_mov_b32_e32 v0, 0x190
	v_lshl_add_u32 v0, v10, 2, v0
	v_div_fixup_f32 v1, v2, v1, 1.0
	v_mov_b32_e32 v2, v10
.LBB211_314:                            ; =>This Inner Loop Header: Depth=1
	ds_read_b32 v3, v0
	v_add_u32_e32 v2, 0x80, v2
	v_cmp_le_i32_e32 vcc, s31, v2
	s_or_b64 s[4:5], vcc, s[4:5]
	s_waitcnt lgkmcnt(0)
	v_mul_f32_e32 v3, v1, v3
	ds_write_b32 v0, v3
	v_add_u32_e32 v0, 0x200, v0
	s_andn2_b64 exec, exec, s[4:5]
	s_cbranch_execnz .LBB211_314
.LBB211_315:
	s_or_b64 exec, exec, s[2:3]
	v_mov_b32_e32 v38, 0
	v_and_b32_e32 v20, 7, v10
	v_mov_b32_e32 v39, 0
	v_mov_b32_e32 v36, 0
	;; [unrolled: 1-line block ×11, first 2 shown]
	s_waitcnt lgkmcnt(0)
	s_barrier
	s_and_saveexec_b64 s[2:3], s[0:1]
	s_cbranch_execz .LBB211_631
; %bb.316:
	s_ashr_i32 s0, s12, 31
	s_add_u32 s1, s28, s12
	s_addc_u32 s0, s29, s0
	v_and_b32_e32 v1, 0xfc, v11
	v_mov_b32_e32 v2, s0
	v_add_co_u32_e32 v1, vcc, s1, v1
	buffer_store_dword v19, off, s[48:51], 0 offset:168 ; 4-byte Folded Spill
	buffer_store_dword v16, off, s[48:51], 0 offset:160 ; 4-byte Folded Spill
	;; [unrolled: 1-line block ×4, first 2 shown]
	v_addc_co_u32_e32 v2, vcc, 0, v2, vcc
	s_load_dword s17, s[18:19], 0x0
	buffer_store_dword v1, off, s[48:51], 0 offset:136 ; 4-byte Folded Spill
	s_nop 0
	buffer_store_dword v2, off, s[48:51], 0 offset:140 ; 4-byte Folded Spill
	v_and_b32_e32 v0, 28, v11
	v_lshlrev_b32_e32 v1, 5, v63
	s_add_i32 s19, s21, -1
	v_or3_b32 v40, v1, v0, 3
	v_lshlrev_b32_e32 v0, 4, v20
	s_lshl_b64 s[0:1], s[26:27], 2
	v_lshl_or_b32 v0, v63, 7, v0
	s_add_u32 s0, s24, s0
	v_add_u32_e32 v41, 0x190, v0
	v_and_b32_e32 v0, 60, v12
	s_addc_u32 s1, s25, s1
	v_mov_b32_e32 v5, 0
	v_mov_b32_e32 v1, s1
	v_add_co_u32_e32 v9, vcc, s0, v0
	s_mov_b32 s16, s13
	s_waitcnt lgkmcnt(0)
	s_mov_b32 s18, s17
	v_addc_co_u32_e32 v10, vcc, 0, v1, vcc
	s_mov_b64 s[4:5], 0
	s_movk_i32 s24, 0x80
	s_movk_i32 s25, 0x7f
	s_brev_b32 s26, 1
	s_mov_b32 s27, 0xffffff
	v_bfrev_b32_e32 v62, 60
	v_bfrev_b32_e32 v6, 1
	v_mov_b32_e32 v12, 0x7f800001
	v_mov_b32_e32 v61, 7
	;; [unrolled: 1-line block ×14, first 2 shown]
	buffer_store_dword v20, off, s[48:51], 0 offset:176 ; 4-byte Folded Spill
	s_branch .LBB211_318
.LBB211_317:                            ;   in Loop: Header=BB211_318 Depth=1
	s_or_b64 exec, exec, s[0:1]
	buffer_load_dword v0, off, s[48:51], 0 offset:128 ; 4-byte Folded Reload
	s_waitcnt lgkmcnt(0)
	v_mul_f32_e32 v8, v1, v8
	v_fmac_f32_e32 v8, v2, v26
	v_fmac_f32_e32 v8, v3, v7
	v_mul_f32_e32 v7, v1, v25
	v_mul_f32_e32 v16, v1, v60
	v_fmac_f32_e32 v16, v2, v59
	v_fmac_f32_e32 v16, v3, v23
	v_fmac_f32_e32 v16, v4, v22
	v_add_f32_e32 v29, v29, v16
	v_mul_f32_e32 v16, v1, v58
	v_fmac_f32_e32 v16, v2, v51
	v_fmac_f32_e32 v16, v3, v57
	v_fmac_f32_e32 v16, v4, v56
	v_add_f32_e32 v30, v30, v16
	;; [unrolled: 5-line block ×4, first 2 shown]
	v_mul_f32_e32 v16, v1, v46
	v_fmac_f32_e32 v16, v2, v43
	v_add_u32_e32 v63, 2, v63
	v_fmac_f32_e32 v16, v3, v45
	v_cmp_le_i32_e32 vcc, s21, v63
	v_fmac_f32_e32 v16, v4, v42
	v_fmac_f32_e32 v8, v4, v27
	s_or_b64 s[4:5], vcc, s[4:5]
	v_add_co_u32_e32 v9, vcc, 8, v9
	v_add_f32_e32 v33, v33, v16
	v_add_f32_e32 v34, v34, v8
	v_add_u32_e32 v40, 64, v40
	v_add_u32_e32 v41, 0x100, v41
	v_addc_co_u32_e32 v10, vcc, 0, v10, vcc
	s_waitcnt vmcnt(0)
	v_fmac_f32_e32 v7, v2, v0
	v_fmac_f32_e32 v7, v3, v44
	;; [unrolled: 1-line block ×3, first 2 shown]
	buffer_load_dword v0, off, s[48:51], 0 offset:120 ; 4-byte Folded Reload
	v_add_f32_e32 v35, v35, v7
	buffer_load_dword v7, off, s[48:51], 0 offset:96 ; 4-byte Folded Reload
	s_waitcnt vmcnt(1)
	v_mul_f32_e32 v0, v1, v0
	s_waitcnt vmcnt(0)
	v_fmac_f32_e32 v0, v2, v7
	buffer_load_dword v7, off, s[48:51], 0 offset:112 ; 4-byte Folded Reload
	s_waitcnt vmcnt(0)
	v_fmac_f32_e32 v0, v3, v7
	buffer_load_dword v7, off, s[48:51], 0 offset:104 ; 4-byte Folded Reload
	s_waitcnt vmcnt(0)
	v_fmac_f32_e32 v0, v4, v7
	v_add_f32_e32 v37, v37, v0
	buffer_load_dword v0, off, s[48:51], 0 offset:88 ; 4-byte Folded Reload
	buffer_load_dword v7, off, s[48:51], 0 offset:64 ; 4-byte Folded Reload
	s_waitcnt vmcnt(1)
	v_mul_f32_e32 v0, v1, v0
	s_waitcnt vmcnt(0)
	v_fmac_f32_e32 v0, v2, v7
	buffer_load_dword v7, off, s[48:51], 0 offset:80 ; 4-byte Folded Reload
	s_waitcnt vmcnt(0)
	v_fmac_f32_e32 v0, v3, v7
	buffer_load_dword v7, off, s[48:51], 0 offset:72 ; 4-byte Folded Reload
	s_waitcnt vmcnt(0)
	v_fmac_f32_e32 v0, v4, v7
	v_add_f32_e32 v36, v36, v0
	buffer_load_dword v0, off, s[48:51], 0 offset:56 ; 4-byte Folded Reload
	;; [unrolled: 13-line block ×3, first 2 shown]
	buffer_load_dword v7, off, s[48:51], 0  ; 4-byte Folded Reload
	s_waitcnt vmcnt(1)
	v_mul_f32_e32 v0, v1, v0
	s_waitcnt vmcnt(0)
	v_fmac_f32_e32 v0, v2, v7
	buffer_load_dword v7, off, s[48:51], 0 offset:16 ; 4-byte Folded Reload
	s_waitcnt vmcnt(0)
	v_fmac_f32_e32 v0, v3, v7
	buffer_load_dword v7, off, s[48:51], 0 offset:8 ; 4-byte Folded Reload
	s_waitcnt vmcnt(0)
	v_fmac_f32_e32 v0, v4, v7
	v_add_f32_e32 v38, v38, v0
	v_mul_f32_e32 v0, v1, v15
	v_fmac_f32_e32 v0, v2, v11
	v_fmac_f32_e32 v0, v3, v14
	;; [unrolled: 1-line block ×3, first 2 shown]
	v_add_f32_e32 v28, v28, v0
	s_andn2_b64 exec, exec, s[4:5]
	s_cbranch_execz .LBB211_630
.LBB211_318:                            ; =>This Inner Loop Header: Depth=1
	global_load_dword v0, v[9:10], off
	buffer_load_dword v1, off, s[48:51], 0 offset:136 ; 4-byte Folded Reload
	buffer_load_dword v2, off, s[48:51], 0 offset:140 ; 4-byte Folded Reload
	v_mov_b32_e32 v18, 0
	v_mov_b32_e32 v16, 0
	;; [unrolled: 1-line block ×4, first 2 shown]
	s_waitcnt vmcnt(0)
	v_mad_i64_i32 v[13:14], s[0:1], v0, s16, v[1:2]
	ds_read_b128 v[1:4], v41
	global_load_dword v15, v[13:14], off
	s_waitcnt vmcnt(0)
	v_cmp_ne_u16_sdwa s[6:7], v15, v5 src0_sel:BYTE_0 src1_sel:DWORD
	s_and_saveexec_b64 s[0:1], s[6:7]
	s_cbranch_execz .LBB211_324
; %bb.319:                              ;   in Loop: Header=BB211_318 Depth=1
	v_bfrev_b32_e32 v16, 1
	v_mov_b32_e32 v17, 0
	v_cmp_ne_u16_sdwa s[12:13], v15, s24 src0_sel:BYTE_0 src1_sel:DWORD
	s_and_saveexec_b64 s[6:7], s[12:13]
	s_cbranch_execz .LBB211_323
; %bb.320:                              ;   in Loop: Header=BB211_318 Depth=1
	v_and_b32_e32 v0, 0x7f, v15
	v_mov_b32_e32 v16, 0x7f800001
	v_mov_b32_e32 v17, 0
	v_cmp_ne_u32_e32 vcc, s25, v0
	s_and_saveexec_b64 s[12:13], vcc
	s_cbranch_execz .LBB211_322
; %bb.321:                              ;   in Loop: Header=BB211_318 Depth=1
	v_and_b32_e32 v11, 7, v15
	v_ffbh_u32_e32 v7, v11
	v_min_u32_e32 v17, 32, v7
	v_lshrrev_b32_e32 v16, 3, v0
	v_subrev_u32_e32 v7, 28, v17
	v_lshlrev_b64 v[7:8], v7, v[15:16]
	v_sub_u32_e32 v8, 29, v17
	v_and_b32_e32 v7, 7, v7
	v_cmp_gt_u32_e32 vcc, 8, v0
	v_cndmask_b32_e32 v0, v16, v8, vcc
	v_cndmask_b32_e32 v7, v11, v7, vcc
	v_lshlrev_b32_e32 v7, 20, v7
	v_and_b32_sdwa v8, sext(v15), s26 dst_sel:DWORD dst_unused:UNUSED_PAD src0_sel:BYTE_0 src1_sel:DWORD
	v_lshl_add_u32 v0, v0, 23, v62
	v_or3_b32 v16, v8, v0, v7
	v_mov_b32_e32 v17, v5
.LBB211_322:                            ;   in Loop: Header=BB211_318 Depth=1
	s_or_b64 exec, exec, s[12:13]
.LBB211_323:                            ;   in Loop: Header=BB211_318 Depth=1
	s_or_b64 exec, exec, s[6:7]
.LBB211_324:                            ;   in Loop: Header=BB211_318 Depth=1
	s_or_b64 exec, exec, s[0:1]
	v_cmp_ne_u16_sdwa s[6:7], v15, v5 src0_sel:BYTE_1 src1_sel:DWORD
	s_and_saveexec_b64 s[0:1], s[6:7]
	s_cbranch_execz .LBB211_330
; %bb.325:                              ;   in Loop: Header=BB211_318 Depth=1
	v_mov_b32_e32 v19, v6
	v_cmp_ne_u16_sdwa s[12:13], v15, s24 src0_sel:BYTE_1 src1_sel:DWORD
	v_mov_b32_e32 v18, v5
	s_and_saveexec_b64 s[6:7], s[12:13]
	s_cbranch_execz .LBB211_329
; %bb.326:                              ;   in Loop: Header=BB211_318 Depth=1
	v_and_b32_sdwa v0, v15, s25 dst_sel:DWORD dst_unused:UNUSED_PAD src0_sel:BYTE_1 src1_sel:DWORD
	v_mov_b32_e32 v11, v5
	v_mov_b32_e32 v19, v12
	v_cmp_ne_u32_e32 vcc, s25, v0
	v_mov_b32_e32 v18, v11
	s_and_saveexec_b64 s[12:13], vcc
	s_cbranch_execz .LBB211_328
; %bb.327:                              ;   in Loop: Header=BB211_318 Depth=1
	v_and_b32_sdwa v7, v15, v61 dst_sel:DWORD dst_unused:UNUSED_PAD src0_sel:BYTE_1 src1_sel:DWORD
	v_ffbh_u32_e32 v18, v7
	v_min_u32_e32 v20, 32, v18
	v_mov_b32_e32 v8, v5
	v_subrev_u32_e32 v18, 28, v20
	v_lshlrev_b64 v[18:19], v18, v[7:8]
	v_lshrrev_b32_e32 v11, 3, v0
	v_sub_u32_e32 v8, 29, v20
	v_cmp_gt_u32_e32 vcc, 8, v0
	v_and_b32_e32 v18, 7, v18
	v_cndmask_b32_e32 v0, v11, v8, vcc
	v_cndmask_b32_e32 v7, v7, v18, vcc
	v_lshlrev_b32_e32 v8, 16, v15
	v_lshl_add_u32 v0, v0, 23, v62
	v_and_or_b32 v0, v8, s26, v0
	v_lshlrev_b32_e32 v7, 20, v7
	v_or_b32_e32 v19, v0, v7
	v_mov_b32_e32 v18, v5
.LBB211_328:                            ;   in Loop: Header=BB211_318 Depth=1
	s_or_b64 exec, exec, s[12:13]
.LBB211_329:                            ;   in Loop: Header=BB211_318 Depth=1
	s_or_b64 exec, exec, s[6:7]
.LBB211_330:                            ;   in Loop: Header=BB211_318 Depth=1
	s_or_b64 exec, exec, s[0:1]
	v_lshrrev_b32_e32 v11, 16, v15
	v_mov_b32_e32 v22, 0
	v_mov_b32_e32 v20, 0
	;; [unrolled: 1-line block ×4, first 2 shown]
	v_cmp_ne_u16_sdwa s[6:7], v11, v5 src0_sel:BYTE_0 src1_sel:DWORD
	s_and_saveexec_b64 s[0:1], s[6:7]
	s_cbranch_execz .LBB211_336
; %bb.331:                              ;   in Loop: Header=BB211_318 Depth=1
	v_bfrev_b32_e32 v20, 1
	v_mov_b32_e32 v21, 0
	v_cmp_ne_u16_sdwa s[12:13], v11, s24 src0_sel:BYTE_0 src1_sel:DWORD
	s_and_saveexec_b64 s[6:7], s[12:13]
	s_cbranch_execz .LBB211_335
; %bb.332:                              ;   in Loop: Header=BB211_318 Depth=1
	v_bfe_u32 v0, v15, 16, 7
	v_mov_b32_e32 v20, 0x7f800001
	v_mov_b32_e32 v21, 0
	v_cmp_ne_u32_e32 vcc, s25, v0
	s_and_saveexec_b64 s[12:13], vcc
	s_cbranch_execz .LBB211_334
; %bb.333:                              ;   in Loop: Header=BB211_318 Depth=1
	v_and_b32_e32 v20, 7, v11
	v_ffbh_u32_e32 v7, v20
	v_min_u32_e32 v24, 32, v7
	v_subrev_u32_e32 v7, 28, v24
	v_lshlrev_b64 v[7:8], v7, v[11:12]
	v_lshrrev_b32_e32 v21, 3, v0
	v_sub_u32_e32 v8, 29, v24
	v_and_b32_e32 v7, 7, v7
	v_cmp_gt_u32_e32 vcc, 8, v0
	v_cndmask_b32_e32 v0, v21, v8, vcc
	v_cndmask_b32_e32 v7, v20, v7, vcc
	v_lshlrev_b32_e32 v7, 20, v7
	v_and_b32_sdwa v8, sext(v11), s26 dst_sel:DWORD dst_unused:UNUSED_PAD src0_sel:BYTE_0 src1_sel:DWORD
	v_lshl_add_u32 v0, v0, 23, v62
	v_or3_b32 v20, v8, v0, v7
	v_mov_b32_e32 v21, v5
.LBB211_334:                            ;   in Loop: Header=BB211_318 Depth=1
	s_or_b64 exec, exec, s[12:13]
.LBB211_335:                            ;   in Loop: Header=BB211_318 Depth=1
	s_or_b64 exec, exec, s[6:7]
.LBB211_336:                            ;   in Loop: Header=BB211_318 Depth=1
	s_or_b64 exec, exec, s[0:1]
	v_cmp_lt_u32_e32 vcc, s27, v15
	s_and_saveexec_b64 s[0:1], vcc
	s_cbranch_execz .LBB211_342
; %bb.337:                              ;   in Loop: Header=BB211_318 Depth=1
	v_mov_b32_e32 v23, v6
	v_cmp_ne_u32_sdwa s[12:13], v15, s24 src0_sel:BYTE_3 src1_sel:DWORD
	v_mov_b32_e32 v22, v5
	s_and_saveexec_b64 s[6:7], s[12:13]
	s_cbranch_execz .LBB211_341
; %bb.338:                              ;   in Loop: Header=BB211_318 Depth=1
	v_bfe_u32 v0, v15, 24, 7
	v_mov_b32_e32 v11, v5
	v_mov_b32_e32 v23, v12
	v_cmp_ne_u32_e32 vcc, s25, v0
	v_mov_b32_e32 v22, v11
	s_and_saveexec_b64 s[12:13], vcc
	s_cbranch_execz .LBB211_340
; %bb.339:                              ;   in Loop: Header=BB211_318 Depth=1
	v_and_b32_sdwa v7, v15, v61 dst_sel:DWORD dst_unused:UNUSED_PAD src0_sel:BYTE_3 src1_sel:DWORD
	v_ffbh_u32_e32 v22, v7
	v_min_u32_e32 v24, 32, v22
	v_mov_b32_e32 v8, v5
	v_subrev_u32_e32 v22, 28, v24
	v_lshlrev_b64 v[22:23], v22, v[7:8]
	v_lshrrev_b32_e32 v11, 3, v0
	v_sub_u32_e32 v8, 29, v24
	v_cmp_gt_u32_e32 vcc, 8, v0
	v_and_b32_e32 v22, 7, v22
	v_cndmask_b32_e32 v0, v11, v8, vcc
	v_mov_b32_e32 v8, 24
	v_cndmask_b32_e32 v7, v7, v22, vcc
	v_lshlrev_b32_sdwa v8, v8, v15 dst_sel:DWORD dst_unused:UNUSED_PAD src0_sel:DWORD src1_sel:BYTE_3
	v_lshl_add_u32 v0, v0, 23, v62
	v_and_or_b32 v0, v8, s26, v0
	v_lshlrev_b32_e32 v7, 20, v7
	v_or_b32_e32 v23, v0, v7
	v_mov_b32_e32 v22, v5
.LBB211_340:                            ;   in Loop: Header=BB211_318 Depth=1
	s_or_b64 exec, exec, s[12:13]
.LBB211_341:                            ;   in Loop: Header=BB211_318 Depth=1
	s_or_b64 exec, exec, s[6:7]
.LBB211_342:                            ;   in Loop: Header=BB211_318 Depth=1
	s_or_b64 exec, exec, s[0:1]
	v_or_b32_e32 v0, v19, v17
	v_or_b32_e32 v7, v18, v16
	v_mul_f32_e32 v0, s18, v0
	buffer_store_dword v0, off, s[48:51], 0 ; 4-byte Folded Spill
	v_mul_f32_e32 v0, s17, v7
	buffer_store_dword v0, off, s[48:51], 0 offset:24 ; 4-byte Folded Spill
	v_or_b32_e32 v0, v23, v21
	v_or_b32_e32 v7, v22, v20
	v_cmp_eq_u32_e32 vcc, s19, v63
	v_mul_f32_e32 v7, s17, v7
	v_mul_f32_e32 v0, s18, v0
	buffer_store_dword v7, off, s[48:51], 0 offset:16 ; 4-byte Folded Spill
	buffer_store_dword v0, off, s[48:51], 0 offset:8 ; 4-byte Folded Spill
	s_and_saveexec_b64 s[6:7], vcc
	s_cbranch_execz .LBB211_344
; %bb.343:                              ;   in Loop: Header=BB211_318 Depth=1
	v_add_u32_e32 v0, -3, v40
	v_cmp_gt_i32_e64 s[0:1], s30, v0
	buffer_load_dword v0, off, s[48:51], 0 offset:24 ; 4-byte Folded Reload
	s_waitcnt vmcnt(0)
	v_cndmask_b32_e64 v0, 0, v0, s[0:1]
	buffer_store_dword v0, off, s[48:51], 0 offset:24 ; 4-byte Folded Spill
	v_add_u32_e32 v0, -2, v40
	v_cmp_gt_i32_e64 s[0:1], s30, v0
	buffer_load_dword v0, off, s[48:51], 0  ; 4-byte Folded Reload
	s_waitcnt vmcnt(0)
	v_cndmask_b32_e64 v0, 0, v0, s[0:1]
	buffer_store_dword v0, off, s[48:51], 0 ; 4-byte Folded Spill
	v_add_u32_e32 v0, -1, v40
	v_cmp_gt_i32_e64 s[0:1], s30, v0
	buffer_load_dword v0, off, s[48:51], 0 offset:16 ; 4-byte Folded Reload
	s_waitcnt vmcnt(0)
	v_cndmask_b32_e64 v0, 0, v0, s[0:1]
	buffer_store_dword v0, off, s[48:51], 0 offset:16 ; 4-byte Folded Spill
	buffer_load_dword v0, off, s[48:51], 0 offset:8 ; 4-byte Folded Reload
	v_cmp_gt_i32_e64 s[0:1], s30, v40
	s_waitcnt vmcnt(0)
	v_cndmask_b32_e64 v0, 0, v0, s[0:1]
	buffer_store_dword v0, off, s[48:51], 0 offset:8 ; 4-byte Folded Spill
.LBB211_344:                            ;   in Loop: Header=BB211_318 Depth=1
	s_or_b64 exec, exec, s[6:7]
	global_load_dword v15, v[13:14], off offset:256
	v_mov_b32_e32 v18, 0
	v_mov_b32_e32 v16, 0
	;; [unrolled: 1-line block ×4, first 2 shown]
	s_waitcnt vmcnt(0)
	v_cmp_ne_u16_sdwa s[0:1], v15, v5 src0_sel:BYTE_0 src1_sel:DWORD
	s_and_saveexec_b64 s[6:7], s[0:1]
	s_cbranch_execz .LBB211_350
; %bb.345:                              ;   in Loop: Header=BB211_318 Depth=1
	v_bfrev_b32_e32 v16, 1
	v_mov_b32_e32 v17, 0
	v_cmp_ne_u16_sdwa s[0:1], v15, s24 src0_sel:BYTE_0 src1_sel:DWORD
	s_and_saveexec_b64 s[12:13], s[0:1]
	s_cbranch_execz .LBB211_349
; %bb.346:                              ;   in Loop: Header=BB211_318 Depth=1
	v_and_b32_e32 v0, 0x7f, v15
	v_mov_b32_e32 v16, 0x7f800001
	v_mov_b32_e32 v17, 0
	v_cmp_ne_u32_e64 s[0:1], s25, v0
	s_and_saveexec_b64 s[14:15], s[0:1]
	s_cbranch_execz .LBB211_348
; %bb.347:                              ;   in Loop: Header=BB211_318 Depth=1
	v_and_b32_e32 v11, 7, v15
	v_ffbh_u32_e32 v7, v11
	v_min_u32_e32 v17, 32, v7
	v_lshrrev_b32_e32 v16, 3, v0
	v_subrev_u32_e32 v7, 28, v17
	v_lshlrev_b64 v[7:8], v7, v[15:16]
	v_sub_u32_e32 v8, 29, v17
	v_and_b32_e32 v7, 7, v7
	v_cmp_gt_u32_e64 s[0:1], 8, v0
	v_cndmask_b32_e64 v0, v16, v8, s[0:1]
	v_cndmask_b32_e64 v7, v11, v7, s[0:1]
	v_lshlrev_b32_e32 v7, 20, v7
	v_and_b32_sdwa v8, sext(v15), s26 dst_sel:DWORD dst_unused:UNUSED_PAD src0_sel:BYTE_0 src1_sel:DWORD
	v_lshl_add_u32 v0, v0, 23, v62
	v_or3_b32 v16, v8, v0, v7
	v_mov_b32_e32 v17, v5
.LBB211_348:                            ;   in Loop: Header=BB211_318 Depth=1
	s_or_b64 exec, exec, s[14:15]
.LBB211_349:                            ;   in Loop: Header=BB211_318 Depth=1
	s_or_b64 exec, exec, s[12:13]
.LBB211_350:                            ;   in Loop: Header=BB211_318 Depth=1
	s_or_b64 exec, exec, s[6:7]
	v_cmp_ne_u16_sdwa s[0:1], v15, v5 src0_sel:BYTE_1 src1_sel:DWORD
	s_and_saveexec_b64 s[6:7], s[0:1]
	s_cbranch_execz .LBB211_356
; %bb.351:                              ;   in Loop: Header=BB211_318 Depth=1
	v_mov_b32_e32 v19, v6
	v_cmp_ne_u16_sdwa s[0:1], v15, s24 src0_sel:BYTE_1 src1_sel:DWORD
	v_mov_b32_e32 v18, v5
	s_and_saveexec_b64 s[12:13], s[0:1]
	s_cbranch_execz .LBB211_355
; %bb.352:                              ;   in Loop: Header=BB211_318 Depth=1
	v_and_b32_sdwa v0, v15, s25 dst_sel:DWORD dst_unused:UNUSED_PAD src0_sel:BYTE_1 src1_sel:DWORD
	v_mov_b32_e32 v11, v5
	v_mov_b32_e32 v19, v12
	v_cmp_ne_u32_e64 s[0:1], s25, v0
	v_mov_b32_e32 v18, v11
	s_and_saveexec_b64 s[14:15], s[0:1]
	s_cbranch_execz .LBB211_354
; %bb.353:                              ;   in Loop: Header=BB211_318 Depth=1
	v_and_b32_sdwa v7, v15, v61 dst_sel:DWORD dst_unused:UNUSED_PAD src0_sel:BYTE_1 src1_sel:DWORD
	v_ffbh_u32_e32 v18, v7
	v_min_u32_e32 v20, 32, v18
	v_mov_b32_e32 v8, v5
	v_subrev_u32_e32 v18, 28, v20
	v_lshlrev_b64 v[18:19], v18, v[7:8]
	v_lshrrev_b32_e32 v11, 3, v0
	v_sub_u32_e32 v8, 29, v20
	v_cmp_gt_u32_e64 s[0:1], 8, v0
	v_and_b32_e32 v18, 7, v18
	v_cndmask_b32_e64 v0, v11, v8, s[0:1]
	v_cndmask_b32_e64 v7, v7, v18, s[0:1]
	v_lshlrev_b32_e32 v8, 16, v15
	v_lshl_add_u32 v0, v0, 23, v62
	v_and_or_b32 v0, v8, s26, v0
	v_lshlrev_b32_e32 v7, 20, v7
	v_or_b32_e32 v19, v0, v7
	v_mov_b32_e32 v18, v5
.LBB211_354:                            ;   in Loop: Header=BB211_318 Depth=1
	s_or_b64 exec, exec, s[14:15]
.LBB211_355:                            ;   in Loop: Header=BB211_318 Depth=1
	s_or_b64 exec, exec, s[12:13]
.LBB211_356:                            ;   in Loop: Header=BB211_318 Depth=1
	s_or_b64 exec, exec, s[6:7]
	v_lshrrev_b32_e32 v11, 16, v15
	v_mov_b32_e32 v22, 0
	v_mov_b32_e32 v20, 0
	;; [unrolled: 1-line block ×4, first 2 shown]
	v_cmp_ne_u16_sdwa s[0:1], v11, v5 src0_sel:BYTE_0 src1_sel:DWORD
	s_and_saveexec_b64 s[6:7], s[0:1]
	s_cbranch_execz .LBB211_362
; %bb.357:                              ;   in Loop: Header=BB211_318 Depth=1
	v_bfrev_b32_e32 v20, 1
	v_mov_b32_e32 v21, 0
	v_cmp_ne_u16_sdwa s[0:1], v11, s24 src0_sel:BYTE_0 src1_sel:DWORD
	s_and_saveexec_b64 s[12:13], s[0:1]
	s_cbranch_execz .LBB211_361
; %bb.358:                              ;   in Loop: Header=BB211_318 Depth=1
	v_bfe_u32 v0, v15, 16, 7
	v_mov_b32_e32 v20, 0x7f800001
	v_mov_b32_e32 v21, 0
	v_cmp_ne_u32_e64 s[0:1], s25, v0
	s_and_saveexec_b64 s[14:15], s[0:1]
	s_cbranch_execz .LBB211_360
; %bb.359:                              ;   in Loop: Header=BB211_318 Depth=1
	v_and_b32_e32 v20, 7, v11
	v_ffbh_u32_e32 v7, v20
	v_min_u32_e32 v24, 32, v7
	v_subrev_u32_e32 v7, 28, v24
	v_lshlrev_b64 v[7:8], v7, v[11:12]
	v_lshrrev_b32_e32 v21, 3, v0
	v_sub_u32_e32 v8, 29, v24
	v_and_b32_e32 v7, 7, v7
	v_cmp_gt_u32_e64 s[0:1], 8, v0
	v_cndmask_b32_e64 v0, v21, v8, s[0:1]
	v_cndmask_b32_e64 v7, v20, v7, s[0:1]
	v_lshlrev_b32_e32 v7, 20, v7
	v_and_b32_sdwa v8, sext(v11), s26 dst_sel:DWORD dst_unused:UNUSED_PAD src0_sel:BYTE_0 src1_sel:DWORD
	v_lshl_add_u32 v0, v0, 23, v62
	v_or3_b32 v20, v8, v0, v7
	v_mov_b32_e32 v21, v5
.LBB211_360:                            ;   in Loop: Header=BB211_318 Depth=1
	s_or_b64 exec, exec, s[14:15]
.LBB211_361:                            ;   in Loop: Header=BB211_318 Depth=1
	s_or_b64 exec, exec, s[12:13]
.LBB211_362:                            ;   in Loop: Header=BB211_318 Depth=1
	s_or_b64 exec, exec, s[6:7]
	v_cmp_lt_u32_e64 s[0:1], s27, v15
	s_and_saveexec_b64 s[6:7], s[0:1]
	s_cbranch_execz .LBB211_368
; %bb.363:                              ;   in Loop: Header=BB211_318 Depth=1
	v_mov_b32_e32 v23, v6
	v_cmp_ne_u32_sdwa s[0:1], v15, s24 src0_sel:BYTE_3 src1_sel:DWORD
	v_mov_b32_e32 v22, v5
	s_and_saveexec_b64 s[12:13], s[0:1]
	s_cbranch_execz .LBB211_367
; %bb.364:                              ;   in Loop: Header=BB211_318 Depth=1
	v_bfe_u32 v0, v15, 24, 7
	v_mov_b32_e32 v11, v5
	v_mov_b32_e32 v23, v12
	v_cmp_ne_u32_e64 s[0:1], s25, v0
	v_mov_b32_e32 v22, v11
	s_and_saveexec_b64 s[14:15], s[0:1]
	s_cbranch_execz .LBB211_366
; %bb.365:                              ;   in Loop: Header=BB211_318 Depth=1
	v_and_b32_sdwa v7, v15, v61 dst_sel:DWORD dst_unused:UNUSED_PAD src0_sel:BYTE_3 src1_sel:DWORD
	v_ffbh_u32_e32 v22, v7
	v_min_u32_e32 v24, 32, v22
	v_mov_b32_e32 v8, v5
	v_subrev_u32_e32 v22, 28, v24
	v_lshlrev_b64 v[22:23], v22, v[7:8]
	v_lshrrev_b32_e32 v11, 3, v0
	v_sub_u32_e32 v8, 29, v24
	v_cmp_gt_u32_e64 s[0:1], 8, v0
	v_and_b32_e32 v22, 7, v22
	v_cndmask_b32_e64 v0, v11, v8, s[0:1]
	v_mov_b32_e32 v8, 24
	v_cndmask_b32_e64 v7, v7, v22, s[0:1]
	v_lshlrev_b32_sdwa v8, v8, v15 dst_sel:DWORD dst_unused:UNUSED_PAD src0_sel:DWORD src1_sel:BYTE_3
	v_lshl_add_u32 v0, v0, 23, v62
	v_and_or_b32 v0, v8, s26, v0
	v_lshlrev_b32_e32 v7, 20, v7
	v_or_b32_e32 v23, v0, v7
	v_mov_b32_e32 v22, v5
.LBB211_366:                            ;   in Loop: Header=BB211_318 Depth=1
	s_or_b64 exec, exec, s[14:15]
.LBB211_367:                            ;   in Loop: Header=BB211_318 Depth=1
	s_or_b64 exec, exec, s[12:13]
.LBB211_368:                            ;   in Loop: Header=BB211_318 Depth=1
	s_or_b64 exec, exec, s[6:7]
	v_or_b32_e32 v0, v19, v17
	v_or_b32_e32 v7, v18, v16
	v_mul_f32_e32 v0, s18, v0
	buffer_store_dword v0, off, s[48:51], 0 offset:32 ; 4-byte Folded Spill
	v_mul_f32_e32 v0, s17, v7
	buffer_store_dword v0, off, s[48:51], 0 offset:56 ; 4-byte Folded Spill
	v_or_b32_e32 v0, v23, v21
	v_or_b32_e32 v7, v22, v20
	v_mul_f32_e32 v7, s17, v7
	v_mul_f32_e32 v0, s18, v0
	buffer_store_dword v7, off, s[48:51], 0 offset:48 ; 4-byte Folded Spill
	buffer_store_dword v0, off, s[48:51], 0 offset:40 ; 4-byte Folded Spill
	s_and_saveexec_b64 s[6:7], vcc
	s_cbranch_execz .LBB211_370
; %bb.369:                              ;   in Loop: Header=BB211_318 Depth=1
	v_add_u32_e32 v0, -3, v40
	v_cmp_gt_i32_e64 s[0:1], s30, v0
	buffer_load_dword v0, off, s[48:51], 0 offset:56 ; 4-byte Folded Reload
	s_waitcnt vmcnt(0)
	v_cndmask_b32_e64 v0, 0, v0, s[0:1]
	buffer_store_dword v0, off, s[48:51], 0 offset:56 ; 4-byte Folded Spill
	v_add_u32_e32 v0, -2, v40
	v_cmp_gt_i32_e64 s[0:1], s30, v0
	buffer_load_dword v0, off, s[48:51], 0 offset:32 ; 4-byte Folded Reload
	s_waitcnt vmcnt(0)
	v_cndmask_b32_e64 v0, 0, v0, s[0:1]
	buffer_store_dword v0, off, s[48:51], 0 offset:32 ; 4-byte Folded Spill
	;; [unrolled: 6-line block ×3, first 2 shown]
	buffer_load_dword v0, off, s[48:51], 0 offset:40 ; 4-byte Folded Reload
	v_cmp_gt_i32_e64 s[0:1], s30, v40
	s_waitcnt vmcnt(0)
	v_cndmask_b32_e64 v0, 0, v0, s[0:1]
	buffer_store_dword v0, off, s[48:51], 0 offset:40 ; 4-byte Folded Spill
.LBB211_370:                            ;   in Loop: Header=BB211_318 Depth=1
	s_or_b64 exec, exec, s[6:7]
	global_load_dword v15, v[13:14], off offset:512
	v_mov_b32_e32 v18, 0
	v_mov_b32_e32 v16, 0
	;; [unrolled: 1-line block ×4, first 2 shown]
	s_waitcnt vmcnt(0)
	v_cmp_ne_u16_sdwa s[0:1], v15, v5 src0_sel:BYTE_0 src1_sel:DWORD
	s_and_saveexec_b64 s[6:7], s[0:1]
	s_cbranch_execz .LBB211_376
; %bb.371:                              ;   in Loop: Header=BB211_318 Depth=1
	v_bfrev_b32_e32 v16, 1
	v_mov_b32_e32 v17, 0
	v_cmp_ne_u16_sdwa s[0:1], v15, s24 src0_sel:BYTE_0 src1_sel:DWORD
	s_and_saveexec_b64 s[12:13], s[0:1]
	s_cbranch_execz .LBB211_375
; %bb.372:                              ;   in Loop: Header=BB211_318 Depth=1
	v_and_b32_e32 v0, 0x7f, v15
	v_mov_b32_e32 v16, 0x7f800001
	v_mov_b32_e32 v17, 0
	v_cmp_ne_u32_e64 s[0:1], s25, v0
	s_and_saveexec_b64 s[14:15], s[0:1]
	s_cbranch_execz .LBB211_374
; %bb.373:                              ;   in Loop: Header=BB211_318 Depth=1
	v_and_b32_e32 v11, 7, v15
	v_ffbh_u32_e32 v7, v11
	v_min_u32_e32 v17, 32, v7
	v_lshrrev_b32_e32 v16, 3, v0
	v_subrev_u32_e32 v7, 28, v17
	v_lshlrev_b64 v[7:8], v7, v[15:16]
	v_sub_u32_e32 v8, 29, v17
	v_and_b32_e32 v7, 7, v7
	v_cmp_gt_u32_e64 s[0:1], 8, v0
	v_cndmask_b32_e64 v0, v16, v8, s[0:1]
	v_cndmask_b32_e64 v7, v11, v7, s[0:1]
	v_lshlrev_b32_e32 v7, 20, v7
	v_and_b32_sdwa v8, sext(v15), s26 dst_sel:DWORD dst_unused:UNUSED_PAD src0_sel:BYTE_0 src1_sel:DWORD
	v_lshl_add_u32 v0, v0, 23, v62
	v_or3_b32 v16, v8, v0, v7
	v_mov_b32_e32 v17, v5
.LBB211_374:                            ;   in Loop: Header=BB211_318 Depth=1
	s_or_b64 exec, exec, s[14:15]
.LBB211_375:                            ;   in Loop: Header=BB211_318 Depth=1
	s_or_b64 exec, exec, s[12:13]
.LBB211_376:                            ;   in Loop: Header=BB211_318 Depth=1
	s_or_b64 exec, exec, s[6:7]
	v_cmp_ne_u16_sdwa s[0:1], v15, v5 src0_sel:BYTE_1 src1_sel:DWORD
	s_and_saveexec_b64 s[6:7], s[0:1]
	s_cbranch_execz .LBB211_382
; %bb.377:                              ;   in Loop: Header=BB211_318 Depth=1
	v_mov_b32_e32 v19, v6
	v_cmp_ne_u16_sdwa s[0:1], v15, s24 src0_sel:BYTE_1 src1_sel:DWORD
	v_mov_b32_e32 v18, v5
	s_and_saveexec_b64 s[12:13], s[0:1]
	s_cbranch_execz .LBB211_381
; %bb.378:                              ;   in Loop: Header=BB211_318 Depth=1
	v_and_b32_sdwa v0, v15, s25 dst_sel:DWORD dst_unused:UNUSED_PAD src0_sel:BYTE_1 src1_sel:DWORD
	v_mov_b32_e32 v11, v5
	v_mov_b32_e32 v19, v12
	v_cmp_ne_u32_e64 s[0:1], s25, v0
	v_mov_b32_e32 v18, v11
	s_and_saveexec_b64 s[14:15], s[0:1]
	s_cbranch_execz .LBB211_380
; %bb.379:                              ;   in Loop: Header=BB211_318 Depth=1
	v_and_b32_sdwa v7, v15, v61 dst_sel:DWORD dst_unused:UNUSED_PAD src0_sel:BYTE_1 src1_sel:DWORD
	v_ffbh_u32_e32 v18, v7
	v_min_u32_e32 v20, 32, v18
	v_mov_b32_e32 v8, v5
	v_subrev_u32_e32 v18, 28, v20
	v_lshlrev_b64 v[18:19], v18, v[7:8]
	v_lshrrev_b32_e32 v11, 3, v0
	v_sub_u32_e32 v8, 29, v20
	v_cmp_gt_u32_e64 s[0:1], 8, v0
	v_and_b32_e32 v18, 7, v18
	v_cndmask_b32_e64 v0, v11, v8, s[0:1]
	v_cndmask_b32_e64 v7, v7, v18, s[0:1]
	v_lshlrev_b32_e32 v8, 16, v15
	v_lshl_add_u32 v0, v0, 23, v62
	v_and_or_b32 v0, v8, s26, v0
	v_lshlrev_b32_e32 v7, 20, v7
	v_or_b32_e32 v19, v0, v7
	v_mov_b32_e32 v18, v5
.LBB211_380:                            ;   in Loop: Header=BB211_318 Depth=1
	s_or_b64 exec, exec, s[14:15]
.LBB211_381:                            ;   in Loop: Header=BB211_318 Depth=1
	s_or_b64 exec, exec, s[12:13]
.LBB211_382:                            ;   in Loop: Header=BB211_318 Depth=1
	s_or_b64 exec, exec, s[6:7]
	v_lshrrev_b32_e32 v11, 16, v15
	v_mov_b32_e32 v22, 0
	v_mov_b32_e32 v20, 0
	;; [unrolled: 1-line block ×4, first 2 shown]
	v_cmp_ne_u16_sdwa s[0:1], v11, v5 src0_sel:BYTE_0 src1_sel:DWORD
	s_and_saveexec_b64 s[6:7], s[0:1]
	s_cbranch_execz .LBB211_388
; %bb.383:                              ;   in Loop: Header=BB211_318 Depth=1
	v_bfrev_b32_e32 v20, 1
	v_mov_b32_e32 v21, 0
	v_cmp_ne_u16_sdwa s[0:1], v11, s24 src0_sel:BYTE_0 src1_sel:DWORD
	s_and_saveexec_b64 s[12:13], s[0:1]
	s_cbranch_execz .LBB211_387
; %bb.384:                              ;   in Loop: Header=BB211_318 Depth=1
	v_bfe_u32 v0, v15, 16, 7
	v_mov_b32_e32 v20, 0x7f800001
	v_mov_b32_e32 v21, 0
	v_cmp_ne_u32_e64 s[0:1], s25, v0
	s_and_saveexec_b64 s[14:15], s[0:1]
	s_cbranch_execz .LBB211_386
; %bb.385:                              ;   in Loop: Header=BB211_318 Depth=1
	v_and_b32_e32 v20, 7, v11
	v_ffbh_u32_e32 v7, v20
	v_min_u32_e32 v24, 32, v7
	v_subrev_u32_e32 v7, 28, v24
	v_lshlrev_b64 v[7:8], v7, v[11:12]
	v_lshrrev_b32_e32 v21, 3, v0
	v_sub_u32_e32 v8, 29, v24
	v_and_b32_e32 v7, 7, v7
	v_cmp_gt_u32_e64 s[0:1], 8, v0
	v_cndmask_b32_e64 v0, v21, v8, s[0:1]
	v_cndmask_b32_e64 v7, v20, v7, s[0:1]
	v_lshlrev_b32_e32 v7, 20, v7
	v_and_b32_sdwa v8, sext(v11), s26 dst_sel:DWORD dst_unused:UNUSED_PAD src0_sel:BYTE_0 src1_sel:DWORD
	v_lshl_add_u32 v0, v0, 23, v62
	v_or3_b32 v20, v8, v0, v7
	v_mov_b32_e32 v21, v5
.LBB211_386:                            ;   in Loop: Header=BB211_318 Depth=1
	s_or_b64 exec, exec, s[14:15]
.LBB211_387:                            ;   in Loop: Header=BB211_318 Depth=1
	s_or_b64 exec, exec, s[12:13]
.LBB211_388:                            ;   in Loop: Header=BB211_318 Depth=1
	s_or_b64 exec, exec, s[6:7]
	v_cmp_lt_u32_e64 s[0:1], s27, v15
	s_and_saveexec_b64 s[6:7], s[0:1]
	s_cbranch_execz .LBB211_394
; %bb.389:                              ;   in Loop: Header=BB211_318 Depth=1
	v_mov_b32_e32 v23, v6
	v_cmp_ne_u32_sdwa s[0:1], v15, s24 src0_sel:BYTE_3 src1_sel:DWORD
	v_mov_b32_e32 v22, v5
	s_and_saveexec_b64 s[12:13], s[0:1]
	s_cbranch_execz .LBB211_393
; %bb.390:                              ;   in Loop: Header=BB211_318 Depth=1
	v_bfe_u32 v0, v15, 24, 7
	v_mov_b32_e32 v11, v5
	v_mov_b32_e32 v23, v12
	v_cmp_ne_u32_e64 s[0:1], s25, v0
	v_mov_b32_e32 v22, v11
	s_and_saveexec_b64 s[14:15], s[0:1]
	s_cbranch_execz .LBB211_392
; %bb.391:                              ;   in Loop: Header=BB211_318 Depth=1
	v_and_b32_sdwa v7, v15, v61 dst_sel:DWORD dst_unused:UNUSED_PAD src0_sel:BYTE_3 src1_sel:DWORD
	v_ffbh_u32_e32 v22, v7
	v_min_u32_e32 v24, 32, v22
	v_mov_b32_e32 v8, v5
	v_subrev_u32_e32 v22, 28, v24
	v_lshlrev_b64 v[22:23], v22, v[7:8]
	v_lshrrev_b32_e32 v11, 3, v0
	v_sub_u32_e32 v8, 29, v24
	v_cmp_gt_u32_e64 s[0:1], 8, v0
	v_and_b32_e32 v22, 7, v22
	v_cndmask_b32_e64 v0, v11, v8, s[0:1]
	v_mov_b32_e32 v8, 24
	v_cndmask_b32_e64 v7, v7, v22, s[0:1]
	v_lshlrev_b32_sdwa v8, v8, v15 dst_sel:DWORD dst_unused:UNUSED_PAD src0_sel:DWORD src1_sel:BYTE_3
	v_lshl_add_u32 v0, v0, 23, v62
	v_and_or_b32 v0, v8, s26, v0
	v_lshlrev_b32_e32 v7, 20, v7
	v_or_b32_e32 v23, v0, v7
	v_mov_b32_e32 v22, v5
.LBB211_392:                            ;   in Loop: Header=BB211_318 Depth=1
	s_or_b64 exec, exec, s[14:15]
.LBB211_393:                            ;   in Loop: Header=BB211_318 Depth=1
	s_or_b64 exec, exec, s[12:13]
.LBB211_394:                            ;   in Loop: Header=BB211_318 Depth=1
	s_or_b64 exec, exec, s[6:7]
	v_or_b32_e32 v0, v19, v17
	v_or_b32_e32 v7, v18, v16
	v_mul_f32_e32 v0, s18, v0
	buffer_store_dword v0, off, s[48:51], 0 offset:64 ; 4-byte Folded Spill
	v_mul_f32_e32 v0, s17, v7
	buffer_store_dword v0, off, s[48:51], 0 offset:88 ; 4-byte Folded Spill
	v_or_b32_e32 v0, v23, v21
	v_or_b32_e32 v7, v22, v20
	v_mul_f32_e32 v7, s17, v7
	v_mul_f32_e32 v0, s18, v0
	buffer_store_dword v7, off, s[48:51], 0 offset:80 ; 4-byte Folded Spill
	buffer_store_dword v0, off, s[48:51], 0 offset:72 ; 4-byte Folded Spill
	s_and_saveexec_b64 s[6:7], vcc
	s_cbranch_execz .LBB211_396
; %bb.395:                              ;   in Loop: Header=BB211_318 Depth=1
	v_add_u32_e32 v0, -3, v40
	v_cmp_gt_i32_e64 s[0:1], s30, v0
	buffer_load_dword v0, off, s[48:51], 0 offset:88 ; 4-byte Folded Reload
	s_waitcnt vmcnt(0)
	v_cndmask_b32_e64 v0, 0, v0, s[0:1]
	buffer_store_dword v0, off, s[48:51], 0 offset:88 ; 4-byte Folded Spill
	v_add_u32_e32 v0, -2, v40
	v_cmp_gt_i32_e64 s[0:1], s30, v0
	buffer_load_dword v0, off, s[48:51], 0 offset:64 ; 4-byte Folded Reload
	s_waitcnt vmcnt(0)
	v_cndmask_b32_e64 v0, 0, v0, s[0:1]
	buffer_store_dword v0, off, s[48:51], 0 offset:64 ; 4-byte Folded Spill
	;; [unrolled: 6-line block ×3, first 2 shown]
	buffer_load_dword v0, off, s[48:51], 0 offset:72 ; 4-byte Folded Reload
	v_cmp_gt_i32_e64 s[0:1], s30, v40
	s_waitcnt vmcnt(0)
	v_cndmask_b32_e64 v0, 0, v0, s[0:1]
	buffer_store_dword v0, off, s[48:51], 0 offset:72 ; 4-byte Folded Spill
.LBB211_396:                            ;   in Loop: Header=BB211_318 Depth=1
	s_or_b64 exec, exec, s[6:7]
	global_load_dword v15, v[13:14], off offset:768
	v_mov_b32_e32 v18, 0
	v_mov_b32_e32 v16, 0
	v_mov_b32_e32 v19, 0
	v_mov_b32_e32 v17, 0
	s_waitcnt vmcnt(0)
	v_cmp_ne_u16_sdwa s[0:1], v15, v5 src0_sel:BYTE_0 src1_sel:DWORD
	s_and_saveexec_b64 s[6:7], s[0:1]
	s_cbranch_execz .LBB211_402
; %bb.397:                              ;   in Loop: Header=BB211_318 Depth=1
	v_bfrev_b32_e32 v16, 1
	v_mov_b32_e32 v17, 0
	v_cmp_ne_u16_sdwa s[0:1], v15, s24 src0_sel:BYTE_0 src1_sel:DWORD
	s_and_saveexec_b64 s[12:13], s[0:1]
	s_cbranch_execz .LBB211_401
; %bb.398:                              ;   in Loop: Header=BB211_318 Depth=1
	v_and_b32_e32 v0, 0x7f, v15
	v_mov_b32_e32 v16, 0x7f800001
	v_mov_b32_e32 v17, 0
	v_cmp_ne_u32_e64 s[0:1], s25, v0
	s_and_saveexec_b64 s[14:15], s[0:1]
	s_cbranch_execz .LBB211_400
; %bb.399:                              ;   in Loop: Header=BB211_318 Depth=1
	v_and_b32_e32 v11, 7, v15
	v_ffbh_u32_e32 v7, v11
	v_min_u32_e32 v17, 32, v7
	v_lshrrev_b32_e32 v16, 3, v0
	v_subrev_u32_e32 v7, 28, v17
	v_lshlrev_b64 v[7:8], v7, v[15:16]
	v_sub_u32_e32 v8, 29, v17
	v_and_b32_e32 v7, 7, v7
	v_cmp_gt_u32_e64 s[0:1], 8, v0
	v_cndmask_b32_e64 v0, v16, v8, s[0:1]
	v_cndmask_b32_e64 v7, v11, v7, s[0:1]
	v_lshlrev_b32_e32 v7, 20, v7
	v_and_b32_sdwa v8, sext(v15), s26 dst_sel:DWORD dst_unused:UNUSED_PAD src0_sel:BYTE_0 src1_sel:DWORD
	v_lshl_add_u32 v0, v0, 23, v62
	v_or3_b32 v16, v8, v0, v7
	v_mov_b32_e32 v17, v5
.LBB211_400:                            ;   in Loop: Header=BB211_318 Depth=1
	s_or_b64 exec, exec, s[14:15]
.LBB211_401:                            ;   in Loop: Header=BB211_318 Depth=1
	s_or_b64 exec, exec, s[12:13]
.LBB211_402:                            ;   in Loop: Header=BB211_318 Depth=1
	s_or_b64 exec, exec, s[6:7]
	v_cmp_ne_u16_sdwa s[0:1], v15, v5 src0_sel:BYTE_1 src1_sel:DWORD
	s_and_saveexec_b64 s[6:7], s[0:1]
	s_cbranch_execz .LBB211_408
; %bb.403:                              ;   in Loop: Header=BB211_318 Depth=1
	v_mov_b32_e32 v19, v6
	v_cmp_ne_u16_sdwa s[0:1], v15, s24 src0_sel:BYTE_1 src1_sel:DWORD
	v_mov_b32_e32 v18, v5
	s_and_saveexec_b64 s[12:13], s[0:1]
	s_cbranch_execz .LBB211_407
; %bb.404:                              ;   in Loop: Header=BB211_318 Depth=1
	v_and_b32_sdwa v0, v15, s25 dst_sel:DWORD dst_unused:UNUSED_PAD src0_sel:BYTE_1 src1_sel:DWORD
	v_mov_b32_e32 v11, v5
	v_mov_b32_e32 v19, v12
	v_cmp_ne_u32_e64 s[0:1], s25, v0
	v_mov_b32_e32 v18, v11
	s_and_saveexec_b64 s[14:15], s[0:1]
	s_cbranch_execz .LBB211_406
; %bb.405:                              ;   in Loop: Header=BB211_318 Depth=1
	v_and_b32_sdwa v7, v15, v61 dst_sel:DWORD dst_unused:UNUSED_PAD src0_sel:BYTE_1 src1_sel:DWORD
	v_ffbh_u32_e32 v18, v7
	v_min_u32_e32 v20, 32, v18
	v_mov_b32_e32 v8, v5
	v_subrev_u32_e32 v18, 28, v20
	v_lshlrev_b64 v[18:19], v18, v[7:8]
	v_lshrrev_b32_e32 v11, 3, v0
	v_sub_u32_e32 v8, 29, v20
	v_cmp_gt_u32_e64 s[0:1], 8, v0
	v_and_b32_e32 v18, 7, v18
	v_cndmask_b32_e64 v0, v11, v8, s[0:1]
	v_cndmask_b32_e64 v7, v7, v18, s[0:1]
	v_lshlrev_b32_e32 v8, 16, v15
	v_lshl_add_u32 v0, v0, 23, v62
	v_and_or_b32 v0, v8, s26, v0
	v_lshlrev_b32_e32 v7, 20, v7
	v_or_b32_e32 v19, v0, v7
	v_mov_b32_e32 v18, v5
.LBB211_406:                            ;   in Loop: Header=BB211_318 Depth=1
	s_or_b64 exec, exec, s[14:15]
.LBB211_407:                            ;   in Loop: Header=BB211_318 Depth=1
	s_or_b64 exec, exec, s[12:13]
.LBB211_408:                            ;   in Loop: Header=BB211_318 Depth=1
	s_or_b64 exec, exec, s[6:7]
	v_lshrrev_b32_e32 v11, 16, v15
	v_mov_b32_e32 v22, 0
	v_mov_b32_e32 v20, 0
	;; [unrolled: 1-line block ×4, first 2 shown]
	v_cmp_ne_u16_sdwa s[0:1], v11, v5 src0_sel:BYTE_0 src1_sel:DWORD
	s_and_saveexec_b64 s[6:7], s[0:1]
	s_cbranch_execz .LBB211_414
; %bb.409:                              ;   in Loop: Header=BB211_318 Depth=1
	v_bfrev_b32_e32 v20, 1
	v_mov_b32_e32 v21, 0
	v_cmp_ne_u16_sdwa s[0:1], v11, s24 src0_sel:BYTE_0 src1_sel:DWORD
	s_and_saveexec_b64 s[12:13], s[0:1]
	s_cbranch_execz .LBB211_413
; %bb.410:                              ;   in Loop: Header=BB211_318 Depth=1
	v_bfe_u32 v0, v15, 16, 7
	v_mov_b32_e32 v20, 0x7f800001
	v_mov_b32_e32 v21, 0
	v_cmp_ne_u32_e64 s[0:1], s25, v0
	s_and_saveexec_b64 s[14:15], s[0:1]
	s_cbranch_execz .LBB211_412
; %bb.411:                              ;   in Loop: Header=BB211_318 Depth=1
	v_and_b32_e32 v20, 7, v11
	v_lshrrev_b32_e32 v21, 3, v0
	v_cmp_gt_u32_e64 s[0:1], 8, v0
	v_ffbh_u32_e32 v0, v20
	v_min_u32_e32 v0, 32, v0
	v_subrev_u32_e32 v7, 28, v0
	v_lshlrev_b64 v[7:8], v7, v[11:12]
	v_sub_u32_e32 v0, 29, v0
	v_and_b32_e32 v7, 7, v7
	v_cndmask_b32_e64 v0, v21, v0, s[0:1]
	v_cndmask_b32_e64 v7, v20, v7, s[0:1]
	v_lshlrev_b32_e32 v7, 20, v7
	v_and_b32_sdwa v8, sext(v11), s26 dst_sel:DWORD dst_unused:UNUSED_PAD src0_sel:BYTE_0 src1_sel:DWORD
	v_lshl_add_u32 v0, v0, 23, v62
	v_or3_b32 v20, v8, v0, v7
	v_mov_b32_e32 v21, v5
.LBB211_412:                            ;   in Loop: Header=BB211_318 Depth=1
	s_or_b64 exec, exec, s[14:15]
.LBB211_413:                            ;   in Loop: Header=BB211_318 Depth=1
	s_or_b64 exec, exec, s[12:13]
.LBB211_414:                            ;   in Loop: Header=BB211_318 Depth=1
	s_or_b64 exec, exec, s[6:7]
	v_cmp_lt_u32_e64 s[0:1], s27, v15
	s_and_saveexec_b64 s[6:7], s[0:1]
	s_cbranch_execz .LBB211_420
; %bb.415:                              ;   in Loop: Header=BB211_318 Depth=1
	v_mov_b32_e32 v23, v6
	v_cmp_ne_u32_sdwa s[0:1], v15, s24 src0_sel:BYTE_3 src1_sel:DWORD
	v_mov_b32_e32 v22, v5
	s_and_saveexec_b64 s[12:13], s[0:1]
	s_cbranch_execz .LBB211_419
; %bb.416:                              ;   in Loop: Header=BB211_318 Depth=1
	v_bfe_u32 v0, v15, 24, 7
	v_mov_b32_e32 v11, v5
	v_mov_b32_e32 v23, v12
	v_cmp_ne_u32_e64 s[0:1], s25, v0
	v_mov_b32_e32 v22, v11
	s_and_saveexec_b64 s[14:15], s[0:1]
	s_cbranch_execz .LBB211_418
; %bb.417:                              ;   in Loop: Header=BB211_318 Depth=1
	v_and_b32_sdwa v7, v15, v61 dst_sel:DWORD dst_unused:UNUSED_PAD src0_sel:BYTE_3 src1_sel:DWORD
	v_lshrrev_b32_e32 v11, 3, v0
	v_cmp_gt_u32_e64 s[0:1], 8, v0
	v_ffbh_u32_e32 v0, v7
	v_min_u32_e32 v0, 32, v0
	v_mov_b32_e32 v8, v5
	v_subrev_u32_e32 v22, 28, v0
	v_lshlrev_b64 v[22:23], v22, v[7:8]
	v_sub_u32_e32 v0, 29, v0
	v_and_b32_e32 v8, 7, v22
	v_cndmask_b32_e64 v0, v11, v0, s[0:1]
	v_cndmask_b32_e64 v7, v7, v8, s[0:1]
	v_mov_b32_e32 v8, 24
	v_lshlrev_b32_sdwa v8, v8, v15 dst_sel:DWORD dst_unused:UNUSED_PAD src0_sel:DWORD src1_sel:BYTE_3
	v_lshl_add_u32 v0, v0, 23, v62
	v_and_or_b32 v0, v8, s26, v0
	v_lshlrev_b32_e32 v7, 20, v7
	v_or_b32_e32 v23, v0, v7
	v_mov_b32_e32 v22, v5
.LBB211_418:                            ;   in Loop: Header=BB211_318 Depth=1
	s_or_b64 exec, exec, s[14:15]
.LBB211_419:                            ;   in Loop: Header=BB211_318 Depth=1
	s_or_b64 exec, exec, s[12:13]
.LBB211_420:                            ;   in Loop: Header=BB211_318 Depth=1
	s_or_b64 exec, exec, s[6:7]
	v_or_b32_e32 v0, v19, v17
	v_or_b32_e32 v7, v18, v16
	v_mul_f32_e32 v0, s18, v0
	buffer_store_dword v0, off, s[48:51], 0 offset:96 ; 4-byte Folded Spill
	v_mul_f32_e32 v0, s17, v7
	buffer_store_dword v0, off, s[48:51], 0 offset:120 ; 4-byte Folded Spill
	v_or_b32_e32 v0, v23, v21
	v_or_b32_e32 v7, v22, v20
	v_mul_f32_e32 v7, s17, v7
	v_mul_f32_e32 v0, s18, v0
	buffer_store_dword v7, off, s[48:51], 0 offset:112 ; 4-byte Folded Spill
	buffer_store_dword v0, off, s[48:51], 0 offset:104 ; 4-byte Folded Spill
	s_and_saveexec_b64 s[6:7], vcc
	s_cbranch_execz .LBB211_422
; %bb.421:                              ;   in Loop: Header=BB211_318 Depth=1
	v_add_u32_e32 v0, -3, v40
	v_cmp_gt_i32_e64 s[0:1], s30, v0
	buffer_load_dword v0, off, s[48:51], 0 offset:120 ; 4-byte Folded Reload
	s_waitcnt vmcnt(0)
	v_cndmask_b32_e64 v0, 0, v0, s[0:1]
	buffer_store_dword v0, off, s[48:51], 0 offset:120 ; 4-byte Folded Spill
	v_add_u32_e32 v0, -2, v40
	v_cmp_gt_i32_e64 s[0:1], s30, v0
	buffer_load_dword v0, off, s[48:51], 0 offset:96 ; 4-byte Folded Reload
	s_waitcnt vmcnt(0)
	v_cndmask_b32_e64 v0, 0, v0, s[0:1]
	buffer_store_dword v0, off, s[48:51], 0 offset:96 ; 4-byte Folded Spill
	;; [unrolled: 6-line block ×3, first 2 shown]
	buffer_load_dword v0, off, s[48:51], 0 offset:104 ; 4-byte Folded Reload
	v_cmp_gt_i32_e64 s[0:1], s30, v40
	s_waitcnt vmcnt(0)
	v_cndmask_b32_e64 v0, 0, v0, s[0:1]
	buffer_store_dword v0, off, s[48:51], 0 offset:104 ; 4-byte Folded Spill
.LBB211_422:                            ;   in Loop: Header=BB211_318 Depth=1
	s_or_b64 exec, exec, s[6:7]
	global_load_dword v15, v[13:14], off offset:1024
	v_mov_b32_e32 v18, 0
	v_mov_b32_e32 v16, 0
	;; [unrolled: 1-line block ×4, first 2 shown]
	s_waitcnt vmcnt(0)
	v_cmp_ne_u16_sdwa s[0:1], v15, v5 src0_sel:BYTE_0 src1_sel:DWORD
	s_and_saveexec_b64 s[6:7], s[0:1]
	s_cbranch_execz .LBB211_428
; %bb.423:                              ;   in Loop: Header=BB211_318 Depth=1
	v_bfrev_b32_e32 v16, 1
	v_mov_b32_e32 v17, 0
	v_cmp_ne_u16_sdwa s[0:1], v15, s24 src0_sel:BYTE_0 src1_sel:DWORD
	s_and_saveexec_b64 s[12:13], s[0:1]
	s_cbranch_execz .LBB211_427
; %bb.424:                              ;   in Loop: Header=BB211_318 Depth=1
	v_and_b32_e32 v0, 0x7f, v15
	v_mov_b32_e32 v16, 0x7f800001
	v_mov_b32_e32 v17, 0
	v_cmp_ne_u32_e64 s[0:1], s25, v0
	s_and_saveexec_b64 s[14:15], s[0:1]
	s_cbranch_execz .LBB211_426
; %bb.425:                              ;   in Loop: Header=BB211_318 Depth=1
	v_and_b32_e32 v11, 7, v15
	v_lshrrev_b32_e32 v16, 3, v0
	v_cmp_gt_u32_e64 s[0:1], 8, v0
	v_ffbh_u32_e32 v0, v11
	v_min_u32_e32 v0, 32, v0
	v_subrev_u32_e32 v7, 28, v0
	v_lshlrev_b64 v[7:8], v7, v[15:16]
	v_sub_u32_e32 v0, 29, v0
	v_and_b32_e32 v7, 7, v7
	v_cndmask_b32_e64 v0, v16, v0, s[0:1]
	v_cndmask_b32_e64 v7, v11, v7, s[0:1]
	v_lshlrev_b32_e32 v7, 20, v7
	v_and_b32_sdwa v8, sext(v15), s26 dst_sel:DWORD dst_unused:UNUSED_PAD src0_sel:BYTE_0 src1_sel:DWORD
	v_lshl_add_u32 v0, v0, 23, v62
	v_or3_b32 v16, v8, v0, v7
	v_mov_b32_e32 v17, v5
.LBB211_426:                            ;   in Loop: Header=BB211_318 Depth=1
	s_or_b64 exec, exec, s[14:15]
.LBB211_427:                            ;   in Loop: Header=BB211_318 Depth=1
	s_or_b64 exec, exec, s[12:13]
.LBB211_428:                            ;   in Loop: Header=BB211_318 Depth=1
	s_or_b64 exec, exec, s[6:7]
	v_cmp_ne_u16_sdwa s[0:1], v15, v5 src0_sel:BYTE_1 src1_sel:DWORD
	s_and_saveexec_b64 s[6:7], s[0:1]
	s_cbranch_execz .LBB211_434
; %bb.429:                              ;   in Loop: Header=BB211_318 Depth=1
	v_mov_b32_e32 v19, v6
	v_cmp_ne_u16_sdwa s[0:1], v15, s24 src0_sel:BYTE_1 src1_sel:DWORD
	v_mov_b32_e32 v18, v5
	s_and_saveexec_b64 s[12:13], s[0:1]
	s_cbranch_execz .LBB211_433
; %bb.430:                              ;   in Loop: Header=BB211_318 Depth=1
	v_and_b32_sdwa v0, v15, s25 dst_sel:DWORD dst_unused:UNUSED_PAD src0_sel:BYTE_1 src1_sel:DWORD
	v_mov_b32_e32 v11, v5
	v_mov_b32_e32 v19, v12
	v_cmp_ne_u32_e64 s[0:1], s25, v0
	v_mov_b32_e32 v18, v11
	s_and_saveexec_b64 s[14:15], s[0:1]
	s_cbranch_execz .LBB211_432
; %bb.431:                              ;   in Loop: Header=BB211_318 Depth=1
	v_and_b32_sdwa v7, v15, v61 dst_sel:DWORD dst_unused:UNUSED_PAD src0_sel:BYTE_1 src1_sel:DWORD
	v_lshrrev_b32_e32 v11, 3, v0
	v_cmp_gt_u32_e64 s[0:1], 8, v0
	v_ffbh_u32_e32 v0, v7
	v_min_u32_e32 v0, 32, v0
	v_mov_b32_e32 v8, v5
	v_subrev_u32_e32 v18, 28, v0
	v_lshlrev_b64 v[18:19], v18, v[7:8]
	v_sub_u32_e32 v0, 29, v0
	v_and_b32_e32 v8, 7, v18
	v_cndmask_b32_e64 v0, v11, v0, s[0:1]
	v_cndmask_b32_e64 v7, v7, v8, s[0:1]
	v_lshlrev_b32_e32 v8, 16, v15
	v_lshl_add_u32 v0, v0, 23, v62
	v_and_or_b32 v0, v8, s26, v0
	v_lshlrev_b32_e32 v7, 20, v7
	v_or_b32_e32 v19, v0, v7
	v_mov_b32_e32 v18, v5
.LBB211_432:                            ;   in Loop: Header=BB211_318 Depth=1
	s_or_b64 exec, exec, s[14:15]
.LBB211_433:                            ;   in Loop: Header=BB211_318 Depth=1
	s_or_b64 exec, exec, s[12:13]
.LBB211_434:                            ;   in Loop: Header=BB211_318 Depth=1
	s_or_b64 exec, exec, s[6:7]
	v_lshrrev_b32_e32 v11, 16, v15
	v_mov_b32_e32 v22, 0
	v_mov_b32_e32 v20, 0
	;; [unrolled: 1-line block ×4, first 2 shown]
	v_cmp_ne_u16_sdwa s[0:1], v11, v5 src0_sel:BYTE_0 src1_sel:DWORD
	s_and_saveexec_b64 s[6:7], s[0:1]
	s_cbranch_execz .LBB211_440
; %bb.435:                              ;   in Loop: Header=BB211_318 Depth=1
	v_bfrev_b32_e32 v20, 1
	v_mov_b32_e32 v21, 0
	v_cmp_ne_u16_sdwa s[0:1], v11, s24 src0_sel:BYTE_0 src1_sel:DWORD
	s_and_saveexec_b64 s[12:13], s[0:1]
	s_cbranch_execz .LBB211_439
; %bb.436:                              ;   in Loop: Header=BB211_318 Depth=1
	v_bfe_u32 v0, v15, 16, 7
	v_mov_b32_e32 v20, 0x7f800001
	v_mov_b32_e32 v21, 0
	v_cmp_ne_u32_e64 s[0:1], s25, v0
	s_and_saveexec_b64 s[14:15], s[0:1]
	s_cbranch_execz .LBB211_438
; %bb.437:                              ;   in Loop: Header=BB211_318 Depth=1
	v_and_b32_e32 v20, 7, v11
	v_lshrrev_b32_e32 v21, 3, v0
	v_cmp_gt_u32_e64 s[0:1], 8, v0
	v_ffbh_u32_e32 v0, v20
	v_min_u32_e32 v0, 32, v0
	v_subrev_u32_e32 v7, 28, v0
	v_lshlrev_b64 v[7:8], v7, v[11:12]
	v_sub_u32_e32 v0, 29, v0
	v_and_b32_e32 v7, 7, v7
	v_cndmask_b32_e64 v0, v21, v0, s[0:1]
	v_cndmask_b32_e64 v7, v20, v7, s[0:1]
	v_lshlrev_b32_e32 v7, 20, v7
	v_and_b32_sdwa v8, sext(v11), s26 dst_sel:DWORD dst_unused:UNUSED_PAD src0_sel:BYTE_0 src1_sel:DWORD
	v_lshl_add_u32 v0, v0, 23, v62
	v_or3_b32 v20, v8, v0, v7
	v_mov_b32_e32 v21, v5
.LBB211_438:                            ;   in Loop: Header=BB211_318 Depth=1
	s_or_b64 exec, exec, s[14:15]
.LBB211_439:                            ;   in Loop: Header=BB211_318 Depth=1
	s_or_b64 exec, exec, s[12:13]
.LBB211_440:                            ;   in Loop: Header=BB211_318 Depth=1
	s_or_b64 exec, exec, s[6:7]
	v_cmp_lt_u32_e64 s[0:1], s27, v15
	s_and_saveexec_b64 s[6:7], s[0:1]
	s_cbranch_execz .LBB211_446
; %bb.441:                              ;   in Loop: Header=BB211_318 Depth=1
	v_mov_b32_e32 v23, v6
	v_cmp_ne_u32_sdwa s[0:1], v15, s24 src0_sel:BYTE_3 src1_sel:DWORD
	v_mov_b32_e32 v22, v5
	s_and_saveexec_b64 s[12:13], s[0:1]
	s_cbranch_execz .LBB211_445
; %bb.442:                              ;   in Loop: Header=BB211_318 Depth=1
	v_bfe_u32 v0, v15, 24, 7
	v_mov_b32_e32 v11, v5
	v_mov_b32_e32 v23, v12
	v_cmp_ne_u32_e64 s[0:1], s25, v0
	v_mov_b32_e32 v22, v11
	s_and_saveexec_b64 s[14:15], s[0:1]
	s_cbranch_execz .LBB211_444
; %bb.443:                              ;   in Loop: Header=BB211_318 Depth=1
	v_and_b32_sdwa v7, v15, v61 dst_sel:DWORD dst_unused:UNUSED_PAD src0_sel:BYTE_3 src1_sel:DWORD
	v_lshrrev_b32_e32 v11, 3, v0
	v_cmp_gt_u32_e64 s[0:1], 8, v0
	v_ffbh_u32_e32 v0, v7
	v_min_u32_e32 v0, 32, v0
	v_mov_b32_e32 v8, v5
	v_subrev_u32_e32 v22, 28, v0
	v_lshlrev_b64 v[22:23], v22, v[7:8]
	v_sub_u32_e32 v0, 29, v0
	v_and_b32_e32 v8, 7, v22
	v_cndmask_b32_e64 v0, v11, v0, s[0:1]
	v_cndmask_b32_e64 v7, v7, v8, s[0:1]
	v_mov_b32_e32 v8, 24
	v_lshlrev_b32_sdwa v8, v8, v15 dst_sel:DWORD dst_unused:UNUSED_PAD src0_sel:DWORD src1_sel:BYTE_3
	v_lshl_add_u32 v0, v0, 23, v62
	v_and_or_b32 v0, v8, s26, v0
	v_lshlrev_b32_e32 v7, 20, v7
	v_or_b32_e32 v23, v0, v7
	v_mov_b32_e32 v22, v5
.LBB211_444:                            ;   in Loop: Header=BB211_318 Depth=1
	s_or_b64 exec, exec, s[14:15]
.LBB211_445:                            ;   in Loop: Header=BB211_318 Depth=1
	s_or_b64 exec, exec, s[12:13]
.LBB211_446:                            ;   in Loop: Header=BB211_318 Depth=1
	s_or_b64 exec, exec, s[6:7]
	v_or_b32_e32 v7, v18, v16
	v_or_b32_e32 v0, v19, v17
	v_mul_f32_e32 v25, s17, v7
	v_or_b32_e32 v7, v23, v21
	v_or_b32_e32 v8, v22, v20
	v_mul_f32_e32 v0, s18, v0
	v_mul_f32_e32 v44, s17, v8
	;; [unrolled: 1-line block ×3, first 2 shown]
	buffer_store_dword v0, off, s[48:51], 0 offset:128 ; 4-byte Folded Spill
	s_and_saveexec_b64 s[6:7], vcc
	s_cbranch_execz .LBB211_448
; %bb.447:                              ;   in Loop: Header=BB211_318 Depth=1
	v_add_u32_e32 v0, -3, v40
	v_cmp_gt_i32_e64 s[0:1], s30, v0
	v_add_u32_e32 v0, -2, v40
	v_cndmask_b32_e64 v25, 0, v25, s[0:1]
	v_cmp_gt_i32_e64 s[0:1], s30, v0
	buffer_load_dword v0, off, s[48:51], 0 offset:128 ; 4-byte Folded Reload
	s_waitcnt vmcnt(0)
	v_cndmask_b32_e64 v0, 0, v0, s[0:1]
	buffer_store_dword v0, off, s[48:51], 0 offset:128 ; 4-byte Folded Spill
	v_add_u32_e32 v0, -1, v40
	v_cmp_gt_i32_e64 s[0:1], s30, v0
	v_cndmask_b32_e64 v44, 0, v44, s[0:1]
	v_cmp_gt_i32_e64 s[0:1], s30, v40
	v_cndmask_b32_e64 v24, 0, v24, s[0:1]
.LBB211_448:                            ;   in Loop: Header=BB211_318 Depth=1
	s_or_b64 exec, exec, s[6:7]
	global_load_dword v15, v[13:14], off offset:1280
	v_mov_b32_e32 v18, 0
	v_mov_b32_e32 v16, 0
	;; [unrolled: 1-line block ×4, first 2 shown]
	s_waitcnt vmcnt(0)
	v_cmp_ne_u16_sdwa s[0:1], v15, v5 src0_sel:BYTE_0 src1_sel:DWORD
	s_and_saveexec_b64 s[6:7], s[0:1]
	s_cbranch_execz .LBB211_454
; %bb.449:                              ;   in Loop: Header=BB211_318 Depth=1
	v_bfrev_b32_e32 v16, 1
	v_mov_b32_e32 v17, 0
	v_cmp_ne_u16_sdwa s[0:1], v15, s24 src0_sel:BYTE_0 src1_sel:DWORD
	s_and_saveexec_b64 s[12:13], s[0:1]
	s_cbranch_execz .LBB211_453
; %bb.450:                              ;   in Loop: Header=BB211_318 Depth=1
	v_and_b32_e32 v7, 0x7f, v15
	v_mov_b32_e32 v16, 0x7f800001
	v_mov_b32_e32 v17, 0
	v_cmp_ne_u32_e64 s[0:1], s25, v7
	s_and_saveexec_b64 s[14:15], s[0:1]
	s_cbranch_execz .LBB211_452
; %bb.451:                              ;   in Loop: Header=BB211_318 Depth=1
	v_and_b32_e32 v11, 7, v15
	v_lshrrev_b32_e32 v16, 3, v7
	v_cmp_gt_u32_e64 s[0:1], 8, v7
	v_ffbh_u32_e32 v7, v11
	v_min_u32_e32 v17, 32, v7
	v_subrev_u32_e32 v7, 28, v17
	v_lshlrev_b64 v[7:8], v7, v[15:16]
	v_sub_u32_e32 v8, 29, v17
	v_and_b32_e32 v7, 7, v7
	v_cndmask_b32_e64 v8, v16, v8, s[0:1]
	v_cndmask_b32_e64 v7, v11, v7, s[0:1]
	v_lshlrev_b32_e32 v7, 20, v7
	v_and_b32_sdwa v11, sext(v15), s26 dst_sel:DWORD dst_unused:UNUSED_PAD src0_sel:BYTE_0 src1_sel:DWORD
	v_lshl_add_u32 v8, v8, 23, v62
	v_or3_b32 v16, v11, v8, v7
	v_mov_b32_e32 v17, v5
.LBB211_452:                            ;   in Loop: Header=BB211_318 Depth=1
	s_or_b64 exec, exec, s[14:15]
.LBB211_453:                            ;   in Loop: Header=BB211_318 Depth=1
	s_or_b64 exec, exec, s[12:13]
.LBB211_454:                            ;   in Loop: Header=BB211_318 Depth=1
	s_or_b64 exec, exec, s[6:7]
	v_cmp_ne_u16_sdwa s[0:1], v15, v5 src0_sel:BYTE_1 src1_sel:DWORD
	s_and_saveexec_b64 s[6:7], s[0:1]
	s_cbranch_execz .LBB211_460
; %bb.455:                              ;   in Loop: Header=BB211_318 Depth=1
	v_mov_b32_e32 v19, v6
	v_cmp_ne_u16_sdwa s[0:1], v15, s24 src0_sel:BYTE_1 src1_sel:DWORD
	v_mov_b32_e32 v18, v5
	s_and_saveexec_b64 s[12:13], s[0:1]
	s_cbranch_execz .LBB211_459
; %bb.456:                              ;   in Loop: Header=BB211_318 Depth=1
	v_and_b32_sdwa v7, v15, s25 dst_sel:DWORD dst_unused:UNUSED_PAD src0_sel:BYTE_1 src1_sel:DWORD
	v_mov_b32_e32 v11, v5
	v_mov_b32_e32 v19, v12
	v_cmp_ne_u32_e64 s[0:1], s25, v7
	v_mov_b32_e32 v18, v11
	s_and_saveexec_b64 s[14:15], s[0:1]
	s_cbranch_execz .LBB211_458
; %bb.457:                              ;   in Loop: Header=BB211_318 Depth=1
	v_and_b32_sdwa v18, v15, v61 dst_sel:DWORD dst_unused:UNUSED_PAD src0_sel:BYTE_1 src1_sel:DWORD
	v_lshrrev_b32_e32 v11, 3, v7
	v_cmp_gt_u32_e64 s[0:1], 8, v7
	v_ffbh_u32_e32 v7, v18
	v_min_u32_e32 v20, 32, v7
	v_mov_b32_e32 v19, v5
	v_subrev_u32_e32 v7, 28, v20
	v_lshlrev_b64 v[7:8], v7, v[18:19]
	v_sub_u32_e32 v8, 29, v20
	v_and_b32_e32 v7, 7, v7
	v_cndmask_b32_e64 v8, v11, v8, s[0:1]
	v_cndmask_b32_e64 v7, v18, v7, s[0:1]
	v_lshlrev_b32_e32 v11, 16, v15
	v_lshl_add_u32 v8, v8, 23, v62
	v_and_or_b32 v8, v11, s26, v8
	v_lshlrev_b32_e32 v7, 20, v7
	v_or_b32_e32 v19, v8, v7
	v_mov_b32_e32 v18, v5
.LBB211_458:                            ;   in Loop: Header=BB211_318 Depth=1
	s_or_b64 exec, exec, s[14:15]
.LBB211_459:                            ;   in Loop: Header=BB211_318 Depth=1
	s_or_b64 exec, exec, s[12:13]
.LBB211_460:                            ;   in Loop: Header=BB211_318 Depth=1
	s_or_b64 exec, exec, s[6:7]
	v_lshrrev_b32_e32 v11, 16, v15
	v_mov_b32_e32 v22, 0
	v_mov_b32_e32 v20, 0
	;; [unrolled: 1-line block ×4, first 2 shown]
	v_cmp_ne_u16_sdwa s[0:1], v11, v5 src0_sel:BYTE_0 src1_sel:DWORD
	s_and_saveexec_b64 s[6:7], s[0:1]
	s_cbranch_execz .LBB211_466
; %bb.461:                              ;   in Loop: Header=BB211_318 Depth=1
	v_bfrev_b32_e32 v20, 1
	v_mov_b32_e32 v21, 0
	v_cmp_ne_u16_sdwa s[0:1], v11, s24 src0_sel:BYTE_0 src1_sel:DWORD
	s_and_saveexec_b64 s[12:13], s[0:1]
	s_cbranch_execz .LBB211_465
; %bb.462:                              ;   in Loop: Header=BB211_318 Depth=1
	v_bfe_u32 v7, v15, 16, 7
	v_mov_b32_e32 v20, 0x7f800001
	v_mov_b32_e32 v21, 0
	v_cmp_ne_u32_e64 s[0:1], s25, v7
	s_and_saveexec_b64 s[14:15], s[0:1]
	s_cbranch_execz .LBB211_464
; %bb.463:                              ;   in Loop: Header=BB211_318 Depth=1
	v_and_b32_e32 v20, 7, v11
	v_lshrrev_b32_e32 v21, 3, v7
	v_cmp_gt_u32_e64 s[0:1], 8, v7
	v_ffbh_u32_e32 v7, v20
	v_min_u32_e32 v26, 32, v7
	v_subrev_u32_e32 v7, 28, v26
	v_lshlrev_b64 v[7:8], v7, v[11:12]
	v_sub_u32_e32 v8, 29, v26
	v_and_b32_e32 v7, 7, v7
	v_cndmask_b32_e64 v8, v21, v8, s[0:1]
	v_cndmask_b32_e64 v7, v20, v7, s[0:1]
	v_lshlrev_b32_e32 v7, 20, v7
	v_and_b32_sdwa v11, sext(v11), s26 dst_sel:DWORD dst_unused:UNUSED_PAD src0_sel:BYTE_0 src1_sel:DWORD
	v_lshl_add_u32 v8, v8, 23, v62
	v_or3_b32 v20, v11, v8, v7
	v_mov_b32_e32 v21, v5
.LBB211_464:                            ;   in Loop: Header=BB211_318 Depth=1
	s_or_b64 exec, exec, s[14:15]
.LBB211_465:                            ;   in Loop: Header=BB211_318 Depth=1
	s_or_b64 exec, exec, s[12:13]
.LBB211_466:                            ;   in Loop: Header=BB211_318 Depth=1
	s_or_b64 exec, exec, s[6:7]
	v_cmp_lt_u32_e64 s[0:1], s27, v15
	s_and_saveexec_b64 s[6:7], s[0:1]
	s_cbranch_execz .LBB211_472
; %bb.467:                              ;   in Loop: Header=BB211_318 Depth=1
	v_mov_b32_e32 v23, v6
	v_cmp_ne_u32_sdwa s[0:1], v15, s24 src0_sel:BYTE_3 src1_sel:DWORD
	v_mov_b32_e32 v22, v5
	s_and_saveexec_b64 s[12:13], s[0:1]
	s_cbranch_execz .LBB211_471
; %bb.468:                              ;   in Loop: Header=BB211_318 Depth=1
	v_bfe_u32 v7, v15, 24, 7
	v_mov_b32_e32 v11, v5
	v_mov_b32_e32 v23, v12
	v_cmp_ne_u32_e64 s[0:1], s25, v7
	v_mov_b32_e32 v22, v11
	s_and_saveexec_b64 s[14:15], s[0:1]
	s_cbranch_execz .LBB211_470
; %bb.469:                              ;   in Loop: Header=BB211_318 Depth=1
	v_and_b32_sdwa v22, v15, v61 dst_sel:DWORD dst_unused:UNUSED_PAD src0_sel:BYTE_3 src1_sel:DWORD
	v_lshrrev_b32_e32 v11, 3, v7
	v_cmp_gt_u32_e64 s[0:1], 8, v7
	v_ffbh_u32_e32 v7, v22
	v_min_u32_e32 v26, 32, v7
	v_mov_b32_e32 v23, v5
	v_subrev_u32_e32 v7, 28, v26
	v_lshlrev_b64 v[7:8], v7, v[22:23]
	v_sub_u32_e32 v8, 29, v26
	v_and_b32_e32 v7, 7, v7
	v_cndmask_b32_e64 v8, v11, v8, s[0:1]
	v_mov_b32_e32 v0, 24
	v_cndmask_b32_e64 v7, v22, v7, s[0:1]
	v_lshlrev_b32_sdwa v11, v0, v15 dst_sel:DWORD dst_unused:UNUSED_PAD src0_sel:DWORD src1_sel:BYTE_3
	v_lshl_add_u32 v8, v8, 23, v62
	v_and_or_b32 v8, v11, s26, v8
	v_lshlrev_b32_e32 v7, 20, v7
	v_or_b32_e32 v23, v8, v7
	v_mov_b32_e32 v22, v5
.LBB211_470:                            ;   in Loop: Header=BB211_318 Depth=1
	s_or_b64 exec, exec, s[14:15]
.LBB211_471:                            ;   in Loop: Header=BB211_318 Depth=1
	s_or_b64 exec, exec, s[12:13]
.LBB211_472:                            ;   in Loop: Header=BB211_318 Depth=1
	s_or_b64 exec, exec, s[6:7]
	v_or_b32_e32 v7, v19, v17
	v_or_b32_e32 v8, v18, v16
	v_mul_f32_e32 v26, s18, v7
	v_or_b32_e32 v11, v23, v21
	v_or_b32_e32 v7, v22, v20
	v_mul_f32_e32 v8, s17, v8
	v_mul_f32_e32 v7, s17, v7
	;; [unrolled: 1-line block ×3, first 2 shown]
	s_and_saveexec_b64 s[6:7], vcc
	s_cbranch_execz .LBB211_474
; %bb.473:                              ;   in Loop: Header=BB211_318 Depth=1
	v_add_u32_e32 v0, -3, v40
	v_cmp_gt_i32_e64 s[0:1], s30, v0
	v_add_u32_e32 v0, -2, v40
	v_cndmask_b32_e64 v8, 0, v8, s[0:1]
	v_cmp_gt_i32_e64 s[0:1], s30, v0
	v_add_u32_e32 v0, -1, v40
	v_cndmask_b32_e64 v26, 0, v26, s[0:1]
	v_cmp_gt_i32_e64 s[0:1], s30, v0
	v_cndmask_b32_e64 v7, 0, v7, s[0:1]
	v_cmp_gt_i32_e64 s[0:1], s30, v40
	v_cndmask_b32_e64 v27, 0, v27, s[0:1]
.LBB211_474:                            ;   in Loop: Header=BB211_318 Depth=1
	s_or_b64 exec, exec, s[6:7]
	global_load_dword v15, v[13:14], off offset:1536
	v_mov_b32_e32 v18, 0
	v_mov_b32_e32 v16, 0
	;; [unrolled: 1-line block ×4, first 2 shown]
	s_waitcnt vmcnt(0)
	v_cmp_ne_u16_sdwa s[0:1], v15, v5 src0_sel:BYTE_0 src1_sel:DWORD
	s_and_saveexec_b64 s[6:7], s[0:1]
	s_cbranch_execz .LBB211_480
; %bb.475:                              ;   in Loop: Header=BB211_318 Depth=1
	v_bfrev_b32_e32 v16, 1
	v_mov_b32_e32 v17, 0
	v_cmp_ne_u16_sdwa s[0:1], v15, s24 src0_sel:BYTE_0 src1_sel:DWORD
	s_and_saveexec_b64 s[12:13], s[0:1]
	s_cbranch_execz .LBB211_479
; %bb.476:                              ;   in Loop: Header=BB211_318 Depth=1
	v_and_b32_e32 v11, 0x7f, v15
	v_mov_b32_e32 v16, 0x7f800001
	v_mov_b32_e32 v17, 0
	v_cmp_ne_u32_e64 s[0:1], s25, v11
	s_and_saveexec_b64 s[14:15], s[0:1]
	s_cbranch_execz .LBB211_478
; %bb.477:                              ;   in Loop: Header=BB211_318 Depth=1
	v_and_b32_e32 v20, 7, v15
	v_lshrrev_b32_e32 v21, 3, v11
	v_cmp_gt_u32_e64 s[0:1], 8, v11
	v_ffbh_u32_e32 v11, v20
	v_min_u32_e32 v11, 32, v11
	v_subrev_u32_e32 v16, 28, v11
	v_lshlrev_b64 v[16:17], v16, v[15:16]
	v_sub_u32_e32 v11, 29, v11
	v_and_b32_e32 v16, 7, v16
	v_cndmask_b32_e64 v11, v21, v11, s[0:1]
	v_cndmask_b32_e64 v16, v20, v16, s[0:1]
	v_lshlrev_b32_e32 v16, 20, v16
	v_and_b32_sdwa v17, sext(v15), s26 dst_sel:DWORD dst_unused:UNUSED_PAD src0_sel:BYTE_0 src1_sel:DWORD
	v_lshl_add_u32 v11, v11, 23, v62
	v_or3_b32 v16, v17, v11, v16
	v_mov_b32_e32 v17, v5
.LBB211_478:                            ;   in Loop: Header=BB211_318 Depth=1
	s_or_b64 exec, exec, s[14:15]
.LBB211_479:                            ;   in Loop: Header=BB211_318 Depth=1
	s_or_b64 exec, exec, s[12:13]
.LBB211_480:                            ;   in Loop: Header=BB211_318 Depth=1
	s_or_b64 exec, exec, s[6:7]
	v_cmp_ne_u16_sdwa s[0:1], v15, v5 src0_sel:BYTE_1 src1_sel:DWORD
	s_and_saveexec_b64 s[6:7], s[0:1]
	s_cbranch_execz .LBB211_486
; %bb.481:                              ;   in Loop: Header=BB211_318 Depth=1
	v_mov_b32_e32 v19, v6
	v_cmp_ne_u16_sdwa s[0:1], v15, s24 src0_sel:BYTE_1 src1_sel:DWORD
	v_mov_b32_e32 v18, v5
	s_and_saveexec_b64 s[12:13], s[0:1]
	s_cbranch_execz .LBB211_485
; %bb.482:                              ;   in Loop: Header=BB211_318 Depth=1
	v_and_b32_sdwa v20, v15, s25 dst_sel:DWORD dst_unused:UNUSED_PAD src0_sel:BYTE_1 src1_sel:DWORD
	v_mov_b32_e32 v11, v5
	v_mov_b32_e32 v19, v12
	v_cmp_ne_u32_e64 s[0:1], s25, v20
	v_mov_b32_e32 v18, v11
	s_and_saveexec_b64 s[14:15], s[0:1]
	s_cbranch_execz .LBB211_484
; %bb.483:                              ;   in Loop: Header=BB211_318 Depth=1
	v_and_b32_sdwa v18, v15, v61 dst_sel:DWORD dst_unused:UNUSED_PAD src0_sel:BYTE_1 src1_sel:DWORD
	v_lshrrev_b32_e32 v11, 3, v20
	v_cmp_gt_u32_e64 s[0:1], 8, v20
	v_ffbh_u32_e32 v20, v18
	v_min_u32_e32 v21, 32, v20
	v_mov_b32_e32 v19, v5
	v_subrev_u32_e32 v20, 28, v21
	v_lshlrev_b64 v[19:20], v20, v[18:19]
	v_sub_u32_e32 v20, 29, v21
	v_and_b32_e32 v19, 7, v19
	v_cndmask_b32_e64 v11, v11, v20, s[0:1]
	v_cndmask_b32_e64 v18, v18, v19, s[0:1]
	v_lshlrev_b32_e32 v19, 16, v15
	v_lshl_add_u32 v11, v11, 23, v62
	v_and_or_b32 v11, v19, s26, v11
	v_lshlrev_b32_e32 v18, 20, v18
	v_or_b32_e32 v19, v11, v18
	v_mov_b32_e32 v18, v5
.LBB211_484:                            ;   in Loop: Header=BB211_318 Depth=1
	s_or_b64 exec, exec, s[14:15]
.LBB211_485:                            ;   in Loop: Header=BB211_318 Depth=1
	s_or_b64 exec, exec, s[12:13]
.LBB211_486:                            ;   in Loop: Header=BB211_318 Depth=1
	s_or_b64 exec, exec, s[6:7]
	v_lshrrev_b32_e32 v11, 16, v15
	v_mov_b32_e32 v22, 0
	v_mov_b32_e32 v20, 0
	;; [unrolled: 1-line block ×4, first 2 shown]
	v_cmp_ne_u16_sdwa s[0:1], v11, v5 src0_sel:BYTE_0 src1_sel:DWORD
	s_and_saveexec_b64 s[6:7], s[0:1]
	s_cbranch_execz .LBB211_492
; %bb.487:                              ;   in Loop: Header=BB211_318 Depth=1
	v_bfrev_b32_e32 v20, 1
	v_mov_b32_e32 v21, 0
	v_cmp_ne_u16_sdwa s[0:1], v11, s24 src0_sel:BYTE_0 src1_sel:DWORD
	s_and_saveexec_b64 s[12:13], s[0:1]
	s_cbranch_execz .LBB211_491
; %bb.488:                              ;   in Loop: Header=BB211_318 Depth=1
	v_bfe_u32 v42, v15, 16, 7
	v_mov_b32_e32 v20, 0x7f800001
	v_mov_b32_e32 v21, 0
	v_cmp_ne_u32_e64 s[0:1], s25, v42
	s_and_saveexec_b64 s[14:15], s[0:1]
	s_cbranch_execz .LBB211_490
; %bb.489:                              ;   in Loop: Header=BB211_318 Depth=1
	v_and_b32_e32 v43, 7, v11
	v_ffbh_u32_e32 v20, v43
	v_lshrrev_b32_e32 v45, 3, v42
	v_cmp_gt_u32_e64 s[0:1], 8, v42
	v_min_u32_e32 v42, 32, v20
	v_subrev_u32_e32 v20, 28, v42
	v_lshlrev_b64 v[20:21], v20, v[11:12]
	v_sub_u32_e32 v21, 29, v42
	v_and_b32_e32 v20, 7, v20
	v_cndmask_b32_e64 v21, v45, v21, s[0:1]
	v_cndmask_b32_e64 v20, v43, v20, s[0:1]
	v_lshlrev_b32_e32 v20, 20, v20
	v_and_b32_sdwa v11, sext(v11), s26 dst_sel:DWORD dst_unused:UNUSED_PAD src0_sel:BYTE_0 src1_sel:DWORD
	v_lshl_add_u32 v21, v21, 23, v62
	v_or3_b32 v20, v11, v21, v20
	v_mov_b32_e32 v21, v5
.LBB211_490:                            ;   in Loop: Header=BB211_318 Depth=1
	s_or_b64 exec, exec, s[14:15]
.LBB211_491:                            ;   in Loop: Header=BB211_318 Depth=1
	s_or_b64 exec, exec, s[12:13]
.LBB211_492:                            ;   in Loop: Header=BB211_318 Depth=1
	s_or_b64 exec, exec, s[6:7]
	v_cmp_lt_u32_e64 s[0:1], s27, v15
	s_and_saveexec_b64 s[6:7], s[0:1]
	s_cbranch_execz .LBB211_498
; %bb.493:                              ;   in Loop: Header=BB211_318 Depth=1
	v_mov_b32_e32 v23, v6
	v_cmp_ne_u32_sdwa s[0:1], v15, s24 src0_sel:BYTE_3 src1_sel:DWORD
	v_mov_b32_e32 v22, v5
	s_and_saveexec_b64 s[12:13], s[0:1]
	s_cbranch_execz .LBB211_497
; %bb.494:                              ;   in Loop: Header=BB211_318 Depth=1
	v_bfe_u32 v42, v15, 24, 7
	v_mov_b32_e32 v11, v5
	v_mov_b32_e32 v23, v12
	v_cmp_ne_u32_e64 s[0:1], s25, v42
	v_mov_b32_e32 v22, v11
	s_and_saveexec_b64 s[14:15], s[0:1]
	s_cbranch_execz .LBB211_496
; %bb.495:                              ;   in Loop: Header=BB211_318 Depth=1
	v_and_b32_sdwa v22, v15, v61 dst_sel:DWORD dst_unused:UNUSED_PAD src0_sel:BYTE_3 src1_sel:DWORD
	v_lshrrev_b32_e32 v11, 3, v42
	v_cmp_gt_u32_e64 s[0:1], 8, v42
	v_ffbh_u32_e32 v42, v22
	v_min_u32_e32 v45, 32, v42
	v_mov_b32_e32 v23, v5
	v_subrev_u32_e32 v42, 28, v45
	v_lshlrev_b64 v[42:43], v42, v[22:23]
	v_sub_u32_e32 v23, 29, v45
	v_and_b32_e32 v42, 7, v42
	v_cndmask_b32_e64 v11, v11, v23, s[0:1]
	v_mov_b32_e32 v0, 24
	v_cndmask_b32_e64 v22, v22, v42, s[0:1]
	v_lshlrev_b32_sdwa v15, v0, v15 dst_sel:DWORD dst_unused:UNUSED_PAD src0_sel:DWORD src1_sel:BYTE_3
	v_lshl_add_u32 v11, v11, 23, v62
	v_and_or_b32 v11, v15, s26, v11
	v_lshlrev_b32_e32 v15, 20, v22
	v_or_b32_e32 v23, v11, v15
	v_mov_b32_e32 v22, v5
.LBB211_496:                            ;   in Loop: Header=BB211_318 Depth=1
	s_or_b64 exec, exec, s[14:15]
.LBB211_497:                            ;   in Loop: Header=BB211_318 Depth=1
	s_or_b64 exec, exec, s[12:13]
.LBB211_498:                            ;   in Loop: Header=BB211_318 Depth=1
	s_or_b64 exec, exec, s[6:7]
	v_or_b32_e32 v11, v19, v17
	v_or_b32_e32 v15, v18, v16
	v_mul_f32_e32 v43, s18, v11
	v_mul_f32_e32 v46, s17, v15
	v_or_b32_e32 v11, v23, v21
	v_or_b32_e32 v15, v22, v20
	v_mul_f32_e32 v45, s17, v15
	v_mul_f32_e32 v42, s18, v11
	s_and_saveexec_b64 s[6:7], vcc
	s_cbranch_execz .LBB211_500
; %bb.499:                              ;   in Loop: Header=BB211_318 Depth=1
	v_add_u32_e32 v0, -3, v40
	v_cmp_gt_i32_e64 s[0:1], s30, v0
	v_add_u32_e32 v0, -2, v40
	v_cndmask_b32_e64 v46, 0, v46, s[0:1]
	v_cmp_gt_i32_e64 s[0:1], s30, v0
	v_add_u32_e32 v0, -1, v40
	v_cndmask_b32_e64 v43, 0, v43, s[0:1]
	v_cmp_gt_i32_e64 s[0:1], s30, v0
	v_cndmask_b32_e64 v45, 0, v45, s[0:1]
	v_cmp_gt_i32_e64 s[0:1], s30, v40
	v_cndmask_b32_e64 v42, 0, v42, s[0:1]
.LBB211_500:                            ;   in Loop: Header=BB211_318 Depth=1
	s_or_b64 exec, exec, s[6:7]
	global_load_dword v15, v[13:14], off offset:1792
	v_mov_b32_e32 v18, 0
	v_mov_b32_e32 v16, 0
	;; [unrolled: 1-line block ×4, first 2 shown]
	s_waitcnt vmcnt(0)
	v_cmp_ne_u16_sdwa s[0:1], v15, v5 src0_sel:BYTE_0 src1_sel:DWORD
	s_and_saveexec_b64 s[6:7], s[0:1]
	s_cbranch_execz .LBB211_506
; %bb.501:                              ;   in Loop: Header=BB211_318 Depth=1
	v_bfrev_b32_e32 v16, 1
	v_mov_b32_e32 v17, 0
	v_cmp_ne_u16_sdwa s[0:1], v15, s24 src0_sel:BYTE_0 src1_sel:DWORD
	s_and_saveexec_b64 s[12:13], s[0:1]
	s_cbranch_execz .LBB211_505
; %bb.502:                              ;   in Loop: Header=BB211_318 Depth=1
	v_and_b32_e32 v11, 0x7f, v15
	v_mov_b32_e32 v16, 0x7f800001
	v_mov_b32_e32 v17, 0
	v_cmp_ne_u32_e64 s[0:1], s25, v11
	s_and_saveexec_b64 s[14:15], s[0:1]
	s_cbranch_execz .LBB211_504
; %bb.503:                              ;   in Loop: Header=BB211_318 Depth=1
	v_and_b32_e32 v20, 7, v15
	v_lshrrev_b32_e32 v21, 3, v11
	v_cmp_gt_u32_e64 s[0:1], 8, v11
	v_ffbh_u32_e32 v11, v20
	v_min_u32_e32 v11, 32, v11
	v_subrev_u32_e32 v16, 28, v11
	v_lshlrev_b64 v[16:17], v16, v[15:16]
	v_sub_u32_e32 v11, 29, v11
	v_and_b32_e32 v16, 7, v16
	v_cndmask_b32_e64 v11, v21, v11, s[0:1]
	v_cndmask_b32_e64 v16, v20, v16, s[0:1]
	v_lshlrev_b32_e32 v16, 20, v16
	v_and_b32_sdwa v17, sext(v15), s26 dst_sel:DWORD dst_unused:UNUSED_PAD src0_sel:BYTE_0 src1_sel:DWORD
	v_lshl_add_u32 v11, v11, 23, v62
	v_or3_b32 v16, v17, v11, v16
	v_mov_b32_e32 v17, v5
.LBB211_504:                            ;   in Loop: Header=BB211_318 Depth=1
	s_or_b64 exec, exec, s[14:15]
.LBB211_505:                            ;   in Loop: Header=BB211_318 Depth=1
	s_or_b64 exec, exec, s[12:13]
.LBB211_506:                            ;   in Loop: Header=BB211_318 Depth=1
	s_or_b64 exec, exec, s[6:7]
	v_cmp_ne_u16_sdwa s[0:1], v15, v5 src0_sel:BYTE_1 src1_sel:DWORD
	s_and_saveexec_b64 s[6:7], s[0:1]
	s_cbranch_execz .LBB211_512
; %bb.507:                              ;   in Loop: Header=BB211_318 Depth=1
	v_mov_b32_e32 v19, v6
	v_cmp_ne_u16_sdwa s[0:1], v15, s24 src0_sel:BYTE_1 src1_sel:DWORD
	v_mov_b32_e32 v18, v5
	s_and_saveexec_b64 s[12:13], s[0:1]
	s_cbranch_execz .LBB211_511
; %bb.508:                              ;   in Loop: Header=BB211_318 Depth=1
	v_and_b32_sdwa v20, v15, s25 dst_sel:DWORD dst_unused:UNUSED_PAD src0_sel:BYTE_1 src1_sel:DWORD
	v_mov_b32_e32 v11, v5
	v_mov_b32_e32 v19, v12
	v_cmp_ne_u32_e64 s[0:1], s25, v20
	v_mov_b32_e32 v18, v11
	s_and_saveexec_b64 s[14:15], s[0:1]
	s_cbranch_execz .LBB211_510
; %bb.509:                              ;   in Loop: Header=BB211_318 Depth=1
	v_and_b32_sdwa v18, v15, v61 dst_sel:DWORD dst_unused:UNUSED_PAD src0_sel:BYTE_1 src1_sel:DWORD
	v_lshrrev_b32_e32 v11, 3, v20
	v_cmp_gt_u32_e64 s[0:1], 8, v20
	v_ffbh_u32_e32 v20, v18
	v_min_u32_e32 v21, 32, v20
	v_mov_b32_e32 v19, v5
	v_subrev_u32_e32 v20, 28, v21
	v_lshlrev_b64 v[19:20], v20, v[18:19]
	v_sub_u32_e32 v20, 29, v21
	v_and_b32_e32 v19, 7, v19
	v_cndmask_b32_e64 v11, v11, v20, s[0:1]
	v_cndmask_b32_e64 v18, v18, v19, s[0:1]
	v_lshlrev_b32_e32 v19, 16, v15
	v_lshl_add_u32 v11, v11, 23, v62
	v_and_or_b32 v11, v19, s26, v11
	v_lshlrev_b32_e32 v18, 20, v18
	v_or_b32_e32 v19, v11, v18
	v_mov_b32_e32 v18, v5
.LBB211_510:                            ;   in Loop: Header=BB211_318 Depth=1
	s_or_b64 exec, exec, s[14:15]
.LBB211_511:                            ;   in Loop: Header=BB211_318 Depth=1
	s_or_b64 exec, exec, s[12:13]
.LBB211_512:                            ;   in Loop: Header=BB211_318 Depth=1
	s_or_b64 exec, exec, s[6:7]
	v_lshrrev_b32_e32 v11, 16, v15
	v_mov_b32_e32 v22, 0
	v_mov_b32_e32 v20, 0
	;; [unrolled: 1-line block ×4, first 2 shown]
	v_cmp_ne_u16_sdwa s[0:1], v11, v5 src0_sel:BYTE_0 src1_sel:DWORD
	s_and_saveexec_b64 s[6:7], s[0:1]
	s_cbranch_execz .LBB211_518
; %bb.513:                              ;   in Loop: Header=BB211_318 Depth=1
	v_bfrev_b32_e32 v20, 1
	v_mov_b32_e32 v21, 0
	v_cmp_ne_u16_sdwa s[0:1], v11, s24 src0_sel:BYTE_0 src1_sel:DWORD
	s_and_saveexec_b64 s[12:13], s[0:1]
	s_cbranch_execz .LBB211_517
; %bb.514:                              ;   in Loop: Header=BB211_318 Depth=1
	v_bfe_u32 v47, v15, 16, 7
	v_mov_b32_e32 v20, 0x7f800001
	v_mov_b32_e32 v21, 0
	v_cmp_ne_u32_e64 s[0:1], s25, v47
	s_and_saveexec_b64 s[14:15], s[0:1]
	s_cbranch_execz .LBB211_516
; %bb.515:                              ;   in Loop: Header=BB211_318 Depth=1
	v_and_b32_e32 v48, 7, v11
	v_ffbh_u32_e32 v20, v48
	v_lshrrev_b32_e32 v49, 3, v47
	v_cmp_gt_u32_e64 s[0:1], 8, v47
	v_min_u32_e32 v47, 32, v20
	v_subrev_u32_e32 v20, 28, v47
	v_lshlrev_b64 v[20:21], v20, v[11:12]
	v_sub_u32_e32 v21, 29, v47
	v_and_b32_e32 v20, 7, v20
	v_cndmask_b32_e64 v21, v49, v21, s[0:1]
	v_cndmask_b32_e64 v20, v48, v20, s[0:1]
	v_lshlrev_b32_e32 v20, 20, v20
	v_and_b32_sdwa v11, sext(v11), s26 dst_sel:DWORD dst_unused:UNUSED_PAD src0_sel:BYTE_0 src1_sel:DWORD
	v_lshl_add_u32 v21, v21, 23, v62
	v_or3_b32 v20, v11, v21, v20
	v_mov_b32_e32 v21, v5
.LBB211_516:                            ;   in Loop: Header=BB211_318 Depth=1
	s_or_b64 exec, exec, s[14:15]
.LBB211_517:                            ;   in Loop: Header=BB211_318 Depth=1
	s_or_b64 exec, exec, s[12:13]
.LBB211_518:                            ;   in Loop: Header=BB211_318 Depth=1
	s_or_b64 exec, exec, s[6:7]
	v_cmp_lt_u32_e64 s[0:1], s27, v15
	s_and_saveexec_b64 s[6:7], s[0:1]
	s_cbranch_execz .LBB211_524
; %bb.519:                              ;   in Loop: Header=BB211_318 Depth=1
	v_mov_b32_e32 v23, v6
	v_cmp_ne_u32_sdwa s[0:1], v15, s24 src0_sel:BYTE_3 src1_sel:DWORD
	v_mov_b32_e32 v22, v5
	s_and_saveexec_b64 s[12:13], s[0:1]
	s_cbranch_execz .LBB211_523
; %bb.520:                              ;   in Loop: Header=BB211_318 Depth=1
	v_bfe_u32 v47, v15, 24, 7
	v_mov_b32_e32 v11, v5
	v_mov_b32_e32 v23, v12
	v_cmp_ne_u32_e64 s[0:1], s25, v47
	v_mov_b32_e32 v22, v11
	s_and_saveexec_b64 s[14:15], s[0:1]
	s_cbranch_execz .LBB211_522
; %bb.521:                              ;   in Loop: Header=BB211_318 Depth=1
	v_and_b32_sdwa v22, v15, v61 dst_sel:DWORD dst_unused:UNUSED_PAD src0_sel:BYTE_3 src1_sel:DWORD
	v_lshrrev_b32_e32 v11, 3, v47
	v_cmp_gt_u32_e64 s[0:1], 8, v47
	v_ffbh_u32_e32 v47, v22
	v_min_u32_e32 v49, 32, v47
	v_mov_b32_e32 v23, v5
	v_subrev_u32_e32 v47, 28, v49
	v_lshlrev_b64 v[47:48], v47, v[22:23]
	v_sub_u32_e32 v23, 29, v49
	v_and_b32_e32 v47, 7, v47
	v_cndmask_b32_e64 v11, v11, v23, s[0:1]
	v_mov_b32_e32 v0, 24
	v_cndmask_b32_e64 v22, v22, v47, s[0:1]
	v_lshlrev_b32_sdwa v15, v0, v15 dst_sel:DWORD dst_unused:UNUSED_PAD src0_sel:DWORD src1_sel:BYTE_3
	v_lshl_add_u32 v11, v11, 23, v62
	v_and_or_b32 v11, v15, s26, v11
	v_lshlrev_b32_e32 v15, 20, v22
	v_or_b32_e32 v23, v11, v15
	v_mov_b32_e32 v22, v5
.LBB211_522:                            ;   in Loop: Header=BB211_318 Depth=1
	s_or_b64 exec, exec, s[14:15]
.LBB211_523:                            ;   in Loop: Header=BB211_318 Depth=1
	s_or_b64 exec, exec, s[12:13]
.LBB211_524:                            ;   in Loop: Header=BB211_318 Depth=1
	s_or_b64 exec, exec, s[6:7]
	v_or_b32_e32 v11, v19, v17
	v_or_b32_e32 v15, v18, v16
	v_mul_f32_e32 v47, s18, v11
	v_mul_f32_e32 v53, s17, v15
	v_or_b32_e32 v11, v23, v21
	v_or_b32_e32 v15, v22, v20
	v_mul_f32_e32 v52, s17, v15
	v_mul_f32_e32 v48, s18, v11
	s_and_saveexec_b64 s[6:7], vcc
	s_cbranch_execz .LBB211_526
; %bb.525:                              ;   in Loop: Header=BB211_318 Depth=1
	v_add_u32_e32 v0, -3, v40
	v_cmp_gt_i32_e64 s[0:1], s30, v0
	v_add_u32_e32 v0, -2, v40
	v_cndmask_b32_e64 v53, 0, v53, s[0:1]
	v_cmp_gt_i32_e64 s[0:1], s30, v0
	v_add_u32_e32 v0, -1, v40
	v_cndmask_b32_e64 v47, 0, v47, s[0:1]
	v_cmp_gt_i32_e64 s[0:1], s30, v0
	v_cndmask_b32_e64 v52, 0, v52, s[0:1]
	v_cmp_gt_i32_e64 s[0:1], s30, v40
	v_cndmask_b32_e64 v48, 0, v48, s[0:1]
.LBB211_526:                            ;   in Loop: Header=BB211_318 Depth=1
	s_or_b64 exec, exec, s[6:7]
	global_load_dword v15, v[13:14], off offset:2048
	v_mov_b32_e32 v18, 0
	v_mov_b32_e32 v16, 0
	v_mov_b32_e32 v19, 0
	v_mov_b32_e32 v17, 0
	s_waitcnt vmcnt(0)
	v_cmp_ne_u16_sdwa s[0:1], v15, v5 src0_sel:BYTE_0 src1_sel:DWORD
	s_and_saveexec_b64 s[6:7], s[0:1]
	s_cbranch_execz .LBB211_532
; %bb.527:                              ;   in Loop: Header=BB211_318 Depth=1
	v_bfrev_b32_e32 v16, 1
	v_mov_b32_e32 v17, 0
	v_cmp_ne_u16_sdwa s[0:1], v15, s24 src0_sel:BYTE_0 src1_sel:DWORD
	s_and_saveexec_b64 s[12:13], s[0:1]
	s_cbranch_execz .LBB211_531
; %bb.528:                              ;   in Loop: Header=BB211_318 Depth=1
	v_and_b32_e32 v11, 0x7f, v15
	v_mov_b32_e32 v16, 0x7f800001
	v_mov_b32_e32 v17, 0
	v_cmp_ne_u32_e64 s[0:1], s25, v11
	s_and_saveexec_b64 s[14:15], s[0:1]
	s_cbranch_execz .LBB211_530
; %bb.529:                              ;   in Loop: Header=BB211_318 Depth=1
	v_and_b32_e32 v20, 7, v15
	v_lshrrev_b32_e32 v21, 3, v11
	v_cmp_gt_u32_e64 s[0:1], 8, v11
	v_ffbh_u32_e32 v11, v20
	v_min_u32_e32 v11, 32, v11
	v_subrev_u32_e32 v16, 28, v11
	v_lshlrev_b64 v[16:17], v16, v[15:16]
	v_sub_u32_e32 v11, 29, v11
	v_and_b32_e32 v16, 7, v16
	v_cndmask_b32_e64 v11, v21, v11, s[0:1]
	v_cndmask_b32_e64 v16, v20, v16, s[0:1]
	v_lshlrev_b32_e32 v16, 20, v16
	v_and_b32_sdwa v17, sext(v15), s26 dst_sel:DWORD dst_unused:UNUSED_PAD src0_sel:BYTE_0 src1_sel:DWORD
	v_lshl_add_u32 v11, v11, 23, v62
	v_or3_b32 v16, v17, v11, v16
	v_mov_b32_e32 v17, v5
.LBB211_530:                            ;   in Loop: Header=BB211_318 Depth=1
	s_or_b64 exec, exec, s[14:15]
.LBB211_531:                            ;   in Loop: Header=BB211_318 Depth=1
	s_or_b64 exec, exec, s[12:13]
.LBB211_532:                            ;   in Loop: Header=BB211_318 Depth=1
	s_or_b64 exec, exec, s[6:7]
	v_cmp_ne_u16_sdwa s[0:1], v15, v5 src0_sel:BYTE_1 src1_sel:DWORD
	s_and_saveexec_b64 s[6:7], s[0:1]
	s_cbranch_execz .LBB211_538
; %bb.533:                              ;   in Loop: Header=BB211_318 Depth=1
	v_mov_b32_e32 v19, v6
	v_cmp_ne_u16_sdwa s[0:1], v15, s24 src0_sel:BYTE_1 src1_sel:DWORD
	v_mov_b32_e32 v18, v5
	s_and_saveexec_b64 s[12:13], s[0:1]
	s_cbranch_execz .LBB211_537
; %bb.534:                              ;   in Loop: Header=BB211_318 Depth=1
	v_and_b32_sdwa v20, v15, s25 dst_sel:DWORD dst_unused:UNUSED_PAD src0_sel:BYTE_1 src1_sel:DWORD
	v_mov_b32_e32 v11, v5
	v_mov_b32_e32 v19, v12
	v_cmp_ne_u32_e64 s[0:1], s25, v20
	v_mov_b32_e32 v18, v11
	s_and_saveexec_b64 s[14:15], s[0:1]
	s_cbranch_execz .LBB211_536
; %bb.535:                              ;   in Loop: Header=BB211_318 Depth=1
	v_and_b32_sdwa v18, v15, v61 dst_sel:DWORD dst_unused:UNUSED_PAD src0_sel:BYTE_1 src1_sel:DWORD
	v_lshrrev_b32_e32 v11, 3, v20
	v_cmp_gt_u32_e64 s[0:1], 8, v20
	v_ffbh_u32_e32 v20, v18
	v_min_u32_e32 v21, 32, v20
	v_mov_b32_e32 v19, v5
	v_subrev_u32_e32 v20, 28, v21
	v_lshlrev_b64 v[19:20], v20, v[18:19]
	v_sub_u32_e32 v20, 29, v21
	v_and_b32_e32 v19, 7, v19
	v_cndmask_b32_e64 v11, v11, v20, s[0:1]
	v_cndmask_b32_e64 v18, v18, v19, s[0:1]
	v_lshlrev_b32_e32 v19, 16, v15
	v_lshl_add_u32 v11, v11, 23, v62
	v_and_or_b32 v11, v19, s26, v11
	v_lshlrev_b32_e32 v18, 20, v18
	v_or_b32_e32 v19, v11, v18
	v_mov_b32_e32 v18, v5
.LBB211_536:                            ;   in Loop: Header=BB211_318 Depth=1
	s_or_b64 exec, exec, s[14:15]
.LBB211_537:                            ;   in Loop: Header=BB211_318 Depth=1
	s_or_b64 exec, exec, s[12:13]
.LBB211_538:                            ;   in Loop: Header=BB211_318 Depth=1
	s_or_b64 exec, exec, s[6:7]
	v_lshrrev_b32_e32 v11, 16, v15
	v_mov_b32_e32 v22, 0
	v_mov_b32_e32 v20, 0
	;; [unrolled: 1-line block ×4, first 2 shown]
	v_cmp_ne_u16_sdwa s[0:1], v11, v5 src0_sel:BYTE_0 src1_sel:DWORD
	s_and_saveexec_b64 s[6:7], s[0:1]
	s_cbranch_execz .LBB211_544
; %bb.539:                              ;   in Loop: Header=BB211_318 Depth=1
	v_bfrev_b32_e32 v20, 1
	v_mov_b32_e32 v21, 0
	v_cmp_ne_u16_sdwa s[0:1], v11, s24 src0_sel:BYTE_0 src1_sel:DWORD
	s_and_saveexec_b64 s[12:13], s[0:1]
	s_cbranch_execz .LBB211_543
; %bb.540:                              ;   in Loop: Header=BB211_318 Depth=1
	v_bfe_u32 v49, v15, 16, 7
	v_mov_b32_e32 v20, 0x7f800001
	v_mov_b32_e32 v21, 0
	v_cmp_ne_u32_e64 s[0:1], s25, v49
	s_and_saveexec_b64 s[14:15], s[0:1]
	s_cbranch_execz .LBB211_542
; %bb.541:                              ;   in Loop: Header=BB211_318 Depth=1
	v_and_b32_e32 v50, 7, v11
	v_ffbh_u32_e32 v20, v50
	v_lshrrev_b32_e32 v51, 3, v49
	v_cmp_gt_u32_e64 s[0:1], 8, v49
	v_min_u32_e32 v49, 32, v20
	v_subrev_u32_e32 v20, 28, v49
	v_lshlrev_b64 v[20:21], v20, v[11:12]
	v_sub_u32_e32 v21, 29, v49
	v_and_b32_e32 v20, 7, v20
	v_cndmask_b32_e64 v21, v51, v21, s[0:1]
	v_cndmask_b32_e64 v20, v50, v20, s[0:1]
	v_lshlrev_b32_e32 v20, 20, v20
	v_and_b32_sdwa v11, sext(v11), s26 dst_sel:DWORD dst_unused:UNUSED_PAD src0_sel:BYTE_0 src1_sel:DWORD
	v_lshl_add_u32 v21, v21, 23, v62
	v_or3_b32 v20, v11, v21, v20
	v_mov_b32_e32 v21, v5
.LBB211_542:                            ;   in Loop: Header=BB211_318 Depth=1
	s_or_b64 exec, exec, s[14:15]
.LBB211_543:                            ;   in Loop: Header=BB211_318 Depth=1
	s_or_b64 exec, exec, s[12:13]
.LBB211_544:                            ;   in Loop: Header=BB211_318 Depth=1
	s_or_b64 exec, exec, s[6:7]
	v_cmp_lt_u32_e64 s[0:1], s27, v15
	s_and_saveexec_b64 s[6:7], s[0:1]
	s_cbranch_execz .LBB211_550
; %bb.545:                              ;   in Loop: Header=BB211_318 Depth=1
	v_mov_b32_e32 v23, v6
	v_cmp_ne_u32_sdwa s[0:1], v15, s24 src0_sel:BYTE_3 src1_sel:DWORD
	v_mov_b32_e32 v22, v5
	s_and_saveexec_b64 s[12:13], s[0:1]
	s_cbranch_execz .LBB211_549
; %bb.546:                              ;   in Loop: Header=BB211_318 Depth=1
	v_bfe_u32 v49, v15, 24, 7
	v_mov_b32_e32 v11, v5
	v_mov_b32_e32 v23, v12
	v_cmp_ne_u32_e64 s[0:1], s25, v49
	v_mov_b32_e32 v22, v11
	s_and_saveexec_b64 s[14:15], s[0:1]
	s_cbranch_execz .LBB211_548
; %bb.547:                              ;   in Loop: Header=BB211_318 Depth=1
	v_and_b32_sdwa v22, v15, v61 dst_sel:DWORD dst_unused:UNUSED_PAD src0_sel:BYTE_3 src1_sel:DWORD
	v_lshrrev_b32_e32 v11, 3, v49
	v_cmp_gt_u32_e64 s[0:1], 8, v49
	v_ffbh_u32_e32 v49, v22
	v_min_u32_e32 v51, 32, v49
	v_mov_b32_e32 v23, v5
	v_subrev_u32_e32 v49, 28, v51
	v_lshlrev_b64 v[49:50], v49, v[22:23]
	v_sub_u32_e32 v23, 29, v51
	v_and_b32_e32 v49, 7, v49
	v_cndmask_b32_e64 v11, v11, v23, s[0:1]
	v_mov_b32_e32 v0, 24
	v_cndmask_b32_e64 v22, v22, v49, s[0:1]
	v_lshlrev_b32_sdwa v15, v0, v15 dst_sel:DWORD dst_unused:UNUSED_PAD src0_sel:DWORD src1_sel:BYTE_3
	v_lshl_add_u32 v11, v11, 23, v62
	v_and_or_b32 v11, v15, s26, v11
	v_lshlrev_b32_e32 v15, 20, v22
	v_or_b32_e32 v23, v11, v15
	v_mov_b32_e32 v22, v5
.LBB211_548:                            ;   in Loop: Header=BB211_318 Depth=1
	s_or_b64 exec, exec, s[14:15]
.LBB211_549:                            ;   in Loop: Header=BB211_318 Depth=1
	s_or_b64 exec, exec, s[12:13]
.LBB211_550:                            ;   in Loop: Header=BB211_318 Depth=1
	s_or_b64 exec, exec, s[6:7]
	v_or_b32_e32 v11, v19, v17
	v_or_b32_e32 v15, v18, v16
	v_mul_f32_e32 v54, s18, v11
	v_mul_f32_e32 v50, s17, v15
	v_or_b32_e32 v11, v23, v21
	v_or_b32_e32 v15, v22, v20
	v_mul_f32_e32 v49, s17, v15
	v_mul_f32_e32 v55, s18, v11
	s_and_saveexec_b64 s[6:7], vcc
	s_cbranch_execz .LBB211_552
; %bb.551:                              ;   in Loop: Header=BB211_318 Depth=1
	v_add_u32_e32 v0, -3, v40
	v_cmp_gt_i32_e64 s[0:1], s30, v0
	v_add_u32_e32 v0, -2, v40
	v_cndmask_b32_e64 v50, 0, v50, s[0:1]
	v_cmp_gt_i32_e64 s[0:1], s30, v0
	v_add_u32_e32 v0, -1, v40
	v_cndmask_b32_e64 v54, 0, v54, s[0:1]
	v_cmp_gt_i32_e64 s[0:1], s30, v0
	v_cndmask_b32_e64 v49, 0, v49, s[0:1]
	v_cmp_gt_i32_e64 s[0:1], s30, v40
	v_cndmask_b32_e64 v55, 0, v55, s[0:1]
.LBB211_552:                            ;   in Loop: Header=BB211_318 Depth=1
	s_or_b64 exec, exec, s[6:7]
	global_load_dword v15, v[13:14], off offset:2304
	v_mov_b32_e32 v18, 0
	v_mov_b32_e32 v16, 0
	;; [unrolled: 1-line block ×4, first 2 shown]
	s_waitcnt vmcnt(0)
	v_cmp_ne_u16_sdwa s[0:1], v15, v5 src0_sel:BYTE_0 src1_sel:DWORD
	s_and_saveexec_b64 s[6:7], s[0:1]
	s_cbranch_execz .LBB211_558
; %bb.553:                              ;   in Loop: Header=BB211_318 Depth=1
	v_bfrev_b32_e32 v16, 1
	v_mov_b32_e32 v17, 0
	v_cmp_ne_u16_sdwa s[0:1], v15, s24 src0_sel:BYTE_0 src1_sel:DWORD
	s_and_saveexec_b64 s[12:13], s[0:1]
	s_cbranch_execz .LBB211_557
; %bb.554:                              ;   in Loop: Header=BB211_318 Depth=1
	v_and_b32_e32 v11, 0x7f, v15
	v_mov_b32_e32 v16, 0x7f800001
	v_mov_b32_e32 v17, 0
	v_cmp_ne_u32_e64 s[0:1], s25, v11
	s_and_saveexec_b64 s[14:15], s[0:1]
	s_cbranch_execz .LBB211_556
; %bb.555:                              ;   in Loop: Header=BB211_318 Depth=1
	v_and_b32_e32 v20, 7, v15
	v_lshrrev_b32_e32 v21, 3, v11
	v_cmp_gt_u32_e64 s[0:1], 8, v11
	v_ffbh_u32_e32 v11, v20
	v_min_u32_e32 v11, 32, v11
	v_subrev_u32_e32 v16, 28, v11
	v_lshlrev_b64 v[16:17], v16, v[15:16]
	v_sub_u32_e32 v11, 29, v11
	v_and_b32_e32 v16, 7, v16
	v_cndmask_b32_e64 v11, v21, v11, s[0:1]
	v_cndmask_b32_e64 v16, v20, v16, s[0:1]
	v_lshlrev_b32_e32 v16, 20, v16
	v_and_b32_sdwa v17, sext(v15), s26 dst_sel:DWORD dst_unused:UNUSED_PAD src0_sel:BYTE_0 src1_sel:DWORD
	v_lshl_add_u32 v11, v11, 23, v62
	v_or3_b32 v16, v17, v11, v16
	v_mov_b32_e32 v17, v5
.LBB211_556:                            ;   in Loop: Header=BB211_318 Depth=1
	s_or_b64 exec, exec, s[14:15]
.LBB211_557:                            ;   in Loop: Header=BB211_318 Depth=1
	s_or_b64 exec, exec, s[12:13]
.LBB211_558:                            ;   in Loop: Header=BB211_318 Depth=1
	s_or_b64 exec, exec, s[6:7]
	v_cmp_ne_u16_sdwa s[0:1], v15, v5 src0_sel:BYTE_1 src1_sel:DWORD
	s_and_saveexec_b64 s[6:7], s[0:1]
	s_cbranch_execz .LBB211_564
; %bb.559:                              ;   in Loop: Header=BB211_318 Depth=1
	v_mov_b32_e32 v19, v6
	v_cmp_ne_u16_sdwa s[0:1], v15, s24 src0_sel:BYTE_1 src1_sel:DWORD
	v_mov_b32_e32 v18, v5
	s_and_saveexec_b64 s[12:13], s[0:1]
	s_cbranch_execz .LBB211_563
; %bb.560:                              ;   in Loop: Header=BB211_318 Depth=1
	v_and_b32_sdwa v20, v15, s25 dst_sel:DWORD dst_unused:UNUSED_PAD src0_sel:BYTE_1 src1_sel:DWORD
	v_mov_b32_e32 v11, v5
	v_mov_b32_e32 v19, v12
	v_cmp_ne_u32_e64 s[0:1], s25, v20
	v_mov_b32_e32 v18, v11
	s_and_saveexec_b64 s[14:15], s[0:1]
	s_cbranch_execz .LBB211_562
; %bb.561:                              ;   in Loop: Header=BB211_318 Depth=1
	v_and_b32_sdwa v18, v15, v61 dst_sel:DWORD dst_unused:UNUSED_PAD src0_sel:BYTE_1 src1_sel:DWORD
	v_lshrrev_b32_e32 v11, 3, v20
	v_cmp_gt_u32_e64 s[0:1], 8, v20
	v_ffbh_u32_e32 v20, v18
	v_min_u32_e32 v21, 32, v20
	v_mov_b32_e32 v19, v5
	v_subrev_u32_e32 v20, 28, v21
	v_lshlrev_b64 v[19:20], v20, v[18:19]
	v_sub_u32_e32 v20, 29, v21
	v_and_b32_e32 v19, 7, v19
	v_cndmask_b32_e64 v11, v11, v20, s[0:1]
	v_cndmask_b32_e64 v18, v18, v19, s[0:1]
	v_lshlrev_b32_e32 v19, 16, v15
	v_lshl_add_u32 v11, v11, 23, v62
	v_and_or_b32 v11, v19, s26, v11
	v_lshlrev_b32_e32 v18, 20, v18
	v_or_b32_e32 v19, v11, v18
	v_mov_b32_e32 v18, v5
.LBB211_562:                            ;   in Loop: Header=BB211_318 Depth=1
	s_or_b64 exec, exec, s[14:15]
.LBB211_563:                            ;   in Loop: Header=BB211_318 Depth=1
	s_or_b64 exec, exec, s[12:13]
.LBB211_564:                            ;   in Loop: Header=BB211_318 Depth=1
	s_or_b64 exec, exec, s[6:7]
	v_lshrrev_b32_e32 v11, 16, v15
	v_mov_b32_e32 v22, 0
	v_mov_b32_e32 v20, 0
	v_mov_b32_e32 v23, 0
	v_mov_b32_e32 v21, 0
	v_cmp_ne_u16_sdwa s[0:1], v11, v5 src0_sel:BYTE_0 src1_sel:DWORD
	s_and_saveexec_b64 s[6:7], s[0:1]
	s_cbranch_execz .LBB211_570
; %bb.565:                              ;   in Loop: Header=BB211_318 Depth=1
	v_bfrev_b32_e32 v20, 1
	v_mov_b32_e32 v21, 0
	v_cmp_ne_u16_sdwa s[0:1], v11, s24 src0_sel:BYTE_0 src1_sel:DWORD
	s_and_saveexec_b64 s[12:13], s[0:1]
	s_cbranch_execz .LBB211_569
; %bb.566:                              ;   in Loop: Header=BB211_318 Depth=1
	v_bfe_u32 v51, v15, 16, 7
	v_mov_b32_e32 v20, 0x7f800001
	v_mov_b32_e32 v21, 0
	v_cmp_ne_u32_e64 s[0:1], s25, v51
	s_and_saveexec_b64 s[14:15], s[0:1]
	s_cbranch_execz .LBB211_568
; %bb.567:                              ;   in Loop: Header=BB211_318 Depth=1
	v_and_b32_e32 v56, 7, v11
	v_ffbh_u32_e32 v20, v56
	v_lshrrev_b32_e32 v57, 3, v51
	v_cmp_gt_u32_e64 s[0:1], 8, v51
	v_min_u32_e32 v51, 32, v20
	v_subrev_u32_e32 v20, 28, v51
	v_lshlrev_b64 v[20:21], v20, v[11:12]
	v_sub_u32_e32 v21, 29, v51
	v_and_b32_e32 v20, 7, v20
	v_cndmask_b32_e64 v21, v57, v21, s[0:1]
	v_cndmask_b32_e64 v20, v56, v20, s[0:1]
	v_lshlrev_b32_e32 v20, 20, v20
	v_and_b32_sdwa v11, sext(v11), s26 dst_sel:DWORD dst_unused:UNUSED_PAD src0_sel:BYTE_0 src1_sel:DWORD
	v_lshl_add_u32 v21, v21, 23, v62
	v_or3_b32 v20, v11, v21, v20
	v_mov_b32_e32 v21, v5
.LBB211_568:                            ;   in Loop: Header=BB211_318 Depth=1
	s_or_b64 exec, exec, s[14:15]
.LBB211_569:                            ;   in Loop: Header=BB211_318 Depth=1
	s_or_b64 exec, exec, s[12:13]
.LBB211_570:                            ;   in Loop: Header=BB211_318 Depth=1
	s_or_b64 exec, exec, s[6:7]
	v_cmp_lt_u32_e64 s[0:1], s27, v15
	s_and_saveexec_b64 s[6:7], s[0:1]
	s_cbranch_execz .LBB211_576
; %bb.571:                              ;   in Loop: Header=BB211_318 Depth=1
	v_mov_b32_e32 v23, v6
	v_cmp_ne_u32_sdwa s[0:1], v15, s24 src0_sel:BYTE_3 src1_sel:DWORD
	v_mov_b32_e32 v22, v5
	s_and_saveexec_b64 s[12:13], s[0:1]
	s_cbranch_execz .LBB211_575
; %bb.572:                              ;   in Loop: Header=BB211_318 Depth=1
	v_bfe_u32 v51, v15, 24, 7
	v_mov_b32_e32 v11, v5
	v_mov_b32_e32 v23, v12
	v_cmp_ne_u32_e64 s[0:1], s25, v51
	v_mov_b32_e32 v22, v11
	s_and_saveexec_b64 s[14:15], s[0:1]
	s_cbranch_execz .LBB211_574
; %bb.573:                              ;   in Loop: Header=BB211_318 Depth=1
	v_and_b32_sdwa v22, v15, v61 dst_sel:DWORD dst_unused:UNUSED_PAD src0_sel:BYTE_3 src1_sel:DWORD
	v_lshrrev_b32_e32 v11, 3, v51
	v_cmp_gt_u32_e64 s[0:1], 8, v51
	v_ffbh_u32_e32 v51, v22
	v_min_u32_e32 v51, 32, v51
	v_mov_b32_e32 v23, v5
	v_subrev_u32_e32 v56, 28, v51
	v_lshlrev_b64 v[56:57], v56, v[22:23]
	v_sub_u32_e32 v23, 29, v51
	v_and_b32_e32 v51, 7, v56
	v_cndmask_b32_e64 v11, v11, v23, s[0:1]
	v_mov_b32_e32 v0, 24
	v_cndmask_b32_e64 v22, v22, v51, s[0:1]
	v_lshlrev_b32_sdwa v15, v0, v15 dst_sel:DWORD dst_unused:UNUSED_PAD src0_sel:DWORD src1_sel:BYTE_3
	v_lshl_add_u32 v11, v11, 23, v62
	v_and_or_b32 v11, v15, s26, v11
	v_lshlrev_b32_e32 v15, 20, v22
	v_or_b32_e32 v23, v11, v15
	v_mov_b32_e32 v22, v5
.LBB211_574:                            ;   in Loop: Header=BB211_318 Depth=1
	s_or_b64 exec, exec, s[14:15]
.LBB211_575:                            ;   in Loop: Header=BB211_318 Depth=1
	s_or_b64 exec, exec, s[12:13]
.LBB211_576:                            ;   in Loop: Header=BB211_318 Depth=1
	s_or_b64 exec, exec, s[6:7]
	v_or_b32_e32 v11, v19, v17
	v_or_b32_e32 v15, v18, v16
	v_mul_f32_e32 v51, s18, v11
	v_mul_f32_e32 v58, s17, v15
	v_or_b32_e32 v11, v23, v21
	v_or_b32_e32 v15, v22, v20
	v_mul_f32_e32 v57, s17, v15
	v_mul_f32_e32 v56, s18, v11
	s_and_saveexec_b64 s[6:7], vcc
	s_cbranch_execz .LBB211_578
; %bb.577:                              ;   in Loop: Header=BB211_318 Depth=1
	v_add_u32_e32 v0, -3, v40
	v_cmp_gt_i32_e64 s[0:1], s30, v0
	v_add_u32_e32 v0, -2, v40
	v_cndmask_b32_e64 v58, 0, v58, s[0:1]
	v_cmp_gt_i32_e64 s[0:1], s30, v0
	v_add_u32_e32 v0, -1, v40
	v_cndmask_b32_e64 v51, 0, v51, s[0:1]
	v_cmp_gt_i32_e64 s[0:1], s30, v0
	v_cndmask_b32_e64 v57, 0, v57, s[0:1]
	v_cmp_gt_i32_e64 s[0:1], s30, v40
	v_cndmask_b32_e64 v56, 0, v56, s[0:1]
.LBB211_578:                            ;   in Loop: Header=BB211_318 Depth=1
	s_or_b64 exec, exec, s[6:7]
	global_load_dword v15, v[13:14], off offset:2560
	v_mov_b32_e32 v18, 0
	v_mov_b32_e32 v16, 0
	;; [unrolled: 1-line block ×4, first 2 shown]
	s_waitcnt vmcnt(0)
	v_cmp_ne_u16_sdwa s[0:1], v15, v5 src0_sel:BYTE_0 src1_sel:DWORD
	s_and_saveexec_b64 s[6:7], s[0:1]
	s_cbranch_execz .LBB211_584
; %bb.579:                              ;   in Loop: Header=BB211_318 Depth=1
	v_bfrev_b32_e32 v16, 1
	v_mov_b32_e32 v17, 0
	v_cmp_ne_u16_sdwa s[0:1], v15, s24 src0_sel:BYTE_0 src1_sel:DWORD
	s_and_saveexec_b64 s[12:13], s[0:1]
	s_cbranch_execz .LBB211_583
; %bb.580:                              ;   in Loop: Header=BB211_318 Depth=1
	v_and_b32_e32 v11, 0x7f, v15
	v_mov_b32_e32 v16, 0x7f800001
	v_mov_b32_e32 v17, 0
	v_cmp_ne_u32_e64 s[0:1], s25, v11
	s_and_saveexec_b64 s[14:15], s[0:1]
	s_cbranch_execz .LBB211_582
; %bb.581:                              ;   in Loop: Header=BB211_318 Depth=1
	v_and_b32_e32 v20, 7, v15
	v_lshrrev_b32_e32 v21, 3, v11
	v_cmp_gt_u32_e64 s[0:1], 8, v11
	v_ffbh_u32_e32 v11, v20
	v_min_u32_e32 v11, 32, v11
	v_subrev_u32_e32 v16, 28, v11
	v_lshlrev_b64 v[16:17], v16, v[15:16]
	v_sub_u32_e32 v11, 29, v11
	v_and_b32_e32 v16, 7, v16
	v_cndmask_b32_e64 v11, v21, v11, s[0:1]
	v_cndmask_b32_e64 v16, v20, v16, s[0:1]
	v_lshlrev_b32_e32 v16, 20, v16
	v_and_b32_sdwa v17, sext(v15), s26 dst_sel:DWORD dst_unused:UNUSED_PAD src0_sel:BYTE_0 src1_sel:DWORD
	v_lshl_add_u32 v11, v11, 23, v62
	v_or3_b32 v16, v17, v11, v16
	v_mov_b32_e32 v17, v5
.LBB211_582:                            ;   in Loop: Header=BB211_318 Depth=1
	s_or_b64 exec, exec, s[14:15]
.LBB211_583:                            ;   in Loop: Header=BB211_318 Depth=1
	s_or_b64 exec, exec, s[12:13]
.LBB211_584:                            ;   in Loop: Header=BB211_318 Depth=1
	s_or_b64 exec, exec, s[6:7]
	v_cmp_ne_u16_sdwa s[0:1], v15, v5 src0_sel:BYTE_1 src1_sel:DWORD
	s_and_saveexec_b64 s[6:7], s[0:1]
	s_cbranch_execz .LBB211_590
; %bb.585:                              ;   in Loop: Header=BB211_318 Depth=1
	v_mov_b32_e32 v19, v6
	v_cmp_ne_u16_sdwa s[0:1], v15, s24 src0_sel:BYTE_1 src1_sel:DWORD
	v_mov_b32_e32 v18, v5
	s_and_saveexec_b64 s[12:13], s[0:1]
	s_cbranch_execz .LBB211_589
; %bb.586:                              ;   in Loop: Header=BB211_318 Depth=1
	v_and_b32_sdwa v20, v15, s25 dst_sel:DWORD dst_unused:UNUSED_PAD src0_sel:BYTE_1 src1_sel:DWORD
	v_mov_b32_e32 v11, v5
	v_mov_b32_e32 v19, v12
	v_cmp_ne_u32_e64 s[0:1], s25, v20
	v_mov_b32_e32 v18, v11
	s_and_saveexec_b64 s[14:15], s[0:1]
	s_cbranch_execz .LBB211_588
; %bb.587:                              ;   in Loop: Header=BB211_318 Depth=1
	v_and_b32_sdwa v18, v15, v61 dst_sel:DWORD dst_unused:UNUSED_PAD src0_sel:BYTE_1 src1_sel:DWORD
	v_lshrrev_b32_e32 v11, 3, v20
	v_cmp_gt_u32_e64 s[0:1], 8, v20
	v_ffbh_u32_e32 v20, v18
	v_min_u32_e32 v21, 32, v20
	v_mov_b32_e32 v19, v5
	v_subrev_u32_e32 v20, 28, v21
	v_lshlrev_b64 v[19:20], v20, v[18:19]
	v_sub_u32_e32 v20, 29, v21
	v_and_b32_e32 v19, 7, v19
	v_cndmask_b32_e64 v11, v11, v20, s[0:1]
	v_cndmask_b32_e64 v18, v18, v19, s[0:1]
	v_lshlrev_b32_e32 v19, 16, v15
	v_lshl_add_u32 v11, v11, 23, v62
	v_and_or_b32 v11, v19, s26, v11
	v_lshlrev_b32_e32 v18, 20, v18
	v_or_b32_e32 v19, v11, v18
	v_mov_b32_e32 v18, v5
.LBB211_588:                            ;   in Loop: Header=BB211_318 Depth=1
	s_or_b64 exec, exec, s[14:15]
.LBB211_589:                            ;   in Loop: Header=BB211_318 Depth=1
	s_or_b64 exec, exec, s[12:13]
.LBB211_590:                            ;   in Loop: Header=BB211_318 Depth=1
	s_or_b64 exec, exec, s[6:7]
	v_lshrrev_b32_e32 v11, 16, v15
	v_mov_b32_e32 v22, 0
	v_mov_b32_e32 v20, 0
	;; [unrolled: 1-line block ×4, first 2 shown]
	v_cmp_ne_u16_sdwa s[0:1], v11, v5 src0_sel:BYTE_0 src1_sel:DWORD
	s_and_saveexec_b64 s[6:7], s[0:1]
	s_cbranch_execz .LBB211_596
; %bb.591:                              ;   in Loop: Header=BB211_318 Depth=1
	v_bfrev_b32_e32 v20, 1
	v_mov_b32_e32 v21, 0
	v_cmp_ne_u16_sdwa s[0:1], v11, s24 src0_sel:BYTE_0 src1_sel:DWORD
	s_and_saveexec_b64 s[12:13], s[0:1]
	s_cbranch_execz .LBB211_595
; %bb.592:                              ;   in Loop: Header=BB211_318 Depth=1
	v_bfe_u32 v59, v15, 16, 7
	v_mov_b32_e32 v20, 0x7f800001
	v_mov_b32_e32 v21, 0
	v_cmp_ne_u32_e64 s[0:1], s25, v59
	s_and_saveexec_b64 s[14:15], s[0:1]
	s_cbranch_execz .LBB211_594
; %bb.593:                              ;   in Loop: Header=BB211_318 Depth=1
	v_and_b32_e32 v60, 7, v11
	v_ffbh_u32_e32 v20, v60
	v_lshrrev_b32_e32 v61, 3, v59
	v_cmp_gt_u32_e64 s[0:1], 8, v59
	v_min_u32_e32 v59, 32, v20
	v_subrev_u32_e32 v20, 28, v59
	v_lshlrev_b64 v[20:21], v20, v[11:12]
	v_sub_u32_e32 v21, 29, v59
	v_and_b32_e32 v20, 7, v20
	v_cndmask_b32_e64 v21, v61, v21, s[0:1]
	v_cndmask_b32_e64 v20, v60, v20, s[0:1]
	v_lshlrev_b32_e32 v20, 20, v20
	v_and_b32_sdwa v11, sext(v11), s26 dst_sel:DWORD dst_unused:UNUSED_PAD src0_sel:BYTE_0 src1_sel:DWORD
	v_lshl_add_u32 v21, v21, 23, v62
	v_mov_b32_e32 v61, 7
	v_or3_b32 v20, v11, v21, v20
	v_mov_b32_e32 v21, v5
.LBB211_594:                            ;   in Loop: Header=BB211_318 Depth=1
	s_or_b64 exec, exec, s[14:15]
.LBB211_595:                            ;   in Loop: Header=BB211_318 Depth=1
	s_or_b64 exec, exec, s[12:13]
.LBB211_596:                            ;   in Loop: Header=BB211_318 Depth=1
	s_or_b64 exec, exec, s[6:7]
	v_cmp_lt_u32_e64 s[0:1], s27, v15
	s_and_saveexec_b64 s[6:7], s[0:1]
	s_cbranch_execz .LBB211_602
; %bb.597:                              ;   in Loop: Header=BB211_318 Depth=1
	v_mov_b32_e32 v23, v6
	v_cmp_ne_u32_sdwa s[0:1], v15, s24 src0_sel:BYTE_3 src1_sel:DWORD
	v_mov_b32_e32 v22, v5
	s_and_saveexec_b64 s[12:13], s[0:1]
	s_cbranch_execz .LBB211_601
; %bb.598:                              ;   in Loop: Header=BB211_318 Depth=1
	v_bfe_u32 v59, v15, 24, 7
	v_mov_b32_e32 v11, v5
	v_mov_b32_e32 v23, v12
	v_cmp_ne_u32_e64 s[0:1], s25, v59
	v_mov_b32_e32 v22, v11
	s_and_saveexec_b64 s[14:15], s[0:1]
	s_cbranch_execz .LBB211_600
; %bb.599:                              ;   in Loop: Header=BB211_318 Depth=1
	v_and_b32_sdwa v22, v15, v61 dst_sel:DWORD dst_unused:UNUSED_PAD src0_sel:BYTE_3 src1_sel:DWORD
	v_lshrrev_b32_e32 v11, 3, v59
	v_cmp_gt_u32_e64 s[0:1], 8, v59
	v_ffbh_u32_e32 v59, v22
	v_min_u32_e32 v61, 32, v59
	v_mov_b32_e32 v23, v5
	v_subrev_u32_e32 v59, 28, v61
	v_lshlrev_b64 v[59:60], v59, v[22:23]
	v_sub_u32_e32 v23, 29, v61
	v_and_b32_e32 v59, 7, v59
	v_cndmask_b32_e64 v11, v11, v23, s[0:1]
	v_mov_b32_e32 v0, 24
	v_cndmask_b32_e64 v22, v22, v59, s[0:1]
	v_lshlrev_b32_sdwa v15, v0, v15 dst_sel:DWORD dst_unused:UNUSED_PAD src0_sel:DWORD src1_sel:BYTE_3
	v_lshl_add_u32 v11, v11, 23, v62
	v_and_or_b32 v11, v15, s26, v11
	v_lshlrev_b32_e32 v15, 20, v22
	v_mov_b32_e32 v61, 7
	v_or_b32_e32 v23, v11, v15
	v_mov_b32_e32 v22, v5
.LBB211_600:                            ;   in Loop: Header=BB211_318 Depth=1
	s_or_b64 exec, exec, s[14:15]
.LBB211_601:                            ;   in Loop: Header=BB211_318 Depth=1
	s_or_b64 exec, exec, s[12:13]
.LBB211_602:                            ;   in Loop: Header=BB211_318 Depth=1
	s_or_b64 exec, exec, s[6:7]
	v_or_b32_e32 v11, v19, v17
	v_or_b32_e32 v15, v18, v16
	v_mul_f32_e32 v59, s18, v11
	v_mul_f32_e32 v60, s17, v15
	v_or_b32_e32 v11, v23, v21
	v_or_b32_e32 v15, v22, v20
	v_mul_f32_e32 v23, s17, v15
	v_mul_f32_e32 v22, s18, v11
	s_and_saveexec_b64 s[6:7], vcc
	s_cbranch_execz .LBB211_604
; %bb.603:                              ;   in Loop: Header=BB211_318 Depth=1
	v_add_u32_e32 v0, -3, v40
	v_cmp_gt_i32_e64 s[0:1], s30, v0
	v_add_u32_e32 v0, -2, v40
	v_cndmask_b32_e64 v60, 0, v60, s[0:1]
	v_cmp_gt_i32_e64 s[0:1], s30, v0
	v_add_u32_e32 v0, -1, v40
	v_cndmask_b32_e64 v59, 0, v59, s[0:1]
	v_cmp_gt_i32_e64 s[0:1], s30, v0
	v_cndmask_b32_e64 v23, 0, v23, s[0:1]
	v_cmp_gt_i32_e64 s[0:1], s30, v40
	v_cndmask_b32_e64 v22, 0, v22, s[0:1]
.LBB211_604:                            ;   in Loop: Header=BB211_318 Depth=1
	s_or_b64 exec, exec, s[6:7]
	global_load_dword v13, v[13:14], off offset:2816
	v_mov_b32_e32 v16, 0
	v_mov_b32_e32 v14, 0
	;; [unrolled: 1-line block ×4, first 2 shown]
	s_waitcnt vmcnt(0)
	v_cmp_ne_u16_sdwa s[0:1], v13, v5 src0_sel:BYTE_0 src1_sel:DWORD
	s_and_saveexec_b64 s[6:7], s[0:1]
	s_cbranch_execz .LBB211_610
; %bb.605:                              ;   in Loop: Header=BB211_318 Depth=1
	v_bfrev_b32_e32 v14, 1
	v_mov_b32_e32 v15, 0
	v_cmp_ne_u16_sdwa s[0:1], v13, s24 src0_sel:BYTE_0 src1_sel:DWORD
	s_and_saveexec_b64 s[12:13], s[0:1]
	s_cbranch_execz .LBB211_609
; %bb.606:                              ;   in Loop: Header=BB211_318 Depth=1
	v_and_b32_e32 v11, 0x7f, v13
	v_mov_b32_e32 v14, 0x7f800001
	v_mov_b32_e32 v15, 0
	v_cmp_ne_u32_e64 s[0:1], s25, v11
	s_and_saveexec_b64 s[14:15], s[0:1]
	s_cbranch_execz .LBB211_608
; %bb.607:                              ;   in Loop: Header=BB211_318 Depth=1
	v_and_b32_e32 v18, 7, v13
	v_lshrrev_b32_e32 v19, 3, v11
	v_cmp_gt_u32_e64 s[0:1], 8, v11
	v_ffbh_u32_e32 v11, v18
	v_min_u32_e32 v11, 32, v11
	v_subrev_u32_e32 v14, 28, v11
	v_lshlrev_b64 v[14:15], v14, v[13:14]
	v_sub_u32_e32 v11, 29, v11
	v_and_b32_e32 v14, 7, v14
	v_cndmask_b32_e64 v11, v19, v11, s[0:1]
	v_cndmask_b32_e64 v14, v18, v14, s[0:1]
	v_lshlrev_b32_e32 v14, 20, v14
	v_and_b32_sdwa v15, sext(v13), s26 dst_sel:DWORD dst_unused:UNUSED_PAD src0_sel:BYTE_0 src1_sel:DWORD
	v_lshl_add_u32 v11, v11, 23, v62
	v_or3_b32 v14, v15, v11, v14
	v_mov_b32_e32 v15, v5
.LBB211_608:                            ;   in Loop: Header=BB211_318 Depth=1
	s_or_b64 exec, exec, s[14:15]
.LBB211_609:                            ;   in Loop: Header=BB211_318 Depth=1
	s_or_b64 exec, exec, s[12:13]
.LBB211_610:                            ;   in Loop: Header=BB211_318 Depth=1
	s_or_b64 exec, exec, s[6:7]
	v_cmp_ne_u16_sdwa s[0:1], v13, v5 src0_sel:BYTE_1 src1_sel:DWORD
	s_and_saveexec_b64 s[6:7], s[0:1]
	s_cbranch_execz .LBB211_616
; %bb.611:                              ;   in Loop: Header=BB211_318 Depth=1
	v_mov_b32_e32 v17, v6
	v_cmp_ne_u16_sdwa s[0:1], v13, s24 src0_sel:BYTE_1 src1_sel:DWORD
	v_mov_b32_e32 v16, v5
	s_and_saveexec_b64 s[12:13], s[0:1]
	s_cbranch_execz .LBB211_615
; %bb.612:                              ;   in Loop: Header=BB211_318 Depth=1
	v_and_b32_sdwa v18, v13, s25 dst_sel:DWORD dst_unused:UNUSED_PAD src0_sel:BYTE_1 src1_sel:DWORD
	v_mov_b32_e32 v11, v5
	v_mov_b32_e32 v17, v12
	v_cmp_ne_u32_e64 s[0:1], s25, v18
	v_mov_b32_e32 v16, v11
	s_and_saveexec_b64 s[14:15], s[0:1]
	s_cbranch_execz .LBB211_614
; %bb.613:                              ;   in Loop: Header=BB211_318 Depth=1
	v_and_b32_sdwa v16, v13, v61 dst_sel:DWORD dst_unused:UNUSED_PAD src0_sel:BYTE_1 src1_sel:DWORD
	v_lshrrev_b32_e32 v11, 3, v18
	v_cmp_gt_u32_e64 s[0:1], 8, v18
	v_ffbh_u32_e32 v18, v16
	v_min_u32_e32 v19, 32, v18
	v_mov_b32_e32 v17, v5
	v_subrev_u32_e32 v18, 28, v19
	v_lshlrev_b64 v[17:18], v18, v[16:17]
	v_sub_u32_e32 v18, 29, v19
	v_and_b32_e32 v17, 7, v17
	v_cndmask_b32_e64 v11, v11, v18, s[0:1]
	v_cndmask_b32_e64 v16, v16, v17, s[0:1]
	v_lshlrev_b32_e32 v17, 16, v13
	v_lshl_add_u32 v11, v11, 23, v62
	v_and_or_b32 v11, v17, s26, v11
	v_lshlrev_b32_e32 v16, 20, v16
	v_or_b32_e32 v17, v11, v16
	v_mov_b32_e32 v16, v5
.LBB211_614:                            ;   in Loop: Header=BB211_318 Depth=1
	s_or_b64 exec, exec, s[14:15]
.LBB211_615:                            ;   in Loop: Header=BB211_318 Depth=1
	s_or_b64 exec, exec, s[12:13]
.LBB211_616:                            ;   in Loop: Header=BB211_318 Depth=1
	s_or_b64 exec, exec, s[6:7]
	v_lshrrev_b32_e32 v11, 16, v13
	v_mov_b32_e32 v20, 0
	v_mov_b32_e32 v18, 0
	;; [unrolled: 1-line block ×4, first 2 shown]
	v_cmp_ne_u16_sdwa s[0:1], v11, v5 src0_sel:BYTE_0 src1_sel:DWORD
	s_and_saveexec_b64 s[6:7], s[0:1]
	s_cbranch_execz .LBB211_622
; %bb.617:                              ;   in Loop: Header=BB211_318 Depth=1
	v_bfrev_b32_e32 v18, 1
	v_mov_b32_e32 v19, 0
	v_cmp_ne_u16_sdwa s[0:1], v11, s24 src0_sel:BYTE_0 src1_sel:DWORD
	s_and_saveexec_b64 s[12:13], s[0:1]
	s_cbranch_execz .LBB211_621
; %bb.618:                              ;   in Loop: Header=BB211_318 Depth=1
	v_bfe_u32 v61, v13, 16, 7
	v_mov_b32_e32 v18, 0x7f800001
	v_mov_b32_e32 v19, 0
	v_cmp_ne_u32_e64 s[0:1], s25, v61
	s_and_saveexec_b64 s[14:15], s[0:1]
	s_cbranch_execz .LBB211_620
; %bb.619:                              ;   in Loop: Header=BB211_318 Depth=1
	v_and_b32_e32 v62, 7, v11
	v_ffbh_u32_e32 v18, v62
	v_mov_b32_e32 v0, v63
	v_lshrrev_b32_e32 v63, 3, v61
	v_cmp_gt_u32_e64 s[0:1], 8, v61
	v_min_u32_e32 v61, 32, v18
	v_subrev_u32_e32 v18, 28, v61
	v_lshlrev_b64 v[18:19], v18, v[11:12]
	v_sub_u32_e32 v19, 29, v61
	v_and_b32_e32 v18, 7, v18
	v_cndmask_b32_e64 v19, v63, v19, s[0:1]
	v_cndmask_b32_e64 v18, v62, v18, s[0:1]
	v_bfrev_b32_e32 v62, 60
	v_lshlrev_b32_e32 v18, 20, v18
	v_and_b32_sdwa v11, sext(v11), s26 dst_sel:DWORD dst_unused:UNUSED_PAD src0_sel:BYTE_0 src1_sel:DWORD
	v_lshl_add_u32 v19, v19, 23, v62
	v_mov_b32_e32 v63, v0
	v_or3_b32 v18, v11, v19, v18
	v_mov_b32_e32 v19, v5
.LBB211_620:                            ;   in Loop: Header=BB211_318 Depth=1
	s_or_b64 exec, exec, s[14:15]
	v_mov_b32_e32 v61, 7
.LBB211_621:                            ;   in Loop: Header=BB211_318 Depth=1
	s_or_b64 exec, exec, s[12:13]
.LBB211_622:                            ;   in Loop: Header=BB211_318 Depth=1
	s_or_b64 exec, exec, s[6:7]
	v_cmp_lt_u32_e64 s[0:1], s27, v13
	s_and_saveexec_b64 s[6:7], s[0:1]
	s_cbranch_execz .LBB211_628
; %bb.623:                              ;   in Loop: Header=BB211_318 Depth=1
	v_mov_b32_e32 v21, v6
	v_cmp_ne_u32_sdwa s[0:1], v13, s24 src0_sel:BYTE_3 src1_sel:DWORD
	v_mov_b32_e32 v20, v5
	s_and_saveexec_b64 s[12:13], s[0:1]
	s_cbranch_execz .LBB211_627
; %bb.624:                              ;   in Loop: Header=BB211_318 Depth=1
	v_bfe_u32 v61, v13, 24, 7
	v_mov_b32_e32 v11, v5
	v_mov_b32_e32 v21, v12
	v_mov_b32_e32 v0, 7
	v_cmp_ne_u32_e64 s[0:1], s25, v61
	v_mov_b32_e32 v20, v11
	s_and_saveexec_b64 s[14:15], s[0:1]
	s_cbranch_execz .LBB211_626
; %bb.625:                              ;   in Loop: Header=BB211_318 Depth=1
	v_and_b32_sdwa v20, v13, v0 dst_sel:DWORD dst_unused:UNUSED_PAD src0_sel:BYTE_3 src1_sel:DWORD
	v_lshrrev_b32_e32 v11, 3, v61
	v_cmp_gt_u32_e64 s[0:1], 8, v61
	v_ffbh_u32_e32 v61, v20
	v_mov_b32_e32 v0, v63
	v_min_u32_e32 v63, 32, v61
	v_mov_b32_e32 v21, v5
	v_subrev_u32_e32 v61, 28, v63
	v_lshlrev_b64 v[61:62], v61, v[20:21]
	v_sub_u32_e32 v21, 29, v63
	v_bfrev_b32_e32 v62, 60
	v_mov_b32_e32 v63, v0
	v_and_b32_e32 v61, 7, v61
	v_cndmask_b32_e64 v11, v11, v21, s[0:1]
	v_mov_b32_e32 v0, 24
	v_cndmask_b32_e64 v20, v20, v61, s[0:1]
	v_lshlrev_b32_sdwa v13, v0, v13 dst_sel:DWORD dst_unused:UNUSED_PAD src0_sel:DWORD src1_sel:BYTE_3
	v_lshl_add_u32 v11, v11, 23, v62
	v_and_or_b32 v11, v13, s26, v11
	v_lshlrev_b32_e32 v13, 20, v20
	v_or_b32_e32 v21, v11, v13
	v_mov_b32_e32 v20, v5
.LBB211_626:                            ;   in Loop: Header=BB211_318 Depth=1
	s_or_b64 exec, exec, s[14:15]
	v_mov_b32_e32 v61, 7
.LBB211_627:                            ;   in Loop: Header=BB211_318 Depth=1
	s_or_b64 exec, exec, s[12:13]
.LBB211_628:                            ;   in Loop: Header=BB211_318 Depth=1
	s_or_b64 exec, exec, s[6:7]
	v_or_b32_e32 v13, v16, v14
	v_or_b32_e32 v11, v17, v15
	v_mul_f32_e32 v15, s17, v13
	v_or_b32_e32 v13, v21, v19
	v_or_b32_e32 v14, v20, v18
	v_mul_f32_e32 v11, s18, v11
	v_mul_f32_e32 v14, s17, v14
	;; [unrolled: 1-line block ×3, first 2 shown]
	s_and_saveexec_b64 s[0:1], vcc
	s_cbranch_execz .LBB211_317
; %bb.629:                              ;   in Loop: Header=BB211_318 Depth=1
	v_add_u32_e32 v0, -3, v40
	v_cmp_gt_i32_e32 vcc, s30, v0
	v_add_u32_e32 v0, -2, v40
	v_cndmask_b32_e32 v15, 0, v15, vcc
	v_cmp_gt_i32_e32 vcc, s30, v0
	v_add_u32_e32 v0, -1, v40
	v_cndmask_b32_e32 v11, 0, v11, vcc
	v_cmp_gt_i32_e32 vcc, s30, v0
	v_cndmask_b32_e32 v14, 0, v14, vcc
	v_cmp_gt_i32_e32 vcc, s30, v40
	v_cndmask_b32_e32 v13, 0, v13, vcc
	s_branch .LBB211_317
.LBB211_630:
	s_or_b64 exec, exec, s[4:5]
	buffer_load_dword v18, off, s[48:51], 0 offset:144 ; 4-byte Folded Reload
	buffer_load_dword v13, off, s[48:51], 0 offset:152 ; 4-byte Folded Reload
	;; [unrolled: 1-line block ×5, first 2 shown]
.LBB211_631:
	s_or_b64 exec, exec, s[2:3]
	s_waitcnt vmcnt(3)
	ds_bpermute_b32 v1, v13, v39
	ds_bpermute_b32 v0, v13, v38
	;; [unrolled: 1-line block ×5, first 2 shown]
	s_waitcnt lgkmcnt(4)
	v_add_f32_e32 v1, v39, v1
	s_waitcnt lgkmcnt(3)
	v_add_f32_e32 v0, v38, v0
	s_waitcnt vmcnt(2)
	ds_bpermute_b32 v5, v16, v1
	ds_bpermute_b32 v4, v16, v0
	s_waitcnt lgkmcnt(4)
	v_add_f32_e32 v2, v36, v2
	ds_bpermute_b32 v6, v16, v2
	s_waitcnt lgkmcnt(4)
	v_add_f32_e32 v3, v37, v3
	s_waitcnt lgkmcnt(2)
	v_add_f32_e32 v1, v1, v5
	;; [unrolled: 2-line block ×3, first 2 shown]
	s_waitcnt vmcnt(1)
	ds_bpermute_b32 v5, v19, v1
	ds_bpermute_b32 v4, v19, v0
	s_waitcnt lgkmcnt(2)
	v_add_f32_e32 v2, v2, v6
	ds_bpermute_b32 v6, v19, v2
	s_waitcnt lgkmcnt(0)
	v_add_f32_e32 v1, v1, v5
	v_add_f32_e32 v5, v35, v7
	;; [unrolled: 1-line block ×3, first 2 shown]
	ds_bpermute_b32 v4, v16, v3
	ds_bpermute_b32 v7, v16, v5
	v_add_f32_e32 v2, v2, v6
	s_waitcnt vmcnt(0) lgkmcnt(0)
	s_barrier
	v_add_f32_e32 v3, v3, v4
	v_add_f32_e32 v5, v5, v7
	ds_bpermute_b32 v4, v13, v34
	ds_bpermute_b32 v6, v19, v3
	;; [unrolled: 1-line block ×4, first 2 shown]
	s_waitcnt lgkmcnt(3)
	v_add_f32_e32 v9, v34, v4
	s_waitcnt lgkmcnt(2)
	v_add_f32_e32 v3, v3, v6
	;; [unrolled: 2-line block ×4, first 2 shown]
	ds_bpermute_b32 v8, v13, v32
	ds_bpermute_b32 v10, v16, v9
	;; [unrolled: 1-line block ×3, first 2 shown]
	s_waitcnt lgkmcnt(2)
	v_add_f32_e32 v8, v32, v8
	s_waitcnt lgkmcnt(1)
	v_add_f32_e32 v5, v9, v10
	;; [unrolled: 2-line block ×3, first 2 shown]
	ds_bpermute_b32 v7, v13, v31
	ds_bpermute_b32 v11, v16, v8
	;; [unrolled: 1-line block ×4, first 2 shown]
	s_waitcnt lgkmcnt(3)
	v_add_f32_e32 v7, v31, v7
	s_waitcnt lgkmcnt(2)
	v_add_f32_e32 v8, v8, v11
	ds_bpermute_b32 v11, v13, v30
	s_waitcnt lgkmcnt(2)
	v_add_f32_e32 v5, v5, v9
	ds_bpermute_b32 v9, v16, v7
	;; [unrolled: 3-line block ×5, first 2 shown]
	ds_bpermute_b32 v12, v19, v9
	ds_bpermute_b32 v13, v13, v28
	s_waitcnt lgkmcnt(3)
	v_add_f32_e32 v11, v11, v14
	ds_bpermute_b32 v14, v19, v11
	s_waitcnt lgkmcnt(3)
	v_add_f32_e32 v7, v29, v7
	;; [unrolled: 3-line block ×4, first 2 shown]
	v_add_f32_e32 v7, v8, v10
	v_add_f32_e32 v8, v9, v12
	;; [unrolled: 1-line block ×3, first 2 shown]
	buffer_load_dword v14, off, s[48:51], 0 offset:396 ; 4-byte Folded Reload
	s_waitcnt lgkmcnt(0)
	v_add_f32_e32 v13, v13, v16
	ds_bpermute_b32 v16, v19, v13
	ds_bpermute_b32 v17, v19, v15
	s_waitcnt lgkmcnt(1)
	v_add_f32_e32 v11, v13, v16
	s_waitcnt lgkmcnt(0)
	v_add_f32_e32 v10, v15, v17
	s_waitcnt vmcnt(0)
	v_and_b32_e32 v13, 0x3c7, v14
	v_cmp_eq_u32_e32 vcc, 64, v13
	s_and_saveexec_b64 s[0:1], vcc
	s_cbranch_execz .LBB211_633
; %bb.632:
	v_lshrrev_b32_e32 v12, 1, v18
	v_add_u32_e32 v12, 0x190, v12
	ds_write2_b32 v12, v0, v1 offset1:8
	ds_write2_b32 v12, v2, v3 offset0:16 offset1:24
	ds_write2_b32 v12, v4, v5 offset0:32 offset1:40
	;; [unrolled: 1-line block ×5, first 2 shown]
.LBB211_633:
	s_or_b64 exec, exec, s[0:1]
	v_cmp_gt_u32_e32 vcc, 64, v14
	v_lshrrev_b32_e32 v12, 3, v14
	s_waitcnt lgkmcnt(0)
	s_barrier
	s_and_saveexec_b64 s[0:1], vcc
	s_cbranch_execz .LBB211_648
; %bb.634:
	v_mov_b32_e32 v14, 0x190
	v_cmp_eq_u32_e32 vcc, 0, v20
	v_lshl_add_u32 v14, v12, 2, v14
	s_and_saveexec_b64 s[2:3], vcc
	s_cbranch_execnz .LBB211_651
; %bb.635:
	s_or_b64 exec, exec, s[2:3]
	s_and_saveexec_b64 s[2:3], vcc
	s_cbranch_execnz .LBB211_652
.LBB211_636:
	s_or_b64 exec, exec, s[2:3]
	s_and_saveexec_b64 s[2:3], vcc
	s_cbranch_execnz .LBB211_653
.LBB211_637:
	s_or_b64 exec, exec, s[2:3]
	s_and_saveexec_b64 s[2:3], vcc
	s_cbranch_execnz .LBB211_654
.LBB211_638:
	s_or_b64 exec, exec, s[2:3]
	s_and_saveexec_b64 s[2:3], vcc
	s_cbranch_execnz .LBB211_655
.LBB211_639:
	s_or_b64 exec, exec, s[2:3]
	s_and_saveexec_b64 s[2:3], vcc
	s_cbranch_execnz .LBB211_656
.LBB211_640:
	s_or_b64 exec, exec, s[2:3]
	s_and_saveexec_b64 s[2:3], vcc
	s_cbranch_execnz .LBB211_657
.LBB211_641:
	s_or_b64 exec, exec, s[2:3]
	s_and_saveexec_b64 s[2:3], vcc
	s_cbranch_execnz .LBB211_658
.LBB211_642:
	s_or_b64 exec, exec, s[2:3]
	s_and_saveexec_b64 s[2:3], vcc
	s_cbranch_execnz .LBB211_659
.LBB211_643:
	s_or_b64 exec, exec, s[2:3]
	s_and_saveexec_b64 s[2:3], vcc
	s_cbranch_execnz .LBB211_660
.LBB211_644:
	s_or_b64 exec, exec, s[2:3]
	s_and_saveexec_b64 s[2:3], vcc
	s_cbranch_execnz .LBB211_661
.LBB211_645:
	s_or_b64 exec, exec, s[2:3]
	s_and_saveexec_b64 s[2:3], vcc
	s_cbranch_execz .LBB211_647
.LBB211_646:
	ds_read_b32 v14, v14 offset:352
	s_waitcnt lgkmcnt(0)
	v_add_f32_e32 v11, v11, v14
.LBB211_647:
	s_or_b64 exec, exec, s[2:3]
.LBB211_648:
	s_or_b64 exec, exec, s[0:1]
	v_cmp_eq_u32_e32 vcc, 0, v13
	s_barrier
	s_and_saveexec_b64 s[0:1], vcc
	s_cbranch_execz .LBB211_650
; %bb.649:
	s_mul_i32 s0, s10, s11
	s_mul_i32 s0, s0, s9
	s_mulk_i32 s0, 0x60
	s_ashr_i32 s1, s0, 31
	s_lshl_b64 s[0:1], s[0:1], 2
	s_add_u32 s2, s22, s0
	s_mul_i32 s0, s11, s20
	s_addc_u32 s3, s23, s1
	s_ashr_i32 s1, s0, 31
	s_lshl_b64 s[0:1], s[0:1], 2
	s_add_u32 s2, s2, s0
	s_mul_i32 s0, s8, 0x60
	s_addc_u32 s3, s3, s1
	s_ashr_i32 s1, s0, 31
	s_lshl_b64 s[0:1], s[0:1], 2
	s_add_u32 s0, s2, s0
	s_addc_u32 s1, s3, s1
	v_lshlrev_b32_e32 v12, 2, v12
	global_store_dword v12, v0, s[0:1]
	global_store_dword v12, v1, s[0:1] offset:32
	global_store_dword v12, v2, s[0:1] offset:64
	;; [unrolled: 1-line block ×11, first 2 shown]
.LBB211_650:
	s_endpgm
.LBB211_651:
	ds_read_b32 v15, v14
	s_waitcnt lgkmcnt(0)
	v_add_f32_e32 v0, v0, v15
	s_or_b64 exec, exec, s[2:3]
	s_and_saveexec_b64 s[2:3], vcc
	s_cbranch_execz .LBB211_636
.LBB211_652:
	ds_read_b32 v15, v14 offset:32
	s_waitcnt lgkmcnt(0)
	v_add_f32_e32 v1, v1, v15
	s_or_b64 exec, exec, s[2:3]
	s_and_saveexec_b64 s[2:3], vcc
	s_cbranch_execz .LBB211_637
.LBB211_653:
	ds_read_b32 v15, v14 offset:64
	s_waitcnt lgkmcnt(0)
	v_add_f32_e32 v2, v2, v15
	s_or_b64 exec, exec, s[2:3]
	s_and_saveexec_b64 s[2:3], vcc
	s_cbranch_execz .LBB211_638
.LBB211_654:
	ds_read_b32 v15, v14 offset:96
	s_waitcnt lgkmcnt(0)
	v_add_f32_e32 v3, v3, v15
	s_or_b64 exec, exec, s[2:3]
	s_and_saveexec_b64 s[2:3], vcc
	s_cbranch_execz .LBB211_639
.LBB211_655:
	ds_read_b32 v15, v14 offset:128
	s_waitcnt lgkmcnt(0)
	v_add_f32_e32 v4, v4, v15
	s_or_b64 exec, exec, s[2:3]
	s_and_saveexec_b64 s[2:3], vcc
	s_cbranch_execz .LBB211_640
.LBB211_656:
	ds_read_b32 v15, v14 offset:160
	s_waitcnt lgkmcnt(0)
	v_add_f32_e32 v5, v5, v15
	s_or_b64 exec, exec, s[2:3]
	s_and_saveexec_b64 s[2:3], vcc
	s_cbranch_execz .LBB211_641
.LBB211_657:
	ds_read_b32 v15, v14 offset:192
	s_waitcnt lgkmcnt(0)
	v_add_f32_e32 v6, v6, v15
	s_or_b64 exec, exec, s[2:3]
	s_and_saveexec_b64 s[2:3], vcc
	s_cbranch_execz .LBB211_642
.LBB211_658:
	ds_read_b32 v15, v14 offset:224
	s_waitcnt lgkmcnt(0)
	v_add_f32_e32 v7, v7, v15
	s_or_b64 exec, exec, s[2:3]
	s_and_saveexec_b64 s[2:3], vcc
	s_cbranch_execz .LBB211_643
.LBB211_659:
	ds_read_b32 v15, v14 offset:256
	s_waitcnt lgkmcnt(0)
	v_add_f32_e32 v8, v8, v15
	s_or_b64 exec, exec, s[2:3]
	s_and_saveexec_b64 s[2:3], vcc
	s_cbranch_execz .LBB211_644
.LBB211_660:
	ds_read_b32 v15, v14 offset:288
	s_waitcnt lgkmcnt(0)
	v_add_f32_e32 v9, v9, v15
	s_or_b64 exec, exec, s[2:3]
	s_and_saveexec_b64 s[2:3], vcc
	s_cbranch_execz .LBB211_645
.LBB211_661:
	ds_read_b32 v15, v14 offset:320
	s_waitcnt lgkmcnt(0)
	v_add_f32_e32 v10, v10, v15
	s_or_b64 exec, exec, s[2:3]
	s_and_saveexec_b64 s[2:3], vcc
	s_cbranch_execnz .LBB211_646
	s_branch .LBB211_647
	.section	.rodata,"a",@progbits
	.p2align	6, 0x0
	.amdhsa_kernel _ZN4vllm25paged_attention_v1_kernelIfhLi96ELi32ELi128ELNS_18Fp8KVCacheDataTypeE1ELb0EEEvPT_PKS2_PKT0_S8_ifPKiSA_iPKfiiiSC_SC_iiiii
		.amdhsa_group_segment_fixed_size 400
		.amdhsa_private_segment_fixed_size 424
		.amdhsa_kernarg_size 384
		.amdhsa_user_sgpr_count 6
		.amdhsa_user_sgpr_private_segment_buffer 1
		.amdhsa_user_sgpr_dispatch_ptr 0
		.amdhsa_user_sgpr_queue_ptr 0
		.amdhsa_user_sgpr_kernarg_segment_ptr 1
		.amdhsa_user_sgpr_dispatch_id 0
		.amdhsa_user_sgpr_flat_scratch_init 0
		.amdhsa_user_sgpr_private_segment_size 0
		.amdhsa_uses_dynamic_stack 0
		.amdhsa_system_sgpr_private_segment_wavefront_offset 1
		.amdhsa_system_sgpr_workgroup_id_x 1
		.amdhsa_system_sgpr_workgroup_id_y 1
		.amdhsa_system_sgpr_workgroup_id_z 1
		.amdhsa_system_sgpr_workgroup_info 0
		.amdhsa_system_vgpr_workitem_id 0
		.amdhsa_next_free_vgpr 64
		.amdhsa_next_free_sgpr 52
		.amdhsa_reserve_vcc 1
		.amdhsa_reserve_flat_scratch 0
		.amdhsa_float_round_mode_32 0
		.amdhsa_float_round_mode_16_64 0
		.amdhsa_float_denorm_mode_32 3
		.amdhsa_float_denorm_mode_16_64 3
		.amdhsa_dx10_clamp 1
		.amdhsa_ieee_mode 1
		.amdhsa_fp16_overflow 0
		.amdhsa_exception_fp_ieee_invalid_op 0
		.amdhsa_exception_fp_denorm_src 0
		.amdhsa_exception_fp_ieee_div_zero 0
		.amdhsa_exception_fp_ieee_overflow 0
		.amdhsa_exception_fp_ieee_underflow 0
		.amdhsa_exception_fp_ieee_inexact 0
		.amdhsa_exception_int_div_zero 0
	.end_amdhsa_kernel
	.section	.text._ZN4vllm25paged_attention_v1_kernelIfhLi96ELi32ELi128ELNS_18Fp8KVCacheDataTypeE1ELb0EEEvPT_PKS2_PKT0_S8_ifPKiSA_iPKfiiiSC_SC_iiiii,"axG",@progbits,_ZN4vllm25paged_attention_v1_kernelIfhLi96ELi32ELi128ELNS_18Fp8KVCacheDataTypeE1ELb0EEEvPT_PKS2_PKT0_S8_ifPKiSA_iPKfiiiSC_SC_iiiii,comdat
.Lfunc_end211:
	.size	_ZN4vllm25paged_attention_v1_kernelIfhLi96ELi32ELi128ELNS_18Fp8KVCacheDataTypeE1ELb0EEEvPT_PKS2_PKT0_S8_ifPKiSA_iPKfiiiSC_SC_iiiii, .Lfunc_end211-_ZN4vllm25paged_attention_v1_kernelIfhLi96ELi32ELi128ELNS_18Fp8KVCacheDataTypeE1ELb0EEEvPT_PKS2_PKT0_S8_ifPKiSA_iPKfiiiSC_SC_iiiii
                                        ; -- End function
	.set _ZN4vllm25paged_attention_v1_kernelIfhLi96ELi32ELi128ELNS_18Fp8KVCacheDataTypeE1ELb0EEEvPT_PKS2_PKT0_S8_ifPKiSA_iPKfiiiSC_SC_iiiii.num_vgpr, 64
	.set _ZN4vllm25paged_attention_v1_kernelIfhLi96ELi32ELi128ELNS_18Fp8KVCacheDataTypeE1ELb0EEEvPT_PKS2_PKT0_S8_ifPKiSA_iPKfiiiSC_SC_iiiii.num_agpr, 0
	.set _ZN4vllm25paged_attention_v1_kernelIfhLi96ELi32ELi128ELNS_18Fp8KVCacheDataTypeE1ELb0EEEvPT_PKS2_PKT0_S8_ifPKiSA_iPKfiiiSC_SC_iiiii.numbered_sgpr, 52
	.set _ZN4vllm25paged_attention_v1_kernelIfhLi96ELi32ELi128ELNS_18Fp8KVCacheDataTypeE1ELb0EEEvPT_PKS2_PKT0_S8_ifPKiSA_iPKfiiiSC_SC_iiiii.num_named_barrier, 0
	.set _ZN4vllm25paged_attention_v1_kernelIfhLi96ELi32ELi128ELNS_18Fp8KVCacheDataTypeE1ELb0EEEvPT_PKS2_PKT0_S8_ifPKiSA_iPKfiiiSC_SC_iiiii.private_seg_size, 424
	.set _ZN4vllm25paged_attention_v1_kernelIfhLi96ELi32ELi128ELNS_18Fp8KVCacheDataTypeE1ELb0EEEvPT_PKS2_PKT0_S8_ifPKiSA_iPKfiiiSC_SC_iiiii.uses_vcc, 1
	.set _ZN4vllm25paged_attention_v1_kernelIfhLi96ELi32ELi128ELNS_18Fp8KVCacheDataTypeE1ELb0EEEvPT_PKS2_PKT0_S8_ifPKiSA_iPKfiiiSC_SC_iiiii.uses_flat_scratch, 0
	.set _ZN4vllm25paged_attention_v1_kernelIfhLi96ELi32ELi128ELNS_18Fp8KVCacheDataTypeE1ELb0EEEvPT_PKS2_PKT0_S8_ifPKiSA_iPKfiiiSC_SC_iiiii.has_dyn_sized_stack, 0
	.set _ZN4vllm25paged_attention_v1_kernelIfhLi96ELi32ELi128ELNS_18Fp8KVCacheDataTypeE1ELb0EEEvPT_PKS2_PKT0_S8_ifPKiSA_iPKfiiiSC_SC_iiiii.has_recursion, 0
	.set _ZN4vllm25paged_attention_v1_kernelIfhLi96ELi32ELi128ELNS_18Fp8KVCacheDataTypeE1ELb0EEEvPT_PKS2_PKT0_S8_ifPKiSA_iPKfiiiSC_SC_iiiii.has_indirect_call, 0
	.section	.AMDGPU.csdata,"",@progbits
; Kernel info:
; codeLenInByte = 29628
; TotalNumSgprs: 56
; NumVgprs: 64
; ScratchSize: 424
; MemoryBound: 0
; FloatMode: 240
; IeeeMode: 1
; LDSByteSize: 400 bytes/workgroup (compile time only)
; SGPRBlocks: 6
; VGPRBlocks: 15
; NumSGPRsForWavesPerEU: 56
; NumVGPRsForWavesPerEU: 64
; Occupancy: 4
; WaveLimiterHint : 1
; COMPUTE_PGM_RSRC2:SCRATCH_EN: 1
; COMPUTE_PGM_RSRC2:USER_SGPR: 6
; COMPUTE_PGM_RSRC2:TRAP_HANDLER: 0
; COMPUTE_PGM_RSRC2:TGID_X_EN: 1
; COMPUTE_PGM_RSRC2:TGID_Y_EN: 1
; COMPUTE_PGM_RSRC2:TGID_Z_EN: 1
; COMPUTE_PGM_RSRC2:TIDIG_COMP_CNT: 0
	.section	.text._ZN4vllm25paged_attention_v1_kernelIfhLi112ELi32ELi128ELNS_18Fp8KVCacheDataTypeE1ELb0EEEvPT_PKS2_PKT0_S8_ifPKiSA_iPKfiiiSC_SC_iiiii,"axG",@progbits,_ZN4vllm25paged_attention_v1_kernelIfhLi112ELi32ELi128ELNS_18Fp8KVCacheDataTypeE1ELb0EEEvPT_PKS2_PKT0_S8_ifPKiSA_iPKfiiiSC_SC_iiiii,comdat
	.protected	_ZN4vllm25paged_attention_v1_kernelIfhLi112ELi32ELi128ELNS_18Fp8KVCacheDataTypeE1ELb0EEEvPT_PKS2_PKT0_S8_ifPKiSA_iPKfiiiSC_SC_iiiii ; -- Begin function _ZN4vllm25paged_attention_v1_kernelIfhLi112ELi32ELi128ELNS_18Fp8KVCacheDataTypeE1ELb0EEEvPT_PKS2_PKT0_S8_ifPKiSA_iPKfiiiSC_SC_iiiii
	.globl	_ZN4vllm25paged_attention_v1_kernelIfhLi112ELi32ELi128ELNS_18Fp8KVCacheDataTypeE1ELb0EEEvPT_PKS2_PKT0_S8_ifPKiSA_iPKfiiiSC_SC_iiiii
	.p2align	8
	.type	_ZN4vllm25paged_attention_v1_kernelIfhLi112ELi32ELi128ELNS_18Fp8KVCacheDataTypeE1ELb0EEEvPT_PKS2_PKT0_S8_ifPKiSA_iPKfiiiSC_SC_iiiii,@function
_ZN4vllm25paged_attention_v1_kernelIfhLi112ELi32ELi128ELNS_18Fp8KVCacheDataTypeE1ELb0EEEvPT_PKS2_PKT0_S8_ifPKiSA_iPKfiiiSC_SC_iiiii: ; @_ZN4vllm25paged_attention_v1_kernelIfhLi112ELi32ELi128ELNS_18Fp8KVCacheDataTypeE1ELb0EEEvPT_PKS2_PKT0_S8_ifPKiSA_iPKfiiiSC_SC_iiiii
; %bb.0:
	s_mov_b64 s[50:51], s[2:3]
	s_mov_b64 s[48:49], s[0:1]
	s_add_u32 s48, s48, s9
	s_load_dword s9, s[4:5], 0x80
	s_load_dwordx2 s[0:1], s[4:5], 0x30
	s_load_dwordx2 s[30:31], s[4:5], 0x20
	s_addc_u32 s49, s49, 0
	s_mov_b32 s10, s7
	s_ashr_i32 s11, s7, 31
	s_lshl_b64 s[2:3], s[10:11], 2
	s_waitcnt lgkmcnt(0)
	s_add_u32 s0, s0, s2
	s_addc_u32 s1, s1, s3
	s_abs_i32 s2, s30
	v_mov_b32_e32 v6, v0
	v_cvt_f32_u32_e32 v0, s2
	s_sub_i32 s11, 0, s2
	s_abs_i32 s7, s9
	s_xor_b32 s3, s9, s30
	v_rcp_iflag_f32_e32 v0, v0
	s_ashr_i32 s3, s3, 31
	s_mov_b32 s33, 0
	v_mul_f32_e32 v0, 0x4f7ffffe, v0
	v_cvt_u32_f32_e32 v0, v0
	v_readfirstlane_b32 s12, v0
	s_mul_i32 s11, s11, s12
	s_mul_hi_u32 s11, s12, s11
	s_add_i32 s12, s12, s11
	s_mul_hi_u32 s11, s7, s12
	s_mul_i32 s12, s11, s2
	s_sub_i32 s7, s7, s12
	s_add_i32 s12, s11, 1
	s_sub_i32 s13, s7, s2
	s_cmp_ge_u32 s7, s2
	s_cselect_b32 s11, s12, s11
	s_cselect_b32 s7, s13, s7
	s_add_i32 s12, s11, 1
	s_cmp_ge_u32 s7, s2
	s_cselect_b32 s2, s12, s11
	s_xor_b32 s2, s2, s3
	s_sub_i32 s12, s2, s3
	s_abs_i32 s11, s12
	v_cvt_f32_u32_e32 v0, s11
	s_load_dwordx2 s[2:3], s[4:5], 0x40
	s_sub_i32 s7, 0, s11
	s_abs_i32 s16, s6
	v_rcp_iflag_f32_e32 v0, v0
	v_mul_f32_e32 v0, 0x4f7ffffe, v0
	v_cvt_u32_f32_e32 v0, v0
	v_readfirstlane_b32 s13, v0
	s_mul_i32 s7, s7, s13
	s_mul_hi_u32 s7, s13, s7
	s_add_i32 s13, s13, s7
	s_waitcnt lgkmcnt(0)
	s_cmp_eq_u64 s[2:3], 0
	s_mul_hi_u32 s17, s16, s13
	s_cbranch_scc1 .LBB212_2
; %bb.1:
	s_ashr_i32 s7, s6, 31
	s_lshl_b64 s[14:15], s[6:7], 2
	s_add_u32 s2, s2, s14
	s_addc_u32 s3, s3, s15
	s_load_dword s33, s[2:3], 0x0
.LBB212_2:
	s_load_dword s30, s[0:1], 0x0
	s_ashr_i32 s3, s12, 31
	s_load_dwordx4 s[12:15], s[4:5], 0x48
	s_ashr_i32 s2, s6, 31
	v_and_b32_e32 v0, 1, v6
	s_mul_i32 s20, s6, 0x70
	v_cmp_gt_u32_e32 vcc, 56, v6
	v_lshlrev_b32_e32 v10, 2, v6
	s_and_saveexec_b64 s[0:1], vcc
	s_cbranch_execz .LBB212_4
; %bb.3:
	s_load_dwordx2 s[6:7], s[4:5], 0x8
	s_waitcnt lgkmcnt(0)
	s_mul_i32 s18, s12, s10
	s_ashr_i32 s19, s18, 31
	s_lshl_b64 s[18:19], s[18:19], 2
	v_lshlrev_b32_e32 v1, 3, v6
	s_add_u32 s12, s6, s18
	s_addc_u32 s15, s7, s19
	s_ashr_i32 s21, s20, 31
	s_lshl_b64 s[6:7], s[20:21], 2
	s_add_u32 s6, s12, s6
	s_addc_u32 s7, s15, s7
	global_load_dwordx2 v[1:2], v1, s[6:7]
	v_and_b32_e32 v3, 0xff8, v10
	s_movk_i32 s6, 0xe0
	v_mad_u32_u24 v3, v0, s6, v3
	s_waitcnt vmcnt(0)
	ds_write_b64 v3, v[1:2]
.LBB212_4:
	s_or_b64 exec, exec, s[0:1]
	s_waitcnt lgkmcnt(0)
	s_add_i32 s1, s30, 31
	s_ashr_i32 s6, s1, 31
	s_lshr_b32 s6, s6, 27
	s_add_i32 s1, s1, s6
	s_ashr_i32 s21, s1, 5
	s_xor_b32 s1, s2, s3
	s_mul_i32 s2, s17, s11
	s_sub_i32 s2, s16, s2
	s_add_i32 s3, s17, 1
	s_sub_i32 s6, s2, s11
	s_load_dwordx2 s[24:25], s[4:5], 0x28
	s_load_dword s0, s[4:5], 0x38
	s_cmp_ge_u32 s2, s11
	s_cselect_b32 s3, s3, s17
	s_cselect_b32 s2, s6, s2
	s_add_i32 s6, s3, 1
	s_cmp_ge_u32 s2, s11
	s_cselect_b32 s2, s6, s3
	v_lshrrev_b32_e32 v1, 6, v6
	s_xor_b32 s2, s2, s1
	s_waitcnt lgkmcnt(0)
	s_mul_i32 s26, s0, s10
	s_sub_i32 s12, s2, s1
	s_barrier
	s_ashr_i32 s27, s26, 31
	v_cmp_gt_i32_e64 s[0:1], s21, v1
	buffer_store_dword v1, off, s[48:51], 0 offset:8 ; 4-byte Folded Spill
	v_cmp_le_i32_e32 vcc, s21, v1
	v_mbcnt_lo_u32_b32 v1, -1, 0
                                        ; implicit-def: $vgpr12
                                        ; implicit-def: $vgpr7
                                        ; implicit-def: $vgpr8
	s_and_saveexec_b64 s[2:3], vcc
	s_xor_b64 s[2:3], exec, s[2:3]
; %bb.5:
	v_mbcnt_hi_u32_b32 v12, -1, v1
	v_and_b32_e32 v7, 64, v12
	v_add_u32_e32 v8, 64, v7
                                        ; implicit-def: $vgpr0
                                        ; implicit-def: $vgpr1
; %bb.6:
	s_or_saveexec_b64 s[6:7], s[2:3]
	s_load_dwordx2 s[22:23], s[4:5], 0x0
	s_load_dwordx2 s[28:29], s[4:5], 0x18
	s_load_dword s11, s[4:5], 0x88
	s_load_dwordx4 s[16:19], s[4:5], 0x58
	v_mov_b32_e32 v2, 0xff7fffff
	s_mul_i32 s12, s12, s14
	v_lshrrev_b32_e32 v11, 4, v6
	buffer_store_dword v6, off, s[48:51], 0 offset:508 ; 4-byte Folded Spill
	s_xor_b64 exec, exec, s[6:7]
	s_cbranch_execz .LBB212_348
; %bb.7:
	v_bfe_u32 v2, v6, 1, 5
	v_mul_u32_u24_e32 v6, 0xe0, v0
	buffer_store_dword v10, off, s[48:51], 0 offset:512 ; 4-byte Folded Spill
	ds_read_b128 v[7:10], v6
	s_load_dwordx2 s[2:3], s[4:5], 0x10
	s_ashr_i32 s4, s12, 31
	s_waitcnt lgkmcnt(0)
	buffer_store_dword v7, off, s[48:51], 0 offset:272 ; 4-byte Folded Spill
	s_nop 0
	buffer_store_dword v8, off, s[48:51], 0 offset:276 ; 4-byte Folded Spill
	buffer_store_dword v9, off, s[48:51], 0 offset:280 ; 4-byte Folded Spill
	;; [unrolled: 1-line block ×3, first 2 shown]
	ds_read_b128 v[7:10], v6 offset:16
	s_add_u32 s2, s2, s12
	s_addc_u32 s3, s3, s4
	s_waitcnt lgkmcnt(0)
	buffer_store_dword v7, off, s[48:51], 0 offset:288 ; 4-byte Folded Spill
	s_nop 0
	buffer_store_dword v8, off, s[48:51], 0 offset:292 ; 4-byte Folded Spill
	buffer_store_dword v9, off, s[48:51], 0 offset:296 ; 4-byte Folded Spill
	;; [unrolled: 1-line block ×3, first 2 shown]
	ds_read_b128 v[7:10], v6 offset:32
	v_lshlrev_b32_e32 v3, 4, v2
	v_add_co_u32_e32 v3, vcc, s2, v3
	s_waitcnt lgkmcnt(0)
	buffer_store_dword v7, off, s[48:51], 0 offset:304 ; 4-byte Folded Spill
	s_nop 0
	buffer_store_dword v8, off, s[48:51], 0 offset:308 ; 4-byte Folded Spill
	buffer_store_dword v9, off, s[48:51], 0 offset:312 ; 4-byte Folded Spill
	buffer_store_dword v10, off, s[48:51], 0 offset:316 ; 4-byte Folded Spill
	ds_read_b128 v[7:10], v6 offset:48
	v_mov_b32_e32 v4, s3
	v_addc_co_u32_e32 v4, vcc, 0, v4, vcc
	s_waitcnt lgkmcnt(0)
	buffer_store_dword v7, off, s[48:51], 0 offset:320 ; 4-byte Folded Spill
	s_nop 0
	buffer_store_dword v8, off, s[48:51], 0 offset:324 ; 4-byte Folded Spill
	buffer_store_dword v9, off, s[48:51], 0 offset:328 ; 4-byte Folded Spill
	;; [unrolled: 1-line block ×3, first 2 shown]
	ds_read_b128 v[7:10], v6 offset:64
	v_lshlrev_b32_e32 v5, 1, v0
	s_sub_i32 s41, 1, s30
	s_waitcnt lgkmcnt(0)
	buffer_store_dword v7, off, s[48:51], 0 offset:336 ; 4-byte Folded Spill
	s_nop 0
	buffer_store_dword v8, off, s[48:51], 0 offset:340 ; 4-byte Folded Spill
	buffer_store_dword v9, off, s[48:51], 0 offset:344 ; 4-byte Folded Spill
	;; [unrolled: 1-line block ×3, first 2 shown]
	ds_read_b128 v[7:10], v6 offset:80
	s_mov_b32 s38, s13
	v_mov_b32_e32 v57, 0
	s_waitcnt lgkmcnt(0)
	buffer_store_dword v7, off, s[48:51], 0 offset:352 ; 4-byte Folded Spill
	s_nop 0
	buffer_store_dword v8, off, s[48:51], 0 offset:356 ; 4-byte Folded Spill
	buffer_store_dword v9, off, s[48:51], 0 offset:360 ; 4-byte Folded Spill
	;; [unrolled: 1-line block ×3, first 2 shown]
	ds_read_b128 v[7:10], v6 offset:96
	v_cmp_neq_f32_e64 s[2:3], s33, 0
	s_movk_i32 s42, 0x80
	s_waitcnt lgkmcnt(0)
	buffer_store_dword v7, off, s[48:51], 0 offset:368 ; 4-byte Folded Spill
	s_nop 0
	buffer_store_dword v8, off, s[48:51], 0 offset:372 ; 4-byte Folded Spill
	buffer_store_dword v9, off, s[48:51], 0 offset:376 ; 4-byte Folded Spill
	;; [unrolled: 1-line block ×3, first 2 shown]
	ds_read_b128 v[7:10], v6 offset:112
	s_movk_i32 s43, 0x7f
	s_brev_b32 s44, 1
	s_waitcnt lgkmcnt(0)
	buffer_store_dword v7, off, s[48:51], 0 offset:384 ; 4-byte Folded Spill
	s_nop 0
	buffer_store_dword v8, off, s[48:51], 0 offset:388 ; 4-byte Folded Spill
	buffer_store_dword v9, off, s[48:51], 0 offset:392 ; 4-byte Folded Spill
	buffer_store_dword v10, off, s[48:51], 0 offset:396 ; 4-byte Folded Spill
	ds_read_b128 v[7:10], v6 offset:128
	v_bfrev_b32_e32 v58, 1
	s_waitcnt lgkmcnt(0)
	buffer_store_dword v7, off, s[48:51], 0 offset:400 ; 4-byte Folded Spill
	s_nop 0
	buffer_store_dword v8, off, s[48:51], 0 offset:404 ; 4-byte Folded Spill
	buffer_store_dword v9, off, s[48:51], 0 offset:408 ; 4-byte Folded Spill
	buffer_store_dword v10, off, s[48:51], 0 offset:412 ; 4-byte Folded Spill
	ds_read_b128 v[7:10], v6 offset:144
	s_waitcnt lgkmcnt(0)
	buffer_store_dword v7, off, s[48:51], 0 offset:416 ; 4-byte Folded Spill
	s_nop 0
	buffer_store_dword v8, off, s[48:51], 0 offset:420 ; 4-byte Folded Spill
	buffer_store_dword v9, off, s[48:51], 0 offset:424 ; 4-byte Folded Spill
	buffer_store_dword v10, off, s[48:51], 0 offset:428 ; 4-byte Folded Spill
	ds_read_b128 v[7:10], v6 offset:160
	s_waitcnt lgkmcnt(0)
	buffer_store_dword v7, off, s[48:51], 0 offset:432 ; 4-byte Folded Spill
	s_nop 0
	buffer_store_dword v8, off, s[48:51], 0 offset:436 ; 4-byte Folded Spill
	buffer_store_dword v9, off, s[48:51], 0 offset:440 ; 4-byte Folded Spill
	buffer_store_dword v10, off, s[48:51], 0 offset:444 ; 4-byte Folded Spill
	ds_read_b128 v[7:10], v6 offset:176
	s_waitcnt lgkmcnt(0)
	buffer_store_dword v7, off, s[48:51], 0 offset:448 ; 4-byte Folded Spill
	s_nop 0
	buffer_store_dword v8, off, s[48:51], 0 offset:452 ; 4-byte Folded Spill
	buffer_store_dword v9, off, s[48:51], 0 offset:456 ; 4-byte Folded Spill
	buffer_store_dword v10, off, s[48:51], 0 offset:460 ; 4-byte Folded Spill
	ds_read_b128 v[7:10], v6 offset:192
	s_waitcnt lgkmcnt(0)
	buffer_store_dword v7, off, s[48:51], 0 offset:464 ; 4-byte Folded Spill
	s_nop 0
	buffer_store_dword v8, off, s[48:51], 0 offset:468 ; 4-byte Folded Spill
	buffer_store_dword v9, off, s[48:51], 0 offset:472 ; 4-byte Folded Spill
	;; [unrolled: 1-line block ×3, first 2 shown]
	v_mbcnt_hi_u32_b32 v7, -1, v1
	v_and_b32_e32 v8, 64, v7
	v_xor_b32_e32 v1, 1, v7
	buffer_store_dword v8, off, s[48:51], 0 offset:524 ; 4-byte Folded Spill
	v_add_u32_e32 v8, 64, v8
	v_cmp_lt_i32_e32 vcc, v1, v8
	buffer_store_dword v8, off, s[48:51], 0 offset:528 ; 4-byte Folded Spill
	buffer_store_dword v7, off, s[48:51], 0 offset:520 ; 4-byte Folded Spill
	v_cndmask_b32_e32 v1, v7, v1, vcc
	ds_read_b128 v[6:9], v6 offset:208
	v_lshlrev_b32_e32 v1, 2, v1
	v_cmp_eq_u32_e32 vcc, 0, v0
	v_add_co_u32_e64 v0, s[4:5], v3, v5
	buffer_store_dword v1, off, s[48:51], 0 offset:480 ; 4-byte Folded Spill
	s_waitcnt lgkmcnt(0)
	buffer_store_dword v6, off, s[48:51], 0 offset:484 ; 4-byte Folded Spill
	s_nop 0
	buffer_store_dword v7, off, s[48:51], 0 offset:488 ; 4-byte Folded Spill
	buffer_store_dword v8, off, s[48:51], 0 offset:492 ; 4-byte Folded Spill
	;; [unrolled: 1-line block ×3, first 2 shown]
	v_addc_co_u32_e64 v1, s[4:5], 0, v4, s[4:5]
	s_load_dword s39, s[16:17], 0x0
	buffer_store_dword v0, off, s[48:51], 0 offset:500 ; 4-byte Folded Spill
	s_nop 0
	buffer_store_dword v1, off, s[48:51], 0 offset:504 ; 4-byte Folded Spill
	buffer_load_dword v0, off, s[48:51], 0 offset:8 ; 4-byte Folded Reload
	s_lshl_b64 s[4:5], s[26:27], 2
	s_add_u32 s4, s24, s4
	s_addc_u32 s14, s25, s5
	s_waitcnt lgkmcnt(0)
	s_mov_b32 s40, s39
	s_waitcnt vmcnt(0)
	v_lshl_or_b32 v1, v0, 5, v2
	buffer_store_dword v1, off, s[48:51], 0 offset:244 ; 4-byte Folded Spill
	v_lshlrev_b32_e32 v1, 2, v2
	v_lshl_or_b32 v1, v0, 7, v1
	v_add_u32_e32 v1, 0x1d0, v1
	buffer_store_dword v1, off, s[48:51], 0 offset:248 ; 4-byte Folded Spill
	buffer_store_dword v11, off, s[48:51], 0 offset:516 ; 4-byte Folded Spill
	v_and_b32_e32 v1, 60, v11
	v_add_co_u32_e64 v2, s[4:5], s4, v1
	v_mov_b32_e32 v1, s14
	v_addc_co_u32_e64 v3, s[4:5], 0, v1, s[4:5]
	v_mov_b32_e32 v1, 0xff7fffff
	buffer_store_dword v1, off, s[48:51], 0 offset:268 ; 4-byte Folded Spill
	v_mov_b32_e32 v1, 0x7f800001
	buffer_store_dword v0, off, s[48:51], 0 ; 4-byte Folded Spill
	s_nop 0
	buffer_store_dword v1, off, s[48:51], 0 offset:4 ; 4-byte Folded Spill
	s_mov_b64 s[14:15], 0
	v_mov_b32_e32 v5, v0
	v_mov_b32_e32 v0, v2
	;; [unrolled: 1-line block ×3, first 2 shown]
	s_branch .LBB212_9
.LBB212_8:                              ;   in Loop: Header=BB212_9 Depth=1
	s_or_b64 exec, exec, s[16:17]
	buffer_load_dword v0, off, s[48:51], 0 offset:244 ; 4-byte Folded Reload
	s_waitcnt vmcnt(1)
	v_add_u32_e32 v5, 2, v5
	v_cmp_le_i32_e64 s[4:5], s21, v5
	s_or_b64 s[14:15], s[4:5], s[14:15]
	s_waitcnt vmcnt(0)
	v_add_u32_e32 v0, 64, v0
	buffer_store_dword v0, off, s[48:51], 0 offset:244 ; 4-byte Folded Spill
	buffer_load_dword v0, off, s[48:51], 0 offset:248 ; 4-byte Folded Reload
	s_waitcnt vmcnt(0)
	v_add_u32_e32 v0, 0x100, v0
	buffer_store_dword v0, off, s[48:51], 0 offset:248 ; 4-byte Folded Spill
	buffer_load_dword v0, off, s[48:51], 0 offset:252 ; 4-byte Folded Reload
	s_nop 0
	buffer_load_dword v1, off, s[48:51], 0 offset:256 ; 4-byte Folded Reload
	s_waitcnt vmcnt(1)
	v_add_co_u32_e64 v0, s[4:5], 8, v0
	s_waitcnt vmcnt(0)
	v_addc_co_u32_e64 v1, s[4:5], 0, v1, s[4:5]
	s_andn2_b64 exec, exec, s[14:15]
	s_cbranch_execz .LBB212_347
.LBB212_9:                              ; =>This Inner Loop Header: Depth=1
	buffer_store_dword v5, off, s[48:51], 0 offset:260 ; 4-byte Folded Spill
	buffer_store_dword v0, off, s[48:51], 0 offset:252 ; 4-byte Folded Spill
	s_nop 0
	buffer_store_dword v1, off, s[48:51], 0 offset:256 ; 4-byte Folded Spill
	v_mov_b32_e32 v43, 0
	v_mov_b32_e32 v44, 0
	global_load_dword v1, v[0:1], off
	s_waitcnt lgkmcnt(0)
	buffer_load_dword v2, off, s[48:51], 0 offset:500 ; 4-byte Folded Reload
	buffer_load_dword v3, off, s[48:51], 0 offset:504 ; 4-byte Folded Reload
	s_waitcnt vmcnt(0)
	v_mad_i64_i32 v[9:10], s[4:5], v1, s38, v[2:3]
	global_load_ushort v2, v[9:10], off
	s_waitcnt vmcnt(0)
	v_and_b32_e32 v1, 0xffff, v2
	v_cmp_ne_u16_sdwa s[4:5], v2, v57 src0_sel:BYTE_0 src1_sel:DWORD
	v_mov_b32_e32 v2, 0
	v_mov_b32_e32 v3, 0
	buffer_store_dword v2, off, s[48:51], 0 offset:12 ; 4-byte Folded Spill
	s_nop 0
	buffer_store_dword v3, off, s[48:51], 0 offset:16 ; 4-byte Folded Spill
	s_and_saveexec_b64 s[16:17], s[4:5]
	s_cbranch_execz .LBB212_15
; %bb.10:                               ;   in Loop: Header=BB212_9 Depth=1
	v_bfrev_b32_e32 v43, 1
	v_mov_b32_e32 v44, 0
	v_cmp_ne_u16_sdwa s[4:5], v1, s42 src0_sel:BYTE_0 src1_sel:DWORD
	s_and_saveexec_b64 s[34:35], s[4:5]
	s_cbranch_execz .LBB212_14
; %bb.11:                               ;   in Loop: Header=BB212_9 Depth=1
	v_and_b32_e32 v2, 0x7f, v1
	v_mov_b32_e32 v43, 0x7f800001
	v_mov_b32_e32 v44, 0
	v_cmp_ne_u32_e64 s[4:5], s43, v2
	s_and_saveexec_b64 s[36:37], s[4:5]
	s_cbranch_execz .LBB212_13
; %bb.12:                               ;   in Loop: Header=BB212_9 Depth=1
	v_and_b32_e32 v4, 7, v1
	v_lshrrev_b32_e32 v5, 3, v2
	v_cmp_gt_u32_e64 s[4:5], 8, v2
	v_ffbh_u32_e32 v2, v4
	v_min_u32_e32 v6, 32, v2
	v_subrev_u32_e32 v2, 28, v6
	v_lshlrev_b64 v[2:3], v2, v[1:2]
	v_sub_u32_e32 v3, 29, v6
	v_and_b32_e32 v2, 7, v2
	v_cndmask_b32_e64 v3, v5, v3, s[4:5]
	v_cndmask_b32_e64 v2, v4, v2, s[4:5]
	v_bfrev_b32_e32 v0, 60
	v_lshlrev_b32_e32 v2, 20, v2
	v_and_b32_sdwa v4, sext(v1), s44 dst_sel:DWORD dst_unused:UNUSED_PAD src0_sel:BYTE_0 src1_sel:DWORD
	v_lshl_add_u32 v3, v3, 23, v0
	v_or3_b32 v43, v4, v3, v2
	v_mov_b32_e32 v44, v57
.LBB212_13:                             ;   in Loop: Header=BB212_9 Depth=1
	s_or_b64 exec, exec, s[36:37]
.LBB212_14:                             ;   in Loop: Header=BB212_9 Depth=1
	s_or_b64 exec, exec, s[34:35]
.LBB212_15:                             ;   in Loop: Header=BB212_9 Depth=1
	s_or_b64 exec, exec, s[16:17]
	v_cmp_ne_u16_sdwa s[4:5], v1, v57 src0_sel:BYTE_1 src1_sel:DWORD
	s_and_saveexec_b64 s[16:17], s[4:5]
	s_cbranch_execz .LBB212_21
; %bb.16:                               ;   in Loop: Header=BB212_9 Depth=1
	v_cmp_ne_u16_sdwa s[4:5], v1, s42 src0_sel:BYTE_1 src1_sel:DWORD
	buffer_store_dword v57, off, s[48:51], 0 offset:12 ; 4-byte Folded Spill
	s_nop 0
	buffer_store_dword v58, off, s[48:51], 0 offset:16 ; 4-byte Folded Spill
	s_and_saveexec_b64 s[34:35], s[4:5]
	s_cbranch_execz .LBB212_20
; %bb.17:                               ;   in Loop: Header=BB212_9 Depth=1
	buffer_load_dword v3, off, s[48:51], 0  ; 4-byte Folded Reload
	buffer_load_dword v4, off, s[48:51], 0 offset:4 ; 4-byte Folded Reload
	v_and_b32_sdwa v2, v1, s43 dst_sel:DWORD dst_unused:UNUSED_PAD src0_sel:BYTE_1 src1_sel:DWORD
	v_cmp_ne_u32_e64 s[4:5], s43, v2
	s_waitcnt vmcnt(1)
	v_mov_b32_e32 v3, v57
	s_waitcnt vmcnt(0)
	v_mov_b32_e32 v5, v4
	buffer_store_dword v4, off, s[48:51], 0 ; 4-byte Folded Spill
	s_nop 0
	buffer_store_dword v5, off, s[48:51], 0 offset:4 ; 4-byte Folded Spill
	buffer_store_dword v3, off, s[48:51], 0 offset:12 ; 4-byte Folded Spill
	s_nop 0
	buffer_store_dword v4, off, s[48:51], 0 offset:16 ; 4-byte Folded Spill
	s_and_saveexec_b64 s[36:37], s[4:5]
	s_cbranch_execz .LBB212_19
; %bb.18:                               ;   in Loop: Header=BB212_9 Depth=1
	v_mov_b32_e32 v0, 7
	v_and_b32_sdwa v3, v1, v0 dst_sel:DWORD dst_unused:UNUSED_PAD src0_sel:BYTE_1 src1_sel:DWORD
	v_lshrrev_b32_e32 v6, 3, v2
	v_cmp_gt_u32_e64 s[4:5], 8, v2
	v_ffbh_u32_e32 v2, v3
	v_min_u32_e32 v2, 32, v2
	v_mov_b32_e32 v4, v57
	v_subrev_u32_e32 v5, 28, v2
	v_lshlrev_b64 v[4:5], v5, v[3:4]
	v_sub_u32_e32 v2, 29, v2
	v_and_b32_e32 v4, 7, v4
	v_cndmask_b32_e64 v2, v6, v2, s[4:5]
	v_bfrev_b32_e32 v0, 60
	v_cndmask_b32_e64 v3, v3, v4, s[4:5]
	v_lshlrev_b32_e32 v1, 16, v1
	v_lshl_add_u32 v2, v2, 23, v0
	v_and_or_b32 v1, v1, s44, v2
	v_lshlrev_b32_e32 v2, 20, v3
	v_or_b32_e32 v1, v1, v2
	v_mov_b32_e32 v0, v57
	buffer_store_dword v0, off, s[48:51], 0 offset:12 ; 4-byte Folded Spill
	s_nop 0
	buffer_store_dword v1, off, s[48:51], 0 offset:16 ; 4-byte Folded Spill
.LBB212_19:                             ;   in Loop: Header=BB212_9 Depth=1
	s_or_b64 exec, exec, s[36:37]
.LBB212_20:                             ;   in Loop: Header=BB212_9 Depth=1
	s_or_b64 exec, exec, s[34:35]
.LBB212_21:                             ;   in Loop: Header=BB212_9 Depth=1
	s_or_b64 exec, exec, s[16:17]
	global_load_ushort v2, v[9:10], off offset:4
	v_mov_b32_e32 v60, 0
	v_mov_b32_e32 v61, 0
	s_waitcnt vmcnt(0)
	v_and_b32_e32 v1, 0xffff, v2
	v_cmp_ne_u16_sdwa s[4:5], v2, v57 src0_sel:BYTE_0 src1_sel:DWORD
	v_mov_b32_e32 v2, 0
	v_mov_b32_e32 v3, 0
	buffer_store_dword v2, off, s[48:51], 0 offset:20 ; 4-byte Folded Spill
	s_nop 0
	buffer_store_dword v3, off, s[48:51], 0 offset:24 ; 4-byte Folded Spill
	s_and_saveexec_b64 s[16:17], s[4:5]
	s_cbranch_execz .LBB212_27
; %bb.22:                               ;   in Loop: Header=BB212_9 Depth=1
	v_bfrev_b32_e32 v60, 1
	v_mov_b32_e32 v61, 0
	v_cmp_ne_u16_sdwa s[4:5], v1, s42 src0_sel:BYTE_0 src1_sel:DWORD
	s_and_saveexec_b64 s[34:35], s[4:5]
	s_cbranch_execz .LBB212_26
; %bb.23:                               ;   in Loop: Header=BB212_9 Depth=1
	v_and_b32_e32 v2, 0x7f, v1
	v_mov_b32_e32 v60, 0x7f800001
	v_mov_b32_e32 v61, 0
	v_cmp_ne_u32_e64 s[4:5], s43, v2
	s_and_saveexec_b64 s[36:37], s[4:5]
	s_cbranch_execz .LBB212_25
; %bb.24:                               ;   in Loop: Header=BB212_9 Depth=1
	v_and_b32_e32 v4, 7, v1
	v_lshrrev_b32_e32 v5, 3, v2
	v_cmp_gt_u32_e64 s[4:5], 8, v2
	v_ffbh_u32_e32 v2, v4
	v_min_u32_e32 v6, 32, v2
	v_subrev_u32_e32 v2, 28, v6
	v_lshlrev_b64 v[2:3], v2, v[1:2]
	v_sub_u32_e32 v3, 29, v6
	v_and_b32_e32 v2, 7, v2
	v_cndmask_b32_e64 v3, v5, v3, s[4:5]
	v_cndmask_b32_e64 v2, v4, v2, s[4:5]
	v_bfrev_b32_e32 v0, 60
	v_lshlrev_b32_e32 v2, 20, v2
	v_and_b32_sdwa v4, sext(v1), s44 dst_sel:DWORD dst_unused:UNUSED_PAD src0_sel:BYTE_0 src1_sel:DWORD
	v_lshl_add_u32 v3, v3, 23, v0
	v_or3_b32 v60, v4, v3, v2
	v_mov_b32_e32 v61, v57
.LBB212_25:                             ;   in Loop: Header=BB212_9 Depth=1
	s_or_b64 exec, exec, s[36:37]
.LBB212_26:                             ;   in Loop: Header=BB212_9 Depth=1
	s_or_b64 exec, exec, s[34:35]
.LBB212_27:                             ;   in Loop: Header=BB212_9 Depth=1
	s_or_b64 exec, exec, s[16:17]
	v_cmp_ne_u16_sdwa s[4:5], v1, v57 src0_sel:BYTE_1 src1_sel:DWORD
	s_and_saveexec_b64 s[16:17], s[4:5]
	s_cbranch_execz .LBB212_33
; %bb.28:                               ;   in Loop: Header=BB212_9 Depth=1
	v_cmp_ne_u16_sdwa s[4:5], v1, s42 src0_sel:BYTE_1 src1_sel:DWORD
	buffer_store_dword v57, off, s[48:51], 0 offset:20 ; 4-byte Folded Spill
	s_nop 0
	buffer_store_dword v58, off, s[48:51], 0 offset:24 ; 4-byte Folded Spill
	s_and_saveexec_b64 s[34:35], s[4:5]
	s_cbranch_execz .LBB212_32
; %bb.29:                               ;   in Loop: Header=BB212_9 Depth=1
	buffer_load_dword v3, off, s[48:51], 0  ; 4-byte Folded Reload
	buffer_load_dword v4, off, s[48:51], 0 offset:4 ; 4-byte Folded Reload
	v_and_b32_sdwa v2, v1, s43 dst_sel:DWORD dst_unused:UNUSED_PAD src0_sel:BYTE_1 src1_sel:DWORD
	v_cmp_ne_u32_e64 s[4:5], s43, v2
	s_waitcnt vmcnt(1)
	v_mov_b32_e32 v3, v57
	s_waitcnt vmcnt(0)
	v_mov_b32_e32 v5, v4
	buffer_store_dword v4, off, s[48:51], 0 ; 4-byte Folded Spill
	s_nop 0
	buffer_store_dword v5, off, s[48:51], 0 offset:4 ; 4-byte Folded Spill
	buffer_store_dword v3, off, s[48:51], 0 offset:20 ; 4-byte Folded Spill
	s_nop 0
	buffer_store_dword v4, off, s[48:51], 0 offset:24 ; 4-byte Folded Spill
	s_and_saveexec_b64 s[36:37], s[4:5]
	s_cbranch_execz .LBB212_31
; %bb.30:                               ;   in Loop: Header=BB212_9 Depth=1
	v_mov_b32_e32 v0, 7
	v_and_b32_sdwa v3, v1, v0 dst_sel:DWORD dst_unused:UNUSED_PAD src0_sel:BYTE_1 src1_sel:DWORD
	v_lshrrev_b32_e32 v6, 3, v2
	v_cmp_gt_u32_e64 s[4:5], 8, v2
	v_ffbh_u32_e32 v2, v3
	v_min_u32_e32 v2, 32, v2
	v_mov_b32_e32 v4, v57
	v_subrev_u32_e32 v5, 28, v2
	v_lshlrev_b64 v[4:5], v5, v[3:4]
	v_sub_u32_e32 v2, 29, v2
	v_and_b32_e32 v4, 7, v4
	v_cndmask_b32_e64 v2, v6, v2, s[4:5]
	v_bfrev_b32_e32 v0, 60
	v_cndmask_b32_e64 v3, v3, v4, s[4:5]
	v_lshlrev_b32_e32 v1, 16, v1
	v_lshl_add_u32 v2, v2, 23, v0
	v_and_or_b32 v1, v1, s44, v2
	v_lshlrev_b32_e32 v2, 20, v3
	v_or_b32_e32 v1, v1, v2
	v_mov_b32_e32 v0, v57
	buffer_store_dword v0, off, s[48:51], 0 offset:20 ; 4-byte Folded Spill
	s_nop 0
	buffer_store_dword v1, off, s[48:51], 0 offset:24 ; 4-byte Folded Spill
.LBB212_31:                             ;   in Loop: Header=BB212_9 Depth=1
	s_or_b64 exec, exec, s[36:37]
.LBB212_32:                             ;   in Loop: Header=BB212_9 Depth=1
	s_or_b64 exec, exec, s[34:35]
.LBB212_33:                             ;   in Loop: Header=BB212_9 Depth=1
	s_or_b64 exec, exec, s[16:17]
	global_load_ushort v2, v[9:10], off offset:8
	s_waitcnt vmcnt(0)
	v_and_b32_e32 v1, 0xffff, v2
	v_cmp_ne_u16_sdwa s[4:5], v2, v57 src0_sel:BYTE_0 src1_sel:DWORD
	v_mov_b32_e32 v2, 0
	v_mov_b32_e32 v3, 0
	buffer_store_dword v2, off, s[48:51], 0 offset:36 ; 4-byte Folded Spill
	s_nop 0
	buffer_store_dword v3, off, s[48:51], 0 offset:40 ; 4-byte Folded Spill
	v_mov_b32_e32 v2, 0
	v_mov_b32_e32 v3, 0
	buffer_store_dword v2, off, s[48:51], 0 offset:28 ; 4-byte Folded Spill
	s_nop 0
	buffer_store_dword v3, off, s[48:51], 0 offset:32 ; 4-byte Folded Spill
	s_and_saveexec_b64 s[16:17], s[4:5]
	s_cbranch_execz .LBB212_39
; %bb.34:                               ;   in Loop: Header=BB212_9 Depth=1
	v_bfrev_b32_e32 v2, 1
	v_mov_b32_e32 v3, 0
	v_cmp_ne_u16_sdwa s[4:5], v1, s42 src0_sel:BYTE_0 src1_sel:DWORD
	buffer_store_dword v2, off, s[48:51], 0 offset:28 ; 4-byte Folded Spill
	s_nop 0
	buffer_store_dword v3, off, s[48:51], 0 offset:32 ; 4-byte Folded Spill
	s_and_saveexec_b64 s[34:35], s[4:5]
	s_cbranch_execz .LBB212_38
; %bb.35:                               ;   in Loop: Header=BB212_9 Depth=1
	v_and_b32_e32 v2, 0x7f, v1
	v_mov_b32_e32 v3, 0x7f800001
	v_mov_b32_e32 v4, 0
	v_cmp_ne_u32_e64 s[4:5], s43, v2
	buffer_store_dword v3, off, s[48:51], 0 offset:28 ; 4-byte Folded Spill
	s_nop 0
	buffer_store_dword v4, off, s[48:51], 0 offset:32 ; 4-byte Folded Spill
	s_and_saveexec_b64 s[36:37], s[4:5]
	s_cbranch_execz .LBB212_37
; %bb.36:                               ;   in Loop: Header=BB212_9 Depth=1
	v_and_b32_e32 v4, 7, v1
	v_lshrrev_b32_e32 v5, 3, v2
	v_cmp_gt_u32_e64 s[4:5], 8, v2
	v_ffbh_u32_e32 v2, v4
	v_min_u32_e32 v6, 32, v2
	v_subrev_u32_e32 v2, 28, v6
	v_lshlrev_b64 v[2:3], v2, v[1:2]
	v_sub_u32_e32 v3, 29, v6
	v_and_b32_e32 v2, 7, v2
	v_cndmask_b32_e64 v3, v5, v3, s[4:5]
	v_cndmask_b32_e64 v2, v4, v2, s[4:5]
	v_bfrev_b32_e32 v0, 60
	v_lshlrev_b32_e32 v2, 20, v2
	v_and_b32_sdwa v4, sext(v1), s44 dst_sel:DWORD dst_unused:UNUSED_PAD src0_sel:BYTE_0 src1_sel:DWORD
	v_lshl_add_u32 v3, v3, 23, v0
	v_or3_b32 v2, v4, v3, v2
	v_mov_b32_e32 v3, v57
	buffer_store_dword v2, off, s[48:51], 0 offset:28 ; 4-byte Folded Spill
	s_nop 0
	buffer_store_dword v3, off, s[48:51], 0 offset:32 ; 4-byte Folded Spill
.LBB212_37:                             ;   in Loop: Header=BB212_9 Depth=1
	s_or_b64 exec, exec, s[36:37]
.LBB212_38:                             ;   in Loop: Header=BB212_9 Depth=1
	s_or_b64 exec, exec, s[34:35]
.LBB212_39:                             ;   in Loop: Header=BB212_9 Depth=1
	s_or_b64 exec, exec, s[16:17]
	v_cmp_ne_u16_sdwa s[4:5], v1, v57 src0_sel:BYTE_1 src1_sel:DWORD
	s_and_saveexec_b64 s[16:17], s[4:5]
	s_cbranch_execz .LBB212_45
; %bb.40:                               ;   in Loop: Header=BB212_9 Depth=1
	v_cmp_ne_u16_sdwa s[4:5], v1, s42 src0_sel:BYTE_1 src1_sel:DWORD
	buffer_store_dword v57, off, s[48:51], 0 offset:36 ; 4-byte Folded Spill
	s_nop 0
	buffer_store_dword v58, off, s[48:51], 0 offset:40 ; 4-byte Folded Spill
	s_and_saveexec_b64 s[34:35], s[4:5]
	s_cbranch_execz .LBB212_44
; %bb.41:                               ;   in Loop: Header=BB212_9 Depth=1
	buffer_load_dword v3, off, s[48:51], 0  ; 4-byte Folded Reload
	buffer_load_dword v4, off, s[48:51], 0 offset:4 ; 4-byte Folded Reload
	v_and_b32_sdwa v2, v1, s43 dst_sel:DWORD dst_unused:UNUSED_PAD src0_sel:BYTE_1 src1_sel:DWORD
	v_cmp_ne_u32_e64 s[4:5], s43, v2
	s_waitcnt vmcnt(1)
	v_mov_b32_e32 v3, v57
	s_waitcnt vmcnt(0)
	v_mov_b32_e32 v5, v4
	buffer_store_dword v4, off, s[48:51], 0 ; 4-byte Folded Spill
	s_nop 0
	buffer_store_dword v5, off, s[48:51], 0 offset:4 ; 4-byte Folded Spill
	buffer_store_dword v3, off, s[48:51], 0 offset:36 ; 4-byte Folded Spill
	s_nop 0
	buffer_store_dword v4, off, s[48:51], 0 offset:40 ; 4-byte Folded Spill
	s_and_saveexec_b64 s[36:37], s[4:5]
	s_cbranch_execz .LBB212_43
; %bb.42:                               ;   in Loop: Header=BB212_9 Depth=1
	v_mov_b32_e32 v0, 7
	v_and_b32_sdwa v3, v1, v0 dst_sel:DWORD dst_unused:UNUSED_PAD src0_sel:BYTE_1 src1_sel:DWORD
	v_lshrrev_b32_e32 v6, 3, v2
	v_cmp_gt_u32_e64 s[4:5], 8, v2
	v_ffbh_u32_e32 v2, v3
	v_min_u32_e32 v2, 32, v2
	v_mov_b32_e32 v4, v57
	v_subrev_u32_e32 v5, 28, v2
	v_lshlrev_b64 v[4:5], v5, v[3:4]
	v_sub_u32_e32 v2, 29, v2
	v_and_b32_e32 v4, 7, v4
	v_cndmask_b32_e64 v2, v6, v2, s[4:5]
	v_bfrev_b32_e32 v0, 60
	v_cndmask_b32_e64 v3, v3, v4, s[4:5]
	v_lshlrev_b32_e32 v1, 16, v1
	v_lshl_add_u32 v2, v2, 23, v0
	v_and_or_b32 v1, v1, s44, v2
	v_lshlrev_b32_e32 v2, 20, v3
	v_or_b32_e32 v1, v1, v2
	v_mov_b32_e32 v0, v57
	buffer_store_dword v0, off, s[48:51], 0 offset:36 ; 4-byte Folded Spill
	s_nop 0
	buffer_store_dword v1, off, s[48:51], 0 offset:40 ; 4-byte Folded Spill
.LBB212_43:                             ;   in Loop: Header=BB212_9 Depth=1
	s_or_b64 exec, exec, s[36:37]
.LBB212_44:                             ;   in Loop: Header=BB212_9 Depth=1
	s_or_b64 exec, exec, s[34:35]
.LBB212_45:                             ;   in Loop: Header=BB212_9 Depth=1
	s_or_b64 exec, exec, s[16:17]
	global_load_ushort v2, v[9:10], off offset:12
	s_waitcnt vmcnt(0)
	v_and_b32_e32 v1, 0xffff, v2
	v_cmp_ne_u16_sdwa s[4:5], v2, v57 src0_sel:BYTE_0 src1_sel:DWORD
	v_mov_b32_e32 v2, 0
	v_mov_b32_e32 v3, 0
	buffer_store_dword v2, off, s[48:51], 0 offset:52 ; 4-byte Folded Spill
	s_nop 0
	buffer_store_dword v3, off, s[48:51], 0 offset:56 ; 4-byte Folded Spill
	v_mov_b32_e32 v2, 0
	v_mov_b32_e32 v3, 0
	buffer_store_dword v2, off, s[48:51], 0 offset:44 ; 4-byte Folded Spill
	s_nop 0
	buffer_store_dword v3, off, s[48:51], 0 offset:48 ; 4-byte Folded Spill
	s_and_saveexec_b64 s[16:17], s[4:5]
	s_cbranch_execz .LBB212_51
; %bb.46:                               ;   in Loop: Header=BB212_9 Depth=1
	v_bfrev_b32_e32 v2, 1
	v_mov_b32_e32 v3, 0
	v_cmp_ne_u16_sdwa s[4:5], v1, s42 src0_sel:BYTE_0 src1_sel:DWORD
	buffer_store_dword v2, off, s[48:51], 0 offset:44 ; 4-byte Folded Spill
	s_nop 0
	buffer_store_dword v3, off, s[48:51], 0 offset:48 ; 4-byte Folded Spill
	s_and_saveexec_b64 s[34:35], s[4:5]
	s_cbranch_execz .LBB212_50
; %bb.47:                               ;   in Loop: Header=BB212_9 Depth=1
	v_and_b32_e32 v2, 0x7f, v1
	v_mov_b32_e32 v3, 0x7f800001
	v_mov_b32_e32 v4, 0
	v_cmp_ne_u32_e64 s[4:5], s43, v2
	buffer_store_dword v3, off, s[48:51], 0 offset:44 ; 4-byte Folded Spill
	s_nop 0
	buffer_store_dword v4, off, s[48:51], 0 offset:48 ; 4-byte Folded Spill
	s_and_saveexec_b64 s[36:37], s[4:5]
	s_cbranch_execz .LBB212_49
; %bb.48:                               ;   in Loop: Header=BB212_9 Depth=1
	v_and_b32_e32 v4, 7, v1
	v_lshrrev_b32_e32 v5, 3, v2
	v_cmp_gt_u32_e64 s[4:5], 8, v2
	v_ffbh_u32_e32 v2, v4
	v_min_u32_e32 v6, 32, v2
	v_subrev_u32_e32 v2, 28, v6
	v_lshlrev_b64 v[2:3], v2, v[1:2]
	v_sub_u32_e32 v3, 29, v6
	v_and_b32_e32 v2, 7, v2
	v_cndmask_b32_e64 v3, v5, v3, s[4:5]
	v_cndmask_b32_e64 v2, v4, v2, s[4:5]
	v_bfrev_b32_e32 v0, 60
	v_lshlrev_b32_e32 v2, 20, v2
	v_and_b32_sdwa v4, sext(v1), s44 dst_sel:DWORD dst_unused:UNUSED_PAD src0_sel:BYTE_0 src1_sel:DWORD
	v_lshl_add_u32 v3, v3, 23, v0
	v_or3_b32 v2, v4, v3, v2
	v_mov_b32_e32 v3, v57
	buffer_store_dword v2, off, s[48:51], 0 offset:44 ; 4-byte Folded Spill
	s_nop 0
	buffer_store_dword v3, off, s[48:51], 0 offset:48 ; 4-byte Folded Spill
.LBB212_49:                             ;   in Loop: Header=BB212_9 Depth=1
	s_or_b64 exec, exec, s[36:37]
.LBB212_50:                             ;   in Loop: Header=BB212_9 Depth=1
	s_or_b64 exec, exec, s[34:35]
.LBB212_51:                             ;   in Loop: Header=BB212_9 Depth=1
	s_or_b64 exec, exec, s[16:17]
	v_cmp_ne_u16_sdwa s[4:5], v1, v57 src0_sel:BYTE_1 src1_sel:DWORD
	s_and_saveexec_b64 s[16:17], s[4:5]
	s_cbranch_execz .LBB212_57
; %bb.52:                               ;   in Loop: Header=BB212_9 Depth=1
	v_cmp_ne_u16_sdwa s[4:5], v1, s42 src0_sel:BYTE_1 src1_sel:DWORD
	buffer_store_dword v57, off, s[48:51], 0 offset:52 ; 4-byte Folded Spill
	s_nop 0
	buffer_store_dword v58, off, s[48:51], 0 offset:56 ; 4-byte Folded Spill
	s_and_saveexec_b64 s[34:35], s[4:5]
	s_cbranch_execz .LBB212_56
; %bb.53:                               ;   in Loop: Header=BB212_9 Depth=1
	buffer_load_dword v3, off, s[48:51], 0  ; 4-byte Folded Reload
	buffer_load_dword v4, off, s[48:51], 0 offset:4 ; 4-byte Folded Reload
	v_and_b32_sdwa v2, v1, s43 dst_sel:DWORD dst_unused:UNUSED_PAD src0_sel:BYTE_1 src1_sel:DWORD
	v_cmp_ne_u32_e64 s[4:5], s43, v2
	s_waitcnt vmcnt(1)
	v_mov_b32_e32 v3, v57
	s_waitcnt vmcnt(0)
	v_mov_b32_e32 v5, v4
	buffer_store_dword v4, off, s[48:51], 0 ; 4-byte Folded Spill
	s_nop 0
	buffer_store_dword v5, off, s[48:51], 0 offset:4 ; 4-byte Folded Spill
	buffer_store_dword v3, off, s[48:51], 0 offset:52 ; 4-byte Folded Spill
	s_nop 0
	buffer_store_dword v4, off, s[48:51], 0 offset:56 ; 4-byte Folded Spill
	s_and_saveexec_b64 s[36:37], s[4:5]
	s_cbranch_execz .LBB212_55
; %bb.54:                               ;   in Loop: Header=BB212_9 Depth=1
	v_mov_b32_e32 v0, 7
	v_and_b32_sdwa v3, v1, v0 dst_sel:DWORD dst_unused:UNUSED_PAD src0_sel:BYTE_1 src1_sel:DWORD
	v_lshrrev_b32_e32 v6, 3, v2
	v_cmp_gt_u32_e64 s[4:5], 8, v2
	v_ffbh_u32_e32 v2, v3
	v_min_u32_e32 v2, 32, v2
	v_mov_b32_e32 v4, v57
	v_subrev_u32_e32 v5, 28, v2
	v_lshlrev_b64 v[4:5], v5, v[3:4]
	v_sub_u32_e32 v2, 29, v2
	v_and_b32_e32 v4, 7, v4
	v_cndmask_b32_e64 v2, v6, v2, s[4:5]
	v_bfrev_b32_e32 v0, 60
	v_cndmask_b32_e64 v3, v3, v4, s[4:5]
	v_lshlrev_b32_e32 v1, 16, v1
	v_lshl_add_u32 v2, v2, 23, v0
	v_and_or_b32 v1, v1, s44, v2
	v_lshlrev_b32_e32 v2, 20, v3
	v_or_b32_e32 v1, v1, v2
	v_mov_b32_e32 v0, v57
	buffer_store_dword v0, off, s[48:51], 0 offset:52 ; 4-byte Folded Spill
	s_nop 0
	buffer_store_dword v1, off, s[48:51], 0 offset:56 ; 4-byte Folded Spill
.LBB212_55:                             ;   in Loop: Header=BB212_9 Depth=1
	s_or_b64 exec, exec, s[36:37]
.LBB212_56:                             ;   in Loop: Header=BB212_9 Depth=1
	s_or_b64 exec, exec, s[34:35]
.LBB212_57:                             ;   in Loop: Header=BB212_9 Depth=1
	s_or_b64 exec, exec, s[16:17]
	global_load_ushort v2, v[9:10], off offset:512
	s_waitcnt vmcnt(0)
	v_and_b32_e32 v1, 0xffff, v2
	v_cmp_ne_u16_sdwa s[4:5], v2, v57 src0_sel:BYTE_0 src1_sel:DWORD
	v_mov_b32_e32 v2, 0
	v_mov_b32_e32 v3, 0
	buffer_store_dword v2, off, s[48:51], 0 offset:68 ; 4-byte Folded Spill
	s_nop 0
	buffer_store_dword v3, off, s[48:51], 0 offset:72 ; 4-byte Folded Spill
	v_mov_b32_e32 v2, 0
	v_mov_b32_e32 v3, 0
	buffer_store_dword v2, off, s[48:51], 0 offset:60 ; 4-byte Folded Spill
	s_nop 0
	buffer_store_dword v3, off, s[48:51], 0 offset:64 ; 4-byte Folded Spill
	s_and_saveexec_b64 s[16:17], s[4:5]
	s_cbranch_execz .LBB212_63
; %bb.58:                               ;   in Loop: Header=BB212_9 Depth=1
	v_bfrev_b32_e32 v2, 1
	v_mov_b32_e32 v3, 0
	v_cmp_ne_u16_sdwa s[4:5], v1, s42 src0_sel:BYTE_0 src1_sel:DWORD
	buffer_store_dword v2, off, s[48:51], 0 offset:60 ; 4-byte Folded Spill
	s_nop 0
	buffer_store_dword v3, off, s[48:51], 0 offset:64 ; 4-byte Folded Spill
	s_and_saveexec_b64 s[34:35], s[4:5]
	s_cbranch_execz .LBB212_62
; %bb.59:                               ;   in Loop: Header=BB212_9 Depth=1
	v_and_b32_e32 v2, 0x7f, v1
	v_mov_b32_e32 v3, 0x7f800001
	v_mov_b32_e32 v4, 0
	v_cmp_ne_u32_e64 s[4:5], s43, v2
	buffer_store_dword v3, off, s[48:51], 0 offset:60 ; 4-byte Folded Spill
	s_nop 0
	buffer_store_dword v4, off, s[48:51], 0 offset:64 ; 4-byte Folded Spill
	s_and_saveexec_b64 s[36:37], s[4:5]
	s_cbranch_execz .LBB212_61
; %bb.60:                               ;   in Loop: Header=BB212_9 Depth=1
	v_and_b32_e32 v4, 7, v1
	v_lshrrev_b32_e32 v5, 3, v2
	v_cmp_gt_u32_e64 s[4:5], 8, v2
	v_ffbh_u32_e32 v2, v4
	v_min_u32_e32 v6, 32, v2
	v_subrev_u32_e32 v2, 28, v6
	v_lshlrev_b64 v[2:3], v2, v[1:2]
	v_sub_u32_e32 v3, 29, v6
	v_and_b32_e32 v2, 7, v2
	v_cndmask_b32_e64 v3, v5, v3, s[4:5]
	v_cndmask_b32_e64 v2, v4, v2, s[4:5]
	v_bfrev_b32_e32 v0, 60
	v_lshlrev_b32_e32 v2, 20, v2
	v_and_b32_sdwa v4, sext(v1), s44 dst_sel:DWORD dst_unused:UNUSED_PAD src0_sel:BYTE_0 src1_sel:DWORD
	v_lshl_add_u32 v3, v3, 23, v0
	v_or3_b32 v2, v4, v3, v2
	v_mov_b32_e32 v3, v57
	buffer_store_dword v2, off, s[48:51], 0 offset:60 ; 4-byte Folded Spill
	s_nop 0
	buffer_store_dword v3, off, s[48:51], 0 offset:64 ; 4-byte Folded Spill
.LBB212_61:                             ;   in Loop: Header=BB212_9 Depth=1
	s_or_b64 exec, exec, s[36:37]
.LBB212_62:                             ;   in Loop: Header=BB212_9 Depth=1
	s_or_b64 exec, exec, s[34:35]
.LBB212_63:                             ;   in Loop: Header=BB212_9 Depth=1
	s_or_b64 exec, exec, s[16:17]
	v_cmp_ne_u16_sdwa s[4:5], v1, v57 src0_sel:BYTE_1 src1_sel:DWORD
	s_and_saveexec_b64 s[16:17], s[4:5]
	s_cbranch_execz .LBB212_69
; %bb.64:                               ;   in Loop: Header=BB212_9 Depth=1
	v_cmp_ne_u16_sdwa s[4:5], v1, s42 src0_sel:BYTE_1 src1_sel:DWORD
	buffer_store_dword v57, off, s[48:51], 0 offset:68 ; 4-byte Folded Spill
	s_nop 0
	buffer_store_dword v58, off, s[48:51], 0 offset:72 ; 4-byte Folded Spill
	s_and_saveexec_b64 s[34:35], s[4:5]
	s_cbranch_execz .LBB212_68
; %bb.65:                               ;   in Loop: Header=BB212_9 Depth=1
	buffer_load_dword v3, off, s[48:51], 0  ; 4-byte Folded Reload
	buffer_load_dword v4, off, s[48:51], 0 offset:4 ; 4-byte Folded Reload
	v_and_b32_sdwa v2, v1, s43 dst_sel:DWORD dst_unused:UNUSED_PAD src0_sel:BYTE_1 src1_sel:DWORD
	v_cmp_ne_u32_e64 s[4:5], s43, v2
	s_waitcnt vmcnt(1)
	v_mov_b32_e32 v3, v57
	s_waitcnt vmcnt(0)
	v_mov_b32_e32 v5, v4
	buffer_store_dword v4, off, s[48:51], 0 ; 4-byte Folded Spill
	s_nop 0
	buffer_store_dword v5, off, s[48:51], 0 offset:4 ; 4-byte Folded Spill
	buffer_store_dword v3, off, s[48:51], 0 offset:68 ; 4-byte Folded Spill
	s_nop 0
	buffer_store_dword v4, off, s[48:51], 0 offset:72 ; 4-byte Folded Spill
	s_and_saveexec_b64 s[36:37], s[4:5]
	s_cbranch_execz .LBB212_67
; %bb.66:                               ;   in Loop: Header=BB212_9 Depth=1
	v_mov_b32_e32 v0, 7
	v_and_b32_sdwa v3, v1, v0 dst_sel:DWORD dst_unused:UNUSED_PAD src0_sel:BYTE_1 src1_sel:DWORD
	v_lshrrev_b32_e32 v6, 3, v2
	v_cmp_gt_u32_e64 s[4:5], 8, v2
	v_ffbh_u32_e32 v2, v3
	v_min_u32_e32 v2, 32, v2
	v_mov_b32_e32 v4, v57
	v_subrev_u32_e32 v5, 28, v2
	v_lshlrev_b64 v[4:5], v5, v[3:4]
	v_sub_u32_e32 v2, 29, v2
	v_and_b32_e32 v4, 7, v4
	v_cndmask_b32_e64 v2, v6, v2, s[4:5]
	v_bfrev_b32_e32 v0, 60
	v_cndmask_b32_e64 v3, v3, v4, s[4:5]
	v_lshlrev_b32_e32 v1, 16, v1
	v_lshl_add_u32 v2, v2, 23, v0
	v_and_or_b32 v1, v1, s44, v2
	v_lshlrev_b32_e32 v2, 20, v3
	v_or_b32_e32 v1, v1, v2
	v_mov_b32_e32 v0, v57
	buffer_store_dword v0, off, s[48:51], 0 offset:68 ; 4-byte Folded Spill
	s_nop 0
	buffer_store_dword v1, off, s[48:51], 0 offset:72 ; 4-byte Folded Spill
.LBB212_67:                             ;   in Loop: Header=BB212_9 Depth=1
	s_or_b64 exec, exec, s[36:37]
.LBB212_68:                             ;   in Loop: Header=BB212_9 Depth=1
	s_or_b64 exec, exec, s[34:35]
.LBB212_69:                             ;   in Loop: Header=BB212_9 Depth=1
	s_or_b64 exec, exec, s[16:17]
	global_load_ushort v2, v[9:10], off offset:516
	s_waitcnt vmcnt(0)
	v_and_b32_e32 v1, 0xffff, v2
	v_cmp_ne_u16_sdwa s[4:5], v2, v57 src0_sel:BYTE_0 src1_sel:DWORD
	v_mov_b32_e32 v2, 0
	v_mov_b32_e32 v3, 0
	buffer_store_dword v2, off, s[48:51], 0 offset:84 ; 4-byte Folded Spill
	s_nop 0
	buffer_store_dword v3, off, s[48:51], 0 offset:88 ; 4-byte Folded Spill
	v_mov_b32_e32 v2, 0
	v_mov_b32_e32 v3, 0
	buffer_store_dword v2, off, s[48:51], 0 offset:76 ; 4-byte Folded Spill
	s_nop 0
	buffer_store_dword v3, off, s[48:51], 0 offset:80 ; 4-byte Folded Spill
	s_and_saveexec_b64 s[16:17], s[4:5]
	s_cbranch_execz .LBB212_75
; %bb.70:                               ;   in Loop: Header=BB212_9 Depth=1
	v_bfrev_b32_e32 v2, 1
	v_mov_b32_e32 v3, 0
	v_cmp_ne_u16_sdwa s[4:5], v1, s42 src0_sel:BYTE_0 src1_sel:DWORD
	buffer_store_dword v2, off, s[48:51], 0 offset:76 ; 4-byte Folded Spill
	s_nop 0
	buffer_store_dword v3, off, s[48:51], 0 offset:80 ; 4-byte Folded Spill
	s_and_saveexec_b64 s[34:35], s[4:5]
	s_cbranch_execz .LBB212_74
; %bb.71:                               ;   in Loop: Header=BB212_9 Depth=1
	v_and_b32_e32 v2, 0x7f, v1
	v_mov_b32_e32 v3, 0x7f800001
	v_mov_b32_e32 v4, 0
	v_cmp_ne_u32_e64 s[4:5], s43, v2
	buffer_store_dword v3, off, s[48:51], 0 offset:76 ; 4-byte Folded Spill
	s_nop 0
	buffer_store_dword v4, off, s[48:51], 0 offset:80 ; 4-byte Folded Spill
	s_and_saveexec_b64 s[36:37], s[4:5]
	s_cbranch_execz .LBB212_73
; %bb.72:                               ;   in Loop: Header=BB212_9 Depth=1
	v_and_b32_e32 v4, 7, v1
	v_lshrrev_b32_e32 v5, 3, v2
	v_cmp_gt_u32_e64 s[4:5], 8, v2
	v_ffbh_u32_e32 v2, v4
	v_min_u32_e32 v6, 32, v2
	v_subrev_u32_e32 v2, 28, v6
	v_lshlrev_b64 v[2:3], v2, v[1:2]
	v_sub_u32_e32 v3, 29, v6
	v_and_b32_e32 v2, 7, v2
	v_cndmask_b32_e64 v3, v5, v3, s[4:5]
	v_cndmask_b32_e64 v2, v4, v2, s[4:5]
	v_bfrev_b32_e32 v0, 60
	v_lshlrev_b32_e32 v2, 20, v2
	v_and_b32_sdwa v4, sext(v1), s44 dst_sel:DWORD dst_unused:UNUSED_PAD src0_sel:BYTE_0 src1_sel:DWORD
	v_lshl_add_u32 v3, v3, 23, v0
	v_or3_b32 v2, v4, v3, v2
	v_mov_b32_e32 v3, v57
	buffer_store_dword v2, off, s[48:51], 0 offset:76 ; 4-byte Folded Spill
	s_nop 0
	buffer_store_dword v3, off, s[48:51], 0 offset:80 ; 4-byte Folded Spill
.LBB212_73:                             ;   in Loop: Header=BB212_9 Depth=1
	s_or_b64 exec, exec, s[36:37]
.LBB212_74:                             ;   in Loop: Header=BB212_9 Depth=1
	s_or_b64 exec, exec, s[34:35]
.LBB212_75:                             ;   in Loop: Header=BB212_9 Depth=1
	s_or_b64 exec, exec, s[16:17]
	v_cmp_ne_u16_sdwa s[4:5], v1, v57 src0_sel:BYTE_1 src1_sel:DWORD
	s_and_saveexec_b64 s[16:17], s[4:5]
	s_cbranch_execz .LBB212_81
; %bb.76:                               ;   in Loop: Header=BB212_9 Depth=1
	v_cmp_ne_u16_sdwa s[4:5], v1, s42 src0_sel:BYTE_1 src1_sel:DWORD
	buffer_store_dword v57, off, s[48:51], 0 offset:84 ; 4-byte Folded Spill
	s_nop 0
	buffer_store_dword v58, off, s[48:51], 0 offset:88 ; 4-byte Folded Spill
	s_and_saveexec_b64 s[34:35], s[4:5]
	s_cbranch_execz .LBB212_80
; %bb.77:                               ;   in Loop: Header=BB212_9 Depth=1
	buffer_load_dword v3, off, s[48:51], 0  ; 4-byte Folded Reload
	buffer_load_dword v4, off, s[48:51], 0 offset:4 ; 4-byte Folded Reload
	v_and_b32_sdwa v2, v1, s43 dst_sel:DWORD dst_unused:UNUSED_PAD src0_sel:BYTE_1 src1_sel:DWORD
	v_cmp_ne_u32_e64 s[4:5], s43, v2
	s_waitcnt vmcnt(1)
	v_mov_b32_e32 v3, v57
	s_waitcnt vmcnt(0)
	v_mov_b32_e32 v5, v4
	buffer_store_dword v4, off, s[48:51], 0 ; 4-byte Folded Spill
	s_nop 0
	buffer_store_dword v5, off, s[48:51], 0 offset:4 ; 4-byte Folded Spill
	buffer_store_dword v3, off, s[48:51], 0 offset:84 ; 4-byte Folded Spill
	s_nop 0
	buffer_store_dword v4, off, s[48:51], 0 offset:88 ; 4-byte Folded Spill
	s_and_saveexec_b64 s[36:37], s[4:5]
	s_cbranch_execz .LBB212_79
; %bb.78:                               ;   in Loop: Header=BB212_9 Depth=1
	v_mov_b32_e32 v0, 7
	v_and_b32_sdwa v3, v1, v0 dst_sel:DWORD dst_unused:UNUSED_PAD src0_sel:BYTE_1 src1_sel:DWORD
	v_lshrrev_b32_e32 v6, 3, v2
	v_cmp_gt_u32_e64 s[4:5], 8, v2
	v_ffbh_u32_e32 v2, v3
	v_min_u32_e32 v2, 32, v2
	v_mov_b32_e32 v4, v57
	v_subrev_u32_e32 v5, 28, v2
	v_lshlrev_b64 v[4:5], v5, v[3:4]
	v_sub_u32_e32 v2, 29, v2
	v_and_b32_e32 v4, 7, v4
	v_cndmask_b32_e64 v2, v6, v2, s[4:5]
	v_bfrev_b32_e32 v0, 60
	v_cndmask_b32_e64 v3, v3, v4, s[4:5]
	v_lshlrev_b32_e32 v1, 16, v1
	v_lshl_add_u32 v2, v2, 23, v0
	v_and_or_b32 v1, v1, s44, v2
	v_lshlrev_b32_e32 v2, 20, v3
	v_or_b32_e32 v1, v1, v2
	v_mov_b32_e32 v0, v57
	buffer_store_dword v0, off, s[48:51], 0 offset:84 ; 4-byte Folded Spill
	s_nop 0
	buffer_store_dword v1, off, s[48:51], 0 offset:88 ; 4-byte Folded Spill
.LBB212_79:                             ;   in Loop: Header=BB212_9 Depth=1
	s_or_b64 exec, exec, s[36:37]
.LBB212_80:                             ;   in Loop: Header=BB212_9 Depth=1
	s_or_b64 exec, exec, s[34:35]
.LBB212_81:                             ;   in Loop: Header=BB212_9 Depth=1
	s_or_b64 exec, exec, s[16:17]
	global_load_ushort v2, v[9:10], off offset:520
	s_waitcnt vmcnt(0)
	v_and_b32_e32 v1, 0xffff, v2
	v_cmp_ne_u16_sdwa s[4:5], v2, v57 src0_sel:BYTE_0 src1_sel:DWORD
	v_mov_b32_e32 v2, 0
	v_mov_b32_e32 v3, 0
	buffer_store_dword v2, off, s[48:51], 0 offset:100 ; 4-byte Folded Spill
	s_nop 0
	buffer_store_dword v3, off, s[48:51], 0 offset:104 ; 4-byte Folded Spill
	v_mov_b32_e32 v2, 0
	v_mov_b32_e32 v3, 0
	buffer_store_dword v2, off, s[48:51], 0 offset:92 ; 4-byte Folded Spill
	s_nop 0
	buffer_store_dword v3, off, s[48:51], 0 offset:96 ; 4-byte Folded Spill
	s_and_saveexec_b64 s[16:17], s[4:5]
	s_cbranch_execz .LBB212_87
; %bb.82:                               ;   in Loop: Header=BB212_9 Depth=1
	v_bfrev_b32_e32 v2, 1
	v_mov_b32_e32 v3, 0
	v_cmp_ne_u16_sdwa s[4:5], v1, s42 src0_sel:BYTE_0 src1_sel:DWORD
	buffer_store_dword v2, off, s[48:51], 0 offset:92 ; 4-byte Folded Spill
	s_nop 0
	buffer_store_dword v3, off, s[48:51], 0 offset:96 ; 4-byte Folded Spill
	s_and_saveexec_b64 s[34:35], s[4:5]
	s_cbranch_execz .LBB212_86
; %bb.83:                               ;   in Loop: Header=BB212_9 Depth=1
	v_and_b32_e32 v2, 0x7f, v1
	v_mov_b32_e32 v3, 0x7f800001
	v_mov_b32_e32 v4, 0
	v_cmp_ne_u32_e64 s[4:5], s43, v2
	buffer_store_dword v3, off, s[48:51], 0 offset:92 ; 4-byte Folded Spill
	s_nop 0
	buffer_store_dword v4, off, s[48:51], 0 offset:96 ; 4-byte Folded Spill
	s_and_saveexec_b64 s[36:37], s[4:5]
	s_cbranch_execz .LBB212_85
; %bb.84:                               ;   in Loop: Header=BB212_9 Depth=1
	v_and_b32_e32 v4, 7, v1
	v_lshrrev_b32_e32 v5, 3, v2
	v_cmp_gt_u32_e64 s[4:5], 8, v2
	v_ffbh_u32_e32 v2, v4
	v_min_u32_e32 v6, 32, v2
	v_subrev_u32_e32 v2, 28, v6
	v_lshlrev_b64 v[2:3], v2, v[1:2]
	v_sub_u32_e32 v3, 29, v6
	v_and_b32_e32 v2, 7, v2
	v_cndmask_b32_e64 v3, v5, v3, s[4:5]
	v_cndmask_b32_e64 v2, v4, v2, s[4:5]
	v_bfrev_b32_e32 v0, 60
	v_lshlrev_b32_e32 v2, 20, v2
	v_and_b32_sdwa v4, sext(v1), s44 dst_sel:DWORD dst_unused:UNUSED_PAD src0_sel:BYTE_0 src1_sel:DWORD
	v_lshl_add_u32 v3, v3, 23, v0
	v_or3_b32 v2, v4, v3, v2
	v_mov_b32_e32 v3, v57
	buffer_store_dword v2, off, s[48:51], 0 offset:92 ; 4-byte Folded Spill
	s_nop 0
	buffer_store_dword v3, off, s[48:51], 0 offset:96 ; 4-byte Folded Spill
.LBB212_85:                             ;   in Loop: Header=BB212_9 Depth=1
	s_or_b64 exec, exec, s[36:37]
.LBB212_86:                             ;   in Loop: Header=BB212_9 Depth=1
	s_or_b64 exec, exec, s[34:35]
.LBB212_87:                             ;   in Loop: Header=BB212_9 Depth=1
	s_or_b64 exec, exec, s[16:17]
	v_cmp_ne_u16_sdwa s[4:5], v1, v57 src0_sel:BYTE_1 src1_sel:DWORD
	s_and_saveexec_b64 s[16:17], s[4:5]
	s_cbranch_execz .LBB212_93
; %bb.88:                               ;   in Loop: Header=BB212_9 Depth=1
	v_cmp_ne_u16_sdwa s[4:5], v1, s42 src0_sel:BYTE_1 src1_sel:DWORD
	buffer_store_dword v57, off, s[48:51], 0 offset:100 ; 4-byte Folded Spill
	s_nop 0
	buffer_store_dword v58, off, s[48:51], 0 offset:104 ; 4-byte Folded Spill
	s_and_saveexec_b64 s[34:35], s[4:5]
	s_cbranch_execz .LBB212_92
; %bb.89:                               ;   in Loop: Header=BB212_9 Depth=1
	buffer_load_dword v3, off, s[48:51], 0  ; 4-byte Folded Reload
	buffer_load_dword v4, off, s[48:51], 0 offset:4 ; 4-byte Folded Reload
	v_and_b32_sdwa v2, v1, s43 dst_sel:DWORD dst_unused:UNUSED_PAD src0_sel:BYTE_1 src1_sel:DWORD
	v_cmp_ne_u32_e64 s[4:5], s43, v2
	s_waitcnt vmcnt(1)
	v_mov_b32_e32 v3, v57
	s_waitcnt vmcnt(0)
	v_mov_b32_e32 v5, v4
	buffer_store_dword v4, off, s[48:51], 0 ; 4-byte Folded Spill
	s_nop 0
	buffer_store_dword v5, off, s[48:51], 0 offset:4 ; 4-byte Folded Spill
	buffer_store_dword v3, off, s[48:51], 0 offset:100 ; 4-byte Folded Spill
	s_nop 0
	buffer_store_dword v4, off, s[48:51], 0 offset:104 ; 4-byte Folded Spill
	s_and_saveexec_b64 s[36:37], s[4:5]
	s_cbranch_execz .LBB212_91
; %bb.90:                               ;   in Loop: Header=BB212_9 Depth=1
	v_mov_b32_e32 v0, 7
	v_and_b32_sdwa v3, v1, v0 dst_sel:DWORD dst_unused:UNUSED_PAD src0_sel:BYTE_1 src1_sel:DWORD
	v_lshrrev_b32_e32 v6, 3, v2
	v_cmp_gt_u32_e64 s[4:5], 8, v2
	v_ffbh_u32_e32 v2, v3
	v_min_u32_e32 v2, 32, v2
	v_mov_b32_e32 v4, v57
	v_subrev_u32_e32 v5, 28, v2
	v_lshlrev_b64 v[4:5], v5, v[3:4]
	v_sub_u32_e32 v2, 29, v2
	v_and_b32_e32 v4, 7, v4
	v_cndmask_b32_e64 v2, v6, v2, s[4:5]
	v_bfrev_b32_e32 v0, 60
	v_cndmask_b32_e64 v3, v3, v4, s[4:5]
	v_lshlrev_b32_e32 v1, 16, v1
	v_lshl_add_u32 v2, v2, 23, v0
	v_and_or_b32 v1, v1, s44, v2
	v_lshlrev_b32_e32 v2, 20, v3
	v_or_b32_e32 v1, v1, v2
	v_mov_b32_e32 v0, v57
	buffer_store_dword v0, off, s[48:51], 0 offset:100 ; 4-byte Folded Spill
	s_nop 0
	buffer_store_dword v1, off, s[48:51], 0 offset:104 ; 4-byte Folded Spill
.LBB212_91:                             ;   in Loop: Header=BB212_9 Depth=1
	s_or_b64 exec, exec, s[36:37]
.LBB212_92:                             ;   in Loop: Header=BB212_9 Depth=1
	s_or_b64 exec, exec, s[34:35]
.LBB212_93:                             ;   in Loop: Header=BB212_9 Depth=1
	s_or_b64 exec, exec, s[16:17]
	global_load_ushort v2, v[9:10], off offset:524
	s_waitcnt vmcnt(0)
	v_and_b32_e32 v1, 0xffff, v2
	v_cmp_ne_u16_sdwa s[4:5], v2, v57 src0_sel:BYTE_0 src1_sel:DWORD
	v_mov_b32_e32 v2, 0
	v_mov_b32_e32 v3, 0
	buffer_store_dword v2, off, s[48:51], 0 offset:116 ; 4-byte Folded Spill
	s_nop 0
	buffer_store_dword v3, off, s[48:51], 0 offset:120 ; 4-byte Folded Spill
	v_mov_b32_e32 v2, 0
	v_mov_b32_e32 v3, 0
	buffer_store_dword v2, off, s[48:51], 0 offset:108 ; 4-byte Folded Spill
	s_nop 0
	buffer_store_dword v3, off, s[48:51], 0 offset:112 ; 4-byte Folded Spill
	s_and_saveexec_b64 s[16:17], s[4:5]
	s_cbranch_execz .LBB212_99
; %bb.94:                               ;   in Loop: Header=BB212_9 Depth=1
	v_bfrev_b32_e32 v2, 1
	v_mov_b32_e32 v3, 0
	v_cmp_ne_u16_sdwa s[4:5], v1, s42 src0_sel:BYTE_0 src1_sel:DWORD
	buffer_store_dword v2, off, s[48:51], 0 offset:108 ; 4-byte Folded Spill
	s_nop 0
	buffer_store_dword v3, off, s[48:51], 0 offset:112 ; 4-byte Folded Spill
	s_and_saveexec_b64 s[34:35], s[4:5]
	s_cbranch_execz .LBB212_98
; %bb.95:                               ;   in Loop: Header=BB212_9 Depth=1
	v_and_b32_e32 v2, 0x7f, v1
	v_mov_b32_e32 v3, 0x7f800001
	v_mov_b32_e32 v4, 0
	v_cmp_ne_u32_e64 s[4:5], s43, v2
	buffer_store_dword v3, off, s[48:51], 0 offset:108 ; 4-byte Folded Spill
	s_nop 0
	buffer_store_dword v4, off, s[48:51], 0 offset:112 ; 4-byte Folded Spill
	s_and_saveexec_b64 s[36:37], s[4:5]
	s_cbranch_execz .LBB212_97
; %bb.96:                               ;   in Loop: Header=BB212_9 Depth=1
	v_and_b32_e32 v4, 7, v1
	v_lshrrev_b32_e32 v5, 3, v2
	v_cmp_gt_u32_e64 s[4:5], 8, v2
	v_ffbh_u32_e32 v2, v4
	v_min_u32_e32 v6, 32, v2
	v_subrev_u32_e32 v2, 28, v6
	v_lshlrev_b64 v[2:3], v2, v[1:2]
	v_sub_u32_e32 v3, 29, v6
	v_and_b32_e32 v2, 7, v2
	v_cndmask_b32_e64 v3, v5, v3, s[4:5]
	v_cndmask_b32_e64 v2, v4, v2, s[4:5]
	v_bfrev_b32_e32 v0, 60
	v_lshlrev_b32_e32 v2, 20, v2
	v_and_b32_sdwa v4, sext(v1), s44 dst_sel:DWORD dst_unused:UNUSED_PAD src0_sel:BYTE_0 src1_sel:DWORD
	v_lshl_add_u32 v3, v3, 23, v0
	v_or3_b32 v2, v4, v3, v2
	v_mov_b32_e32 v3, v57
	buffer_store_dword v2, off, s[48:51], 0 offset:108 ; 4-byte Folded Spill
	s_nop 0
	buffer_store_dword v3, off, s[48:51], 0 offset:112 ; 4-byte Folded Spill
.LBB212_97:                             ;   in Loop: Header=BB212_9 Depth=1
	s_or_b64 exec, exec, s[36:37]
.LBB212_98:                             ;   in Loop: Header=BB212_9 Depth=1
	s_or_b64 exec, exec, s[34:35]
.LBB212_99:                             ;   in Loop: Header=BB212_9 Depth=1
	s_or_b64 exec, exec, s[16:17]
	v_cmp_ne_u16_sdwa s[4:5], v1, v57 src0_sel:BYTE_1 src1_sel:DWORD
	s_and_saveexec_b64 s[16:17], s[4:5]
	s_cbranch_execz .LBB212_105
; %bb.100:                              ;   in Loop: Header=BB212_9 Depth=1
	v_cmp_ne_u16_sdwa s[4:5], v1, s42 src0_sel:BYTE_1 src1_sel:DWORD
	buffer_store_dword v57, off, s[48:51], 0 offset:116 ; 4-byte Folded Spill
	s_nop 0
	buffer_store_dword v58, off, s[48:51], 0 offset:120 ; 4-byte Folded Spill
	s_and_saveexec_b64 s[34:35], s[4:5]
	s_cbranch_execz .LBB212_104
; %bb.101:                              ;   in Loop: Header=BB212_9 Depth=1
	buffer_load_dword v3, off, s[48:51], 0  ; 4-byte Folded Reload
	buffer_load_dword v4, off, s[48:51], 0 offset:4 ; 4-byte Folded Reload
	v_and_b32_sdwa v2, v1, s43 dst_sel:DWORD dst_unused:UNUSED_PAD src0_sel:BYTE_1 src1_sel:DWORD
	v_cmp_ne_u32_e64 s[4:5], s43, v2
	s_waitcnt vmcnt(1)
	v_mov_b32_e32 v3, v57
	s_waitcnt vmcnt(0)
	v_mov_b32_e32 v5, v4
	buffer_store_dword v4, off, s[48:51], 0 ; 4-byte Folded Spill
	s_nop 0
	buffer_store_dword v5, off, s[48:51], 0 offset:4 ; 4-byte Folded Spill
	buffer_store_dword v3, off, s[48:51], 0 offset:116 ; 4-byte Folded Spill
	s_nop 0
	buffer_store_dword v4, off, s[48:51], 0 offset:120 ; 4-byte Folded Spill
	s_and_saveexec_b64 s[36:37], s[4:5]
	s_cbranch_execz .LBB212_103
; %bb.102:                              ;   in Loop: Header=BB212_9 Depth=1
	v_mov_b32_e32 v0, 7
	v_and_b32_sdwa v3, v1, v0 dst_sel:DWORD dst_unused:UNUSED_PAD src0_sel:BYTE_1 src1_sel:DWORD
	v_lshrrev_b32_e32 v6, 3, v2
	v_cmp_gt_u32_e64 s[4:5], 8, v2
	v_ffbh_u32_e32 v2, v3
	v_min_u32_e32 v2, 32, v2
	v_mov_b32_e32 v4, v57
	v_subrev_u32_e32 v5, 28, v2
	v_lshlrev_b64 v[4:5], v5, v[3:4]
	v_sub_u32_e32 v2, 29, v2
	v_and_b32_e32 v4, 7, v4
	v_cndmask_b32_e64 v2, v6, v2, s[4:5]
	v_bfrev_b32_e32 v0, 60
	v_cndmask_b32_e64 v3, v3, v4, s[4:5]
	v_lshlrev_b32_e32 v1, 16, v1
	v_lshl_add_u32 v2, v2, 23, v0
	v_and_or_b32 v1, v1, s44, v2
	v_lshlrev_b32_e32 v2, 20, v3
	v_or_b32_e32 v1, v1, v2
	v_mov_b32_e32 v0, v57
	buffer_store_dword v0, off, s[48:51], 0 offset:116 ; 4-byte Folded Spill
	s_nop 0
	buffer_store_dword v1, off, s[48:51], 0 offset:120 ; 4-byte Folded Spill
.LBB212_103:                            ;   in Loop: Header=BB212_9 Depth=1
	s_or_b64 exec, exec, s[36:37]
.LBB212_104:                            ;   in Loop: Header=BB212_9 Depth=1
	s_or_b64 exec, exec, s[34:35]
.LBB212_105:                            ;   in Loop: Header=BB212_9 Depth=1
	s_or_b64 exec, exec, s[16:17]
	global_load_ushort v2, v[9:10], off offset:1024
	s_waitcnt vmcnt(0)
	v_and_b32_e32 v1, 0xffff, v2
	v_cmp_ne_u16_sdwa s[4:5], v2, v57 src0_sel:BYTE_0 src1_sel:DWORD
	v_mov_b32_e32 v2, 0
	v_mov_b32_e32 v3, 0
	buffer_store_dword v2, off, s[48:51], 0 offset:132 ; 4-byte Folded Spill
	s_nop 0
	buffer_store_dword v3, off, s[48:51], 0 offset:136 ; 4-byte Folded Spill
	v_mov_b32_e32 v2, 0
	v_mov_b32_e32 v3, 0
	buffer_store_dword v2, off, s[48:51], 0 offset:124 ; 4-byte Folded Spill
	s_nop 0
	buffer_store_dword v3, off, s[48:51], 0 offset:128 ; 4-byte Folded Spill
	s_and_saveexec_b64 s[16:17], s[4:5]
	s_cbranch_execz .LBB212_111
; %bb.106:                              ;   in Loop: Header=BB212_9 Depth=1
	v_bfrev_b32_e32 v2, 1
	v_mov_b32_e32 v3, 0
	v_cmp_ne_u16_sdwa s[4:5], v1, s42 src0_sel:BYTE_0 src1_sel:DWORD
	buffer_store_dword v2, off, s[48:51], 0 offset:124 ; 4-byte Folded Spill
	s_nop 0
	buffer_store_dword v3, off, s[48:51], 0 offset:128 ; 4-byte Folded Spill
	s_and_saveexec_b64 s[34:35], s[4:5]
	s_cbranch_execz .LBB212_110
; %bb.107:                              ;   in Loop: Header=BB212_9 Depth=1
	v_and_b32_e32 v2, 0x7f, v1
	v_mov_b32_e32 v3, 0x7f800001
	v_mov_b32_e32 v4, 0
	v_cmp_ne_u32_e64 s[4:5], s43, v2
	buffer_store_dword v3, off, s[48:51], 0 offset:124 ; 4-byte Folded Spill
	s_nop 0
	buffer_store_dword v4, off, s[48:51], 0 offset:128 ; 4-byte Folded Spill
	s_and_saveexec_b64 s[36:37], s[4:5]
	s_cbranch_execz .LBB212_109
; %bb.108:                              ;   in Loop: Header=BB212_9 Depth=1
	v_and_b32_e32 v4, 7, v1
	v_lshrrev_b32_e32 v5, 3, v2
	v_cmp_gt_u32_e64 s[4:5], 8, v2
	v_ffbh_u32_e32 v2, v4
	v_min_u32_e32 v6, 32, v2
	v_subrev_u32_e32 v2, 28, v6
	v_lshlrev_b64 v[2:3], v2, v[1:2]
	v_sub_u32_e32 v3, 29, v6
	v_and_b32_e32 v2, 7, v2
	v_cndmask_b32_e64 v3, v5, v3, s[4:5]
	v_cndmask_b32_e64 v2, v4, v2, s[4:5]
	v_bfrev_b32_e32 v0, 60
	v_lshlrev_b32_e32 v2, 20, v2
	v_and_b32_sdwa v4, sext(v1), s44 dst_sel:DWORD dst_unused:UNUSED_PAD src0_sel:BYTE_0 src1_sel:DWORD
	v_lshl_add_u32 v3, v3, 23, v0
	v_or3_b32 v2, v4, v3, v2
	v_mov_b32_e32 v3, v57
	buffer_store_dword v2, off, s[48:51], 0 offset:124 ; 4-byte Folded Spill
	s_nop 0
	buffer_store_dword v3, off, s[48:51], 0 offset:128 ; 4-byte Folded Spill
.LBB212_109:                            ;   in Loop: Header=BB212_9 Depth=1
	s_or_b64 exec, exec, s[36:37]
.LBB212_110:                            ;   in Loop: Header=BB212_9 Depth=1
	s_or_b64 exec, exec, s[34:35]
.LBB212_111:                            ;   in Loop: Header=BB212_9 Depth=1
	s_or_b64 exec, exec, s[16:17]
	v_cmp_ne_u16_sdwa s[4:5], v1, v57 src0_sel:BYTE_1 src1_sel:DWORD
	s_and_saveexec_b64 s[16:17], s[4:5]
	s_cbranch_execz .LBB212_117
; %bb.112:                              ;   in Loop: Header=BB212_9 Depth=1
	v_cmp_ne_u16_sdwa s[4:5], v1, s42 src0_sel:BYTE_1 src1_sel:DWORD
	buffer_store_dword v57, off, s[48:51], 0 offset:132 ; 4-byte Folded Spill
	s_nop 0
	buffer_store_dword v58, off, s[48:51], 0 offset:136 ; 4-byte Folded Spill
	s_and_saveexec_b64 s[34:35], s[4:5]
	s_cbranch_execz .LBB212_116
; %bb.113:                              ;   in Loop: Header=BB212_9 Depth=1
	buffer_load_dword v3, off, s[48:51], 0  ; 4-byte Folded Reload
	buffer_load_dword v4, off, s[48:51], 0 offset:4 ; 4-byte Folded Reload
	v_and_b32_sdwa v2, v1, s43 dst_sel:DWORD dst_unused:UNUSED_PAD src0_sel:BYTE_1 src1_sel:DWORD
	v_cmp_ne_u32_e64 s[4:5], s43, v2
	s_waitcnt vmcnt(1)
	v_mov_b32_e32 v3, v57
	s_waitcnt vmcnt(0)
	v_mov_b32_e32 v5, v4
	buffer_store_dword v4, off, s[48:51], 0 ; 4-byte Folded Spill
	s_nop 0
	buffer_store_dword v5, off, s[48:51], 0 offset:4 ; 4-byte Folded Spill
	buffer_store_dword v3, off, s[48:51], 0 offset:132 ; 4-byte Folded Spill
	s_nop 0
	buffer_store_dword v4, off, s[48:51], 0 offset:136 ; 4-byte Folded Spill
	s_and_saveexec_b64 s[36:37], s[4:5]
	s_cbranch_execz .LBB212_115
; %bb.114:                              ;   in Loop: Header=BB212_9 Depth=1
	v_mov_b32_e32 v0, 7
	v_and_b32_sdwa v3, v1, v0 dst_sel:DWORD dst_unused:UNUSED_PAD src0_sel:BYTE_1 src1_sel:DWORD
	v_lshrrev_b32_e32 v6, 3, v2
	v_cmp_gt_u32_e64 s[4:5], 8, v2
	v_ffbh_u32_e32 v2, v3
	v_min_u32_e32 v2, 32, v2
	v_mov_b32_e32 v4, v57
	v_subrev_u32_e32 v5, 28, v2
	v_lshlrev_b64 v[4:5], v5, v[3:4]
	v_sub_u32_e32 v2, 29, v2
	v_and_b32_e32 v4, 7, v4
	v_cndmask_b32_e64 v2, v6, v2, s[4:5]
	v_bfrev_b32_e32 v0, 60
	v_cndmask_b32_e64 v3, v3, v4, s[4:5]
	v_lshlrev_b32_e32 v1, 16, v1
	v_lshl_add_u32 v2, v2, 23, v0
	v_and_or_b32 v1, v1, s44, v2
	v_lshlrev_b32_e32 v2, 20, v3
	v_or_b32_e32 v1, v1, v2
	v_mov_b32_e32 v0, v57
	buffer_store_dword v0, off, s[48:51], 0 offset:132 ; 4-byte Folded Spill
	s_nop 0
	buffer_store_dword v1, off, s[48:51], 0 offset:136 ; 4-byte Folded Spill
.LBB212_115:                            ;   in Loop: Header=BB212_9 Depth=1
	s_or_b64 exec, exec, s[36:37]
.LBB212_116:                            ;   in Loop: Header=BB212_9 Depth=1
	s_or_b64 exec, exec, s[34:35]
.LBB212_117:                            ;   in Loop: Header=BB212_9 Depth=1
	s_or_b64 exec, exec, s[16:17]
	global_load_ushort v2, v[9:10], off offset:1028
	s_waitcnt vmcnt(0)
	v_and_b32_e32 v1, 0xffff, v2
	v_cmp_ne_u16_sdwa s[4:5], v2, v57 src0_sel:BYTE_0 src1_sel:DWORD
	v_mov_b32_e32 v2, 0
	v_mov_b32_e32 v3, 0
	buffer_store_dword v2, off, s[48:51], 0 offset:148 ; 4-byte Folded Spill
	s_nop 0
	buffer_store_dword v3, off, s[48:51], 0 offset:152 ; 4-byte Folded Spill
	v_mov_b32_e32 v2, 0
	v_mov_b32_e32 v3, 0
	buffer_store_dword v2, off, s[48:51], 0 offset:140 ; 4-byte Folded Spill
	s_nop 0
	buffer_store_dword v3, off, s[48:51], 0 offset:144 ; 4-byte Folded Spill
	s_and_saveexec_b64 s[16:17], s[4:5]
	s_cbranch_execz .LBB212_123
; %bb.118:                              ;   in Loop: Header=BB212_9 Depth=1
	v_bfrev_b32_e32 v2, 1
	v_mov_b32_e32 v3, 0
	v_cmp_ne_u16_sdwa s[4:5], v1, s42 src0_sel:BYTE_0 src1_sel:DWORD
	buffer_store_dword v2, off, s[48:51], 0 offset:140 ; 4-byte Folded Spill
	s_nop 0
	buffer_store_dword v3, off, s[48:51], 0 offset:144 ; 4-byte Folded Spill
	s_and_saveexec_b64 s[34:35], s[4:5]
	s_cbranch_execz .LBB212_122
; %bb.119:                              ;   in Loop: Header=BB212_9 Depth=1
	v_and_b32_e32 v2, 0x7f, v1
	v_mov_b32_e32 v3, 0x7f800001
	v_mov_b32_e32 v4, 0
	v_cmp_ne_u32_e64 s[4:5], s43, v2
	buffer_store_dword v3, off, s[48:51], 0 offset:140 ; 4-byte Folded Spill
	s_nop 0
	buffer_store_dword v4, off, s[48:51], 0 offset:144 ; 4-byte Folded Spill
	s_and_saveexec_b64 s[36:37], s[4:5]
	s_cbranch_execz .LBB212_121
; %bb.120:                              ;   in Loop: Header=BB212_9 Depth=1
	v_and_b32_e32 v4, 7, v1
	v_lshrrev_b32_e32 v5, 3, v2
	v_cmp_gt_u32_e64 s[4:5], 8, v2
	v_ffbh_u32_e32 v2, v4
	v_min_u32_e32 v6, 32, v2
	v_subrev_u32_e32 v2, 28, v6
	v_lshlrev_b64 v[2:3], v2, v[1:2]
	v_sub_u32_e32 v3, 29, v6
	v_and_b32_e32 v2, 7, v2
	v_cndmask_b32_e64 v3, v5, v3, s[4:5]
	v_cndmask_b32_e64 v2, v4, v2, s[4:5]
	v_bfrev_b32_e32 v0, 60
	v_lshlrev_b32_e32 v2, 20, v2
	v_and_b32_sdwa v4, sext(v1), s44 dst_sel:DWORD dst_unused:UNUSED_PAD src0_sel:BYTE_0 src1_sel:DWORD
	v_lshl_add_u32 v3, v3, 23, v0
	v_or3_b32 v2, v4, v3, v2
	v_mov_b32_e32 v3, v57
	buffer_store_dword v2, off, s[48:51], 0 offset:140 ; 4-byte Folded Spill
	s_nop 0
	buffer_store_dword v3, off, s[48:51], 0 offset:144 ; 4-byte Folded Spill
.LBB212_121:                            ;   in Loop: Header=BB212_9 Depth=1
	s_or_b64 exec, exec, s[36:37]
.LBB212_122:                            ;   in Loop: Header=BB212_9 Depth=1
	s_or_b64 exec, exec, s[34:35]
.LBB212_123:                            ;   in Loop: Header=BB212_9 Depth=1
	s_or_b64 exec, exec, s[16:17]
	v_cmp_ne_u16_sdwa s[4:5], v1, v57 src0_sel:BYTE_1 src1_sel:DWORD
	s_and_saveexec_b64 s[16:17], s[4:5]
	s_cbranch_execz .LBB212_129
; %bb.124:                              ;   in Loop: Header=BB212_9 Depth=1
	v_cmp_ne_u16_sdwa s[4:5], v1, s42 src0_sel:BYTE_1 src1_sel:DWORD
	buffer_store_dword v57, off, s[48:51], 0 offset:148 ; 4-byte Folded Spill
	s_nop 0
	buffer_store_dword v58, off, s[48:51], 0 offset:152 ; 4-byte Folded Spill
	s_and_saveexec_b64 s[34:35], s[4:5]
	s_cbranch_execz .LBB212_128
; %bb.125:                              ;   in Loop: Header=BB212_9 Depth=1
	buffer_load_dword v3, off, s[48:51], 0  ; 4-byte Folded Reload
	buffer_load_dword v4, off, s[48:51], 0 offset:4 ; 4-byte Folded Reload
	v_and_b32_sdwa v2, v1, s43 dst_sel:DWORD dst_unused:UNUSED_PAD src0_sel:BYTE_1 src1_sel:DWORD
	v_cmp_ne_u32_e64 s[4:5], s43, v2
	s_waitcnt vmcnt(1)
	v_mov_b32_e32 v3, v57
	s_waitcnt vmcnt(0)
	v_mov_b32_e32 v5, v4
	buffer_store_dword v4, off, s[48:51], 0 ; 4-byte Folded Spill
	s_nop 0
	buffer_store_dword v5, off, s[48:51], 0 offset:4 ; 4-byte Folded Spill
	buffer_store_dword v3, off, s[48:51], 0 offset:148 ; 4-byte Folded Spill
	s_nop 0
	buffer_store_dword v4, off, s[48:51], 0 offset:152 ; 4-byte Folded Spill
	s_and_saveexec_b64 s[36:37], s[4:5]
	s_cbranch_execz .LBB212_127
; %bb.126:                              ;   in Loop: Header=BB212_9 Depth=1
	v_mov_b32_e32 v0, 7
	v_and_b32_sdwa v3, v1, v0 dst_sel:DWORD dst_unused:UNUSED_PAD src0_sel:BYTE_1 src1_sel:DWORD
	v_lshrrev_b32_e32 v6, 3, v2
	v_cmp_gt_u32_e64 s[4:5], 8, v2
	v_ffbh_u32_e32 v2, v3
	v_min_u32_e32 v2, 32, v2
	v_mov_b32_e32 v4, v57
	v_subrev_u32_e32 v5, 28, v2
	v_lshlrev_b64 v[4:5], v5, v[3:4]
	v_sub_u32_e32 v2, 29, v2
	v_and_b32_e32 v4, 7, v4
	v_cndmask_b32_e64 v2, v6, v2, s[4:5]
	v_bfrev_b32_e32 v0, 60
	v_cndmask_b32_e64 v3, v3, v4, s[4:5]
	v_lshlrev_b32_e32 v1, 16, v1
	v_lshl_add_u32 v2, v2, 23, v0
	v_and_or_b32 v1, v1, s44, v2
	v_lshlrev_b32_e32 v2, 20, v3
	v_or_b32_e32 v1, v1, v2
	v_mov_b32_e32 v0, v57
	buffer_store_dword v0, off, s[48:51], 0 offset:148 ; 4-byte Folded Spill
	s_nop 0
	buffer_store_dword v1, off, s[48:51], 0 offset:152 ; 4-byte Folded Spill
.LBB212_127:                            ;   in Loop: Header=BB212_9 Depth=1
	s_or_b64 exec, exec, s[36:37]
.LBB212_128:                            ;   in Loop: Header=BB212_9 Depth=1
	s_or_b64 exec, exec, s[34:35]
.LBB212_129:                            ;   in Loop: Header=BB212_9 Depth=1
	s_or_b64 exec, exec, s[16:17]
	global_load_ushort v2, v[9:10], off offset:1032
	s_waitcnt vmcnt(0)
	v_and_b32_e32 v1, 0xffff, v2
	v_cmp_ne_u16_sdwa s[4:5], v2, v57 src0_sel:BYTE_0 src1_sel:DWORD
	v_mov_b32_e32 v2, 0
	v_mov_b32_e32 v3, 0
	buffer_store_dword v2, off, s[48:51], 0 offset:164 ; 4-byte Folded Spill
	s_nop 0
	buffer_store_dword v3, off, s[48:51], 0 offset:168 ; 4-byte Folded Spill
	v_mov_b32_e32 v2, 0
	v_mov_b32_e32 v3, 0
	buffer_store_dword v2, off, s[48:51], 0 offset:156 ; 4-byte Folded Spill
	s_nop 0
	buffer_store_dword v3, off, s[48:51], 0 offset:160 ; 4-byte Folded Spill
	s_and_saveexec_b64 s[16:17], s[4:5]
	s_cbranch_execz .LBB212_135
; %bb.130:                              ;   in Loop: Header=BB212_9 Depth=1
	v_bfrev_b32_e32 v2, 1
	v_mov_b32_e32 v3, 0
	v_cmp_ne_u16_sdwa s[4:5], v1, s42 src0_sel:BYTE_0 src1_sel:DWORD
	buffer_store_dword v2, off, s[48:51], 0 offset:156 ; 4-byte Folded Spill
	s_nop 0
	buffer_store_dword v3, off, s[48:51], 0 offset:160 ; 4-byte Folded Spill
	s_and_saveexec_b64 s[34:35], s[4:5]
	s_cbranch_execz .LBB212_134
; %bb.131:                              ;   in Loop: Header=BB212_9 Depth=1
	v_and_b32_e32 v2, 0x7f, v1
	v_mov_b32_e32 v3, 0x7f800001
	v_mov_b32_e32 v4, 0
	v_cmp_ne_u32_e64 s[4:5], s43, v2
	buffer_store_dword v3, off, s[48:51], 0 offset:156 ; 4-byte Folded Spill
	s_nop 0
	buffer_store_dword v4, off, s[48:51], 0 offset:160 ; 4-byte Folded Spill
	s_and_saveexec_b64 s[36:37], s[4:5]
	s_cbranch_execz .LBB212_133
; %bb.132:                              ;   in Loop: Header=BB212_9 Depth=1
	v_and_b32_e32 v4, 7, v1
	v_lshrrev_b32_e32 v5, 3, v2
	v_cmp_gt_u32_e64 s[4:5], 8, v2
	v_ffbh_u32_e32 v2, v4
	v_min_u32_e32 v6, 32, v2
	v_subrev_u32_e32 v2, 28, v6
	v_lshlrev_b64 v[2:3], v2, v[1:2]
	v_sub_u32_e32 v3, 29, v6
	v_and_b32_e32 v2, 7, v2
	v_cndmask_b32_e64 v3, v5, v3, s[4:5]
	v_cndmask_b32_e64 v2, v4, v2, s[4:5]
	v_bfrev_b32_e32 v0, 60
	v_lshlrev_b32_e32 v2, 20, v2
	v_and_b32_sdwa v4, sext(v1), s44 dst_sel:DWORD dst_unused:UNUSED_PAD src0_sel:BYTE_0 src1_sel:DWORD
	v_lshl_add_u32 v3, v3, 23, v0
	v_or3_b32 v2, v4, v3, v2
	v_mov_b32_e32 v3, v57
	buffer_store_dword v2, off, s[48:51], 0 offset:156 ; 4-byte Folded Spill
	s_nop 0
	buffer_store_dword v3, off, s[48:51], 0 offset:160 ; 4-byte Folded Spill
.LBB212_133:                            ;   in Loop: Header=BB212_9 Depth=1
	s_or_b64 exec, exec, s[36:37]
.LBB212_134:                            ;   in Loop: Header=BB212_9 Depth=1
	s_or_b64 exec, exec, s[34:35]
.LBB212_135:                            ;   in Loop: Header=BB212_9 Depth=1
	s_or_b64 exec, exec, s[16:17]
	v_cmp_ne_u16_sdwa s[4:5], v1, v57 src0_sel:BYTE_1 src1_sel:DWORD
	s_and_saveexec_b64 s[16:17], s[4:5]
	s_cbranch_execz .LBB212_141
; %bb.136:                              ;   in Loop: Header=BB212_9 Depth=1
	v_cmp_ne_u16_sdwa s[4:5], v1, s42 src0_sel:BYTE_1 src1_sel:DWORD
	buffer_store_dword v57, off, s[48:51], 0 offset:164 ; 4-byte Folded Spill
	s_nop 0
	buffer_store_dword v58, off, s[48:51], 0 offset:168 ; 4-byte Folded Spill
	s_and_saveexec_b64 s[34:35], s[4:5]
	s_cbranch_execz .LBB212_140
; %bb.137:                              ;   in Loop: Header=BB212_9 Depth=1
	buffer_load_dword v3, off, s[48:51], 0  ; 4-byte Folded Reload
	buffer_load_dword v4, off, s[48:51], 0 offset:4 ; 4-byte Folded Reload
	v_and_b32_sdwa v2, v1, s43 dst_sel:DWORD dst_unused:UNUSED_PAD src0_sel:BYTE_1 src1_sel:DWORD
	v_cmp_ne_u32_e64 s[4:5], s43, v2
	s_waitcnt vmcnt(1)
	v_mov_b32_e32 v3, v57
	s_waitcnt vmcnt(0)
	v_mov_b32_e32 v5, v4
	buffer_store_dword v4, off, s[48:51], 0 ; 4-byte Folded Spill
	s_nop 0
	buffer_store_dword v5, off, s[48:51], 0 offset:4 ; 4-byte Folded Spill
	buffer_store_dword v3, off, s[48:51], 0 offset:164 ; 4-byte Folded Spill
	s_nop 0
	buffer_store_dword v4, off, s[48:51], 0 offset:168 ; 4-byte Folded Spill
	s_and_saveexec_b64 s[36:37], s[4:5]
	s_cbranch_execz .LBB212_139
; %bb.138:                              ;   in Loop: Header=BB212_9 Depth=1
	v_mov_b32_e32 v0, 7
	v_and_b32_sdwa v3, v1, v0 dst_sel:DWORD dst_unused:UNUSED_PAD src0_sel:BYTE_1 src1_sel:DWORD
	v_lshrrev_b32_e32 v6, 3, v2
	v_cmp_gt_u32_e64 s[4:5], 8, v2
	v_ffbh_u32_e32 v2, v3
	v_min_u32_e32 v2, 32, v2
	v_mov_b32_e32 v4, v57
	v_subrev_u32_e32 v5, 28, v2
	v_lshlrev_b64 v[4:5], v5, v[3:4]
	v_sub_u32_e32 v2, 29, v2
	v_and_b32_e32 v4, 7, v4
	v_cndmask_b32_e64 v2, v6, v2, s[4:5]
	v_bfrev_b32_e32 v0, 60
	v_cndmask_b32_e64 v3, v3, v4, s[4:5]
	v_lshlrev_b32_e32 v1, 16, v1
	v_lshl_add_u32 v2, v2, 23, v0
	v_and_or_b32 v1, v1, s44, v2
	v_lshlrev_b32_e32 v2, 20, v3
	v_or_b32_e32 v1, v1, v2
	v_mov_b32_e32 v0, v57
	buffer_store_dword v0, off, s[48:51], 0 offset:164 ; 4-byte Folded Spill
	s_nop 0
	buffer_store_dword v1, off, s[48:51], 0 offset:168 ; 4-byte Folded Spill
.LBB212_139:                            ;   in Loop: Header=BB212_9 Depth=1
	s_or_b64 exec, exec, s[36:37]
.LBB212_140:                            ;   in Loop: Header=BB212_9 Depth=1
	s_or_b64 exec, exec, s[34:35]
.LBB212_141:                            ;   in Loop: Header=BB212_9 Depth=1
	s_or_b64 exec, exec, s[16:17]
	global_load_ushort v2, v[9:10], off offset:1036
	s_waitcnt vmcnt(0)
	v_and_b32_e32 v1, 0xffff, v2
	v_cmp_ne_u16_sdwa s[4:5], v2, v57 src0_sel:BYTE_0 src1_sel:DWORD
	v_mov_b32_e32 v2, 0
	v_mov_b32_e32 v3, 0
	buffer_store_dword v2, off, s[48:51], 0 offset:180 ; 4-byte Folded Spill
	s_nop 0
	buffer_store_dword v3, off, s[48:51], 0 offset:184 ; 4-byte Folded Spill
	v_mov_b32_e32 v2, 0
	v_mov_b32_e32 v3, 0
	buffer_store_dword v2, off, s[48:51], 0 offset:172 ; 4-byte Folded Spill
	s_nop 0
	buffer_store_dword v3, off, s[48:51], 0 offset:176 ; 4-byte Folded Spill
	s_and_saveexec_b64 s[16:17], s[4:5]
	s_cbranch_execz .LBB212_147
; %bb.142:                              ;   in Loop: Header=BB212_9 Depth=1
	v_bfrev_b32_e32 v2, 1
	v_mov_b32_e32 v3, 0
	v_cmp_ne_u16_sdwa s[4:5], v1, s42 src0_sel:BYTE_0 src1_sel:DWORD
	buffer_store_dword v2, off, s[48:51], 0 offset:172 ; 4-byte Folded Spill
	s_nop 0
	buffer_store_dword v3, off, s[48:51], 0 offset:176 ; 4-byte Folded Spill
	s_and_saveexec_b64 s[34:35], s[4:5]
	s_cbranch_execz .LBB212_146
; %bb.143:                              ;   in Loop: Header=BB212_9 Depth=1
	v_and_b32_e32 v2, 0x7f, v1
	v_mov_b32_e32 v3, 0x7f800001
	v_mov_b32_e32 v4, 0
	v_cmp_ne_u32_e64 s[4:5], s43, v2
	buffer_store_dword v3, off, s[48:51], 0 offset:172 ; 4-byte Folded Spill
	s_nop 0
	buffer_store_dword v4, off, s[48:51], 0 offset:176 ; 4-byte Folded Spill
	s_and_saveexec_b64 s[36:37], s[4:5]
	s_cbranch_execz .LBB212_145
; %bb.144:                              ;   in Loop: Header=BB212_9 Depth=1
	v_and_b32_e32 v4, 7, v1
	v_lshrrev_b32_e32 v5, 3, v2
	v_cmp_gt_u32_e64 s[4:5], 8, v2
	v_ffbh_u32_e32 v2, v4
	v_min_u32_e32 v6, 32, v2
	v_subrev_u32_e32 v2, 28, v6
	v_lshlrev_b64 v[2:3], v2, v[1:2]
	v_sub_u32_e32 v3, 29, v6
	v_and_b32_e32 v2, 7, v2
	v_cndmask_b32_e64 v3, v5, v3, s[4:5]
	v_cndmask_b32_e64 v2, v4, v2, s[4:5]
	v_bfrev_b32_e32 v0, 60
	v_lshlrev_b32_e32 v2, 20, v2
	v_and_b32_sdwa v4, sext(v1), s44 dst_sel:DWORD dst_unused:UNUSED_PAD src0_sel:BYTE_0 src1_sel:DWORD
	v_lshl_add_u32 v3, v3, 23, v0
	v_or3_b32 v2, v4, v3, v2
	v_mov_b32_e32 v3, v57
	buffer_store_dword v2, off, s[48:51], 0 offset:172 ; 4-byte Folded Spill
	s_nop 0
	buffer_store_dword v3, off, s[48:51], 0 offset:176 ; 4-byte Folded Spill
.LBB212_145:                            ;   in Loop: Header=BB212_9 Depth=1
	s_or_b64 exec, exec, s[36:37]
.LBB212_146:                            ;   in Loop: Header=BB212_9 Depth=1
	s_or_b64 exec, exec, s[34:35]
.LBB212_147:                            ;   in Loop: Header=BB212_9 Depth=1
	s_or_b64 exec, exec, s[16:17]
	v_cmp_ne_u16_sdwa s[4:5], v1, v57 src0_sel:BYTE_1 src1_sel:DWORD
	s_and_saveexec_b64 s[16:17], s[4:5]
	s_cbranch_execz .LBB212_153
; %bb.148:                              ;   in Loop: Header=BB212_9 Depth=1
	v_cmp_ne_u16_sdwa s[4:5], v1, s42 src0_sel:BYTE_1 src1_sel:DWORD
	buffer_store_dword v57, off, s[48:51], 0 offset:180 ; 4-byte Folded Spill
	s_nop 0
	buffer_store_dword v58, off, s[48:51], 0 offset:184 ; 4-byte Folded Spill
	s_and_saveexec_b64 s[34:35], s[4:5]
	s_cbranch_execz .LBB212_152
; %bb.149:                              ;   in Loop: Header=BB212_9 Depth=1
	buffer_load_dword v3, off, s[48:51], 0  ; 4-byte Folded Reload
	buffer_load_dword v4, off, s[48:51], 0 offset:4 ; 4-byte Folded Reload
	v_and_b32_sdwa v2, v1, s43 dst_sel:DWORD dst_unused:UNUSED_PAD src0_sel:BYTE_1 src1_sel:DWORD
	v_cmp_ne_u32_e64 s[4:5], s43, v2
	s_waitcnt vmcnt(1)
	v_mov_b32_e32 v3, v57
	s_waitcnt vmcnt(0)
	v_mov_b32_e32 v5, v4
	buffer_store_dword v4, off, s[48:51], 0 ; 4-byte Folded Spill
	s_nop 0
	buffer_store_dword v5, off, s[48:51], 0 offset:4 ; 4-byte Folded Spill
	buffer_store_dword v3, off, s[48:51], 0 offset:180 ; 4-byte Folded Spill
	s_nop 0
	buffer_store_dword v4, off, s[48:51], 0 offset:184 ; 4-byte Folded Spill
	s_and_saveexec_b64 s[36:37], s[4:5]
	s_cbranch_execz .LBB212_151
; %bb.150:                              ;   in Loop: Header=BB212_9 Depth=1
	v_mov_b32_e32 v0, 7
	v_and_b32_sdwa v3, v1, v0 dst_sel:DWORD dst_unused:UNUSED_PAD src0_sel:BYTE_1 src1_sel:DWORD
	v_lshrrev_b32_e32 v6, 3, v2
	v_cmp_gt_u32_e64 s[4:5], 8, v2
	v_ffbh_u32_e32 v2, v3
	v_min_u32_e32 v2, 32, v2
	v_mov_b32_e32 v4, v57
	v_subrev_u32_e32 v5, 28, v2
	v_lshlrev_b64 v[4:5], v5, v[3:4]
	v_sub_u32_e32 v2, 29, v2
	v_and_b32_e32 v4, 7, v4
	v_cndmask_b32_e64 v2, v6, v2, s[4:5]
	v_bfrev_b32_e32 v0, 60
	v_cndmask_b32_e64 v3, v3, v4, s[4:5]
	v_lshlrev_b32_e32 v1, 16, v1
	v_lshl_add_u32 v2, v2, 23, v0
	v_and_or_b32 v1, v1, s44, v2
	v_lshlrev_b32_e32 v2, 20, v3
	v_or_b32_e32 v1, v1, v2
	v_mov_b32_e32 v0, v57
	buffer_store_dword v0, off, s[48:51], 0 offset:180 ; 4-byte Folded Spill
	s_nop 0
	buffer_store_dword v1, off, s[48:51], 0 offset:184 ; 4-byte Folded Spill
.LBB212_151:                            ;   in Loop: Header=BB212_9 Depth=1
	s_or_b64 exec, exec, s[36:37]
.LBB212_152:                            ;   in Loop: Header=BB212_9 Depth=1
	s_or_b64 exec, exec, s[34:35]
.LBB212_153:                            ;   in Loop: Header=BB212_9 Depth=1
	s_or_b64 exec, exec, s[16:17]
	global_load_ushort v2, v[9:10], off offset:1536
	s_waitcnt vmcnt(0)
	v_and_b32_e32 v1, 0xffff, v2
	v_cmp_ne_u16_sdwa s[4:5], v2, v57 src0_sel:BYTE_0 src1_sel:DWORD
	v_mov_b32_e32 v2, 0
	v_mov_b32_e32 v3, 0
	buffer_store_dword v2, off, s[48:51], 0 offset:196 ; 4-byte Folded Spill
	s_nop 0
	buffer_store_dword v3, off, s[48:51], 0 offset:200 ; 4-byte Folded Spill
	v_mov_b32_e32 v2, 0
	v_mov_b32_e32 v3, 0
	buffer_store_dword v2, off, s[48:51], 0 offset:188 ; 4-byte Folded Spill
	s_nop 0
	buffer_store_dword v3, off, s[48:51], 0 offset:192 ; 4-byte Folded Spill
	s_and_saveexec_b64 s[16:17], s[4:5]
	s_cbranch_execz .LBB212_159
; %bb.154:                              ;   in Loop: Header=BB212_9 Depth=1
	v_bfrev_b32_e32 v2, 1
	v_mov_b32_e32 v3, 0
	v_cmp_ne_u16_sdwa s[4:5], v1, s42 src0_sel:BYTE_0 src1_sel:DWORD
	buffer_store_dword v2, off, s[48:51], 0 offset:188 ; 4-byte Folded Spill
	s_nop 0
	buffer_store_dword v3, off, s[48:51], 0 offset:192 ; 4-byte Folded Spill
	s_and_saveexec_b64 s[34:35], s[4:5]
	s_cbranch_execz .LBB212_158
; %bb.155:                              ;   in Loop: Header=BB212_9 Depth=1
	v_and_b32_e32 v2, 0x7f, v1
	v_mov_b32_e32 v3, 0x7f800001
	v_mov_b32_e32 v4, 0
	v_cmp_ne_u32_e64 s[4:5], s43, v2
	buffer_store_dword v3, off, s[48:51], 0 offset:188 ; 4-byte Folded Spill
	s_nop 0
	buffer_store_dword v4, off, s[48:51], 0 offset:192 ; 4-byte Folded Spill
	s_and_saveexec_b64 s[36:37], s[4:5]
	s_cbranch_execz .LBB212_157
; %bb.156:                              ;   in Loop: Header=BB212_9 Depth=1
	v_and_b32_e32 v4, 7, v1
	v_lshrrev_b32_e32 v5, 3, v2
	v_cmp_gt_u32_e64 s[4:5], 8, v2
	v_ffbh_u32_e32 v2, v4
	v_min_u32_e32 v6, 32, v2
	v_subrev_u32_e32 v2, 28, v6
	v_lshlrev_b64 v[2:3], v2, v[1:2]
	v_sub_u32_e32 v3, 29, v6
	v_and_b32_e32 v2, 7, v2
	v_cndmask_b32_e64 v3, v5, v3, s[4:5]
	v_cndmask_b32_e64 v2, v4, v2, s[4:5]
	v_bfrev_b32_e32 v0, 60
	v_lshlrev_b32_e32 v2, 20, v2
	v_and_b32_sdwa v4, sext(v1), s44 dst_sel:DWORD dst_unused:UNUSED_PAD src0_sel:BYTE_0 src1_sel:DWORD
	v_lshl_add_u32 v3, v3, 23, v0
	v_or3_b32 v2, v4, v3, v2
	v_mov_b32_e32 v3, v57
	buffer_store_dword v2, off, s[48:51], 0 offset:188 ; 4-byte Folded Spill
	s_nop 0
	buffer_store_dword v3, off, s[48:51], 0 offset:192 ; 4-byte Folded Spill
.LBB212_157:                            ;   in Loop: Header=BB212_9 Depth=1
	s_or_b64 exec, exec, s[36:37]
.LBB212_158:                            ;   in Loop: Header=BB212_9 Depth=1
	s_or_b64 exec, exec, s[34:35]
.LBB212_159:                            ;   in Loop: Header=BB212_9 Depth=1
	s_or_b64 exec, exec, s[16:17]
	v_cmp_ne_u16_sdwa s[4:5], v1, v57 src0_sel:BYTE_1 src1_sel:DWORD
	s_and_saveexec_b64 s[16:17], s[4:5]
	s_cbranch_execz .LBB212_165
; %bb.160:                              ;   in Loop: Header=BB212_9 Depth=1
	v_cmp_ne_u16_sdwa s[4:5], v1, s42 src0_sel:BYTE_1 src1_sel:DWORD
	buffer_store_dword v57, off, s[48:51], 0 offset:196 ; 4-byte Folded Spill
	s_nop 0
	buffer_store_dword v58, off, s[48:51], 0 offset:200 ; 4-byte Folded Spill
	s_and_saveexec_b64 s[34:35], s[4:5]
	s_cbranch_execz .LBB212_164
; %bb.161:                              ;   in Loop: Header=BB212_9 Depth=1
	buffer_load_dword v3, off, s[48:51], 0  ; 4-byte Folded Reload
	buffer_load_dword v4, off, s[48:51], 0 offset:4 ; 4-byte Folded Reload
	v_and_b32_sdwa v2, v1, s43 dst_sel:DWORD dst_unused:UNUSED_PAD src0_sel:BYTE_1 src1_sel:DWORD
	v_cmp_ne_u32_e64 s[4:5], s43, v2
	s_waitcnt vmcnt(1)
	v_mov_b32_e32 v3, v57
	s_waitcnt vmcnt(0)
	v_mov_b32_e32 v5, v4
	buffer_store_dword v4, off, s[48:51], 0 ; 4-byte Folded Spill
	s_nop 0
	buffer_store_dword v5, off, s[48:51], 0 offset:4 ; 4-byte Folded Spill
	buffer_store_dword v3, off, s[48:51], 0 offset:196 ; 4-byte Folded Spill
	s_nop 0
	buffer_store_dword v4, off, s[48:51], 0 offset:200 ; 4-byte Folded Spill
	s_and_saveexec_b64 s[36:37], s[4:5]
	s_cbranch_execz .LBB212_163
; %bb.162:                              ;   in Loop: Header=BB212_9 Depth=1
	v_mov_b32_e32 v0, 7
	v_and_b32_sdwa v3, v1, v0 dst_sel:DWORD dst_unused:UNUSED_PAD src0_sel:BYTE_1 src1_sel:DWORD
	v_lshrrev_b32_e32 v6, 3, v2
	v_cmp_gt_u32_e64 s[4:5], 8, v2
	v_ffbh_u32_e32 v2, v3
	v_min_u32_e32 v2, 32, v2
	v_mov_b32_e32 v4, v57
	v_subrev_u32_e32 v5, 28, v2
	v_lshlrev_b64 v[4:5], v5, v[3:4]
	v_sub_u32_e32 v2, 29, v2
	v_and_b32_e32 v4, 7, v4
	v_cndmask_b32_e64 v2, v6, v2, s[4:5]
	v_bfrev_b32_e32 v0, 60
	v_cndmask_b32_e64 v3, v3, v4, s[4:5]
	v_lshlrev_b32_e32 v1, 16, v1
	v_lshl_add_u32 v2, v2, 23, v0
	v_and_or_b32 v1, v1, s44, v2
	v_lshlrev_b32_e32 v2, 20, v3
	v_or_b32_e32 v1, v1, v2
	v_mov_b32_e32 v0, v57
	buffer_store_dword v0, off, s[48:51], 0 offset:196 ; 4-byte Folded Spill
	s_nop 0
	buffer_store_dword v1, off, s[48:51], 0 offset:200 ; 4-byte Folded Spill
.LBB212_163:                            ;   in Loop: Header=BB212_9 Depth=1
	s_or_b64 exec, exec, s[36:37]
.LBB212_164:                            ;   in Loop: Header=BB212_9 Depth=1
	s_or_b64 exec, exec, s[34:35]
.LBB212_165:                            ;   in Loop: Header=BB212_9 Depth=1
	s_or_b64 exec, exec, s[16:17]
	global_load_ushort v2, v[9:10], off offset:1540
	s_waitcnt vmcnt(0)
	v_and_b32_e32 v1, 0xffff, v2
	v_cmp_ne_u16_sdwa s[4:5], v2, v57 src0_sel:BYTE_0 src1_sel:DWORD
	v_mov_b32_e32 v2, 0
	v_mov_b32_e32 v3, 0
	buffer_store_dword v2, off, s[48:51], 0 offset:212 ; 4-byte Folded Spill
	s_nop 0
	buffer_store_dword v3, off, s[48:51], 0 offset:216 ; 4-byte Folded Spill
	v_mov_b32_e32 v2, 0
	v_mov_b32_e32 v3, 0
	buffer_store_dword v2, off, s[48:51], 0 offset:204 ; 4-byte Folded Spill
	s_nop 0
	buffer_store_dword v3, off, s[48:51], 0 offset:208 ; 4-byte Folded Spill
	s_and_saveexec_b64 s[16:17], s[4:5]
	s_cbranch_execz .LBB212_171
; %bb.166:                              ;   in Loop: Header=BB212_9 Depth=1
	v_bfrev_b32_e32 v2, 1
	v_mov_b32_e32 v3, 0
	v_cmp_ne_u16_sdwa s[4:5], v1, s42 src0_sel:BYTE_0 src1_sel:DWORD
	buffer_store_dword v2, off, s[48:51], 0 offset:204 ; 4-byte Folded Spill
	s_nop 0
	buffer_store_dword v3, off, s[48:51], 0 offset:208 ; 4-byte Folded Spill
	s_and_saveexec_b64 s[34:35], s[4:5]
	s_cbranch_execz .LBB212_170
; %bb.167:                              ;   in Loop: Header=BB212_9 Depth=1
	v_and_b32_e32 v2, 0x7f, v1
	v_mov_b32_e32 v3, 0x7f800001
	v_mov_b32_e32 v4, 0
	v_cmp_ne_u32_e64 s[4:5], s43, v2
	buffer_store_dword v3, off, s[48:51], 0 offset:204 ; 4-byte Folded Spill
	s_nop 0
	buffer_store_dword v4, off, s[48:51], 0 offset:208 ; 4-byte Folded Spill
	s_and_saveexec_b64 s[36:37], s[4:5]
	s_cbranch_execz .LBB212_169
; %bb.168:                              ;   in Loop: Header=BB212_9 Depth=1
	v_and_b32_e32 v4, 7, v1
	v_lshrrev_b32_e32 v5, 3, v2
	v_cmp_gt_u32_e64 s[4:5], 8, v2
	v_ffbh_u32_e32 v2, v4
	v_min_u32_e32 v6, 32, v2
	v_subrev_u32_e32 v2, 28, v6
	v_lshlrev_b64 v[2:3], v2, v[1:2]
	v_sub_u32_e32 v3, 29, v6
	v_and_b32_e32 v2, 7, v2
	v_cndmask_b32_e64 v3, v5, v3, s[4:5]
	v_cndmask_b32_e64 v2, v4, v2, s[4:5]
	v_bfrev_b32_e32 v0, 60
	v_lshlrev_b32_e32 v2, 20, v2
	v_and_b32_sdwa v4, sext(v1), s44 dst_sel:DWORD dst_unused:UNUSED_PAD src0_sel:BYTE_0 src1_sel:DWORD
	v_lshl_add_u32 v3, v3, 23, v0
	v_or3_b32 v2, v4, v3, v2
	v_mov_b32_e32 v3, v57
	buffer_store_dword v2, off, s[48:51], 0 offset:204 ; 4-byte Folded Spill
	s_nop 0
	buffer_store_dword v3, off, s[48:51], 0 offset:208 ; 4-byte Folded Spill
.LBB212_169:                            ;   in Loop: Header=BB212_9 Depth=1
	s_or_b64 exec, exec, s[36:37]
.LBB212_170:                            ;   in Loop: Header=BB212_9 Depth=1
	s_or_b64 exec, exec, s[34:35]
.LBB212_171:                            ;   in Loop: Header=BB212_9 Depth=1
	s_or_b64 exec, exec, s[16:17]
	v_cmp_ne_u16_sdwa s[4:5], v1, v57 src0_sel:BYTE_1 src1_sel:DWORD
	s_and_saveexec_b64 s[16:17], s[4:5]
	s_cbranch_execz .LBB212_177
; %bb.172:                              ;   in Loop: Header=BB212_9 Depth=1
	v_cmp_ne_u16_sdwa s[4:5], v1, s42 src0_sel:BYTE_1 src1_sel:DWORD
	buffer_store_dword v57, off, s[48:51], 0 offset:212 ; 4-byte Folded Spill
	s_nop 0
	buffer_store_dword v58, off, s[48:51], 0 offset:216 ; 4-byte Folded Spill
	s_and_saveexec_b64 s[34:35], s[4:5]
	s_cbranch_execz .LBB212_176
; %bb.173:                              ;   in Loop: Header=BB212_9 Depth=1
	buffer_load_dword v3, off, s[48:51], 0  ; 4-byte Folded Reload
	buffer_load_dword v4, off, s[48:51], 0 offset:4 ; 4-byte Folded Reload
	v_and_b32_sdwa v2, v1, s43 dst_sel:DWORD dst_unused:UNUSED_PAD src0_sel:BYTE_1 src1_sel:DWORD
	v_cmp_ne_u32_e64 s[4:5], s43, v2
	s_waitcnt vmcnt(1)
	v_mov_b32_e32 v3, v57
	s_waitcnt vmcnt(0)
	v_mov_b32_e32 v5, v4
	buffer_store_dword v4, off, s[48:51], 0 ; 4-byte Folded Spill
	s_nop 0
	buffer_store_dword v5, off, s[48:51], 0 offset:4 ; 4-byte Folded Spill
	buffer_store_dword v3, off, s[48:51], 0 offset:212 ; 4-byte Folded Spill
	s_nop 0
	buffer_store_dword v4, off, s[48:51], 0 offset:216 ; 4-byte Folded Spill
	s_and_saveexec_b64 s[36:37], s[4:5]
	s_cbranch_execz .LBB212_175
; %bb.174:                              ;   in Loop: Header=BB212_9 Depth=1
	v_mov_b32_e32 v0, 7
	v_and_b32_sdwa v3, v1, v0 dst_sel:DWORD dst_unused:UNUSED_PAD src0_sel:BYTE_1 src1_sel:DWORD
	v_lshrrev_b32_e32 v6, 3, v2
	v_cmp_gt_u32_e64 s[4:5], 8, v2
	v_ffbh_u32_e32 v2, v3
	v_min_u32_e32 v2, 32, v2
	v_mov_b32_e32 v4, v57
	v_subrev_u32_e32 v5, 28, v2
	v_lshlrev_b64 v[4:5], v5, v[3:4]
	v_sub_u32_e32 v2, 29, v2
	v_and_b32_e32 v4, 7, v4
	v_cndmask_b32_e64 v2, v6, v2, s[4:5]
	v_bfrev_b32_e32 v0, 60
	v_cndmask_b32_e64 v3, v3, v4, s[4:5]
	v_lshlrev_b32_e32 v1, 16, v1
	v_lshl_add_u32 v2, v2, 23, v0
	v_and_or_b32 v1, v1, s44, v2
	v_lshlrev_b32_e32 v2, 20, v3
	v_or_b32_e32 v1, v1, v2
	v_mov_b32_e32 v0, v57
	buffer_store_dword v0, off, s[48:51], 0 offset:212 ; 4-byte Folded Spill
	s_nop 0
	buffer_store_dword v1, off, s[48:51], 0 offset:216 ; 4-byte Folded Spill
.LBB212_175:                            ;   in Loop: Header=BB212_9 Depth=1
	s_or_b64 exec, exec, s[36:37]
.LBB212_176:                            ;   in Loop: Header=BB212_9 Depth=1
	s_or_b64 exec, exec, s[34:35]
.LBB212_177:                            ;   in Loop: Header=BB212_9 Depth=1
	s_or_b64 exec, exec, s[16:17]
	global_load_ushort v2, v[9:10], off offset:1544
	s_waitcnt vmcnt(0)
	v_and_b32_e32 v1, 0xffff, v2
	v_cmp_ne_u16_sdwa s[4:5], v2, v57 src0_sel:BYTE_0 src1_sel:DWORD
	v_mov_b32_e32 v2, 0
	v_mov_b32_e32 v3, 0
	buffer_store_dword v2, off, s[48:51], 0 offset:228 ; 4-byte Folded Spill
	s_nop 0
	buffer_store_dword v3, off, s[48:51], 0 offset:232 ; 4-byte Folded Spill
	v_mov_b32_e32 v2, 0
	v_mov_b32_e32 v3, 0
	buffer_store_dword v2, off, s[48:51], 0 offset:220 ; 4-byte Folded Spill
	s_nop 0
	buffer_store_dword v3, off, s[48:51], 0 offset:224 ; 4-byte Folded Spill
	s_and_saveexec_b64 s[16:17], s[4:5]
	s_cbranch_execz .LBB212_183
; %bb.178:                              ;   in Loop: Header=BB212_9 Depth=1
	v_bfrev_b32_e32 v2, 1
	v_mov_b32_e32 v3, 0
	v_cmp_ne_u16_sdwa s[4:5], v1, s42 src0_sel:BYTE_0 src1_sel:DWORD
	buffer_store_dword v2, off, s[48:51], 0 offset:220 ; 4-byte Folded Spill
	s_nop 0
	buffer_store_dword v3, off, s[48:51], 0 offset:224 ; 4-byte Folded Spill
	s_and_saveexec_b64 s[34:35], s[4:5]
	s_cbranch_execz .LBB212_182
; %bb.179:                              ;   in Loop: Header=BB212_9 Depth=1
	v_and_b32_e32 v2, 0x7f, v1
	v_mov_b32_e32 v3, 0x7f800001
	v_mov_b32_e32 v4, 0
	v_cmp_ne_u32_e64 s[4:5], s43, v2
	buffer_store_dword v3, off, s[48:51], 0 offset:220 ; 4-byte Folded Spill
	s_nop 0
	buffer_store_dword v4, off, s[48:51], 0 offset:224 ; 4-byte Folded Spill
	s_and_saveexec_b64 s[36:37], s[4:5]
	s_cbranch_execz .LBB212_181
; %bb.180:                              ;   in Loop: Header=BB212_9 Depth=1
	v_and_b32_e32 v4, 7, v1
	v_lshrrev_b32_e32 v5, 3, v2
	v_cmp_gt_u32_e64 s[4:5], 8, v2
	v_ffbh_u32_e32 v2, v4
	v_min_u32_e32 v6, 32, v2
	v_subrev_u32_e32 v2, 28, v6
	v_lshlrev_b64 v[2:3], v2, v[1:2]
	v_sub_u32_e32 v3, 29, v6
	v_and_b32_e32 v2, 7, v2
	v_cndmask_b32_e64 v3, v5, v3, s[4:5]
	v_cndmask_b32_e64 v2, v4, v2, s[4:5]
	v_bfrev_b32_e32 v0, 60
	v_lshlrev_b32_e32 v2, 20, v2
	v_and_b32_sdwa v4, sext(v1), s44 dst_sel:DWORD dst_unused:UNUSED_PAD src0_sel:BYTE_0 src1_sel:DWORD
	v_lshl_add_u32 v3, v3, 23, v0
	v_or3_b32 v2, v4, v3, v2
	v_mov_b32_e32 v3, v57
	buffer_store_dword v2, off, s[48:51], 0 offset:220 ; 4-byte Folded Spill
	s_nop 0
	buffer_store_dword v3, off, s[48:51], 0 offset:224 ; 4-byte Folded Spill
.LBB212_181:                            ;   in Loop: Header=BB212_9 Depth=1
	s_or_b64 exec, exec, s[36:37]
.LBB212_182:                            ;   in Loop: Header=BB212_9 Depth=1
	s_or_b64 exec, exec, s[34:35]
.LBB212_183:                            ;   in Loop: Header=BB212_9 Depth=1
	s_or_b64 exec, exec, s[16:17]
	v_cmp_ne_u16_sdwa s[4:5], v1, v57 src0_sel:BYTE_1 src1_sel:DWORD
	s_and_saveexec_b64 s[16:17], s[4:5]
	s_cbranch_execz .LBB212_189
; %bb.184:                              ;   in Loop: Header=BB212_9 Depth=1
	v_cmp_ne_u16_sdwa s[4:5], v1, s42 src0_sel:BYTE_1 src1_sel:DWORD
	buffer_store_dword v57, off, s[48:51], 0 offset:228 ; 4-byte Folded Spill
	s_nop 0
	buffer_store_dword v58, off, s[48:51], 0 offset:232 ; 4-byte Folded Spill
	s_and_saveexec_b64 s[34:35], s[4:5]
	s_cbranch_execz .LBB212_188
; %bb.185:                              ;   in Loop: Header=BB212_9 Depth=1
	buffer_load_dword v3, off, s[48:51], 0  ; 4-byte Folded Reload
	buffer_load_dword v4, off, s[48:51], 0 offset:4 ; 4-byte Folded Reload
	v_and_b32_sdwa v2, v1, s43 dst_sel:DWORD dst_unused:UNUSED_PAD src0_sel:BYTE_1 src1_sel:DWORD
	v_cmp_ne_u32_e64 s[4:5], s43, v2
	s_waitcnt vmcnt(1)
	v_mov_b32_e32 v3, v57
	s_waitcnt vmcnt(0)
	v_mov_b32_e32 v5, v4
	buffer_store_dword v4, off, s[48:51], 0 ; 4-byte Folded Spill
	s_nop 0
	buffer_store_dword v5, off, s[48:51], 0 offset:4 ; 4-byte Folded Spill
	buffer_store_dword v3, off, s[48:51], 0 offset:228 ; 4-byte Folded Spill
	s_nop 0
	buffer_store_dword v4, off, s[48:51], 0 offset:232 ; 4-byte Folded Spill
	s_and_saveexec_b64 s[36:37], s[4:5]
	s_cbranch_execz .LBB212_187
; %bb.186:                              ;   in Loop: Header=BB212_9 Depth=1
	v_mov_b32_e32 v0, 7
	v_and_b32_sdwa v3, v1, v0 dst_sel:DWORD dst_unused:UNUSED_PAD src0_sel:BYTE_1 src1_sel:DWORD
	v_lshrrev_b32_e32 v6, 3, v2
	v_cmp_gt_u32_e64 s[4:5], 8, v2
	v_ffbh_u32_e32 v2, v3
	v_min_u32_e32 v2, 32, v2
	v_mov_b32_e32 v4, v57
	v_subrev_u32_e32 v5, 28, v2
	v_lshlrev_b64 v[4:5], v5, v[3:4]
	v_sub_u32_e32 v2, 29, v2
	v_and_b32_e32 v4, 7, v4
	v_cndmask_b32_e64 v2, v6, v2, s[4:5]
	v_bfrev_b32_e32 v0, 60
	v_cndmask_b32_e64 v3, v3, v4, s[4:5]
	v_lshlrev_b32_e32 v1, 16, v1
	v_lshl_add_u32 v2, v2, 23, v0
	v_and_or_b32 v1, v1, s44, v2
	v_lshlrev_b32_e32 v2, 20, v3
	v_or_b32_e32 v1, v1, v2
	v_mov_b32_e32 v0, v57
	buffer_store_dword v0, off, s[48:51], 0 offset:228 ; 4-byte Folded Spill
	s_nop 0
	buffer_store_dword v1, off, s[48:51], 0 offset:232 ; 4-byte Folded Spill
.LBB212_187:                            ;   in Loop: Header=BB212_9 Depth=1
	s_or_b64 exec, exec, s[36:37]
.LBB212_188:                            ;   in Loop: Header=BB212_9 Depth=1
	s_or_b64 exec, exec, s[34:35]
.LBB212_189:                            ;   in Loop: Header=BB212_9 Depth=1
	s_or_b64 exec, exec, s[16:17]
	global_load_ushort v2, v[9:10], off offset:1548
	v_mov_b32_e32 v11, 0
	v_mov_b32_e32 v12, 0
	s_waitcnt vmcnt(0)
	v_and_b32_e32 v1, 0xffff, v2
	v_cmp_ne_u16_sdwa s[4:5], v2, v57 src0_sel:BYTE_0 src1_sel:DWORD
	v_mov_b32_e32 v2, 0
	v_mov_b32_e32 v3, 0
	buffer_store_dword v2, off, s[48:51], 0 offset:236 ; 4-byte Folded Spill
	s_nop 0
	buffer_store_dword v3, off, s[48:51], 0 offset:240 ; 4-byte Folded Spill
	s_and_saveexec_b64 s[16:17], s[4:5]
	s_cbranch_execz .LBB212_195
; %bb.190:                              ;   in Loop: Header=BB212_9 Depth=1
	v_bfrev_b32_e32 v2, 1
	v_mov_b32_e32 v3, 0
	v_cmp_ne_u16_sdwa s[4:5], v1, s42 src0_sel:BYTE_0 src1_sel:DWORD
	buffer_store_dword v2, off, s[48:51], 0 offset:236 ; 4-byte Folded Spill
	s_nop 0
	buffer_store_dword v3, off, s[48:51], 0 offset:240 ; 4-byte Folded Spill
	s_and_saveexec_b64 s[34:35], s[4:5]
	s_cbranch_execz .LBB212_194
; %bb.191:                              ;   in Loop: Header=BB212_9 Depth=1
	v_and_b32_e32 v2, 0x7f, v1
	v_mov_b32_e32 v3, 0x7f800001
	v_mov_b32_e32 v4, 0
	v_cmp_ne_u32_e64 s[4:5], s43, v2
	buffer_store_dword v3, off, s[48:51], 0 offset:236 ; 4-byte Folded Spill
	s_nop 0
	buffer_store_dword v4, off, s[48:51], 0 offset:240 ; 4-byte Folded Spill
	s_and_saveexec_b64 s[36:37], s[4:5]
	s_cbranch_execz .LBB212_193
; %bb.192:                              ;   in Loop: Header=BB212_9 Depth=1
	v_and_b32_e32 v4, 7, v1
	v_lshrrev_b32_e32 v5, 3, v2
	v_cmp_gt_u32_e64 s[4:5], 8, v2
	v_ffbh_u32_e32 v2, v4
	v_min_u32_e32 v6, 32, v2
	v_subrev_u32_e32 v2, 28, v6
	v_lshlrev_b64 v[2:3], v2, v[1:2]
	v_sub_u32_e32 v3, 29, v6
	v_and_b32_e32 v2, 7, v2
	v_cndmask_b32_e64 v3, v5, v3, s[4:5]
	v_cndmask_b32_e64 v2, v4, v2, s[4:5]
	v_bfrev_b32_e32 v0, 60
	v_lshlrev_b32_e32 v2, 20, v2
	v_and_b32_sdwa v4, sext(v1), s44 dst_sel:DWORD dst_unused:UNUSED_PAD src0_sel:BYTE_0 src1_sel:DWORD
	v_lshl_add_u32 v3, v3, 23, v0
	v_or3_b32 v2, v4, v3, v2
	v_mov_b32_e32 v3, v57
	buffer_store_dword v2, off, s[48:51], 0 offset:236 ; 4-byte Folded Spill
	s_nop 0
	buffer_store_dword v3, off, s[48:51], 0 offset:240 ; 4-byte Folded Spill
.LBB212_193:                            ;   in Loop: Header=BB212_9 Depth=1
	s_or_b64 exec, exec, s[36:37]
.LBB212_194:                            ;   in Loop: Header=BB212_9 Depth=1
	s_or_b64 exec, exec, s[34:35]
.LBB212_195:                            ;   in Loop: Header=BB212_9 Depth=1
	s_or_b64 exec, exec, s[16:17]
	v_cmp_ne_u16_sdwa s[4:5], v1, v57 src0_sel:BYTE_1 src1_sel:DWORD
	s_and_saveexec_b64 s[16:17], s[4:5]
	s_cbranch_execz .LBB212_201
; %bb.196:                              ;   in Loop: Header=BB212_9 Depth=1
	v_mov_b32_e32 v11, v57
	v_cmp_ne_u16_sdwa s[4:5], v1, s42 src0_sel:BYTE_1 src1_sel:DWORD
	v_mov_b32_e32 v12, v58
	s_and_saveexec_b64 s[34:35], s[4:5]
	s_cbranch_execz .LBB212_200
; %bb.197:                              ;   in Loop: Header=BB212_9 Depth=1
	buffer_load_dword v11, off, s[48:51], 0 ; 4-byte Folded Reload
	buffer_load_dword v12, off, s[48:51], 0 offset:4 ; 4-byte Folded Reload
	v_and_b32_sdwa v2, v1, s43 dst_sel:DWORD dst_unused:UNUSED_PAD src0_sel:BYTE_1 src1_sel:DWORD
	v_cmp_ne_u32_e64 s[4:5], s43, v2
	s_waitcnt vmcnt(1)
	v_mov_b32_e32 v11, v57
	s_waitcnt vmcnt(0)
	v_mov_b32_e32 v3, v12
	buffer_store_dword v2, off, s[48:51], 0 ; 4-byte Folded Spill
	s_nop 0
	buffer_store_dword v3, off, s[48:51], 0 offset:4 ; 4-byte Folded Spill
	s_and_saveexec_b64 s[36:37], s[4:5]
	s_cbranch_execz .LBB212_199
; %bb.198:                              ;   in Loop: Header=BB212_9 Depth=1
	v_mov_b32_e32 v0, 7
	v_and_b32_sdwa v3, v1, v0 dst_sel:DWORD dst_unused:UNUSED_PAD src0_sel:BYTE_1 src1_sel:DWORD
	v_lshrrev_b32_e32 v5, 3, v2
	v_cmp_gt_u32_e64 s[4:5], 8, v2
	v_ffbh_u32_e32 v2, v3
	v_min_u32_e32 v2, 32, v2
	v_mov_b32_e32 v4, v57
	v_subrev_u32_e32 v6, 28, v2
	v_lshlrev_b64 v[11:12], v6, v[3:4]
	v_sub_u32_e32 v2, 29, v2
	v_and_b32_e32 v4, 7, v11
	v_cndmask_b32_e64 v2, v5, v2, s[4:5]
	v_bfrev_b32_e32 v0, 60
	v_cndmask_b32_e64 v3, v3, v4, s[4:5]
	v_lshlrev_b32_e32 v1, 16, v1
	v_lshl_add_u32 v2, v2, 23, v0
	v_and_or_b32 v1, v1, s44, v2
	v_lshlrev_b32_e32 v2, 20, v3
	v_or_b32_e32 v12, v1, v2
	v_mov_b32_e32 v11, v57
.LBB212_199:                            ;   in Loop: Header=BB212_9 Depth=1
	s_or_b64 exec, exec, s[36:37]
.LBB212_200:                            ;   in Loop: Header=BB212_9 Depth=1
	s_or_b64 exec, exec, s[34:35]
.LBB212_201:                            ;   in Loop: Header=BB212_9 Depth=1
	s_or_b64 exec, exec, s[16:17]
	global_load_ushort v2, v[9:10], off offset:2048
	v_mov_b32_e32 v15, 0
	v_mov_b32_e32 v13, 0
	;; [unrolled: 1-line block ×4, first 2 shown]
	s_waitcnt vmcnt(0)
	v_and_b32_e32 v1, 0xffff, v2
	v_cmp_ne_u16_sdwa s[4:5], v2, v57 src0_sel:BYTE_0 src1_sel:DWORD
	s_and_saveexec_b64 s[16:17], s[4:5]
	s_cbranch_execz .LBB212_207
; %bb.202:                              ;   in Loop: Header=BB212_9 Depth=1
	v_bfrev_b32_e32 v13, 1
	v_mov_b32_e32 v14, 0
	v_cmp_ne_u16_sdwa s[4:5], v1, s42 src0_sel:BYTE_0 src1_sel:DWORD
	s_and_saveexec_b64 s[34:35], s[4:5]
	s_cbranch_execz .LBB212_206
; %bb.203:                              ;   in Loop: Header=BB212_9 Depth=1
	v_and_b32_e32 v2, 0x7f, v1
	v_mov_b32_e32 v13, 0x7f800001
	v_mov_b32_e32 v14, 0
	v_cmp_ne_u32_e64 s[4:5], s43, v2
	s_and_saveexec_b64 s[36:37], s[4:5]
	s_cbranch_execz .LBB212_205
; %bb.204:                              ;   in Loop: Header=BB212_9 Depth=1
	v_and_b32_e32 v4, 7, v1
	v_lshrrev_b32_e32 v5, 3, v2
	v_cmp_gt_u32_e64 s[4:5], 8, v2
	v_ffbh_u32_e32 v2, v4
	v_min_u32_e32 v6, 32, v2
	v_subrev_u32_e32 v2, 28, v6
	v_lshlrev_b64 v[2:3], v2, v[1:2]
	v_sub_u32_e32 v3, 29, v6
	v_and_b32_e32 v2, 7, v2
	v_cndmask_b32_e64 v3, v5, v3, s[4:5]
	v_cndmask_b32_e64 v2, v4, v2, s[4:5]
	v_bfrev_b32_e32 v0, 60
	v_lshlrev_b32_e32 v2, 20, v2
	v_and_b32_sdwa v4, sext(v1), s44 dst_sel:DWORD dst_unused:UNUSED_PAD src0_sel:BYTE_0 src1_sel:DWORD
	v_lshl_add_u32 v3, v3, 23, v0
	v_or3_b32 v13, v4, v3, v2
	v_mov_b32_e32 v14, v57
.LBB212_205:                            ;   in Loop: Header=BB212_9 Depth=1
	s_or_b64 exec, exec, s[36:37]
.LBB212_206:                            ;   in Loop: Header=BB212_9 Depth=1
	s_or_b64 exec, exec, s[34:35]
.LBB212_207:                            ;   in Loop: Header=BB212_9 Depth=1
	s_or_b64 exec, exec, s[16:17]
	v_cmp_ne_u16_sdwa s[4:5], v1, v57 src0_sel:BYTE_1 src1_sel:DWORD
	s_and_saveexec_b64 s[16:17], s[4:5]
	s_cbranch_execz .LBB212_213
; %bb.208:                              ;   in Loop: Header=BB212_9 Depth=1
	v_mov_b32_e32 v15, v57
	v_cmp_ne_u16_sdwa s[4:5], v1, s42 src0_sel:BYTE_1 src1_sel:DWORD
	v_mov_b32_e32 v16, v58
	s_and_saveexec_b64 s[34:35], s[4:5]
	s_cbranch_execz .LBB212_212
; %bb.209:                              ;   in Loop: Header=BB212_9 Depth=1
	buffer_load_dword v15, off, s[48:51], 0 ; 4-byte Folded Reload
	buffer_load_dword v16, off, s[48:51], 0 offset:4 ; 4-byte Folded Reload
	v_and_b32_sdwa v2, v1, s43 dst_sel:DWORD dst_unused:UNUSED_PAD src0_sel:BYTE_1 src1_sel:DWORD
	v_cmp_ne_u32_e64 s[4:5], s43, v2
	s_waitcnt vmcnt(1)
	v_mov_b32_e32 v15, v57
	s_waitcnt vmcnt(0)
	v_mov_b32_e32 v3, v16
	buffer_store_dword v2, off, s[48:51], 0 ; 4-byte Folded Spill
	s_nop 0
	buffer_store_dword v3, off, s[48:51], 0 offset:4 ; 4-byte Folded Spill
	s_and_saveexec_b64 s[36:37], s[4:5]
	s_cbranch_execz .LBB212_211
; %bb.210:                              ;   in Loop: Header=BB212_9 Depth=1
	v_mov_b32_e32 v0, 7
	v_and_b32_sdwa v3, v1, v0 dst_sel:DWORD dst_unused:UNUSED_PAD src0_sel:BYTE_1 src1_sel:DWORD
	v_lshrrev_b32_e32 v5, 3, v2
	v_cmp_gt_u32_e64 s[4:5], 8, v2
	v_ffbh_u32_e32 v2, v3
	v_min_u32_e32 v2, 32, v2
	v_mov_b32_e32 v4, v57
	v_subrev_u32_e32 v6, 28, v2
	v_lshlrev_b64 v[15:16], v6, v[3:4]
	v_sub_u32_e32 v2, 29, v2
	v_and_b32_e32 v4, 7, v15
	v_cndmask_b32_e64 v2, v5, v2, s[4:5]
	v_bfrev_b32_e32 v0, 60
	v_cndmask_b32_e64 v3, v3, v4, s[4:5]
	v_lshlrev_b32_e32 v1, 16, v1
	v_lshl_add_u32 v2, v2, 23, v0
	v_and_or_b32 v1, v1, s44, v2
	v_lshlrev_b32_e32 v2, 20, v3
	v_or_b32_e32 v16, v1, v2
	v_mov_b32_e32 v15, v57
.LBB212_211:                            ;   in Loop: Header=BB212_9 Depth=1
	s_or_b64 exec, exec, s[36:37]
.LBB212_212:                            ;   in Loop: Header=BB212_9 Depth=1
	s_or_b64 exec, exec, s[34:35]
.LBB212_213:                            ;   in Loop: Header=BB212_9 Depth=1
	s_or_b64 exec, exec, s[16:17]
	global_load_ushort v2, v[9:10], off offset:2052
	v_mov_b32_e32 v19, 0
	v_mov_b32_e32 v17, 0
	v_mov_b32_e32 v20, 0
	v_mov_b32_e32 v18, 0
	s_waitcnt vmcnt(0)
	v_and_b32_e32 v1, 0xffff, v2
	v_cmp_ne_u16_sdwa s[4:5], v2, v57 src0_sel:BYTE_0 src1_sel:DWORD
	s_and_saveexec_b64 s[16:17], s[4:5]
	s_cbranch_execz .LBB212_219
; %bb.214:                              ;   in Loop: Header=BB212_9 Depth=1
	v_bfrev_b32_e32 v17, 1
	v_mov_b32_e32 v18, 0
	v_cmp_ne_u16_sdwa s[4:5], v1, s42 src0_sel:BYTE_0 src1_sel:DWORD
	s_and_saveexec_b64 s[34:35], s[4:5]
	s_cbranch_execz .LBB212_218
; %bb.215:                              ;   in Loop: Header=BB212_9 Depth=1
	v_and_b32_e32 v2, 0x7f, v1
	v_mov_b32_e32 v17, 0x7f800001
	v_mov_b32_e32 v18, 0
	v_cmp_ne_u32_e64 s[4:5], s43, v2
	s_and_saveexec_b64 s[36:37], s[4:5]
	s_cbranch_execz .LBB212_217
; %bb.216:                              ;   in Loop: Header=BB212_9 Depth=1
	v_and_b32_e32 v4, 7, v1
	v_lshrrev_b32_e32 v5, 3, v2
	v_cmp_gt_u32_e64 s[4:5], 8, v2
	v_ffbh_u32_e32 v2, v4
	v_min_u32_e32 v6, 32, v2
	v_subrev_u32_e32 v2, 28, v6
	v_lshlrev_b64 v[2:3], v2, v[1:2]
	v_sub_u32_e32 v3, 29, v6
	v_and_b32_e32 v2, 7, v2
	v_cndmask_b32_e64 v3, v5, v3, s[4:5]
	v_cndmask_b32_e64 v2, v4, v2, s[4:5]
	v_bfrev_b32_e32 v0, 60
	v_lshlrev_b32_e32 v2, 20, v2
	v_and_b32_sdwa v4, sext(v1), s44 dst_sel:DWORD dst_unused:UNUSED_PAD src0_sel:BYTE_0 src1_sel:DWORD
	v_lshl_add_u32 v3, v3, 23, v0
	v_or3_b32 v17, v4, v3, v2
	v_mov_b32_e32 v18, v57
.LBB212_217:                            ;   in Loop: Header=BB212_9 Depth=1
	s_or_b64 exec, exec, s[36:37]
.LBB212_218:                            ;   in Loop: Header=BB212_9 Depth=1
	s_or_b64 exec, exec, s[34:35]
.LBB212_219:                            ;   in Loop: Header=BB212_9 Depth=1
	s_or_b64 exec, exec, s[16:17]
	v_cmp_ne_u16_sdwa s[4:5], v1, v57 src0_sel:BYTE_1 src1_sel:DWORD
	s_and_saveexec_b64 s[16:17], s[4:5]
	s_cbranch_execz .LBB212_225
; %bb.220:                              ;   in Loop: Header=BB212_9 Depth=1
	v_mov_b32_e32 v19, v57
	v_cmp_ne_u16_sdwa s[4:5], v1, s42 src0_sel:BYTE_1 src1_sel:DWORD
	v_mov_b32_e32 v20, v58
	s_and_saveexec_b64 s[34:35], s[4:5]
	s_cbranch_execz .LBB212_224
; %bb.221:                              ;   in Loop: Header=BB212_9 Depth=1
	buffer_load_dword v19, off, s[48:51], 0 ; 4-byte Folded Reload
	buffer_load_dword v20, off, s[48:51], 0 offset:4 ; 4-byte Folded Reload
	v_and_b32_sdwa v2, v1, s43 dst_sel:DWORD dst_unused:UNUSED_PAD src0_sel:BYTE_1 src1_sel:DWORD
	v_cmp_ne_u32_e64 s[4:5], s43, v2
	s_waitcnt vmcnt(1)
	v_mov_b32_e32 v19, v57
	s_waitcnt vmcnt(0)
	v_mov_b32_e32 v3, v20
	buffer_store_dword v2, off, s[48:51], 0 ; 4-byte Folded Spill
	s_nop 0
	buffer_store_dword v3, off, s[48:51], 0 offset:4 ; 4-byte Folded Spill
	s_and_saveexec_b64 s[36:37], s[4:5]
	s_cbranch_execz .LBB212_223
; %bb.222:                              ;   in Loop: Header=BB212_9 Depth=1
	v_mov_b32_e32 v0, 7
	v_and_b32_sdwa v3, v1, v0 dst_sel:DWORD dst_unused:UNUSED_PAD src0_sel:BYTE_1 src1_sel:DWORD
	v_lshrrev_b32_e32 v5, 3, v2
	v_cmp_gt_u32_e64 s[4:5], 8, v2
	v_ffbh_u32_e32 v2, v3
	v_min_u32_e32 v2, 32, v2
	v_mov_b32_e32 v4, v57
	v_subrev_u32_e32 v6, 28, v2
	v_lshlrev_b64 v[19:20], v6, v[3:4]
	v_sub_u32_e32 v2, 29, v2
	v_and_b32_e32 v4, 7, v19
	v_cndmask_b32_e64 v2, v5, v2, s[4:5]
	v_bfrev_b32_e32 v0, 60
	v_cndmask_b32_e64 v3, v3, v4, s[4:5]
	v_lshlrev_b32_e32 v1, 16, v1
	v_lshl_add_u32 v2, v2, 23, v0
	v_and_or_b32 v1, v1, s44, v2
	v_lshlrev_b32_e32 v2, 20, v3
	v_or_b32_e32 v20, v1, v2
	v_mov_b32_e32 v19, v57
.LBB212_223:                            ;   in Loop: Header=BB212_9 Depth=1
	s_or_b64 exec, exec, s[36:37]
.LBB212_224:                            ;   in Loop: Header=BB212_9 Depth=1
	s_or_b64 exec, exec, s[34:35]
.LBB212_225:                            ;   in Loop: Header=BB212_9 Depth=1
	s_or_b64 exec, exec, s[16:17]
	global_load_ushort v2, v[9:10], off offset:2056
	v_mov_b32_e32 v23, 0
	v_mov_b32_e32 v21, 0
	v_mov_b32_e32 v24, 0
	v_mov_b32_e32 v22, 0
	s_waitcnt vmcnt(0)
	v_and_b32_e32 v1, 0xffff, v2
	v_cmp_ne_u16_sdwa s[4:5], v2, v57 src0_sel:BYTE_0 src1_sel:DWORD
	s_and_saveexec_b64 s[16:17], s[4:5]
	s_cbranch_execz .LBB212_231
; %bb.226:                              ;   in Loop: Header=BB212_9 Depth=1
	v_bfrev_b32_e32 v21, 1
	v_mov_b32_e32 v22, 0
	v_cmp_ne_u16_sdwa s[4:5], v1, s42 src0_sel:BYTE_0 src1_sel:DWORD
	s_and_saveexec_b64 s[34:35], s[4:5]
	s_cbranch_execz .LBB212_230
; %bb.227:                              ;   in Loop: Header=BB212_9 Depth=1
	v_and_b32_e32 v2, 0x7f, v1
	v_mov_b32_e32 v21, 0x7f800001
	v_mov_b32_e32 v22, 0
	v_cmp_ne_u32_e64 s[4:5], s43, v2
	s_and_saveexec_b64 s[36:37], s[4:5]
	s_cbranch_execz .LBB212_229
; %bb.228:                              ;   in Loop: Header=BB212_9 Depth=1
	v_and_b32_e32 v4, 7, v1
	v_lshrrev_b32_e32 v5, 3, v2
	v_cmp_gt_u32_e64 s[4:5], 8, v2
	v_ffbh_u32_e32 v2, v4
	v_min_u32_e32 v6, 32, v2
	v_subrev_u32_e32 v2, 28, v6
	v_lshlrev_b64 v[2:3], v2, v[1:2]
	v_sub_u32_e32 v3, 29, v6
	v_and_b32_e32 v2, 7, v2
	v_cndmask_b32_e64 v3, v5, v3, s[4:5]
	v_cndmask_b32_e64 v2, v4, v2, s[4:5]
	v_bfrev_b32_e32 v0, 60
	v_lshlrev_b32_e32 v2, 20, v2
	v_and_b32_sdwa v4, sext(v1), s44 dst_sel:DWORD dst_unused:UNUSED_PAD src0_sel:BYTE_0 src1_sel:DWORD
	v_lshl_add_u32 v3, v3, 23, v0
	v_or3_b32 v21, v4, v3, v2
	v_mov_b32_e32 v22, v57
.LBB212_229:                            ;   in Loop: Header=BB212_9 Depth=1
	s_or_b64 exec, exec, s[36:37]
.LBB212_230:                            ;   in Loop: Header=BB212_9 Depth=1
	s_or_b64 exec, exec, s[34:35]
.LBB212_231:                            ;   in Loop: Header=BB212_9 Depth=1
	s_or_b64 exec, exec, s[16:17]
	v_cmp_ne_u16_sdwa s[4:5], v1, v57 src0_sel:BYTE_1 src1_sel:DWORD
	s_and_saveexec_b64 s[16:17], s[4:5]
	s_cbranch_execz .LBB212_237
; %bb.232:                              ;   in Loop: Header=BB212_9 Depth=1
	v_mov_b32_e32 v23, v57
	v_cmp_ne_u16_sdwa s[4:5], v1, s42 src0_sel:BYTE_1 src1_sel:DWORD
	v_mov_b32_e32 v24, v58
	s_and_saveexec_b64 s[34:35], s[4:5]
	s_cbranch_execz .LBB212_236
; %bb.233:                              ;   in Loop: Header=BB212_9 Depth=1
	buffer_load_dword v23, off, s[48:51], 0 ; 4-byte Folded Reload
	buffer_load_dword v24, off, s[48:51], 0 offset:4 ; 4-byte Folded Reload
	v_and_b32_sdwa v2, v1, s43 dst_sel:DWORD dst_unused:UNUSED_PAD src0_sel:BYTE_1 src1_sel:DWORD
	v_cmp_ne_u32_e64 s[4:5], s43, v2
	s_waitcnt vmcnt(1)
	v_mov_b32_e32 v23, v57
	s_waitcnt vmcnt(0)
	v_mov_b32_e32 v3, v24
	buffer_store_dword v2, off, s[48:51], 0 ; 4-byte Folded Spill
	s_nop 0
	buffer_store_dword v3, off, s[48:51], 0 offset:4 ; 4-byte Folded Spill
	s_and_saveexec_b64 s[36:37], s[4:5]
	s_cbranch_execz .LBB212_235
; %bb.234:                              ;   in Loop: Header=BB212_9 Depth=1
	v_mov_b32_e32 v0, 7
	v_and_b32_sdwa v3, v1, v0 dst_sel:DWORD dst_unused:UNUSED_PAD src0_sel:BYTE_1 src1_sel:DWORD
	v_lshrrev_b32_e32 v5, 3, v2
	v_cmp_gt_u32_e64 s[4:5], 8, v2
	v_ffbh_u32_e32 v2, v3
	v_min_u32_e32 v2, 32, v2
	v_mov_b32_e32 v4, v57
	v_subrev_u32_e32 v6, 28, v2
	v_lshlrev_b64 v[23:24], v6, v[3:4]
	v_sub_u32_e32 v2, 29, v2
	v_and_b32_e32 v4, 7, v23
	v_cndmask_b32_e64 v2, v5, v2, s[4:5]
	v_bfrev_b32_e32 v0, 60
	v_cndmask_b32_e64 v3, v3, v4, s[4:5]
	v_lshlrev_b32_e32 v1, 16, v1
	v_lshl_add_u32 v2, v2, 23, v0
	v_and_or_b32 v1, v1, s44, v2
	v_lshlrev_b32_e32 v2, 20, v3
	v_or_b32_e32 v24, v1, v2
	v_mov_b32_e32 v23, v57
.LBB212_235:                            ;   in Loop: Header=BB212_9 Depth=1
	s_or_b64 exec, exec, s[36:37]
.LBB212_236:                            ;   in Loop: Header=BB212_9 Depth=1
	s_or_b64 exec, exec, s[34:35]
.LBB212_237:                            ;   in Loop: Header=BB212_9 Depth=1
	s_or_b64 exec, exec, s[16:17]
	global_load_ushort v2, v[9:10], off offset:2060
	v_mov_b32_e32 v27, 0
	v_mov_b32_e32 v25, 0
	;; [unrolled: 1-line block ×4, first 2 shown]
	s_waitcnt vmcnt(0)
	v_and_b32_e32 v1, 0xffff, v2
	v_cmp_ne_u16_sdwa s[4:5], v2, v57 src0_sel:BYTE_0 src1_sel:DWORD
	s_and_saveexec_b64 s[16:17], s[4:5]
	s_cbranch_execz .LBB212_243
; %bb.238:                              ;   in Loop: Header=BB212_9 Depth=1
	v_bfrev_b32_e32 v25, 1
	v_mov_b32_e32 v26, 0
	v_cmp_ne_u16_sdwa s[4:5], v1, s42 src0_sel:BYTE_0 src1_sel:DWORD
	s_and_saveexec_b64 s[34:35], s[4:5]
	s_cbranch_execz .LBB212_242
; %bb.239:                              ;   in Loop: Header=BB212_9 Depth=1
	v_and_b32_e32 v2, 0x7f, v1
	v_mov_b32_e32 v25, 0x7f800001
	v_mov_b32_e32 v26, 0
	v_cmp_ne_u32_e64 s[4:5], s43, v2
	s_and_saveexec_b64 s[36:37], s[4:5]
	s_cbranch_execz .LBB212_241
; %bb.240:                              ;   in Loop: Header=BB212_9 Depth=1
	v_and_b32_e32 v4, 7, v1
	v_lshrrev_b32_e32 v5, 3, v2
	v_cmp_gt_u32_e64 s[4:5], 8, v2
	v_ffbh_u32_e32 v2, v4
	v_min_u32_e32 v6, 32, v2
	v_subrev_u32_e32 v2, 28, v6
	v_lshlrev_b64 v[2:3], v2, v[1:2]
	v_sub_u32_e32 v3, 29, v6
	v_and_b32_e32 v2, 7, v2
	v_cndmask_b32_e64 v3, v5, v3, s[4:5]
	v_cndmask_b32_e64 v2, v4, v2, s[4:5]
	v_bfrev_b32_e32 v0, 60
	v_lshlrev_b32_e32 v2, 20, v2
	v_and_b32_sdwa v4, sext(v1), s44 dst_sel:DWORD dst_unused:UNUSED_PAD src0_sel:BYTE_0 src1_sel:DWORD
	v_lshl_add_u32 v3, v3, 23, v0
	v_or3_b32 v25, v4, v3, v2
	v_mov_b32_e32 v26, v57
.LBB212_241:                            ;   in Loop: Header=BB212_9 Depth=1
	s_or_b64 exec, exec, s[36:37]
.LBB212_242:                            ;   in Loop: Header=BB212_9 Depth=1
	s_or_b64 exec, exec, s[34:35]
.LBB212_243:                            ;   in Loop: Header=BB212_9 Depth=1
	s_or_b64 exec, exec, s[16:17]
	v_cmp_ne_u16_sdwa s[4:5], v1, v57 src0_sel:BYTE_1 src1_sel:DWORD
	s_and_saveexec_b64 s[16:17], s[4:5]
	s_cbranch_execz .LBB212_249
; %bb.244:                              ;   in Loop: Header=BB212_9 Depth=1
	v_mov_b32_e32 v27, v57
	v_cmp_ne_u16_sdwa s[4:5], v1, s42 src0_sel:BYTE_1 src1_sel:DWORD
	v_mov_b32_e32 v28, v58
	s_and_saveexec_b64 s[34:35], s[4:5]
	s_cbranch_execz .LBB212_248
; %bb.245:                              ;   in Loop: Header=BB212_9 Depth=1
	buffer_load_dword v27, off, s[48:51], 0 ; 4-byte Folded Reload
	buffer_load_dword v28, off, s[48:51], 0 offset:4 ; 4-byte Folded Reload
	v_and_b32_sdwa v2, v1, s43 dst_sel:DWORD dst_unused:UNUSED_PAD src0_sel:BYTE_1 src1_sel:DWORD
	v_cmp_ne_u32_e64 s[4:5], s43, v2
	s_waitcnt vmcnt(1)
	v_mov_b32_e32 v27, v57
	s_waitcnt vmcnt(0)
	v_mov_b32_e32 v3, v28
	buffer_store_dword v2, off, s[48:51], 0 ; 4-byte Folded Spill
	s_nop 0
	buffer_store_dword v3, off, s[48:51], 0 offset:4 ; 4-byte Folded Spill
	s_and_saveexec_b64 s[36:37], s[4:5]
	s_cbranch_execz .LBB212_247
; %bb.246:                              ;   in Loop: Header=BB212_9 Depth=1
	v_mov_b32_e32 v0, 7
	v_and_b32_sdwa v3, v1, v0 dst_sel:DWORD dst_unused:UNUSED_PAD src0_sel:BYTE_1 src1_sel:DWORD
	v_lshrrev_b32_e32 v5, 3, v2
	v_cmp_gt_u32_e64 s[4:5], 8, v2
	v_ffbh_u32_e32 v2, v3
	v_min_u32_e32 v2, 32, v2
	v_mov_b32_e32 v4, v57
	v_subrev_u32_e32 v6, 28, v2
	v_lshlrev_b64 v[27:28], v6, v[3:4]
	v_sub_u32_e32 v2, 29, v2
	v_and_b32_e32 v4, 7, v27
	v_cndmask_b32_e64 v2, v5, v2, s[4:5]
	v_bfrev_b32_e32 v0, 60
	v_cndmask_b32_e64 v3, v3, v4, s[4:5]
	v_lshlrev_b32_e32 v1, 16, v1
	v_lshl_add_u32 v2, v2, 23, v0
	v_and_or_b32 v1, v1, s44, v2
	v_lshlrev_b32_e32 v2, 20, v3
	v_or_b32_e32 v28, v1, v2
	v_mov_b32_e32 v27, v57
.LBB212_247:                            ;   in Loop: Header=BB212_9 Depth=1
	s_or_b64 exec, exec, s[36:37]
.LBB212_248:                            ;   in Loop: Header=BB212_9 Depth=1
	s_or_b64 exec, exec, s[34:35]
.LBB212_249:                            ;   in Loop: Header=BB212_9 Depth=1
	s_or_b64 exec, exec, s[16:17]
	global_load_ushort v2, v[9:10], off offset:2560
	v_mov_b32_e32 v31, 0
	v_mov_b32_e32 v29, 0
	;; [unrolled: 1-line block ×4, first 2 shown]
	s_waitcnt vmcnt(0)
	v_and_b32_e32 v1, 0xffff, v2
	v_cmp_ne_u16_sdwa s[4:5], v2, v57 src0_sel:BYTE_0 src1_sel:DWORD
	s_and_saveexec_b64 s[16:17], s[4:5]
	s_cbranch_execz .LBB212_255
; %bb.250:                              ;   in Loop: Header=BB212_9 Depth=1
	v_bfrev_b32_e32 v29, 1
	v_mov_b32_e32 v30, 0
	v_cmp_ne_u16_sdwa s[4:5], v1, s42 src0_sel:BYTE_0 src1_sel:DWORD
	s_and_saveexec_b64 s[34:35], s[4:5]
	s_cbranch_execz .LBB212_254
; %bb.251:                              ;   in Loop: Header=BB212_9 Depth=1
	v_and_b32_e32 v2, 0x7f, v1
	v_mov_b32_e32 v29, 0x7f800001
	v_mov_b32_e32 v30, 0
	v_cmp_ne_u32_e64 s[4:5], s43, v2
	s_and_saveexec_b64 s[36:37], s[4:5]
	s_cbranch_execz .LBB212_253
; %bb.252:                              ;   in Loop: Header=BB212_9 Depth=1
	v_and_b32_e32 v4, 7, v1
	v_lshrrev_b32_e32 v5, 3, v2
	v_cmp_gt_u32_e64 s[4:5], 8, v2
	v_ffbh_u32_e32 v2, v4
	v_min_u32_e32 v6, 32, v2
	v_subrev_u32_e32 v2, 28, v6
	v_lshlrev_b64 v[2:3], v2, v[1:2]
	v_sub_u32_e32 v3, 29, v6
	v_and_b32_e32 v2, 7, v2
	v_cndmask_b32_e64 v3, v5, v3, s[4:5]
	v_cndmask_b32_e64 v2, v4, v2, s[4:5]
	v_bfrev_b32_e32 v0, 60
	v_lshlrev_b32_e32 v2, 20, v2
	v_and_b32_sdwa v4, sext(v1), s44 dst_sel:DWORD dst_unused:UNUSED_PAD src0_sel:BYTE_0 src1_sel:DWORD
	v_lshl_add_u32 v3, v3, 23, v0
	v_or3_b32 v29, v4, v3, v2
	v_mov_b32_e32 v30, v57
.LBB212_253:                            ;   in Loop: Header=BB212_9 Depth=1
	s_or_b64 exec, exec, s[36:37]
.LBB212_254:                            ;   in Loop: Header=BB212_9 Depth=1
	s_or_b64 exec, exec, s[34:35]
.LBB212_255:                            ;   in Loop: Header=BB212_9 Depth=1
	s_or_b64 exec, exec, s[16:17]
	v_cmp_ne_u16_sdwa s[4:5], v1, v57 src0_sel:BYTE_1 src1_sel:DWORD
	s_and_saveexec_b64 s[16:17], s[4:5]
	s_cbranch_execz .LBB212_261
; %bb.256:                              ;   in Loop: Header=BB212_9 Depth=1
	v_mov_b32_e32 v31, v57
	v_cmp_ne_u16_sdwa s[4:5], v1, s42 src0_sel:BYTE_1 src1_sel:DWORD
	v_mov_b32_e32 v32, v58
	s_and_saveexec_b64 s[34:35], s[4:5]
	s_cbranch_execz .LBB212_260
; %bb.257:                              ;   in Loop: Header=BB212_9 Depth=1
	buffer_load_dword v31, off, s[48:51], 0 ; 4-byte Folded Reload
	buffer_load_dword v32, off, s[48:51], 0 offset:4 ; 4-byte Folded Reload
	v_and_b32_sdwa v2, v1, s43 dst_sel:DWORD dst_unused:UNUSED_PAD src0_sel:BYTE_1 src1_sel:DWORD
	v_cmp_ne_u32_e64 s[4:5], s43, v2
	s_waitcnt vmcnt(1)
	v_mov_b32_e32 v31, v57
	s_waitcnt vmcnt(0)
	v_mov_b32_e32 v3, v32
	buffer_store_dword v2, off, s[48:51], 0 ; 4-byte Folded Spill
	s_nop 0
	buffer_store_dword v3, off, s[48:51], 0 offset:4 ; 4-byte Folded Spill
	s_and_saveexec_b64 s[36:37], s[4:5]
	s_cbranch_execz .LBB212_259
; %bb.258:                              ;   in Loop: Header=BB212_9 Depth=1
	v_mov_b32_e32 v0, 7
	v_and_b32_sdwa v3, v1, v0 dst_sel:DWORD dst_unused:UNUSED_PAD src0_sel:BYTE_1 src1_sel:DWORD
	v_lshrrev_b32_e32 v5, 3, v2
	v_cmp_gt_u32_e64 s[4:5], 8, v2
	v_ffbh_u32_e32 v2, v3
	v_min_u32_e32 v2, 32, v2
	v_mov_b32_e32 v4, v57
	v_subrev_u32_e32 v6, 28, v2
	v_lshlrev_b64 v[31:32], v6, v[3:4]
	v_sub_u32_e32 v2, 29, v2
	v_and_b32_e32 v4, 7, v31
	v_cndmask_b32_e64 v2, v5, v2, s[4:5]
	v_bfrev_b32_e32 v0, 60
	v_cndmask_b32_e64 v3, v3, v4, s[4:5]
	v_lshlrev_b32_e32 v1, 16, v1
	v_lshl_add_u32 v2, v2, 23, v0
	v_and_or_b32 v1, v1, s44, v2
	v_lshlrev_b32_e32 v2, 20, v3
	v_or_b32_e32 v32, v1, v2
	v_mov_b32_e32 v31, v57
.LBB212_259:                            ;   in Loop: Header=BB212_9 Depth=1
	s_or_b64 exec, exec, s[36:37]
.LBB212_260:                            ;   in Loop: Header=BB212_9 Depth=1
	s_or_b64 exec, exec, s[34:35]
.LBB212_261:                            ;   in Loop: Header=BB212_9 Depth=1
	s_or_b64 exec, exec, s[16:17]
	global_load_ushort v2, v[9:10], off offset:2564
	v_mov_b32_e32 v35, 0
	v_mov_b32_e32 v33, 0
	;; [unrolled: 1-line block ×4, first 2 shown]
	s_waitcnt vmcnt(0)
	v_and_b32_e32 v1, 0xffff, v2
	v_cmp_ne_u16_sdwa s[4:5], v2, v57 src0_sel:BYTE_0 src1_sel:DWORD
	s_and_saveexec_b64 s[16:17], s[4:5]
	s_cbranch_execz .LBB212_267
; %bb.262:                              ;   in Loop: Header=BB212_9 Depth=1
	v_bfrev_b32_e32 v33, 1
	v_mov_b32_e32 v34, 0
	v_cmp_ne_u16_sdwa s[4:5], v1, s42 src0_sel:BYTE_0 src1_sel:DWORD
	s_and_saveexec_b64 s[34:35], s[4:5]
	s_cbranch_execz .LBB212_266
; %bb.263:                              ;   in Loop: Header=BB212_9 Depth=1
	v_and_b32_e32 v2, 0x7f, v1
	v_mov_b32_e32 v33, 0x7f800001
	v_mov_b32_e32 v34, 0
	v_cmp_ne_u32_e64 s[4:5], s43, v2
	s_and_saveexec_b64 s[36:37], s[4:5]
	s_cbranch_execz .LBB212_265
; %bb.264:                              ;   in Loop: Header=BB212_9 Depth=1
	v_and_b32_e32 v4, 7, v1
	v_lshrrev_b32_e32 v5, 3, v2
	v_cmp_gt_u32_e64 s[4:5], 8, v2
	v_ffbh_u32_e32 v2, v4
	v_min_u32_e32 v6, 32, v2
	v_subrev_u32_e32 v2, 28, v6
	v_lshlrev_b64 v[2:3], v2, v[1:2]
	v_sub_u32_e32 v3, 29, v6
	v_and_b32_e32 v2, 7, v2
	v_cndmask_b32_e64 v3, v5, v3, s[4:5]
	v_cndmask_b32_e64 v2, v4, v2, s[4:5]
	v_bfrev_b32_e32 v0, 60
	v_lshlrev_b32_e32 v2, 20, v2
	v_and_b32_sdwa v4, sext(v1), s44 dst_sel:DWORD dst_unused:UNUSED_PAD src0_sel:BYTE_0 src1_sel:DWORD
	v_lshl_add_u32 v3, v3, 23, v0
	v_or3_b32 v33, v4, v3, v2
	v_mov_b32_e32 v34, v57
.LBB212_265:                            ;   in Loop: Header=BB212_9 Depth=1
	s_or_b64 exec, exec, s[36:37]
.LBB212_266:                            ;   in Loop: Header=BB212_9 Depth=1
	s_or_b64 exec, exec, s[34:35]
.LBB212_267:                            ;   in Loop: Header=BB212_9 Depth=1
	s_or_b64 exec, exec, s[16:17]
	v_cmp_ne_u16_sdwa s[4:5], v1, v57 src0_sel:BYTE_1 src1_sel:DWORD
	s_and_saveexec_b64 s[16:17], s[4:5]
	s_cbranch_execz .LBB212_273
; %bb.268:                              ;   in Loop: Header=BB212_9 Depth=1
	v_mov_b32_e32 v35, v57
	v_cmp_ne_u16_sdwa s[4:5], v1, s42 src0_sel:BYTE_1 src1_sel:DWORD
	v_mov_b32_e32 v36, v58
	s_and_saveexec_b64 s[34:35], s[4:5]
	s_cbranch_execz .LBB212_272
; %bb.269:                              ;   in Loop: Header=BB212_9 Depth=1
	buffer_load_dword v35, off, s[48:51], 0 ; 4-byte Folded Reload
	buffer_load_dword v36, off, s[48:51], 0 offset:4 ; 4-byte Folded Reload
	v_and_b32_sdwa v2, v1, s43 dst_sel:DWORD dst_unused:UNUSED_PAD src0_sel:BYTE_1 src1_sel:DWORD
	v_cmp_ne_u32_e64 s[4:5], s43, v2
	s_waitcnt vmcnt(1)
	v_mov_b32_e32 v35, v57
	s_waitcnt vmcnt(0)
	v_mov_b32_e32 v3, v36
	buffer_store_dword v2, off, s[48:51], 0 ; 4-byte Folded Spill
	s_nop 0
	buffer_store_dword v3, off, s[48:51], 0 offset:4 ; 4-byte Folded Spill
	s_and_saveexec_b64 s[36:37], s[4:5]
	s_cbranch_execz .LBB212_271
; %bb.270:                              ;   in Loop: Header=BB212_9 Depth=1
	v_mov_b32_e32 v0, 7
	v_and_b32_sdwa v3, v1, v0 dst_sel:DWORD dst_unused:UNUSED_PAD src0_sel:BYTE_1 src1_sel:DWORD
	v_lshrrev_b32_e32 v5, 3, v2
	v_cmp_gt_u32_e64 s[4:5], 8, v2
	v_ffbh_u32_e32 v2, v3
	v_min_u32_e32 v2, 32, v2
	v_mov_b32_e32 v4, v57
	v_subrev_u32_e32 v6, 28, v2
	v_lshlrev_b64 v[35:36], v6, v[3:4]
	v_sub_u32_e32 v2, 29, v2
	v_and_b32_e32 v4, 7, v35
	v_cndmask_b32_e64 v2, v5, v2, s[4:5]
	v_bfrev_b32_e32 v0, 60
	v_cndmask_b32_e64 v3, v3, v4, s[4:5]
	v_lshlrev_b32_e32 v1, 16, v1
	v_lshl_add_u32 v2, v2, 23, v0
	v_and_or_b32 v1, v1, s44, v2
	v_lshlrev_b32_e32 v2, 20, v3
	v_or_b32_e32 v36, v1, v2
	v_mov_b32_e32 v35, v57
.LBB212_271:                            ;   in Loop: Header=BB212_9 Depth=1
	s_or_b64 exec, exec, s[36:37]
.LBB212_272:                            ;   in Loop: Header=BB212_9 Depth=1
	s_or_b64 exec, exec, s[34:35]
.LBB212_273:                            ;   in Loop: Header=BB212_9 Depth=1
	s_or_b64 exec, exec, s[16:17]
	global_load_ushort v2, v[9:10], off offset:2568
	v_mov_b32_e32 v62, 0
	v_mov_b32_e32 v37, 0
	v_mov_b32_e32 v63, 0
	v_mov_b32_e32 v38, 0
	s_waitcnt vmcnt(0)
	v_and_b32_e32 v1, 0xffff, v2
	v_cmp_ne_u16_sdwa s[4:5], v2, v57 src0_sel:BYTE_0 src1_sel:DWORD
	s_and_saveexec_b64 s[16:17], s[4:5]
	s_cbranch_execz .LBB212_279
; %bb.274:                              ;   in Loop: Header=BB212_9 Depth=1
	v_bfrev_b32_e32 v37, 1
	v_mov_b32_e32 v38, 0
	v_cmp_ne_u16_sdwa s[4:5], v1, s42 src0_sel:BYTE_0 src1_sel:DWORD
	s_and_saveexec_b64 s[34:35], s[4:5]
	s_cbranch_execz .LBB212_278
; %bb.275:                              ;   in Loop: Header=BB212_9 Depth=1
	v_and_b32_e32 v2, 0x7f, v1
	v_mov_b32_e32 v37, 0x7f800001
	v_mov_b32_e32 v38, 0
	v_cmp_ne_u32_e64 s[4:5], s43, v2
	s_and_saveexec_b64 s[36:37], s[4:5]
	s_cbranch_execz .LBB212_277
; %bb.276:                              ;   in Loop: Header=BB212_9 Depth=1
	v_and_b32_e32 v4, 7, v1
	v_lshrrev_b32_e32 v5, 3, v2
	v_cmp_gt_u32_e64 s[4:5], 8, v2
	v_ffbh_u32_e32 v2, v4
	v_min_u32_e32 v6, 32, v2
	v_subrev_u32_e32 v2, 28, v6
	v_lshlrev_b64 v[2:3], v2, v[1:2]
	v_sub_u32_e32 v3, 29, v6
	v_and_b32_e32 v2, 7, v2
	v_cndmask_b32_e64 v3, v5, v3, s[4:5]
	v_cndmask_b32_e64 v2, v4, v2, s[4:5]
	v_bfrev_b32_e32 v0, 60
	v_lshlrev_b32_e32 v2, 20, v2
	v_and_b32_sdwa v4, sext(v1), s44 dst_sel:DWORD dst_unused:UNUSED_PAD src0_sel:BYTE_0 src1_sel:DWORD
	v_lshl_add_u32 v3, v3, 23, v0
	v_or3_b32 v37, v4, v3, v2
	v_mov_b32_e32 v38, v57
.LBB212_277:                            ;   in Loop: Header=BB212_9 Depth=1
	s_or_b64 exec, exec, s[36:37]
.LBB212_278:                            ;   in Loop: Header=BB212_9 Depth=1
	s_or_b64 exec, exec, s[34:35]
.LBB212_279:                            ;   in Loop: Header=BB212_9 Depth=1
	s_or_b64 exec, exec, s[16:17]
	v_cmp_ne_u16_sdwa s[4:5], v1, v57 src0_sel:BYTE_1 src1_sel:DWORD
	s_and_saveexec_b64 s[16:17], s[4:5]
	s_cbranch_execz .LBB212_285
; %bb.280:                              ;   in Loop: Header=BB212_9 Depth=1
	v_mov_b32_e32 v63, v58
	v_cmp_ne_u16_sdwa s[4:5], v1, s42 src0_sel:BYTE_1 src1_sel:DWORD
	v_mov_b32_e32 v62, v57
	s_and_saveexec_b64 s[34:35], s[4:5]
	s_cbranch_execz .LBB212_284
; %bb.281:                              ;   in Loop: Header=BB212_9 Depth=1
	buffer_load_dword v62, off, s[48:51], 0 ; 4-byte Folded Reload
	buffer_load_dword v63, off, s[48:51], 0 offset:4 ; 4-byte Folded Reload
	v_and_b32_sdwa v2, v1, s43 dst_sel:DWORD dst_unused:UNUSED_PAD src0_sel:BYTE_1 src1_sel:DWORD
	v_cmp_ne_u32_e64 s[4:5], s43, v2
	s_waitcnt vmcnt(1)
	v_mov_b32_e32 v62, v57
	s_waitcnt vmcnt(0)
	v_mov_b32_e32 v3, v63
	buffer_store_dword v2, off, s[48:51], 0 ; 4-byte Folded Spill
	s_nop 0
	buffer_store_dword v3, off, s[48:51], 0 offset:4 ; 4-byte Folded Spill
	s_and_saveexec_b64 s[36:37], s[4:5]
	s_cbranch_execz .LBB212_283
; %bb.282:                              ;   in Loop: Header=BB212_9 Depth=1
	v_mov_b32_e32 v0, 7
	v_and_b32_sdwa v3, v1, v0 dst_sel:DWORD dst_unused:UNUSED_PAD src0_sel:BYTE_1 src1_sel:DWORD
	v_lshrrev_b32_e32 v5, 3, v2
	v_cmp_gt_u32_e64 s[4:5], 8, v2
	v_ffbh_u32_e32 v2, v3
	v_min_u32_e32 v2, 32, v2
	v_mov_b32_e32 v4, v57
	v_subrev_u32_e32 v6, 28, v2
	v_lshlrev_b64 v[39:40], v6, v[3:4]
	v_sub_u32_e32 v2, 29, v2
	v_and_b32_e32 v4, 7, v39
	v_cndmask_b32_e64 v2, v5, v2, s[4:5]
	v_bfrev_b32_e32 v0, 60
	v_cndmask_b32_e64 v3, v3, v4, s[4:5]
	v_lshlrev_b32_e32 v1, 16, v1
	v_lshl_add_u32 v2, v2, 23, v0
	v_and_or_b32 v1, v1, s44, v2
	v_lshlrev_b32_e32 v2, 20, v3
	v_or_b32_e32 v63, v1, v2
	v_mov_b32_e32 v62, v57
.LBB212_283:                            ;   in Loop: Header=BB212_9 Depth=1
	s_or_b64 exec, exec, s[36:37]
.LBB212_284:                            ;   in Loop: Header=BB212_9 Depth=1
	s_or_b64 exec, exec, s[34:35]
.LBB212_285:                            ;   in Loop: Header=BB212_9 Depth=1
	s_or_b64 exec, exec, s[16:17]
	global_load_ushort v2, v[9:10], off offset:2572
	v_mov_b32_e32 v41, 0
	v_mov_b32_e32 v39, 0
	;; [unrolled: 1-line block ×4, first 2 shown]
	s_waitcnt vmcnt(0)
	v_and_b32_e32 v1, 0xffff, v2
	v_cmp_ne_u16_sdwa s[4:5], v2, v57 src0_sel:BYTE_0 src1_sel:DWORD
	s_and_saveexec_b64 s[16:17], s[4:5]
	s_cbranch_execz .LBB212_291
; %bb.286:                              ;   in Loop: Header=BB212_9 Depth=1
	v_bfrev_b32_e32 v39, 1
	v_mov_b32_e32 v40, 0
	v_cmp_ne_u16_sdwa s[4:5], v1, s42 src0_sel:BYTE_0 src1_sel:DWORD
	s_and_saveexec_b64 s[34:35], s[4:5]
	s_cbranch_execz .LBB212_290
; %bb.287:                              ;   in Loop: Header=BB212_9 Depth=1
	v_and_b32_e32 v2, 0x7f, v1
	v_mov_b32_e32 v39, 0x7f800001
	v_mov_b32_e32 v40, 0
	v_cmp_ne_u32_e64 s[4:5], s43, v2
	s_and_saveexec_b64 s[36:37], s[4:5]
	s_cbranch_execz .LBB212_289
; %bb.288:                              ;   in Loop: Header=BB212_9 Depth=1
	v_and_b32_e32 v4, 7, v1
	v_lshrrev_b32_e32 v5, 3, v2
	v_cmp_gt_u32_e64 s[4:5], 8, v2
	v_ffbh_u32_e32 v2, v4
	v_min_u32_e32 v6, 32, v2
	v_subrev_u32_e32 v2, 28, v6
	v_lshlrev_b64 v[2:3], v2, v[1:2]
	v_sub_u32_e32 v3, 29, v6
	v_and_b32_e32 v2, 7, v2
	v_cndmask_b32_e64 v3, v5, v3, s[4:5]
	v_cndmask_b32_e64 v2, v4, v2, s[4:5]
	v_bfrev_b32_e32 v0, 60
	v_lshlrev_b32_e32 v2, 20, v2
	v_and_b32_sdwa v4, sext(v1), s44 dst_sel:DWORD dst_unused:UNUSED_PAD src0_sel:BYTE_0 src1_sel:DWORD
	v_lshl_add_u32 v3, v3, 23, v0
	v_or3_b32 v39, v4, v3, v2
	v_mov_b32_e32 v40, v57
.LBB212_289:                            ;   in Loop: Header=BB212_9 Depth=1
	s_or_b64 exec, exec, s[36:37]
.LBB212_290:                            ;   in Loop: Header=BB212_9 Depth=1
	s_or_b64 exec, exec, s[34:35]
.LBB212_291:                            ;   in Loop: Header=BB212_9 Depth=1
	s_or_b64 exec, exec, s[16:17]
	v_cmp_ne_u16_sdwa s[4:5], v1, v57 src0_sel:BYTE_1 src1_sel:DWORD
	s_and_saveexec_b64 s[16:17], s[4:5]
	s_cbranch_execz .LBB212_297
; %bb.292:                              ;   in Loop: Header=BB212_9 Depth=1
	v_mov_b32_e32 v41, v57
	v_cmp_ne_u16_sdwa s[4:5], v1, s42 src0_sel:BYTE_1 src1_sel:DWORD
	v_mov_b32_e32 v42, v58
	s_and_saveexec_b64 s[34:35], s[4:5]
	s_cbranch_execz .LBB212_296
; %bb.293:                              ;   in Loop: Header=BB212_9 Depth=1
	buffer_load_dword v41, off, s[48:51], 0 ; 4-byte Folded Reload
	buffer_load_dword v42, off, s[48:51], 0 offset:4 ; 4-byte Folded Reload
	v_and_b32_sdwa v2, v1, s43 dst_sel:DWORD dst_unused:UNUSED_PAD src0_sel:BYTE_1 src1_sel:DWORD
	v_cmp_ne_u32_e64 s[4:5], s43, v2
	s_waitcnt vmcnt(1)
	v_mov_b32_e32 v41, v57
	s_waitcnt vmcnt(0)
	v_mov_b32_e32 v3, v42
	buffer_store_dword v2, off, s[48:51], 0 ; 4-byte Folded Spill
	s_nop 0
	buffer_store_dword v3, off, s[48:51], 0 offset:4 ; 4-byte Folded Spill
	s_and_saveexec_b64 s[36:37], s[4:5]
	s_cbranch_execz .LBB212_295
; %bb.294:                              ;   in Loop: Header=BB212_9 Depth=1
	v_mov_b32_e32 v0, 7
	v_and_b32_sdwa v3, v1, v0 dst_sel:DWORD dst_unused:UNUSED_PAD src0_sel:BYTE_1 src1_sel:DWORD
	v_lshrrev_b32_e32 v5, 3, v2
	v_cmp_gt_u32_e64 s[4:5], 8, v2
	v_ffbh_u32_e32 v2, v3
	v_min_u32_e32 v2, 32, v2
	v_mov_b32_e32 v4, v57
	v_subrev_u32_e32 v6, 28, v2
	v_lshlrev_b64 v[41:42], v6, v[3:4]
	v_sub_u32_e32 v2, 29, v2
	v_and_b32_e32 v4, 7, v41
	v_cndmask_b32_e64 v2, v5, v2, s[4:5]
	v_bfrev_b32_e32 v0, 60
	v_cndmask_b32_e64 v3, v3, v4, s[4:5]
	v_lshlrev_b32_e32 v1, 16, v1
	v_lshl_add_u32 v2, v2, 23, v0
	v_and_or_b32 v1, v1, s44, v2
	v_lshlrev_b32_e32 v2, 20, v3
	v_or_b32_e32 v42, v1, v2
	v_mov_b32_e32 v41, v57
.LBB212_295:                            ;   in Loop: Header=BB212_9 Depth=1
	s_or_b64 exec, exec, s[36:37]
.LBB212_296:                            ;   in Loop: Header=BB212_9 Depth=1
	s_or_b64 exec, exec, s[34:35]
.LBB212_297:                            ;   in Loop: Header=BB212_9 Depth=1
	s_or_b64 exec, exec, s[16:17]
	global_load_ushort v2, v[9:10], off offset:3072
	v_mov_b32_e32 v45, 0
	v_mov_b32_e32 v7, 0
	;; [unrolled: 1-line block ×4, first 2 shown]
	s_waitcnt vmcnt(0)
	v_and_b32_e32 v1, 0xffff, v2
	v_cmp_ne_u16_sdwa s[4:5], v2, v57 src0_sel:BYTE_0 src1_sel:DWORD
	s_and_saveexec_b64 s[16:17], s[4:5]
	s_cbranch_execz .LBB212_303
; %bb.298:                              ;   in Loop: Header=BB212_9 Depth=1
	v_bfrev_b32_e32 v7, 1
	v_mov_b32_e32 v8, 0
	v_cmp_ne_u16_sdwa s[4:5], v1, s42 src0_sel:BYTE_0 src1_sel:DWORD
	s_and_saveexec_b64 s[34:35], s[4:5]
	s_cbranch_execz .LBB212_302
; %bb.299:                              ;   in Loop: Header=BB212_9 Depth=1
	v_and_b32_e32 v2, 0x7f, v1
	v_mov_b32_e32 v7, 0x7f800001
	v_mov_b32_e32 v8, 0
	v_cmp_ne_u32_e64 s[4:5], s43, v2
	s_and_saveexec_b64 s[36:37], s[4:5]
	s_cbranch_execz .LBB212_301
; %bb.300:                              ;   in Loop: Header=BB212_9 Depth=1
	v_and_b32_e32 v4, 7, v1
	v_lshrrev_b32_e32 v5, 3, v2
	v_cmp_gt_u32_e64 s[4:5], 8, v2
	v_ffbh_u32_e32 v2, v4
	v_min_u32_e32 v6, 32, v2
	v_subrev_u32_e32 v2, 28, v6
	v_lshlrev_b64 v[2:3], v2, v[1:2]
	v_sub_u32_e32 v3, 29, v6
	v_and_b32_e32 v2, 7, v2
	v_cndmask_b32_e64 v3, v5, v3, s[4:5]
	v_cndmask_b32_e64 v2, v4, v2, s[4:5]
	v_bfrev_b32_e32 v0, 60
	v_lshlrev_b32_e32 v2, 20, v2
	v_and_b32_sdwa v4, sext(v1), s44 dst_sel:DWORD dst_unused:UNUSED_PAD src0_sel:BYTE_0 src1_sel:DWORD
	v_lshl_add_u32 v3, v3, 23, v0
	v_or3_b32 v7, v4, v3, v2
	v_mov_b32_e32 v8, v57
.LBB212_301:                            ;   in Loop: Header=BB212_9 Depth=1
	s_or_b64 exec, exec, s[36:37]
.LBB212_302:                            ;   in Loop: Header=BB212_9 Depth=1
	s_or_b64 exec, exec, s[34:35]
.LBB212_303:                            ;   in Loop: Header=BB212_9 Depth=1
	s_or_b64 exec, exec, s[16:17]
	v_cmp_ne_u16_sdwa s[4:5], v1, v57 src0_sel:BYTE_1 src1_sel:DWORD
	s_and_saveexec_b64 s[16:17], s[4:5]
	s_cbranch_execz .LBB212_309
; %bb.304:                              ;   in Loop: Header=BB212_9 Depth=1
	v_mov_b32_e32 v45, v57
	v_cmp_ne_u16_sdwa s[4:5], v1, s42 src0_sel:BYTE_1 src1_sel:DWORD
	v_mov_b32_e32 v46, v58
	s_and_saveexec_b64 s[34:35], s[4:5]
	s_cbranch_execz .LBB212_308
; %bb.305:                              ;   in Loop: Header=BB212_9 Depth=1
	buffer_load_dword v45, off, s[48:51], 0 ; 4-byte Folded Reload
	buffer_load_dword v46, off, s[48:51], 0 offset:4 ; 4-byte Folded Reload
	v_and_b32_sdwa v2, v1, s43 dst_sel:DWORD dst_unused:UNUSED_PAD src0_sel:BYTE_1 src1_sel:DWORD
	v_cmp_ne_u32_e64 s[4:5], s43, v2
	s_waitcnt vmcnt(1)
	v_mov_b32_e32 v45, v57
	s_waitcnt vmcnt(0)
	v_mov_b32_e32 v3, v46
	buffer_store_dword v2, off, s[48:51], 0 ; 4-byte Folded Spill
	s_nop 0
	buffer_store_dword v3, off, s[48:51], 0 offset:4 ; 4-byte Folded Spill
	s_and_saveexec_b64 s[36:37], s[4:5]
	s_cbranch_execz .LBB212_307
; %bb.306:                              ;   in Loop: Header=BB212_9 Depth=1
	v_mov_b32_e32 v0, 7
	v_and_b32_sdwa v3, v1, v0 dst_sel:DWORD dst_unused:UNUSED_PAD src0_sel:BYTE_1 src1_sel:DWORD
	v_lshrrev_b32_e32 v5, 3, v2
	v_cmp_gt_u32_e64 s[4:5], 8, v2
	v_ffbh_u32_e32 v2, v3
	v_min_u32_e32 v2, 32, v2
	v_mov_b32_e32 v4, v57
	v_subrev_u32_e32 v6, 28, v2
	v_lshlrev_b64 v[45:46], v6, v[3:4]
	v_sub_u32_e32 v2, 29, v2
	v_and_b32_e32 v4, 7, v45
	v_cndmask_b32_e64 v2, v5, v2, s[4:5]
	v_bfrev_b32_e32 v0, 60
	v_cndmask_b32_e64 v3, v3, v4, s[4:5]
	v_lshlrev_b32_e32 v1, 16, v1
	v_lshl_add_u32 v2, v2, 23, v0
	v_and_or_b32 v1, v1, s44, v2
	v_lshlrev_b32_e32 v2, 20, v3
	v_or_b32_e32 v46, v1, v2
	v_mov_b32_e32 v45, v57
.LBB212_307:                            ;   in Loop: Header=BB212_9 Depth=1
	s_or_b64 exec, exec, s[36:37]
.LBB212_308:                            ;   in Loop: Header=BB212_9 Depth=1
	s_or_b64 exec, exec, s[34:35]
.LBB212_309:                            ;   in Loop: Header=BB212_9 Depth=1
	s_or_b64 exec, exec, s[16:17]
	global_load_ushort v2, v[9:10], off offset:3076
	v_mov_b32_e32 v49, 0
	v_mov_b32_e32 v47, 0
	;; [unrolled: 1-line block ×4, first 2 shown]
	s_waitcnt vmcnt(0)
	v_and_b32_e32 v1, 0xffff, v2
	v_cmp_ne_u16_sdwa s[4:5], v2, v57 src0_sel:BYTE_0 src1_sel:DWORD
	s_and_saveexec_b64 s[16:17], s[4:5]
	s_cbranch_execz .LBB212_315
; %bb.310:                              ;   in Loop: Header=BB212_9 Depth=1
	v_bfrev_b32_e32 v47, 1
	v_mov_b32_e32 v48, 0
	v_cmp_ne_u16_sdwa s[4:5], v1, s42 src0_sel:BYTE_0 src1_sel:DWORD
	s_and_saveexec_b64 s[34:35], s[4:5]
	s_cbranch_execz .LBB212_314
; %bb.311:                              ;   in Loop: Header=BB212_9 Depth=1
	v_and_b32_e32 v2, 0x7f, v1
	v_mov_b32_e32 v47, 0x7f800001
	v_mov_b32_e32 v48, 0
	v_cmp_ne_u32_e64 s[4:5], s43, v2
	s_and_saveexec_b64 s[36:37], s[4:5]
	s_cbranch_execz .LBB212_313
; %bb.312:                              ;   in Loop: Header=BB212_9 Depth=1
	v_and_b32_e32 v4, 7, v1
	v_lshrrev_b32_e32 v5, 3, v2
	v_cmp_gt_u32_e64 s[4:5], 8, v2
	v_ffbh_u32_e32 v2, v4
	v_min_u32_e32 v6, 32, v2
	v_subrev_u32_e32 v2, 28, v6
	v_lshlrev_b64 v[2:3], v2, v[1:2]
	v_sub_u32_e32 v3, 29, v6
	v_and_b32_e32 v2, 7, v2
	v_cndmask_b32_e64 v3, v5, v3, s[4:5]
	v_cndmask_b32_e64 v2, v4, v2, s[4:5]
	v_bfrev_b32_e32 v0, 60
	v_lshlrev_b32_e32 v2, 20, v2
	v_and_b32_sdwa v4, sext(v1), s44 dst_sel:DWORD dst_unused:UNUSED_PAD src0_sel:BYTE_0 src1_sel:DWORD
	v_lshl_add_u32 v3, v3, 23, v0
	v_or3_b32 v47, v4, v3, v2
	v_mov_b32_e32 v48, v57
.LBB212_313:                            ;   in Loop: Header=BB212_9 Depth=1
	s_or_b64 exec, exec, s[36:37]
.LBB212_314:                            ;   in Loop: Header=BB212_9 Depth=1
	s_or_b64 exec, exec, s[34:35]
.LBB212_315:                            ;   in Loop: Header=BB212_9 Depth=1
	s_or_b64 exec, exec, s[16:17]
	v_cmp_ne_u16_sdwa s[4:5], v1, v57 src0_sel:BYTE_1 src1_sel:DWORD
	s_and_saveexec_b64 s[16:17], s[4:5]
	s_cbranch_execz .LBB212_321
; %bb.316:                              ;   in Loop: Header=BB212_9 Depth=1
	v_mov_b32_e32 v49, v57
	v_cmp_ne_u16_sdwa s[4:5], v1, s42 src0_sel:BYTE_1 src1_sel:DWORD
	v_mov_b32_e32 v50, v58
	s_and_saveexec_b64 s[34:35], s[4:5]
	s_cbranch_execz .LBB212_320
; %bb.317:                              ;   in Loop: Header=BB212_9 Depth=1
	buffer_load_dword v49, off, s[48:51], 0 ; 4-byte Folded Reload
	buffer_load_dword v50, off, s[48:51], 0 offset:4 ; 4-byte Folded Reload
	v_and_b32_sdwa v2, v1, s43 dst_sel:DWORD dst_unused:UNUSED_PAD src0_sel:BYTE_1 src1_sel:DWORD
	v_cmp_ne_u32_e64 s[4:5], s43, v2
	s_waitcnt vmcnt(1)
	v_mov_b32_e32 v49, v57
	s_waitcnt vmcnt(0)
	v_mov_b32_e32 v3, v50
	buffer_store_dword v2, off, s[48:51], 0 ; 4-byte Folded Spill
	s_nop 0
	buffer_store_dword v3, off, s[48:51], 0 offset:4 ; 4-byte Folded Spill
	s_and_saveexec_b64 s[36:37], s[4:5]
	s_cbranch_execz .LBB212_319
; %bb.318:                              ;   in Loop: Header=BB212_9 Depth=1
	v_mov_b32_e32 v0, 7
	v_and_b32_sdwa v3, v1, v0 dst_sel:DWORD dst_unused:UNUSED_PAD src0_sel:BYTE_1 src1_sel:DWORD
	v_lshrrev_b32_e32 v5, 3, v2
	v_cmp_gt_u32_e64 s[4:5], 8, v2
	v_ffbh_u32_e32 v2, v3
	v_min_u32_e32 v2, 32, v2
	v_mov_b32_e32 v4, v57
	v_subrev_u32_e32 v6, 28, v2
	v_lshlrev_b64 v[49:50], v6, v[3:4]
	v_sub_u32_e32 v2, 29, v2
	v_and_b32_e32 v4, 7, v49
	v_cndmask_b32_e64 v2, v5, v2, s[4:5]
	v_bfrev_b32_e32 v0, 60
	v_cndmask_b32_e64 v3, v3, v4, s[4:5]
	v_lshlrev_b32_e32 v1, 16, v1
	v_lshl_add_u32 v2, v2, 23, v0
	v_and_or_b32 v1, v1, s44, v2
	v_lshlrev_b32_e32 v2, 20, v3
	v_or_b32_e32 v50, v1, v2
	v_mov_b32_e32 v49, v57
.LBB212_319:                            ;   in Loop: Header=BB212_9 Depth=1
	s_or_b64 exec, exec, s[36:37]
.LBB212_320:                            ;   in Loop: Header=BB212_9 Depth=1
	s_or_b64 exec, exec, s[34:35]
.LBB212_321:                            ;   in Loop: Header=BB212_9 Depth=1
	s_or_b64 exec, exec, s[16:17]
	global_load_ushort v2, v[9:10], off offset:3080
	v_mov_b32_e32 v53, 0
	v_mov_b32_e32 v51, 0
	;; [unrolled: 1-line block ×4, first 2 shown]
	s_waitcnt vmcnt(0)
	v_and_b32_e32 v1, 0xffff, v2
	v_cmp_ne_u16_sdwa s[4:5], v2, v57 src0_sel:BYTE_0 src1_sel:DWORD
	s_and_saveexec_b64 s[16:17], s[4:5]
	s_cbranch_execz .LBB212_327
; %bb.322:                              ;   in Loop: Header=BB212_9 Depth=1
	v_bfrev_b32_e32 v51, 1
	v_mov_b32_e32 v52, 0
	v_cmp_ne_u16_sdwa s[4:5], v1, s42 src0_sel:BYTE_0 src1_sel:DWORD
	s_and_saveexec_b64 s[34:35], s[4:5]
	s_cbranch_execz .LBB212_326
; %bb.323:                              ;   in Loop: Header=BB212_9 Depth=1
	v_and_b32_e32 v2, 0x7f, v1
	v_mov_b32_e32 v51, 0x7f800001
	v_mov_b32_e32 v52, 0
	v_cmp_ne_u32_e64 s[4:5], s43, v2
	s_and_saveexec_b64 s[36:37], s[4:5]
	s_cbranch_execz .LBB212_325
; %bb.324:                              ;   in Loop: Header=BB212_9 Depth=1
	v_and_b32_e32 v4, 7, v1
	v_lshrrev_b32_e32 v5, 3, v2
	v_cmp_gt_u32_e64 s[4:5], 8, v2
	v_ffbh_u32_e32 v2, v4
	v_min_u32_e32 v6, 32, v2
	v_subrev_u32_e32 v2, 28, v6
	v_lshlrev_b64 v[2:3], v2, v[1:2]
	v_sub_u32_e32 v3, 29, v6
	v_and_b32_e32 v2, 7, v2
	v_cndmask_b32_e64 v3, v5, v3, s[4:5]
	v_cndmask_b32_e64 v2, v4, v2, s[4:5]
	v_bfrev_b32_e32 v0, 60
	v_lshlrev_b32_e32 v2, 20, v2
	v_and_b32_sdwa v4, sext(v1), s44 dst_sel:DWORD dst_unused:UNUSED_PAD src0_sel:BYTE_0 src1_sel:DWORD
	v_lshl_add_u32 v3, v3, 23, v0
	v_or3_b32 v51, v4, v3, v2
	v_mov_b32_e32 v52, v57
.LBB212_325:                            ;   in Loop: Header=BB212_9 Depth=1
	s_or_b64 exec, exec, s[36:37]
.LBB212_326:                            ;   in Loop: Header=BB212_9 Depth=1
	s_or_b64 exec, exec, s[34:35]
.LBB212_327:                            ;   in Loop: Header=BB212_9 Depth=1
	s_or_b64 exec, exec, s[16:17]
	v_cmp_ne_u16_sdwa s[4:5], v1, v57 src0_sel:BYTE_1 src1_sel:DWORD
	s_and_saveexec_b64 s[16:17], s[4:5]
	s_cbranch_execz .LBB212_333
; %bb.328:                              ;   in Loop: Header=BB212_9 Depth=1
	v_mov_b32_e32 v53, v57
	v_cmp_ne_u16_sdwa s[4:5], v1, s42 src0_sel:BYTE_1 src1_sel:DWORD
	v_mov_b32_e32 v54, v58
	s_and_saveexec_b64 s[34:35], s[4:5]
	s_cbranch_execz .LBB212_332
; %bb.329:                              ;   in Loop: Header=BB212_9 Depth=1
	buffer_load_dword v53, off, s[48:51], 0 ; 4-byte Folded Reload
	buffer_load_dword v54, off, s[48:51], 0 offset:4 ; 4-byte Folded Reload
	v_and_b32_sdwa v2, v1, s43 dst_sel:DWORD dst_unused:UNUSED_PAD src0_sel:BYTE_1 src1_sel:DWORD
	v_cmp_ne_u32_e64 s[4:5], s43, v2
	s_waitcnt vmcnt(1)
	v_mov_b32_e32 v53, v57
	s_waitcnt vmcnt(0)
	v_mov_b32_e32 v3, v54
	buffer_store_dword v2, off, s[48:51], 0 ; 4-byte Folded Spill
	s_nop 0
	buffer_store_dword v3, off, s[48:51], 0 offset:4 ; 4-byte Folded Spill
	s_and_saveexec_b64 s[36:37], s[4:5]
	s_cbranch_execz .LBB212_331
; %bb.330:                              ;   in Loop: Header=BB212_9 Depth=1
	v_mov_b32_e32 v0, 7
	v_and_b32_sdwa v3, v1, v0 dst_sel:DWORD dst_unused:UNUSED_PAD src0_sel:BYTE_1 src1_sel:DWORD
	v_lshrrev_b32_e32 v5, 3, v2
	v_cmp_gt_u32_e64 s[4:5], 8, v2
	v_ffbh_u32_e32 v2, v3
	v_min_u32_e32 v2, 32, v2
	v_mov_b32_e32 v4, v57
	v_subrev_u32_e32 v6, 28, v2
	v_lshlrev_b64 v[53:54], v6, v[3:4]
	v_sub_u32_e32 v2, 29, v2
	v_and_b32_e32 v4, 7, v53
	v_cndmask_b32_e64 v2, v5, v2, s[4:5]
	v_bfrev_b32_e32 v0, 60
	v_cndmask_b32_e64 v3, v3, v4, s[4:5]
	v_lshlrev_b32_e32 v1, 16, v1
	v_lshl_add_u32 v2, v2, 23, v0
	v_and_or_b32 v1, v1, s44, v2
	v_lshlrev_b32_e32 v2, 20, v3
	v_or_b32_e32 v54, v1, v2
	v_mov_b32_e32 v53, v57
.LBB212_331:                            ;   in Loop: Header=BB212_9 Depth=1
	s_or_b64 exec, exec, s[36:37]
.LBB212_332:                            ;   in Loop: Header=BB212_9 Depth=1
	s_or_b64 exec, exec, s[34:35]
.LBB212_333:                            ;   in Loop: Header=BB212_9 Depth=1
	s_or_b64 exec, exec, s[16:17]
	global_load_ushort v1, v[9:10], off offset:3084
	v_mov_b32_e32 v9, 0
	v_mov_b32_e32 v10, 0
	s_waitcnt vmcnt(0)
	v_and_b32_e32 v3, 0xffff, v1
	v_cmp_ne_u16_sdwa s[4:5], v1, v57 src0_sel:BYTE_0 src1_sel:DWORD
	v_mov_b32_e32 v1, 0
	v_mov_b32_e32 v2, 0
	s_and_saveexec_b64 s[16:17], s[4:5]
	s_cbranch_execz .LBB212_339
; %bb.334:                              ;   in Loop: Header=BB212_9 Depth=1
	v_bfrev_b32_e32 v9, 1
	v_mov_b32_e32 v10, 0
	v_cmp_ne_u16_sdwa s[4:5], v3, s42 src0_sel:BYTE_0 src1_sel:DWORD
	s_and_saveexec_b64 s[34:35], s[4:5]
	s_cbranch_execz .LBB212_338
; %bb.335:                              ;   in Loop: Header=BB212_9 Depth=1
	v_and_b32_e32 v4, 0x7f, v3
	v_mov_b32_e32 v9, 0x7f800001
	v_mov_b32_e32 v10, 0
	v_cmp_ne_u32_e64 s[4:5], s43, v4
	s_and_saveexec_b64 s[36:37], s[4:5]
	s_cbranch_execz .LBB212_337
; %bb.336:                              ;   in Loop: Header=BB212_9 Depth=1
	v_and_b32_e32 v5, 7, v3
	v_lshrrev_b32_e32 v6, 3, v4
	v_cmp_gt_u32_e64 s[4:5], 8, v4
	v_ffbh_u32_e32 v4, v5
	v_min_u32_e32 v4, 32, v4
	v_subrev_u32_e32 v9, 28, v4
	v_lshlrev_b64 v[9:10], v9, v[3:4]
	v_sub_u32_e32 v4, 29, v4
	v_and_b32_e32 v9, 7, v9
	v_cndmask_b32_e64 v4, v6, v4, s[4:5]
	v_cndmask_b32_e64 v5, v5, v9, s[4:5]
	v_bfrev_b32_e32 v0, 60
	v_lshlrev_b32_e32 v5, 20, v5
	v_and_b32_sdwa v6, sext(v3), s44 dst_sel:DWORD dst_unused:UNUSED_PAD src0_sel:BYTE_0 src1_sel:DWORD
	v_lshl_add_u32 v4, v4, 23, v0
	v_or3_b32 v9, v6, v4, v5
	v_mov_b32_e32 v10, v57
.LBB212_337:                            ;   in Loop: Header=BB212_9 Depth=1
	s_or_b64 exec, exec, s[36:37]
.LBB212_338:                            ;   in Loop: Header=BB212_9 Depth=1
	s_or_b64 exec, exec, s[34:35]
.LBB212_339:                            ;   in Loop: Header=BB212_9 Depth=1
	s_or_b64 exec, exec, s[16:17]
	v_cmp_ne_u16_sdwa s[4:5], v3, v57 src0_sel:BYTE_1 src1_sel:DWORD
	s_and_saveexec_b64 s[16:17], s[4:5]
	s_cbranch_execz .LBB212_345
; %bb.340:                              ;   in Loop: Header=BB212_9 Depth=1
	v_mov_b32_e32 v1, v57
	v_cmp_ne_u16_sdwa s[4:5], v3, s42 src0_sel:BYTE_1 src1_sel:DWORD
	v_mov_b32_e32 v2, v58
	s_and_saveexec_b64 s[34:35], s[4:5]
	s_cbranch_execz .LBB212_344
; %bb.341:                              ;   in Loop: Header=BB212_9 Depth=1
	buffer_load_dword v1, off, s[48:51], 0  ; 4-byte Folded Reload
	buffer_load_dword v2, off, s[48:51], 0 offset:4 ; 4-byte Folded Reload
	v_and_b32_sdwa v4, v3, s43 dst_sel:DWORD dst_unused:UNUSED_PAD src0_sel:BYTE_1 src1_sel:DWORD
	v_cmp_ne_u32_e64 s[4:5], s43, v4
	s_waitcnt vmcnt(1)
	v_mov_b32_e32 v1, v57
	s_waitcnt vmcnt(0)
	v_mov_b32_e32 v5, v2
	buffer_store_dword v4, off, s[48:51], 0 ; 4-byte Folded Spill
	s_nop 0
	buffer_store_dword v5, off, s[48:51], 0 offset:4 ; 4-byte Folded Spill
	s_and_saveexec_b64 s[36:37], s[4:5]
	s_cbranch_execz .LBB212_343
; %bb.342:                              ;   in Loop: Header=BB212_9 Depth=1
	v_mov_b32_e32 v0, 7
	v_and_b32_sdwa v1, v3, v0 dst_sel:DWORD dst_unused:UNUSED_PAD src0_sel:BYTE_1 src1_sel:DWORD
	v_lshrrev_b32_e32 v6, 3, v4
	v_cmp_gt_u32_e64 s[4:5], 8, v4
	v_ffbh_u32_e32 v4, v1
	v_min_u32_e32 v55, 32, v4
	v_mov_b32_e32 v2, v57
	v_subrev_u32_e32 v4, 28, v55
	v_lshlrev_b64 v[4:5], v4, v[1:2]
	v_sub_u32_e32 v2, 29, v55
	v_and_b32_e32 v4, 7, v4
	v_cndmask_b32_e64 v2, v6, v2, s[4:5]
	v_bfrev_b32_e32 v0, 60
	v_cndmask_b32_e64 v1, v1, v4, s[4:5]
	v_lshlrev_b32_e32 v3, 16, v3
	v_lshl_add_u32 v2, v2, 23, v0
	v_and_or_b32 v2, v3, s44, v2
	v_lshlrev_b32_e32 v1, 20, v1
	v_or_b32_e32 v2, v2, v1
	v_mov_b32_e32 v1, v57
.LBB212_343:                            ;   in Loop: Header=BB212_9 Depth=1
	s_or_b64 exec, exec, s[36:37]
.LBB212_344:                            ;   in Loop: Header=BB212_9 Depth=1
	s_or_b64 exec, exec, s[34:35]
.LBB212_345:                            ;   in Loop: Header=BB212_9 Depth=1
	s_or_b64 exec, exec, s[16:17]
	v_or_b32_e32 v0, v54, v52
	buffer_store_dword v0, off, s[48:51], 0 offset:264 ; 4-byte Folded Spill
	buffer_load_dword v4, off, s[48:51], 0 offset:236 ; 4-byte Folded Reload
	buffer_load_dword v5, off, s[48:51], 0 offset:240 ; 4-byte Folded Reload
	v_or_b32_e32 v56, v46, v8
	v_or_b32_e32 v3, v45, v7
	;; [unrolled: 1-line block ×22, first 2 shown]
	s_waitcnt vmcnt(1)
	v_or_b32_e32 v7, v11, v4
	s_waitcnt vmcnt(0)
	v_or_b32_e32 v8, v12, v5
	buffer_load_dword v4, off, s[48:51], 0 offset:220 ; 4-byte Folded Reload
	buffer_load_dword v5, off, s[48:51], 0 offset:224 ; 4-byte Folded Reload
	buffer_load_dword v15, off, s[48:51], 0 offset:228 ; 4-byte Folded Reload
	buffer_load_dword v16, off, s[48:51], 0 offset:232 ; 4-byte Folded Reload
	s_waitcnt vmcnt(1)
	v_or_b32_e32 v12, v15, v4
	s_waitcnt vmcnt(0)
	v_or_b32_e32 v11, v16, v5
	buffer_load_dword v4, off, s[48:51], 0 offset:204 ; 4-byte Folded Reload
	buffer_load_dword v5, off, s[48:51], 0 offset:208 ; 4-byte Folded Reload
	buffer_load_dword v19, off, s[48:51], 0 offset:212 ; 4-byte Folded Reload
	buffer_load_dword v20, off, s[48:51], 0 offset:216 ; 4-byte Folded Reload
	;; [unrolled: 8-line block ×13, first 2 shown]
	s_waitcnt vmcnt(1)
	v_or_b32_e32 v59, v62, v5
	s_waitcnt vmcnt(0)
	v_or_b32_e32 v55, v63, v6
	buffer_load_dword v5, off, s[48:51], 0 offset:20 ; 4-byte Folded Reload
	buffer_load_dword v6, off, s[48:51], 0 offset:24 ; 4-byte Folded Reload
	s_waitcnt vmcnt(1)
	v_or_b32_e32 v60, v5, v60
	s_waitcnt vmcnt(0)
	v_or_b32_e32 v6, v6, v61
	buffer_load_dword v61, off, s[48:51], 0 offset:12 ; 4-byte Folded Reload
	buffer_load_dword v62, off, s[48:51], 0 offset:16 ; 4-byte Folded Reload
	v_or_b32_e32 v5, v1, v9
	v_mul_f32_e32 v1, s39, v60
	v_mul_f32_e32 v6, s40, v6
	s_waitcnt vmcnt(1)
	v_or_b32_e32 v63, v61, v43
	s_waitcnt vmcnt(0)
	v_or_b32_e32 v0, v62, v44
	v_mul_f32_e32 v9, s39, v63
	buffer_load_dword v60, off, s[48:51], 0 offset:272 ; 4-byte Folded Reload
	buffer_load_dword v61, off, s[48:51], 0 offset:276 ; 4-byte Folded Reload
	;; [unrolled: 1-line block ×4, first 2 shown]
	v_mul_f32_e32 v0, s40, v0
	s_waitcnt vmcnt(1)
	v_mul_f32_e32 v1, v62, v1
	s_waitcnt vmcnt(0)
	v_mul_f32_e32 v6, v63, v6
	v_fmac_f32_e32 v1, v60, v9
	v_fmac_f32_e32 v6, v61, v0
	v_mul_f32_e32 v0, s39, v59
	buffer_load_dword v59, off, s[48:51], 0 offset:288 ; 4-byte Folded Reload
	buffer_load_dword v60, off, s[48:51], 0 offset:292 ; 4-byte Folded Reload
	;; [unrolled: 1-line block ×4, first 2 shown]
	s_waitcnt vmcnt(3)
	v_fmac_f32_e32 v1, v59, v0
	v_mul_f32_e32 v0, s40, v55
	s_waitcnt vmcnt(2)
	v_fmac_f32_e32 v6, v60, v0
	v_mul_f32_e32 v0, s39, v54
	;; [unrolled: 3-line block ×4, first 2 shown]
	buffer_load_dword v52, off, s[48:51], 0 offset:304 ; 4-byte Folded Reload
	buffer_load_dword v53, off, s[48:51], 0 offset:308 ; 4-byte Folded Reload
	;; [unrolled: 1-line block ×4, first 2 shown]
	s_waitcnt vmcnt(3)
	v_fmac_f32_e32 v1, v52, v0
	v_mul_f32_e32 v0, s40, v50
	s_waitcnt vmcnt(2)
	v_fmac_f32_e32 v6, v53, v0
	v_mul_f32_e32 v0, s39, v49
	s_waitcnt vmcnt(1)
	v_fmac_f32_e32 v1, v54, v0
	v_mul_f32_e32 v0, s40, v46
	s_waitcnt vmcnt(0)
	v_fmac_f32_e32 v6, v55, v0
	buffer_load_dword v52, off, s[48:51], 0 offset:320 ; 4-byte Folded Reload
	buffer_load_dword v53, off, s[48:51], 0 offset:324 ; 4-byte Folded Reload
	buffer_load_dword v54, off, s[48:51], 0 offset:328 ; 4-byte Folded Reload
	buffer_load_dword v55, off, s[48:51], 0 offset:332 ; 4-byte Folded Reload
	v_mul_f32_e32 v0, s39, v45
	s_waitcnt vmcnt(3)
	v_fmac_f32_e32 v1, v52, v0
	v_mul_f32_e32 v0, s40, v42
	s_waitcnt vmcnt(2)
	v_fmac_f32_e32 v6, v53, v0
	v_mul_f32_e32 v0, s39, v41
	s_waitcnt vmcnt(1)
	v_fmac_f32_e32 v1, v54, v0
	v_mul_f32_e32 v0, s40, v36
	s_waitcnt vmcnt(0)
	v_fmac_f32_e32 v6, v55, v0
	buffer_load_dword v52, off, s[48:51], 0 offset:336 ; 4-byte Folded Reload
	buffer_load_dword v53, off, s[48:51], 0 offset:340 ; 4-byte Folded Reload
	buffer_load_dword v54, off, s[48:51], 0 offset:344 ; 4-byte Folded Reload
	buffer_load_dword v55, off, s[48:51], 0 offset:348 ; 4-byte Folded Reload
	v_mul_f32_e32 v0, s39, v35
	s_waitcnt vmcnt(3)
	v_fmac_f32_e32 v1, v52, v0
	v_mul_f32_e32 v0, s40, v32
	s_waitcnt vmcnt(2)
	v_fmac_f32_e32 v6, v53, v0
	v_mul_f32_e32 v0, s39, v31
	s_waitcnt vmcnt(1)
	v_fmac_f32_e32 v1, v54, v0
	v_mul_f32_e32 v0, s40, v28
	s_waitcnt vmcnt(0)
	v_fmac_f32_e32 v6, v55, v0
	buffer_load_dword v52, off, s[48:51], 0 offset:352 ; 4-byte Folded Reload
	buffer_load_dword v53, off, s[48:51], 0 offset:356 ; 4-byte Folded Reload
	buffer_load_dword v54, off, s[48:51], 0 offset:360 ; 4-byte Folded Reload
	buffer_load_dword v55, off, s[48:51], 0 offset:364 ; 4-byte Folded Reload
	v_mul_f32_e32 v0, s39, v27
	s_waitcnt vmcnt(3)
	v_fmac_f32_e32 v1, v52, v0
	v_mul_f32_e32 v0, s40, v24
	s_waitcnt vmcnt(2)
	v_fmac_f32_e32 v6, v53, v0
	v_mul_f32_e32 v0, s39, v23
	s_waitcnt vmcnt(1)
	v_fmac_f32_e32 v1, v54, v0
	v_mul_f32_e32 v0, s40, v20
	s_waitcnt vmcnt(0)
	v_fmac_f32_e32 v6, v55, v0
	buffer_load_dword v52, off, s[48:51], 0 offset:368 ; 4-byte Folded Reload
	buffer_load_dword v53, off, s[48:51], 0 offset:372 ; 4-byte Folded Reload
	buffer_load_dword v54, off, s[48:51], 0 offset:376 ; 4-byte Folded Reload
	buffer_load_dword v55, off, s[48:51], 0 offset:380 ; 4-byte Folded Reload
	v_mul_f32_e32 v0, s39, v4
	s_waitcnt vmcnt(3)
	v_fmac_f32_e32 v1, v52, v0
	v_mul_f32_e32 v0, s40, v19
	s_waitcnt vmcnt(2)
	v_fmac_f32_e32 v6, v53, v0
	v_mul_f32_e32 v0, s39, v16
	s_waitcnt vmcnt(1)
	v_fmac_f32_e32 v1, v54, v0
	v_mul_f32_e32 v0, s40, v15
	s_waitcnt vmcnt(0)
	v_fmac_f32_e32 v6, v55, v0
	buffer_load_dword v52, off, s[48:51], 0 offset:384 ; 4-byte Folded Reload
	buffer_load_dword v53, off, s[48:51], 0 offset:388 ; 4-byte Folded Reload
	buffer_load_dword v54, off, s[48:51], 0 offset:392 ; 4-byte Folded Reload
	buffer_load_dword v55, off, s[48:51], 0 offset:396 ; 4-byte Folded Reload
	v_mul_f32_e32 v0, s39, v12
	s_waitcnt vmcnt(3)
	v_fmac_f32_e32 v1, v52, v0
	v_mul_f32_e32 v0, s40, v11
	s_waitcnt vmcnt(2)
	v_fmac_f32_e32 v6, v53, v0
	v_mul_f32_e32 v0, s39, v7
	;; [unrolled: 3-line block ×3, first 2 shown]
	buffer_load_dword v7, off, s[48:51], 0 offset:400 ; 4-byte Folded Reload
	buffer_load_dword v8, off, s[48:51], 0 offset:404 ; 4-byte Folded Reload
	buffer_load_dword v9, off, s[48:51], 0 offset:408 ; 4-byte Folded Reload
	buffer_load_dword v10, off, s[48:51], 0 offset:412 ; 4-byte Folded Reload
	s_waitcnt vmcnt(4)
	v_fmac_f32_e32 v6, v55, v0
	v_mul_f32_e32 v0, s39, v13
	s_waitcnt vmcnt(3)
	v_fmac_f32_e32 v1, v7, v0
	v_mul_f32_e32 v0, s40, v14
	;; [unrolled: 3-line block ×4, first 2 shown]
	s_waitcnt vmcnt(0)
	v_fmac_f32_e32 v6, v10, v0
	buffer_load_dword v7, off, s[48:51], 0 offset:416 ; 4-byte Folded Reload
	buffer_load_dword v8, off, s[48:51], 0 offset:420 ; 4-byte Folded Reload
	buffer_load_dword v9, off, s[48:51], 0 offset:424 ; 4-byte Folded Reload
	buffer_load_dword v10, off, s[48:51], 0 offset:428 ; 4-byte Folded Reload
	v_mul_f32_e32 v0, s39, v21
	s_waitcnt vmcnt(3)
	v_fmac_f32_e32 v1, v7, v0
	v_mul_f32_e32 v0, s40, v22
	s_waitcnt vmcnt(2)
	v_fmac_f32_e32 v6, v8, v0
	v_mul_f32_e32 v0, s39, v25
	s_waitcnt vmcnt(1)
	v_fmac_f32_e32 v1, v9, v0
	v_mul_f32_e32 v0, s40, v26
	s_waitcnt vmcnt(0)
	v_fmac_f32_e32 v6, v10, v0
	buffer_load_dword v7, off, s[48:51], 0 offset:432 ; 4-byte Folded Reload
	buffer_load_dword v8, off, s[48:51], 0 offset:436 ; 4-byte Folded Reload
	buffer_load_dword v9, off, s[48:51], 0 offset:440 ; 4-byte Folded Reload
	buffer_load_dword v10, off, s[48:51], 0 offset:444 ; 4-byte Folded Reload
	v_mul_f32_e32 v0, s39, v29
	s_waitcnt vmcnt(3)
	v_fmac_f32_e32 v1, v7, v0
	v_mul_f32_e32 v0, s40, v30
	s_waitcnt vmcnt(2)
	v_fmac_f32_e32 v6, v8, v0
	v_mul_f32_e32 v0, s39, v33
	s_waitcnt vmcnt(1)
	v_fmac_f32_e32 v1, v9, v0
	v_mul_f32_e32 v0, s40, v34
	;; [unrolled: 16-line block ×4, first 2 shown]
	s_waitcnt vmcnt(0)
	v_fmac_f32_e32 v6, v10, v0
	buffer_load_dword v7, off, s[48:51], 0 offset:484 ; 4-byte Folded Reload
	buffer_load_dword v8, off, s[48:51], 0 offset:488 ; 4-byte Folded Reload
	;; [unrolled: 1-line block ×4, first 2 shown]
	v_mul_f32_e32 v0, s39, v51
	s_waitcnt vmcnt(3)
	v_fmac_f32_e32 v1, v7, v0
	buffer_load_dword v0, off, s[48:51], 0 offset:264 ; 4-byte Folded Reload
	s_waitcnt vmcnt(0)
	v_mul_f32_e32 v0, s40, v0
	v_fmac_f32_e32 v6, v8, v0
	v_mul_f32_e32 v0, s39, v5
	v_fmac_f32_e32 v1, v9, v0
	;; [unrolled: 2-line block ×3, first 2 shown]
	buffer_load_dword v0, off, s[48:51], 0 offset:480 ; 4-byte Folded Reload
	v_add_f32_e32 v1, v1, v6
	s_waitcnt vmcnt(0)
	ds_bpermute_b32 v2, v0, v1
	s_mov_b64 s[16:17], exec
	buffer_load_dword v5, off, s[48:51], 0 offset:260 ; 4-byte Folded Reload
	s_and_b64 s[4:5], s[16:17], vcc
	s_mov_b64 exec, s[4:5]
	s_cbranch_execz .LBB212_8
; %bb.346:                              ;   in Loop: Header=BB212_9 Depth=1
	buffer_load_dword v4, off, s[48:51], 0 offset:244 ; 4-byte Folded Reload
	buffer_load_dword v3, off, s[48:51], 0 offset:268 ; 4-byte Folded Reload
	s_waitcnt lgkmcnt(0)
	v_add_f32_e32 v1, v1, v2
	s_waitcnt vmcnt(1)
	v_add_u32_e32 v0, s41, v4
	v_cmp_gt_i32_e64 s[4:5], s30, v4
	buffer_load_dword v4, off, s[48:51], 0 offset:248 ; 4-byte Folded Reload
	v_cvt_f32_i32_e32 v0, v0
	s_waitcnt vmcnt(1)
	v_max_f32_e32 v2, v3, v3
	v_mul_f32_e32 v0, s33, v0
	v_cndmask_b32_e64 v0, 0, v0, s[2:3]
	v_fmac_f32_e32 v0, s31, v1
	v_cndmask_b32_e64 v1, 0, v0, s[4:5]
	v_max_f32_e32 v0, v2, v0
	v_cndmask_b32_e64 v3, v3, v0, s[4:5]
	buffer_store_dword v3, off, s[48:51], 0 offset:268 ; 4-byte Folded Spill
	s_waitcnt vmcnt(1)
	ds_write_b32 v4, v1
	s_branch .LBB212_8
.LBB212_347:
	s_or_b64 exec, exec, s[14:15]
	buffer_load_dword v6, off, s[48:51], 0 offset:508 ; 4-byte Folded Reload
	buffer_load_dword v10, off, s[48:51], 0 offset:512 ; 4-byte Folded Reload
	;; [unrolled: 1-line block ×6, first 2 shown]
	s_waitcnt lgkmcnt(0)
	buffer_load_dword v2, off, s[48:51], 0 offset:268 ; 4-byte Folded Reload
.LBB212_348:
	s_or_b64 exec, exec, s[6:7]
	s_waitcnt vmcnt(3)
	v_xor_b32_e32 v0, 32, v12
	s_waitcnt vmcnt(1)
	v_cmp_lt_i32_e32 vcc, v0, v8
	v_cndmask_b32_e32 v0, v12, v0, vcc
	v_lshlrev_b32_e32 v0, 2, v0
	s_waitcnt vmcnt(0)
	ds_bpermute_b32 v1, v0, v2
	v_xor_b32_e32 v3, 16, v12
	v_max_f32_e32 v2, v2, v2
	v_cmp_lt_i32_e32 vcc, v3, v8
	v_xor_b32_e32 v4, 8, v12
	s_waitcnt lgkmcnt(0)
	v_max_f32_e32 v1, v1, v1
	v_max_f32_e32 v2, v2, v1
	v_cndmask_b32_e32 v1, v12, v3, vcc
	v_lshlrev_b32_e32 v1, 2, v1
	ds_bpermute_b32 v3, v1, v2
	v_cmp_lt_i32_e32 vcc, v4, v8
	v_xor_b32_e32 v5, 4, v12
	v_and_b32_e32 v20, 63, v6
	s_waitcnt lgkmcnt(0)
	v_max_f32_e32 v3, v3, v3
	v_max_f32_e32 v3, v2, v3
	v_cndmask_b32_e32 v2, v12, v4, vcc
	v_lshlrev_b32_e32 v2, 2, v2
	ds_bpermute_b32 v4, v2, v3
	v_cmp_lt_i32_e32 vcc, v5, v8
	s_waitcnt lgkmcnt(0)
	v_max_f32_e32 v4, v4, v4
	v_max_f32_e32 v3, v3, v4
	v_cndmask_b32_e32 v4, v12, v5, vcc
	v_lshlrev_b32_e32 v16, 2, v4
	ds_bpermute_b32 v4, v16, v3
	v_xor_b32_e32 v5, 2, v12
	v_cmp_lt_i32_e32 vcc, v5, v8
	s_waitcnt lgkmcnt(0)
	v_max_f32_e32 v4, v4, v4
	v_max_f32_e32 v4, v3, v4
	v_cndmask_b32_e32 v3, v12, v5, vcc
	v_lshlrev_b32_e32 v19, 2, v3
	buffer_load_dword v3, off, s[48:51], 0 offset:8 ; 4-byte Folded Reload
	ds_bpermute_b32 v5, v19, v4
	v_cmp_eq_u32_e32 vcc, 0, v20
	s_waitcnt vmcnt(0)
	v_lshlrev_b32_e32 v3, 2, v3
	s_and_saveexec_b64 s[2:3], vcc
	s_cbranch_execz .LBB212_350
; %bb.349:
	s_waitcnt lgkmcnt(0)
	v_max_f32_e32 v5, v5, v5
	v_max_f32_e32 v4, v4, v4
	;; [unrolled: 1-line block ×3, first 2 shown]
	ds_write_b32 v3, v4 offset:448
.LBB212_350:
	s_or_b64 exec, exec, s[2:3]
	v_cmp_gt_u32_e64 s[2:3], 2, v20
	s_waitcnt lgkmcnt(0)
	v_mov_b32_e32 v5, 0xff7fffff
	v_lshlrev_b32_e32 v4, 2, v20
	s_barrier
	s_and_saveexec_b64 s[4:5], s[2:3]
; %bb.351:
	ds_read_b32 v5, v4 offset:448
; %bb.352:
	s_or_b64 exec, exec, s[4:5]
	v_xor_b32_e32 v6, 1, v12
	v_cmp_lt_i32_e64 s[4:5], v6, v8
	v_cndmask_b32_e64 v6, v12, v6, s[4:5]
	v_lshlrev_b32_e32 v21, 2, v6
	s_waitcnt lgkmcnt(0)
	ds_bpermute_b32 v6, v21, v5
	v_max_f32_e32 v5, v5, v5
	s_lshl_b32 s4, s21, 5
	s_min_i32 s31, s4, s30
	s_waitcnt lgkmcnt(0)
	v_max_f32_e32 v6, v6, v6
	v_max_f32_e32 v5, v5, v6
	v_lshlrev_b32_e32 v6, 2, v7
	ds_bpermute_b32 v6, v6, v5
	buffer_load_dword v5, off, s[48:51], 0 offset:508 ; 4-byte Folded Reload
	s_waitcnt vmcnt(0)
	v_cmp_gt_i32_e64 s[4:5], s31, v5
	v_mov_b32_e32 v5, 0
	s_and_saveexec_b64 s[14:15], s[4:5]
	s_cbranch_execz .LBB212_356
; %bb.353:
	buffer_load_dword v8, off, s[48:51], 0 offset:508 ; 4-byte Folded Reload
	v_mov_b32_e32 v5, 0x1d0
	s_mov_b64 s[16:17], 0
	s_waitcnt vmcnt(0)
	v_lshl_add_u32 v7, v8, 2, v5
	v_mov_b32_e32 v5, 0
.LBB212_354:                            ; =>This Inner Loop Header: Depth=1
	ds_read_b32 v9, v7
	v_add_u32_e32 v8, 0x80, v8
	v_cmp_le_i32_e64 s[6:7], s31, v8
	s_or_b64 s[16:17], s[6:7], s[16:17]
	s_waitcnt lgkmcnt(0)
	v_sub_f32_e32 v9, v9, v6
	v_mul_f32_e32 v9, 0x3fb8aa3b, v9
	v_exp_f32_e32 v9, v9
	ds_write_b32 v7, v9
	v_add_f32_e32 v5, v5, v9
	v_add_u32_e32 v7, 0x200, v7
	s_andn2_b64 exec, exec, s[16:17]
	s_cbranch_execnz .LBB212_354
; %bb.355:
	s_or_b64 exec, exec, s[16:17]
.LBB212_356:
	s_or_b64 exec, exec, s[14:15]
	ds_bpermute_b32 v0, v0, v5
	s_waitcnt lgkmcnt(0)
	v_add_f32_e32 v0, v5, v0
	ds_bpermute_b32 v1, v1, v0
	s_waitcnt lgkmcnt(0)
	v_add_f32_e32 v0, v0, v1
	;; [unrolled: 3-line block ×6, first 2 shown]
	s_mov_b64 s[6:7], exec
	buffer_load_dword v6, off, s[48:51], 0 offset:508 ; 4-byte Folded Reload
	s_and_b64 s[14:15], s[6:7], vcc
	s_mov_b64 exec, s[14:15]
; %bb.357:
	ds_write_b32 v3, v0 offset:456
; %bb.358:
	s_or_b64 exec, exec, s[6:7]
	s_waitcnt vmcnt(0) lgkmcnt(0)
	s_barrier
	s_and_saveexec_b64 s[6:7], s[2:3]
; %bb.359:
	ds_read_b32 v0, v4 offset:456
; %bb.360:
	s_or_b64 exec, exec, s[6:7]
	s_waitcnt lgkmcnt(0)
	ds_bpermute_b32 v1, v21, v0
	v_lshlrev_b32_e32 v2, 2, v12
	s_waitcnt lgkmcnt(0)
	v_add_f32_e32 v0, v0, v1
	v_and_b32_e32 v1, 0xffffff00, v2
	ds_bpermute_b32 v0, v1, v0
	s_and_saveexec_b64 s[2:3], s[4:5]
	s_cbranch_execz .LBB212_363
; %bb.361:
	s_waitcnt lgkmcnt(0)
	v_add_f32_e32 v1, 0x358637bd, v0
	v_div_scale_f32 v0, s[4:5], v1, v1, 1.0
	v_div_scale_f32 v2, vcc, 1.0, v1, 1.0
	s_mov_b64 s[4:5], 0
	v_rcp_f32_e32 v3, v0
	v_fma_f32 v4, -v0, v3, 1.0
	v_fmac_f32_e32 v3, v4, v3
	v_mul_f32_e32 v4, v2, v3
	v_fma_f32 v5, -v0, v4, v2
	v_fmac_f32_e32 v4, v5, v3
	v_fma_f32 v0, -v0, v4, v2
	v_div_fmas_f32 v2, v0, v3, v4
	v_mov_b32_e32 v0, 0x1d0
	v_lshl_add_u32 v0, v6, 2, v0
	v_div_fixup_f32 v1, v2, v1, 1.0
	v_mov_b32_e32 v2, v6
.LBB212_362:                            ; =>This Inner Loop Header: Depth=1
	ds_read_b32 v3, v0
	v_add_u32_e32 v2, 0x80, v2
	v_cmp_le_i32_e32 vcc, s31, v2
	s_or_b64 s[4:5], vcc, s[4:5]
	s_waitcnt lgkmcnt(0)
	v_mul_f32_e32 v3, v1, v3
	ds_write_b32 v0, v3
	v_add_u32_e32 v0, 0x200, v0
	s_andn2_b64 exec, exec, s[4:5]
	s_cbranch_execnz .LBB212_362
.LBB212_363:
	s_or_b64 exec, exec, s[2:3]
	v_mov_b32_e32 v40, 0
	v_and_b32_e32 v22, 7, v6
	v_mov_b32_e32 v41, 0
	v_mov_b32_e32 v39, 0
	;; [unrolled: 1-line block ×12, first 2 shown]
	s_waitcnt lgkmcnt(0)
	v_mov_b32_e32 v0, 0
	s_barrier
	s_and_saveexec_b64 s[2:3], s[0:1]
	s_cbranch_execz .LBB212_731
; %bb.364:
	s_ashr_i32 s0, s12, 31
	s_add_u32 s1, s28, s12
	s_addc_u32 s0, s29, s0
	v_and_b32_e32 v1, 0xfc, v10
	buffer_store_dword v21, off, s[48:51], 0 offset:248 ; 4-byte Folded Spill
	buffer_store_dword v19, off, s[48:51], 0 offset:244 ; 4-byte Folded Spill
	;; [unrolled: 1-line block ×4, first 2 shown]
	v_mov_b32_e32 v2, s0
	v_add_co_u32_e32 v3, vcc, s1, v1
	v_addc_co_u32_e32 v4, vcc, 0, v2, vcc
	buffer_load_dword v2, off, s[48:51], 0 offset:8 ; 4-byte Folded Reload
	v_and_b32_e32 v0, 28, v10
	s_load_dword s17, s[18:19], 0x0
	s_add_i32 s19, s21, -1
	s_lshl_b64 s[0:1], s[26:27], 2
	s_add_u32 s0, s24, s0
	s_addc_u32 s1, s25, s1
	v_mov_b32_e32 v5, 0
	s_mov_b32 s16, s13
	s_waitcnt lgkmcnt(0)
	s_mov_b32 s18, s17
	s_mov_b64 s[4:5], 0
	s_movk_i32 s24, 0x80
	s_movk_i32 s25, 0x7f
	s_brev_b32 s26, 1
	s_mov_b32 s27, 0xffffff
	v_bfrev_b32_e32 v47, 60
	v_bfrev_b32_e32 v6, 1
	v_mov_b32_e32 v12, 0x7f800001
	v_mov_b32_e32 v50, 7
	;; [unrolled: 1-line block ×16, first 2 shown]
	buffer_store_dword v22, off, s[48:51], 0 offset:252 ; 4-byte Folded Spill
	buffer_store_dword v3, off, s[48:51], 0 offset:220 ; 4-byte Folded Spill
	s_nop 0
	buffer_store_dword v4, off, s[48:51], 0 offset:224 ; 4-byte Folded Spill
	s_waitcnt vmcnt(3)
	v_lshlrev_b32_e32 v1, 5, v2
	v_or3_b32 v42, v1, v0, 3
	v_lshlrev_b32_e32 v0, 4, v22
	v_lshl_or_b32 v0, v2, 7, v0
	v_add_u32_e32 v43, 0x1d0, v0
	v_and_b32_e32 v0, 60, v11
	v_mov_b32_e32 v1, s1
	v_add_co_u32_e32 v9, vcc, s0, v0
	v_addc_co_u32_e32 v10, vcc, 0, v1, vcc
	v_mov_b32_e32 v0, v5
	s_branch .LBB212_366
.LBB212_365:                            ;   in Loop: Header=BB212_366 Depth=1
	s_or_b64 exec, exec, s[0:1]
	s_waitcnt lgkmcnt(0)
	v_mul_f32_e32 v7, v1, v7
	v_fmac_f32_e32 v7, v2, v25
	v_fmac_f32_e32 v7, v3, v27
	v_fmac_f32_e32 v7, v4, v26
	v_add_f32_e32 v30, v30, v7
	v_mul_f32_e32 v7, v1, v46
	v_fmac_f32_e32 v7, v2, v51
	v_fmac_f32_e32 v7, v3, v53
	v_fmac_f32_e32 v7, v4, v52
	v_add_f32_e32 v31, v31, v7
	;; [unrolled: 5-line block ×4, first 2 shown]
	v_mul_f32_e32 v7, v1, v57
	v_fmac_f32_e32 v7, v2, v54
	v_fmac_f32_e32 v7, v3, v56
	;; [unrolled: 1-line block ×3, first 2 shown]
	v_mul_f32_e32 v16, v1, v45
	v_add_f32_e32 v34, v34, v7
	buffer_load_dword v7, off, s[48:51], 0 offset:212 ; 4-byte Folded Reload
	v_fmac_f32_e32 v16, v2, v8
	buffer_load_dword v8, off, s[48:51], 0 offset:188 ; 4-byte Folded Reload
	v_fmac_f32_e32 v16, v3, v23
	v_fmac_f32_e32 v16, v4, v22
	v_add_f32_e32 v29, v29, v16
	v_add_u32_e32 v42, 64, v42
	v_add_u32_e32 v43, 0x100, v43
	s_waitcnt vmcnt(1)
	v_mul_f32_e32 v7, v1, v7
	s_waitcnt vmcnt(0)
	v_fmac_f32_e32 v7, v2, v8
	buffer_load_dword v8, off, s[48:51], 0 offset:204 ; 4-byte Folded Reload
	s_waitcnt vmcnt(0)
	v_fmac_f32_e32 v7, v3, v8
	buffer_load_dword v8, off, s[48:51], 0 offset:196 ; 4-byte Folded Reload
	s_waitcnt vmcnt(0)
	v_fmac_f32_e32 v7, v4, v8
	v_add_f32_e32 v35, v35, v7
	buffer_load_dword v7, off, s[48:51], 0 offset:180 ; 4-byte Folded Reload
	buffer_load_dword v8, off, s[48:51], 0 offset:156 ; 4-byte Folded Reload
	s_waitcnt vmcnt(1)
	v_mul_f32_e32 v7, v1, v7
	s_waitcnt vmcnt(0)
	v_fmac_f32_e32 v7, v2, v8
	buffer_load_dword v8, off, s[48:51], 0 offset:172 ; 4-byte Folded Reload
	s_waitcnt vmcnt(0)
	v_fmac_f32_e32 v7, v3, v8
	buffer_load_dword v8, off, s[48:51], 0 offset:164 ; 4-byte Folded Reload
	s_waitcnt vmcnt(0)
	v_fmac_f32_e32 v7, v4, v8
	v_add_f32_e32 v36, v36, v7
	buffer_load_dword v7, off, s[48:51], 0 offset:148 ; 4-byte Folded Reload
	buffer_load_dword v8, off, s[48:51], 0 offset:124 ; 4-byte Folded Reload
	;; [unrolled: 13-line block ×6, first 2 shown]
	s_waitcnt vmcnt(1)
	v_mul_f32_e32 v7, v1, v7
	v_mul_f32_e32 v1, v1, v15
	v_fmac_f32_e32 v1, v2, v11
	v_fmac_f32_e32 v1, v3, v14
	;; [unrolled: 1-line block ×4, first 2 shown]
	s_waitcnt vmcnt(0)
	v_fmac_f32_e32 v7, v3, v8
	buffer_load_dword v8, off, s[48:51], 0  ; 4-byte Folded Reload
	v_add_f32_e32 v0, v0, v1
	buffer_load_dword v1, off, s[48:51], 0 offset:8 ; 4-byte Folded Reload
	s_waitcnt vmcnt(1)
	v_fmac_f32_e32 v7, v4, v8
	v_add_f32_e32 v40, v40, v7
	s_waitcnt vmcnt(0)
	v_add_u32_e32 v1, 2, v1
	v_cmp_le_i32_e32 vcc, s21, v1
	s_or_b64 s[4:5], vcc, s[4:5]
	v_add_co_u32_e32 v9, vcc, 8, v9
	v_addc_co_u32_e32 v10, vcc, 0, v10, vcc
	buffer_store_dword v1, off, s[48:51], 0 offset:8 ; 4-byte Folded Spill
	s_andn2_b64 exec, exec, s[4:5]
	s_cbranch_execz .LBB212_730
.LBB212_366:                            ; =>This Inner Loop Header: Depth=1
	global_load_dword v1, v[9:10], off
	buffer_load_dword v2, off, s[48:51], 0 offset:220 ; 4-byte Folded Reload
	buffer_load_dword v3, off, s[48:51], 0 offset:224 ; 4-byte Folded Reload
	v_mov_b32_e32 v18, 0
	v_mov_b32_e32 v16, 0
	;; [unrolled: 1-line block ×4, first 2 shown]
	s_waitcnt vmcnt(0)
	v_mad_i64_i32 v[13:14], s[0:1], v1, s16, v[2:3]
	ds_read_b128 v[1:4], v43
	global_load_dword v15, v[13:14], off
	s_waitcnt vmcnt(0)
	v_cmp_ne_u16_sdwa s[6:7], v15, v5 src0_sel:BYTE_0 src1_sel:DWORD
	s_and_saveexec_b64 s[0:1], s[6:7]
	s_cbranch_execz .LBB212_372
; %bb.367:                              ;   in Loop: Header=BB212_366 Depth=1
	v_bfrev_b32_e32 v16, 1
	v_mov_b32_e32 v17, 0
	v_cmp_ne_u16_sdwa s[12:13], v15, s24 src0_sel:BYTE_0 src1_sel:DWORD
	s_and_saveexec_b64 s[6:7], s[12:13]
	s_cbranch_execz .LBB212_371
; %bb.368:                              ;   in Loop: Header=BB212_366 Depth=1
	v_and_b32_e32 v7, 0x7f, v15
	v_mov_b32_e32 v16, 0x7f800001
	v_mov_b32_e32 v17, 0
	v_cmp_ne_u32_e32 vcc, s25, v7
	s_and_saveexec_b64 s[12:13], vcc
	s_cbranch_execz .LBB212_370
; %bb.369:                              ;   in Loop: Header=BB212_366 Depth=1
	v_and_b32_e32 v8, 7, v15
	v_ffbh_u32_e32 v16, v8
	v_min_u32_e32 v20, 32, v16
	v_subrev_u32_e32 v16, 28, v20
	v_lshlrev_b64 v[16:17], v16, v[15:16]
	v_lshrrev_b32_e32 v11, 3, v7
	v_sub_u32_e32 v17, 29, v20
	v_and_b32_e32 v16, 7, v16
	v_cmp_gt_u32_e32 vcc, 8, v7
	v_cndmask_b32_e32 v7, v11, v17, vcc
	v_cndmask_b32_e32 v8, v8, v16, vcc
	v_lshlrev_b32_e32 v8, 20, v8
	v_and_b32_sdwa v11, sext(v15), s26 dst_sel:DWORD dst_unused:UNUSED_PAD src0_sel:BYTE_0 src1_sel:DWORD
	v_lshl_add_u32 v7, v7, 23, v47
	v_or3_b32 v16, v11, v7, v8
	v_mov_b32_e32 v17, v5
.LBB212_370:                            ;   in Loop: Header=BB212_366 Depth=1
	s_or_b64 exec, exec, s[12:13]
.LBB212_371:                            ;   in Loop: Header=BB212_366 Depth=1
	s_or_b64 exec, exec, s[6:7]
.LBB212_372:                            ;   in Loop: Header=BB212_366 Depth=1
	s_or_b64 exec, exec, s[0:1]
	v_cmp_ne_u16_sdwa s[6:7], v15, v5 src0_sel:BYTE_1 src1_sel:DWORD
	s_and_saveexec_b64 s[0:1], s[6:7]
	s_cbranch_execz .LBB212_378
; %bb.373:                              ;   in Loop: Header=BB212_366 Depth=1
	v_mov_b32_e32 v19, v6
	v_cmp_ne_u16_sdwa s[12:13], v15, s24 src0_sel:BYTE_1 src1_sel:DWORD
	v_mov_b32_e32 v18, v5
	s_and_saveexec_b64 s[6:7], s[12:13]
	s_cbranch_execz .LBB212_377
; %bb.374:                              ;   in Loop: Header=BB212_366 Depth=1
	v_and_b32_sdwa v7, v15, s25 dst_sel:DWORD dst_unused:UNUSED_PAD src0_sel:BYTE_1 src1_sel:DWORD
	v_mov_b32_e32 v11, v5
	v_mov_b32_e32 v19, v12
	v_cmp_ne_u32_e32 vcc, s25, v7
	v_mov_b32_e32 v18, v11
	s_and_saveexec_b64 s[12:13], vcc
	s_cbranch_execz .LBB212_376
; %bb.375:                              ;   in Loop: Header=BB212_366 Depth=1
	v_and_b32_sdwa v18, v15, v50 dst_sel:DWORD dst_unused:UNUSED_PAD src0_sel:BYTE_1 src1_sel:DWORD
	v_ffbh_u32_e32 v11, v18
	v_min_u32_e32 v11, 32, v11
	v_mov_b32_e32 v19, v5
	v_subrev_u32_e32 v20, 28, v11
	v_lshlrev_b64 v[19:20], v20, v[18:19]
	v_lshrrev_b32_e32 v8, 3, v7
	v_sub_u32_e32 v11, 29, v11
	v_cmp_gt_u32_e32 vcc, 8, v7
	v_and_b32_e32 v19, 7, v19
	v_cndmask_b32_e32 v7, v8, v11, vcc
	v_cndmask_b32_e32 v8, v18, v19, vcc
	v_lshlrev_b32_e32 v11, 16, v15
	v_lshl_add_u32 v7, v7, 23, v47
	v_and_or_b32 v7, v11, s26, v7
	v_lshlrev_b32_e32 v8, 20, v8
	v_or_b32_e32 v19, v7, v8
	v_mov_b32_e32 v18, v5
.LBB212_376:                            ;   in Loop: Header=BB212_366 Depth=1
	s_or_b64 exec, exec, s[12:13]
.LBB212_377:                            ;   in Loop: Header=BB212_366 Depth=1
	s_or_b64 exec, exec, s[6:7]
.LBB212_378:                            ;   in Loop: Header=BB212_366 Depth=1
	s_or_b64 exec, exec, s[0:1]
	v_lshrrev_b32_e32 v11, 16, v15
	v_mov_b32_e32 v22, 0
	v_mov_b32_e32 v20, 0
	;; [unrolled: 1-line block ×4, first 2 shown]
	v_cmp_ne_u16_sdwa s[6:7], v11, v5 src0_sel:BYTE_0 src1_sel:DWORD
	s_and_saveexec_b64 s[0:1], s[6:7]
	s_cbranch_execz .LBB212_384
; %bb.379:                              ;   in Loop: Header=BB212_366 Depth=1
	v_bfrev_b32_e32 v20, 1
	v_mov_b32_e32 v21, 0
	v_cmp_ne_u16_sdwa s[12:13], v11, s24 src0_sel:BYTE_0 src1_sel:DWORD
	s_and_saveexec_b64 s[6:7], s[12:13]
	s_cbranch_execz .LBB212_383
; %bb.380:                              ;   in Loop: Header=BB212_366 Depth=1
	v_bfe_u32 v7, v15, 16, 7
	v_mov_b32_e32 v20, 0x7f800001
	v_mov_b32_e32 v21, 0
	v_cmp_ne_u32_e32 vcc, s25, v7
	s_and_saveexec_b64 s[12:13], vcc
	s_cbranch_execz .LBB212_382
; %bb.381:                              ;   in Loop: Header=BB212_366 Depth=1
	v_and_b32_e32 v8, 7, v11
	v_ffbh_u32_e32 v20, v8
	v_min_u32_e32 v25, 32, v20
	v_subrev_u32_e32 v20, 28, v25
	v_lshlrev_b64 v[20:21], v20, v[11:12]
	v_lshrrev_b32_e32 v24, 3, v7
	v_sub_u32_e32 v21, 29, v25
	v_and_b32_e32 v20, 7, v20
	v_cmp_gt_u32_e32 vcc, 8, v7
	v_cndmask_b32_e32 v7, v24, v21, vcc
	v_cndmask_b32_e32 v8, v8, v20, vcc
	v_lshlrev_b32_e32 v8, 20, v8
	v_and_b32_sdwa v11, sext(v11), s26 dst_sel:DWORD dst_unused:UNUSED_PAD src0_sel:BYTE_0 src1_sel:DWORD
	v_lshl_add_u32 v7, v7, 23, v47
	v_or3_b32 v20, v11, v7, v8
	v_mov_b32_e32 v21, v5
.LBB212_382:                            ;   in Loop: Header=BB212_366 Depth=1
	s_or_b64 exec, exec, s[12:13]
.LBB212_383:                            ;   in Loop: Header=BB212_366 Depth=1
	s_or_b64 exec, exec, s[6:7]
.LBB212_384:                            ;   in Loop: Header=BB212_366 Depth=1
	s_or_b64 exec, exec, s[0:1]
	v_cmp_lt_u32_e32 vcc, s27, v15
	s_and_saveexec_b64 s[0:1], vcc
	s_cbranch_execz .LBB212_390
; %bb.385:                              ;   in Loop: Header=BB212_366 Depth=1
	v_mov_b32_e32 v23, v6
	v_cmp_ne_u32_sdwa s[12:13], v15, s24 src0_sel:BYTE_3 src1_sel:DWORD
	v_mov_b32_e32 v22, v5
	s_and_saveexec_b64 s[6:7], s[12:13]
	s_cbranch_execz .LBB212_389
; %bb.386:                              ;   in Loop: Header=BB212_366 Depth=1
	v_bfe_u32 v7, v15, 24, 7
	v_mov_b32_e32 v11, v5
	v_mov_b32_e32 v23, v12
	v_cmp_ne_u32_e32 vcc, s25, v7
	v_mov_b32_e32 v22, v11
	s_and_saveexec_b64 s[12:13], vcc
	s_cbranch_execz .LBB212_388
; %bb.387:                              ;   in Loop: Header=BB212_366 Depth=1
	v_and_b32_sdwa v22, v15, v50 dst_sel:DWORD dst_unused:UNUSED_PAD src0_sel:BYTE_3 src1_sel:DWORD
	v_ffbh_u32_e32 v11, v22
	v_min_u32_e32 v11, 32, v11
	v_mov_b32_e32 v23, v5
	v_subrev_u32_e32 v24, 28, v11
	v_lshlrev_b64 v[23:24], v24, v[22:23]
	v_lshrrev_b32_e32 v8, 3, v7
	v_sub_u32_e32 v11, 29, v11
	v_cmp_gt_u32_e32 vcc, 8, v7
	v_and_b32_e32 v23, 7, v23
	v_cndmask_b32_e32 v7, v8, v11, vcc
	v_cndmask_b32_e32 v8, v22, v23, vcc
	v_lshlrev_b32_sdwa v11, v49, v15 dst_sel:DWORD dst_unused:UNUSED_PAD src0_sel:DWORD src1_sel:BYTE_3
	v_lshl_add_u32 v7, v7, 23, v47
	v_and_or_b32 v7, v11, s26, v7
	v_lshlrev_b32_e32 v8, 20, v8
	v_or_b32_e32 v23, v7, v8
	v_mov_b32_e32 v22, v5
.LBB212_388:                            ;   in Loop: Header=BB212_366 Depth=1
	s_or_b64 exec, exec, s[12:13]
.LBB212_389:                            ;   in Loop: Header=BB212_366 Depth=1
	s_or_b64 exec, exec, s[6:7]
.LBB212_390:                            ;   in Loop: Header=BB212_366 Depth=1
	s_or_b64 exec, exec, s[0:1]
	buffer_load_dword v7, off, s[48:51], 0 offset:8 ; 4-byte Folded Reload
	v_or_b32_e32 v8, v18, v16
	s_waitcnt vmcnt(0)
	v_cmp_eq_u32_e32 vcc, s19, v7
	v_or_b32_e32 v7, v19, v17
	v_mul_f32_e32 v44, s18, v7
	v_mul_f32_e32 v7, s17, v8
	buffer_store_dword v7, off, s[48:51], 0 offset:20 ; 4-byte Folded Spill
	v_or_b32_e32 v7, v23, v21
	v_or_b32_e32 v8, v22, v20
	v_mul_f32_e32 v8, s17, v8
	v_mul_f32_e32 v7, s18, v7
	buffer_store_dword v8, off, s[48:51], 0 offset:12 ; 4-byte Folded Spill
	buffer_store_dword v7, off, s[48:51], 0 ; 4-byte Folded Spill
	s_and_saveexec_b64 s[6:7], vcc
	s_cbranch_execz .LBB212_392
; %bb.391:                              ;   in Loop: Header=BB212_366 Depth=1
	v_add_u32_e32 v7, -3, v42
	v_cmp_gt_i32_e64 s[0:1], s30, v7
	buffer_load_dword v7, off, s[48:51], 0 offset:20 ; 4-byte Folded Reload
	s_waitcnt vmcnt(0)
	v_cndmask_b32_e64 v7, 0, v7, s[0:1]
	buffer_store_dword v7, off, s[48:51], 0 offset:20 ; 4-byte Folded Spill
	v_add_u32_e32 v7, -2, v42
	v_cmp_gt_i32_e64 s[0:1], s30, v7
	v_add_u32_e32 v7, -1, v42
	v_cndmask_b32_e64 v44, 0, v44, s[0:1]
	v_cmp_gt_i32_e64 s[0:1], s30, v7
	buffer_load_dword v7, off, s[48:51], 0 offset:12 ; 4-byte Folded Reload
	s_waitcnt vmcnt(0)
	v_cndmask_b32_e64 v7, 0, v7, s[0:1]
	buffer_store_dword v7, off, s[48:51], 0 offset:12 ; 4-byte Folded Spill
	buffer_load_dword v7, off, s[48:51], 0  ; 4-byte Folded Reload
	v_cmp_gt_i32_e64 s[0:1], s30, v42
	s_waitcnt vmcnt(0)
	v_cndmask_b32_e64 v7, 0, v7, s[0:1]
	buffer_store_dword v7, off, s[48:51], 0 ; 4-byte Folded Spill
.LBB212_392:                            ;   in Loop: Header=BB212_366 Depth=1
	s_or_b64 exec, exec, s[6:7]
	global_load_dword v15, v[13:14], off offset:256
	v_mov_b32_e32 v18, 0
	v_mov_b32_e32 v16, 0
	;; [unrolled: 1-line block ×4, first 2 shown]
	s_waitcnt vmcnt(0)
	v_cmp_ne_u16_sdwa s[0:1], v15, v5 src0_sel:BYTE_0 src1_sel:DWORD
	s_and_saveexec_b64 s[6:7], s[0:1]
	s_cbranch_execz .LBB212_398
; %bb.393:                              ;   in Loop: Header=BB212_366 Depth=1
	v_bfrev_b32_e32 v16, 1
	v_mov_b32_e32 v17, 0
	v_cmp_ne_u16_sdwa s[0:1], v15, s24 src0_sel:BYTE_0 src1_sel:DWORD
	s_and_saveexec_b64 s[12:13], s[0:1]
	s_cbranch_execz .LBB212_397
; %bb.394:                              ;   in Loop: Header=BB212_366 Depth=1
	v_and_b32_e32 v7, 0x7f, v15
	v_mov_b32_e32 v16, 0x7f800001
	v_mov_b32_e32 v17, 0
	v_cmp_ne_u32_e64 s[0:1], s25, v7
	s_and_saveexec_b64 s[14:15], s[0:1]
	s_cbranch_execz .LBB212_396
; %bb.395:                              ;   in Loop: Header=BB212_366 Depth=1
	v_and_b32_e32 v8, 7, v15
	v_ffbh_u32_e32 v16, v8
	v_min_u32_e32 v20, 32, v16
	v_subrev_u32_e32 v16, 28, v20
	v_lshlrev_b64 v[16:17], v16, v[15:16]
	v_lshrrev_b32_e32 v11, 3, v7
	v_sub_u32_e32 v17, 29, v20
	v_and_b32_e32 v16, 7, v16
	v_cmp_gt_u32_e64 s[0:1], 8, v7
	v_cndmask_b32_e64 v7, v11, v17, s[0:1]
	v_cndmask_b32_e64 v8, v8, v16, s[0:1]
	v_lshlrev_b32_e32 v8, 20, v8
	v_and_b32_sdwa v11, sext(v15), s26 dst_sel:DWORD dst_unused:UNUSED_PAD src0_sel:BYTE_0 src1_sel:DWORD
	v_lshl_add_u32 v7, v7, 23, v47
	v_or3_b32 v16, v11, v7, v8
	v_mov_b32_e32 v17, v5
.LBB212_396:                            ;   in Loop: Header=BB212_366 Depth=1
	s_or_b64 exec, exec, s[14:15]
.LBB212_397:                            ;   in Loop: Header=BB212_366 Depth=1
	s_or_b64 exec, exec, s[12:13]
.LBB212_398:                            ;   in Loop: Header=BB212_366 Depth=1
	s_or_b64 exec, exec, s[6:7]
	v_cmp_ne_u16_sdwa s[0:1], v15, v5 src0_sel:BYTE_1 src1_sel:DWORD
	s_and_saveexec_b64 s[6:7], s[0:1]
	s_cbranch_execz .LBB212_404
; %bb.399:                              ;   in Loop: Header=BB212_366 Depth=1
	v_mov_b32_e32 v19, v6
	v_cmp_ne_u16_sdwa s[0:1], v15, s24 src0_sel:BYTE_1 src1_sel:DWORD
	v_mov_b32_e32 v18, v5
	s_and_saveexec_b64 s[12:13], s[0:1]
	s_cbranch_execz .LBB212_403
; %bb.400:                              ;   in Loop: Header=BB212_366 Depth=1
	v_and_b32_sdwa v7, v15, s25 dst_sel:DWORD dst_unused:UNUSED_PAD src0_sel:BYTE_1 src1_sel:DWORD
	v_mov_b32_e32 v11, v5
	v_mov_b32_e32 v19, v12
	v_cmp_ne_u32_e64 s[0:1], s25, v7
	v_mov_b32_e32 v18, v11
	s_and_saveexec_b64 s[14:15], s[0:1]
	s_cbranch_execz .LBB212_402
; %bb.401:                              ;   in Loop: Header=BB212_366 Depth=1
	v_and_b32_sdwa v18, v15, v50 dst_sel:DWORD dst_unused:UNUSED_PAD src0_sel:BYTE_1 src1_sel:DWORD
	v_ffbh_u32_e32 v11, v18
	v_min_u32_e32 v11, 32, v11
	v_mov_b32_e32 v19, v5
	v_subrev_u32_e32 v20, 28, v11
	v_lshlrev_b64 v[19:20], v20, v[18:19]
	v_lshrrev_b32_e32 v8, 3, v7
	v_sub_u32_e32 v11, 29, v11
	v_cmp_gt_u32_e64 s[0:1], 8, v7
	v_and_b32_e32 v19, 7, v19
	v_cndmask_b32_e64 v7, v8, v11, s[0:1]
	v_cndmask_b32_e64 v8, v18, v19, s[0:1]
	v_lshlrev_b32_e32 v11, 16, v15
	v_lshl_add_u32 v7, v7, 23, v47
	v_and_or_b32 v7, v11, s26, v7
	v_lshlrev_b32_e32 v8, 20, v8
	v_or_b32_e32 v19, v7, v8
	v_mov_b32_e32 v18, v5
.LBB212_402:                            ;   in Loop: Header=BB212_366 Depth=1
	s_or_b64 exec, exec, s[14:15]
.LBB212_403:                            ;   in Loop: Header=BB212_366 Depth=1
	s_or_b64 exec, exec, s[12:13]
.LBB212_404:                            ;   in Loop: Header=BB212_366 Depth=1
	s_or_b64 exec, exec, s[6:7]
	v_lshrrev_b32_e32 v11, 16, v15
	v_mov_b32_e32 v22, 0
	v_mov_b32_e32 v20, 0
	;; [unrolled: 1-line block ×4, first 2 shown]
	v_cmp_ne_u16_sdwa s[0:1], v11, v5 src0_sel:BYTE_0 src1_sel:DWORD
	s_and_saveexec_b64 s[6:7], s[0:1]
	s_cbranch_execz .LBB212_410
; %bb.405:                              ;   in Loop: Header=BB212_366 Depth=1
	v_bfrev_b32_e32 v20, 1
	v_mov_b32_e32 v21, 0
	v_cmp_ne_u16_sdwa s[0:1], v11, s24 src0_sel:BYTE_0 src1_sel:DWORD
	s_and_saveexec_b64 s[12:13], s[0:1]
	s_cbranch_execz .LBB212_409
; %bb.406:                              ;   in Loop: Header=BB212_366 Depth=1
	v_bfe_u32 v7, v15, 16, 7
	v_mov_b32_e32 v20, 0x7f800001
	v_mov_b32_e32 v21, 0
	v_cmp_ne_u32_e64 s[0:1], s25, v7
	s_and_saveexec_b64 s[14:15], s[0:1]
	s_cbranch_execz .LBB212_408
; %bb.407:                              ;   in Loop: Header=BB212_366 Depth=1
	v_and_b32_e32 v8, 7, v11
	v_ffbh_u32_e32 v20, v8
	v_min_u32_e32 v25, 32, v20
	v_subrev_u32_e32 v20, 28, v25
	v_lshlrev_b64 v[20:21], v20, v[11:12]
	v_lshrrev_b32_e32 v24, 3, v7
	v_sub_u32_e32 v21, 29, v25
	v_and_b32_e32 v20, 7, v20
	v_cmp_gt_u32_e64 s[0:1], 8, v7
	v_cndmask_b32_e64 v7, v24, v21, s[0:1]
	v_cndmask_b32_e64 v8, v8, v20, s[0:1]
	v_lshlrev_b32_e32 v8, 20, v8
	v_and_b32_sdwa v11, sext(v11), s26 dst_sel:DWORD dst_unused:UNUSED_PAD src0_sel:BYTE_0 src1_sel:DWORD
	v_lshl_add_u32 v7, v7, 23, v47
	v_or3_b32 v20, v11, v7, v8
	v_mov_b32_e32 v21, v5
.LBB212_408:                            ;   in Loop: Header=BB212_366 Depth=1
	s_or_b64 exec, exec, s[14:15]
.LBB212_409:                            ;   in Loop: Header=BB212_366 Depth=1
	s_or_b64 exec, exec, s[12:13]
.LBB212_410:                            ;   in Loop: Header=BB212_366 Depth=1
	s_or_b64 exec, exec, s[6:7]
	v_cmp_lt_u32_e64 s[0:1], s27, v15
	s_and_saveexec_b64 s[6:7], s[0:1]
	s_cbranch_execz .LBB212_416
; %bb.411:                              ;   in Loop: Header=BB212_366 Depth=1
	v_mov_b32_e32 v23, v6
	v_cmp_ne_u32_sdwa s[0:1], v15, s24 src0_sel:BYTE_3 src1_sel:DWORD
	v_mov_b32_e32 v22, v5
	s_and_saveexec_b64 s[12:13], s[0:1]
	s_cbranch_execz .LBB212_415
; %bb.412:                              ;   in Loop: Header=BB212_366 Depth=1
	v_bfe_u32 v7, v15, 24, 7
	v_mov_b32_e32 v11, v5
	v_mov_b32_e32 v23, v12
	v_cmp_ne_u32_e64 s[0:1], s25, v7
	v_mov_b32_e32 v22, v11
	s_and_saveexec_b64 s[14:15], s[0:1]
	s_cbranch_execz .LBB212_414
; %bb.413:                              ;   in Loop: Header=BB212_366 Depth=1
	v_and_b32_sdwa v22, v15, v50 dst_sel:DWORD dst_unused:UNUSED_PAD src0_sel:BYTE_3 src1_sel:DWORD
	v_ffbh_u32_e32 v11, v22
	v_min_u32_e32 v11, 32, v11
	v_mov_b32_e32 v23, v5
	v_subrev_u32_e32 v24, 28, v11
	v_lshlrev_b64 v[23:24], v24, v[22:23]
	v_lshrrev_b32_e32 v8, 3, v7
	v_sub_u32_e32 v11, 29, v11
	v_cmp_gt_u32_e64 s[0:1], 8, v7
	v_and_b32_e32 v23, 7, v23
	v_cndmask_b32_e64 v7, v8, v11, s[0:1]
	v_cndmask_b32_e64 v8, v22, v23, s[0:1]
	v_lshlrev_b32_sdwa v11, v49, v15 dst_sel:DWORD dst_unused:UNUSED_PAD src0_sel:DWORD src1_sel:BYTE_3
	v_lshl_add_u32 v7, v7, 23, v47
	v_and_or_b32 v7, v11, s26, v7
	v_lshlrev_b32_e32 v8, 20, v8
	v_or_b32_e32 v23, v7, v8
	v_mov_b32_e32 v22, v5
.LBB212_414:                            ;   in Loop: Header=BB212_366 Depth=1
	s_or_b64 exec, exec, s[14:15]
.LBB212_415:                            ;   in Loop: Header=BB212_366 Depth=1
	s_or_b64 exec, exec, s[12:13]
.LBB212_416:                            ;   in Loop: Header=BB212_366 Depth=1
	s_or_b64 exec, exec, s[6:7]
	v_or_b32_e32 v7, v19, v17
	v_or_b32_e32 v8, v18, v16
	v_mul_f32_e32 v7, s18, v7
	buffer_store_dword v7, off, s[48:51], 0 offset:28 ; 4-byte Folded Spill
	v_mul_f32_e32 v7, s17, v8
	buffer_store_dword v7, off, s[48:51], 0 offset:52 ; 4-byte Folded Spill
	v_or_b32_e32 v7, v23, v21
	v_or_b32_e32 v8, v22, v20
	v_mul_f32_e32 v8, s17, v8
	v_mul_f32_e32 v7, s18, v7
	buffer_store_dword v8, off, s[48:51], 0 offset:44 ; 4-byte Folded Spill
	buffer_store_dword v7, off, s[48:51], 0 offset:36 ; 4-byte Folded Spill
	s_and_saveexec_b64 s[6:7], vcc
	s_cbranch_execz .LBB212_418
; %bb.417:                              ;   in Loop: Header=BB212_366 Depth=1
	v_add_u32_e32 v7, -3, v42
	v_cmp_gt_i32_e64 s[0:1], s30, v7
	buffer_load_dword v7, off, s[48:51], 0 offset:52 ; 4-byte Folded Reload
	s_waitcnt vmcnt(0)
	v_cndmask_b32_e64 v7, 0, v7, s[0:1]
	buffer_store_dword v7, off, s[48:51], 0 offset:52 ; 4-byte Folded Spill
	v_add_u32_e32 v7, -2, v42
	v_cmp_gt_i32_e64 s[0:1], s30, v7
	buffer_load_dword v7, off, s[48:51], 0 offset:28 ; 4-byte Folded Reload
	s_waitcnt vmcnt(0)
	v_cndmask_b32_e64 v7, 0, v7, s[0:1]
	buffer_store_dword v7, off, s[48:51], 0 offset:28 ; 4-byte Folded Spill
	;; [unrolled: 6-line block ×3, first 2 shown]
	buffer_load_dword v7, off, s[48:51], 0 offset:36 ; 4-byte Folded Reload
	v_cmp_gt_i32_e64 s[0:1], s30, v42
	s_waitcnt vmcnt(0)
	v_cndmask_b32_e64 v7, 0, v7, s[0:1]
	buffer_store_dword v7, off, s[48:51], 0 offset:36 ; 4-byte Folded Spill
.LBB212_418:                            ;   in Loop: Header=BB212_366 Depth=1
	s_or_b64 exec, exec, s[6:7]
	global_load_dword v15, v[13:14], off offset:512
	v_mov_b32_e32 v18, 0
	v_mov_b32_e32 v16, 0
	;; [unrolled: 1-line block ×4, first 2 shown]
	s_waitcnt vmcnt(0)
	v_cmp_ne_u16_sdwa s[0:1], v15, v5 src0_sel:BYTE_0 src1_sel:DWORD
	s_and_saveexec_b64 s[6:7], s[0:1]
	s_cbranch_execz .LBB212_424
; %bb.419:                              ;   in Loop: Header=BB212_366 Depth=1
	v_bfrev_b32_e32 v16, 1
	v_mov_b32_e32 v17, 0
	v_cmp_ne_u16_sdwa s[0:1], v15, s24 src0_sel:BYTE_0 src1_sel:DWORD
	s_and_saveexec_b64 s[12:13], s[0:1]
	s_cbranch_execz .LBB212_423
; %bb.420:                              ;   in Loop: Header=BB212_366 Depth=1
	v_and_b32_e32 v7, 0x7f, v15
	v_mov_b32_e32 v16, 0x7f800001
	v_mov_b32_e32 v17, 0
	v_cmp_ne_u32_e64 s[0:1], s25, v7
	s_and_saveexec_b64 s[14:15], s[0:1]
	s_cbranch_execz .LBB212_422
; %bb.421:                              ;   in Loop: Header=BB212_366 Depth=1
	v_and_b32_e32 v8, 7, v15
	v_ffbh_u32_e32 v16, v8
	v_min_u32_e32 v20, 32, v16
	v_subrev_u32_e32 v16, 28, v20
	v_lshlrev_b64 v[16:17], v16, v[15:16]
	v_lshrrev_b32_e32 v11, 3, v7
	v_sub_u32_e32 v17, 29, v20
	v_and_b32_e32 v16, 7, v16
	v_cmp_gt_u32_e64 s[0:1], 8, v7
	v_cndmask_b32_e64 v7, v11, v17, s[0:1]
	v_cndmask_b32_e64 v8, v8, v16, s[0:1]
	v_lshlrev_b32_e32 v8, 20, v8
	v_and_b32_sdwa v11, sext(v15), s26 dst_sel:DWORD dst_unused:UNUSED_PAD src0_sel:BYTE_0 src1_sel:DWORD
	v_lshl_add_u32 v7, v7, 23, v47
	v_or3_b32 v16, v11, v7, v8
	v_mov_b32_e32 v17, v5
.LBB212_422:                            ;   in Loop: Header=BB212_366 Depth=1
	s_or_b64 exec, exec, s[14:15]
.LBB212_423:                            ;   in Loop: Header=BB212_366 Depth=1
	s_or_b64 exec, exec, s[12:13]
.LBB212_424:                            ;   in Loop: Header=BB212_366 Depth=1
	s_or_b64 exec, exec, s[6:7]
	v_cmp_ne_u16_sdwa s[0:1], v15, v5 src0_sel:BYTE_1 src1_sel:DWORD
	s_and_saveexec_b64 s[6:7], s[0:1]
	s_cbranch_execz .LBB212_430
; %bb.425:                              ;   in Loop: Header=BB212_366 Depth=1
	v_mov_b32_e32 v19, v6
	v_cmp_ne_u16_sdwa s[0:1], v15, s24 src0_sel:BYTE_1 src1_sel:DWORD
	v_mov_b32_e32 v18, v5
	s_and_saveexec_b64 s[12:13], s[0:1]
	s_cbranch_execz .LBB212_429
; %bb.426:                              ;   in Loop: Header=BB212_366 Depth=1
	v_and_b32_sdwa v7, v15, s25 dst_sel:DWORD dst_unused:UNUSED_PAD src0_sel:BYTE_1 src1_sel:DWORD
	v_mov_b32_e32 v11, v5
	v_mov_b32_e32 v19, v12
	v_cmp_ne_u32_e64 s[0:1], s25, v7
	v_mov_b32_e32 v18, v11
	s_and_saveexec_b64 s[14:15], s[0:1]
	s_cbranch_execz .LBB212_428
; %bb.427:                              ;   in Loop: Header=BB212_366 Depth=1
	v_and_b32_sdwa v18, v15, v50 dst_sel:DWORD dst_unused:UNUSED_PAD src0_sel:BYTE_1 src1_sel:DWORD
	v_ffbh_u32_e32 v11, v18
	v_min_u32_e32 v11, 32, v11
	v_mov_b32_e32 v19, v5
	v_subrev_u32_e32 v20, 28, v11
	v_lshlrev_b64 v[19:20], v20, v[18:19]
	v_lshrrev_b32_e32 v8, 3, v7
	v_sub_u32_e32 v11, 29, v11
	v_cmp_gt_u32_e64 s[0:1], 8, v7
	v_and_b32_e32 v19, 7, v19
	v_cndmask_b32_e64 v7, v8, v11, s[0:1]
	v_cndmask_b32_e64 v8, v18, v19, s[0:1]
	v_lshlrev_b32_e32 v11, 16, v15
	v_lshl_add_u32 v7, v7, 23, v47
	v_and_or_b32 v7, v11, s26, v7
	v_lshlrev_b32_e32 v8, 20, v8
	v_or_b32_e32 v19, v7, v8
	v_mov_b32_e32 v18, v5
.LBB212_428:                            ;   in Loop: Header=BB212_366 Depth=1
	s_or_b64 exec, exec, s[14:15]
.LBB212_429:                            ;   in Loop: Header=BB212_366 Depth=1
	s_or_b64 exec, exec, s[12:13]
.LBB212_430:                            ;   in Loop: Header=BB212_366 Depth=1
	s_or_b64 exec, exec, s[6:7]
	v_lshrrev_b32_e32 v11, 16, v15
	v_mov_b32_e32 v22, 0
	v_mov_b32_e32 v20, 0
	;; [unrolled: 1-line block ×4, first 2 shown]
	v_cmp_ne_u16_sdwa s[0:1], v11, v5 src0_sel:BYTE_0 src1_sel:DWORD
	s_and_saveexec_b64 s[6:7], s[0:1]
	s_cbranch_execz .LBB212_436
; %bb.431:                              ;   in Loop: Header=BB212_366 Depth=1
	v_bfrev_b32_e32 v20, 1
	v_mov_b32_e32 v21, 0
	v_cmp_ne_u16_sdwa s[0:1], v11, s24 src0_sel:BYTE_0 src1_sel:DWORD
	s_and_saveexec_b64 s[12:13], s[0:1]
	s_cbranch_execz .LBB212_435
; %bb.432:                              ;   in Loop: Header=BB212_366 Depth=1
	v_bfe_u32 v7, v15, 16, 7
	v_mov_b32_e32 v20, 0x7f800001
	v_mov_b32_e32 v21, 0
	v_cmp_ne_u32_e64 s[0:1], s25, v7
	s_and_saveexec_b64 s[14:15], s[0:1]
	s_cbranch_execz .LBB212_434
; %bb.433:                              ;   in Loop: Header=BB212_366 Depth=1
	v_and_b32_e32 v20, 7, v11
	v_lshrrev_b32_e32 v21, 3, v7
	v_cmp_gt_u32_e64 s[0:1], 8, v7
	v_ffbh_u32_e32 v7, v20
	v_min_u32_e32 v24, 32, v7
	v_subrev_u32_e32 v7, 28, v24
	v_lshlrev_b64 v[7:8], v7, v[11:12]
	v_sub_u32_e32 v8, 29, v24
	v_and_b32_e32 v7, 7, v7
	v_cndmask_b32_e64 v8, v21, v8, s[0:1]
	v_cndmask_b32_e64 v7, v20, v7, s[0:1]
	v_lshlrev_b32_e32 v7, 20, v7
	v_and_b32_sdwa v11, sext(v11), s26 dst_sel:DWORD dst_unused:UNUSED_PAD src0_sel:BYTE_0 src1_sel:DWORD
	v_lshl_add_u32 v8, v8, 23, v47
	v_or3_b32 v20, v11, v8, v7
	v_mov_b32_e32 v21, v5
.LBB212_434:                            ;   in Loop: Header=BB212_366 Depth=1
	s_or_b64 exec, exec, s[14:15]
.LBB212_435:                            ;   in Loop: Header=BB212_366 Depth=1
	s_or_b64 exec, exec, s[12:13]
.LBB212_436:                            ;   in Loop: Header=BB212_366 Depth=1
	s_or_b64 exec, exec, s[6:7]
	v_cmp_lt_u32_e64 s[0:1], s27, v15
	s_and_saveexec_b64 s[6:7], s[0:1]
	s_cbranch_execz .LBB212_442
; %bb.437:                              ;   in Loop: Header=BB212_366 Depth=1
	v_mov_b32_e32 v23, v6
	v_cmp_ne_u32_sdwa s[0:1], v15, s24 src0_sel:BYTE_3 src1_sel:DWORD
	v_mov_b32_e32 v22, v5
	s_and_saveexec_b64 s[12:13], s[0:1]
	s_cbranch_execz .LBB212_441
; %bb.438:                              ;   in Loop: Header=BB212_366 Depth=1
	v_bfe_u32 v7, v15, 24, 7
	v_mov_b32_e32 v11, v5
	v_mov_b32_e32 v23, v12
	v_cmp_ne_u32_e64 s[0:1], s25, v7
	v_mov_b32_e32 v22, v11
	s_and_saveexec_b64 s[14:15], s[0:1]
	s_cbranch_execz .LBB212_440
; %bb.439:                              ;   in Loop: Header=BB212_366 Depth=1
	v_and_b32_sdwa v22, v15, v50 dst_sel:DWORD dst_unused:UNUSED_PAD src0_sel:BYTE_3 src1_sel:DWORD
	v_lshrrev_b32_e32 v11, 3, v7
	v_cmp_gt_u32_e64 s[0:1], 8, v7
	v_ffbh_u32_e32 v7, v22
	v_min_u32_e32 v24, 32, v7
	v_mov_b32_e32 v23, v5
	v_subrev_u32_e32 v7, 28, v24
	v_lshlrev_b64 v[7:8], v7, v[22:23]
	v_sub_u32_e32 v8, 29, v24
	v_and_b32_e32 v7, 7, v7
	v_cndmask_b32_e64 v8, v11, v8, s[0:1]
	v_cndmask_b32_e64 v7, v22, v7, s[0:1]
	v_lshlrev_b32_sdwa v11, v49, v15 dst_sel:DWORD dst_unused:UNUSED_PAD src0_sel:DWORD src1_sel:BYTE_3
	v_lshl_add_u32 v8, v8, 23, v47
	v_and_or_b32 v8, v11, s26, v8
	v_lshlrev_b32_e32 v7, 20, v7
	v_or_b32_e32 v23, v8, v7
	v_mov_b32_e32 v22, v5
.LBB212_440:                            ;   in Loop: Header=BB212_366 Depth=1
	s_or_b64 exec, exec, s[14:15]
.LBB212_441:                            ;   in Loop: Header=BB212_366 Depth=1
	s_or_b64 exec, exec, s[12:13]
.LBB212_442:                            ;   in Loop: Header=BB212_366 Depth=1
	s_or_b64 exec, exec, s[6:7]
	v_or_b32_e32 v7, v19, v17
	v_or_b32_e32 v8, v18, v16
	v_mul_f32_e32 v7, s18, v7
	buffer_store_dword v7, off, s[48:51], 0 offset:60 ; 4-byte Folded Spill
	v_mul_f32_e32 v7, s17, v8
	buffer_store_dword v7, off, s[48:51], 0 offset:84 ; 4-byte Folded Spill
	v_or_b32_e32 v7, v23, v21
	v_or_b32_e32 v8, v22, v20
	v_mul_f32_e32 v8, s17, v8
	v_mul_f32_e32 v7, s18, v7
	buffer_store_dword v8, off, s[48:51], 0 offset:76 ; 4-byte Folded Spill
	buffer_store_dword v7, off, s[48:51], 0 offset:68 ; 4-byte Folded Spill
	s_and_saveexec_b64 s[6:7], vcc
	s_cbranch_execz .LBB212_444
; %bb.443:                              ;   in Loop: Header=BB212_366 Depth=1
	v_add_u32_e32 v7, -3, v42
	v_cmp_gt_i32_e64 s[0:1], s30, v7
	buffer_load_dword v7, off, s[48:51], 0 offset:84 ; 4-byte Folded Reload
	s_waitcnt vmcnt(0)
	v_cndmask_b32_e64 v7, 0, v7, s[0:1]
	buffer_store_dword v7, off, s[48:51], 0 offset:84 ; 4-byte Folded Spill
	v_add_u32_e32 v7, -2, v42
	v_cmp_gt_i32_e64 s[0:1], s30, v7
	buffer_load_dword v7, off, s[48:51], 0 offset:60 ; 4-byte Folded Reload
	s_waitcnt vmcnt(0)
	v_cndmask_b32_e64 v7, 0, v7, s[0:1]
	buffer_store_dword v7, off, s[48:51], 0 offset:60 ; 4-byte Folded Spill
	;; [unrolled: 6-line block ×3, first 2 shown]
	buffer_load_dword v7, off, s[48:51], 0 offset:68 ; 4-byte Folded Reload
	v_cmp_gt_i32_e64 s[0:1], s30, v42
	s_waitcnt vmcnt(0)
	v_cndmask_b32_e64 v7, 0, v7, s[0:1]
	buffer_store_dword v7, off, s[48:51], 0 offset:68 ; 4-byte Folded Spill
.LBB212_444:                            ;   in Loop: Header=BB212_366 Depth=1
	s_or_b64 exec, exec, s[6:7]
	global_load_dword v15, v[13:14], off offset:768
	v_mov_b32_e32 v18, 0
	v_mov_b32_e32 v16, 0
	;; [unrolled: 1-line block ×4, first 2 shown]
	s_waitcnt vmcnt(0)
	v_cmp_ne_u16_sdwa s[0:1], v15, v5 src0_sel:BYTE_0 src1_sel:DWORD
	s_and_saveexec_b64 s[6:7], s[0:1]
	s_cbranch_execz .LBB212_450
; %bb.445:                              ;   in Loop: Header=BB212_366 Depth=1
	v_bfrev_b32_e32 v16, 1
	v_mov_b32_e32 v17, 0
	v_cmp_ne_u16_sdwa s[0:1], v15, s24 src0_sel:BYTE_0 src1_sel:DWORD
	s_and_saveexec_b64 s[12:13], s[0:1]
	s_cbranch_execz .LBB212_449
; %bb.446:                              ;   in Loop: Header=BB212_366 Depth=1
	v_and_b32_e32 v7, 0x7f, v15
	v_mov_b32_e32 v16, 0x7f800001
	v_mov_b32_e32 v17, 0
	v_cmp_ne_u32_e64 s[0:1], s25, v7
	s_and_saveexec_b64 s[14:15], s[0:1]
	s_cbranch_execz .LBB212_448
; %bb.447:                              ;   in Loop: Header=BB212_366 Depth=1
	v_and_b32_e32 v8, 7, v15
	v_ffbh_u32_e32 v16, v8
	v_min_u32_e32 v20, 32, v16
	v_subrev_u32_e32 v16, 28, v20
	v_lshlrev_b64 v[16:17], v16, v[15:16]
	v_lshrrev_b32_e32 v11, 3, v7
	v_sub_u32_e32 v17, 29, v20
	v_and_b32_e32 v16, 7, v16
	v_cmp_gt_u32_e64 s[0:1], 8, v7
	v_cndmask_b32_e64 v7, v11, v17, s[0:1]
	v_cndmask_b32_e64 v8, v8, v16, s[0:1]
	v_lshlrev_b32_e32 v8, 20, v8
	v_and_b32_sdwa v11, sext(v15), s26 dst_sel:DWORD dst_unused:UNUSED_PAD src0_sel:BYTE_0 src1_sel:DWORD
	v_lshl_add_u32 v7, v7, 23, v47
	v_or3_b32 v16, v11, v7, v8
	v_mov_b32_e32 v17, v5
.LBB212_448:                            ;   in Loop: Header=BB212_366 Depth=1
	s_or_b64 exec, exec, s[14:15]
.LBB212_449:                            ;   in Loop: Header=BB212_366 Depth=1
	s_or_b64 exec, exec, s[12:13]
.LBB212_450:                            ;   in Loop: Header=BB212_366 Depth=1
	s_or_b64 exec, exec, s[6:7]
	v_cmp_ne_u16_sdwa s[0:1], v15, v5 src0_sel:BYTE_1 src1_sel:DWORD
	s_and_saveexec_b64 s[6:7], s[0:1]
	s_cbranch_execz .LBB212_456
; %bb.451:                              ;   in Loop: Header=BB212_366 Depth=1
	v_mov_b32_e32 v19, v6
	v_cmp_ne_u16_sdwa s[0:1], v15, s24 src0_sel:BYTE_1 src1_sel:DWORD
	v_mov_b32_e32 v18, v5
	s_and_saveexec_b64 s[12:13], s[0:1]
	s_cbranch_execz .LBB212_455
; %bb.452:                              ;   in Loop: Header=BB212_366 Depth=1
	v_and_b32_sdwa v7, v15, s25 dst_sel:DWORD dst_unused:UNUSED_PAD src0_sel:BYTE_1 src1_sel:DWORD
	v_mov_b32_e32 v11, v5
	v_mov_b32_e32 v19, v12
	v_cmp_ne_u32_e64 s[0:1], s25, v7
	v_mov_b32_e32 v18, v11
	s_and_saveexec_b64 s[14:15], s[0:1]
	s_cbranch_execz .LBB212_454
; %bb.453:                              ;   in Loop: Header=BB212_366 Depth=1
	v_and_b32_sdwa v18, v15, v50 dst_sel:DWORD dst_unused:UNUSED_PAD src0_sel:BYTE_1 src1_sel:DWORD
	v_lshrrev_b32_e32 v11, 3, v7
	v_cmp_gt_u32_e64 s[0:1], 8, v7
	v_ffbh_u32_e32 v7, v18
	v_min_u32_e32 v20, 32, v7
	v_mov_b32_e32 v19, v5
	v_subrev_u32_e32 v7, 28, v20
	v_lshlrev_b64 v[7:8], v7, v[18:19]
	v_sub_u32_e32 v8, 29, v20
	v_and_b32_e32 v7, 7, v7
	v_cndmask_b32_e64 v8, v11, v8, s[0:1]
	v_cndmask_b32_e64 v7, v18, v7, s[0:1]
	v_lshlrev_b32_e32 v11, 16, v15
	v_lshl_add_u32 v8, v8, 23, v47
	v_and_or_b32 v8, v11, s26, v8
	v_lshlrev_b32_e32 v7, 20, v7
	v_or_b32_e32 v19, v8, v7
	v_mov_b32_e32 v18, v5
.LBB212_454:                            ;   in Loop: Header=BB212_366 Depth=1
	s_or_b64 exec, exec, s[14:15]
.LBB212_455:                            ;   in Loop: Header=BB212_366 Depth=1
	s_or_b64 exec, exec, s[12:13]
.LBB212_456:                            ;   in Loop: Header=BB212_366 Depth=1
	s_or_b64 exec, exec, s[6:7]
	v_lshrrev_b32_e32 v11, 16, v15
	v_mov_b32_e32 v22, 0
	v_mov_b32_e32 v20, 0
	;; [unrolled: 1-line block ×4, first 2 shown]
	v_cmp_ne_u16_sdwa s[0:1], v11, v5 src0_sel:BYTE_0 src1_sel:DWORD
	s_and_saveexec_b64 s[6:7], s[0:1]
	s_cbranch_execz .LBB212_462
; %bb.457:                              ;   in Loop: Header=BB212_366 Depth=1
	v_bfrev_b32_e32 v20, 1
	v_mov_b32_e32 v21, 0
	v_cmp_ne_u16_sdwa s[0:1], v11, s24 src0_sel:BYTE_0 src1_sel:DWORD
	s_and_saveexec_b64 s[12:13], s[0:1]
	s_cbranch_execz .LBB212_461
; %bb.458:                              ;   in Loop: Header=BB212_366 Depth=1
	v_bfe_u32 v7, v15, 16, 7
	v_mov_b32_e32 v20, 0x7f800001
	v_mov_b32_e32 v21, 0
	v_cmp_ne_u32_e64 s[0:1], s25, v7
	s_and_saveexec_b64 s[14:15], s[0:1]
	s_cbranch_execz .LBB212_460
; %bb.459:                              ;   in Loop: Header=BB212_366 Depth=1
	v_and_b32_e32 v20, 7, v11
	v_lshrrev_b32_e32 v21, 3, v7
	v_cmp_gt_u32_e64 s[0:1], 8, v7
	v_ffbh_u32_e32 v7, v20
	v_min_u32_e32 v24, 32, v7
	v_subrev_u32_e32 v7, 28, v24
	v_lshlrev_b64 v[7:8], v7, v[11:12]
	v_sub_u32_e32 v8, 29, v24
	v_and_b32_e32 v7, 7, v7
	v_cndmask_b32_e64 v8, v21, v8, s[0:1]
	v_cndmask_b32_e64 v7, v20, v7, s[0:1]
	v_lshlrev_b32_e32 v7, 20, v7
	v_and_b32_sdwa v11, sext(v11), s26 dst_sel:DWORD dst_unused:UNUSED_PAD src0_sel:BYTE_0 src1_sel:DWORD
	v_lshl_add_u32 v8, v8, 23, v47
	v_or3_b32 v20, v11, v8, v7
	v_mov_b32_e32 v21, v5
.LBB212_460:                            ;   in Loop: Header=BB212_366 Depth=1
	s_or_b64 exec, exec, s[14:15]
.LBB212_461:                            ;   in Loop: Header=BB212_366 Depth=1
	s_or_b64 exec, exec, s[12:13]
.LBB212_462:                            ;   in Loop: Header=BB212_366 Depth=1
	s_or_b64 exec, exec, s[6:7]
	v_cmp_lt_u32_e64 s[0:1], s27, v15
	s_and_saveexec_b64 s[6:7], s[0:1]
	s_cbranch_execz .LBB212_468
; %bb.463:                              ;   in Loop: Header=BB212_366 Depth=1
	v_mov_b32_e32 v23, v6
	v_cmp_ne_u32_sdwa s[0:1], v15, s24 src0_sel:BYTE_3 src1_sel:DWORD
	v_mov_b32_e32 v22, v5
	s_and_saveexec_b64 s[12:13], s[0:1]
	s_cbranch_execz .LBB212_467
; %bb.464:                              ;   in Loop: Header=BB212_366 Depth=1
	v_bfe_u32 v7, v15, 24, 7
	v_mov_b32_e32 v11, v5
	v_mov_b32_e32 v23, v12
	v_cmp_ne_u32_e64 s[0:1], s25, v7
	v_mov_b32_e32 v22, v11
	s_and_saveexec_b64 s[14:15], s[0:1]
	s_cbranch_execz .LBB212_466
; %bb.465:                              ;   in Loop: Header=BB212_366 Depth=1
	v_and_b32_sdwa v22, v15, v50 dst_sel:DWORD dst_unused:UNUSED_PAD src0_sel:BYTE_3 src1_sel:DWORD
	v_lshrrev_b32_e32 v11, 3, v7
	v_cmp_gt_u32_e64 s[0:1], 8, v7
	v_ffbh_u32_e32 v7, v22
	v_min_u32_e32 v24, 32, v7
	v_mov_b32_e32 v23, v5
	v_subrev_u32_e32 v7, 28, v24
	v_lshlrev_b64 v[7:8], v7, v[22:23]
	v_sub_u32_e32 v8, 29, v24
	v_and_b32_e32 v7, 7, v7
	v_cndmask_b32_e64 v8, v11, v8, s[0:1]
	v_cndmask_b32_e64 v7, v22, v7, s[0:1]
	v_lshlrev_b32_sdwa v11, v49, v15 dst_sel:DWORD dst_unused:UNUSED_PAD src0_sel:DWORD src1_sel:BYTE_3
	v_lshl_add_u32 v8, v8, 23, v47
	v_and_or_b32 v8, v11, s26, v8
	v_lshlrev_b32_e32 v7, 20, v7
	v_or_b32_e32 v23, v8, v7
	v_mov_b32_e32 v22, v5
.LBB212_466:                            ;   in Loop: Header=BB212_366 Depth=1
	s_or_b64 exec, exec, s[14:15]
.LBB212_467:                            ;   in Loop: Header=BB212_366 Depth=1
	s_or_b64 exec, exec, s[12:13]
.LBB212_468:                            ;   in Loop: Header=BB212_366 Depth=1
	s_or_b64 exec, exec, s[6:7]
	v_or_b32_e32 v7, v19, v17
	v_or_b32_e32 v8, v18, v16
	v_mul_f32_e32 v7, s18, v7
	buffer_store_dword v7, off, s[48:51], 0 offset:92 ; 4-byte Folded Spill
	v_mul_f32_e32 v7, s17, v8
	buffer_store_dword v7, off, s[48:51], 0 offset:116 ; 4-byte Folded Spill
	v_or_b32_e32 v7, v23, v21
	v_or_b32_e32 v8, v22, v20
	v_mul_f32_e32 v8, s17, v8
	v_mul_f32_e32 v7, s18, v7
	buffer_store_dword v8, off, s[48:51], 0 offset:108 ; 4-byte Folded Spill
	buffer_store_dword v7, off, s[48:51], 0 offset:100 ; 4-byte Folded Spill
	s_and_saveexec_b64 s[6:7], vcc
	s_cbranch_execz .LBB212_470
; %bb.469:                              ;   in Loop: Header=BB212_366 Depth=1
	v_add_u32_e32 v7, -3, v42
	v_cmp_gt_i32_e64 s[0:1], s30, v7
	buffer_load_dword v7, off, s[48:51], 0 offset:116 ; 4-byte Folded Reload
	s_waitcnt vmcnt(0)
	v_cndmask_b32_e64 v7, 0, v7, s[0:1]
	buffer_store_dword v7, off, s[48:51], 0 offset:116 ; 4-byte Folded Spill
	v_add_u32_e32 v7, -2, v42
	v_cmp_gt_i32_e64 s[0:1], s30, v7
	buffer_load_dword v7, off, s[48:51], 0 offset:92 ; 4-byte Folded Reload
	s_waitcnt vmcnt(0)
	v_cndmask_b32_e64 v7, 0, v7, s[0:1]
	buffer_store_dword v7, off, s[48:51], 0 offset:92 ; 4-byte Folded Spill
	;; [unrolled: 6-line block ×3, first 2 shown]
	buffer_load_dword v7, off, s[48:51], 0 offset:100 ; 4-byte Folded Reload
	v_cmp_gt_i32_e64 s[0:1], s30, v42
	s_waitcnt vmcnt(0)
	v_cndmask_b32_e64 v7, 0, v7, s[0:1]
	buffer_store_dword v7, off, s[48:51], 0 offset:100 ; 4-byte Folded Spill
.LBB212_470:                            ;   in Loop: Header=BB212_366 Depth=1
	s_or_b64 exec, exec, s[6:7]
	global_load_dword v15, v[13:14], off offset:1024
	v_mov_b32_e32 v18, 0
	v_mov_b32_e32 v16, 0
	;; [unrolled: 1-line block ×4, first 2 shown]
	s_waitcnt vmcnt(0)
	v_cmp_ne_u16_sdwa s[0:1], v15, v5 src0_sel:BYTE_0 src1_sel:DWORD
	s_and_saveexec_b64 s[6:7], s[0:1]
	s_cbranch_execz .LBB212_476
; %bb.471:                              ;   in Loop: Header=BB212_366 Depth=1
	v_bfrev_b32_e32 v16, 1
	v_mov_b32_e32 v17, 0
	v_cmp_ne_u16_sdwa s[0:1], v15, s24 src0_sel:BYTE_0 src1_sel:DWORD
	s_and_saveexec_b64 s[12:13], s[0:1]
	s_cbranch_execz .LBB212_475
; %bb.472:                              ;   in Loop: Header=BB212_366 Depth=1
	v_and_b32_e32 v7, 0x7f, v15
	v_mov_b32_e32 v16, 0x7f800001
	v_mov_b32_e32 v17, 0
	v_cmp_ne_u32_e64 s[0:1], s25, v7
	s_and_saveexec_b64 s[14:15], s[0:1]
	s_cbranch_execz .LBB212_474
; %bb.473:                              ;   in Loop: Header=BB212_366 Depth=1
	v_and_b32_e32 v11, 7, v15
	v_lshrrev_b32_e32 v16, 3, v7
	v_cmp_gt_u32_e64 s[0:1], 8, v7
	v_ffbh_u32_e32 v7, v11
	v_min_u32_e32 v17, 32, v7
	v_subrev_u32_e32 v7, 28, v17
	v_lshlrev_b64 v[7:8], v7, v[15:16]
	v_sub_u32_e32 v8, 29, v17
	v_and_b32_e32 v7, 7, v7
	v_cndmask_b32_e64 v8, v16, v8, s[0:1]
	v_cndmask_b32_e64 v7, v11, v7, s[0:1]
	v_lshlrev_b32_e32 v7, 20, v7
	v_and_b32_sdwa v11, sext(v15), s26 dst_sel:DWORD dst_unused:UNUSED_PAD src0_sel:BYTE_0 src1_sel:DWORD
	v_lshl_add_u32 v8, v8, 23, v47
	v_or3_b32 v16, v11, v8, v7
	v_mov_b32_e32 v17, v5
.LBB212_474:                            ;   in Loop: Header=BB212_366 Depth=1
	s_or_b64 exec, exec, s[14:15]
.LBB212_475:                            ;   in Loop: Header=BB212_366 Depth=1
	s_or_b64 exec, exec, s[12:13]
.LBB212_476:                            ;   in Loop: Header=BB212_366 Depth=1
	s_or_b64 exec, exec, s[6:7]
	v_cmp_ne_u16_sdwa s[0:1], v15, v5 src0_sel:BYTE_1 src1_sel:DWORD
	s_and_saveexec_b64 s[6:7], s[0:1]
	s_cbranch_execz .LBB212_482
; %bb.477:                              ;   in Loop: Header=BB212_366 Depth=1
	v_mov_b32_e32 v19, v6
	v_cmp_ne_u16_sdwa s[0:1], v15, s24 src0_sel:BYTE_1 src1_sel:DWORD
	v_mov_b32_e32 v18, v5
	s_and_saveexec_b64 s[12:13], s[0:1]
	s_cbranch_execz .LBB212_481
; %bb.478:                              ;   in Loop: Header=BB212_366 Depth=1
	v_and_b32_sdwa v7, v15, s25 dst_sel:DWORD dst_unused:UNUSED_PAD src0_sel:BYTE_1 src1_sel:DWORD
	v_mov_b32_e32 v11, v5
	v_mov_b32_e32 v19, v12
	v_cmp_ne_u32_e64 s[0:1], s25, v7
	v_mov_b32_e32 v18, v11
	s_and_saveexec_b64 s[14:15], s[0:1]
	s_cbranch_execz .LBB212_480
; %bb.479:                              ;   in Loop: Header=BB212_366 Depth=1
	v_and_b32_sdwa v18, v15, v50 dst_sel:DWORD dst_unused:UNUSED_PAD src0_sel:BYTE_1 src1_sel:DWORD
	v_lshrrev_b32_e32 v11, 3, v7
	v_cmp_gt_u32_e64 s[0:1], 8, v7
	v_ffbh_u32_e32 v7, v18
	v_min_u32_e32 v20, 32, v7
	v_mov_b32_e32 v19, v5
	v_subrev_u32_e32 v7, 28, v20
	v_lshlrev_b64 v[7:8], v7, v[18:19]
	v_sub_u32_e32 v8, 29, v20
	v_and_b32_e32 v7, 7, v7
	v_cndmask_b32_e64 v8, v11, v8, s[0:1]
	v_cndmask_b32_e64 v7, v18, v7, s[0:1]
	v_lshlrev_b32_e32 v11, 16, v15
	v_lshl_add_u32 v8, v8, 23, v47
	v_and_or_b32 v8, v11, s26, v8
	v_lshlrev_b32_e32 v7, 20, v7
	v_or_b32_e32 v19, v8, v7
	v_mov_b32_e32 v18, v5
.LBB212_480:                            ;   in Loop: Header=BB212_366 Depth=1
	s_or_b64 exec, exec, s[14:15]
.LBB212_481:                            ;   in Loop: Header=BB212_366 Depth=1
	s_or_b64 exec, exec, s[12:13]
.LBB212_482:                            ;   in Loop: Header=BB212_366 Depth=1
	s_or_b64 exec, exec, s[6:7]
	v_lshrrev_b32_e32 v11, 16, v15
	v_mov_b32_e32 v22, 0
	v_mov_b32_e32 v20, 0
	v_mov_b32_e32 v23, 0
	v_mov_b32_e32 v21, 0
	v_cmp_ne_u16_sdwa s[0:1], v11, v5 src0_sel:BYTE_0 src1_sel:DWORD
	s_and_saveexec_b64 s[6:7], s[0:1]
	s_cbranch_execz .LBB212_488
; %bb.483:                              ;   in Loop: Header=BB212_366 Depth=1
	v_bfrev_b32_e32 v20, 1
	v_mov_b32_e32 v21, 0
	v_cmp_ne_u16_sdwa s[0:1], v11, s24 src0_sel:BYTE_0 src1_sel:DWORD
	s_and_saveexec_b64 s[12:13], s[0:1]
	s_cbranch_execz .LBB212_487
; %bb.484:                              ;   in Loop: Header=BB212_366 Depth=1
	v_bfe_u32 v7, v15, 16, 7
	v_mov_b32_e32 v20, 0x7f800001
	v_mov_b32_e32 v21, 0
	v_cmp_ne_u32_e64 s[0:1], s25, v7
	s_and_saveexec_b64 s[14:15], s[0:1]
	s_cbranch_execz .LBB212_486
; %bb.485:                              ;   in Loop: Header=BB212_366 Depth=1
	v_and_b32_e32 v20, 7, v11
	v_lshrrev_b32_e32 v21, 3, v7
	v_cmp_gt_u32_e64 s[0:1], 8, v7
	v_ffbh_u32_e32 v7, v20
	v_min_u32_e32 v24, 32, v7
	v_subrev_u32_e32 v7, 28, v24
	v_lshlrev_b64 v[7:8], v7, v[11:12]
	v_sub_u32_e32 v8, 29, v24
	v_and_b32_e32 v7, 7, v7
	v_cndmask_b32_e64 v8, v21, v8, s[0:1]
	v_cndmask_b32_e64 v7, v20, v7, s[0:1]
	v_lshlrev_b32_e32 v7, 20, v7
	v_and_b32_sdwa v11, sext(v11), s26 dst_sel:DWORD dst_unused:UNUSED_PAD src0_sel:BYTE_0 src1_sel:DWORD
	v_lshl_add_u32 v8, v8, 23, v47
	v_or3_b32 v20, v11, v8, v7
	v_mov_b32_e32 v21, v5
.LBB212_486:                            ;   in Loop: Header=BB212_366 Depth=1
	s_or_b64 exec, exec, s[14:15]
.LBB212_487:                            ;   in Loop: Header=BB212_366 Depth=1
	s_or_b64 exec, exec, s[12:13]
.LBB212_488:                            ;   in Loop: Header=BB212_366 Depth=1
	s_or_b64 exec, exec, s[6:7]
	v_cmp_lt_u32_e64 s[0:1], s27, v15
	s_and_saveexec_b64 s[6:7], s[0:1]
	s_cbranch_execz .LBB212_494
; %bb.489:                              ;   in Loop: Header=BB212_366 Depth=1
	v_mov_b32_e32 v23, v6
	v_cmp_ne_u32_sdwa s[0:1], v15, s24 src0_sel:BYTE_3 src1_sel:DWORD
	v_mov_b32_e32 v22, v5
	s_and_saveexec_b64 s[12:13], s[0:1]
	s_cbranch_execz .LBB212_493
; %bb.490:                              ;   in Loop: Header=BB212_366 Depth=1
	v_bfe_u32 v7, v15, 24, 7
	v_mov_b32_e32 v11, v5
	v_mov_b32_e32 v23, v12
	v_cmp_ne_u32_e64 s[0:1], s25, v7
	v_mov_b32_e32 v22, v11
	s_and_saveexec_b64 s[14:15], s[0:1]
	s_cbranch_execz .LBB212_492
; %bb.491:                              ;   in Loop: Header=BB212_366 Depth=1
	v_and_b32_sdwa v22, v15, v50 dst_sel:DWORD dst_unused:UNUSED_PAD src0_sel:BYTE_3 src1_sel:DWORD
	v_lshrrev_b32_e32 v11, 3, v7
	v_cmp_gt_u32_e64 s[0:1], 8, v7
	v_ffbh_u32_e32 v7, v22
	v_min_u32_e32 v24, 32, v7
	v_mov_b32_e32 v23, v5
	v_subrev_u32_e32 v7, 28, v24
	v_lshlrev_b64 v[7:8], v7, v[22:23]
	v_sub_u32_e32 v8, 29, v24
	v_and_b32_e32 v7, 7, v7
	v_cndmask_b32_e64 v8, v11, v8, s[0:1]
	v_cndmask_b32_e64 v7, v22, v7, s[0:1]
	v_lshlrev_b32_sdwa v11, v49, v15 dst_sel:DWORD dst_unused:UNUSED_PAD src0_sel:DWORD src1_sel:BYTE_3
	v_lshl_add_u32 v8, v8, 23, v47
	v_and_or_b32 v8, v11, s26, v8
	v_lshlrev_b32_e32 v7, 20, v7
	v_or_b32_e32 v23, v8, v7
	v_mov_b32_e32 v22, v5
.LBB212_492:                            ;   in Loop: Header=BB212_366 Depth=1
	s_or_b64 exec, exec, s[14:15]
.LBB212_493:                            ;   in Loop: Header=BB212_366 Depth=1
	s_or_b64 exec, exec, s[12:13]
.LBB212_494:                            ;   in Loop: Header=BB212_366 Depth=1
	s_or_b64 exec, exec, s[6:7]
	v_or_b32_e32 v7, v19, v17
	v_or_b32_e32 v8, v18, v16
	v_mul_f32_e32 v7, s18, v7
	buffer_store_dword v7, off, s[48:51], 0 offset:124 ; 4-byte Folded Spill
	v_mul_f32_e32 v7, s17, v8
	buffer_store_dword v7, off, s[48:51], 0 offset:148 ; 4-byte Folded Spill
	v_or_b32_e32 v7, v23, v21
	v_or_b32_e32 v8, v22, v20
	v_mul_f32_e32 v8, s17, v8
	v_mul_f32_e32 v7, s18, v7
	buffer_store_dword v8, off, s[48:51], 0 offset:140 ; 4-byte Folded Spill
	buffer_store_dword v7, off, s[48:51], 0 offset:132 ; 4-byte Folded Spill
	s_and_saveexec_b64 s[6:7], vcc
	s_cbranch_execz .LBB212_496
; %bb.495:                              ;   in Loop: Header=BB212_366 Depth=1
	v_add_u32_e32 v7, -3, v42
	v_cmp_gt_i32_e64 s[0:1], s30, v7
	buffer_load_dword v7, off, s[48:51], 0 offset:148 ; 4-byte Folded Reload
	s_waitcnt vmcnt(0)
	v_cndmask_b32_e64 v7, 0, v7, s[0:1]
	buffer_store_dword v7, off, s[48:51], 0 offset:148 ; 4-byte Folded Spill
	v_add_u32_e32 v7, -2, v42
	v_cmp_gt_i32_e64 s[0:1], s30, v7
	buffer_load_dword v7, off, s[48:51], 0 offset:124 ; 4-byte Folded Reload
	s_waitcnt vmcnt(0)
	v_cndmask_b32_e64 v7, 0, v7, s[0:1]
	buffer_store_dword v7, off, s[48:51], 0 offset:124 ; 4-byte Folded Spill
	;; [unrolled: 6-line block ×3, first 2 shown]
	buffer_load_dword v7, off, s[48:51], 0 offset:132 ; 4-byte Folded Reload
	v_cmp_gt_i32_e64 s[0:1], s30, v42
	s_waitcnt vmcnt(0)
	v_cndmask_b32_e64 v7, 0, v7, s[0:1]
	buffer_store_dword v7, off, s[48:51], 0 offset:132 ; 4-byte Folded Spill
.LBB212_496:                            ;   in Loop: Header=BB212_366 Depth=1
	s_or_b64 exec, exec, s[6:7]
	global_load_dword v15, v[13:14], off offset:1280
	v_mov_b32_e32 v18, 0
	v_mov_b32_e32 v16, 0
	;; [unrolled: 1-line block ×4, first 2 shown]
	s_waitcnt vmcnt(0)
	v_cmp_ne_u16_sdwa s[0:1], v15, v5 src0_sel:BYTE_0 src1_sel:DWORD
	s_and_saveexec_b64 s[6:7], s[0:1]
	s_cbranch_execz .LBB212_502
; %bb.497:                              ;   in Loop: Header=BB212_366 Depth=1
	v_bfrev_b32_e32 v16, 1
	v_mov_b32_e32 v17, 0
	v_cmp_ne_u16_sdwa s[0:1], v15, s24 src0_sel:BYTE_0 src1_sel:DWORD
	s_and_saveexec_b64 s[12:13], s[0:1]
	s_cbranch_execz .LBB212_501
; %bb.498:                              ;   in Loop: Header=BB212_366 Depth=1
	v_and_b32_e32 v7, 0x7f, v15
	v_mov_b32_e32 v16, 0x7f800001
	v_mov_b32_e32 v17, 0
	v_cmp_ne_u32_e64 s[0:1], s25, v7
	s_and_saveexec_b64 s[14:15], s[0:1]
	s_cbranch_execz .LBB212_500
; %bb.499:                              ;   in Loop: Header=BB212_366 Depth=1
	v_and_b32_e32 v11, 7, v15
	v_lshrrev_b32_e32 v16, 3, v7
	v_cmp_gt_u32_e64 s[0:1], 8, v7
	v_ffbh_u32_e32 v7, v11
	v_min_u32_e32 v17, 32, v7
	v_subrev_u32_e32 v7, 28, v17
	v_lshlrev_b64 v[7:8], v7, v[15:16]
	v_sub_u32_e32 v8, 29, v17
	v_and_b32_e32 v7, 7, v7
	v_cndmask_b32_e64 v8, v16, v8, s[0:1]
	v_cndmask_b32_e64 v7, v11, v7, s[0:1]
	v_lshlrev_b32_e32 v7, 20, v7
	v_and_b32_sdwa v11, sext(v15), s26 dst_sel:DWORD dst_unused:UNUSED_PAD src0_sel:BYTE_0 src1_sel:DWORD
	v_lshl_add_u32 v8, v8, 23, v47
	v_or3_b32 v16, v11, v8, v7
	v_mov_b32_e32 v17, v5
.LBB212_500:                            ;   in Loop: Header=BB212_366 Depth=1
	s_or_b64 exec, exec, s[14:15]
.LBB212_501:                            ;   in Loop: Header=BB212_366 Depth=1
	s_or_b64 exec, exec, s[12:13]
.LBB212_502:                            ;   in Loop: Header=BB212_366 Depth=1
	s_or_b64 exec, exec, s[6:7]
	v_cmp_ne_u16_sdwa s[0:1], v15, v5 src0_sel:BYTE_1 src1_sel:DWORD
	s_and_saveexec_b64 s[6:7], s[0:1]
	s_cbranch_execz .LBB212_508
; %bb.503:                              ;   in Loop: Header=BB212_366 Depth=1
	v_mov_b32_e32 v19, v6
	v_cmp_ne_u16_sdwa s[0:1], v15, s24 src0_sel:BYTE_1 src1_sel:DWORD
	v_mov_b32_e32 v18, v5
	s_and_saveexec_b64 s[12:13], s[0:1]
	s_cbranch_execz .LBB212_507
; %bb.504:                              ;   in Loop: Header=BB212_366 Depth=1
	v_and_b32_sdwa v7, v15, s25 dst_sel:DWORD dst_unused:UNUSED_PAD src0_sel:BYTE_1 src1_sel:DWORD
	v_mov_b32_e32 v11, v5
	v_mov_b32_e32 v19, v12
	v_cmp_ne_u32_e64 s[0:1], s25, v7
	v_mov_b32_e32 v18, v11
	s_and_saveexec_b64 s[14:15], s[0:1]
	s_cbranch_execz .LBB212_506
; %bb.505:                              ;   in Loop: Header=BB212_366 Depth=1
	v_and_b32_sdwa v18, v15, v50 dst_sel:DWORD dst_unused:UNUSED_PAD src0_sel:BYTE_1 src1_sel:DWORD
	v_lshrrev_b32_e32 v11, 3, v7
	v_cmp_gt_u32_e64 s[0:1], 8, v7
	v_ffbh_u32_e32 v7, v18
	v_min_u32_e32 v20, 32, v7
	v_mov_b32_e32 v19, v5
	v_subrev_u32_e32 v7, 28, v20
	v_lshlrev_b64 v[7:8], v7, v[18:19]
	v_sub_u32_e32 v8, 29, v20
	v_and_b32_e32 v7, 7, v7
	v_cndmask_b32_e64 v8, v11, v8, s[0:1]
	v_cndmask_b32_e64 v7, v18, v7, s[0:1]
	v_lshlrev_b32_e32 v11, 16, v15
	v_lshl_add_u32 v8, v8, 23, v47
	v_and_or_b32 v8, v11, s26, v8
	v_lshlrev_b32_e32 v7, 20, v7
	v_or_b32_e32 v19, v8, v7
	v_mov_b32_e32 v18, v5
.LBB212_506:                            ;   in Loop: Header=BB212_366 Depth=1
	s_or_b64 exec, exec, s[14:15]
.LBB212_507:                            ;   in Loop: Header=BB212_366 Depth=1
	s_or_b64 exec, exec, s[12:13]
.LBB212_508:                            ;   in Loop: Header=BB212_366 Depth=1
	s_or_b64 exec, exec, s[6:7]
	v_lshrrev_b32_e32 v11, 16, v15
	v_mov_b32_e32 v22, 0
	v_mov_b32_e32 v20, 0
	;; [unrolled: 1-line block ×4, first 2 shown]
	v_cmp_ne_u16_sdwa s[0:1], v11, v5 src0_sel:BYTE_0 src1_sel:DWORD
	s_and_saveexec_b64 s[6:7], s[0:1]
	s_cbranch_execz .LBB212_514
; %bb.509:                              ;   in Loop: Header=BB212_366 Depth=1
	v_bfrev_b32_e32 v20, 1
	v_mov_b32_e32 v21, 0
	v_cmp_ne_u16_sdwa s[0:1], v11, s24 src0_sel:BYTE_0 src1_sel:DWORD
	s_and_saveexec_b64 s[12:13], s[0:1]
	s_cbranch_execz .LBB212_513
; %bb.510:                              ;   in Loop: Header=BB212_366 Depth=1
	v_bfe_u32 v7, v15, 16, 7
	v_mov_b32_e32 v20, 0x7f800001
	v_mov_b32_e32 v21, 0
	v_cmp_ne_u32_e64 s[0:1], s25, v7
	s_and_saveexec_b64 s[14:15], s[0:1]
	s_cbranch_execz .LBB212_512
; %bb.511:                              ;   in Loop: Header=BB212_366 Depth=1
	v_and_b32_e32 v20, 7, v11
	v_lshrrev_b32_e32 v21, 3, v7
	v_cmp_gt_u32_e64 s[0:1], 8, v7
	v_ffbh_u32_e32 v7, v20
	v_min_u32_e32 v24, 32, v7
	v_subrev_u32_e32 v7, 28, v24
	v_lshlrev_b64 v[7:8], v7, v[11:12]
	v_sub_u32_e32 v8, 29, v24
	v_and_b32_e32 v7, 7, v7
	v_cndmask_b32_e64 v8, v21, v8, s[0:1]
	v_cndmask_b32_e64 v7, v20, v7, s[0:1]
	v_lshlrev_b32_e32 v7, 20, v7
	v_and_b32_sdwa v11, sext(v11), s26 dst_sel:DWORD dst_unused:UNUSED_PAD src0_sel:BYTE_0 src1_sel:DWORD
	v_lshl_add_u32 v8, v8, 23, v47
	v_or3_b32 v20, v11, v8, v7
	v_mov_b32_e32 v21, v5
.LBB212_512:                            ;   in Loop: Header=BB212_366 Depth=1
	s_or_b64 exec, exec, s[14:15]
.LBB212_513:                            ;   in Loop: Header=BB212_366 Depth=1
	s_or_b64 exec, exec, s[12:13]
.LBB212_514:                            ;   in Loop: Header=BB212_366 Depth=1
	s_or_b64 exec, exec, s[6:7]
	v_cmp_lt_u32_e64 s[0:1], s27, v15
	s_and_saveexec_b64 s[6:7], s[0:1]
	s_cbranch_execz .LBB212_520
; %bb.515:                              ;   in Loop: Header=BB212_366 Depth=1
	v_mov_b32_e32 v23, v6
	v_cmp_ne_u32_sdwa s[0:1], v15, s24 src0_sel:BYTE_3 src1_sel:DWORD
	v_mov_b32_e32 v22, v5
	s_and_saveexec_b64 s[12:13], s[0:1]
	s_cbranch_execz .LBB212_519
; %bb.516:                              ;   in Loop: Header=BB212_366 Depth=1
	v_bfe_u32 v7, v15, 24, 7
	v_mov_b32_e32 v11, v5
	v_mov_b32_e32 v23, v12
	v_cmp_ne_u32_e64 s[0:1], s25, v7
	v_mov_b32_e32 v22, v11
	s_and_saveexec_b64 s[14:15], s[0:1]
	s_cbranch_execz .LBB212_518
; %bb.517:                              ;   in Loop: Header=BB212_366 Depth=1
	v_and_b32_sdwa v22, v15, v50 dst_sel:DWORD dst_unused:UNUSED_PAD src0_sel:BYTE_3 src1_sel:DWORD
	v_lshrrev_b32_e32 v11, 3, v7
	v_cmp_gt_u32_e64 s[0:1], 8, v7
	v_ffbh_u32_e32 v7, v22
	v_min_u32_e32 v24, 32, v7
	v_mov_b32_e32 v23, v5
	v_subrev_u32_e32 v7, 28, v24
	v_lshlrev_b64 v[7:8], v7, v[22:23]
	v_sub_u32_e32 v8, 29, v24
	v_and_b32_e32 v7, 7, v7
	v_cndmask_b32_e64 v8, v11, v8, s[0:1]
	v_cndmask_b32_e64 v7, v22, v7, s[0:1]
	v_lshlrev_b32_sdwa v11, v49, v15 dst_sel:DWORD dst_unused:UNUSED_PAD src0_sel:DWORD src1_sel:BYTE_3
	v_lshl_add_u32 v8, v8, 23, v47
	v_and_or_b32 v8, v11, s26, v8
	v_lshlrev_b32_e32 v7, 20, v7
	v_or_b32_e32 v23, v8, v7
	v_mov_b32_e32 v22, v5
.LBB212_518:                            ;   in Loop: Header=BB212_366 Depth=1
	s_or_b64 exec, exec, s[14:15]
.LBB212_519:                            ;   in Loop: Header=BB212_366 Depth=1
	s_or_b64 exec, exec, s[12:13]
.LBB212_520:                            ;   in Loop: Header=BB212_366 Depth=1
	s_or_b64 exec, exec, s[6:7]
	v_or_b32_e32 v7, v19, v17
	v_or_b32_e32 v8, v18, v16
	v_mul_f32_e32 v7, s18, v7
	buffer_store_dword v7, off, s[48:51], 0 offset:156 ; 4-byte Folded Spill
	v_mul_f32_e32 v7, s17, v8
	buffer_store_dword v7, off, s[48:51], 0 offset:180 ; 4-byte Folded Spill
	v_or_b32_e32 v7, v23, v21
	v_or_b32_e32 v8, v22, v20
	v_mul_f32_e32 v8, s17, v8
	v_mul_f32_e32 v7, s18, v7
	buffer_store_dword v8, off, s[48:51], 0 offset:172 ; 4-byte Folded Spill
	buffer_store_dword v7, off, s[48:51], 0 offset:164 ; 4-byte Folded Spill
	s_and_saveexec_b64 s[6:7], vcc
	s_cbranch_execz .LBB212_522
; %bb.521:                              ;   in Loop: Header=BB212_366 Depth=1
	v_add_u32_e32 v7, -3, v42
	v_cmp_gt_i32_e64 s[0:1], s30, v7
	buffer_load_dword v7, off, s[48:51], 0 offset:180 ; 4-byte Folded Reload
	s_waitcnt vmcnt(0)
	v_cndmask_b32_e64 v7, 0, v7, s[0:1]
	buffer_store_dword v7, off, s[48:51], 0 offset:180 ; 4-byte Folded Spill
	v_add_u32_e32 v7, -2, v42
	v_cmp_gt_i32_e64 s[0:1], s30, v7
	buffer_load_dword v7, off, s[48:51], 0 offset:156 ; 4-byte Folded Reload
	s_waitcnt vmcnt(0)
	v_cndmask_b32_e64 v7, 0, v7, s[0:1]
	buffer_store_dword v7, off, s[48:51], 0 offset:156 ; 4-byte Folded Spill
	;; [unrolled: 6-line block ×3, first 2 shown]
	buffer_load_dword v7, off, s[48:51], 0 offset:164 ; 4-byte Folded Reload
	v_cmp_gt_i32_e64 s[0:1], s30, v42
	s_waitcnt vmcnt(0)
	v_cndmask_b32_e64 v7, 0, v7, s[0:1]
	buffer_store_dword v7, off, s[48:51], 0 offset:164 ; 4-byte Folded Spill
.LBB212_522:                            ;   in Loop: Header=BB212_366 Depth=1
	s_or_b64 exec, exec, s[6:7]
	global_load_dword v15, v[13:14], off offset:1536
	v_mov_b32_e32 v18, 0
	v_mov_b32_e32 v16, 0
	;; [unrolled: 1-line block ×4, first 2 shown]
	s_waitcnt vmcnt(0)
	v_cmp_ne_u16_sdwa s[0:1], v15, v5 src0_sel:BYTE_0 src1_sel:DWORD
	s_and_saveexec_b64 s[6:7], s[0:1]
	s_cbranch_execz .LBB212_528
; %bb.523:                              ;   in Loop: Header=BB212_366 Depth=1
	v_bfrev_b32_e32 v16, 1
	v_mov_b32_e32 v17, 0
	v_cmp_ne_u16_sdwa s[0:1], v15, s24 src0_sel:BYTE_0 src1_sel:DWORD
	s_and_saveexec_b64 s[12:13], s[0:1]
	s_cbranch_execz .LBB212_527
; %bb.524:                              ;   in Loop: Header=BB212_366 Depth=1
	v_and_b32_e32 v7, 0x7f, v15
	v_mov_b32_e32 v16, 0x7f800001
	v_mov_b32_e32 v17, 0
	v_cmp_ne_u32_e64 s[0:1], s25, v7
	s_and_saveexec_b64 s[14:15], s[0:1]
	s_cbranch_execz .LBB212_526
; %bb.525:                              ;   in Loop: Header=BB212_366 Depth=1
	v_and_b32_e32 v11, 7, v15
	v_lshrrev_b32_e32 v16, 3, v7
	v_cmp_gt_u32_e64 s[0:1], 8, v7
	v_ffbh_u32_e32 v7, v11
	v_min_u32_e32 v17, 32, v7
	v_subrev_u32_e32 v7, 28, v17
	v_lshlrev_b64 v[7:8], v7, v[15:16]
	v_sub_u32_e32 v8, 29, v17
	v_and_b32_e32 v7, 7, v7
	v_cndmask_b32_e64 v8, v16, v8, s[0:1]
	v_cndmask_b32_e64 v7, v11, v7, s[0:1]
	v_lshlrev_b32_e32 v7, 20, v7
	v_and_b32_sdwa v11, sext(v15), s26 dst_sel:DWORD dst_unused:UNUSED_PAD src0_sel:BYTE_0 src1_sel:DWORD
	v_lshl_add_u32 v8, v8, 23, v47
	v_or3_b32 v16, v11, v8, v7
	v_mov_b32_e32 v17, v5
.LBB212_526:                            ;   in Loop: Header=BB212_366 Depth=1
	s_or_b64 exec, exec, s[14:15]
.LBB212_527:                            ;   in Loop: Header=BB212_366 Depth=1
	s_or_b64 exec, exec, s[12:13]
.LBB212_528:                            ;   in Loop: Header=BB212_366 Depth=1
	s_or_b64 exec, exec, s[6:7]
	v_cmp_ne_u16_sdwa s[0:1], v15, v5 src0_sel:BYTE_1 src1_sel:DWORD
	s_and_saveexec_b64 s[6:7], s[0:1]
	s_cbranch_execz .LBB212_534
; %bb.529:                              ;   in Loop: Header=BB212_366 Depth=1
	v_mov_b32_e32 v19, v6
	v_cmp_ne_u16_sdwa s[0:1], v15, s24 src0_sel:BYTE_1 src1_sel:DWORD
	v_mov_b32_e32 v18, v5
	s_and_saveexec_b64 s[12:13], s[0:1]
	s_cbranch_execz .LBB212_533
; %bb.530:                              ;   in Loop: Header=BB212_366 Depth=1
	v_and_b32_sdwa v7, v15, s25 dst_sel:DWORD dst_unused:UNUSED_PAD src0_sel:BYTE_1 src1_sel:DWORD
	v_mov_b32_e32 v11, v5
	v_mov_b32_e32 v19, v12
	v_cmp_ne_u32_e64 s[0:1], s25, v7
	v_mov_b32_e32 v18, v11
	s_and_saveexec_b64 s[14:15], s[0:1]
	s_cbranch_execz .LBB212_532
; %bb.531:                              ;   in Loop: Header=BB212_366 Depth=1
	v_and_b32_sdwa v18, v15, v50 dst_sel:DWORD dst_unused:UNUSED_PAD src0_sel:BYTE_1 src1_sel:DWORD
	v_lshrrev_b32_e32 v11, 3, v7
	v_cmp_gt_u32_e64 s[0:1], 8, v7
	v_ffbh_u32_e32 v7, v18
	v_min_u32_e32 v20, 32, v7
	v_mov_b32_e32 v19, v5
	v_subrev_u32_e32 v7, 28, v20
	v_lshlrev_b64 v[7:8], v7, v[18:19]
	v_sub_u32_e32 v8, 29, v20
	v_and_b32_e32 v7, 7, v7
	v_cndmask_b32_e64 v8, v11, v8, s[0:1]
	v_cndmask_b32_e64 v7, v18, v7, s[0:1]
	v_lshlrev_b32_e32 v11, 16, v15
	v_lshl_add_u32 v8, v8, 23, v47
	v_and_or_b32 v8, v11, s26, v8
	v_lshlrev_b32_e32 v7, 20, v7
	v_or_b32_e32 v19, v8, v7
	v_mov_b32_e32 v18, v5
.LBB212_532:                            ;   in Loop: Header=BB212_366 Depth=1
	s_or_b64 exec, exec, s[14:15]
.LBB212_533:                            ;   in Loop: Header=BB212_366 Depth=1
	s_or_b64 exec, exec, s[12:13]
.LBB212_534:                            ;   in Loop: Header=BB212_366 Depth=1
	s_or_b64 exec, exec, s[6:7]
	v_lshrrev_b32_e32 v11, 16, v15
	v_mov_b32_e32 v22, 0
	v_mov_b32_e32 v20, 0
	;; [unrolled: 1-line block ×4, first 2 shown]
	v_cmp_ne_u16_sdwa s[0:1], v11, v5 src0_sel:BYTE_0 src1_sel:DWORD
	s_and_saveexec_b64 s[6:7], s[0:1]
	s_cbranch_execz .LBB212_540
; %bb.535:                              ;   in Loop: Header=BB212_366 Depth=1
	v_bfrev_b32_e32 v20, 1
	v_mov_b32_e32 v21, 0
	v_cmp_ne_u16_sdwa s[0:1], v11, s24 src0_sel:BYTE_0 src1_sel:DWORD
	s_and_saveexec_b64 s[12:13], s[0:1]
	s_cbranch_execz .LBB212_539
; %bb.536:                              ;   in Loop: Header=BB212_366 Depth=1
	v_bfe_u32 v7, v15, 16, 7
	v_mov_b32_e32 v20, 0x7f800001
	v_mov_b32_e32 v21, 0
	v_cmp_ne_u32_e64 s[0:1], s25, v7
	s_and_saveexec_b64 s[14:15], s[0:1]
	s_cbranch_execz .LBB212_538
; %bb.537:                              ;   in Loop: Header=BB212_366 Depth=1
	v_and_b32_e32 v20, 7, v11
	v_lshrrev_b32_e32 v21, 3, v7
	v_cmp_gt_u32_e64 s[0:1], 8, v7
	v_ffbh_u32_e32 v7, v20
	v_min_u32_e32 v24, 32, v7
	v_subrev_u32_e32 v7, 28, v24
	v_lshlrev_b64 v[7:8], v7, v[11:12]
	v_sub_u32_e32 v8, 29, v24
	v_and_b32_e32 v7, 7, v7
	v_cndmask_b32_e64 v8, v21, v8, s[0:1]
	v_cndmask_b32_e64 v7, v20, v7, s[0:1]
	v_lshlrev_b32_e32 v7, 20, v7
	v_and_b32_sdwa v11, sext(v11), s26 dst_sel:DWORD dst_unused:UNUSED_PAD src0_sel:BYTE_0 src1_sel:DWORD
	v_lshl_add_u32 v8, v8, 23, v47
	v_or3_b32 v20, v11, v8, v7
	v_mov_b32_e32 v21, v5
.LBB212_538:                            ;   in Loop: Header=BB212_366 Depth=1
	s_or_b64 exec, exec, s[14:15]
.LBB212_539:                            ;   in Loop: Header=BB212_366 Depth=1
	s_or_b64 exec, exec, s[12:13]
.LBB212_540:                            ;   in Loop: Header=BB212_366 Depth=1
	s_or_b64 exec, exec, s[6:7]
	v_cmp_lt_u32_e64 s[0:1], s27, v15
	s_and_saveexec_b64 s[6:7], s[0:1]
	s_cbranch_execz .LBB212_546
; %bb.541:                              ;   in Loop: Header=BB212_366 Depth=1
	v_mov_b32_e32 v23, v6
	v_cmp_ne_u32_sdwa s[0:1], v15, s24 src0_sel:BYTE_3 src1_sel:DWORD
	v_mov_b32_e32 v22, v5
	s_and_saveexec_b64 s[12:13], s[0:1]
	s_cbranch_execz .LBB212_545
; %bb.542:                              ;   in Loop: Header=BB212_366 Depth=1
	v_bfe_u32 v7, v15, 24, 7
	v_mov_b32_e32 v11, v5
	v_mov_b32_e32 v23, v12
	v_cmp_ne_u32_e64 s[0:1], s25, v7
	v_mov_b32_e32 v22, v11
	s_and_saveexec_b64 s[14:15], s[0:1]
	s_cbranch_execz .LBB212_544
; %bb.543:                              ;   in Loop: Header=BB212_366 Depth=1
	v_and_b32_sdwa v22, v15, v50 dst_sel:DWORD dst_unused:UNUSED_PAD src0_sel:BYTE_3 src1_sel:DWORD
	v_lshrrev_b32_e32 v11, 3, v7
	v_cmp_gt_u32_e64 s[0:1], 8, v7
	v_ffbh_u32_e32 v7, v22
	v_min_u32_e32 v24, 32, v7
	v_mov_b32_e32 v23, v5
	v_subrev_u32_e32 v7, 28, v24
	v_lshlrev_b64 v[7:8], v7, v[22:23]
	v_sub_u32_e32 v8, 29, v24
	v_and_b32_e32 v7, 7, v7
	v_cndmask_b32_e64 v8, v11, v8, s[0:1]
	v_cndmask_b32_e64 v7, v22, v7, s[0:1]
	v_lshlrev_b32_sdwa v11, v49, v15 dst_sel:DWORD dst_unused:UNUSED_PAD src0_sel:DWORD src1_sel:BYTE_3
	v_lshl_add_u32 v8, v8, 23, v47
	v_and_or_b32 v8, v11, s26, v8
	v_lshlrev_b32_e32 v7, 20, v7
	v_or_b32_e32 v23, v8, v7
	v_mov_b32_e32 v22, v5
.LBB212_544:                            ;   in Loop: Header=BB212_366 Depth=1
	s_or_b64 exec, exec, s[14:15]
.LBB212_545:                            ;   in Loop: Header=BB212_366 Depth=1
	s_or_b64 exec, exec, s[12:13]
.LBB212_546:                            ;   in Loop: Header=BB212_366 Depth=1
	s_or_b64 exec, exec, s[6:7]
	v_or_b32_e32 v7, v19, v17
	v_or_b32_e32 v8, v18, v16
	v_mul_f32_e32 v7, s18, v7
	buffer_store_dword v7, off, s[48:51], 0 offset:188 ; 4-byte Folded Spill
	v_mul_f32_e32 v7, s17, v8
	buffer_store_dword v7, off, s[48:51], 0 offset:212 ; 4-byte Folded Spill
	v_or_b32_e32 v7, v23, v21
	v_or_b32_e32 v8, v22, v20
	v_mul_f32_e32 v8, s17, v8
	v_mul_f32_e32 v7, s18, v7
	buffer_store_dword v8, off, s[48:51], 0 offset:204 ; 4-byte Folded Spill
	buffer_store_dword v7, off, s[48:51], 0 offset:196 ; 4-byte Folded Spill
	s_and_saveexec_b64 s[6:7], vcc
	s_cbranch_execz .LBB212_548
; %bb.547:                              ;   in Loop: Header=BB212_366 Depth=1
	v_add_u32_e32 v7, -3, v42
	v_cmp_gt_i32_e64 s[0:1], s30, v7
	buffer_load_dword v7, off, s[48:51], 0 offset:212 ; 4-byte Folded Reload
	s_waitcnt vmcnt(0)
	v_cndmask_b32_e64 v7, 0, v7, s[0:1]
	buffer_store_dword v7, off, s[48:51], 0 offset:212 ; 4-byte Folded Spill
	v_add_u32_e32 v7, -2, v42
	v_cmp_gt_i32_e64 s[0:1], s30, v7
	buffer_load_dword v7, off, s[48:51], 0 offset:188 ; 4-byte Folded Reload
	s_waitcnt vmcnt(0)
	v_cndmask_b32_e64 v7, 0, v7, s[0:1]
	buffer_store_dword v7, off, s[48:51], 0 offset:188 ; 4-byte Folded Spill
	;; [unrolled: 6-line block ×3, first 2 shown]
	buffer_load_dword v7, off, s[48:51], 0 offset:196 ; 4-byte Folded Reload
	v_cmp_gt_i32_e64 s[0:1], s30, v42
	s_waitcnt vmcnt(0)
	v_cndmask_b32_e64 v7, 0, v7, s[0:1]
	buffer_store_dword v7, off, s[48:51], 0 offset:196 ; 4-byte Folded Spill
.LBB212_548:                            ;   in Loop: Header=BB212_366 Depth=1
	s_or_b64 exec, exec, s[6:7]
	global_load_dword v15, v[13:14], off offset:1792
	v_mov_b32_e32 v18, 0
	v_mov_b32_e32 v16, 0
	;; [unrolled: 1-line block ×4, first 2 shown]
	s_waitcnt vmcnt(0)
	v_cmp_ne_u16_sdwa s[0:1], v15, v5 src0_sel:BYTE_0 src1_sel:DWORD
	s_and_saveexec_b64 s[6:7], s[0:1]
	s_cbranch_execz .LBB212_554
; %bb.549:                              ;   in Loop: Header=BB212_366 Depth=1
	v_bfrev_b32_e32 v16, 1
	v_mov_b32_e32 v17, 0
	v_cmp_ne_u16_sdwa s[0:1], v15, s24 src0_sel:BYTE_0 src1_sel:DWORD
	s_and_saveexec_b64 s[12:13], s[0:1]
	s_cbranch_execz .LBB212_553
; %bb.550:                              ;   in Loop: Header=BB212_366 Depth=1
	v_and_b32_e32 v7, 0x7f, v15
	v_mov_b32_e32 v16, 0x7f800001
	v_mov_b32_e32 v17, 0
	v_cmp_ne_u32_e64 s[0:1], s25, v7
	s_and_saveexec_b64 s[14:15], s[0:1]
	s_cbranch_execz .LBB212_552
; %bb.551:                              ;   in Loop: Header=BB212_366 Depth=1
	v_and_b32_e32 v11, 7, v15
	v_lshrrev_b32_e32 v16, 3, v7
	v_cmp_gt_u32_e64 s[0:1], 8, v7
	v_ffbh_u32_e32 v7, v11
	v_min_u32_e32 v17, 32, v7
	v_subrev_u32_e32 v7, 28, v17
	v_lshlrev_b64 v[7:8], v7, v[15:16]
	v_sub_u32_e32 v8, 29, v17
	v_and_b32_e32 v7, 7, v7
	v_cndmask_b32_e64 v8, v16, v8, s[0:1]
	v_cndmask_b32_e64 v7, v11, v7, s[0:1]
	v_lshlrev_b32_e32 v7, 20, v7
	v_and_b32_sdwa v11, sext(v15), s26 dst_sel:DWORD dst_unused:UNUSED_PAD src0_sel:BYTE_0 src1_sel:DWORD
	v_lshl_add_u32 v8, v8, 23, v47
	v_or3_b32 v16, v11, v8, v7
	v_mov_b32_e32 v17, v5
.LBB212_552:                            ;   in Loop: Header=BB212_366 Depth=1
	s_or_b64 exec, exec, s[14:15]
.LBB212_553:                            ;   in Loop: Header=BB212_366 Depth=1
	s_or_b64 exec, exec, s[12:13]
.LBB212_554:                            ;   in Loop: Header=BB212_366 Depth=1
	s_or_b64 exec, exec, s[6:7]
	v_cmp_ne_u16_sdwa s[0:1], v15, v5 src0_sel:BYTE_1 src1_sel:DWORD
	s_and_saveexec_b64 s[6:7], s[0:1]
	s_cbranch_execz .LBB212_560
; %bb.555:                              ;   in Loop: Header=BB212_366 Depth=1
	v_mov_b32_e32 v19, v6
	v_cmp_ne_u16_sdwa s[0:1], v15, s24 src0_sel:BYTE_1 src1_sel:DWORD
	v_mov_b32_e32 v18, v5
	s_and_saveexec_b64 s[12:13], s[0:1]
	s_cbranch_execz .LBB212_559
; %bb.556:                              ;   in Loop: Header=BB212_366 Depth=1
	v_and_b32_sdwa v7, v15, s25 dst_sel:DWORD dst_unused:UNUSED_PAD src0_sel:BYTE_1 src1_sel:DWORD
	v_mov_b32_e32 v11, v5
	v_mov_b32_e32 v19, v12
	v_cmp_ne_u32_e64 s[0:1], s25, v7
	v_mov_b32_e32 v18, v11
	s_and_saveexec_b64 s[14:15], s[0:1]
	s_cbranch_execz .LBB212_558
; %bb.557:                              ;   in Loop: Header=BB212_366 Depth=1
	v_and_b32_sdwa v18, v15, v50 dst_sel:DWORD dst_unused:UNUSED_PAD src0_sel:BYTE_1 src1_sel:DWORD
	v_lshrrev_b32_e32 v11, 3, v7
	v_cmp_gt_u32_e64 s[0:1], 8, v7
	v_ffbh_u32_e32 v7, v18
	v_min_u32_e32 v20, 32, v7
	v_mov_b32_e32 v19, v5
	v_subrev_u32_e32 v7, 28, v20
	v_lshlrev_b64 v[7:8], v7, v[18:19]
	v_sub_u32_e32 v8, 29, v20
	v_and_b32_e32 v7, 7, v7
	v_cndmask_b32_e64 v8, v11, v8, s[0:1]
	v_cndmask_b32_e64 v7, v18, v7, s[0:1]
	v_lshlrev_b32_e32 v11, 16, v15
	v_lshl_add_u32 v8, v8, 23, v47
	v_and_or_b32 v8, v11, s26, v8
	v_lshlrev_b32_e32 v7, 20, v7
	v_or_b32_e32 v19, v8, v7
	v_mov_b32_e32 v18, v5
.LBB212_558:                            ;   in Loop: Header=BB212_366 Depth=1
	s_or_b64 exec, exec, s[14:15]
.LBB212_559:                            ;   in Loop: Header=BB212_366 Depth=1
	s_or_b64 exec, exec, s[12:13]
.LBB212_560:                            ;   in Loop: Header=BB212_366 Depth=1
	s_or_b64 exec, exec, s[6:7]
	v_lshrrev_b32_e32 v11, 16, v15
	v_mov_b32_e32 v22, 0
	v_mov_b32_e32 v20, 0
	;; [unrolled: 1-line block ×4, first 2 shown]
	v_cmp_ne_u16_sdwa s[0:1], v11, v5 src0_sel:BYTE_0 src1_sel:DWORD
	s_and_saveexec_b64 s[6:7], s[0:1]
	s_cbranch_execz .LBB212_566
; %bb.561:                              ;   in Loop: Header=BB212_366 Depth=1
	v_bfrev_b32_e32 v20, 1
	v_mov_b32_e32 v21, 0
	v_cmp_ne_u16_sdwa s[0:1], v11, s24 src0_sel:BYTE_0 src1_sel:DWORD
	s_and_saveexec_b64 s[12:13], s[0:1]
	s_cbranch_execz .LBB212_565
; %bb.562:                              ;   in Loop: Header=BB212_366 Depth=1
	v_bfe_u32 v7, v15, 16, 7
	v_mov_b32_e32 v20, 0x7f800001
	v_mov_b32_e32 v21, 0
	v_cmp_ne_u32_e64 s[0:1], s25, v7
	s_and_saveexec_b64 s[14:15], s[0:1]
	s_cbranch_execz .LBB212_564
; %bb.563:                              ;   in Loop: Header=BB212_366 Depth=1
	v_and_b32_e32 v20, 7, v11
	v_lshrrev_b32_e32 v21, 3, v7
	v_cmp_gt_u32_e64 s[0:1], 8, v7
	v_ffbh_u32_e32 v7, v20
	v_min_u32_e32 v24, 32, v7
	v_subrev_u32_e32 v7, 28, v24
	v_lshlrev_b64 v[7:8], v7, v[11:12]
	v_sub_u32_e32 v8, 29, v24
	v_and_b32_e32 v7, 7, v7
	v_cndmask_b32_e64 v8, v21, v8, s[0:1]
	v_cndmask_b32_e64 v7, v20, v7, s[0:1]
	v_lshlrev_b32_e32 v7, 20, v7
	v_and_b32_sdwa v11, sext(v11), s26 dst_sel:DWORD dst_unused:UNUSED_PAD src0_sel:BYTE_0 src1_sel:DWORD
	v_lshl_add_u32 v8, v8, 23, v47
	v_or3_b32 v20, v11, v8, v7
	v_mov_b32_e32 v21, v5
.LBB212_564:                            ;   in Loop: Header=BB212_366 Depth=1
	s_or_b64 exec, exec, s[14:15]
.LBB212_565:                            ;   in Loop: Header=BB212_366 Depth=1
	s_or_b64 exec, exec, s[12:13]
.LBB212_566:                            ;   in Loop: Header=BB212_366 Depth=1
	s_or_b64 exec, exec, s[6:7]
	v_cmp_lt_u32_e64 s[0:1], s27, v15
	s_and_saveexec_b64 s[6:7], s[0:1]
	s_cbranch_execz .LBB212_572
; %bb.567:                              ;   in Loop: Header=BB212_366 Depth=1
	v_mov_b32_e32 v23, v6
	v_cmp_ne_u32_sdwa s[0:1], v15, s24 src0_sel:BYTE_3 src1_sel:DWORD
	v_mov_b32_e32 v22, v5
	s_and_saveexec_b64 s[12:13], s[0:1]
	s_cbranch_execz .LBB212_571
; %bb.568:                              ;   in Loop: Header=BB212_366 Depth=1
	v_bfe_u32 v7, v15, 24, 7
	v_mov_b32_e32 v11, v5
	v_mov_b32_e32 v23, v12
	v_cmp_ne_u32_e64 s[0:1], s25, v7
	v_mov_b32_e32 v22, v11
	s_and_saveexec_b64 s[14:15], s[0:1]
	s_cbranch_execz .LBB212_570
; %bb.569:                              ;   in Loop: Header=BB212_366 Depth=1
	v_and_b32_sdwa v22, v15, v50 dst_sel:DWORD dst_unused:UNUSED_PAD src0_sel:BYTE_3 src1_sel:DWORD
	v_lshrrev_b32_e32 v11, 3, v7
	v_cmp_gt_u32_e64 s[0:1], 8, v7
	v_ffbh_u32_e32 v7, v22
	v_min_u32_e32 v24, 32, v7
	v_mov_b32_e32 v23, v5
	v_subrev_u32_e32 v7, 28, v24
	v_lshlrev_b64 v[7:8], v7, v[22:23]
	v_sub_u32_e32 v8, 29, v24
	v_and_b32_e32 v7, 7, v7
	v_cndmask_b32_e64 v8, v11, v8, s[0:1]
	v_cndmask_b32_e64 v7, v22, v7, s[0:1]
	v_lshlrev_b32_sdwa v11, v49, v15 dst_sel:DWORD dst_unused:UNUSED_PAD src0_sel:DWORD src1_sel:BYTE_3
	v_lshl_add_u32 v8, v8, 23, v47
	v_and_or_b32 v8, v11, s26, v8
	v_lshlrev_b32_e32 v7, 20, v7
	v_or_b32_e32 v23, v8, v7
	v_mov_b32_e32 v22, v5
.LBB212_570:                            ;   in Loop: Header=BB212_366 Depth=1
	s_or_b64 exec, exec, s[14:15]
.LBB212_571:                            ;   in Loop: Header=BB212_366 Depth=1
	s_or_b64 exec, exec, s[12:13]
.LBB212_572:                            ;   in Loop: Header=BB212_366 Depth=1
	s_or_b64 exec, exec, s[6:7]
	v_or_b32_e32 v7, v19, v17
	v_or_b32_e32 v8, v18, v16
	v_mul_f32_e32 v54, s18, v7
	v_mul_f32_e32 v57, s17, v8
	v_or_b32_e32 v7, v23, v21
	v_or_b32_e32 v8, v22, v20
	v_mul_f32_e32 v56, s17, v8
	v_mul_f32_e32 v55, s18, v7
	s_and_saveexec_b64 s[6:7], vcc
	s_cbranch_execz .LBB212_574
; %bb.573:                              ;   in Loop: Header=BB212_366 Depth=1
	v_add_u32_e32 v7, -3, v42
	v_cmp_gt_i32_e64 s[0:1], s30, v7
	v_add_u32_e32 v7, -2, v42
	v_cndmask_b32_e64 v57, 0, v57, s[0:1]
	v_cmp_gt_i32_e64 s[0:1], s30, v7
	v_add_u32_e32 v7, -1, v42
	v_cndmask_b32_e64 v54, 0, v54, s[0:1]
	v_cmp_gt_i32_e64 s[0:1], s30, v7
	v_cndmask_b32_e64 v56, 0, v56, s[0:1]
	v_cmp_gt_i32_e64 s[0:1], s30, v42
	v_cndmask_b32_e64 v55, 0, v55, s[0:1]
.LBB212_574:                            ;   in Loop: Header=BB212_366 Depth=1
	s_or_b64 exec, exec, s[6:7]
	global_load_dword v15, v[13:14], off offset:2048
	v_mov_b32_e32 v18, 0
	v_mov_b32_e32 v16, 0
	;; [unrolled: 1-line block ×4, first 2 shown]
	s_waitcnt vmcnt(0)
	v_cmp_ne_u16_sdwa s[0:1], v15, v5 src0_sel:BYTE_0 src1_sel:DWORD
	s_and_saveexec_b64 s[6:7], s[0:1]
	s_cbranch_execz .LBB212_580
; %bb.575:                              ;   in Loop: Header=BB212_366 Depth=1
	v_bfrev_b32_e32 v16, 1
	v_mov_b32_e32 v17, 0
	v_cmp_ne_u16_sdwa s[0:1], v15, s24 src0_sel:BYTE_0 src1_sel:DWORD
	s_and_saveexec_b64 s[12:13], s[0:1]
	s_cbranch_execz .LBB212_579
; %bb.576:                              ;   in Loop: Header=BB212_366 Depth=1
	v_and_b32_e32 v7, 0x7f, v15
	v_mov_b32_e32 v16, 0x7f800001
	v_mov_b32_e32 v17, 0
	v_cmp_ne_u32_e64 s[0:1], s25, v7
	s_and_saveexec_b64 s[14:15], s[0:1]
	s_cbranch_execz .LBB212_578
; %bb.577:                              ;   in Loop: Header=BB212_366 Depth=1
	v_and_b32_e32 v11, 7, v15
	v_lshrrev_b32_e32 v16, 3, v7
	v_cmp_gt_u32_e64 s[0:1], 8, v7
	v_ffbh_u32_e32 v7, v11
	v_min_u32_e32 v17, 32, v7
	v_subrev_u32_e32 v7, 28, v17
	v_lshlrev_b64 v[7:8], v7, v[15:16]
	v_sub_u32_e32 v8, 29, v17
	v_and_b32_e32 v7, 7, v7
	v_cndmask_b32_e64 v8, v16, v8, s[0:1]
	v_cndmask_b32_e64 v7, v11, v7, s[0:1]
	v_lshlrev_b32_e32 v7, 20, v7
	v_and_b32_sdwa v11, sext(v15), s26 dst_sel:DWORD dst_unused:UNUSED_PAD src0_sel:BYTE_0 src1_sel:DWORD
	v_lshl_add_u32 v8, v8, 23, v47
	v_or3_b32 v16, v11, v8, v7
	v_mov_b32_e32 v17, v5
.LBB212_578:                            ;   in Loop: Header=BB212_366 Depth=1
	s_or_b64 exec, exec, s[14:15]
.LBB212_579:                            ;   in Loop: Header=BB212_366 Depth=1
	s_or_b64 exec, exec, s[12:13]
.LBB212_580:                            ;   in Loop: Header=BB212_366 Depth=1
	s_or_b64 exec, exec, s[6:7]
	v_cmp_ne_u16_sdwa s[0:1], v15, v5 src0_sel:BYTE_1 src1_sel:DWORD
	s_and_saveexec_b64 s[6:7], s[0:1]
	s_cbranch_execz .LBB212_586
; %bb.581:                              ;   in Loop: Header=BB212_366 Depth=1
	v_mov_b32_e32 v19, v6
	v_cmp_ne_u16_sdwa s[0:1], v15, s24 src0_sel:BYTE_1 src1_sel:DWORD
	v_mov_b32_e32 v18, v5
	s_and_saveexec_b64 s[12:13], s[0:1]
	s_cbranch_execz .LBB212_585
; %bb.582:                              ;   in Loop: Header=BB212_366 Depth=1
	v_and_b32_sdwa v7, v15, s25 dst_sel:DWORD dst_unused:UNUSED_PAD src0_sel:BYTE_1 src1_sel:DWORD
	v_mov_b32_e32 v11, v5
	v_mov_b32_e32 v19, v12
	v_cmp_ne_u32_e64 s[0:1], s25, v7
	v_mov_b32_e32 v18, v11
	s_and_saveexec_b64 s[14:15], s[0:1]
	s_cbranch_execz .LBB212_584
; %bb.583:                              ;   in Loop: Header=BB212_366 Depth=1
	v_and_b32_sdwa v18, v15, v50 dst_sel:DWORD dst_unused:UNUSED_PAD src0_sel:BYTE_1 src1_sel:DWORD
	v_lshrrev_b32_e32 v11, 3, v7
	v_cmp_gt_u32_e64 s[0:1], 8, v7
	v_ffbh_u32_e32 v7, v18
	v_min_u32_e32 v20, 32, v7
	v_mov_b32_e32 v19, v5
	v_subrev_u32_e32 v7, 28, v20
	v_lshlrev_b64 v[7:8], v7, v[18:19]
	v_sub_u32_e32 v8, 29, v20
	v_and_b32_e32 v7, 7, v7
	v_cndmask_b32_e64 v8, v11, v8, s[0:1]
	v_cndmask_b32_e64 v7, v18, v7, s[0:1]
	v_lshlrev_b32_e32 v11, 16, v15
	v_lshl_add_u32 v8, v8, 23, v47
	v_and_or_b32 v8, v11, s26, v8
	v_lshlrev_b32_e32 v7, 20, v7
	v_or_b32_e32 v19, v8, v7
	v_mov_b32_e32 v18, v5
.LBB212_584:                            ;   in Loop: Header=BB212_366 Depth=1
	s_or_b64 exec, exec, s[14:15]
.LBB212_585:                            ;   in Loop: Header=BB212_366 Depth=1
	s_or_b64 exec, exec, s[12:13]
.LBB212_586:                            ;   in Loop: Header=BB212_366 Depth=1
	s_or_b64 exec, exec, s[6:7]
	v_lshrrev_b32_e32 v11, 16, v15
	v_mov_b32_e32 v22, 0
	v_mov_b32_e32 v20, 0
	;; [unrolled: 1-line block ×4, first 2 shown]
	v_cmp_ne_u16_sdwa s[0:1], v11, v5 src0_sel:BYTE_0 src1_sel:DWORD
	s_and_saveexec_b64 s[6:7], s[0:1]
	s_cbranch_execz .LBB212_592
; %bb.587:                              ;   in Loop: Header=BB212_366 Depth=1
	v_bfrev_b32_e32 v20, 1
	v_mov_b32_e32 v21, 0
	v_cmp_ne_u16_sdwa s[0:1], v11, s24 src0_sel:BYTE_0 src1_sel:DWORD
	s_and_saveexec_b64 s[12:13], s[0:1]
	s_cbranch_execz .LBB212_591
; %bb.588:                              ;   in Loop: Header=BB212_366 Depth=1
	v_bfe_u32 v7, v15, 16, 7
	v_mov_b32_e32 v20, 0x7f800001
	v_mov_b32_e32 v21, 0
	v_cmp_ne_u32_e64 s[0:1], s25, v7
	s_and_saveexec_b64 s[14:15], s[0:1]
	s_cbranch_execz .LBB212_590
; %bb.589:                              ;   in Loop: Header=BB212_366 Depth=1
	v_and_b32_e32 v20, 7, v11
	v_lshrrev_b32_e32 v21, 3, v7
	v_cmp_gt_u32_e64 s[0:1], 8, v7
	v_ffbh_u32_e32 v7, v20
	v_min_u32_e32 v24, 32, v7
	v_subrev_u32_e32 v7, 28, v24
	v_lshlrev_b64 v[7:8], v7, v[11:12]
	v_sub_u32_e32 v8, 29, v24
	v_and_b32_e32 v7, 7, v7
	v_cndmask_b32_e64 v8, v21, v8, s[0:1]
	v_cndmask_b32_e64 v7, v20, v7, s[0:1]
	v_lshlrev_b32_e32 v7, 20, v7
	v_and_b32_sdwa v11, sext(v11), s26 dst_sel:DWORD dst_unused:UNUSED_PAD src0_sel:BYTE_0 src1_sel:DWORD
	v_lshl_add_u32 v8, v8, 23, v47
	v_or3_b32 v20, v11, v8, v7
	v_mov_b32_e32 v21, v5
.LBB212_590:                            ;   in Loop: Header=BB212_366 Depth=1
	s_or_b64 exec, exec, s[14:15]
.LBB212_591:                            ;   in Loop: Header=BB212_366 Depth=1
	s_or_b64 exec, exec, s[12:13]
.LBB212_592:                            ;   in Loop: Header=BB212_366 Depth=1
	s_or_b64 exec, exec, s[6:7]
	v_cmp_lt_u32_e64 s[0:1], s27, v15
	s_and_saveexec_b64 s[6:7], s[0:1]
	s_cbranch_execz .LBB212_598
; %bb.593:                              ;   in Loop: Header=BB212_366 Depth=1
	v_mov_b32_e32 v23, v6
	v_cmp_ne_u32_sdwa s[0:1], v15, s24 src0_sel:BYTE_3 src1_sel:DWORD
	v_mov_b32_e32 v22, v5
	s_and_saveexec_b64 s[12:13], s[0:1]
	s_cbranch_execz .LBB212_597
; %bb.594:                              ;   in Loop: Header=BB212_366 Depth=1
	v_bfe_u32 v7, v15, 24, 7
	v_mov_b32_e32 v11, v5
	v_mov_b32_e32 v23, v12
	v_cmp_ne_u32_e64 s[0:1], s25, v7
	v_mov_b32_e32 v22, v11
	s_and_saveexec_b64 s[14:15], s[0:1]
	s_cbranch_execz .LBB212_596
; %bb.595:                              ;   in Loop: Header=BB212_366 Depth=1
	v_and_b32_sdwa v22, v15, v50 dst_sel:DWORD dst_unused:UNUSED_PAD src0_sel:BYTE_3 src1_sel:DWORD
	v_lshrrev_b32_e32 v11, 3, v7
	v_cmp_gt_u32_e64 s[0:1], 8, v7
	v_ffbh_u32_e32 v7, v22
	v_min_u32_e32 v24, 32, v7
	v_mov_b32_e32 v23, v5
	v_subrev_u32_e32 v7, 28, v24
	v_lshlrev_b64 v[7:8], v7, v[22:23]
	v_sub_u32_e32 v8, 29, v24
	v_and_b32_e32 v7, 7, v7
	v_cndmask_b32_e64 v8, v11, v8, s[0:1]
	v_cndmask_b32_e64 v7, v22, v7, s[0:1]
	v_lshlrev_b32_sdwa v11, v49, v15 dst_sel:DWORD dst_unused:UNUSED_PAD src0_sel:DWORD src1_sel:BYTE_3
	v_lshl_add_u32 v8, v8, 23, v47
	v_and_or_b32 v8, v11, s26, v8
	v_lshlrev_b32_e32 v7, 20, v7
	v_or_b32_e32 v23, v8, v7
	v_mov_b32_e32 v22, v5
.LBB212_596:                            ;   in Loop: Header=BB212_366 Depth=1
	s_or_b64 exec, exec, s[14:15]
.LBB212_597:                            ;   in Loop: Header=BB212_366 Depth=1
	s_or_b64 exec, exec, s[12:13]
.LBB212_598:                            ;   in Loop: Header=BB212_366 Depth=1
	s_or_b64 exec, exec, s[6:7]
	v_or_b32_e32 v7, v19, v17
	v_or_b32_e32 v8, v18, v16
	v_mul_f32_e32 v58, s18, v7
	v_mul_f32_e32 v61, s17, v8
	v_or_b32_e32 v7, v23, v21
	v_or_b32_e32 v8, v22, v20
	v_mul_f32_e32 v60, s17, v8
	v_mul_f32_e32 v59, s18, v7
	s_and_saveexec_b64 s[6:7], vcc
	s_cbranch_execz .LBB212_600
; %bb.599:                              ;   in Loop: Header=BB212_366 Depth=1
	v_add_u32_e32 v7, -3, v42
	v_cmp_gt_i32_e64 s[0:1], s30, v7
	v_add_u32_e32 v7, -2, v42
	v_cndmask_b32_e64 v61, 0, v61, s[0:1]
	v_cmp_gt_i32_e64 s[0:1], s30, v7
	v_add_u32_e32 v7, -1, v42
	v_cndmask_b32_e64 v58, 0, v58, s[0:1]
	v_cmp_gt_i32_e64 s[0:1], s30, v7
	v_cndmask_b32_e64 v60, 0, v60, s[0:1]
	v_cmp_gt_i32_e64 s[0:1], s30, v42
	v_cndmask_b32_e64 v59, 0, v59, s[0:1]
.LBB212_600:                            ;   in Loop: Header=BB212_366 Depth=1
	s_or_b64 exec, exec, s[6:7]
	global_load_dword v15, v[13:14], off offset:2304
	v_mov_b32_e32 v18, 0
	v_mov_b32_e32 v16, 0
	;; [unrolled: 1-line block ×4, first 2 shown]
	s_waitcnt vmcnt(0)
	v_cmp_ne_u16_sdwa s[0:1], v15, v5 src0_sel:BYTE_0 src1_sel:DWORD
	s_and_saveexec_b64 s[6:7], s[0:1]
	s_cbranch_execz .LBB212_606
; %bb.601:                              ;   in Loop: Header=BB212_366 Depth=1
	v_bfrev_b32_e32 v16, 1
	v_mov_b32_e32 v17, 0
	v_cmp_ne_u16_sdwa s[0:1], v15, s24 src0_sel:BYTE_0 src1_sel:DWORD
	s_and_saveexec_b64 s[12:13], s[0:1]
	s_cbranch_execz .LBB212_605
; %bb.602:                              ;   in Loop: Header=BB212_366 Depth=1
	v_and_b32_e32 v7, 0x7f, v15
	v_mov_b32_e32 v16, 0x7f800001
	v_mov_b32_e32 v17, 0
	v_cmp_ne_u32_e64 s[0:1], s25, v7
	s_and_saveexec_b64 s[14:15], s[0:1]
	s_cbranch_execz .LBB212_604
; %bb.603:                              ;   in Loop: Header=BB212_366 Depth=1
	v_and_b32_e32 v11, 7, v15
	v_lshrrev_b32_e32 v16, 3, v7
	v_cmp_gt_u32_e64 s[0:1], 8, v7
	v_ffbh_u32_e32 v7, v11
	v_min_u32_e32 v17, 32, v7
	v_subrev_u32_e32 v7, 28, v17
	v_lshlrev_b64 v[7:8], v7, v[15:16]
	v_sub_u32_e32 v8, 29, v17
	v_and_b32_e32 v7, 7, v7
	v_cndmask_b32_e64 v8, v16, v8, s[0:1]
	v_cndmask_b32_e64 v7, v11, v7, s[0:1]
	v_lshlrev_b32_e32 v7, 20, v7
	v_and_b32_sdwa v11, sext(v15), s26 dst_sel:DWORD dst_unused:UNUSED_PAD src0_sel:BYTE_0 src1_sel:DWORD
	v_lshl_add_u32 v8, v8, 23, v47
	v_or3_b32 v16, v11, v8, v7
	v_mov_b32_e32 v17, v5
.LBB212_604:                            ;   in Loop: Header=BB212_366 Depth=1
	s_or_b64 exec, exec, s[14:15]
.LBB212_605:                            ;   in Loop: Header=BB212_366 Depth=1
	s_or_b64 exec, exec, s[12:13]
.LBB212_606:                            ;   in Loop: Header=BB212_366 Depth=1
	s_or_b64 exec, exec, s[6:7]
	v_cmp_ne_u16_sdwa s[0:1], v15, v5 src0_sel:BYTE_1 src1_sel:DWORD
	s_and_saveexec_b64 s[6:7], s[0:1]
	s_cbranch_execz .LBB212_612
; %bb.607:                              ;   in Loop: Header=BB212_366 Depth=1
	v_mov_b32_e32 v19, v6
	v_cmp_ne_u16_sdwa s[0:1], v15, s24 src0_sel:BYTE_1 src1_sel:DWORD
	v_mov_b32_e32 v18, v5
	s_and_saveexec_b64 s[12:13], s[0:1]
	s_cbranch_execz .LBB212_611
; %bb.608:                              ;   in Loop: Header=BB212_366 Depth=1
	v_and_b32_sdwa v7, v15, s25 dst_sel:DWORD dst_unused:UNUSED_PAD src0_sel:BYTE_1 src1_sel:DWORD
	v_mov_b32_e32 v11, v5
	v_mov_b32_e32 v19, v12
	v_cmp_ne_u32_e64 s[0:1], s25, v7
	v_mov_b32_e32 v18, v11
	s_and_saveexec_b64 s[14:15], s[0:1]
	s_cbranch_execz .LBB212_610
; %bb.609:                              ;   in Loop: Header=BB212_366 Depth=1
	v_and_b32_sdwa v18, v15, v50 dst_sel:DWORD dst_unused:UNUSED_PAD src0_sel:BYTE_1 src1_sel:DWORD
	v_lshrrev_b32_e32 v11, 3, v7
	v_cmp_gt_u32_e64 s[0:1], 8, v7
	v_ffbh_u32_e32 v7, v18
	v_min_u32_e32 v20, 32, v7
	v_mov_b32_e32 v19, v5
	v_subrev_u32_e32 v7, 28, v20
	v_lshlrev_b64 v[7:8], v7, v[18:19]
	v_sub_u32_e32 v8, 29, v20
	v_and_b32_e32 v7, 7, v7
	v_cndmask_b32_e64 v8, v11, v8, s[0:1]
	v_cndmask_b32_e64 v7, v18, v7, s[0:1]
	v_lshlrev_b32_e32 v11, 16, v15
	v_lshl_add_u32 v8, v8, 23, v47
	v_and_or_b32 v8, v11, s26, v8
	v_lshlrev_b32_e32 v7, 20, v7
	v_or_b32_e32 v19, v8, v7
	v_mov_b32_e32 v18, v5
.LBB212_610:                            ;   in Loop: Header=BB212_366 Depth=1
	s_or_b64 exec, exec, s[14:15]
.LBB212_611:                            ;   in Loop: Header=BB212_366 Depth=1
	s_or_b64 exec, exec, s[12:13]
.LBB212_612:                            ;   in Loop: Header=BB212_366 Depth=1
	s_or_b64 exec, exec, s[6:7]
	v_lshrrev_b32_e32 v11, 16, v15
	v_mov_b32_e32 v22, 0
	v_mov_b32_e32 v20, 0
	;; [unrolled: 1-line block ×4, first 2 shown]
	v_cmp_ne_u16_sdwa s[0:1], v11, v5 src0_sel:BYTE_0 src1_sel:DWORD
	s_and_saveexec_b64 s[6:7], s[0:1]
	s_cbranch_execz .LBB212_618
; %bb.613:                              ;   in Loop: Header=BB212_366 Depth=1
	v_bfrev_b32_e32 v20, 1
	v_mov_b32_e32 v21, 0
	v_cmp_ne_u16_sdwa s[0:1], v11, s24 src0_sel:BYTE_0 src1_sel:DWORD
	s_and_saveexec_b64 s[12:13], s[0:1]
	s_cbranch_execz .LBB212_617
; %bb.614:                              ;   in Loop: Header=BB212_366 Depth=1
	v_bfe_u32 v7, v15, 16, 7
	v_mov_b32_e32 v20, 0x7f800001
	v_mov_b32_e32 v21, 0
	v_cmp_ne_u32_e64 s[0:1], s25, v7
	s_and_saveexec_b64 s[14:15], s[0:1]
	s_cbranch_execz .LBB212_616
; %bb.615:                              ;   in Loop: Header=BB212_366 Depth=1
	v_and_b32_e32 v20, 7, v11
	v_lshrrev_b32_e32 v21, 3, v7
	v_cmp_gt_u32_e64 s[0:1], 8, v7
	v_ffbh_u32_e32 v7, v20
	v_min_u32_e32 v24, 32, v7
	v_subrev_u32_e32 v7, 28, v24
	v_lshlrev_b64 v[7:8], v7, v[11:12]
	v_sub_u32_e32 v8, 29, v24
	v_and_b32_e32 v7, 7, v7
	v_cndmask_b32_e64 v8, v21, v8, s[0:1]
	v_cndmask_b32_e64 v7, v20, v7, s[0:1]
	v_lshlrev_b32_e32 v7, 20, v7
	v_and_b32_sdwa v11, sext(v11), s26 dst_sel:DWORD dst_unused:UNUSED_PAD src0_sel:BYTE_0 src1_sel:DWORD
	v_lshl_add_u32 v8, v8, 23, v47
	v_or3_b32 v20, v11, v8, v7
	v_mov_b32_e32 v21, v5
.LBB212_616:                            ;   in Loop: Header=BB212_366 Depth=1
	s_or_b64 exec, exec, s[14:15]
.LBB212_617:                            ;   in Loop: Header=BB212_366 Depth=1
	s_or_b64 exec, exec, s[12:13]
.LBB212_618:                            ;   in Loop: Header=BB212_366 Depth=1
	s_or_b64 exec, exec, s[6:7]
	v_cmp_lt_u32_e64 s[0:1], s27, v15
	s_and_saveexec_b64 s[6:7], s[0:1]
	s_cbranch_execz .LBB212_624
; %bb.619:                              ;   in Loop: Header=BB212_366 Depth=1
	v_mov_b32_e32 v23, v6
	v_cmp_ne_u32_sdwa s[0:1], v15, s24 src0_sel:BYTE_3 src1_sel:DWORD
	v_mov_b32_e32 v22, v5
	s_and_saveexec_b64 s[12:13], s[0:1]
	s_cbranch_execz .LBB212_623
; %bb.620:                              ;   in Loop: Header=BB212_366 Depth=1
	v_bfe_u32 v7, v15, 24, 7
	v_mov_b32_e32 v11, v5
	v_mov_b32_e32 v23, v12
	v_cmp_ne_u32_e64 s[0:1], s25, v7
	v_mov_b32_e32 v22, v11
	s_and_saveexec_b64 s[14:15], s[0:1]
	s_cbranch_execz .LBB212_622
; %bb.621:                              ;   in Loop: Header=BB212_366 Depth=1
	v_and_b32_sdwa v22, v15, v50 dst_sel:DWORD dst_unused:UNUSED_PAD src0_sel:BYTE_3 src1_sel:DWORD
	v_lshrrev_b32_e32 v11, 3, v7
	v_cmp_gt_u32_e64 s[0:1], 8, v7
	v_ffbh_u32_e32 v7, v22
	v_min_u32_e32 v24, 32, v7
	v_mov_b32_e32 v23, v5
	v_subrev_u32_e32 v7, 28, v24
	v_lshlrev_b64 v[7:8], v7, v[22:23]
	v_sub_u32_e32 v8, 29, v24
	v_and_b32_e32 v7, 7, v7
	v_cndmask_b32_e64 v8, v11, v8, s[0:1]
	v_cndmask_b32_e64 v7, v22, v7, s[0:1]
	v_lshlrev_b32_sdwa v11, v49, v15 dst_sel:DWORD dst_unused:UNUSED_PAD src0_sel:DWORD src1_sel:BYTE_3
	v_lshl_add_u32 v8, v8, 23, v47
	v_and_or_b32 v8, v11, s26, v8
	v_lshlrev_b32_e32 v7, 20, v7
	v_or_b32_e32 v23, v8, v7
	v_mov_b32_e32 v22, v5
.LBB212_622:                            ;   in Loop: Header=BB212_366 Depth=1
	s_or_b64 exec, exec, s[14:15]
.LBB212_623:                            ;   in Loop: Header=BB212_366 Depth=1
	s_or_b64 exec, exec, s[12:13]
.LBB212_624:                            ;   in Loop: Header=BB212_366 Depth=1
	s_or_b64 exec, exec, s[6:7]
	v_or_b32_e32 v7, v19, v17
	v_or_b32_e32 v8, v18, v16
	v_mul_f32_e32 v62, s18, v7
	v_mul_f32_e32 v24, s17, v8
	v_or_b32_e32 v7, v23, v21
	v_or_b32_e32 v8, v22, v20
	v_mul_f32_e32 v28, s17, v8
	v_mul_f32_e32 v63, s18, v7
	s_and_saveexec_b64 s[6:7], vcc
	s_cbranch_execz .LBB212_626
; %bb.625:                              ;   in Loop: Header=BB212_366 Depth=1
	v_add_u32_e32 v7, -3, v42
	v_cmp_gt_i32_e64 s[0:1], s30, v7
	v_add_u32_e32 v7, -2, v42
	v_cndmask_b32_e64 v24, 0, v24, s[0:1]
	v_cmp_gt_i32_e64 s[0:1], s30, v7
	v_add_u32_e32 v7, -1, v42
	v_cndmask_b32_e64 v62, 0, v62, s[0:1]
	v_cmp_gt_i32_e64 s[0:1], s30, v7
	v_cndmask_b32_e64 v28, 0, v28, s[0:1]
	v_cmp_gt_i32_e64 s[0:1], s30, v42
	v_cndmask_b32_e64 v63, 0, v63, s[0:1]
.LBB212_626:                            ;   in Loop: Header=BB212_366 Depth=1
	s_or_b64 exec, exec, s[6:7]
	global_load_dword v15, v[13:14], off offset:2560
	v_mov_b32_e32 v18, 0
	v_mov_b32_e32 v16, 0
	;; [unrolled: 1-line block ×4, first 2 shown]
	s_waitcnt vmcnt(0)
	v_cmp_ne_u16_sdwa s[0:1], v15, v5 src0_sel:BYTE_0 src1_sel:DWORD
	s_and_saveexec_b64 s[6:7], s[0:1]
	s_cbranch_execz .LBB212_632
; %bb.627:                              ;   in Loop: Header=BB212_366 Depth=1
	v_bfrev_b32_e32 v16, 1
	v_mov_b32_e32 v17, 0
	v_cmp_ne_u16_sdwa s[0:1], v15, s24 src0_sel:BYTE_0 src1_sel:DWORD
	s_and_saveexec_b64 s[12:13], s[0:1]
	s_cbranch_execz .LBB212_631
; %bb.628:                              ;   in Loop: Header=BB212_366 Depth=1
	v_and_b32_e32 v7, 0x7f, v15
	v_mov_b32_e32 v16, 0x7f800001
	v_mov_b32_e32 v17, 0
	v_cmp_ne_u32_e64 s[0:1], s25, v7
	s_and_saveexec_b64 s[14:15], s[0:1]
	s_cbranch_execz .LBB212_630
; %bb.629:                              ;   in Loop: Header=BB212_366 Depth=1
	v_and_b32_e32 v11, 7, v15
	v_lshrrev_b32_e32 v16, 3, v7
	v_cmp_gt_u32_e64 s[0:1], 8, v7
	v_ffbh_u32_e32 v7, v11
	v_min_u32_e32 v17, 32, v7
	v_subrev_u32_e32 v7, 28, v17
	v_lshlrev_b64 v[7:8], v7, v[15:16]
	v_sub_u32_e32 v8, 29, v17
	v_and_b32_e32 v7, 7, v7
	v_cndmask_b32_e64 v8, v16, v8, s[0:1]
	v_cndmask_b32_e64 v7, v11, v7, s[0:1]
	v_lshlrev_b32_e32 v7, 20, v7
	v_and_b32_sdwa v11, sext(v15), s26 dst_sel:DWORD dst_unused:UNUSED_PAD src0_sel:BYTE_0 src1_sel:DWORD
	v_lshl_add_u32 v8, v8, 23, v47
	v_or3_b32 v16, v11, v8, v7
	v_mov_b32_e32 v17, v5
.LBB212_630:                            ;   in Loop: Header=BB212_366 Depth=1
	s_or_b64 exec, exec, s[14:15]
.LBB212_631:                            ;   in Loop: Header=BB212_366 Depth=1
	s_or_b64 exec, exec, s[12:13]
.LBB212_632:                            ;   in Loop: Header=BB212_366 Depth=1
	s_or_b64 exec, exec, s[6:7]
	v_cmp_ne_u16_sdwa s[0:1], v15, v5 src0_sel:BYTE_1 src1_sel:DWORD
	s_and_saveexec_b64 s[6:7], s[0:1]
	s_cbranch_execz .LBB212_638
; %bb.633:                              ;   in Loop: Header=BB212_366 Depth=1
	v_mov_b32_e32 v19, v6
	v_cmp_ne_u16_sdwa s[0:1], v15, s24 src0_sel:BYTE_1 src1_sel:DWORD
	v_mov_b32_e32 v18, v5
	s_and_saveexec_b64 s[12:13], s[0:1]
	s_cbranch_execz .LBB212_637
; %bb.634:                              ;   in Loop: Header=BB212_366 Depth=1
	v_and_b32_sdwa v7, v15, s25 dst_sel:DWORD dst_unused:UNUSED_PAD src0_sel:BYTE_1 src1_sel:DWORD
	v_mov_b32_e32 v11, v5
	v_mov_b32_e32 v19, v12
	v_cmp_ne_u32_e64 s[0:1], s25, v7
	v_mov_b32_e32 v18, v11
	s_and_saveexec_b64 s[14:15], s[0:1]
	s_cbranch_execz .LBB212_636
; %bb.635:                              ;   in Loop: Header=BB212_366 Depth=1
	v_and_b32_sdwa v18, v15, v50 dst_sel:DWORD dst_unused:UNUSED_PAD src0_sel:BYTE_1 src1_sel:DWORD
	v_lshrrev_b32_e32 v11, 3, v7
	v_cmp_gt_u32_e64 s[0:1], 8, v7
	v_ffbh_u32_e32 v7, v18
	v_min_u32_e32 v20, 32, v7
	v_mov_b32_e32 v19, v5
	v_subrev_u32_e32 v7, 28, v20
	v_lshlrev_b64 v[7:8], v7, v[18:19]
	v_sub_u32_e32 v8, 29, v20
	v_and_b32_e32 v7, 7, v7
	v_cndmask_b32_e64 v8, v11, v8, s[0:1]
	v_cndmask_b32_e64 v7, v18, v7, s[0:1]
	v_lshlrev_b32_e32 v11, 16, v15
	v_lshl_add_u32 v8, v8, 23, v47
	v_and_or_b32 v8, v11, s26, v8
	v_lshlrev_b32_e32 v7, 20, v7
	v_or_b32_e32 v19, v8, v7
	v_mov_b32_e32 v18, v5
.LBB212_636:                            ;   in Loop: Header=BB212_366 Depth=1
	s_or_b64 exec, exec, s[14:15]
.LBB212_637:                            ;   in Loop: Header=BB212_366 Depth=1
	s_or_b64 exec, exec, s[12:13]
.LBB212_638:                            ;   in Loop: Header=BB212_366 Depth=1
	s_or_b64 exec, exec, s[6:7]
	v_lshrrev_b32_e32 v11, 16, v15
	v_mov_b32_e32 v22, 0
	v_mov_b32_e32 v20, 0
	;; [unrolled: 1-line block ×4, first 2 shown]
	v_cmp_ne_u16_sdwa s[0:1], v11, v5 src0_sel:BYTE_0 src1_sel:DWORD
	s_and_saveexec_b64 s[6:7], s[0:1]
	s_cbranch_execz .LBB212_644
; %bb.639:                              ;   in Loop: Header=BB212_366 Depth=1
	v_bfrev_b32_e32 v20, 1
	v_mov_b32_e32 v21, 0
	v_cmp_ne_u16_sdwa s[0:1], v11, s24 src0_sel:BYTE_0 src1_sel:DWORD
	s_and_saveexec_b64 s[12:13], s[0:1]
	s_cbranch_execz .LBB212_643
; %bb.640:                              ;   in Loop: Header=BB212_366 Depth=1
	v_bfe_u32 v7, v15, 16, 7
	v_mov_b32_e32 v20, 0x7f800001
	v_mov_b32_e32 v21, 0
	v_cmp_ne_u32_e64 s[0:1], s25, v7
	s_and_saveexec_b64 s[14:15], s[0:1]
	s_cbranch_execz .LBB212_642
; %bb.641:                              ;   in Loop: Header=BB212_366 Depth=1
	v_and_b32_e32 v20, 7, v11
	v_lshrrev_b32_e32 v21, 3, v7
	v_cmp_gt_u32_e64 s[0:1], 8, v7
	v_ffbh_u32_e32 v7, v20
	v_min_u32_e32 v25, 32, v7
	v_subrev_u32_e32 v7, 28, v25
	v_lshlrev_b64 v[7:8], v7, v[11:12]
	v_sub_u32_e32 v8, 29, v25
	v_and_b32_e32 v7, 7, v7
	v_cndmask_b32_e64 v8, v21, v8, s[0:1]
	v_cndmask_b32_e64 v7, v20, v7, s[0:1]
	v_lshlrev_b32_e32 v7, 20, v7
	v_and_b32_sdwa v11, sext(v11), s26 dst_sel:DWORD dst_unused:UNUSED_PAD src0_sel:BYTE_0 src1_sel:DWORD
	v_lshl_add_u32 v8, v8, 23, v47
	v_or3_b32 v20, v11, v8, v7
	v_mov_b32_e32 v21, v5
.LBB212_642:                            ;   in Loop: Header=BB212_366 Depth=1
	s_or_b64 exec, exec, s[14:15]
.LBB212_643:                            ;   in Loop: Header=BB212_366 Depth=1
	s_or_b64 exec, exec, s[12:13]
.LBB212_644:                            ;   in Loop: Header=BB212_366 Depth=1
	s_or_b64 exec, exec, s[6:7]
	v_cmp_lt_u32_e64 s[0:1], s27, v15
	s_and_saveexec_b64 s[6:7], s[0:1]
	s_cbranch_execz .LBB212_650
; %bb.645:                              ;   in Loop: Header=BB212_366 Depth=1
	v_mov_b32_e32 v23, v6
	v_cmp_ne_u32_sdwa s[0:1], v15, s24 src0_sel:BYTE_3 src1_sel:DWORD
	v_mov_b32_e32 v22, v5
	s_and_saveexec_b64 s[12:13], s[0:1]
	s_cbranch_execz .LBB212_649
; %bb.646:                              ;   in Loop: Header=BB212_366 Depth=1
	v_bfe_u32 v7, v15, 24, 7
	v_mov_b32_e32 v11, v5
	v_mov_b32_e32 v23, v12
	v_cmp_ne_u32_e64 s[0:1], s25, v7
	v_mov_b32_e32 v22, v11
	s_and_saveexec_b64 s[14:15], s[0:1]
	s_cbranch_execz .LBB212_648
; %bb.647:                              ;   in Loop: Header=BB212_366 Depth=1
	v_and_b32_sdwa v22, v15, v50 dst_sel:DWORD dst_unused:UNUSED_PAD src0_sel:BYTE_3 src1_sel:DWORD
	v_lshrrev_b32_e32 v11, 3, v7
	v_cmp_gt_u32_e64 s[0:1], 8, v7
	v_ffbh_u32_e32 v7, v22
	v_min_u32_e32 v25, 32, v7
	v_mov_b32_e32 v23, v5
	v_subrev_u32_e32 v7, 28, v25
	v_lshlrev_b64 v[7:8], v7, v[22:23]
	v_sub_u32_e32 v8, 29, v25
	v_and_b32_e32 v7, 7, v7
	v_cndmask_b32_e64 v8, v11, v8, s[0:1]
	v_cndmask_b32_e64 v7, v22, v7, s[0:1]
	v_lshlrev_b32_sdwa v11, v49, v15 dst_sel:DWORD dst_unused:UNUSED_PAD src0_sel:DWORD src1_sel:BYTE_3
	v_lshl_add_u32 v8, v8, 23, v47
	v_and_or_b32 v8, v11, s26, v8
	v_lshlrev_b32_e32 v7, 20, v7
	v_or_b32_e32 v23, v8, v7
	v_mov_b32_e32 v22, v5
.LBB212_648:                            ;   in Loop: Header=BB212_366 Depth=1
	s_or_b64 exec, exec, s[14:15]
.LBB212_649:                            ;   in Loop: Header=BB212_366 Depth=1
	s_or_b64 exec, exec, s[12:13]
.LBB212_650:                            ;   in Loop: Header=BB212_366 Depth=1
	s_or_b64 exec, exec, s[6:7]
	v_or_b32_e32 v7, v19, v17
	v_or_b32_e32 v8, v18, v16
	v_mul_f32_e32 v51, s18, v7
	v_mul_f32_e32 v46, s17, v8
	v_or_b32_e32 v7, v23, v21
	v_or_b32_e32 v8, v22, v20
	v_mul_f32_e32 v53, s17, v8
	v_mul_f32_e32 v52, s18, v7
	s_and_saveexec_b64 s[6:7], vcc
	s_cbranch_execz .LBB212_652
; %bb.651:                              ;   in Loop: Header=BB212_366 Depth=1
	v_add_u32_e32 v7, -3, v42
	v_cmp_gt_i32_e64 s[0:1], s30, v7
	v_add_u32_e32 v7, -2, v42
	v_cndmask_b32_e64 v46, 0, v46, s[0:1]
	v_cmp_gt_i32_e64 s[0:1], s30, v7
	v_add_u32_e32 v7, -1, v42
	v_cndmask_b32_e64 v51, 0, v51, s[0:1]
	v_cmp_gt_i32_e64 s[0:1], s30, v7
	v_cndmask_b32_e64 v53, 0, v53, s[0:1]
	v_cmp_gt_i32_e64 s[0:1], s30, v42
	v_cndmask_b32_e64 v52, 0, v52, s[0:1]
.LBB212_652:                            ;   in Loop: Header=BB212_366 Depth=1
	s_or_b64 exec, exec, s[6:7]
	global_load_dword v15, v[13:14], off offset:2816
	v_mov_b32_e32 v18, 0
	v_mov_b32_e32 v16, 0
	;; [unrolled: 1-line block ×4, first 2 shown]
	s_waitcnt vmcnt(0)
	v_cmp_ne_u16_sdwa s[0:1], v15, v5 src0_sel:BYTE_0 src1_sel:DWORD
	s_and_saveexec_b64 s[6:7], s[0:1]
	s_cbranch_execz .LBB212_658
; %bb.653:                              ;   in Loop: Header=BB212_366 Depth=1
	v_bfrev_b32_e32 v16, 1
	v_mov_b32_e32 v17, 0
	v_cmp_ne_u16_sdwa s[0:1], v15, s24 src0_sel:BYTE_0 src1_sel:DWORD
	s_and_saveexec_b64 s[12:13], s[0:1]
	s_cbranch_execz .LBB212_657
; %bb.654:                              ;   in Loop: Header=BB212_366 Depth=1
	v_and_b32_e32 v7, 0x7f, v15
	v_mov_b32_e32 v16, 0x7f800001
	v_mov_b32_e32 v17, 0
	v_cmp_ne_u32_e64 s[0:1], s25, v7
	s_and_saveexec_b64 s[14:15], s[0:1]
	s_cbranch_execz .LBB212_656
; %bb.655:                              ;   in Loop: Header=BB212_366 Depth=1
	v_and_b32_e32 v11, 7, v15
	v_lshrrev_b32_e32 v16, 3, v7
	v_cmp_gt_u32_e64 s[0:1], 8, v7
	v_ffbh_u32_e32 v7, v11
	v_min_u32_e32 v17, 32, v7
	v_subrev_u32_e32 v7, 28, v17
	v_lshlrev_b64 v[7:8], v7, v[15:16]
	v_sub_u32_e32 v8, 29, v17
	v_and_b32_e32 v7, 7, v7
	v_cndmask_b32_e64 v8, v16, v8, s[0:1]
	v_cndmask_b32_e64 v7, v11, v7, s[0:1]
	v_lshlrev_b32_e32 v7, 20, v7
	v_and_b32_sdwa v11, sext(v15), s26 dst_sel:DWORD dst_unused:UNUSED_PAD src0_sel:BYTE_0 src1_sel:DWORD
	v_lshl_add_u32 v8, v8, 23, v47
	v_or3_b32 v16, v11, v8, v7
	v_mov_b32_e32 v17, v5
.LBB212_656:                            ;   in Loop: Header=BB212_366 Depth=1
	s_or_b64 exec, exec, s[14:15]
.LBB212_657:                            ;   in Loop: Header=BB212_366 Depth=1
	s_or_b64 exec, exec, s[12:13]
.LBB212_658:                            ;   in Loop: Header=BB212_366 Depth=1
	s_or_b64 exec, exec, s[6:7]
	v_cmp_ne_u16_sdwa s[0:1], v15, v5 src0_sel:BYTE_1 src1_sel:DWORD
	s_and_saveexec_b64 s[6:7], s[0:1]
	s_cbranch_execz .LBB212_664
; %bb.659:                              ;   in Loop: Header=BB212_366 Depth=1
	v_mov_b32_e32 v19, v6
	v_cmp_ne_u16_sdwa s[0:1], v15, s24 src0_sel:BYTE_1 src1_sel:DWORD
	v_mov_b32_e32 v18, v5
	s_and_saveexec_b64 s[12:13], s[0:1]
	s_cbranch_execz .LBB212_663
; %bb.660:                              ;   in Loop: Header=BB212_366 Depth=1
	v_and_b32_sdwa v7, v15, s25 dst_sel:DWORD dst_unused:UNUSED_PAD src0_sel:BYTE_1 src1_sel:DWORD
	v_mov_b32_e32 v11, v5
	v_mov_b32_e32 v19, v12
	v_cmp_ne_u32_e64 s[0:1], s25, v7
	v_mov_b32_e32 v18, v11
	s_and_saveexec_b64 s[14:15], s[0:1]
	s_cbranch_execz .LBB212_662
; %bb.661:                              ;   in Loop: Header=BB212_366 Depth=1
	v_and_b32_sdwa v18, v15, v50 dst_sel:DWORD dst_unused:UNUSED_PAD src0_sel:BYTE_1 src1_sel:DWORD
	v_lshrrev_b32_e32 v11, 3, v7
	v_cmp_gt_u32_e64 s[0:1], 8, v7
	v_ffbh_u32_e32 v7, v18
	v_min_u32_e32 v20, 32, v7
	v_mov_b32_e32 v19, v5
	v_subrev_u32_e32 v7, 28, v20
	v_lshlrev_b64 v[7:8], v7, v[18:19]
	v_sub_u32_e32 v8, 29, v20
	v_and_b32_e32 v7, 7, v7
	v_cndmask_b32_e64 v8, v11, v8, s[0:1]
	v_cndmask_b32_e64 v7, v18, v7, s[0:1]
	v_lshlrev_b32_e32 v11, 16, v15
	v_lshl_add_u32 v8, v8, 23, v47
	v_and_or_b32 v8, v11, s26, v8
	v_lshlrev_b32_e32 v7, 20, v7
	v_or_b32_e32 v19, v8, v7
	v_mov_b32_e32 v18, v5
.LBB212_662:                            ;   in Loop: Header=BB212_366 Depth=1
	s_or_b64 exec, exec, s[14:15]
.LBB212_663:                            ;   in Loop: Header=BB212_366 Depth=1
	s_or_b64 exec, exec, s[12:13]
.LBB212_664:                            ;   in Loop: Header=BB212_366 Depth=1
	s_or_b64 exec, exec, s[6:7]
	v_lshrrev_b32_e32 v11, 16, v15
	v_mov_b32_e32 v22, 0
	v_mov_b32_e32 v20, 0
	;; [unrolled: 1-line block ×4, first 2 shown]
	v_cmp_ne_u16_sdwa s[0:1], v11, v5 src0_sel:BYTE_0 src1_sel:DWORD
	s_and_saveexec_b64 s[6:7], s[0:1]
	s_cbranch_execz .LBB212_670
; %bb.665:                              ;   in Loop: Header=BB212_366 Depth=1
	v_bfrev_b32_e32 v20, 1
	v_mov_b32_e32 v21, 0
	v_cmp_ne_u16_sdwa s[0:1], v11, s24 src0_sel:BYTE_0 src1_sel:DWORD
	s_and_saveexec_b64 s[12:13], s[0:1]
	s_cbranch_execz .LBB212_669
; %bb.666:                              ;   in Loop: Header=BB212_366 Depth=1
	v_bfe_u32 v7, v15, 16, 7
	v_mov_b32_e32 v20, 0x7f800001
	v_mov_b32_e32 v21, 0
	v_cmp_ne_u32_e64 s[0:1], s25, v7
	s_and_saveexec_b64 s[14:15], s[0:1]
	s_cbranch_execz .LBB212_668
; %bb.667:                              ;   in Loop: Header=BB212_366 Depth=1
	v_and_b32_e32 v20, 7, v11
	v_lshrrev_b32_e32 v21, 3, v7
	v_cmp_gt_u32_e64 s[0:1], 8, v7
	v_ffbh_u32_e32 v7, v20
	v_min_u32_e32 v25, 32, v7
	v_subrev_u32_e32 v7, 28, v25
	v_lshlrev_b64 v[7:8], v7, v[11:12]
	v_sub_u32_e32 v8, 29, v25
	v_and_b32_e32 v7, 7, v7
	v_cndmask_b32_e64 v8, v21, v8, s[0:1]
	v_cndmask_b32_e64 v7, v20, v7, s[0:1]
	v_lshlrev_b32_e32 v7, 20, v7
	v_and_b32_sdwa v11, sext(v11), s26 dst_sel:DWORD dst_unused:UNUSED_PAD src0_sel:BYTE_0 src1_sel:DWORD
	v_lshl_add_u32 v8, v8, 23, v47
	v_or3_b32 v20, v11, v8, v7
	v_mov_b32_e32 v21, v5
.LBB212_668:                            ;   in Loop: Header=BB212_366 Depth=1
	s_or_b64 exec, exec, s[14:15]
.LBB212_669:                            ;   in Loop: Header=BB212_366 Depth=1
	s_or_b64 exec, exec, s[12:13]
.LBB212_670:                            ;   in Loop: Header=BB212_366 Depth=1
	s_or_b64 exec, exec, s[6:7]
	v_cmp_lt_u32_e64 s[0:1], s27, v15
	s_and_saveexec_b64 s[6:7], s[0:1]
	s_cbranch_execz .LBB212_676
; %bb.671:                              ;   in Loop: Header=BB212_366 Depth=1
	v_mov_b32_e32 v23, v6
	v_cmp_ne_u32_sdwa s[0:1], v15, s24 src0_sel:BYTE_3 src1_sel:DWORD
	v_mov_b32_e32 v22, v5
	s_and_saveexec_b64 s[12:13], s[0:1]
	s_cbranch_execz .LBB212_675
; %bb.672:                              ;   in Loop: Header=BB212_366 Depth=1
	v_bfe_u32 v7, v15, 24, 7
	v_mov_b32_e32 v11, v5
	v_mov_b32_e32 v23, v12
	v_cmp_ne_u32_e64 s[0:1], s25, v7
	v_mov_b32_e32 v22, v11
	s_and_saveexec_b64 s[14:15], s[0:1]
	s_cbranch_execz .LBB212_674
; %bb.673:                              ;   in Loop: Header=BB212_366 Depth=1
	v_and_b32_sdwa v22, v15, v50 dst_sel:DWORD dst_unused:UNUSED_PAD src0_sel:BYTE_3 src1_sel:DWORD
	v_lshrrev_b32_e32 v11, 3, v7
	v_cmp_gt_u32_e64 s[0:1], 8, v7
	v_ffbh_u32_e32 v7, v22
	v_min_u32_e32 v25, 32, v7
	v_mov_b32_e32 v23, v5
	v_subrev_u32_e32 v7, 28, v25
	v_lshlrev_b64 v[7:8], v7, v[22:23]
	v_sub_u32_e32 v8, 29, v25
	v_and_b32_e32 v7, 7, v7
	v_cndmask_b32_e64 v8, v11, v8, s[0:1]
	v_cndmask_b32_e64 v7, v22, v7, s[0:1]
	v_lshlrev_b32_sdwa v11, v49, v15 dst_sel:DWORD dst_unused:UNUSED_PAD src0_sel:DWORD src1_sel:BYTE_3
	v_lshl_add_u32 v8, v8, 23, v47
	v_and_or_b32 v8, v11, s26, v8
	v_lshlrev_b32_e32 v7, 20, v7
	v_or_b32_e32 v23, v8, v7
	v_mov_b32_e32 v22, v5
.LBB212_674:                            ;   in Loop: Header=BB212_366 Depth=1
	s_or_b64 exec, exec, s[14:15]
.LBB212_675:                            ;   in Loop: Header=BB212_366 Depth=1
	s_or_b64 exec, exec, s[12:13]
.LBB212_676:                            ;   in Loop: Header=BB212_366 Depth=1
	s_or_b64 exec, exec, s[6:7]
	v_or_b32_e32 v7, v19, v17
	v_or_b32_e32 v8, v18, v16
	v_mul_f32_e32 v25, s18, v7
	v_mul_f32_e32 v7, s17, v8
	v_or_b32_e32 v8, v23, v21
	v_or_b32_e32 v11, v22, v20
	v_mul_f32_e32 v27, s17, v11
	v_mul_f32_e32 v26, s18, v8
	s_and_saveexec_b64 s[6:7], vcc
	s_cbranch_execz .LBB212_678
; %bb.677:                              ;   in Loop: Header=BB212_366 Depth=1
	v_add_u32_e32 v8, -3, v42
	v_cmp_gt_i32_e64 s[0:1], s30, v8
	v_add_u32_e32 v8, -2, v42
	v_cndmask_b32_e64 v7, 0, v7, s[0:1]
	v_cmp_gt_i32_e64 s[0:1], s30, v8
	v_add_u32_e32 v8, -1, v42
	v_cndmask_b32_e64 v25, 0, v25, s[0:1]
	v_cmp_gt_i32_e64 s[0:1], s30, v8
	v_cndmask_b32_e64 v27, 0, v27, s[0:1]
	v_cmp_gt_i32_e64 s[0:1], s30, v42
	v_cndmask_b32_e64 v26, 0, v26, s[0:1]
.LBB212_678:                            ;   in Loop: Header=BB212_366 Depth=1
	s_or_b64 exec, exec, s[6:7]
	global_load_dword v15, v[13:14], off offset:3072
	v_mov_b32_e32 v18, 0
	v_mov_b32_e32 v16, 0
	;; [unrolled: 1-line block ×4, first 2 shown]
	s_waitcnt vmcnt(0)
	v_cmp_ne_u16_sdwa s[0:1], v15, v5 src0_sel:BYTE_0 src1_sel:DWORD
	s_and_saveexec_b64 s[6:7], s[0:1]
	s_cbranch_execz .LBB212_684
; %bb.679:                              ;   in Loop: Header=BB212_366 Depth=1
	v_bfrev_b32_e32 v16, 1
	v_mov_b32_e32 v17, 0
	v_cmp_ne_u16_sdwa s[0:1], v15, s24 src0_sel:BYTE_0 src1_sel:DWORD
	s_and_saveexec_b64 s[12:13], s[0:1]
	s_cbranch_execz .LBB212_683
; %bb.680:                              ;   in Loop: Header=BB212_366 Depth=1
	v_and_b32_e32 v8, 0x7f, v15
	v_mov_b32_e32 v16, 0x7f800001
	v_mov_b32_e32 v17, 0
	v_cmp_ne_u32_e64 s[0:1], s25, v8
	s_and_saveexec_b64 s[14:15], s[0:1]
	s_cbranch_execz .LBB212_682
; %bb.681:                              ;   in Loop: Header=BB212_366 Depth=1
	v_and_b32_e32 v11, 7, v15
	v_lshrrev_b32_e32 v20, 3, v8
	v_cmp_gt_u32_e64 s[0:1], 8, v8
	v_ffbh_u32_e32 v8, v11
	v_min_u32_e32 v8, 32, v8
	v_subrev_u32_e32 v16, 28, v8
	v_lshlrev_b64 v[16:17], v16, v[15:16]
	v_sub_u32_e32 v8, 29, v8
	v_and_b32_e32 v16, 7, v16
	v_cndmask_b32_e64 v8, v20, v8, s[0:1]
	v_cndmask_b32_e64 v11, v11, v16, s[0:1]
	v_lshlrev_b32_e32 v11, 20, v11
	v_and_b32_sdwa v16, sext(v15), s26 dst_sel:DWORD dst_unused:UNUSED_PAD src0_sel:BYTE_0 src1_sel:DWORD
	v_lshl_add_u32 v8, v8, 23, v47
	v_or3_b32 v16, v16, v8, v11
	v_mov_b32_e32 v17, v5
.LBB212_682:                            ;   in Loop: Header=BB212_366 Depth=1
	s_or_b64 exec, exec, s[14:15]
.LBB212_683:                            ;   in Loop: Header=BB212_366 Depth=1
	s_or_b64 exec, exec, s[12:13]
.LBB212_684:                            ;   in Loop: Header=BB212_366 Depth=1
	s_or_b64 exec, exec, s[6:7]
	v_cmp_ne_u16_sdwa s[0:1], v15, v5 src0_sel:BYTE_1 src1_sel:DWORD
	s_and_saveexec_b64 s[6:7], s[0:1]
	s_cbranch_execz .LBB212_690
; %bb.685:                              ;   in Loop: Header=BB212_366 Depth=1
	v_mov_b32_e32 v19, v6
	v_cmp_ne_u16_sdwa s[0:1], v15, s24 src0_sel:BYTE_1 src1_sel:DWORD
	v_mov_b32_e32 v18, v5
	s_and_saveexec_b64 s[12:13], s[0:1]
	s_cbranch_execz .LBB212_689
; %bb.686:                              ;   in Loop: Header=BB212_366 Depth=1
	v_and_b32_sdwa v8, v15, s25 dst_sel:DWORD dst_unused:UNUSED_PAD src0_sel:BYTE_1 src1_sel:DWORD
	v_mov_b32_e32 v11, v5
	v_mov_b32_e32 v19, v12
	v_cmp_ne_u32_e64 s[0:1], s25, v8
	v_mov_b32_e32 v18, v11
	s_and_saveexec_b64 s[14:15], s[0:1]
	s_cbranch_execz .LBB212_688
; %bb.687:                              ;   in Loop: Header=BB212_366 Depth=1
	v_and_b32_sdwa v18, v15, v50 dst_sel:DWORD dst_unused:UNUSED_PAD src0_sel:BYTE_1 src1_sel:DWORD
	v_lshrrev_b32_e32 v11, 3, v8
	v_cmp_gt_u32_e64 s[0:1], 8, v8
	v_ffbh_u32_e32 v8, v18
	v_min_u32_e32 v8, 32, v8
	v_mov_b32_e32 v19, v5
	v_subrev_u32_e32 v20, 28, v8
	v_lshlrev_b64 v[19:20], v20, v[18:19]
	v_sub_u32_e32 v8, 29, v8
	v_and_b32_e32 v19, 7, v19
	v_cndmask_b32_e64 v8, v11, v8, s[0:1]
	v_cndmask_b32_e64 v11, v18, v19, s[0:1]
	v_lshlrev_b32_e32 v18, 16, v15
	v_lshl_add_u32 v8, v8, 23, v47
	v_and_or_b32 v8, v18, s26, v8
	v_lshlrev_b32_e32 v11, 20, v11
	v_or_b32_e32 v19, v8, v11
	v_mov_b32_e32 v18, v5
.LBB212_688:                            ;   in Loop: Header=BB212_366 Depth=1
	s_or_b64 exec, exec, s[14:15]
.LBB212_689:                            ;   in Loop: Header=BB212_366 Depth=1
	s_or_b64 exec, exec, s[12:13]
.LBB212_690:                            ;   in Loop: Header=BB212_366 Depth=1
	s_or_b64 exec, exec, s[6:7]
	v_lshrrev_b32_e32 v11, 16, v15
	v_mov_b32_e32 v22, 0
	v_mov_b32_e32 v20, 0
	;; [unrolled: 1-line block ×4, first 2 shown]
	v_cmp_ne_u16_sdwa s[0:1], v11, v5 src0_sel:BYTE_0 src1_sel:DWORD
	s_and_saveexec_b64 s[6:7], s[0:1]
	s_cbranch_execz .LBB212_696
; %bb.691:                              ;   in Loop: Header=BB212_366 Depth=1
	v_bfrev_b32_e32 v20, 1
	v_mov_b32_e32 v21, 0
	v_cmp_ne_u16_sdwa s[0:1], v11, s24 src0_sel:BYTE_0 src1_sel:DWORD
	s_and_saveexec_b64 s[12:13], s[0:1]
	s_cbranch_execz .LBB212_695
; %bb.692:                              ;   in Loop: Header=BB212_366 Depth=1
	v_bfe_u32 v8, v15, 16, 7
	v_mov_b32_e32 v20, 0x7f800001
	v_mov_b32_e32 v21, 0
	v_cmp_ne_u32_e64 s[0:1], s25, v8
	s_and_saveexec_b64 s[14:15], s[0:1]
	s_cbranch_execz .LBB212_694
; %bb.693:                              ;   in Loop: Header=BB212_366 Depth=1
	v_and_b32_e32 v45, 7, v11
	v_lshrrev_b32_e32 v47, 3, v8
	v_cmp_gt_u32_e64 s[0:1], 8, v8
	v_ffbh_u32_e32 v8, v45
	v_min_u32_e32 v8, 32, v8
	v_subrev_u32_e32 v20, 28, v8
	v_lshlrev_b64 v[20:21], v20, v[11:12]
	v_sub_u32_e32 v8, 29, v8
	v_and_b32_e32 v20, 7, v20
	v_cndmask_b32_e64 v8, v47, v8, s[0:1]
	v_bfrev_b32_e32 v47, 60
	v_cndmask_b32_e64 v20, v45, v20, s[0:1]
	v_lshlrev_b32_e32 v20, 20, v20
	v_and_b32_sdwa v11, sext(v11), s26 dst_sel:DWORD dst_unused:UNUSED_PAD src0_sel:BYTE_0 src1_sel:DWORD
	v_lshl_add_u32 v8, v8, 23, v47
	v_or3_b32 v20, v11, v8, v20
	v_mov_b32_e32 v21, v5
.LBB212_694:                            ;   in Loop: Header=BB212_366 Depth=1
	s_or_b64 exec, exec, s[14:15]
.LBB212_695:                            ;   in Loop: Header=BB212_366 Depth=1
	s_or_b64 exec, exec, s[12:13]
.LBB212_696:                            ;   in Loop: Header=BB212_366 Depth=1
	s_or_b64 exec, exec, s[6:7]
	v_cmp_lt_u32_e64 s[0:1], s27, v15
	s_and_saveexec_b64 s[6:7], s[0:1]
	s_cbranch_execz .LBB212_702
; %bb.697:                              ;   in Loop: Header=BB212_366 Depth=1
	v_mov_b32_e32 v23, v6
	v_cmp_ne_u32_sdwa s[0:1], v15, s24 src0_sel:BYTE_3 src1_sel:DWORD
	v_mov_b32_e32 v22, v5
	s_and_saveexec_b64 s[12:13], s[0:1]
	s_cbranch_execz .LBB212_701
; %bb.698:                              ;   in Loop: Header=BB212_366 Depth=1
	v_bfe_u32 v8, v15, 24, 7
	v_mov_b32_e32 v11, v5
	v_mov_b32_e32 v23, v12
	v_cmp_ne_u32_e64 s[0:1], s25, v8
	v_mov_b32_e32 v22, v11
	s_and_saveexec_b64 s[14:15], s[0:1]
	s_cbranch_execz .LBB212_700
; %bb.699:                              ;   in Loop: Header=BB212_366 Depth=1
	v_and_b32_sdwa v22, v15, v50 dst_sel:DWORD dst_unused:UNUSED_PAD src0_sel:BYTE_3 src1_sel:DWORD
	v_lshrrev_b32_e32 v11, 3, v8
	v_cmp_gt_u32_e64 s[0:1], 8, v8
	v_ffbh_u32_e32 v8, v22
	v_min_u32_e32 v8, 32, v8
	v_mov_b32_e32 v23, v5
	v_subrev_u32_e32 v45, 28, v8
	v_lshlrev_b64 v[47:48], v45, v[22:23]
	v_sub_u32_e32 v8, 29, v8
	v_and_b32_e32 v23, 7, v47
	v_bfrev_b32_e32 v47, 60
	v_cndmask_b32_e64 v8, v11, v8, s[0:1]
	v_cndmask_b32_e64 v11, v22, v23, s[0:1]
	v_lshlrev_b32_sdwa v15, v49, v15 dst_sel:DWORD dst_unused:UNUSED_PAD src0_sel:DWORD src1_sel:BYTE_3
	v_lshl_add_u32 v8, v8, 23, v47
	v_and_or_b32 v8, v15, s26, v8
	v_lshlrev_b32_e32 v11, 20, v11
	v_or_b32_e32 v23, v8, v11
	v_mov_b32_e32 v22, v5
.LBB212_700:                            ;   in Loop: Header=BB212_366 Depth=1
	s_or_b64 exec, exec, s[14:15]
.LBB212_701:                            ;   in Loop: Header=BB212_366 Depth=1
	s_or_b64 exec, exec, s[12:13]
.LBB212_702:                            ;   in Loop: Header=BB212_366 Depth=1
	s_or_b64 exec, exec, s[6:7]
	v_or_b32_e32 v11, v18, v16
	v_or_b32_e32 v8, v19, v17
	v_mul_f32_e32 v45, s17, v11
	v_or_b32_e32 v11, v23, v21
	v_or_b32_e32 v15, v22, v20
	v_mul_f32_e32 v8, s18, v8
	v_mul_f32_e32 v23, s17, v15
	;; [unrolled: 1-line block ×3, first 2 shown]
	s_and_saveexec_b64 s[6:7], vcc
	s_cbranch_execz .LBB212_704
; %bb.703:                              ;   in Loop: Header=BB212_366 Depth=1
	v_add_u32_e32 v11, -3, v42
	v_cmp_gt_i32_e64 s[0:1], s30, v11
	v_add_u32_e32 v11, -2, v42
	v_cndmask_b32_e64 v45, 0, v45, s[0:1]
	v_cmp_gt_i32_e64 s[0:1], s30, v11
	v_add_u32_e32 v11, -1, v42
	v_cndmask_b32_e64 v8, 0, v8, s[0:1]
	v_cmp_gt_i32_e64 s[0:1], s30, v11
	v_cndmask_b32_e64 v23, 0, v23, s[0:1]
	v_cmp_gt_i32_e64 s[0:1], s30, v42
	v_cndmask_b32_e64 v22, 0, v22, s[0:1]
.LBB212_704:                            ;   in Loop: Header=BB212_366 Depth=1
	s_or_b64 exec, exec, s[6:7]
	global_load_dword v13, v[13:14], off offset:3328
	v_mov_b32_e32 v16, 0
	v_mov_b32_e32 v14, 0
	;; [unrolled: 1-line block ×4, first 2 shown]
	s_waitcnt vmcnt(0)
	v_cmp_ne_u16_sdwa s[0:1], v13, v5 src0_sel:BYTE_0 src1_sel:DWORD
	s_and_saveexec_b64 s[6:7], s[0:1]
	s_cbranch_execz .LBB212_710
; %bb.705:                              ;   in Loop: Header=BB212_366 Depth=1
	v_bfrev_b32_e32 v14, 1
	v_mov_b32_e32 v15, 0
	v_cmp_ne_u16_sdwa s[0:1], v13, s24 src0_sel:BYTE_0 src1_sel:DWORD
	s_and_saveexec_b64 s[12:13], s[0:1]
	s_cbranch_execz .LBB212_709
; %bb.706:                              ;   in Loop: Header=BB212_366 Depth=1
	v_and_b32_e32 v11, 0x7f, v13
	v_mov_b32_e32 v14, 0x7f800001
	v_mov_b32_e32 v15, 0
	v_cmp_ne_u32_e64 s[0:1], s25, v11
	s_and_saveexec_b64 s[14:15], s[0:1]
	s_cbranch_execz .LBB212_708
; %bb.707:                              ;   in Loop: Header=BB212_366 Depth=1
	v_and_b32_e32 v18, 7, v13
	v_lshrrev_b32_e32 v19, 3, v11
	v_cmp_gt_u32_e64 s[0:1], 8, v11
	v_ffbh_u32_e32 v11, v18
	v_min_u32_e32 v11, 32, v11
	v_subrev_u32_e32 v14, 28, v11
	v_lshlrev_b64 v[14:15], v14, v[13:14]
	v_sub_u32_e32 v11, 29, v11
	v_and_b32_e32 v14, 7, v14
	v_cndmask_b32_e64 v11, v19, v11, s[0:1]
	v_cndmask_b32_e64 v14, v18, v14, s[0:1]
	v_lshlrev_b32_e32 v14, 20, v14
	v_and_b32_sdwa v15, sext(v13), s26 dst_sel:DWORD dst_unused:UNUSED_PAD src0_sel:BYTE_0 src1_sel:DWORD
	v_lshl_add_u32 v11, v11, 23, v47
	v_or3_b32 v14, v15, v11, v14
	v_mov_b32_e32 v15, v5
.LBB212_708:                            ;   in Loop: Header=BB212_366 Depth=1
	s_or_b64 exec, exec, s[14:15]
.LBB212_709:                            ;   in Loop: Header=BB212_366 Depth=1
	s_or_b64 exec, exec, s[12:13]
.LBB212_710:                            ;   in Loop: Header=BB212_366 Depth=1
	s_or_b64 exec, exec, s[6:7]
	v_cmp_ne_u16_sdwa s[0:1], v13, v5 src0_sel:BYTE_1 src1_sel:DWORD
	s_and_saveexec_b64 s[6:7], s[0:1]
	s_cbranch_execz .LBB212_716
; %bb.711:                              ;   in Loop: Header=BB212_366 Depth=1
	v_mov_b32_e32 v17, v6
	v_cmp_ne_u16_sdwa s[0:1], v13, s24 src0_sel:BYTE_1 src1_sel:DWORD
	v_mov_b32_e32 v16, v5
	s_and_saveexec_b64 s[12:13], s[0:1]
	s_cbranch_execz .LBB212_715
; %bb.712:                              ;   in Loop: Header=BB212_366 Depth=1
	v_and_b32_sdwa v18, v13, s25 dst_sel:DWORD dst_unused:UNUSED_PAD src0_sel:BYTE_1 src1_sel:DWORD
	v_mov_b32_e32 v11, v5
	v_mov_b32_e32 v17, v12
	v_cmp_ne_u32_e64 s[0:1], s25, v18
	v_mov_b32_e32 v16, v11
	s_and_saveexec_b64 s[14:15], s[0:1]
	s_cbranch_execz .LBB212_714
; %bb.713:                              ;   in Loop: Header=BB212_366 Depth=1
	v_and_b32_sdwa v16, v13, v50 dst_sel:DWORD dst_unused:UNUSED_PAD src0_sel:BYTE_1 src1_sel:DWORD
	v_lshrrev_b32_e32 v11, 3, v18
	v_cmp_gt_u32_e64 s[0:1], 8, v18
	v_ffbh_u32_e32 v18, v16
	v_min_u32_e32 v19, 32, v18
	v_mov_b32_e32 v17, v5
	v_subrev_u32_e32 v18, 28, v19
	v_lshlrev_b64 v[17:18], v18, v[16:17]
	v_sub_u32_e32 v18, 29, v19
	v_and_b32_e32 v17, 7, v17
	v_cndmask_b32_e64 v11, v11, v18, s[0:1]
	v_cndmask_b32_e64 v16, v16, v17, s[0:1]
	v_lshlrev_b32_e32 v17, 16, v13
	v_lshl_add_u32 v11, v11, 23, v47
	v_and_or_b32 v11, v17, s26, v11
	v_lshlrev_b32_e32 v16, 20, v16
	v_or_b32_e32 v17, v11, v16
	v_mov_b32_e32 v16, v5
.LBB212_714:                            ;   in Loop: Header=BB212_366 Depth=1
	s_or_b64 exec, exec, s[14:15]
.LBB212_715:                            ;   in Loop: Header=BB212_366 Depth=1
	s_or_b64 exec, exec, s[12:13]
.LBB212_716:                            ;   in Loop: Header=BB212_366 Depth=1
	s_or_b64 exec, exec, s[6:7]
	v_lshrrev_b32_e32 v11, 16, v13
	v_mov_b32_e32 v20, 0
	v_mov_b32_e32 v18, 0
	;; [unrolled: 1-line block ×4, first 2 shown]
	v_cmp_ne_u16_sdwa s[0:1], v11, v5 src0_sel:BYTE_0 src1_sel:DWORD
	s_and_saveexec_b64 s[6:7], s[0:1]
	s_cbranch_execz .LBB212_722
; %bb.717:                              ;   in Loop: Header=BB212_366 Depth=1
	v_bfrev_b32_e32 v18, 1
	v_mov_b32_e32 v19, 0
	v_cmp_ne_u16_sdwa s[0:1], v11, s24 src0_sel:BYTE_0 src1_sel:DWORD
	s_and_saveexec_b64 s[12:13], s[0:1]
	s_cbranch_execz .LBB212_721
; %bb.718:                              ;   in Loop: Header=BB212_366 Depth=1
	v_bfe_u32 v47, v13, 16, 7
	v_mov_b32_e32 v18, 0x7f800001
	v_bfrev_b32_e32 v50, 60
	v_mov_b32_e32 v19, 0
	v_cmp_ne_u32_e64 s[0:1], s25, v47
	s_and_saveexec_b64 s[14:15], s[0:1]
	s_cbranch_execz .LBB212_720
; %bb.719:                              ;   in Loop: Header=BB212_366 Depth=1
	v_and_b32_e32 v48, 7, v11
	v_ffbh_u32_e32 v18, v48
	v_lshrrev_b32_e32 v49, 3, v47
	v_cmp_gt_u32_e64 s[0:1], 8, v47
	v_min_u32_e32 v47, 32, v18
	v_subrev_u32_e32 v18, 28, v47
	v_lshlrev_b64 v[18:19], v18, v[11:12]
	v_sub_u32_e32 v19, 29, v47
	v_and_b32_e32 v18, 7, v18
	v_cndmask_b32_e64 v19, v49, v19, s[0:1]
	v_cndmask_b32_e64 v18, v48, v18, s[0:1]
	v_lshlrev_b32_e32 v18, 20, v18
	v_and_b32_sdwa v11, sext(v11), s26 dst_sel:DWORD dst_unused:UNUSED_PAD src0_sel:BYTE_0 src1_sel:DWORD
	v_lshl_add_u32 v19, v19, 23, v50
	v_mov_b32_e32 v49, 24
	v_or3_b32 v18, v11, v19, v18
	v_mov_b32_e32 v19, v5
.LBB212_720:                            ;   in Loop: Header=BB212_366 Depth=1
	s_or_b64 exec, exec, s[14:15]
	v_bfrev_b32_e32 v47, 60
	v_mov_b32_e32 v50, 7
.LBB212_721:                            ;   in Loop: Header=BB212_366 Depth=1
	s_or_b64 exec, exec, s[12:13]
.LBB212_722:                            ;   in Loop: Header=BB212_366 Depth=1
	s_or_b64 exec, exec, s[6:7]
	v_cmp_lt_u32_e64 s[0:1], s27, v13
	s_and_saveexec_b64 s[6:7], s[0:1]
	s_cbranch_execz .LBB212_728
; %bb.723:                              ;   in Loop: Header=BB212_366 Depth=1
	v_mov_b32_e32 v21, v6
	v_cmp_ne_u32_sdwa s[0:1], v13, s24 src0_sel:BYTE_3 src1_sel:DWORD
	v_mov_b32_e32 v20, v5
	s_and_saveexec_b64 s[12:13], s[0:1]
	s_cbranch_execz .LBB212_727
; %bb.724:                              ;   in Loop: Header=BB212_366 Depth=1
	v_bfe_u32 v47, v13, 24, 7
	v_mov_b32_e32 v11, v5
	v_mov_b32_e32 v21, v12
	;; [unrolled: 1-line block ×3, first 2 shown]
	v_bfrev_b32_e32 v50, 60
	v_cmp_ne_u32_e64 s[0:1], s25, v47
	v_mov_b32_e32 v20, v11
	s_and_saveexec_b64 s[14:15], s[0:1]
	s_cbranch_execz .LBB212_726
; %bb.725:                              ;   in Loop: Header=BB212_366 Depth=1
	v_and_b32_sdwa v20, v13, v48 dst_sel:DWORD dst_unused:UNUSED_PAD src0_sel:BYTE_3 src1_sel:DWORD
	v_lshrrev_b32_e32 v11, 3, v47
	v_cmp_gt_u32_e64 s[0:1], 8, v47
	v_ffbh_u32_e32 v47, v20
	v_min_u32_e32 v49, 32, v47
	v_mov_b32_e32 v21, v5
	v_subrev_u32_e32 v47, 28, v49
	v_lshlrev_b64 v[47:48], v47, v[20:21]
	v_sub_u32_e32 v21, 29, v49
	v_mov_b32_e32 v49, 24
	v_and_b32_e32 v47, 7, v47
	v_cndmask_b32_e64 v11, v11, v21, s[0:1]
	v_cndmask_b32_e64 v20, v20, v47, s[0:1]
	v_lshlrev_b32_sdwa v13, v49, v13 dst_sel:DWORD dst_unused:UNUSED_PAD src0_sel:DWORD src1_sel:BYTE_3
	v_lshl_add_u32 v11, v11, 23, v50
	v_and_or_b32 v11, v13, s26, v11
	v_lshlrev_b32_e32 v13, 20, v20
	v_or_b32_e32 v21, v11, v13
	v_mov_b32_e32 v20, v5
.LBB212_726:                            ;   in Loop: Header=BB212_366 Depth=1
	s_or_b64 exec, exec, s[14:15]
	v_bfrev_b32_e32 v47, 60
	v_mov_b32_e32 v50, 7
.LBB212_727:                            ;   in Loop: Header=BB212_366 Depth=1
	s_or_b64 exec, exec, s[12:13]
.LBB212_728:                            ;   in Loop: Header=BB212_366 Depth=1
	s_or_b64 exec, exec, s[6:7]
	v_or_b32_e32 v13, v16, v14
	v_or_b32_e32 v11, v17, v15
	v_mul_f32_e32 v15, s17, v13
	v_or_b32_e32 v13, v21, v19
	v_or_b32_e32 v14, v20, v18
	v_mul_f32_e32 v11, s18, v11
	v_mul_f32_e32 v14, s17, v14
	;; [unrolled: 1-line block ×3, first 2 shown]
	s_and_saveexec_b64 s[0:1], vcc
	s_cbranch_execz .LBB212_365
; %bb.729:                              ;   in Loop: Header=BB212_366 Depth=1
	v_add_u32_e32 v16, -3, v42
	v_cmp_gt_i32_e32 vcc, s30, v16
	v_add_u32_e32 v16, -2, v42
	v_cndmask_b32_e32 v15, 0, v15, vcc
	v_cmp_gt_i32_e32 vcc, s30, v16
	v_add_u32_e32 v16, -1, v42
	v_cndmask_b32_e32 v11, 0, v11, vcc
	v_cmp_gt_i32_e32 vcc, s30, v16
	v_cndmask_b32_e32 v14, 0, v14, vcc
	v_cmp_gt_i32_e32 vcc, s30, v42
	v_cndmask_b32_e32 v13, 0, v13, vcc
	s_branch .LBB212_365
.LBB212_730:
	s_or_b64 exec, exec, s[4:5]
	buffer_load_dword v20, off, s[48:51], 0 offset:228 ; 4-byte Folded Reload
	buffer_load_dword v16, off, s[48:51], 0 offset:236 ; 4-byte Folded Reload
	;; [unrolled: 1-line block ×5, first 2 shown]
.LBB212_731:
	s_or_b64 exec, exec, s[2:3]
	s_waitcnt vmcnt(3)
	ds_bpermute_b32 v1, v16, v40
	ds_bpermute_b32 v2, v16, v41
	ds_bpermute_b32 v3, v16, v39
	ds_bpermute_b32 v4, v16, v38
	ds_bpermute_b32 v8, v16, v37
	s_waitcnt lgkmcnt(4)
	v_add_f32_e32 v1, v40, v1
	s_waitcnt lgkmcnt(3)
	v_add_f32_e32 v2, v41, v2
	s_waitcnt vmcnt(2)
	ds_bpermute_b32 v5, v19, v1
	ds_bpermute_b32 v6, v19, v2
	s_waitcnt lgkmcnt(4)
	v_add_f32_e32 v3, v39, v3
	ds_bpermute_b32 v7, v19, v3
	s_waitcnt lgkmcnt(4)
	v_add_f32_e32 v4, v38, v4
	s_waitcnt lgkmcnt(2)
	v_add_f32_e32 v1, v1, v5
	;; [unrolled: 2-line block ×3, first 2 shown]
	s_waitcnt vmcnt(1)
	ds_bpermute_b32 v5, v21, v1
	ds_bpermute_b32 v6, v21, v2
	s_waitcnt lgkmcnt(2)
	v_add_f32_e32 v3, v3, v7
	ds_bpermute_b32 v7, v21, v3
	ds_bpermute_b32 v13, v16, v31
	s_waitcnt lgkmcnt(3)
	v_add_f32_e32 v1, v1, v5
	ds_bpermute_b32 v5, v19, v4
	s_waitcnt lgkmcnt(3)
	v_add_f32_e32 v2, v2, v6
	v_add_f32_e32 v6, v37, v8
	ds_bpermute_b32 v8, v19, v6
	s_waitcnt lgkmcnt(3)
	v_add_f32_e32 v3, v3, v7
	s_waitcnt lgkmcnt(1)
	v_add_f32_e32 v4, v4, v5
	ds_bpermute_b32 v5, v16, v36
	ds_bpermute_b32 v7, v21, v4
	s_waitcnt lgkmcnt(2)
	v_add_f32_e32 v6, v6, v8
	ds_bpermute_b32 v8, v16, v35
	ds_bpermute_b32 v9, v21, v6
	s_waitcnt lgkmcnt(3)
	v_add_f32_e32 v10, v36, v5
	s_waitcnt lgkmcnt(2)
	v_add_f32_e32 v4, v4, v7
	ds_bpermute_b32 v11, v19, v10
	s_waitcnt lgkmcnt(2)
	v_add_f32_e32 v7, v35, v8
	ds_bpermute_b32 v8, v19, v7
	;; [unrolled: 3-line block ×11, first 2 shown]
	s_waitcnt lgkmcnt(2)
	v_add_f32_e32 v8, v9, v12
	v_add_f32_e32 v12, v31, v13
	ds_bpermute_b32 v13, v19, v12
	s_waitcnt lgkmcnt(2)
	v_add_f32_e32 v11, v32, v11
	s_waitcnt lgkmcnt(1)
	v_add_f32_e32 v9, v10, v14
	ds_bpermute_b32 v14, v16, v30
	ds_bpermute_b32 v15, v19, v11
	s_waitcnt lgkmcnt(2)
	v_add_f32_e32 v12, v12, v13
	ds_bpermute_b32 v13, v16, v29
	ds_bpermute_b32 v16, v16, v0
	s_waitcnt lgkmcnt(3)
	v_add_f32_e32 v14, v30, v14
	ds_bpermute_b32 v17, v19, v14
	s_waitcnt lgkmcnt(3)
	v_add_f32_e32 v10, v11, v15
	;; [unrolled: 3-line block ×4, first 2 shown]
	ds_bpermute_b32 v17, v21, v14
	s_waitcnt vmcnt(0) lgkmcnt(0)
	s_barrier
	v_add_f32_e32 v16, v0, v16
	v_add_f32_e32 v0, v10, v11
	;; [unrolled: 1-line block ×3, first 2 shown]
	buffer_load_dword v14, off, s[48:51], 0 offset:508 ; 4-byte Folded Reload
	v_add_f32_e32 v13, v29, v13
	ds_bpermute_b32 v18, v19, v13
	ds_bpermute_b32 v15, v21, v12
	;; [unrolled: 1-line block ×3, first 2 shown]
	s_waitcnt lgkmcnt(2)
	v_add_f32_e32 v13, v13, v18
	ds_bpermute_b32 v18, v21, v13
	s_waitcnt lgkmcnt(2)
	v_add_f32_e32 v10, v12, v15
	s_waitcnt lgkmcnt(0)
	v_add_f32_e32 v12, v13, v18
	v_add_f32_e32 v13, v16, v19
	s_waitcnt vmcnt(0)
	v_and_b32_e32 v15, 0x3c7, v14
	v_cmp_eq_u32_e32 vcc, 64, v15
	s_and_saveexec_b64 s[0:1], vcc
	s_cbranch_execz .LBB212_733
; %bb.732:
	v_lshrrev_b32_e32 v14, 1, v20
	v_add_u32_e32 v14, 0x1d0, v14
	ds_write2_b32 v14, v1, v2 offset1:8
	ds_write2_b32 v14, v3, v4 offset0:16 offset1:24
	ds_write2_b32 v14, v5, v6 offset0:32 offset1:40
	;; [unrolled: 1-line block ×6, first 2 shown]
.LBB212_733:
	s_or_b64 exec, exec, s[0:1]
	buffer_load_dword v14, off, s[48:51], 0 offset:508 ; 4-byte Folded Reload
	s_waitcnt vmcnt(0) lgkmcnt(0)
	s_barrier
	v_cmp_gt_u32_e32 vcc, 64, v14
	v_lshrrev_b32_e32 v14, 3, v14
	s_and_saveexec_b64 s[0:1], vcc
	s_cbranch_execz .LBB212_750
; %bb.734:
	v_mov_b32_e32 v16, 0x1d0
	v_cmp_eq_u32_e32 vcc, 0, v22
	v_lshl_add_u32 v16, v14, 2, v16
	s_and_saveexec_b64 s[2:3], vcc
	s_cbranch_execnz .LBB212_753
; %bb.735:
	s_or_b64 exec, exec, s[2:3]
	s_and_saveexec_b64 s[2:3], vcc
	s_cbranch_execnz .LBB212_754
.LBB212_736:
	s_or_b64 exec, exec, s[2:3]
	s_and_saveexec_b64 s[2:3], vcc
	s_cbranch_execnz .LBB212_755
.LBB212_737:
	s_or_b64 exec, exec, s[2:3]
	s_and_saveexec_b64 s[2:3], vcc
	s_cbranch_execnz .LBB212_756
.LBB212_738:
	s_or_b64 exec, exec, s[2:3]
	s_and_saveexec_b64 s[2:3], vcc
	s_cbranch_execnz .LBB212_757
.LBB212_739:
	s_or_b64 exec, exec, s[2:3]
	s_and_saveexec_b64 s[2:3], vcc
	s_cbranch_execnz .LBB212_758
.LBB212_740:
	s_or_b64 exec, exec, s[2:3]
	s_and_saveexec_b64 s[2:3], vcc
	s_cbranch_execnz .LBB212_759
.LBB212_741:
	s_or_b64 exec, exec, s[2:3]
	s_and_saveexec_b64 s[2:3], vcc
	s_cbranch_execnz .LBB212_760
.LBB212_742:
	s_or_b64 exec, exec, s[2:3]
	s_and_saveexec_b64 s[2:3], vcc
	s_cbranch_execnz .LBB212_761
.LBB212_743:
	s_or_b64 exec, exec, s[2:3]
	s_and_saveexec_b64 s[2:3], vcc
	s_cbranch_execnz .LBB212_762
.LBB212_744:
	s_or_b64 exec, exec, s[2:3]
	s_and_saveexec_b64 s[2:3], vcc
	s_cbranch_execnz .LBB212_763
.LBB212_745:
	s_or_b64 exec, exec, s[2:3]
	s_and_saveexec_b64 s[2:3], vcc
	s_cbranch_execnz .LBB212_764
.LBB212_746:
	s_or_b64 exec, exec, s[2:3]
	s_and_saveexec_b64 s[2:3], vcc
	s_cbranch_execnz .LBB212_765
.LBB212_747:
	s_or_b64 exec, exec, s[2:3]
	s_and_saveexec_b64 s[2:3], vcc
	s_cbranch_execz .LBB212_749
.LBB212_748:
	ds_read_b32 v16, v16 offset:416
	s_waitcnt lgkmcnt(0)
	v_add_f32_e32 v13, v13, v16
.LBB212_749:
	s_or_b64 exec, exec, s[2:3]
.LBB212_750:
	s_or_b64 exec, exec, s[0:1]
	v_cmp_eq_u32_e32 vcc, 0, v15
	s_barrier
	s_and_saveexec_b64 s[0:1], vcc
	s_cbranch_execz .LBB212_752
; %bb.751:
	s_mul_i32 s0, s10, s11
	s_mul_i32 s0, s0, s9
	s_mulk_i32 s0, 0x70
	s_ashr_i32 s1, s0, 31
	s_lshl_b64 s[0:1], s[0:1], 2
	s_add_u32 s2, s22, s0
	s_mul_i32 s0, s11, s20
	s_addc_u32 s3, s23, s1
	s_ashr_i32 s1, s0, 31
	s_lshl_b64 s[0:1], s[0:1], 2
	s_add_u32 s2, s2, s0
	s_mul_i32 s0, s8, 0x70
	s_addc_u32 s3, s3, s1
	s_ashr_i32 s1, s0, 31
	s_lshl_b64 s[0:1], s[0:1], 2
	s_add_u32 s0, s2, s0
	s_addc_u32 s1, s3, s1
	v_lshlrev_b32_e32 v14, 2, v14
	global_store_dword v14, v1, s[0:1]
	global_store_dword v14, v2, s[0:1] offset:32
	global_store_dword v14, v3, s[0:1] offset:64
	;; [unrolled: 1-line block ×13, first 2 shown]
.LBB212_752:
	s_endpgm
.LBB212_753:
	ds_read_b32 v17, v16
	s_waitcnt lgkmcnt(0)
	v_add_f32_e32 v1, v1, v17
	s_or_b64 exec, exec, s[2:3]
	s_and_saveexec_b64 s[2:3], vcc
	s_cbranch_execz .LBB212_736
.LBB212_754:
	ds_read_b32 v17, v16 offset:32
	s_waitcnt lgkmcnt(0)
	v_add_f32_e32 v2, v2, v17
	s_or_b64 exec, exec, s[2:3]
	s_and_saveexec_b64 s[2:3], vcc
	s_cbranch_execz .LBB212_737
.LBB212_755:
	ds_read_b32 v17, v16 offset:64
	s_waitcnt lgkmcnt(0)
	v_add_f32_e32 v3, v3, v17
	s_or_b64 exec, exec, s[2:3]
	s_and_saveexec_b64 s[2:3], vcc
	s_cbranch_execz .LBB212_738
.LBB212_756:
	ds_read_b32 v17, v16 offset:96
	s_waitcnt lgkmcnt(0)
	v_add_f32_e32 v4, v4, v17
	s_or_b64 exec, exec, s[2:3]
	s_and_saveexec_b64 s[2:3], vcc
	s_cbranch_execz .LBB212_739
.LBB212_757:
	ds_read_b32 v17, v16 offset:128
	s_waitcnt lgkmcnt(0)
	v_add_f32_e32 v5, v5, v17
	s_or_b64 exec, exec, s[2:3]
	s_and_saveexec_b64 s[2:3], vcc
	s_cbranch_execz .LBB212_740
.LBB212_758:
	ds_read_b32 v17, v16 offset:160
	s_waitcnt lgkmcnt(0)
	v_add_f32_e32 v6, v6, v17
	s_or_b64 exec, exec, s[2:3]
	s_and_saveexec_b64 s[2:3], vcc
	s_cbranch_execz .LBB212_741
.LBB212_759:
	ds_read_b32 v17, v16 offset:192
	s_waitcnt lgkmcnt(0)
	v_add_f32_e32 v7, v7, v17
	s_or_b64 exec, exec, s[2:3]
	s_and_saveexec_b64 s[2:3], vcc
	s_cbranch_execz .LBB212_742
.LBB212_760:
	ds_read_b32 v17, v16 offset:224
	s_waitcnt lgkmcnt(0)
	v_add_f32_e32 v8, v8, v17
	s_or_b64 exec, exec, s[2:3]
	s_and_saveexec_b64 s[2:3], vcc
	s_cbranch_execz .LBB212_743
.LBB212_761:
	ds_read_b32 v17, v16 offset:256
	s_waitcnt lgkmcnt(0)
	v_add_f32_e32 v9, v9, v17
	s_or_b64 exec, exec, s[2:3]
	s_and_saveexec_b64 s[2:3], vcc
	s_cbranch_execz .LBB212_744
.LBB212_762:
	ds_read_b32 v17, v16 offset:288
	s_waitcnt lgkmcnt(0)
	v_add_f32_e32 v0, v0, v17
	s_or_b64 exec, exec, s[2:3]
	s_and_saveexec_b64 s[2:3], vcc
	s_cbranch_execz .LBB212_745
.LBB212_763:
	ds_read_b32 v17, v16 offset:320
	s_waitcnt lgkmcnt(0)
	v_add_f32_e32 v10, v10, v17
	s_or_b64 exec, exec, s[2:3]
	s_and_saveexec_b64 s[2:3], vcc
	s_cbranch_execz .LBB212_746
.LBB212_764:
	ds_read_b32 v17, v16 offset:352
	s_waitcnt lgkmcnt(0)
	v_add_f32_e32 v11, v11, v17
	s_or_b64 exec, exec, s[2:3]
	s_and_saveexec_b64 s[2:3], vcc
	s_cbranch_execz .LBB212_747
.LBB212_765:
	ds_read_b32 v17, v16 offset:384
	s_waitcnt lgkmcnt(0)
	v_add_f32_e32 v12, v12, v17
	s_or_b64 exec, exec, s[2:3]
	s_and_saveexec_b64 s[2:3], vcc
	s_cbranch_execnz .LBB212_748
	s_branch .LBB212_749
	.section	.rodata,"a",@progbits
	.p2align	6, 0x0
	.amdhsa_kernel _ZN4vllm25paged_attention_v1_kernelIfhLi112ELi32ELi128ELNS_18Fp8KVCacheDataTypeE1ELb0EEEvPT_PKS2_PKT0_S8_ifPKiSA_iPKfiiiSC_SC_iiiii
		.amdhsa_group_segment_fixed_size 464
		.amdhsa_private_segment_fixed_size 536
		.amdhsa_kernarg_size 384
		.amdhsa_user_sgpr_count 6
		.amdhsa_user_sgpr_private_segment_buffer 1
		.amdhsa_user_sgpr_dispatch_ptr 0
		.amdhsa_user_sgpr_queue_ptr 0
		.amdhsa_user_sgpr_kernarg_segment_ptr 1
		.amdhsa_user_sgpr_dispatch_id 0
		.amdhsa_user_sgpr_flat_scratch_init 0
		.amdhsa_user_sgpr_private_segment_size 0
		.amdhsa_uses_dynamic_stack 0
		.amdhsa_system_sgpr_private_segment_wavefront_offset 1
		.amdhsa_system_sgpr_workgroup_id_x 1
		.amdhsa_system_sgpr_workgroup_id_y 1
		.amdhsa_system_sgpr_workgroup_id_z 1
		.amdhsa_system_sgpr_workgroup_info 0
		.amdhsa_system_vgpr_workitem_id 0
		.amdhsa_next_free_vgpr 64
		.amdhsa_next_free_sgpr 52
		.amdhsa_reserve_vcc 1
		.amdhsa_reserve_flat_scratch 0
		.amdhsa_float_round_mode_32 0
		.amdhsa_float_round_mode_16_64 0
		.amdhsa_float_denorm_mode_32 3
		.amdhsa_float_denorm_mode_16_64 3
		.amdhsa_dx10_clamp 1
		.amdhsa_ieee_mode 1
		.amdhsa_fp16_overflow 0
		.amdhsa_exception_fp_ieee_invalid_op 0
		.amdhsa_exception_fp_denorm_src 0
		.amdhsa_exception_fp_ieee_div_zero 0
		.amdhsa_exception_fp_ieee_overflow 0
		.amdhsa_exception_fp_ieee_underflow 0
		.amdhsa_exception_fp_ieee_inexact 0
		.amdhsa_exception_int_div_zero 0
	.end_amdhsa_kernel
	.section	.text._ZN4vllm25paged_attention_v1_kernelIfhLi112ELi32ELi128ELNS_18Fp8KVCacheDataTypeE1ELb0EEEvPT_PKS2_PKT0_S8_ifPKiSA_iPKfiiiSC_SC_iiiii,"axG",@progbits,_ZN4vllm25paged_attention_v1_kernelIfhLi112ELi32ELi128ELNS_18Fp8KVCacheDataTypeE1ELb0EEEvPT_PKS2_PKT0_S8_ifPKiSA_iPKfiiiSC_SC_iiiii,comdat
.Lfunc_end212:
	.size	_ZN4vllm25paged_attention_v1_kernelIfhLi112ELi32ELi128ELNS_18Fp8KVCacheDataTypeE1ELb0EEEvPT_PKS2_PKT0_S8_ifPKiSA_iPKfiiiSC_SC_iiiii, .Lfunc_end212-_ZN4vllm25paged_attention_v1_kernelIfhLi112ELi32ELi128ELNS_18Fp8KVCacheDataTypeE1ELb0EEEvPT_PKS2_PKT0_S8_ifPKiSA_iPKfiiiSC_SC_iiiii
                                        ; -- End function
	.set _ZN4vllm25paged_attention_v1_kernelIfhLi112ELi32ELi128ELNS_18Fp8KVCacheDataTypeE1ELb0EEEvPT_PKS2_PKT0_S8_ifPKiSA_iPKfiiiSC_SC_iiiii.num_vgpr, 64
	.set _ZN4vllm25paged_attention_v1_kernelIfhLi112ELi32ELi128ELNS_18Fp8KVCacheDataTypeE1ELb0EEEvPT_PKS2_PKT0_S8_ifPKiSA_iPKfiiiSC_SC_iiiii.num_agpr, 0
	.set _ZN4vllm25paged_attention_v1_kernelIfhLi112ELi32ELi128ELNS_18Fp8KVCacheDataTypeE1ELb0EEEvPT_PKS2_PKT0_S8_ifPKiSA_iPKfiiiSC_SC_iiiii.numbered_sgpr, 52
	.set _ZN4vllm25paged_attention_v1_kernelIfhLi112ELi32ELi128ELNS_18Fp8KVCacheDataTypeE1ELb0EEEvPT_PKS2_PKT0_S8_ifPKiSA_iPKfiiiSC_SC_iiiii.num_named_barrier, 0
	.set _ZN4vllm25paged_attention_v1_kernelIfhLi112ELi32ELi128ELNS_18Fp8KVCacheDataTypeE1ELb0EEEvPT_PKS2_PKT0_S8_ifPKiSA_iPKfiiiSC_SC_iiiii.private_seg_size, 536
	.set _ZN4vllm25paged_attention_v1_kernelIfhLi112ELi32ELi128ELNS_18Fp8KVCacheDataTypeE1ELb0EEEvPT_PKS2_PKT0_S8_ifPKiSA_iPKfiiiSC_SC_iiiii.uses_vcc, 1
	.set _ZN4vllm25paged_attention_v1_kernelIfhLi112ELi32ELi128ELNS_18Fp8KVCacheDataTypeE1ELb0EEEvPT_PKS2_PKT0_S8_ifPKiSA_iPKfiiiSC_SC_iiiii.uses_flat_scratch, 0
	.set _ZN4vllm25paged_attention_v1_kernelIfhLi112ELi32ELi128ELNS_18Fp8KVCacheDataTypeE1ELb0EEEvPT_PKS2_PKT0_S8_ifPKiSA_iPKfiiiSC_SC_iiiii.has_dyn_sized_stack, 0
	.set _ZN4vllm25paged_attention_v1_kernelIfhLi112ELi32ELi128ELNS_18Fp8KVCacheDataTypeE1ELb0EEEvPT_PKS2_PKT0_S8_ifPKiSA_iPKfiiiSC_SC_iiiii.has_recursion, 0
	.set _ZN4vllm25paged_attention_v1_kernelIfhLi112ELi32ELi128ELNS_18Fp8KVCacheDataTypeE1ELb0EEEvPT_PKS2_PKT0_S8_ifPKiSA_iPKfiiiSC_SC_iiiii.has_indirect_call, 0
	.section	.AMDGPU.csdata,"",@progbits
; Kernel info:
; codeLenInByte = 36084
; TotalNumSgprs: 56
; NumVgprs: 64
; ScratchSize: 536
; MemoryBound: 0
; FloatMode: 240
; IeeeMode: 1
; LDSByteSize: 464 bytes/workgroup (compile time only)
; SGPRBlocks: 6
; VGPRBlocks: 15
; NumSGPRsForWavesPerEU: 56
; NumVGPRsForWavesPerEU: 64
; Occupancy: 4
; WaveLimiterHint : 1
; COMPUTE_PGM_RSRC2:SCRATCH_EN: 1
; COMPUTE_PGM_RSRC2:USER_SGPR: 6
; COMPUTE_PGM_RSRC2:TRAP_HANDLER: 0
; COMPUTE_PGM_RSRC2:TGID_X_EN: 1
; COMPUTE_PGM_RSRC2:TGID_Y_EN: 1
; COMPUTE_PGM_RSRC2:TGID_Z_EN: 1
; COMPUTE_PGM_RSRC2:TIDIG_COMP_CNT: 0
	.section	.text._ZN4vllm25paged_attention_v1_kernelIfhLi120ELi32ELi128ELNS_18Fp8KVCacheDataTypeE1ELb0EEEvPT_PKS2_PKT0_S8_ifPKiSA_iPKfiiiSC_SC_iiiii,"axG",@progbits,_ZN4vllm25paged_attention_v1_kernelIfhLi120ELi32ELi128ELNS_18Fp8KVCacheDataTypeE1ELb0EEEvPT_PKS2_PKT0_S8_ifPKiSA_iPKfiiiSC_SC_iiiii,comdat
	.protected	_ZN4vllm25paged_attention_v1_kernelIfhLi120ELi32ELi128ELNS_18Fp8KVCacheDataTypeE1ELb0EEEvPT_PKS2_PKT0_S8_ifPKiSA_iPKfiiiSC_SC_iiiii ; -- Begin function _ZN4vllm25paged_attention_v1_kernelIfhLi120ELi32ELi128ELNS_18Fp8KVCacheDataTypeE1ELb0EEEvPT_PKS2_PKT0_S8_ifPKiSA_iPKfiiiSC_SC_iiiii
	.globl	_ZN4vllm25paged_attention_v1_kernelIfhLi120ELi32ELi128ELNS_18Fp8KVCacheDataTypeE1ELb0EEEvPT_PKS2_PKT0_S8_ifPKiSA_iPKfiiiSC_SC_iiiii
	.p2align	8
	.type	_ZN4vllm25paged_attention_v1_kernelIfhLi120ELi32ELi128ELNS_18Fp8KVCacheDataTypeE1ELb0EEEvPT_PKS2_PKT0_S8_ifPKiSA_iPKfiiiSC_SC_iiiii,@function
_ZN4vllm25paged_attention_v1_kernelIfhLi120ELi32ELi128ELNS_18Fp8KVCacheDataTypeE1ELb0EEEvPT_PKS2_PKT0_S8_ifPKiSA_iPKfiiiSC_SC_iiiii: ; @_ZN4vllm25paged_attention_v1_kernelIfhLi120ELi32ELi128ELNS_18Fp8KVCacheDataTypeE1ELb0EEEvPT_PKS2_PKT0_S8_ifPKiSA_iPKfiiiSC_SC_iiiii
; %bb.0:
	s_mov_b64 s[50:51], s[2:3]
	s_mov_b64 s[48:49], s[0:1]
	s_add_u32 s48, s48, s9
	s_load_dword s9, s[4:5], 0x80
	s_load_dwordx2 s[0:1], s[4:5], 0x30
	s_load_dwordx2 s[30:31], s[4:5], 0x20
	s_addc_u32 s49, s49, 0
	s_mov_b32 s10, s7
	s_ashr_i32 s11, s7, 31
	s_lshl_b64 s[2:3], s[10:11], 2
	s_waitcnt lgkmcnt(0)
	s_add_u32 s0, s0, s2
	s_addc_u32 s1, s1, s3
	s_abs_i32 s2, s30
	v_mov_b32_e32 v6, v0
	v_cvt_f32_u32_e32 v0, s2
	s_sub_i32 s11, 0, s2
	s_abs_i32 s7, s9
	s_xor_b32 s3, s9, s30
	v_rcp_iflag_f32_e32 v0, v0
	s_ashr_i32 s3, s3, 31
	s_mov_b32 s33, 0
	v_mul_f32_e32 v0, 0x4f7ffffe, v0
	v_cvt_u32_f32_e32 v0, v0
	v_readfirstlane_b32 s12, v0
	s_mul_i32 s11, s11, s12
	s_mul_hi_u32 s11, s12, s11
	s_add_i32 s12, s12, s11
	s_mul_hi_u32 s11, s7, s12
	s_mul_i32 s12, s11, s2
	s_sub_i32 s7, s7, s12
	s_add_i32 s12, s11, 1
	s_sub_i32 s13, s7, s2
	s_cmp_ge_u32 s7, s2
	s_cselect_b32 s11, s12, s11
	s_cselect_b32 s7, s13, s7
	s_add_i32 s12, s11, 1
	s_cmp_ge_u32 s7, s2
	s_cselect_b32 s2, s12, s11
	s_xor_b32 s2, s2, s3
	s_sub_i32 s12, s2, s3
	s_abs_i32 s11, s12
	v_cvt_f32_u32_e32 v0, s11
	s_load_dwordx2 s[2:3], s[4:5], 0x40
	s_sub_i32 s7, 0, s11
	s_abs_i32 s16, s6
	v_rcp_iflag_f32_e32 v0, v0
	v_mul_f32_e32 v0, 0x4f7ffffe, v0
	v_cvt_u32_f32_e32 v0, v0
	v_readfirstlane_b32 s13, v0
	s_mul_i32 s7, s7, s13
	s_mul_hi_u32 s7, s13, s7
	s_add_i32 s13, s13, s7
	s_waitcnt lgkmcnt(0)
	s_cmp_eq_u64 s[2:3], 0
	s_mul_hi_u32 s17, s16, s13
	s_cbranch_scc1 .LBB213_2
; %bb.1:
	s_ashr_i32 s7, s6, 31
	s_lshl_b64 s[14:15], s[6:7], 2
	s_add_u32 s2, s2, s14
	s_addc_u32 s3, s3, s15
	s_load_dword s33, s[2:3], 0x0
.LBB213_2:
	s_load_dword s30, s[0:1], 0x0
	s_ashr_i32 s3, s12, 31
	s_load_dwordx4 s[12:15], s[4:5], 0x48
	s_ashr_i32 s2, s6, 31
	v_and_b32_e32 v0, 1, v6
	s_mul_i32 s20, s6, 0x78
	v_cmp_gt_u32_e32 vcc, 60, v6
	v_lshlrev_b32_e32 v10, 2, v6
	s_and_saveexec_b64 s[0:1], vcc
	s_cbranch_execz .LBB213_4
; %bb.3:
	s_load_dwordx2 s[6:7], s[4:5], 0x8
	s_waitcnt lgkmcnt(0)
	s_mul_i32 s18, s12, s10
	s_ashr_i32 s19, s18, 31
	s_lshl_b64 s[18:19], s[18:19], 2
	v_lshlrev_b32_e32 v1, 3, v6
	s_add_u32 s12, s6, s18
	s_addc_u32 s15, s7, s19
	s_ashr_i32 s21, s20, 31
	s_lshl_b64 s[6:7], s[20:21], 2
	s_add_u32 s6, s12, s6
	s_addc_u32 s7, s15, s7
	global_load_dwordx2 v[1:2], v1, s[6:7]
	v_and_b32_e32 v3, 0xff8, v10
	s_movk_i32 s6, 0xf0
	v_mad_u32_u24 v3, v0, s6, v3
	s_waitcnt vmcnt(0)
	ds_write_b64 v3, v[1:2]
.LBB213_4:
	s_or_b64 exec, exec, s[0:1]
	s_waitcnt lgkmcnt(0)
	s_add_i32 s1, s30, 31
	s_ashr_i32 s6, s1, 31
	s_lshr_b32 s6, s6, 27
	s_add_i32 s1, s1, s6
	s_ashr_i32 s21, s1, 5
	s_xor_b32 s1, s2, s3
	s_mul_i32 s2, s17, s11
	s_sub_i32 s2, s16, s2
	s_add_i32 s3, s17, 1
	s_sub_i32 s6, s2, s11
	s_load_dwordx2 s[24:25], s[4:5], 0x28
	s_load_dword s0, s[4:5], 0x38
	s_cmp_ge_u32 s2, s11
	s_cselect_b32 s3, s3, s17
	s_cselect_b32 s2, s6, s2
	s_add_i32 s6, s3, 1
	s_cmp_ge_u32 s2, s11
	s_cselect_b32 s2, s6, s3
	v_lshrrev_b32_e32 v1, 6, v6
	s_xor_b32 s2, s2, s1
	s_waitcnt lgkmcnt(0)
	s_mul_i32 s26, s0, s10
	s_sub_i32 s12, s2, s1
	s_barrier
	s_ashr_i32 s27, s26, 31
	v_cmp_gt_i32_e64 s[0:1], s21, v1
	buffer_store_dword v1, off, s[48:51], 0 offset:8 ; 4-byte Folded Spill
	v_cmp_le_i32_e32 vcc, s21, v1
	v_mbcnt_lo_u32_b32 v1, -1, 0
                                        ; implicit-def: $vgpr12
                                        ; implicit-def: $vgpr7
                                        ; implicit-def: $vgpr8
	s_and_saveexec_b64 s[2:3], vcc
	s_xor_b64 s[2:3], exec, s[2:3]
; %bb.5:
	v_mbcnt_hi_u32_b32 v12, -1, v1
	v_and_b32_e32 v7, 64, v12
	v_add_u32_e32 v8, 64, v7
                                        ; implicit-def: $vgpr0
                                        ; implicit-def: $vgpr1
; %bb.6:
	s_or_saveexec_b64 s[6:7], s[2:3]
	s_load_dwordx2 s[22:23], s[4:5], 0x0
	s_load_dwordx2 s[28:29], s[4:5], 0x18
	s_load_dword s11, s[4:5], 0x88
	s_load_dwordx4 s[16:19], s[4:5], 0x58
	v_mov_b32_e32 v2, 0xff7fffff
	s_mul_i32 s12, s12, s14
	v_lshrrev_b32_e32 v11, 4, v6
	buffer_store_dword v6, off, s[48:51], 0 offset:592 ; 4-byte Folded Spill
	s_xor_b64 exec, exec, s[6:7]
	s_cbranch_execz .LBB213_372
; %bb.7:
	v_bfe_u32 v2, v6, 1, 5
	v_mul_u32_u24_e32 v6, 0xf0, v0
	buffer_store_dword v10, off, s[48:51], 0 offset:596 ; 4-byte Folded Spill
	ds_read_b128 v[7:10], v6
	s_load_dwordx2 s[2:3], s[4:5], 0x10
	s_ashr_i32 s4, s12, 31
	s_waitcnt lgkmcnt(0)
	buffer_store_dword v7, off, s[48:51], 0 offset:340 ; 4-byte Folded Spill
	s_nop 0
	buffer_store_dword v8, off, s[48:51], 0 offset:344 ; 4-byte Folded Spill
	buffer_store_dword v9, off, s[48:51], 0 offset:348 ; 4-byte Folded Spill
	;; [unrolled: 1-line block ×3, first 2 shown]
	ds_read_b128 v[7:10], v6 offset:16
	s_add_u32 s2, s2, s12
	s_addc_u32 s3, s3, s4
	s_waitcnt lgkmcnt(0)
	buffer_store_dword v7, off, s[48:51], 0 offset:356 ; 4-byte Folded Spill
	s_nop 0
	buffer_store_dword v8, off, s[48:51], 0 offset:360 ; 4-byte Folded Spill
	buffer_store_dword v9, off, s[48:51], 0 offset:364 ; 4-byte Folded Spill
	;; [unrolled: 1-line block ×3, first 2 shown]
	ds_read_b128 v[7:10], v6 offset:32
	v_lshlrev_b32_e32 v3, 4, v2
	v_add_co_u32_e32 v3, vcc, s2, v3
	s_waitcnt lgkmcnt(0)
	buffer_store_dword v7, off, s[48:51], 0 offset:372 ; 4-byte Folded Spill
	s_nop 0
	buffer_store_dword v8, off, s[48:51], 0 offset:376 ; 4-byte Folded Spill
	buffer_store_dword v9, off, s[48:51], 0 offset:380 ; 4-byte Folded Spill
	;; [unrolled: 1-line block ×3, first 2 shown]
	ds_read_b128 v[7:10], v6 offset:48
	v_mov_b32_e32 v4, s3
	v_addc_co_u32_e32 v4, vcc, 0, v4, vcc
	s_waitcnt lgkmcnt(0)
	buffer_store_dword v7, off, s[48:51], 0 offset:388 ; 4-byte Folded Spill
	s_nop 0
	buffer_store_dword v8, off, s[48:51], 0 offset:392 ; 4-byte Folded Spill
	buffer_store_dword v9, off, s[48:51], 0 offset:396 ; 4-byte Folded Spill
	;; [unrolled: 1-line block ×3, first 2 shown]
	ds_read_b128 v[7:10], v6 offset:64
	v_lshlrev_b32_e32 v5, 1, v0
	s_sub_i32 s41, 1, s30
	s_waitcnt lgkmcnt(0)
	buffer_store_dword v7, off, s[48:51], 0 offset:404 ; 4-byte Folded Spill
	s_nop 0
	buffer_store_dword v8, off, s[48:51], 0 offset:408 ; 4-byte Folded Spill
	buffer_store_dword v9, off, s[48:51], 0 offset:412 ; 4-byte Folded Spill
	;; [unrolled: 1-line block ×3, first 2 shown]
	ds_read_b128 v[7:10], v6 offset:80
	s_mov_b32 s38, s13
	v_mov_b32_e32 v61, 0
	s_waitcnt lgkmcnt(0)
	buffer_store_dword v7, off, s[48:51], 0 offset:420 ; 4-byte Folded Spill
	s_nop 0
	buffer_store_dword v8, off, s[48:51], 0 offset:424 ; 4-byte Folded Spill
	buffer_store_dword v9, off, s[48:51], 0 offset:428 ; 4-byte Folded Spill
	;; [unrolled: 1-line block ×3, first 2 shown]
	ds_read_b128 v[7:10], v6 offset:96
	v_cmp_neq_f32_e64 s[2:3], s33, 0
	s_movk_i32 s42, 0x80
	s_waitcnt lgkmcnt(0)
	buffer_store_dword v7, off, s[48:51], 0 offset:436 ; 4-byte Folded Spill
	s_nop 0
	buffer_store_dword v8, off, s[48:51], 0 offset:440 ; 4-byte Folded Spill
	buffer_store_dword v9, off, s[48:51], 0 offset:444 ; 4-byte Folded Spill
	;; [unrolled: 1-line block ×3, first 2 shown]
	ds_read_b128 v[7:10], v6 offset:112
	s_movk_i32 s43, 0x7f
	s_brev_b32 s44, 1
	s_waitcnt lgkmcnt(0)
	buffer_store_dword v7, off, s[48:51], 0 offset:452 ; 4-byte Folded Spill
	s_nop 0
	buffer_store_dword v8, off, s[48:51], 0 offset:456 ; 4-byte Folded Spill
	buffer_store_dword v9, off, s[48:51], 0 offset:460 ; 4-byte Folded Spill
	buffer_store_dword v10, off, s[48:51], 0 offset:464 ; 4-byte Folded Spill
	ds_read_b128 v[7:10], v6 offset:128
	v_bfrev_b32_e32 v62, 1
	s_waitcnt lgkmcnt(0)
	buffer_store_dword v7, off, s[48:51], 0 offset:468 ; 4-byte Folded Spill
	s_nop 0
	buffer_store_dword v8, off, s[48:51], 0 offset:472 ; 4-byte Folded Spill
	buffer_store_dword v9, off, s[48:51], 0 offset:476 ; 4-byte Folded Spill
	buffer_store_dword v10, off, s[48:51], 0 offset:480 ; 4-byte Folded Spill
	ds_read_b128 v[7:10], v6 offset:144
	s_waitcnt lgkmcnt(0)
	buffer_store_dword v7, off, s[48:51], 0 offset:484 ; 4-byte Folded Spill
	s_nop 0
	buffer_store_dword v8, off, s[48:51], 0 offset:488 ; 4-byte Folded Spill
	buffer_store_dword v9, off, s[48:51], 0 offset:492 ; 4-byte Folded Spill
	buffer_store_dword v10, off, s[48:51], 0 offset:496 ; 4-byte Folded Spill
	ds_read_b128 v[7:10], v6 offset:160
	;; [unrolled: 7-line block ×4, first 2 shown]
	s_waitcnt lgkmcnt(0)
	buffer_store_dword v7, off, s[48:51], 0 offset:532 ; 4-byte Folded Spill
	s_nop 0
	buffer_store_dword v8, off, s[48:51], 0 offset:536 ; 4-byte Folded Spill
	buffer_store_dword v9, off, s[48:51], 0 offset:540 ; 4-byte Folded Spill
	;; [unrolled: 1-line block ×3, first 2 shown]
	v_mbcnt_hi_u32_b32 v7, -1, v1
	v_and_b32_e32 v8, 64, v7
	v_xor_b32_e32 v1, 1, v7
	buffer_store_dword v8, off, s[48:51], 0 offset:608 ; 4-byte Folded Spill
	v_add_u32_e32 v8, 64, v8
	v_cmp_lt_i32_e32 vcc, v1, v8
	buffer_store_dword v8, off, s[48:51], 0 offset:612 ; 4-byte Folded Spill
	buffer_store_dword v7, off, s[48:51], 0 offset:604 ; 4-byte Folded Spill
	v_cndmask_b32_e32 v1, v7, v1, vcc
	ds_read_b128 v[7:10], v6 offset:208
	v_lshlrev_b32_e32 v1, 2, v1
	buffer_store_dword v1, off, s[48:51], 0 offset:548 ; 4-byte Folded Spill
	s_waitcnt lgkmcnt(0)
	buffer_store_dword v7, off, s[48:51], 0 offset:552 ; 4-byte Folded Spill
	s_nop 0
	buffer_store_dword v8, off, s[48:51], 0 offset:556 ; 4-byte Folded Spill
	buffer_store_dword v9, off, s[48:51], 0 offset:560 ; 4-byte Folded Spill
	;; [unrolled: 1-line block ×3, first 2 shown]
	ds_read_b128 v[6:9], v6 offset:224
	v_cmp_eq_u32_e32 vcc, 0, v0
	v_add_co_u32_e64 v0, s[4:5], v3, v5
	s_waitcnt lgkmcnt(0)
	buffer_store_dword v6, off, s[48:51], 0 offset:568 ; 4-byte Folded Spill
	s_nop 0
	buffer_store_dword v7, off, s[48:51], 0 offset:572 ; 4-byte Folded Spill
	buffer_store_dword v8, off, s[48:51], 0 offset:576 ; 4-byte Folded Spill
	;; [unrolled: 1-line block ×3, first 2 shown]
	v_addc_co_u32_e64 v1, s[4:5], 0, v4, s[4:5]
	s_load_dword s39, s[16:17], 0x0
	buffer_store_dword v0, off, s[48:51], 0 offset:584 ; 4-byte Folded Spill
	s_nop 0
	buffer_store_dword v1, off, s[48:51], 0 offset:588 ; 4-byte Folded Spill
	buffer_load_dword v0, off, s[48:51], 0 offset:8 ; 4-byte Folded Reload
	s_lshl_b64 s[4:5], s[26:27], 2
	s_add_u32 s4, s24, s4
	s_addc_u32 s14, s25, s5
	s_waitcnt lgkmcnt(0)
	s_mov_b32 s40, s39
	s_waitcnt vmcnt(0)
	v_lshl_or_b32 v1, v0, 5, v2
	buffer_store_dword v1, off, s[48:51], 0 offset:292 ; 4-byte Folded Spill
	v_lshlrev_b32_e32 v1, 2, v2
	v_lshl_or_b32 v1, v0, 7, v1
	v_add_u32_e32 v1, 0x1f0, v1
	buffer_store_dword v1, off, s[48:51], 0 offset:296 ; 4-byte Folded Spill
	buffer_store_dword v11, off, s[48:51], 0 offset:600 ; 4-byte Folded Spill
	v_and_b32_e32 v1, 60, v11
	v_add_co_u32_e64 v3, s[4:5], s4, v1
	v_mov_b32_e32 v1, 0xff7fffff
	buffer_store_dword v1, off, s[48:51], 0 offset:336 ; 4-byte Folded Spill
	v_mov_b32_e32 v1, 0x7f800001
	buffer_store_dword v0, off, s[48:51], 0 ; 4-byte Folded Spill
	s_nop 0
	buffer_store_dword v1, off, s[48:51], 0 offset:4 ; 4-byte Folded Spill
	v_mov_b32_e32 v2, s14
	v_addc_co_u32_e64 v4, s[4:5], 0, v2, s[4:5]
	s_mov_b64 s[14:15], 0
	v_mov_b32_e32 v6, v0
	v_mov_b32_e32 v0, v3
	;; [unrolled: 1-line block ×3, first 2 shown]
	s_branch .LBB213_9
.LBB213_8:                              ;   in Loop: Header=BB213_9 Depth=1
	s_or_b64 exec, exec, s[16:17]
	buffer_load_dword v0, off, s[48:51], 0 offset:292 ; 4-byte Folded Reload
	s_waitcnt vmcnt(1)
	v_add_u32_e32 v6, 2, v6
	v_cmp_le_i32_e64 s[4:5], s21, v6
	s_or_b64 s[14:15], s[4:5], s[14:15]
	s_waitcnt vmcnt(0)
	v_add_u32_e32 v0, 64, v0
	buffer_store_dword v0, off, s[48:51], 0 offset:292 ; 4-byte Folded Spill
	buffer_load_dword v0, off, s[48:51], 0 offset:296 ; 4-byte Folded Reload
	s_waitcnt vmcnt(0)
	v_add_u32_e32 v0, 0x100, v0
	buffer_store_dword v0, off, s[48:51], 0 offset:296 ; 4-byte Folded Spill
	buffer_load_dword v0, off, s[48:51], 0 offset:300 ; 4-byte Folded Reload
	s_nop 0
	buffer_load_dword v1, off, s[48:51], 0 offset:304 ; 4-byte Folded Reload
	s_waitcnt vmcnt(1)
	v_add_co_u32_e64 v0, s[4:5], 8, v0
	s_waitcnt vmcnt(0)
	v_addc_co_u32_e64 v1, s[4:5], 0, v1, s[4:5]
	s_andn2_b64 exec, exec, s[14:15]
	s_cbranch_execz .LBB213_371
.LBB213_9:                              ; =>This Inner Loop Header: Depth=1
	buffer_store_dword v6, off, s[48:51], 0 offset:308 ; 4-byte Folded Spill
	buffer_store_dword v0, off, s[48:51], 0 offset:300 ; 4-byte Folded Spill
	s_nop 0
	buffer_store_dword v1, off, s[48:51], 0 offset:304 ; 4-byte Folded Spill
	v_mov_b32_e32 v18, 0
	v_mov_b32_e32 v19, 0
	global_load_dword v3, v[0:1], off
	s_nop 0
	buffer_load_dword v0, off, s[48:51], 0 offset:584 ; 4-byte Folded Reload
	buffer_load_dword v1, off, s[48:51], 0 offset:588 ; 4-byte Folded Reload
	s_waitcnt vmcnt(0)
	v_mad_i64_i32 v[13:14], s[4:5], v3, s38, v[0:1]
	v_mov_b32_e32 v0, 0
	v_mov_b32_e32 v1, 0
	s_waitcnt lgkmcnt(0)
	global_load_ushort v4, v[13:14], off
	s_nop 0
	buffer_store_dword v0, off, s[48:51], 0 offset:12 ; 4-byte Folded Spill
	s_nop 0
	buffer_store_dword v1, off, s[48:51], 0 offset:16 ; 4-byte Folded Spill
	s_waitcnt vmcnt(2)
	v_and_b32_e32 v3, 0xffff, v4
	v_cmp_ne_u16_sdwa s[4:5], v4, v61 src0_sel:BYTE_0 src1_sel:DWORD
	s_and_saveexec_b64 s[16:17], s[4:5]
	s_cbranch_execz .LBB213_15
; %bb.10:                               ;   in Loop: Header=BB213_9 Depth=1
	v_bfrev_b32_e32 v18, 1
	v_mov_b32_e32 v19, 0
	v_cmp_ne_u16_sdwa s[4:5], v3, s42 src0_sel:BYTE_0 src1_sel:DWORD
	s_and_saveexec_b64 s[34:35], s[4:5]
	s_cbranch_execz .LBB213_14
; %bb.11:                               ;   in Loop: Header=BB213_9 Depth=1
	v_and_b32_e32 v4, 0x7f, v3
	v_mov_b32_e32 v18, 0x7f800001
	v_mov_b32_e32 v19, 0
	v_cmp_ne_u32_e64 s[4:5], s43, v4
	s_and_saveexec_b64 s[36:37], s[4:5]
	s_cbranch_execz .LBB213_13
; %bb.12:                               ;   in Loop: Header=BB213_9 Depth=1
	v_and_b32_e32 v6, 7, v3
	v_lshrrev_b32_e32 v7, 3, v4
	v_cmp_gt_u32_e64 s[4:5], 8, v4
	v_ffbh_u32_e32 v4, v6
	v_min_u32_e32 v8, 32, v4
	v_subrev_u32_e32 v4, 28, v8
	v_lshlrev_b64 v[4:5], v4, v[3:4]
	v_sub_u32_e32 v5, 29, v8
	v_and_b32_e32 v4, 7, v4
	v_cndmask_b32_e64 v5, v7, v5, s[4:5]
	v_cndmask_b32_e64 v4, v6, v4, s[4:5]
	v_bfrev_b32_e32 v0, 60
	v_lshlrev_b32_e32 v4, 20, v4
	v_and_b32_sdwa v6, sext(v3), s44 dst_sel:DWORD dst_unused:UNUSED_PAD src0_sel:BYTE_0 src1_sel:DWORD
	v_lshl_add_u32 v5, v5, 23, v0
	v_or3_b32 v18, v6, v5, v4
	v_mov_b32_e32 v19, v61
.LBB213_13:                             ;   in Loop: Header=BB213_9 Depth=1
	s_or_b64 exec, exec, s[36:37]
.LBB213_14:                             ;   in Loop: Header=BB213_9 Depth=1
	s_or_b64 exec, exec, s[34:35]
.LBB213_15:                             ;   in Loop: Header=BB213_9 Depth=1
	s_or_b64 exec, exec, s[16:17]
	v_cmp_ne_u16_sdwa s[4:5], v3, v61 src0_sel:BYTE_1 src1_sel:DWORD
	s_and_saveexec_b64 s[16:17], s[4:5]
	s_cbranch_execz .LBB213_21
; %bb.16:                               ;   in Loop: Header=BB213_9 Depth=1
	v_cmp_ne_u16_sdwa s[4:5], v3, s42 src0_sel:BYTE_1 src1_sel:DWORD
	buffer_store_dword v61, off, s[48:51], 0 offset:12 ; 4-byte Folded Spill
	s_nop 0
	buffer_store_dword v62, off, s[48:51], 0 offset:16 ; 4-byte Folded Spill
	s_and_saveexec_b64 s[34:35], s[4:5]
	s_cbranch_execz .LBB213_20
; %bb.17:                               ;   in Loop: Header=BB213_9 Depth=1
	buffer_load_dword v0, off, s[48:51], 0  ; 4-byte Folded Reload
	buffer_load_dword v1, off, s[48:51], 0 offset:4 ; 4-byte Folded Reload
	v_and_b32_sdwa v4, v3, s43 dst_sel:DWORD dst_unused:UNUSED_PAD src0_sel:BYTE_1 src1_sel:DWORD
	v_cmp_ne_u32_e64 s[4:5], s43, v4
	s_waitcnt vmcnt(1)
	v_mov_b32_e32 v0, v61
	s_waitcnt vmcnt(0)
	v_mov_b32_e32 v2, v1
	buffer_store_dword v1, off, s[48:51], 0 ; 4-byte Folded Spill
	s_nop 0
	buffer_store_dword v2, off, s[48:51], 0 offset:4 ; 4-byte Folded Spill
	buffer_store_dword v0, off, s[48:51], 0 offset:12 ; 4-byte Folded Spill
	s_nop 0
	buffer_store_dword v1, off, s[48:51], 0 offset:16 ; 4-byte Folded Spill
	s_and_saveexec_b64 s[36:37], s[4:5]
	s_cbranch_execz .LBB213_19
; %bb.18:                               ;   in Loop: Header=BB213_9 Depth=1
	v_mov_b32_e32 v0, 7
	v_and_b32_sdwa v5, v3, v0 dst_sel:DWORD dst_unused:UNUSED_PAD src0_sel:BYTE_1 src1_sel:DWORD
	v_lshrrev_b32_e32 v8, 3, v4
	v_cmp_gt_u32_e64 s[4:5], 8, v4
	v_ffbh_u32_e32 v4, v5
	v_min_u32_e32 v4, 32, v4
	v_mov_b32_e32 v6, v61
	v_subrev_u32_e32 v7, 28, v4
	v_lshlrev_b64 v[6:7], v7, v[5:6]
	v_sub_u32_e32 v4, 29, v4
	v_and_b32_e32 v6, 7, v6
	v_cndmask_b32_e64 v4, v8, v4, s[4:5]
	v_bfrev_b32_e32 v0, 60
	v_cndmask_b32_e64 v5, v5, v6, s[4:5]
	v_lshlrev_b32_e32 v3, 16, v3
	v_lshl_add_u32 v4, v4, 23, v0
	v_and_or_b32 v3, v3, s44, v4
	v_lshlrev_b32_e32 v4, 20, v5
	v_or_b32_e32 v1, v3, v4
	v_mov_b32_e32 v0, v61
	buffer_store_dword v0, off, s[48:51], 0 offset:12 ; 4-byte Folded Spill
	s_nop 0
	buffer_store_dword v1, off, s[48:51], 0 offset:16 ; 4-byte Folded Spill
.LBB213_19:                             ;   in Loop: Header=BB213_9 Depth=1
	s_or_b64 exec, exec, s[36:37]
.LBB213_20:                             ;   in Loop: Header=BB213_9 Depth=1
	s_or_b64 exec, exec, s[34:35]
.LBB213_21:                             ;   in Loop: Header=BB213_9 Depth=1
	s_or_b64 exec, exec, s[16:17]
	global_load_ushort v4, v[13:14], off offset:4
	v_mov_b32_e32 v0, 0
	v_mov_b32_e32 v1, 0
	buffer_store_dword v0, off, s[48:51], 0 offset:28 ; 4-byte Folded Spill
	s_nop 0
	buffer_store_dword v1, off, s[48:51], 0 offset:32 ; 4-byte Folded Spill
	v_mov_b32_e32 v0, 0
	v_mov_b32_e32 v1, 0
	buffer_store_dword v0, off, s[48:51], 0 offset:20 ; 4-byte Folded Spill
	s_nop 0
	buffer_store_dword v1, off, s[48:51], 0 offset:24 ; 4-byte Folded Spill
	s_waitcnt vmcnt(4)
	v_and_b32_e32 v3, 0xffff, v4
	v_cmp_ne_u16_sdwa s[4:5], v4, v61 src0_sel:BYTE_0 src1_sel:DWORD
	s_and_saveexec_b64 s[16:17], s[4:5]
	s_cbranch_execz .LBB213_27
; %bb.22:                               ;   in Loop: Header=BB213_9 Depth=1
	v_bfrev_b32_e32 v0, 1
	v_mov_b32_e32 v1, 0
	v_cmp_ne_u16_sdwa s[4:5], v3, s42 src0_sel:BYTE_0 src1_sel:DWORD
	buffer_store_dword v0, off, s[48:51], 0 offset:20 ; 4-byte Folded Spill
	s_nop 0
	buffer_store_dword v1, off, s[48:51], 0 offset:24 ; 4-byte Folded Spill
	s_and_saveexec_b64 s[34:35], s[4:5]
	s_cbranch_execz .LBB213_26
; %bb.23:                               ;   in Loop: Header=BB213_9 Depth=1
	v_and_b32_e32 v4, 0x7f, v3
	v_mov_b32_e32 v0, 0x7f800001
	v_mov_b32_e32 v1, 0
	v_cmp_ne_u32_e64 s[4:5], s43, v4
	buffer_store_dword v0, off, s[48:51], 0 offset:20 ; 4-byte Folded Spill
	s_nop 0
	buffer_store_dword v1, off, s[48:51], 0 offset:24 ; 4-byte Folded Spill
	s_and_saveexec_b64 s[36:37], s[4:5]
	s_cbranch_execz .LBB213_25
; %bb.24:                               ;   in Loop: Header=BB213_9 Depth=1
	v_and_b32_e32 v6, 7, v3
	v_lshrrev_b32_e32 v7, 3, v4
	v_cmp_gt_u32_e64 s[4:5], 8, v4
	v_ffbh_u32_e32 v4, v6
	v_min_u32_e32 v8, 32, v4
	v_subrev_u32_e32 v4, 28, v8
	v_lshlrev_b64 v[4:5], v4, v[3:4]
	v_sub_u32_e32 v5, 29, v8
	v_and_b32_e32 v4, 7, v4
	v_cndmask_b32_e64 v5, v7, v5, s[4:5]
	v_cndmask_b32_e64 v4, v6, v4, s[4:5]
	v_bfrev_b32_e32 v0, 60
	v_lshlrev_b32_e32 v4, 20, v4
	v_and_b32_sdwa v6, sext(v3), s44 dst_sel:DWORD dst_unused:UNUSED_PAD src0_sel:BYTE_0 src1_sel:DWORD
	v_lshl_add_u32 v5, v5, 23, v0
	v_or3_b32 v0, v6, v5, v4
	v_mov_b32_e32 v1, v61
	buffer_store_dword v0, off, s[48:51], 0 offset:20 ; 4-byte Folded Spill
	s_nop 0
	buffer_store_dword v1, off, s[48:51], 0 offset:24 ; 4-byte Folded Spill
.LBB213_25:                             ;   in Loop: Header=BB213_9 Depth=1
	s_or_b64 exec, exec, s[36:37]
.LBB213_26:                             ;   in Loop: Header=BB213_9 Depth=1
	s_or_b64 exec, exec, s[34:35]
.LBB213_27:                             ;   in Loop: Header=BB213_9 Depth=1
	s_or_b64 exec, exec, s[16:17]
	v_cmp_ne_u16_sdwa s[4:5], v3, v61 src0_sel:BYTE_1 src1_sel:DWORD
	s_and_saveexec_b64 s[16:17], s[4:5]
	s_cbranch_execz .LBB213_33
; %bb.28:                               ;   in Loop: Header=BB213_9 Depth=1
	v_cmp_ne_u16_sdwa s[4:5], v3, s42 src0_sel:BYTE_1 src1_sel:DWORD
	buffer_store_dword v61, off, s[48:51], 0 offset:28 ; 4-byte Folded Spill
	s_nop 0
	buffer_store_dword v62, off, s[48:51], 0 offset:32 ; 4-byte Folded Spill
	s_and_saveexec_b64 s[34:35], s[4:5]
	s_cbranch_execz .LBB213_32
; %bb.29:                               ;   in Loop: Header=BB213_9 Depth=1
	buffer_load_dword v0, off, s[48:51], 0  ; 4-byte Folded Reload
	buffer_load_dword v1, off, s[48:51], 0 offset:4 ; 4-byte Folded Reload
	v_and_b32_sdwa v4, v3, s43 dst_sel:DWORD dst_unused:UNUSED_PAD src0_sel:BYTE_1 src1_sel:DWORD
	v_cmp_ne_u32_e64 s[4:5], s43, v4
	s_waitcnt vmcnt(1)
	v_mov_b32_e32 v0, v61
	s_waitcnt vmcnt(0)
	v_mov_b32_e32 v2, v1
	buffer_store_dword v1, off, s[48:51], 0 ; 4-byte Folded Spill
	s_nop 0
	buffer_store_dword v2, off, s[48:51], 0 offset:4 ; 4-byte Folded Spill
	buffer_store_dword v0, off, s[48:51], 0 offset:28 ; 4-byte Folded Spill
	s_nop 0
	buffer_store_dword v1, off, s[48:51], 0 offset:32 ; 4-byte Folded Spill
	s_and_saveexec_b64 s[36:37], s[4:5]
	s_cbranch_execz .LBB213_31
; %bb.30:                               ;   in Loop: Header=BB213_9 Depth=1
	v_mov_b32_e32 v0, 7
	v_and_b32_sdwa v5, v3, v0 dst_sel:DWORD dst_unused:UNUSED_PAD src0_sel:BYTE_1 src1_sel:DWORD
	v_lshrrev_b32_e32 v8, 3, v4
	v_cmp_gt_u32_e64 s[4:5], 8, v4
	v_ffbh_u32_e32 v4, v5
	v_min_u32_e32 v4, 32, v4
	v_mov_b32_e32 v6, v61
	v_subrev_u32_e32 v7, 28, v4
	v_lshlrev_b64 v[6:7], v7, v[5:6]
	v_sub_u32_e32 v4, 29, v4
	v_and_b32_e32 v6, 7, v6
	v_cndmask_b32_e64 v4, v8, v4, s[4:5]
	v_bfrev_b32_e32 v0, 60
	v_cndmask_b32_e64 v5, v5, v6, s[4:5]
	v_lshlrev_b32_e32 v3, 16, v3
	v_lshl_add_u32 v4, v4, 23, v0
	v_and_or_b32 v3, v3, s44, v4
	v_lshlrev_b32_e32 v4, 20, v5
	v_or_b32_e32 v1, v3, v4
	v_mov_b32_e32 v0, v61
	buffer_store_dword v0, off, s[48:51], 0 offset:28 ; 4-byte Folded Spill
	s_nop 0
	buffer_store_dword v1, off, s[48:51], 0 offset:32 ; 4-byte Folded Spill
.LBB213_31:                             ;   in Loop: Header=BB213_9 Depth=1
	s_or_b64 exec, exec, s[36:37]
.LBB213_32:                             ;   in Loop: Header=BB213_9 Depth=1
	s_or_b64 exec, exec, s[34:35]
.LBB213_33:                             ;   in Loop: Header=BB213_9 Depth=1
	s_or_b64 exec, exec, s[16:17]
	global_load_ushort v4, v[13:14], off offset:8
	v_mov_b32_e32 v0, 0
	v_mov_b32_e32 v1, 0
	buffer_store_dword v0, off, s[48:51], 0 offset:44 ; 4-byte Folded Spill
	s_nop 0
	buffer_store_dword v1, off, s[48:51], 0 offset:48 ; 4-byte Folded Spill
	v_mov_b32_e32 v0, 0
	v_mov_b32_e32 v1, 0
	buffer_store_dword v0, off, s[48:51], 0 offset:36 ; 4-byte Folded Spill
	s_nop 0
	buffer_store_dword v1, off, s[48:51], 0 offset:40 ; 4-byte Folded Spill
	s_waitcnt vmcnt(4)
	v_and_b32_e32 v3, 0xffff, v4
	v_cmp_ne_u16_sdwa s[4:5], v4, v61 src0_sel:BYTE_0 src1_sel:DWORD
	s_and_saveexec_b64 s[16:17], s[4:5]
	s_cbranch_execz .LBB213_39
; %bb.34:                               ;   in Loop: Header=BB213_9 Depth=1
	v_bfrev_b32_e32 v0, 1
	v_mov_b32_e32 v1, 0
	v_cmp_ne_u16_sdwa s[4:5], v3, s42 src0_sel:BYTE_0 src1_sel:DWORD
	buffer_store_dword v0, off, s[48:51], 0 offset:36 ; 4-byte Folded Spill
	s_nop 0
	buffer_store_dword v1, off, s[48:51], 0 offset:40 ; 4-byte Folded Spill
	s_and_saveexec_b64 s[34:35], s[4:5]
	s_cbranch_execz .LBB213_38
; %bb.35:                               ;   in Loop: Header=BB213_9 Depth=1
	v_and_b32_e32 v4, 0x7f, v3
	v_mov_b32_e32 v0, 0x7f800001
	v_mov_b32_e32 v1, 0
	v_cmp_ne_u32_e64 s[4:5], s43, v4
	buffer_store_dword v0, off, s[48:51], 0 offset:36 ; 4-byte Folded Spill
	s_nop 0
	buffer_store_dword v1, off, s[48:51], 0 offset:40 ; 4-byte Folded Spill
	s_and_saveexec_b64 s[36:37], s[4:5]
	s_cbranch_execz .LBB213_37
; %bb.36:                               ;   in Loop: Header=BB213_9 Depth=1
	v_and_b32_e32 v6, 7, v3
	v_lshrrev_b32_e32 v7, 3, v4
	v_cmp_gt_u32_e64 s[4:5], 8, v4
	v_ffbh_u32_e32 v4, v6
	v_min_u32_e32 v8, 32, v4
	v_subrev_u32_e32 v4, 28, v8
	v_lshlrev_b64 v[4:5], v4, v[3:4]
	v_sub_u32_e32 v5, 29, v8
	v_and_b32_e32 v4, 7, v4
	v_cndmask_b32_e64 v5, v7, v5, s[4:5]
	v_cndmask_b32_e64 v4, v6, v4, s[4:5]
	v_bfrev_b32_e32 v0, 60
	v_lshlrev_b32_e32 v4, 20, v4
	v_and_b32_sdwa v6, sext(v3), s44 dst_sel:DWORD dst_unused:UNUSED_PAD src0_sel:BYTE_0 src1_sel:DWORD
	v_lshl_add_u32 v5, v5, 23, v0
	v_or3_b32 v0, v6, v5, v4
	v_mov_b32_e32 v1, v61
	buffer_store_dword v0, off, s[48:51], 0 offset:36 ; 4-byte Folded Spill
	s_nop 0
	buffer_store_dword v1, off, s[48:51], 0 offset:40 ; 4-byte Folded Spill
.LBB213_37:                             ;   in Loop: Header=BB213_9 Depth=1
	s_or_b64 exec, exec, s[36:37]
.LBB213_38:                             ;   in Loop: Header=BB213_9 Depth=1
	s_or_b64 exec, exec, s[34:35]
.LBB213_39:                             ;   in Loop: Header=BB213_9 Depth=1
	s_or_b64 exec, exec, s[16:17]
	v_cmp_ne_u16_sdwa s[4:5], v3, v61 src0_sel:BYTE_1 src1_sel:DWORD
	s_and_saveexec_b64 s[16:17], s[4:5]
	s_cbranch_execz .LBB213_45
; %bb.40:                               ;   in Loop: Header=BB213_9 Depth=1
	v_cmp_ne_u16_sdwa s[4:5], v3, s42 src0_sel:BYTE_1 src1_sel:DWORD
	buffer_store_dword v61, off, s[48:51], 0 offset:44 ; 4-byte Folded Spill
	s_nop 0
	buffer_store_dword v62, off, s[48:51], 0 offset:48 ; 4-byte Folded Spill
	s_and_saveexec_b64 s[34:35], s[4:5]
	s_cbranch_execz .LBB213_44
; %bb.41:                               ;   in Loop: Header=BB213_9 Depth=1
	buffer_load_dword v0, off, s[48:51], 0  ; 4-byte Folded Reload
	buffer_load_dword v1, off, s[48:51], 0 offset:4 ; 4-byte Folded Reload
	v_and_b32_sdwa v4, v3, s43 dst_sel:DWORD dst_unused:UNUSED_PAD src0_sel:BYTE_1 src1_sel:DWORD
	v_cmp_ne_u32_e64 s[4:5], s43, v4
	s_waitcnt vmcnt(1)
	v_mov_b32_e32 v0, v61
	s_waitcnt vmcnt(0)
	v_mov_b32_e32 v2, v1
	buffer_store_dword v1, off, s[48:51], 0 ; 4-byte Folded Spill
	s_nop 0
	buffer_store_dword v2, off, s[48:51], 0 offset:4 ; 4-byte Folded Spill
	buffer_store_dword v0, off, s[48:51], 0 offset:44 ; 4-byte Folded Spill
	s_nop 0
	buffer_store_dword v1, off, s[48:51], 0 offset:48 ; 4-byte Folded Spill
	s_and_saveexec_b64 s[36:37], s[4:5]
	s_cbranch_execz .LBB213_43
; %bb.42:                               ;   in Loop: Header=BB213_9 Depth=1
	v_mov_b32_e32 v0, 7
	v_and_b32_sdwa v5, v3, v0 dst_sel:DWORD dst_unused:UNUSED_PAD src0_sel:BYTE_1 src1_sel:DWORD
	v_lshrrev_b32_e32 v8, 3, v4
	v_cmp_gt_u32_e64 s[4:5], 8, v4
	v_ffbh_u32_e32 v4, v5
	v_min_u32_e32 v4, 32, v4
	v_mov_b32_e32 v6, v61
	v_subrev_u32_e32 v7, 28, v4
	v_lshlrev_b64 v[6:7], v7, v[5:6]
	v_sub_u32_e32 v4, 29, v4
	v_and_b32_e32 v6, 7, v6
	v_cndmask_b32_e64 v4, v8, v4, s[4:5]
	v_bfrev_b32_e32 v0, 60
	v_cndmask_b32_e64 v5, v5, v6, s[4:5]
	v_lshlrev_b32_e32 v3, 16, v3
	v_lshl_add_u32 v4, v4, 23, v0
	v_and_or_b32 v3, v3, s44, v4
	v_lshlrev_b32_e32 v4, 20, v5
	v_or_b32_e32 v1, v3, v4
	v_mov_b32_e32 v0, v61
	buffer_store_dword v0, off, s[48:51], 0 offset:44 ; 4-byte Folded Spill
	s_nop 0
	buffer_store_dword v1, off, s[48:51], 0 offset:48 ; 4-byte Folded Spill
.LBB213_43:                             ;   in Loop: Header=BB213_9 Depth=1
	s_or_b64 exec, exec, s[36:37]
.LBB213_44:                             ;   in Loop: Header=BB213_9 Depth=1
	s_or_b64 exec, exec, s[34:35]
.LBB213_45:                             ;   in Loop: Header=BB213_9 Depth=1
	s_or_b64 exec, exec, s[16:17]
	global_load_ushort v4, v[13:14], off offset:12
	v_mov_b32_e32 v0, 0
	v_mov_b32_e32 v1, 0
	buffer_store_dword v0, off, s[48:51], 0 offset:60 ; 4-byte Folded Spill
	s_nop 0
	buffer_store_dword v1, off, s[48:51], 0 offset:64 ; 4-byte Folded Spill
	v_mov_b32_e32 v0, 0
	v_mov_b32_e32 v1, 0
	buffer_store_dword v0, off, s[48:51], 0 offset:52 ; 4-byte Folded Spill
	s_nop 0
	buffer_store_dword v1, off, s[48:51], 0 offset:56 ; 4-byte Folded Spill
	s_waitcnt vmcnt(4)
	v_and_b32_e32 v3, 0xffff, v4
	v_cmp_ne_u16_sdwa s[4:5], v4, v61 src0_sel:BYTE_0 src1_sel:DWORD
	s_and_saveexec_b64 s[16:17], s[4:5]
	s_cbranch_execz .LBB213_51
; %bb.46:                               ;   in Loop: Header=BB213_9 Depth=1
	v_bfrev_b32_e32 v0, 1
	v_mov_b32_e32 v1, 0
	v_cmp_ne_u16_sdwa s[4:5], v3, s42 src0_sel:BYTE_0 src1_sel:DWORD
	buffer_store_dword v0, off, s[48:51], 0 offset:52 ; 4-byte Folded Spill
	s_nop 0
	buffer_store_dword v1, off, s[48:51], 0 offset:56 ; 4-byte Folded Spill
	s_and_saveexec_b64 s[34:35], s[4:5]
	s_cbranch_execz .LBB213_50
; %bb.47:                               ;   in Loop: Header=BB213_9 Depth=1
	v_and_b32_e32 v4, 0x7f, v3
	v_mov_b32_e32 v0, 0x7f800001
	v_mov_b32_e32 v1, 0
	v_cmp_ne_u32_e64 s[4:5], s43, v4
	buffer_store_dword v0, off, s[48:51], 0 offset:52 ; 4-byte Folded Spill
	s_nop 0
	buffer_store_dword v1, off, s[48:51], 0 offset:56 ; 4-byte Folded Spill
	s_and_saveexec_b64 s[36:37], s[4:5]
	s_cbranch_execz .LBB213_49
; %bb.48:                               ;   in Loop: Header=BB213_9 Depth=1
	v_and_b32_e32 v6, 7, v3
	v_lshrrev_b32_e32 v7, 3, v4
	v_cmp_gt_u32_e64 s[4:5], 8, v4
	v_ffbh_u32_e32 v4, v6
	v_min_u32_e32 v8, 32, v4
	v_subrev_u32_e32 v4, 28, v8
	v_lshlrev_b64 v[4:5], v4, v[3:4]
	v_sub_u32_e32 v5, 29, v8
	v_and_b32_e32 v4, 7, v4
	v_cndmask_b32_e64 v5, v7, v5, s[4:5]
	v_cndmask_b32_e64 v4, v6, v4, s[4:5]
	v_bfrev_b32_e32 v0, 60
	v_lshlrev_b32_e32 v4, 20, v4
	v_and_b32_sdwa v6, sext(v3), s44 dst_sel:DWORD dst_unused:UNUSED_PAD src0_sel:BYTE_0 src1_sel:DWORD
	v_lshl_add_u32 v5, v5, 23, v0
	v_or3_b32 v0, v6, v5, v4
	v_mov_b32_e32 v1, v61
	buffer_store_dword v0, off, s[48:51], 0 offset:52 ; 4-byte Folded Spill
	s_nop 0
	buffer_store_dword v1, off, s[48:51], 0 offset:56 ; 4-byte Folded Spill
.LBB213_49:                             ;   in Loop: Header=BB213_9 Depth=1
	s_or_b64 exec, exec, s[36:37]
.LBB213_50:                             ;   in Loop: Header=BB213_9 Depth=1
	s_or_b64 exec, exec, s[34:35]
.LBB213_51:                             ;   in Loop: Header=BB213_9 Depth=1
	s_or_b64 exec, exec, s[16:17]
	v_cmp_ne_u16_sdwa s[4:5], v3, v61 src0_sel:BYTE_1 src1_sel:DWORD
	s_and_saveexec_b64 s[16:17], s[4:5]
	s_cbranch_execz .LBB213_57
; %bb.52:                               ;   in Loop: Header=BB213_9 Depth=1
	v_cmp_ne_u16_sdwa s[4:5], v3, s42 src0_sel:BYTE_1 src1_sel:DWORD
	buffer_store_dword v61, off, s[48:51], 0 offset:60 ; 4-byte Folded Spill
	s_nop 0
	buffer_store_dword v62, off, s[48:51], 0 offset:64 ; 4-byte Folded Spill
	s_and_saveexec_b64 s[34:35], s[4:5]
	s_cbranch_execz .LBB213_56
; %bb.53:                               ;   in Loop: Header=BB213_9 Depth=1
	buffer_load_dword v0, off, s[48:51], 0  ; 4-byte Folded Reload
	buffer_load_dword v1, off, s[48:51], 0 offset:4 ; 4-byte Folded Reload
	v_and_b32_sdwa v4, v3, s43 dst_sel:DWORD dst_unused:UNUSED_PAD src0_sel:BYTE_1 src1_sel:DWORD
	v_cmp_ne_u32_e64 s[4:5], s43, v4
	s_waitcnt vmcnt(1)
	v_mov_b32_e32 v0, v61
	s_waitcnt vmcnt(0)
	v_mov_b32_e32 v2, v1
	buffer_store_dword v1, off, s[48:51], 0 ; 4-byte Folded Spill
	s_nop 0
	buffer_store_dword v2, off, s[48:51], 0 offset:4 ; 4-byte Folded Spill
	buffer_store_dword v0, off, s[48:51], 0 offset:60 ; 4-byte Folded Spill
	s_nop 0
	buffer_store_dword v1, off, s[48:51], 0 offset:64 ; 4-byte Folded Spill
	s_and_saveexec_b64 s[36:37], s[4:5]
	s_cbranch_execz .LBB213_55
; %bb.54:                               ;   in Loop: Header=BB213_9 Depth=1
	v_mov_b32_e32 v0, 7
	v_and_b32_sdwa v5, v3, v0 dst_sel:DWORD dst_unused:UNUSED_PAD src0_sel:BYTE_1 src1_sel:DWORD
	v_lshrrev_b32_e32 v8, 3, v4
	v_cmp_gt_u32_e64 s[4:5], 8, v4
	v_ffbh_u32_e32 v4, v5
	v_min_u32_e32 v4, 32, v4
	v_mov_b32_e32 v6, v61
	v_subrev_u32_e32 v7, 28, v4
	v_lshlrev_b64 v[6:7], v7, v[5:6]
	v_sub_u32_e32 v4, 29, v4
	v_and_b32_e32 v6, 7, v6
	v_cndmask_b32_e64 v4, v8, v4, s[4:5]
	v_bfrev_b32_e32 v0, 60
	v_cndmask_b32_e64 v5, v5, v6, s[4:5]
	v_lshlrev_b32_e32 v3, 16, v3
	v_lshl_add_u32 v4, v4, 23, v0
	v_and_or_b32 v3, v3, s44, v4
	v_lshlrev_b32_e32 v4, 20, v5
	v_or_b32_e32 v1, v3, v4
	v_mov_b32_e32 v0, v61
	buffer_store_dword v0, off, s[48:51], 0 offset:60 ; 4-byte Folded Spill
	s_nop 0
	buffer_store_dword v1, off, s[48:51], 0 offset:64 ; 4-byte Folded Spill
.LBB213_55:                             ;   in Loop: Header=BB213_9 Depth=1
	s_or_b64 exec, exec, s[36:37]
.LBB213_56:                             ;   in Loop: Header=BB213_9 Depth=1
	s_or_b64 exec, exec, s[34:35]
.LBB213_57:                             ;   in Loop: Header=BB213_9 Depth=1
	s_or_b64 exec, exec, s[16:17]
	global_load_ushort v4, v[13:14], off offset:512
	v_mov_b32_e32 v0, 0
	v_mov_b32_e32 v1, 0
	buffer_store_dword v0, off, s[48:51], 0 offset:76 ; 4-byte Folded Spill
	s_nop 0
	buffer_store_dword v1, off, s[48:51], 0 offset:80 ; 4-byte Folded Spill
	v_mov_b32_e32 v0, 0
	v_mov_b32_e32 v1, 0
	buffer_store_dword v0, off, s[48:51], 0 offset:68 ; 4-byte Folded Spill
	s_nop 0
	buffer_store_dword v1, off, s[48:51], 0 offset:72 ; 4-byte Folded Spill
	s_waitcnt vmcnt(4)
	v_and_b32_e32 v3, 0xffff, v4
	v_cmp_ne_u16_sdwa s[4:5], v4, v61 src0_sel:BYTE_0 src1_sel:DWORD
	s_and_saveexec_b64 s[16:17], s[4:5]
	s_cbranch_execz .LBB213_63
; %bb.58:                               ;   in Loop: Header=BB213_9 Depth=1
	v_bfrev_b32_e32 v0, 1
	v_mov_b32_e32 v1, 0
	v_cmp_ne_u16_sdwa s[4:5], v3, s42 src0_sel:BYTE_0 src1_sel:DWORD
	buffer_store_dword v0, off, s[48:51], 0 offset:68 ; 4-byte Folded Spill
	s_nop 0
	buffer_store_dword v1, off, s[48:51], 0 offset:72 ; 4-byte Folded Spill
	s_and_saveexec_b64 s[34:35], s[4:5]
	s_cbranch_execz .LBB213_62
; %bb.59:                               ;   in Loop: Header=BB213_9 Depth=1
	v_and_b32_e32 v4, 0x7f, v3
	v_mov_b32_e32 v0, 0x7f800001
	v_mov_b32_e32 v1, 0
	v_cmp_ne_u32_e64 s[4:5], s43, v4
	buffer_store_dword v0, off, s[48:51], 0 offset:68 ; 4-byte Folded Spill
	s_nop 0
	buffer_store_dword v1, off, s[48:51], 0 offset:72 ; 4-byte Folded Spill
	s_and_saveexec_b64 s[36:37], s[4:5]
	s_cbranch_execz .LBB213_61
; %bb.60:                               ;   in Loop: Header=BB213_9 Depth=1
	v_and_b32_e32 v6, 7, v3
	v_lshrrev_b32_e32 v7, 3, v4
	v_cmp_gt_u32_e64 s[4:5], 8, v4
	v_ffbh_u32_e32 v4, v6
	v_min_u32_e32 v8, 32, v4
	v_subrev_u32_e32 v4, 28, v8
	v_lshlrev_b64 v[4:5], v4, v[3:4]
	v_sub_u32_e32 v5, 29, v8
	v_and_b32_e32 v4, 7, v4
	v_cndmask_b32_e64 v5, v7, v5, s[4:5]
	v_cndmask_b32_e64 v4, v6, v4, s[4:5]
	v_bfrev_b32_e32 v0, 60
	v_lshlrev_b32_e32 v4, 20, v4
	v_and_b32_sdwa v6, sext(v3), s44 dst_sel:DWORD dst_unused:UNUSED_PAD src0_sel:BYTE_0 src1_sel:DWORD
	v_lshl_add_u32 v5, v5, 23, v0
	v_or3_b32 v0, v6, v5, v4
	v_mov_b32_e32 v1, v61
	buffer_store_dword v0, off, s[48:51], 0 offset:68 ; 4-byte Folded Spill
	s_nop 0
	buffer_store_dword v1, off, s[48:51], 0 offset:72 ; 4-byte Folded Spill
.LBB213_61:                             ;   in Loop: Header=BB213_9 Depth=1
	s_or_b64 exec, exec, s[36:37]
.LBB213_62:                             ;   in Loop: Header=BB213_9 Depth=1
	s_or_b64 exec, exec, s[34:35]
.LBB213_63:                             ;   in Loop: Header=BB213_9 Depth=1
	s_or_b64 exec, exec, s[16:17]
	v_cmp_ne_u16_sdwa s[4:5], v3, v61 src0_sel:BYTE_1 src1_sel:DWORD
	s_and_saveexec_b64 s[16:17], s[4:5]
	s_cbranch_execz .LBB213_69
; %bb.64:                               ;   in Loop: Header=BB213_9 Depth=1
	v_cmp_ne_u16_sdwa s[4:5], v3, s42 src0_sel:BYTE_1 src1_sel:DWORD
	buffer_store_dword v61, off, s[48:51], 0 offset:76 ; 4-byte Folded Spill
	s_nop 0
	buffer_store_dword v62, off, s[48:51], 0 offset:80 ; 4-byte Folded Spill
	s_and_saveexec_b64 s[34:35], s[4:5]
	s_cbranch_execz .LBB213_68
; %bb.65:                               ;   in Loop: Header=BB213_9 Depth=1
	buffer_load_dword v0, off, s[48:51], 0  ; 4-byte Folded Reload
	buffer_load_dword v1, off, s[48:51], 0 offset:4 ; 4-byte Folded Reload
	v_and_b32_sdwa v4, v3, s43 dst_sel:DWORD dst_unused:UNUSED_PAD src0_sel:BYTE_1 src1_sel:DWORD
	v_cmp_ne_u32_e64 s[4:5], s43, v4
	s_waitcnt vmcnt(1)
	v_mov_b32_e32 v0, v61
	s_waitcnt vmcnt(0)
	v_mov_b32_e32 v2, v1
	buffer_store_dword v1, off, s[48:51], 0 ; 4-byte Folded Spill
	s_nop 0
	buffer_store_dword v2, off, s[48:51], 0 offset:4 ; 4-byte Folded Spill
	buffer_store_dword v0, off, s[48:51], 0 offset:76 ; 4-byte Folded Spill
	s_nop 0
	buffer_store_dword v1, off, s[48:51], 0 offset:80 ; 4-byte Folded Spill
	s_and_saveexec_b64 s[36:37], s[4:5]
	s_cbranch_execz .LBB213_67
; %bb.66:                               ;   in Loop: Header=BB213_9 Depth=1
	v_mov_b32_e32 v0, 7
	v_and_b32_sdwa v5, v3, v0 dst_sel:DWORD dst_unused:UNUSED_PAD src0_sel:BYTE_1 src1_sel:DWORD
	v_lshrrev_b32_e32 v8, 3, v4
	v_cmp_gt_u32_e64 s[4:5], 8, v4
	v_ffbh_u32_e32 v4, v5
	v_min_u32_e32 v4, 32, v4
	v_mov_b32_e32 v6, v61
	v_subrev_u32_e32 v7, 28, v4
	v_lshlrev_b64 v[6:7], v7, v[5:6]
	v_sub_u32_e32 v4, 29, v4
	v_and_b32_e32 v6, 7, v6
	v_cndmask_b32_e64 v4, v8, v4, s[4:5]
	v_bfrev_b32_e32 v0, 60
	v_cndmask_b32_e64 v5, v5, v6, s[4:5]
	v_lshlrev_b32_e32 v3, 16, v3
	v_lshl_add_u32 v4, v4, 23, v0
	v_and_or_b32 v3, v3, s44, v4
	v_lshlrev_b32_e32 v4, 20, v5
	v_or_b32_e32 v1, v3, v4
	v_mov_b32_e32 v0, v61
	buffer_store_dword v0, off, s[48:51], 0 offset:76 ; 4-byte Folded Spill
	s_nop 0
	buffer_store_dword v1, off, s[48:51], 0 offset:80 ; 4-byte Folded Spill
.LBB213_67:                             ;   in Loop: Header=BB213_9 Depth=1
	s_or_b64 exec, exec, s[36:37]
.LBB213_68:                             ;   in Loop: Header=BB213_9 Depth=1
	s_or_b64 exec, exec, s[34:35]
.LBB213_69:                             ;   in Loop: Header=BB213_9 Depth=1
	s_or_b64 exec, exec, s[16:17]
	global_load_ushort v4, v[13:14], off offset:516
	v_mov_b32_e32 v0, 0
	v_mov_b32_e32 v1, 0
	buffer_store_dword v0, off, s[48:51], 0 offset:92 ; 4-byte Folded Spill
	s_nop 0
	buffer_store_dword v1, off, s[48:51], 0 offset:96 ; 4-byte Folded Spill
	v_mov_b32_e32 v0, 0
	v_mov_b32_e32 v1, 0
	buffer_store_dword v0, off, s[48:51], 0 offset:84 ; 4-byte Folded Spill
	s_nop 0
	buffer_store_dword v1, off, s[48:51], 0 offset:88 ; 4-byte Folded Spill
	s_waitcnt vmcnt(4)
	v_and_b32_e32 v3, 0xffff, v4
	v_cmp_ne_u16_sdwa s[4:5], v4, v61 src0_sel:BYTE_0 src1_sel:DWORD
	s_and_saveexec_b64 s[16:17], s[4:5]
	s_cbranch_execz .LBB213_75
; %bb.70:                               ;   in Loop: Header=BB213_9 Depth=1
	v_bfrev_b32_e32 v0, 1
	v_mov_b32_e32 v1, 0
	v_cmp_ne_u16_sdwa s[4:5], v3, s42 src0_sel:BYTE_0 src1_sel:DWORD
	buffer_store_dword v0, off, s[48:51], 0 offset:84 ; 4-byte Folded Spill
	s_nop 0
	buffer_store_dword v1, off, s[48:51], 0 offset:88 ; 4-byte Folded Spill
	s_and_saveexec_b64 s[34:35], s[4:5]
	s_cbranch_execz .LBB213_74
; %bb.71:                               ;   in Loop: Header=BB213_9 Depth=1
	v_and_b32_e32 v4, 0x7f, v3
	v_mov_b32_e32 v0, 0x7f800001
	v_mov_b32_e32 v1, 0
	v_cmp_ne_u32_e64 s[4:5], s43, v4
	buffer_store_dword v0, off, s[48:51], 0 offset:84 ; 4-byte Folded Spill
	s_nop 0
	buffer_store_dword v1, off, s[48:51], 0 offset:88 ; 4-byte Folded Spill
	s_and_saveexec_b64 s[36:37], s[4:5]
	s_cbranch_execz .LBB213_73
; %bb.72:                               ;   in Loop: Header=BB213_9 Depth=1
	v_and_b32_e32 v6, 7, v3
	v_lshrrev_b32_e32 v7, 3, v4
	v_cmp_gt_u32_e64 s[4:5], 8, v4
	v_ffbh_u32_e32 v4, v6
	v_min_u32_e32 v8, 32, v4
	v_subrev_u32_e32 v4, 28, v8
	v_lshlrev_b64 v[4:5], v4, v[3:4]
	v_sub_u32_e32 v5, 29, v8
	v_and_b32_e32 v4, 7, v4
	v_cndmask_b32_e64 v5, v7, v5, s[4:5]
	v_cndmask_b32_e64 v4, v6, v4, s[4:5]
	v_bfrev_b32_e32 v0, 60
	v_lshlrev_b32_e32 v4, 20, v4
	v_and_b32_sdwa v6, sext(v3), s44 dst_sel:DWORD dst_unused:UNUSED_PAD src0_sel:BYTE_0 src1_sel:DWORD
	v_lshl_add_u32 v5, v5, 23, v0
	v_or3_b32 v0, v6, v5, v4
	v_mov_b32_e32 v1, v61
	buffer_store_dword v0, off, s[48:51], 0 offset:84 ; 4-byte Folded Spill
	s_nop 0
	buffer_store_dword v1, off, s[48:51], 0 offset:88 ; 4-byte Folded Spill
.LBB213_73:                             ;   in Loop: Header=BB213_9 Depth=1
	s_or_b64 exec, exec, s[36:37]
.LBB213_74:                             ;   in Loop: Header=BB213_9 Depth=1
	s_or_b64 exec, exec, s[34:35]
.LBB213_75:                             ;   in Loop: Header=BB213_9 Depth=1
	s_or_b64 exec, exec, s[16:17]
	v_cmp_ne_u16_sdwa s[4:5], v3, v61 src0_sel:BYTE_1 src1_sel:DWORD
	s_and_saveexec_b64 s[16:17], s[4:5]
	s_cbranch_execz .LBB213_81
; %bb.76:                               ;   in Loop: Header=BB213_9 Depth=1
	v_cmp_ne_u16_sdwa s[4:5], v3, s42 src0_sel:BYTE_1 src1_sel:DWORD
	buffer_store_dword v61, off, s[48:51], 0 offset:92 ; 4-byte Folded Spill
	s_nop 0
	buffer_store_dword v62, off, s[48:51], 0 offset:96 ; 4-byte Folded Spill
	s_and_saveexec_b64 s[34:35], s[4:5]
	s_cbranch_execz .LBB213_80
; %bb.77:                               ;   in Loop: Header=BB213_9 Depth=1
	buffer_load_dword v0, off, s[48:51], 0  ; 4-byte Folded Reload
	buffer_load_dword v1, off, s[48:51], 0 offset:4 ; 4-byte Folded Reload
	v_and_b32_sdwa v4, v3, s43 dst_sel:DWORD dst_unused:UNUSED_PAD src0_sel:BYTE_1 src1_sel:DWORD
	v_cmp_ne_u32_e64 s[4:5], s43, v4
	s_waitcnt vmcnt(1)
	v_mov_b32_e32 v0, v61
	s_waitcnt vmcnt(0)
	v_mov_b32_e32 v2, v1
	buffer_store_dword v1, off, s[48:51], 0 ; 4-byte Folded Spill
	s_nop 0
	buffer_store_dword v2, off, s[48:51], 0 offset:4 ; 4-byte Folded Spill
	buffer_store_dword v0, off, s[48:51], 0 offset:92 ; 4-byte Folded Spill
	s_nop 0
	buffer_store_dword v1, off, s[48:51], 0 offset:96 ; 4-byte Folded Spill
	s_and_saveexec_b64 s[36:37], s[4:5]
	s_cbranch_execz .LBB213_79
; %bb.78:                               ;   in Loop: Header=BB213_9 Depth=1
	v_mov_b32_e32 v0, 7
	v_and_b32_sdwa v5, v3, v0 dst_sel:DWORD dst_unused:UNUSED_PAD src0_sel:BYTE_1 src1_sel:DWORD
	v_lshrrev_b32_e32 v8, 3, v4
	v_cmp_gt_u32_e64 s[4:5], 8, v4
	v_ffbh_u32_e32 v4, v5
	v_min_u32_e32 v4, 32, v4
	v_mov_b32_e32 v6, v61
	v_subrev_u32_e32 v7, 28, v4
	v_lshlrev_b64 v[6:7], v7, v[5:6]
	v_sub_u32_e32 v4, 29, v4
	v_and_b32_e32 v6, 7, v6
	v_cndmask_b32_e64 v4, v8, v4, s[4:5]
	v_bfrev_b32_e32 v0, 60
	v_cndmask_b32_e64 v5, v5, v6, s[4:5]
	v_lshlrev_b32_e32 v3, 16, v3
	v_lshl_add_u32 v4, v4, 23, v0
	v_and_or_b32 v3, v3, s44, v4
	v_lshlrev_b32_e32 v4, 20, v5
	v_or_b32_e32 v1, v3, v4
	v_mov_b32_e32 v0, v61
	buffer_store_dword v0, off, s[48:51], 0 offset:92 ; 4-byte Folded Spill
	s_nop 0
	buffer_store_dword v1, off, s[48:51], 0 offset:96 ; 4-byte Folded Spill
.LBB213_79:                             ;   in Loop: Header=BB213_9 Depth=1
	s_or_b64 exec, exec, s[36:37]
.LBB213_80:                             ;   in Loop: Header=BB213_9 Depth=1
	s_or_b64 exec, exec, s[34:35]
.LBB213_81:                             ;   in Loop: Header=BB213_9 Depth=1
	s_or_b64 exec, exec, s[16:17]
	global_load_ushort v4, v[13:14], off offset:520
	v_mov_b32_e32 v0, 0
	v_mov_b32_e32 v1, 0
	buffer_store_dword v0, off, s[48:51], 0 offset:108 ; 4-byte Folded Spill
	s_nop 0
	buffer_store_dword v1, off, s[48:51], 0 offset:112 ; 4-byte Folded Spill
	v_mov_b32_e32 v0, 0
	v_mov_b32_e32 v1, 0
	buffer_store_dword v0, off, s[48:51], 0 offset:100 ; 4-byte Folded Spill
	s_nop 0
	buffer_store_dword v1, off, s[48:51], 0 offset:104 ; 4-byte Folded Spill
	s_waitcnt vmcnt(4)
	v_and_b32_e32 v3, 0xffff, v4
	v_cmp_ne_u16_sdwa s[4:5], v4, v61 src0_sel:BYTE_0 src1_sel:DWORD
	s_and_saveexec_b64 s[16:17], s[4:5]
	s_cbranch_execz .LBB213_87
; %bb.82:                               ;   in Loop: Header=BB213_9 Depth=1
	v_bfrev_b32_e32 v0, 1
	v_mov_b32_e32 v1, 0
	v_cmp_ne_u16_sdwa s[4:5], v3, s42 src0_sel:BYTE_0 src1_sel:DWORD
	buffer_store_dword v0, off, s[48:51], 0 offset:100 ; 4-byte Folded Spill
	s_nop 0
	buffer_store_dword v1, off, s[48:51], 0 offset:104 ; 4-byte Folded Spill
	s_and_saveexec_b64 s[34:35], s[4:5]
	s_cbranch_execz .LBB213_86
; %bb.83:                               ;   in Loop: Header=BB213_9 Depth=1
	v_and_b32_e32 v4, 0x7f, v3
	v_mov_b32_e32 v0, 0x7f800001
	v_mov_b32_e32 v1, 0
	v_cmp_ne_u32_e64 s[4:5], s43, v4
	buffer_store_dword v0, off, s[48:51], 0 offset:100 ; 4-byte Folded Spill
	s_nop 0
	buffer_store_dword v1, off, s[48:51], 0 offset:104 ; 4-byte Folded Spill
	s_and_saveexec_b64 s[36:37], s[4:5]
	s_cbranch_execz .LBB213_85
; %bb.84:                               ;   in Loop: Header=BB213_9 Depth=1
	v_and_b32_e32 v6, 7, v3
	v_lshrrev_b32_e32 v7, 3, v4
	v_cmp_gt_u32_e64 s[4:5], 8, v4
	v_ffbh_u32_e32 v4, v6
	v_min_u32_e32 v8, 32, v4
	v_subrev_u32_e32 v4, 28, v8
	v_lshlrev_b64 v[4:5], v4, v[3:4]
	v_sub_u32_e32 v5, 29, v8
	v_and_b32_e32 v4, 7, v4
	v_cndmask_b32_e64 v5, v7, v5, s[4:5]
	v_cndmask_b32_e64 v4, v6, v4, s[4:5]
	v_bfrev_b32_e32 v0, 60
	v_lshlrev_b32_e32 v4, 20, v4
	v_and_b32_sdwa v6, sext(v3), s44 dst_sel:DWORD dst_unused:UNUSED_PAD src0_sel:BYTE_0 src1_sel:DWORD
	v_lshl_add_u32 v5, v5, 23, v0
	v_or3_b32 v0, v6, v5, v4
	v_mov_b32_e32 v1, v61
	buffer_store_dword v0, off, s[48:51], 0 offset:100 ; 4-byte Folded Spill
	s_nop 0
	buffer_store_dword v1, off, s[48:51], 0 offset:104 ; 4-byte Folded Spill
.LBB213_85:                             ;   in Loop: Header=BB213_9 Depth=1
	s_or_b64 exec, exec, s[36:37]
.LBB213_86:                             ;   in Loop: Header=BB213_9 Depth=1
	s_or_b64 exec, exec, s[34:35]
.LBB213_87:                             ;   in Loop: Header=BB213_9 Depth=1
	s_or_b64 exec, exec, s[16:17]
	v_cmp_ne_u16_sdwa s[4:5], v3, v61 src0_sel:BYTE_1 src1_sel:DWORD
	s_and_saveexec_b64 s[16:17], s[4:5]
	s_cbranch_execz .LBB213_93
; %bb.88:                               ;   in Loop: Header=BB213_9 Depth=1
	v_cmp_ne_u16_sdwa s[4:5], v3, s42 src0_sel:BYTE_1 src1_sel:DWORD
	buffer_store_dword v61, off, s[48:51], 0 offset:108 ; 4-byte Folded Spill
	s_nop 0
	buffer_store_dword v62, off, s[48:51], 0 offset:112 ; 4-byte Folded Spill
	s_and_saveexec_b64 s[34:35], s[4:5]
	s_cbranch_execz .LBB213_92
; %bb.89:                               ;   in Loop: Header=BB213_9 Depth=1
	buffer_load_dword v0, off, s[48:51], 0  ; 4-byte Folded Reload
	buffer_load_dword v1, off, s[48:51], 0 offset:4 ; 4-byte Folded Reload
	v_and_b32_sdwa v4, v3, s43 dst_sel:DWORD dst_unused:UNUSED_PAD src0_sel:BYTE_1 src1_sel:DWORD
	v_cmp_ne_u32_e64 s[4:5], s43, v4
	s_waitcnt vmcnt(1)
	v_mov_b32_e32 v0, v61
	s_waitcnt vmcnt(0)
	v_mov_b32_e32 v2, v1
	buffer_store_dword v1, off, s[48:51], 0 ; 4-byte Folded Spill
	s_nop 0
	buffer_store_dword v2, off, s[48:51], 0 offset:4 ; 4-byte Folded Spill
	buffer_store_dword v0, off, s[48:51], 0 offset:108 ; 4-byte Folded Spill
	s_nop 0
	buffer_store_dword v1, off, s[48:51], 0 offset:112 ; 4-byte Folded Spill
	s_and_saveexec_b64 s[36:37], s[4:5]
	s_cbranch_execz .LBB213_91
; %bb.90:                               ;   in Loop: Header=BB213_9 Depth=1
	v_mov_b32_e32 v0, 7
	v_and_b32_sdwa v5, v3, v0 dst_sel:DWORD dst_unused:UNUSED_PAD src0_sel:BYTE_1 src1_sel:DWORD
	v_lshrrev_b32_e32 v8, 3, v4
	v_cmp_gt_u32_e64 s[4:5], 8, v4
	v_ffbh_u32_e32 v4, v5
	v_min_u32_e32 v4, 32, v4
	v_mov_b32_e32 v6, v61
	v_subrev_u32_e32 v7, 28, v4
	v_lshlrev_b64 v[6:7], v7, v[5:6]
	v_sub_u32_e32 v4, 29, v4
	v_and_b32_e32 v6, 7, v6
	v_cndmask_b32_e64 v4, v8, v4, s[4:5]
	v_bfrev_b32_e32 v0, 60
	v_cndmask_b32_e64 v5, v5, v6, s[4:5]
	v_lshlrev_b32_e32 v3, 16, v3
	v_lshl_add_u32 v4, v4, 23, v0
	v_and_or_b32 v3, v3, s44, v4
	v_lshlrev_b32_e32 v4, 20, v5
	v_or_b32_e32 v1, v3, v4
	v_mov_b32_e32 v0, v61
	buffer_store_dword v0, off, s[48:51], 0 offset:108 ; 4-byte Folded Spill
	s_nop 0
	buffer_store_dword v1, off, s[48:51], 0 offset:112 ; 4-byte Folded Spill
.LBB213_91:                             ;   in Loop: Header=BB213_9 Depth=1
	s_or_b64 exec, exec, s[36:37]
.LBB213_92:                             ;   in Loop: Header=BB213_9 Depth=1
	s_or_b64 exec, exec, s[34:35]
.LBB213_93:                             ;   in Loop: Header=BB213_9 Depth=1
	s_or_b64 exec, exec, s[16:17]
	global_load_ushort v4, v[13:14], off offset:524
	v_mov_b32_e32 v0, 0
	v_mov_b32_e32 v1, 0
	buffer_store_dword v0, off, s[48:51], 0 offset:124 ; 4-byte Folded Spill
	s_nop 0
	buffer_store_dword v1, off, s[48:51], 0 offset:128 ; 4-byte Folded Spill
	v_mov_b32_e32 v0, 0
	v_mov_b32_e32 v1, 0
	buffer_store_dword v0, off, s[48:51], 0 offset:116 ; 4-byte Folded Spill
	s_nop 0
	buffer_store_dword v1, off, s[48:51], 0 offset:120 ; 4-byte Folded Spill
	s_waitcnt vmcnt(4)
	v_and_b32_e32 v3, 0xffff, v4
	v_cmp_ne_u16_sdwa s[4:5], v4, v61 src0_sel:BYTE_0 src1_sel:DWORD
	s_and_saveexec_b64 s[16:17], s[4:5]
	s_cbranch_execz .LBB213_99
; %bb.94:                               ;   in Loop: Header=BB213_9 Depth=1
	v_bfrev_b32_e32 v0, 1
	v_mov_b32_e32 v1, 0
	v_cmp_ne_u16_sdwa s[4:5], v3, s42 src0_sel:BYTE_0 src1_sel:DWORD
	buffer_store_dword v0, off, s[48:51], 0 offset:116 ; 4-byte Folded Spill
	s_nop 0
	buffer_store_dword v1, off, s[48:51], 0 offset:120 ; 4-byte Folded Spill
	s_and_saveexec_b64 s[34:35], s[4:5]
	s_cbranch_execz .LBB213_98
; %bb.95:                               ;   in Loop: Header=BB213_9 Depth=1
	v_and_b32_e32 v4, 0x7f, v3
	v_mov_b32_e32 v0, 0x7f800001
	v_mov_b32_e32 v1, 0
	v_cmp_ne_u32_e64 s[4:5], s43, v4
	buffer_store_dword v0, off, s[48:51], 0 offset:116 ; 4-byte Folded Spill
	s_nop 0
	buffer_store_dword v1, off, s[48:51], 0 offset:120 ; 4-byte Folded Spill
	s_and_saveexec_b64 s[36:37], s[4:5]
	s_cbranch_execz .LBB213_97
; %bb.96:                               ;   in Loop: Header=BB213_9 Depth=1
	v_and_b32_e32 v6, 7, v3
	v_lshrrev_b32_e32 v7, 3, v4
	v_cmp_gt_u32_e64 s[4:5], 8, v4
	v_ffbh_u32_e32 v4, v6
	v_min_u32_e32 v8, 32, v4
	v_subrev_u32_e32 v4, 28, v8
	v_lshlrev_b64 v[4:5], v4, v[3:4]
	v_sub_u32_e32 v5, 29, v8
	v_and_b32_e32 v4, 7, v4
	v_cndmask_b32_e64 v5, v7, v5, s[4:5]
	v_cndmask_b32_e64 v4, v6, v4, s[4:5]
	v_bfrev_b32_e32 v0, 60
	v_lshlrev_b32_e32 v4, 20, v4
	v_and_b32_sdwa v6, sext(v3), s44 dst_sel:DWORD dst_unused:UNUSED_PAD src0_sel:BYTE_0 src1_sel:DWORD
	v_lshl_add_u32 v5, v5, 23, v0
	v_or3_b32 v0, v6, v5, v4
	v_mov_b32_e32 v1, v61
	buffer_store_dword v0, off, s[48:51], 0 offset:116 ; 4-byte Folded Spill
	s_nop 0
	buffer_store_dword v1, off, s[48:51], 0 offset:120 ; 4-byte Folded Spill
.LBB213_97:                             ;   in Loop: Header=BB213_9 Depth=1
	s_or_b64 exec, exec, s[36:37]
.LBB213_98:                             ;   in Loop: Header=BB213_9 Depth=1
	s_or_b64 exec, exec, s[34:35]
.LBB213_99:                             ;   in Loop: Header=BB213_9 Depth=1
	s_or_b64 exec, exec, s[16:17]
	v_cmp_ne_u16_sdwa s[4:5], v3, v61 src0_sel:BYTE_1 src1_sel:DWORD
	s_and_saveexec_b64 s[16:17], s[4:5]
	s_cbranch_execz .LBB213_105
; %bb.100:                              ;   in Loop: Header=BB213_9 Depth=1
	v_cmp_ne_u16_sdwa s[4:5], v3, s42 src0_sel:BYTE_1 src1_sel:DWORD
	buffer_store_dword v61, off, s[48:51], 0 offset:124 ; 4-byte Folded Spill
	s_nop 0
	buffer_store_dword v62, off, s[48:51], 0 offset:128 ; 4-byte Folded Spill
	s_and_saveexec_b64 s[34:35], s[4:5]
	s_cbranch_execz .LBB213_104
; %bb.101:                              ;   in Loop: Header=BB213_9 Depth=1
	buffer_load_dword v0, off, s[48:51], 0  ; 4-byte Folded Reload
	buffer_load_dword v1, off, s[48:51], 0 offset:4 ; 4-byte Folded Reload
	v_and_b32_sdwa v4, v3, s43 dst_sel:DWORD dst_unused:UNUSED_PAD src0_sel:BYTE_1 src1_sel:DWORD
	v_cmp_ne_u32_e64 s[4:5], s43, v4
	s_waitcnt vmcnt(1)
	v_mov_b32_e32 v0, v61
	s_waitcnt vmcnt(0)
	v_mov_b32_e32 v2, v1
	buffer_store_dword v1, off, s[48:51], 0 ; 4-byte Folded Spill
	s_nop 0
	buffer_store_dword v2, off, s[48:51], 0 offset:4 ; 4-byte Folded Spill
	buffer_store_dword v0, off, s[48:51], 0 offset:124 ; 4-byte Folded Spill
	s_nop 0
	buffer_store_dword v1, off, s[48:51], 0 offset:128 ; 4-byte Folded Spill
	s_and_saveexec_b64 s[36:37], s[4:5]
	s_cbranch_execz .LBB213_103
; %bb.102:                              ;   in Loop: Header=BB213_9 Depth=1
	v_mov_b32_e32 v0, 7
	v_and_b32_sdwa v5, v3, v0 dst_sel:DWORD dst_unused:UNUSED_PAD src0_sel:BYTE_1 src1_sel:DWORD
	v_lshrrev_b32_e32 v8, 3, v4
	v_cmp_gt_u32_e64 s[4:5], 8, v4
	v_ffbh_u32_e32 v4, v5
	v_min_u32_e32 v4, 32, v4
	v_mov_b32_e32 v6, v61
	v_subrev_u32_e32 v7, 28, v4
	v_lshlrev_b64 v[6:7], v7, v[5:6]
	v_sub_u32_e32 v4, 29, v4
	v_and_b32_e32 v6, 7, v6
	v_cndmask_b32_e64 v4, v8, v4, s[4:5]
	v_bfrev_b32_e32 v0, 60
	v_cndmask_b32_e64 v5, v5, v6, s[4:5]
	v_lshlrev_b32_e32 v3, 16, v3
	v_lshl_add_u32 v4, v4, 23, v0
	v_and_or_b32 v3, v3, s44, v4
	v_lshlrev_b32_e32 v4, 20, v5
	v_or_b32_e32 v1, v3, v4
	v_mov_b32_e32 v0, v61
	buffer_store_dword v0, off, s[48:51], 0 offset:124 ; 4-byte Folded Spill
	s_nop 0
	buffer_store_dword v1, off, s[48:51], 0 offset:128 ; 4-byte Folded Spill
.LBB213_103:                            ;   in Loop: Header=BB213_9 Depth=1
	s_or_b64 exec, exec, s[36:37]
.LBB213_104:                            ;   in Loop: Header=BB213_9 Depth=1
	s_or_b64 exec, exec, s[34:35]
.LBB213_105:                            ;   in Loop: Header=BB213_9 Depth=1
	s_or_b64 exec, exec, s[16:17]
	global_load_ushort v4, v[13:14], off offset:1024
	v_mov_b32_e32 v0, 0
	v_mov_b32_e32 v1, 0
	buffer_store_dword v0, off, s[48:51], 0 offset:140 ; 4-byte Folded Spill
	s_nop 0
	buffer_store_dword v1, off, s[48:51], 0 offset:144 ; 4-byte Folded Spill
	v_mov_b32_e32 v0, 0
	v_mov_b32_e32 v1, 0
	buffer_store_dword v0, off, s[48:51], 0 offset:132 ; 4-byte Folded Spill
	s_nop 0
	buffer_store_dword v1, off, s[48:51], 0 offset:136 ; 4-byte Folded Spill
	s_waitcnt vmcnt(4)
	v_and_b32_e32 v3, 0xffff, v4
	v_cmp_ne_u16_sdwa s[4:5], v4, v61 src0_sel:BYTE_0 src1_sel:DWORD
	s_and_saveexec_b64 s[16:17], s[4:5]
	s_cbranch_execz .LBB213_111
; %bb.106:                              ;   in Loop: Header=BB213_9 Depth=1
	v_bfrev_b32_e32 v0, 1
	v_mov_b32_e32 v1, 0
	v_cmp_ne_u16_sdwa s[4:5], v3, s42 src0_sel:BYTE_0 src1_sel:DWORD
	buffer_store_dword v0, off, s[48:51], 0 offset:132 ; 4-byte Folded Spill
	s_nop 0
	buffer_store_dword v1, off, s[48:51], 0 offset:136 ; 4-byte Folded Spill
	s_and_saveexec_b64 s[34:35], s[4:5]
	s_cbranch_execz .LBB213_110
; %bb.107:                              ;   in Loop: Header=BB213_9 Depth=1
	v_and_b32_e32 v4, 0x7f, v3
	v_mov_b32_e32 v0, 0x7f800001
	v_mov_b32_e32 v1, 0
	v_cmp_ne_u32_e64 s[4:5], s43, v4
	buffer_store_dword v0, off, s[48:51], 0 offset:132 ; 4-byte Folded Spill
	s_nop 0
	buffer_store_dword v1, off, s[48:51], 0 offset:136 ; 4-byte Folded Spill
	s_and_saveexec_b64 s[36:37], s[4:5]
	s_cbranch_execz .LBB213_109
; %bb.108:                              ;   in Loop: Header=BB213_9 Depth=1
	v_and_b32_e32 v6, 7, v3
	v_lshrrev_b32_e32 v7, 3, v4
	v_cmp_gt_u32_e64 s[4:5], 8, v4
	v_ffbh_u32_e32 v4, v6
	v_min_u32_e32 v8, 32, v4
	v_subrev_u32_e32 v4, 28, v8
	v_lshlrev_b64 v[4:5], v4, v[3:4]
	v_sub_u32_e32 v5, 29, v8
	v_and_b32_e32 v4, 7, v4
	v_cndmask_b32_e64 v5, v7, v5, s[4:5]
	v_cndmask_b32_e64 v4, v6, v4, s[4:5]
	v_bfrev_b32_e32 v0, 60
	v_lshlrev_b32_e32 v4, 20, v4
	v_and_b32_sdwa v6, sext(v3), s44 dst_sel:DWORD dst_unused:UNUSED_PAD src0_sel:BYTE_0 src1_sel:DWORD
	v_lshl_add_u32 v5, v5, 23, v0
	v_or3_b32 v0, v6, v5, v4
	v_mov_b32_e32 v1, v61
	buffer_store_dword v0, off, s[48:51], 0 offset:132 ; 4-byte Folded Spill
	s_nop 0
	buffer_store_dword v1, off, s[48:51], 0 offset:136 ; 4-byte Folded Spill
.LBB213_109:                            ;   in Loop: Header=BB213_9 Depth=1
	s_or_b64 exec, exec, s[36:37]
.LBB213_110:                            ;   in Loop: Header=BB213_9 Depth=1
	s_or_b64 exec, exec, s[34:35]
.LBB213_111:                            ;   in Loop: Header=BB213_9 Depth=1
	s_or_b64 exec, exec, s[16:17]
	v_cmp_ne_u16_sdwa s[4:5], v3, v61 src0_sel:BYTE_1 src1_sel:DWORD
	s_and_saveexec_b64 s[16:17], s[4:5]
	s_cbranch_execz .LBB213_117
; %bb.112:                              ;   in Loop: Header=BB213_9 Depth=1
	v_cmp_ne_u16_sdwa s[4:5], v3, s42 src0_sel:BYTE_1 src1_sel:DWORD
	buffer_store_dword v61, off, s[48:51], 0 offset:140 ; 4-byte Folded Spill
	s_nop 0
	buffer_store_dword v62, off, s[48:51], 0 offset:144 ; 4-byte Folded Spill
	s_and_saveexec_b64 s[34:35], s[4:5]
	s_cbranch_execz .LBB213_116
; %bb.113:                              ;   in Loop: Header=BB213_9 Depth=1
	buffer_load_dword v0, off, s[48:51], 0  ; 4-byte Folded Reload
	buffer_load_dword v1, off, s[48:51], 0 offset:4 ; 4-byte Folded Reload
	v_and_b32_sdwa v4, v3, s43 dst_sel:DWORD dst_unused:UNUSED_PAD src0_sel:BYTE_1 src1_sel:DWORD
	v_cmp_ne_u32_e64 s[4:5], s43, v4
	s_waitcnt vmcnt(1)
	v_mov_b32_e32 v0, v61
	s_waitcnt vmcnt(0)
	v_mov_b32_e32 v2, v1
	buffer_store_dword v1, off, s[48:51], 0 ; 4-byte Folded Spill
	s_nop 0
	buffer_store_dword v2, off, s[48:51], 0 offset:4 ; 4-byte Folded Spill
	buffer_store_dword v0, off, s[48:51], 0 offset:140 ; 4-byte Folded Spill
	s_nop 0
	buffer_store_dword v1, off, s[48:51], 0 offset:144 ; 4-byte Folded Spill
	s_and_saveexec_b64 s[36:37], s[4:5]
	s_cbranch_execz .LBB213_115
; %bb.114:                              ;   in Loop: Header=BB213_9 Depth=1
	v_mov_b32_e32 v0, 7
	v_and_b32_sdwa v5, v3, v0 dst_sel:DWORD dst_unused:UNUSED_PAD src0_sel:BYTE_1 src1_sel:DWORD
	v_lshrrev_b32_e32 v8, 3, v4
	v_cmp_gt_u32_e64 s[4:5], 8, v4
	v_ffbh_u32_e32 v4, v5
	v_min_u32_e32 v4, 32, v4
	v_mov_b32_e32 v6, v61
	v_subrev_u32_e32 v7, 28, v4
	v_lshlrev_b64 v[6:7], v7, v[5:6]
	v_sub_u32_e32 v4, 29, v4
	v_and_b32_e32 v6, 7, v6
	v_cndmask_b32_e64 v4, v8, v4, s[4:5]
	v_bfrev_b32_e32 v0, 60
	v_cndmask_b32_e64 v5, v5, v6, s[4:5]
	v_lshlrev_b32_e32 v3, 16, v3
	v_lshl_add_u32 v4, v4, 23, v0
	v_and_or_b32 v3, v3, s44, v4
	v_lshlrev_b32_e32 v4, 20, v5
	v_or_b32_e32 v1, v3, v4
	v_mov_b32_e32 v0, v61
	buffer_store_dword v0, off, s[48:51], 0 offset:140 ; 4-byte Folded Spill
	s_nop 0
	buffer_store_dword v1, off, s[48:51], 0 offset:144 ; 4-byte Folded Spill
.LBB213_115:                            ;   in Loop: Header=BB213_9 Depth=1
	s_or_b64 exec, exec, s[36:37]
.LBB213_116:                            ;   in Loop: Header=BB213_9 Depth=1
	s_or_b64 exec, exec, s[34:35]
.LBB213_117:                            ;   in Loop: Header=BB213_9 Depth=1
	s_or_b64 exec, exec, s[16:17]
	global_load_ushort v4, v[13:14], off offset:1028
	v_mov_b32_e32 v0, 0
	v_mov_b32_e32 v1, 0
	buffer_store_dword v0, off, s[48:51], 0 offset:156 ; 4-byte Folded Spill
	s_nop 0
	buffer_store_dword v1, off, s[48:51], 0 offset:160 ; 4-byte Folded Spill
	v_mov_b32_e32 v0, 0
	v_mov_b32_e32 v1, 0
	buffer_store_dword v0, off, s[48:51], 0 offset:148 ; 4-byte Folded Spill
	s_nop 0
	buffer_store_dword v1, off, s[48:51], 0 offset:152 ; 4-byte Folded Spill
	s_waitcnt vmcnt(4)
	v_and_b32_e32 v3, 0xffff, v4
	v_cmp_ne_u16_sdwa s[4:5], v4, v61 src0_sel:BYTE_0 src1_sel:DWORD
	s_and_saveexec_b64 s[16:17], s[4:5]
	s_cbranch_execz .LBB213_123
; %bb.118:                              ;   in Loop: Header=BB213_9 Depth=1
	v_bfrev_b32_e32 v0, 1
	v_mov_b32_e32 v1, 0
	v_cmp_ne_u16_sdwa s[4:5], v3, s42 src0_sel:BYTE_0 src1_sel:DWORD
	buffer_store_dword v0, off, s[48:51], 0 offset:148 ; 4-byte Folded Spill
	s_nop 0
	buffer_store_dword v1, off, s[48:51], 0 offset:152 ; 4-byte Folded Spill
	s_and_saveexec_b64 s[34:35], s[4:5]
	s_cbranch_execz .LBB213_122
; %bb.119:                              ;   in Loop: Header=BB213_9 Depth=1
	v_and_b32_e32 v4, 0x7f, v3
	v_mov_b32_e32 v0, 0x7f800001
	v_mov_b32_e32 v1, 0
	v_cmp_ne_u32_e64 s[4:5], s43, v4
	buffer_store_dword v0, off, s[48:51], 0 offset:148 ; 4-byte Folded Spill
	s_nop 0
	buffer_store_dword v1, off, s[48:51], 0 offset:152 ; 4-byte Folded Spill
	s_and_saveexec_b64 s[36:37], s[4:5]
	s_cbranch_execz .LBB213_121
; %bb.120:                              ;   in Loop: Header=BB213_9 Depth=1
	v_and_b32_e32 v6, 7, v3
	v_lshrrev_b32_e32 v7, 3, v4
	v_cmp_gt_u32_e64 s[4:5], 8, v4
	v_ffbh_u32_e32 v4, v6
	v_min_u32_e32 v8, 32, v4
	v_subrev_u32_e32 v4, 28, v8
	v_lshlrev_b64 v[4:5], v4, v[3:4]
	v_sub_u32_e32 v5, 29, v8
	v_and_b32_e32 v4, 7, v4
	v_cndmask_b32_e64 v5, v7, v5, s[4:5]
	v_cndmask_b32_e64 v4, v6, v4, s[4:5]
	v_bfrev_b32_e32 v0, 60
	v_lshlrev_b32_e32 v4, 20, v4
	v_and_b32_sdwa v6, sext(v3), s44 dst_sel:DWORD dst_unused:UNUSED_PAD src0_sel:BYTE_0 src1_sel:DWORD
	v_lshl_add_u32 v5, v5, 23, v0
	v_or3_b32 v0, v6, v5, v4
	v_mov_b32_e32 v1, v61
	buffer_store_dword v0, off, s[48:51], 0 offset:148 ; 4-byte Folded Spill
	s_nop 0
	buffer_store_dword v1, off, s[48:51], 0 offset:152 ; 4-byte Folded Spill
.LBB213_121:                            ;   in Loop: Header=BB213_9 Depth=1
	s_or_b64 exec, exec, s[36:37]
.LBB213_122:                            ;   in Loop: Header=BB213_9 Depth=1
	s_or_b64 exec, exec, s[34:35]
.LBB213_123:                            ;   in Loop: Header=BB213_9 Depth=1
	s_or_b64 exec, exec, s[16:17]
	v_cmp_ne_u16_sdwa s[4:5], v3, v61 src0_sel:BYTE_1 src1_sel:DWORD
	s_and_saveexec_b64 s[16:17], s[4:5]
	s_cbranch_execz .LBB213_129
; %bb.124:                              ;   in Loop: Header=BB213_9 Depth=1
	v_cmp_ne_u16_sdwa s[4:5], v3, s42 src0_sel:BYTE_1 src1_sel:DWORD
	buffer_store_dword v61, off, s[48:51], 0 offset:156 ; 4-byte Folded Spill
	s_nop 0
	buffer_store_dword v62, off, s[48:51], 0 offset:160 ; 4-byte Folded Spill
	s_and_saveexec_b64 s[34:35], s[4:5]
	s_cbranch_execz .LBB213_128
; %bb.125:                              ;   in Loop: Header=BB213_9 Depth=1
	buffer_load_dword v0, off, s[48:51], 0  ; 4-byte Folded Reload
	buffer_load_dword v1, off, s[48:51], 0 offset:4 ; 4-byte Folded Reload
	v_and_b32_sdwa v4, v3, s43 dst_sel:DWORD dst_unused:UNUSED_PAD src0_sel:BYTE_1 src1_sel:DWORD
	v_cmp_ne_u32_e64 s[4:5], s43, v4
	s_waitcnt vmcnt(1)
	v_mov_b32_e32 v0, v61
	s_waitcnt vmcnt(0)
	v_mov_b32_e32 v2, v1
	buffer_store_dword v1, off, s[48:51], 0 ; 4-byte Folded Spill
	s_nop 0
	buffer_store_dword v2, off, s[48:51], 0 offset:4 ; 4-byte Folded Spill
	buffer_store_dword v0, off, s[48:51], 0 offset:156 ; 4-byte Folded Spill
	s_nop 0
	buffer_store_dword v1, off, s[48:51], 0 offset:160 ; 4-byte Folded Spill
	s_and_saveexec_b64 s[36:37], s[4:5]
	s_cbranch_execz .LBB213_127
; %bb.126:                              ;   in Loop: Header=BB213_9 Depth=1
	v_mov_b32_e32 v0, 7
	v_and_b32_sdwa v5, v3, v0 dst_sel:DWORD dst_unused:UNUSED_PAD src0_sel:BYTE_1 src1_sel:DWORD
	v_lshrrev_b32_e32 v8, 3, v4
	v_cmp_gt_u32_e64 s[4:5], 8, v4
	v_ffbh_u32_e32 v4, v5
	v_min_u32_e32 v4, 32, v4
	v_mov_b32_e32 v6, v61
	v_subrev_u32_e32 v7, 28, v4
	v_lshlrev_b64 v[6:7], v7, v[5:6]
	v_sub_u32_e32 v4, 29, v4
	v_and_b32_e32 v6, 7, v6
	v_cndmask_b32_e64 v4, v8, v4, s[4:5]
	v_bfrev_b32_e32 v0, 60
	v_cndmask_b32_e64 v5, v5, v6, s[4:5]
	v_lshlrev_b32_e32 v3, 16, v3
	v_lshl_add_u32 v4, v4, 23, v0
	v_and_or_b32 v3, v3, s44, v4
	v_lshlrev_b32_e32 v4, 20, v5
	v_or_b32_e32 v1, v3, v4
	v_mov_b32_e32 v0, v61
	buffer_store_dword v0, off, s[48:51], 0 offset:156 ; 4-byte Folded Spill
	s_nop 0
	buffer_store_dword v1, off, s[48:51], 0 offset:160 ; 4-byte Folded Spill
.LBB213_127:                            ;   in Loop: Header=BB213_9 Depth=1
	s_or_b64 exec, exec, s[36:37]
.LBB213_128:                            ;   in Loop: Header=BB213_9 Depth=1
	s_or_b64 exec, exec, s[34:35]
.LBB213_129:                            ;   in Loop: Header=BB213_9 Depth=1
	s_or_b64 exec, exec, s[16:17]
	global_load_ushort v4, v[13:14], off offset:1032
	v_mov_b32_e32 v0, 0
	v_mov_b32_e32 v1, 0
	buffer_store_dword v0, off, s[48:51], 0 offset:172 ; 4-byte Folded Spill
	s_nop 0
	buffer_store_dword v1, off, s[48:51], 0 offset:176 ; 4-byte Folded Spill
	v_mov_b32_e32 v0, 0
	v_mov_b32_e32 v1, 0
	buffer_store_dword v0, off, s[48:51], 0 offset:164 ; 4-byte Folded Spill
	s_nop 0
	buffer_store_dword v1, off, s[48:51], 0 offset:168 ; 4-byte Folded Spill
	s_waitcnt vmcnt(4)
	v_and_b32_e32 v3, 0xffff, v4
	v_cmp_ne_u16_sdwa s[4:5], v4, v61 src0_sel:BYTE_0 src1_sel:DWORD
	s_and_saveexec_b64 s[16:17], s[4:5]
	s_cbranch_execz .LBB213_135
; %bb.130:                              ;   in Loop: Header=BB213_9 Depth=1
	v_bfrev_b32_e32 v0, 1
	v_mov_b32_e32 v1, 0
	v_cmp_ne_u16_sdwa s[4:5], v3, s42 src0_sel:BYTE_0 src1_sel:DWORD
	buffer_store_dword v0, off, s[48:51], 0 offset:164 ; 4-byte Folded Spill
	s_nop 0
	buffer_store_dword v1, off, s[48:51], 0 offset:168 ; 4-byte Folded Spill
	s_and_saveexec_b64 s[34:35], s[4:5]
	s_cbranch_execz .LBB213_134
; %bb.131:                              ;   in Loop: Header=BB213_9 Depth=1
	v_and_b32_e32 v4, 0x7f, v3
	v_mov_b32_e32 v0, 0x7f800001
	v_mov_b32_e32 v1, 0
	v_cmp_ne_u32_e64 s[4:5], s43, v4
	buffer_store_dword v0, off, s[48:51], 0 offset:164 ; 4-byte Folded Spill
	s_nop 0
	buffer_store_dword v1, off, s[48:51], 0 offset:168 ; 4-byte Folded Spill
	s_and_saveexec_b64 s[36:37], s[4:5]
	s_cbranch_execz .LBB213_133
; %bb.132:                              ;   in Loop: Header=BB213_9 Depth=1
	v_and_b32_e32 v6, 7, v3
	v_lshrrev_b32_e32 v7, 3, v4
	v_cmp_gt_u32_e64 s[4:5], 8, v4
	v_ffbh_u32_e32 v4, v6
	v_min_u32_e32 v8, 32, v4
	v_subrev_u32_e32 v4, 28, v8
	v_lshlrev_b64 v[4:5], v4, v[3:4]
	v_sub_u32_e32 v5, 29, v8
	v_and_b32_e32 v4, 7, v4
	v_cndmask_b32_e64 v5, v7, v5, s[4:5]
	v_cndmask_b32_e64 v4, v6, v4, s[4:5]
	v_bfrev_b32_e32 v0, 60
	v_lshlrev_b32_e32 v4, 20, v4
	v_and_b32_sdwa v6, sext(v3), s44 dst_sel:DWORD dst_unused:UNUSED_PAD src0_sel:BYTE_0 src1_sel:DWORD
	v_lshl_add_u32 v5, v5, 23, v0
	v_or3_b32 v0, v6, v5, v4
	v_mov_b32_e32 v1, v61
	buffer_store_dword v0, off, s[48:51], 0 offset:164 ; 4-byte Folded Spill
	s_nop 0
	buffer_store_dword v1, off, s[48:51], 0 offset:168 ; 4-byte Folded Spill
.LBB213_133:                            ;   in Loop: Header=BB213_9 Depth=1
	s_or_b64 exec, exec, s[36:37]
.LBB213_134:                            ;   in Loop: Header=BB213_9 Depth=1
	s_or_b64 exec, exec, s[34:35]
.LBB213_135:                            ;   in Loop: Header=BB213_9 Depth=1
	s_or_b64 exec, exec, s[16:17]
	v_cmp_ne_u16_sdwa s[4:5], v3, v61 src0_sel:BYTE_1 src1_sel:DWORD
	s_and_saveexec_b64 s[16:17], s[4:5]
	s_cbranch_execz .LBB213_141
; %bb.136:                              ;   in Loop: Header=BB213_9 Depth=1
	v_cmp_ne_u16_sdwa s[4:5], v3, s42 src0_sel:BYTE_1 src1_sel:DWORD
	buffer_store_dword v61, off, s[48:51], 0 offset:172 ; 4-byte Folded Spill
	s_nop 0
	buffer_store_dword v62, off, s[48:51], 0 offset:176 ; 4-byte Folded Spill
	s_and_saveexec_b64 s[34:35], s[4:5]
	s_cbranch_execz .LBB213_140
; %bb.137:                              ;   in Loop: Header=BB213_9 Depth=1
	buffer_load_dword v0, off, s[48:51], 0  ; 4-byte Folded Reload
	buffer_load_dword v1, off, s[48:51], 0 offset:4 ; 4-byte Folded Reload
	v_and_b32_sdwa v4, v3, s43 dst_sel:DWORD dst_unused:UNUSED_PAD src0_sel:BYTE_1 src1_sel:DWORD
	v_cmp_ne_u32_e64 s[4:5], s43, v4
	s_waitcnt vmcnt(1)
	v_mov_b32_e32 v0, v61
	s_waitcnt vmcnt(0)
	v_mov_b32_e32 v2, v1
	buffer_store_dword v1, off, s[48:51], 0 ; 4-byte Folded Spill
	s_nop 0
	buffer_store_dword v2, off, s[48:51], 0 offset:4 ; 4-byte Folded Spill
	buffer_store_dword v0, off, s[48:51], 0 offset:172 ; 4-byte Folded Spill
	s_nop 0
	buffer_store_dword v1, off, s[48:51], 0 offset:176 ; 4-byte Folded Spill
	s_and_saveexec_b64 s[36:37], s[4:5]
	s_cbranch_execz .LBB213_139
; %bb.138:                              ;   in Loop: Header=BB213_9 Depth=1
	v_mov_b32_e32 v0, 7
	v_and_b32_sdwa v5, v3, v0 dst_sel:DWORD dst_unused:UNUSED_PAD src0_sel:BYTE_1 src1_sel:DWORD
	v_lshrrev_b32_e32 v8, 3, v4
	v_cmp_gt_u32_e64 s[4:5], 8, v4
	v_ffbh_u32_e32 v4, v5
	v_min_u32_e32 v4, 32, v4
	v_mov_b32_e32 v6, v61
	v_subrev_u32_e32 v7, 28, v4
	v_lshlrev_b64 v[6:7], v7, v[5:6]
	v_sub_u32_e32 v4, 29, v4
	v_and_b32_e32 v6, 7, v6
	v_cndmask_b32_e64 v4, v8, v4, s[4:5]
	v_bfrev_b32_e32 v0, 60
	v_cndmask_b32_e64 v5, v5, v6, s[4:5]
	v_lshlrev_b32_e32 v3, 16, v3
	v_lshl_add_u32 v4, v4, 23, v0
	v_and_or_b32 v3, v3, s44, v4
	v_lshlrev_b32_e32 v4, 20, v5
	v_or_b32_e32 v1, v3, v4
	v_mov_b32_e32 v0, v61
	buffer_store_dword v0, off, s[48:51], 0 offset:172 ; 4-byte Folded Spill
	s_nop 0
	buffer_store_dword v1, off, s[48:51], 0 offset:176 ; 4-byte Folded Spill
.LBB213_139:                            ;   in Loop: Header=BB213_9 Depth=1
	s_or_b64 exec, exec, s[36:37]
.LBB213_140:                            ;   in Loop: Header=BB213_9 Depth=1
	s_or_b64 exec, exec, s[34:35]
.LBB213_141:                            ;   in Loop: Header=BB213_9 Depth=1
	s_or_b64 exec, exec, s[16:17]
	global_load_ushort v4, v[13:14], off offset:1036
	v_mov_b32_e32 v0, 0
	v_mov_b32_e32 v1, 0
	buffer_store_dword v0, off, s[48:51], 0 offset:188 ; 4-byte Folded Spill
	s_nop 0
	buffer_store_dword v1, off, s[48:51], 0 offset:192 ; 4-byte Folded Spill
	v_mov_b32_e32 v0, 0
	v_mov_b32_e32 v1, 0
	buffer_store_dword v0, off, s[48:51], 0 offset:180 ; 4-byte Folded Spill
	s_nop 0
	buffer_store_dword v1, off, s[48:51], 0 offset:184 ; 4-byte Folded Spill
	s_waitcnt vmcnt(4)
	v_and_b32_e32 v3, 0xffff, v4
	v_cmp_ne_u16_sdwa s[4:5], v4, v61 src0_sel:BYTE_0 src1_sel:DWORD
	s_and_saveexec_b64 s[16:17], s[4:5]
	s_cbranch_execz .LBB213_147
; %bb.142:                              ;   in Loop: Header=BB213_9 Depth=1
	v_bfrev_b32_e32 v0, 1
	v_mov_b32_e32 v1, 0
	v_cmp_ne_u16_sdwa s[4:5], v3, s42 src0_sel:BYTE_0 src1_sel:DWORD
	buffer_store_dword v0, off, s[48:51], 0 offset:180 ; 4-byte Folded Spill
	s_nop 0
	buffer_store_dword v1, off, s[48:51], 0 offset:184 ; 4-byte Folded Spill
	s_and_saveexec_b64 s[34:35], s[4:5]
	s_cbranch_execz .LBB213_146
; %bb.143:                              ;   in Loop: Header=BB213_9 Depth=1
	v_and_b32_e32 v4, 0x7f, v3
	v_mov_b32_e32 v0, 0x7f800001
	v_mov_b32_e32 v1, 0
	v_cmp_ne_u32_e64 s[4:5], s43, v4
	buffer_store_dword v0, off, s[48:51], 0 offset:180 ; 4-byte Folded Spill
	s_nop 0
	buffer_store_dword v1, off, s[48:51], 0 offset:184 ; 4-byte Folded Spill
	s_and_saveexec_b64 s[36:37], s[4:5]
	s_cbranch_execz .LBB213_145
; %bb.144:                              ;   in Loop: Header=BB213_9 Depth=1
	v_and_b32_e32 v6, 7, v3
	v_lshrrev_b32_e32 v7, 3, v4
	v_cmp_gt_u32_e64 s[4:5], 8, v4
	v_ffbh_u32_e32 v4, v6
	v_min_u32_e32 v8, 32, v4
	v_subrev_u32_e32 v4, 28, v8
	v_lshlrev_b64 v[4:5], v4, v[3:4]
	v_sub_u32_e32 v5, 29, v8
	v_and_b32_e32 v4, 7, v4
	v_cndmask_b32_e64 v5, v7, v5, s[4:5]
	v_cndmask_b32_e64 v4, v6, v4, s[4:5]
	v_bfrev_b32_e32 v0, 60
	v_lshlrev_b32_e32 v4, 20, v4
	v_and_b32_sdwa v6, sext(v3), s44 dst_sel:DWORD dst_unused:UNUSED_PAD src0_sel:BYTE_0 src1_sel:DWORD
	v_lshl_add_u32 v5, v5, 23, v0
	v_or3_b32 v0, v6, v5, v4
	v_mov_b32_e32 v1, v61
	buffer_store_dword v0, off, s[48:51], 0 offset:180 ; 4-byte Folded Spill
	s_nop 0
	buffer_store_dword v1, off, s[48:51], 0 offset:184 ; 4-byte Folded Spill
.LBB213_145:                            ;   in Loop: Header=BB213_9 Depth=1
	s_or_b64 exec, exec, s[36:37]
.LBB213_146:                            ;   in Loop: Header=BB213_9 Depth=1
	s_or_b64 exec, exec, s[34:35]
.LBB213_147:                            ;   in Loop: Header=BB213_9 Depth=1
	s_or_b64 exec, exec, s[16:17]
	v_cmp_ne_u16_sdwa s[4:5], v3, v61 src0_sel:BYTE_1 src1_sel:DWORD
	s_and_saveexec_b64 s[16:17], s[4:5]
	s_cbranch_execz .LBB213_153
; %bb.148:                              ;   in Loop: Header=BB213_9 Depth=1
	v_cmp_ne_u16_sdwa s[4:5], v3, s42 src0_sel:BYTE_1 src1_sel:DWORD
	buffer_store_dword v61, off, s[48:51], 0 offset:188 ; 4-byte Folded Spill
	s_nop 0
	buffer_store_dword v62, off, s[48:51], 0 offset:192 ; 4-byte Folded Spill
	s_and_saveexec_b64 s[34:35], s[4:5]
	s_cbranch_execz .LBB213_152
; %bb.149:                              ;   in Loop: Header=BB213_9 Depth=1
	buffer_load_dword v0, off, s[48:51], 0  ; 4-byte Folded Reload
	buffer_load_dword v1, off, s[48:51], 0 offset:4 ; 4-byte Folded Reload
	v_and_b32_sdwa v4, v3, s43 dst_sel:DWORD dst_unused:UNUSED_PAD src0_sel:BYTE_1 src1_sel:DWORD
	v_cmp_ne_u32_e64 s[4:5], s43, v4
	s_waitcnt vmcnt(1)
	v_mov_b32_e32 v0, v61
	s_waitcnt vmcnt(0)
	v_mov_b32_e32 v2, v1
	buffer_store_dword v1, off, s[48:51], 0 ; 4-byte Folded Spill
	s_nop 0
	buffer_store_dword v2, off, s[48:51], 0 offset:4 ; 4-byte Folded Spill
	buffer_store_dword v0, off, s[48:51], 0 offset:188 ; 4-byte Folded Spill
	s_nop 0
	buffer_store_dword v1, off, s[48:51], 0 offset:192 ; 4-byte Folded Spill
	s_and_saveexec_b64 s[36:37], s[4:5]
	s_cbranch_execz .LBB213_151
; %bb.150:                              ;   in Loop: Header=BB213_9 Depth=1
	v_mov_b32_e32 v0, 7
	v_and_b32_sdwa v5, v3, v0 dst_sel:DWORD dst_unused:UNUSED_PAD src0_sel:BYTE_1 src1_sel:DWORD
	v_lshrrev_b32_e32 v8, 3, v4
	v_cmp_gt_u32_e64 s[4:5], 8, v4
	v_ffbh_u32_e32 v4, v5
	v_min_u32_e32 v4, 32, v4
	v_mov_b32_e32 v6, v61
	v_subrev_u32_e32 v7, 28, v4
	v_lshlrev_b64 v[6:7], v7, v[5:6]
	v_sub_u32_e32 v4, 29, v4
	v_and_b32_e32 v6, 7, v6
	v_cndmask_b32_e64 v4, v8, v4, s[4:5]
	v_bfrev_b32_e32 v0, 60
	v_cndmask_b32_e64 v5, v5, v6, s[4:5]
	v_lshlrev_b32_e32 v3, 16, v3
	v_lshl_add_u32 v4, v4, 23, v0
	v_and_or_b32 v3, v3, s44, v4
	v_lshlrev_b32_e32 v4, 20, v5
	v_or_b32_e32 v1, v3, v4
	v_mov_b32_e32 v0, v61
	buffer_store_dword v0, off, s[48:51], 0 offset:188 ; 4-byte Folded Spill
	s_nop 0
	buffer_store_dword v1, off, s[48:51], 0 offset:192 ; 4-byte Folded Spill
.LBB213_151:                            ;   in Loop: Header=BB213_9 Depth=1
	s_or_b64 exec, exec, s[36:37]
.LBB213_152:                            ;   in Loop: Header=BB213_9 Depth=1
	s_or_b64 exec, exec, s[34:35]
.LBB213_153:                            ;   in Loop: Header=BB213_9 Depth=1
	s_or_b64 exec, exec, s[16:17]
	global_load_ushort v4, v[13:14], off offset:1536
	v_mov_b32_e32 v0, 0
	v_mov_b32_e32 v1, 0
	buffer_store_dword v0, off, s[48:51], 0 offset:204 ; 4-byte Folded Spill
	s_nop 0
	buffer_store_dword v1, off, s[48:51], 0 offset:208 ; 4-byte Folded Spill
	v_mov_b32_e32 v0, 0
	v_mov_b32_e32 v1, 0
	buffer_store_dword v0, off, s[48:51], 0 offset:196 ; 4-byte Folded Spill
	s_nop 0
	buffer_store_dword v1, off, s[48:51], 0 offset:200 ; 4-byte Folded Spill
	s_waitcnt vmcnt(4)
	v_and_b32_e32 v3, 0xffff, v4
	v_cmp_ne_u16_sdwa s[4:5], v4, v61 src0_sel:BYTE_0 src1_sel:DWORD
	s_and_saveexec_b64 s[16:17], s[4:5]
	s_cbranch_execz .LBB213_159
; %bb.154:                              ;   in Loop: Header=BB213_9 Depth=1
	v_bfrev_b32_e32 v0, 1
	v_mov_b32_e32 v1, 0
	v_cmp_ne_u16_sdwa s[4:5], v3, s42 src0_sel:BYTE_0 src1_sel:DWORD
	buffer_store_dword v0, off, s[48:51], 0 offset:196 ; 4-byte Folded Spill
	s_nop 0
	buffer_store_dword v1, off, s[48:51], 0 offset:200 ; 4-byte Folded Spill
	s_and_saveexec_b64 s[34:35], s[4:5]
	s_cbranch_execz .LBB213_158
; %bb.155:                              ;   in Loop: Header=BB213_9 Depth=1
	v_and_b32_e32 v4, 0x7f, v3
	v_mov_b32_e32 v0, 0x7f800001
	v_mov_b32_e32 v1, 0
	v_cmp_ne_u32_e64 s[4:5], s43, v4
	buffer_store_dword v0, off, s[48:51], 0 offset:196 ; 4-byte Folded Spill
	s_nop 0
	buffer_store_dword v1, off, s[48:51], 0 offset:200 ; 4-byte Folded Spill
	s_and_saveexec_b64 s[36:37], s[4:5]
	s_cbranch_execz .LBB213_157
; %bb.156:                              ;   in Loop: Header=BB213_9 Depth=1
	v_and_b32_e32 v6, 7, v3
	v_lshrrev_b32_e32 v7, 3, v4
	v_cmp_gt_u32_e64 s[4:5], 8, v4
	v_ffbh_u32_e32 v4, v6
	v_min_u32_e32 v8, 32, v4
	v_subrev_u32_e32 v4, 28, v8
	v_lshlrev_b64 v[4:5], v4, v[3:4]
	v_sub_u32_e32 v5, 29, v8
	v_and_b32_e32 v4, 7, v4
	v_cndmask_b32_e64 v5, v7, v5, s[4:5]
	v_cndmask_b32_e64 v4, v6, v4, s[4:5]
	v_bfrev_b32_e32 v0, 60
	v_lshlrev_b32_e32 v4, 20, v4
	v_and_b32_sdwa v6, sext(v3), s44 dst_sel:DWORD dst_unused:UNUSED_PAD src0_sel:BYTE_0 src1_sel:DWORD
	v_lshl_add_u32 v5, v5, 23, v0
	v_or3_b32 v0, v6, v5, v4
	v_mov_b32_e32 v1, v61
	buffer_store_dword v0, off, s[48:51], 0 offset:196 ; 4-byte Folded Spill
	s_nop 0
	buffer_store_dword v1, off, s[48:51], 0 offset:200 ; 4-byte Folded Spill
.LBB213_157:                            ;   in Loop: Header=BB213_9 Depth=1
	s_or_b64 exec, exec, s[36:37]
.LBB213_158:                            ;   in Loop: Header=BB213_9 Depth=1
	s_or_b64 exec, exec, s[34:35]
.LBB213_159:                            ;   in Loop: Header=BB213_9 Depth=1
	s_or_b64 exec, exec, s[16:17]
	v_cmp_ne_u16_sdwa s[4:5], v3, v61 src0_sel:BYTE_1 src1_sel:DWORD
	s_and_saveexec_b64 s[16:17], s[4:5]
	s_cbranch_execz .LBB213_165
; %bb.160:                              ;   in Loop: Header=BB213_9 Depth=1
	v_cmp_ne_u16_sdwa s[4:5], v3, s42 src0_sel:BYTE_1 src1_sel:DWORD
	buffer_store_dword v61, off, s[48:51], 0 offset:204 ; 4-byte Folded Spill
	s_nop 0
	buffer_store_dword v62, off, s[48:51], 0 offset:208 ; 4-byte Folded Spill
	s_and_saveexec_b64 s[34:35], s[4:5]
	s_cbranch_execz .LBB213_164
; %bb.161:                              ;   in Loop: Header=BB213_9 Depth=1
	buffer_load_dword v0, off, s[48:51], 0  ; 4-byte Folded Reload
	buffer_load_dword v1, off, s[48:51], 0 offset:4 ; 4-byte Folded Reload
	v_and_b32_sdwa v4, v3, s43 dst_sel:DWORD dst_unused:UNUSED_PAD src0_sel:BYTE_1 src1_sel:DWORD
	v_cmp_ne_u32_e64 s[4:5], s43, v4
	s_waitcnt vmcnt(1)
	v_mov_b32_e32 v0, v61
	s_waitcnt vmcnt(0)
	v_mov_b32_e32 v2, v1
	buffer_store_dword v1, off, s[48:51], 0 ; 4-byte Folded Spill
	s_nop 0
	buffer_store_dword v2, off, s[48:51], 0 offset:4 ; 4-byte Folded Spill
	buffer_store_dword v0, off, s[48:51], 0 offset:204 ; 4-byte Folded Spill
	s_nop 0
	buffer_store_dword v1, off, s[48:51], 0 offset:208 ; 4-byte Folded Spill
	s_and_saveexec_b64 s[36:37], s[4:5]
	s_cbranch_execz .LBB213_163
; %bb.162:                              ;   in Loop: Header=BB213_9 Depth=1
	v_mov_b32_e32 v0, 7
	v_and_b32_sdwa v5, v3, v0 dst_sel:DWORD dst_unused:UNUSED_PAD src0_sel:BYTE_1 src1_sel:DWORD
	v_lshrrev_b32_e32 v8, 3, v4
	v_cmp_gt_u32_e64 s[4:5], 8, v4
	v_ffbh_u32_e32 v4, v5
	v_min_u32_e32 v4, 32, v4
	v_mov_b32_e32 v6, v61
	v_subrev_u32_e32 v7, 28, v4
	v_lshlrev_b64 v[6:7], v7, v[5:6]
	v_sub_u32_e32 v4, 29, v4
	v_and_b32_e32 v6, 7, v6
	v_cndmask_b32_e64 v4, v8, v4, s[4:5]
	v_bfrev_b32_e32 v0, 60
	v_cndmask_b32_e64 v5, v5, v6, s[4:5]
	v_lshlrev_b32_e32 v3, 16, v3
	v_lshl_add_u32 v4, v4, 23, v0
	v_and_or_b32 v3, v3, s44, v4
	v_lshlrev_b32_e32 v4, 20, v5
	v_or_b32_e32 v1, v3, v4
	v_mov_b32_e32 v0, v61
	buffer_store_dword v0, off, s[48:51], 0 offset:204 ; 4-byte Folded Spill
	s_nop 0
	buffer_store_dword v1, off, s[48:51], 0 offset:208 ; 4-byte Folded Spill
.LBB213_163:                            ;   in Loop: Header=BB213_9 Depth=1
	s_or_b64 exec, exec, s[36:37]
.LBB213_164:                            ;   in Loop: Header=BB213_9 Depth=1
	s_or_b64 exec, exec, s[34:35]
.LBB213_165:                            ;   in Loop: Header=BB213_9 Depth=1
	s_or_b64 exec, exec, s[16:17]
	global_load_ushort v4, v[13:14], off offset:1540
	v_mov_b32_e32 v0, 0
	v_mov_b32_e32 v1, 0
	buffer_store_dword v0, off, s[48:51], 0 offset:220 ; 4-byte Folded Spill
	s_nop 0
	buffer_store_dword v1, off, s[48:51], 0 offset:224 ; 4-byte Folded Spill
	v_mov_b32_e32 v0, 0
	v_mov_b32_e32 v1, 0
	buffer_store_dword v0, off, s[48:51], 0 offset:212 ; 4-byte Folded Spill
	s_nop 0
	buffer_store_dword v1, off, s[48:51], 0 offset:216 ; 4-byte Folded Spill
	s_waitcnt vmcnt(4)
	v_and_b32_e32 v3, 0xffff, v4
	v_cmp_ne_u16_sdwa s[4:5], v4, v61 src0_sel:BYTE_0 src1_sel:DWORD
	s_and_saveexec_b64 s[16:17], s[4:5]
	s_cbranch_execz .LBB213_171
; %bb.166:                              ;   in Loop: Header=BB213_9 Depth=1
	v_bfrev_b32_e32 v0, 1
	v_mov_b32_e32 v1, 0
	v_cmp_ne_u16_sdwa s[4:5], v3, s42 src0_sel:BYTE_0 src1_sel:DWORD
	buffer_store_dword v0, off, s[48:51], 0 offset:212 ; 4-byte Folded Spill
	s_nop 0
	buffer_store_dword v1, off, s[48:51], 0 offset:216 ; 4-byte Folded Spill
	s_and_saveexec_b64 s[34:35], s[4:5]
	s_cbranch_execz .LBB213_170
; %bb.167:                              ;   in Loop: Header=BB213_9 Depth=1
	v_and_b32_e32 v4, 0x7f, v3
	v_mov_b32_e32 v0, 0x7f800001
	v_mov_b32_e32 v1, 0
	v_cmp_ne_u32_e64 s[4:5], s43, v4
	buffer_store_dword v0, off, s[48:51], 0 offset:212 ; 4-byte Folded Spill
	s_nop 0
	buffer_store_dword v1, off, s[48:51], 0 offset:216 ; 4-byte Folded Spill
	s_and_saveexec_b64 s[36:37], s[4:5]
	s_cbranch_execz .LBB213_169
; %bb.168:                              ;   in Loop: Header=BB213_9 Depth=1
	v_and_b32_e32 v6, 7, v3
	v_lshrrev_b32_e32 v7, 3, v4
	v_cmp_gt_u32_e64 s[4:5], 8, v4
	v_ffbh_u32_e32 v4, v6
	v_min_u32_e32 v8, 32, v4
	v_subrev_u32_e32 v4, 28, v8
	v_lshlrev_b64 v[4:5], v4, v[3:4]
	v_sub_u32_e32 v5, 29, v8
	v_and_b32_e32 v4, 7, v4
	v_cndmask_b32_e64 v5, v7, v5, s[4:5]
	v_cndmask_b32_e64 v4, v6, v4, s[4:5]
	v_bfrev_b32_e32 v0, 60
	v_lshlrev_b32_e32 v4, 20, v4
	v_and_b32_sdwa v6, sext(v3), s44 dst_sel:DWORD dst_unused:UNUSED_PAD src0_sel:BYTE_0 src1_sel:DWORD
	v_lshl_add_u32 v5, v5, 23, v0
	v_or3_b32 v0, v6, v5, v4
	v_mov_b32_e32 v1, v61
	buffer_store_dword v0, off, s[48:51], 0 offset:212 ; 4-byte Folded Spill
	s_nop 0
	buffer_store_dword v1, off, s[48:51], 0 offset:216 ; 4-byte Folded Spill
.LBB213_169:                            ;   in Loop: Header=BB213_9 Depth=1
	s_or_b64 exec, exec, s[36:37]
.LBB213_170:                            ;   in Loop: Header=BB213_9 Depth=1
	s_or_b64 exec, exec, s[34:35]
.LBB213_171:                            ;   in Loop: Header=BB213_9 Depth=1
	s_or_b64 exec, exec, s[16:17]
	v_cmp_ne_u16_sdwa s[4:5], v3, v61 src0_sel:BYTE_1 src1_sel:DWORD
	s_and_saveexec_b64 s[16:17], s[4:5]
	s_cbranch_execz .LBB213_177
; %bb.172:                              ;   in Loop: Header=BB213_9 Depth=1
	v_cmp_ne_u16_sdwa s[4:5], v3, s42 src0_sel:BYTE_1 src1_sel:DWORD
	buffer_store_dword v61, off, s[48:51], 0 offset:220 ; 4-byte Folded Spill
	s_nop 0
	buffer_store_dword v62, off, s[48:51], 0 offset:224 ; 4-byte Folded Spill
	s_and_saveexec_b64 s[34:35], s[4:5]
	s_cbranch_execz .LBB213_176
; %bb.173:                              ;   in Loop: Header=BB213_9 Depth=1
	buffer_load_dword v0, off, s[48:51], 0  ; 4-byte Folded Reload
	buffer_load_dword v1, off, s[48:51], 0 offset:4 ; 4-byte Folded Reload
	v_and_b32_sdwa v4, v3, s43 dst_sel:DWORD dst_unused:UNUSED_PAD src0_sel:BYTE_1 src1_sel:DWORD
	v_cmp_ne_u32_e64 s[4:5], s43, v4
	s_waitcnt vmcnt(1)
	v_mov_b32_e32 v0, v61
	s_waitcnt vmcnt(0)
	v_mov_b32_e32 v2, v1
	buffer_store_dword v1, off, s[48:51], 0 ; 4-byte Folded Spill
	s_nop 0
	buffer_store_dword v2, off, s[48:51], 0 offset:4 ; 4-byte Folded Spill
	buffer_store_dword v0, off, s[48:51], 0 offset:220 ; 4-byte Folded Spill
	s_nop 0
	buffer_store_dword v1, off, s[48:51], 0 offset:224 ; 4-byte Folded Spill
	s_and_saveexec_b64 s[36:37], s[4:5]
	s_cbranch_execz .LBB213_175
; %bb.174:                              ;   in Loop: Header=BB213_9 Depth=1
	v_mov_b32_e32 v0, 7
	v_and_b32_sdwa v5, v3, v0 dst_sel:DWORD dst_unused:UNUSED_PAD src0_sel:BYTE_1 src1_sel:DWORD
	v_lshrrev_b32_e32 v8, 3, v4
	v_cmp_gt_u32_e64 s[4:5], 8, v4
	v_ffbh_u32_e32 v4, v5
	v_min_u32_e32 v4, 32, v4
	v_mov_b32_e32 v6, v61
	v_subrev_u32_e32 v7, 28, v4
	v_lshlrev_b64 v[6:7], v7, v[5:6]
	v_sub_u32_e32 v4, 29, v4
	v_and_b32_e32 v6, 7, v6
	v_cndmask_b32_e64 v4, v8, v4, s[4:5]
	v_bfrev_b32_e32 v0, 60
	v_cndmask_b32_e64 v5, v5, v6, s[4:5]
	v_lshlrev_b32_e32 v3, 16, v3
	v_lshl_add_u32 v4, v4, 23, v0
	v_and_or_b32 v3, v3, s44, v4
	v_lshlrev_b32_e32 v4, 20, v5
	v_or_b32_e32 v1, v3, v4
	v_mov_b32_e32 v0, v61
	buffer_store_dword v0, off, s[48:51], 0 offset:220 ; 4-byte Folded Spill
	s_nop 0
	buffer_store_dword v1, off, s[48:51], 0 offset:224 ; 4-byte Folded Spill
.LBB213_175:                            ;   in Loop: Header=BB213_9 Depth=1
	s_or_b64 exec, exec, s[36:37]
.LBB213_176:                            ;   in Loop: Header=BB213_9 Depth=1
	s_or_b64 exec, exec, s[34:35]
.LBB213_177:                            ;   in Loop: Header=BB213_9 Depth=1
	s_or_b64 exec, exec, s[16:17]
	global_load_ushort v4, v[13:14], off offset:1544
	v_mov_b32_e32 v0, 0
	v_mov_b32_e32 v1, 0
	buffer_store_dword v0, off, s[48:51], 0 offset:236 ; 4-byte Folded Spill
	s_nop 0
	buffer_store_dword v1, off, s[48:51], 0 offset:240 ; 4-byte Folded Spill
	v_mov_b32_e32 v0, 0
	v_mov_b32_e32 v1, 0
	buffer_store_dword v0, off, s[48:51], 0 offset:228 ; 4-byte Folded Spill
	s_nop 0
	buffer_store_dword v1, off, s[48:51], 0 offset:232 ; 4-byte Folded Spill
	s_waitcnt vmcnt(4)
	v_and_b32_e32 v3, 0xffff, v4
	v_cmp_ne_u16_sdwa s[4:5], v4, v61 src0_sel:BYTE_0 src1_sel:DWORD
	s_and_saveexec_b64 s[16:17], s[4:5]
	s_cbranch_execz .LBB213_183
; %bb.178:                              ;   in Loop: Header=BB213_9 Depth=1
	v_bfrev_b32_e32 v0, 1
	v_mov_b32_e32 v1, 0
	v_cmp_ne_u16_sdwa s[4:5], v3, s42 src0_sel:BYTE_0 src1_sel:DWORD
	buffer_store_dword v0, off, s[48:51], 0 offset:228 ; 4-byte Folded Spill
	s_nop 0
	buffer_store_dword v1, off, s[48:51], 0 offset:232 ; 4-byte Folded Spill
	s_and_saveexec_b64 s[34:35], s[4:5]
	s_cbranch_execz .LBB213_182
; %bb.179:                              ;   in Loop: Header=BB213_9 Depth=1
	v_and_b32_e32 v4, 0x7f, v3
	v_mov_b32_e32 v0, 0x7f800001
	v_mov_b32_e32 v1, 0
	v_cmp_ne_u32_e64 s[4:5], s43, v4
	buffer_store_dword v0, off, s[48:51], 0 offset:228 ; 4-byte Folded Spill
	s_nop 0
	buffer_store_dword v1, off, s[48:51], 0 offset:232 ; 4-byte Folded Spill
	s_and_saveexec_b64 s[36:37], s[4:5]
	s_cbranch_execz .LBB213_181
; %bb.180:                              ;   in Loop: Header=BB213_9 Depth=1
	v_and_b32_e32 v6, 7, v3
	v_lshrrev_b32_e32 v7, 3, v4
	v_cmp_gt_u32_e64 s[4:5], 8, v4
	v_ffbh_u32_e32 v4, v6
	v_min_u32_e32 v8, 32, v4
	v_subrev_u32_e32 v4, 28, v8
	v_lshlrev_b64 v[4:5], v4, v[3:4]
	v_sub_u32_e32 v5, 29, v8
	v_and_b32_e32 v4, 7, v4
	v_cndmask_b32_e64 v5, v7, v5, s[4:5]
	v_cndmask_b32_e64 v4, v6, v4, s[4:5]
	v_bfrev_b32_e32 v0, 60
	v_lshlrev_b32_e32 v4, 20, v4
	v_and_b32_sdwa v6, sext(v3), s44 dst_sel:DWORD dst_unused:UNUSED_PAD src0_sel:BYTE_0 src1_sel:DWORD
	v_lshl_add_u32 v5, v5, 23, v0
	v_or3_b32 v0, v6, v5, v4
	v_mov_b32_e32 v1, v61
	buffer_store_dword v0, off, s[48:51], 0 offset:228 ; 4-byte Folded Spill
	s_nop 0
	buffer_store_dword v1, off, s[48:51], 0 offset:232 ; 4-byte Folded Spill
.LBB213_181:                            ;   in Loop: Header=BB213_9 Depth=1
	s_or_b64 exec, exec, s[36:37]
.LBB213_182:                            ;   in Loop: Header=BB213_9 Depth=1
	s_or_b64 exec, exec, s[34:35]
.LBB213_183:                            ;   in Loop: Header=BB213_9 Depth=1
	s_or_b64 exec, exec, s[16:17]
	v_cmp_ne_u16_sdwa s[4:5], v3, v61 src0_sel:BYTE_1 src1_sel:DWORD
	s_and_saveexec_b64 s[16:17], s[4:5]
	s_cbranch_execz .LBB213_189
; %bb.184:                              ;   in Loop: Header=BB213_9 Depth=1
	v_cmp_ne_u16_sdwa s[4:5], v3, s42 src0_sel:BYTE_1 src1_sel:DWORD
	buffer_store_dword v61, off, s[48:51], 0 offset:236 ; 4-byte Folded Spill
	s_nop 0
	buffer_store_dword v62, off, s[48:51], 0 offset:240 ; 4-byte Folded Spill
	s_and_saveexec_b64 s[34:35], s[4:5]
	s_cbranch_execz .LBB213_188
; %bb.185:                              ;   in Loop: Header=BB213_9 Depth=1
	buffer_load_dword v0, off, s[48:51], 0  ; 4-byte Folded Reload
	buffer_load_dword v1, off, s[48:51], 0 offset:4 ; 4-byte Folded Reload
	v_and_b32_sdwa v4, v3, s43 dst_sel:DWORD dst_unused:UNUSED_PAD src0_sel:BYTE_1 src1_sel:DWORD
	v_cmp_ne_u32_e64 s[4:5], s43, v4
	s_waitcnt vmcnt(1)
	v_mov_b32_e32 v0, v61
	s_waitcnt vmcnt(0)
	v_mov_b32_e32 v2, v1
	buffer_store_dword v1, off, s[48:51], 0 ; 4-byte Folded Spill
	s_nop 0
	buffer_store_dword v2, off, s[48:51], 0 offset:4 ; 4-byte Folded Spill
	buffer_store_dword v0, off, s[48:51], 0 offset:236 ; 4-byte Folded Spill
	s_nop 0
	buffer_store_dword v1, off, s[48:51], 0 offset:240 ; 4-byte Folded Spill
	s_and_saveexec_b64 s[36:37], s[4:5]
	s_cbranch_execz .LBB213_187
; %bb.186:                              ;   in Loop: Header=BB213_9 Depth=1
	v_mov_b32_e32 v0, 7
	v_and_b32_sdwa v5, v3, v0 dst_sel:DWORD dst_unused:UNUSED_PAD src0_sel:BYTE_1 src1_sel:DWORD
	v_lshrrev_b32_e32 v8, 3, v4
	v_cmp_gt_u32_e64 s[4:5], 8, v4
	v_ffbh_u32_e32 v4, v5
	v_min_u32_e32 v4, 32, v4
	v_mov_b32_e32 v6, v61
	v_subrev_u32_e32 v7, 28, v4
	v_lshlrev_b64 v[6:7], v7, v[5:6]
	v_sub_u32_e32 v4, 29, v4
	v_and_b32_e32 v6, 7, v6
	v_cndmask_b32_e64 v4, v8, v4, s[4:5]
	v_bfrev_b32_e32 v0, 60
	v_cndmask_b32_e64 v5, v5, v6, s[4:5]
	v_lshlrev_b32_e32 v3, 16, v3
	v_lshl_add_u32 v4, v4, 23, v0
	v_and_or_b32 v3, v3, s44, v4
	v_lshlrev_b32_e32 v4, 20, v5
	v_or_b32_e32 v1, v3, v4
	v_mov_b32_e32 v0, v61
	buffer_store_dword v0, off, s[48:51], 0 offset:236 ; 4-byte Folded Spill
	s_nop 0
	buffer_store_dword v1, off, s[48:51], 0 offset:240 ; 4-byte Folded Spill
.LBB213_187:                            ;   in Loop: Header=BB213_9 Depth=1
	s_or_b64 exec, exec, s[36:37]
.LBB213_188:                            ;   in Loop: Header=BB213_9 Depth=1
	s_or_b64 exec, exec, s[34:35]
.LBB213_189:                            ;   in Loop: Header=BB213_9 Depth=1
	s_or_b64 exec, exec, s[16:17]
	global_load_ushort v4, v[13:14], off offset:1548
	v_mov_b32_e32 v0, 0
	v_mov_b32_e32 v1, 0
	buffer_store_dword v0, off, s[48:51], 0 offset:252 ; 4-byte Folded Spill
	s_nop 0
	buffer_store_dword v1, off, s[48:51], 0 offset:256 ; 4-byte Folded Spill
	v_mov_b32_e32 v0, 0
	v_mov_b32_e32 v1, 0
	buffer_store_dword v0, off, s[48:51], 0 offset:244 ; 4-byte Folded Spill
	s_nop 0
	buffer_store_dword v1, off, s[48:51], 0 offset:248 ; 4-byte Folded Spill
	s_waitcnt vmcnt(4)
	v_and_b32_e32 v3, 0xffff, v4
	v_cmp_ne_u16_sdwa s[4:5], v4, v61 src0_sel:BYTE_0 src1_sel:DWORD
	s_and_saveexec_b64 s[16:17], s[4:5]
	s_cbranch_execz .LBB213_195
; %bb.190:                              ;   in Loop: Header=BB213_9 Depth=1
	v_bfrev_b32_e32 v0, 1
	v_mov_b32_e32 v1, 0
	v_cmp_ne_u16_sdwa s[4:5], v3, s42 src0_sel:BYTE_0 src1_sel:DWORD
	buffer_store_dword v0, off, s[48:51], 0 offset:244 ; 4-byte Folded Spill
	s_nop 0
	buffer_store_dword v1, off, s[48:51], 0 offset:248 ; 4-byte Folded Spill
	s_and_saveexec_b64 s[34:35], s[4:5]
	s_cbranch_execz .LBB213_194
; %bb.191:                              ;   in Loop: Header=BB213_9 Depth=1
	v_and_b32_e32 v4, 0x7f, v3
	v_mov_b32_e32 v0, 0x7f800001
	v_mov_b32_e32 v1, 0
	v_cmp_ne_u32_e64 s[4:5], s43, v4
	buffer_store_dword v0, off, s[48:51], 0 offset:244 ; 4-byte Folded Spill
	s_nop 0
	buffer_store_dword v1, off, s[48:51], 0 offset:248 ; 4-byte Folded Spill
	s_and_saveexec_b64 s[36:37], s[4:5]
	s_cbranch_execz .LBB213_193
; %bb.192:                              ;   in Loop: Header=BB213_9 Depth=1
	v_and_b32_e32 v6, 7, v3
	v_lshrrev_b32_e32 v7, 3, v4
	v_cmp_gt_u32_e64 s[4:5], 8, v4
	v_ffbh_u32_e32 v4, v6
	v_min_u32_e32 v8, 32, v4
	v_subrev_u32_e32 v4, 28, v8
	v_lshlrev_b64 v[4:5], v4, v[3:4]
	v_sub_u32_e32 v5, 29, v8
	v_and_b32_e32 v4, 7, v4
	v_cndmask_b32_e64 v5, v7, v5, s[4:5]
	v_cndmask_b32_e64 v4, v6, v4, s[4:5]
	v_bfrev_b32_e32 v0, 60
	v_lshlrev_b32_e32 v4, 20, v4
	v_and_b32_sdwa v6, sext(v3), s44 dst_sel:DWORD dst_unused:UNUSED_PAD src0_sel:BYTE_0 src1_sel:DWORD
	v_lshl_add_u32 v5, v5, 23, v0
	v_or3_b32 v0, v6, v5, v4
	v_mov_b32_e32 v1, v61
	buffer_store_dword v0, off, s[48:51], 0 offset:244 ; 4-byte Folded Spill
	s_nop 0
	buffer_store_dword v1, off, s[48:51], 0 offset:248 ; 4-byte Folded Spill
.LBB213_193:                            ;   in Loop: Header=BB213_9 Depth=1
	s_or_b64 exec, exec, s[36:37]
.LBB213_194:                            ;   in Loop: Header=BB213_9 Depth=1
	s_or_b64 exec, exec, s[34:35]
.LBB213_195:                            ;   in Loop: Header=BB213_9 Depth=1
	s_or_b64 exec, exec, s[16:17]
	v_cmp_ne_u16_sdwa s[4:5], v3, v61 src0_sel:BYTE_1 src1_sel:DWORD
	s_and_saveexec_b64 s[16:17], s[4:5]
	s_cbranch_execz .LBB213_201
; %bb.196:                              ;   in Loop: Header=BB213_9 Depth=1
	v_cmp_ne_u16_sdwa s[4:5], v3, s42 src0_sel:BYTE_1 src1_sel:DWORD
	buffer_store_dword v61, off, s[48:51], 0 offset:252 ; 4-byte Folded Spill
	s_nop 0
	buffer_store_dword v62, off, s[48:51], 0 offset:256 ; 4-byte Folded Spill
	s_and_saveexec_b64 s[34:35], s[4:5]
	s_cbranch_execz .LBB213_200
; %bb.197:                              ;   in Loop: Header=BB213_9 Depth=1
	buffer_load_dword v0, off, s[48:51], 0  ; 4-byte Folded Reload
	buffer_load_dword v1, off, s[48:51], 0 offset:4 ; 4-byte Folded Reload
	v_and_b32_sdwa v4, v3, s43 dst_sel:DWORD dst_unused:UNUSED_PAD src0_sel:BYTE_1 src1_sel:DWORD
	v_cmp_ne_u32_e64 s[4:5], s43, v4
	s_waitcnt vmcnt(1)
	v_mov_b32_e32 v0, v61
	s_waitcnt vmcnt(0)
	v_mov_b32_e32 v2, v1
	buffer_store_dword v1, off, s[48:51], 0 ; 4-byte Folded Spill
	s_nop 0
	buffer_store_dword v2, off, s[48:51], 0 offset:4 ; 4-byte Folded Spill
	buffer_store_dword v0, off, s[48:51], 0 offset:252 ; 4-byte Folded Spill
	s_nop 0
	buffer_store_dword v1, off, s[48:51], 0 offset:256 ; 4-byte Folded Spill
	s_and_saveexec_b64 s[36:37], s[4:5]
	s_cbranch_execz .LBB213_199
; %bb.198:                              ;   in Loop: Header=BB213_9 Depth=1
	v_mov_b32_e32 v0, 7
	v_and_b32_sdwa v5, v3, v0 dst_sel:DWORD dst_unused:UNUSED_PAD src0_sel:BYTE_1 src1_sel:DWORD
	v_lshrrev_b32_e32 v8, 3, v4
	v_cmp_gt_u32_e64 s[4:5], 8, v4
	v_ffbh_u32_e32 v4, v5
	v_min_u32_e32 v4, 32, v4
	v_mov_b32_e32 v6, v61
	v_subrev_u32_e32 v7, 28, v4
	v_lshlrev_b64 v[6:7], v7, v[5:6]
	v_sub_u32_e32 v4, 29, v4
	v_and_b32_e32 v6, 7, v6
	v_cndmask_b32_e64 v4, v8, v4, s[4:5]
	v_bfrev_b32_e32 v0, 60
	v_cndmask_b32_e64 v5, v5, v6, s[4:5]
	v_lshlrev_b32_e32 v3, 16, v3
	v_lshl_add_u32 v4, v4, 23, v0
	v_and_or_b32 v3, v3, s44, v4
	v_lshlrev_b32_e32 v4, 20, v5
	v_or_b32_e32 v1, v3, v4
	v_mov_b32_e32 v0, v61
	buffer_store_dword v0, off, s[48:51], 0 offset:252 ; 4-byte Folded Spill
	s_nop 0
	buffer_store_dword v1, off, s[48:51], 0 offset:256 ; 4-byte Folded Spill
.LBB213_199:                            ;   in Loop: Header=BB213_9 Depth=1
	s_or_b64 exec, exec, s[36:37]
.LBB213_200:                            ;   in Loop: Header=BB213_9 Depth=1
	s_or_b64 exec, exec, s[34:35]
.LBB213_201:                            ;   in Loop: Header=BB213_9 Depth=1
	s_or_b64 exec, exec, s[16:17]
	global_load_ushort v4, v[13:14], off offset:2048
	v_mov_b32_e32 v0, 0
	v_mov_b32_e32 v1, 0
	buffer_store_dword v0, off, s[48:51], 0 offset:268 ; 4-byte Folded Spill
	s_nop 0
	buffer_store_dword v1, off, s[48:51], 0 offset:272 ; 4-byte Folded Spill
	v_mov_b32_e32 v0, 0
	v_mov_b32_e32 v1, 0
	buffer_store_dword v0, off, s[48:51], 0 offset:260 ; 4-byte Folded Spill
	s_nop 0
	buffer_store_dword v1, off, s[48:51], 0 offset:264 ; 4-byte Folded Spill
	s_waitcnt vmcnt(4)
	v_and_b32_e32 v3, 0xffff, v4
	v_cmp_ne_u16_sdwa s[4:5], v4, v61 src0_sel:BYTE_0 src1_sel:DWORD
	s_and_saveexec_b64 s[16:17], s[4:5]
	s_cbranch_execz .LBB213_207
; %bb.202:                              ;   in Loop: Header=BB213_9 Depth=1
	v_bfrev_b32_e32 v0, 1
	v_mov_b32_e32 v1, 0
	v_cmp_ne_u16_sdwa s[4:5], v3, s42 src0_sel:BYTE_0 src1_sel:DWORD
	buffer_store_dword v0, off, s[48:51], 0 offset:260 ; 4-byte Folded Spill
	s_nop 0
	buffer_store_dword v1, off, s[48:51], 0 offset:264 ; 4-byte Folded Spill
	s_and_saveexec_b64 s[34:35], s[4:5]
	s_cbranch_execz .LBB213_206
; %bb.203:                              ;   in Loop: Header=BB213_9 Depth=1
	v_and_b32_e32 v4, 0x7f, v3
	v_mov_b32_e32 v0, 0x7f800001
	v_mov_b32_e32 v1, 0
	v_cmp_ne_u32_e64 s[4:5], s43, v4
	buffer_store_dword v0, off, s[48:51], 0 offset:260 ; 4-byte Folded Spill
	s_nop 0
	buffer_store_dword v1, off, s[48:51], 0 offset:264 ; 4-byte Folded Spill
	s_and_saveexec_b64 s[36:37], s[4:5]
	s_cbranch_execz .LBB213_205
; %bb.204:                              ;   in Loop: Header=BB213_9 Depth=1
	v_and_b32_e32 v6, 7, v3
	v_lshrrev_b32_e32 v7, 3, v4
	v_cmp_gt_u32_e64 s[4:5], 8, v4
	v_ffbh_u32_e32 v4, v6
	v_min_u32_e32 v8, 32, v4
	v_subrev_u32_e32 v4, 28, v8
	v_lshlrev_b64 v[4:5], v4, v[3:4]
	v_sub_u32_e32 v5, 29, v8
	v_and_b32_e32 v4, 7, v4
	v_cndmask_b32_e64 v5, v7, v5, s[4:5]
	v_cndmask_b32_e64 v4, v6, v4, s[4:5]
	v_bfrev_b32_e32 v0, 60
	v_lshlrev_b32_e32 v4, 20, v4
	v_and_b32_sdwa v6, sext(v3), s44 dst_sel:DWORD dst_unused:UNUSED_PAD src0_sel:BYTE_0 src1_sel:DWORD
	v_lshl_add_u32 v5, v5, 23, v0
	v_or3_b32 v0, v6, v5, v4
	v_mov_b32_e32 v1, v61
	buffer_store_dword v0, off, s[48:51], 0 offset:260 ; 4-byte Folded Spill
	s_nop 0
	buffer_store_dword v1, off, s[48:51], 0 offset:264 ; 4-byte Folded Spill
.LBB213_205:                            ;   in Loop: Header=BB213_9 Depth=1
	s_or_b64 exec, exec, s[36:37]
.LBB213_206:                            ;   in Loop: Header=BB213_9 Depth=1
	s_or_b64 exec, exec, s[34:35]
.LBB213_207:                            ;   in Loop: Header=BB213_9 Depth=1
	s_or_b64 exec, exec, s[16:17]
	v_cmp_ne_u16_sdwa s[4:5], v3, v61 src0_sel:BYTE_1 src1_sel:DWORD
	s_and_saveexec_b64 s[16:17], s[4:5]
	s_cbranch_execz .LBB213_213
; %bb.208:                              ;   in Loop: Header=BB213_9 Depth=1
	v_cmp_ne_u16_sdwa s[4:5], v3, s42 src0_sel:BYTE_1 src1_sel:DWORD
	buffer_store_dword v61, off, s[48:51], 0 offset:268 ; 4-byte Folded Spill
	s_nop 0
	buffer_store_dword v62, off, s[48:51], 0 offset:272 ; 4-byte Folded Spill
	s_and_saveexec_b64 s[34:35], s[4:5]
	s_cbranch_execz .LBB213_212
; %bb.209:                              ;   in Loop: Header=BB213_9 Depth=1
	buffer_load_dword v0, off, s[48:51], 0  ; 4-byte Folded Reload
	buffer_load_dword v1, off, s[48:51], 0 offset:4 ; 4-byte Folded Reload
	v_and_b32_sdwa v4, v3, s43 dst_sel:DWORD dst_unused:UNUSED_PAD src0_sel:BYTE_1 src1_sel:DWORD
	v_cmp_ne_u32_e64 s[4:5], s43, v4
	s_waitcnt vmcnt(1)
	v_mov_b32_e32 v0, v61
	s_waitcnt vmcnt(0)
	v_mov_b32_e32 v2, v1
	buffer_store_dword v1, off, s[48:51], 0 ; 4-byte Folded Spill
	s_nop 0
	buffer_store_dword v2, off, s[48:51], 0 offset:4 ; 4-byte Folded Spill
	buffer_store_dword v0, off, s[48:51], 0 offset:268 ; 4-byte Folded Spill
	s_nop 0
	buffer_store_dword v1, off, s[48:51], 0 offset:272 ; 4-byte Folded Spill
	s_and_saveexec_b64 s[36:37], s[4:5]
	s_cbranch_execz .LBB213_211
; %bb.210:                              ;   in Loop: Header=BB213_9 Depth=1
	v_mov_b32_e32 v0, 7
	v_and_b32_sdwa v5, v3, v0 dst_sel:DWORD dst_unused:UNUSED_PAD src0_sel:BYTE_1 src1_sel:DWORD
	v_lshrrev_b32_e32 v8, 3, v4
	v_cmp_gt_u32_e64 s[4:5], 8, v4
	v_ffbh_u32_e32 v4, v5
	v_min_u32_e32 v4, 32, v4
	v_mov_b32_e32 v6, v61
	v_subrev_u32_e32 v7, 28, v4
	v_lshlrev_b64 v[6:7], v7, v[5:6]
	v_sub_u32_e32 v4, 29, v4
	v_and_b32_e32 v6, 7, v6
	v_cndmask_b32_e64 v4, v8, v4, s[4:5]
	v_bfrev_b32_e32 v0, 60
	v_cndmask_b32_e64 v5, v5, v6, s[4:5]
	v_lshlrev_b32_e32 v3, 16, v3
	v_lshl_add_u32 v4, v4, 23, v0
	v_and_or_b32 v3, v3, s44, v4
	v_lshlrev_b32_e32 v4, 20, v5
	v_or_b32_e32 v1, v3, v4
	v_mov_b32_e32 v0, v61
	buffer_store_dword v0, off, s[48:51], 0 offset:268 ; 4-byte Folded Spill
	s_nop 0
	buffer_store_dword v1, off, s[48:51], 0 offset:272 ; 4-byte Folded Spill
.LBB213_211:                            ;   in Loop: Header=BB213_9 Depth=1
	s_or_b64 exec, exec, s[36:37]
.LBB213_212:                            ;   in Loop: Header=BB213_9 Depth=1
	s_or_b64 exec, exec, s[34:35]
.LBB213_213:                            ;   in Loop: Header=BB213_9 Depth=1
	s_or_b64 exec, exec, s[16:17]
	global_load_ushort v4, v[13:14], off offset:2052
	v_mov_b32_e32 v0, 0
	v_mov_b32_e32 v1, 0
	buffer_store_dword v0, off, s[48:51], 0 offset:284 ; 4-byte Folded Spill
	s_nop 0
	buffer_store_dword v1, off, s[48:51], 0 offset:288 ; 4-byte Folded Spill
	v_mov_b32_e32 v0, 0
	v_mov_b32_e32 v1, 0
	buffer_store_dword v0, off, s[48:51], 0 offset:276 ; 4-byte Folded Spill
	s_nop 0
	buffer_store_dword v1, off, s[48:51], 0 offset:280 ; 4-byte Folded Spill
	s_waitcnt vmcnt(4)
	v_and_b32_e32 v3, 0xffff, v4
	v_cmp_ne_u16_sdwa s[4:5], v4, v61 src0_sel:BYTE_0 src1_sel:DWORD
	s_and_saveexec_b64 s[16:17], s[4:5]
	s_cbranch_execz .LBB213_219
; %bb.214:                              ;   in Loop: Header=BB213_9 Depth=1
	v_bfrev_b32_e32 v0, 1
	v_mov_b32_e32 v1, 0
	v_cmp_ne_u16_sdwa s[4:5], v3, s42 src0_sel:BYTE_0 src1_sel:DWORD
	buffer_store_dword v0, off, s[48:51], 0 offset:276 ; 4-byte Folded Spill
	s_nop 0
	buffer_store_dword v1, off, s[48:51], 0 offset:280 ; 4-byte Folded Spill
	s_and_saveexec_b64 s[34:35], s[4:5]
	s_cbranch_execz .LBB213_218
; %bb.215:                              ;   in Loop: Header=BB213_9 Depth=1
	v_and_b32_e32 v4, 0x7f, v3
	v_mov_b32_e32 v0, 0x7f800001
	v_mov_b32_e32 v1, 0
	v_cmp_ne_u32_e64 s[4:5], s43, v4
	buffer_store_dword v0, off, s[48:51], 0 offset:276 ; 4-byte Folded Spill
	s_nop 0
	buffer_store_dword v1, off, s[48:51], 0 offset:280 ; 4-byte Folded Spill
	s_and_saveexec_b64 s[36:37], s[4:5]
	s_cbranch_execz .LBB213_217
; %bb.216:                              ;   in Loop: Header=BB213_9 Depth=1
	v_and_b32_e32 v6, 7, v3
	v_lshrrev_b32_e32 v7, 3, v4
	v_cmp_gt_u32_e64 s[4:5], 8, v4
	v_ffbh_u32_e32 v4, v6
	v_min_u32_e32 v8, 32, v4
	v_subrev_u32_e32 v4, 28, v8
	v_lshlrev_b64 v[4:5], v4, v[3:4]
	v_sub_u32_e32 v5, 29, v8
	v_and_b32_e32 v4, 7, v4
	v_cndmask_b32_e64 v5, v7, v5, s[4:5]
	v_cndmask_b32_e64 v4, v6, v4, s[4:5]
	v_bfrev_b32_e32 v0, 60
	v_lshlrev_b32_e32 v4, 20, v4
	v_and_b32_sdwa v6, sext(v3), s44 dst_sel:DWORD dst_unused:UNUSED_PAD src0_sel:BYTE_0 src1_sel:DWORD
	v_lshl_add_u32 v5, v5, 23, v0
	v_or3_b32 v0, v6, v5, v4
	v_mov_b32_e32 v1, v61
	buffer_store_dword v0, off, s[48:51], 0 offset:276 ; 4-byte Folded Spill
	s_nop 0
	buffer_store_dword v1, off, s[48:51], 0 offset:280 ; 4-byte Folded Spill
.LBB213_217:                            ;   in Loop: Header=BB213_9 Depth=1
	s_or_b64 exec, exec, s[36:37]
.LBB213_218:                            ;   in Loop: Header=BB213_9 Depth=1
	s_or_b64 exec, exec, s[34:35]
.LBB213_219:                            ;   in Loop: Header=BB213_9 Depth=1
	s_or_b64 exec, exec, s[16:17]
	v_cmp_ne_u16_sdwa s[4:5], v3, v61 src0_sel:BYTE_1 src1_sel:DWORD
	s_and_saveexec_b64 s[16:17], s[4:5]
	s_cbranch_execz .LBB213_225
; %bb.220:                              ;   in Loop: Header=BB213_9 Depth=1
	v_cmp_ne_u16_sdwa s[4:5], v3, s42 src0_sel:BYTE_1 src1_sel:DWORD
	buffer_store_dword v61, off, s[48:51], 0 offset:284 ; 4-byte Folded Spill
	s_nop 0
	buffer_store_dword v62, off, s[48:51], 0 offset:288 ; 4-byte Folded Spill
	s_and_saveexec_b64 s[34:35], s[4:5]
	s_cbranch_execz .LBB213_224
; %bb.221:                              ;   in Loop: Header=BB213_9 Depth=1
	buffer_load_dword v23, off, s[48:51], 0 ; 4-byte Folded Reload
	buffer_load_dword v24, off, s[48:51], 0 offset:4 ; 4-byte Folded Reload
	v_and_b32_sdwa v4, v3, s43 dst_sel:DWORD dst_unused:UNUSED_PAD src0_sel:BYTE_1 src1_sel:DWORD
	v_cmp_ne_u32_e64 s[4:5], s43, v4
	s_waitcnt vmcnt(1)
	v_mov_b32_e32 v23, v61
	s_waitcnt vmcnt(0)
	v_mov_b32_e32 v1, v24
	buffer_store_dword v0, off, s[48:51], 0 ; 4-byte Folded Spill
	s_nop 0
	buffer_store_dword v1, off, s[48:51], 0 offset:4 ; 4-byte Folded Spill
	buffer_store_dword v23, off, s[48:51], 0 offset:284 ; 4-byte Folded Spill
	s_nop 0
	buffer_store_dword v24, off, s[48:51], 0 offset:288 ; 4-byte Folded Spill
	s_and_saveexec_b64 s[36:37], s[4:5]
	s_cbranch_execz .LBB213_223
; %bb.222:                              ;   in Loop: Header=BB213_9 Depth=1
	v_mov_b32_e32 v0, 7
	v_and_b32_sdwa v5, v3, v0 dst_sel:DWORD dst_unused:UNUSED_PAD src0_sel:BYTE_1 src1_sel:DWORD
	v_lshrrev_b32_e32 v8, 3, v4
	v_cmp_gt_u32_e64 s[4:5], 8, v4
	v_ffbh_u32_e32 v4, v5
	v_min_u32_e32 v4, 32, v4
	v_mov_b32_e32 v6, v61
	v_subrev_u32_e32 v7, 28, v4
	v_lshlrev_b64 v[6:7], v7, v[5:6]
	v_sub_u32_e32 v4, 29, v4
	v_and_b32_e32 v6, 7, v6
	v_cndmask_b32_e64 v4, v8, v4, s[4:5]
	v_bfrev_b32_e32 v0, 60
	v_cndmask_b32_e64 v5, v5, v6, s[4:5]
	v_lshlrev_b32_e32 v3, 16, v3
	v_lshl_add_u32 v4, v4, 23, v0
	v_and_or_b32 v3, v3, s44, v4
	v_lshlrev_b32_e32 v4, 20, v5
	v_or_b32_e32 v1, v3, v4
	v_mov_b32_e32 v0, v61
	buffer_store_dword v0, off, s[48:51], 0 offset:284 ; 4-byte Folded Spill
	s_nop 0
	buffer_store_dword v1, off, s[48:51], 0 offset:288 ; 4-byte Folded Spill
.LBB213_223:                            ;   in Loop: Header=BB213_9 Depth=1
	s_or_b64 exec, exec, s[36:37]
.LBB213_224:                            ;   in Loop: Header=BB213_9 Depth=1
	s_or_b64 exec, exec, s[34:35]
.LBB213_225:                            ;   in Loop: Header=BB213_9 Depth=1
	s_or_b64 exec, exec, s[16:17]
	global_load_ushort v4, v[13:14], off offset:2056
	v_mov_b32_e32 v27, 0
	v_mov_b32_e32 v25, 0
	;; [unrolled: 1-line block ×4, first 2 shown]
	s_waitcnt vmcnt(0)
	v_and_b32_e32 v3, 0xffff, v4
	v_cmp_ne_u16_sdwa s[4:5], v4, v61 src0_sel:BYTE_0 src1_sel:DWORD
	s_and_saveexec_b64 s[16:17], s[4:5]
	s_cbranch_execz .LBB213_231
; %bb.226:                              ;   in Loop: Header=BB213_9 Depth=1
	v_bfrev_b32_e32 v25, 1
	v_mov_b32_e32 v26, 0
	v_cmp_ne_u16_sdwa s[4:5], v3, s42 src0_sel:BYTE_0 src1_sel:DWORD
	s_and_saveexec_b64 s[34:35], s[4:5]
	s_cbranch_execz .LBB213_230
; %bb.227:                              ;   in Loop: Header=BB213_9 Depth=1
	v_and_b32_e32 v4, 0x7f, v3
	v_mov_b32_e32 v25, 0x7f800001
	v_mov_b32_e32 v26, 0
	v_cmp_ne_u32_e64 s[4:5], s43, v4
	s_and_saveexec_b64 s[36:37], s[4:5]
	s_cbranch_execz .LBB213_229
; %bb.228:                              ;   in Loop: Header=BB213_9 Depth=1
	v_and_b32_e32 v6, 7, v3
	v_lshrrev_b32_e32 v7, 3, v4
	v_cmp_gt_u32_e64 s[4:5], 8, v4
	v_ffbh_u32_e32 v4, v6
	v_min_u32_e32 v8, 32, v4
	v_subrev_u32_e32 v4, 28, v8
	v_lshlrev_b64 v[4:5], v4, v[3:4]
	v_sub_u32_e32 v5, 29, v8
	v_and_b32_e32 v4, 7, v4
	v_cndmask_b32_e64 v5, v7, v5, s[4:5]
	v_cndmask_b32_e64 v4, v6, v4, s[4:5]
	v_bfrev_b32_e32 v0, 60
	v_lshlrev_b32_e32 v4, 20, v4
	v_and_b32_sdwa v6, sext(v3), s44 dst_sel:DWORD dst_unused:UNUSED_PAD src0_sel:BYTE_0 src1_sel:DWORD
	v_lshl_add_u32 v5, v5, 23, v0
	v_or3_b32 v25, v6, v5, v4
	v_mov_b32_e32 v26, v61
.LBB213_229:                            ;   in Loop: Header=BB213_9 Depth=1
	s_or_b64 exec, exec, s[36:37]
.LBB213_230:                            ;   in Loop: Header=BB213_9 Depth=1
	s_or_b64 exec, exec, s[34:35]
.LBB213_231:                            ;   in Loop: Header=BB213_9 Depth=1
	s_or_b64 exec, exec, s[16:17]
	v_cmp_ne_u16_sdwa s[4:5], v3, v61 src0_sel:BYTE_1 src1_sel:DWORD
	s_and_saveexec_b64 s[16:17], s[4:5]
	s_cbranch_execz .LBB213_237
; %bb.232:                              ;   in Loop: Header=BB213_9 Depth=1
	v_mov_b32_e32 v27, v61
	v_cmp_ne_u16_sdwa s[4:5], v3, s42 src0_sel:BYTE_1 src1_sel:DWORD
	v_mov_b32_e32 v28, v62
	s_and_saveexec_b64 s[34:35], s[4:5]
	s_cbranch_execz .LBB213_236
; %bb.233:                              ;   in Loop: Header=BB213_9 Depth=1
	buffer_load_dword v27, off, s[48:51], 0 ; 4-byte Folded Reload
	buffer_load_dword v28, off, s[48:51], 0 offset:4 ; 4-byte Folded Reload
	v_and_b32_sdwa v4, v3, s43 dst_sel:DWORD dst_unused:UNUSED_PAD src0_sel:BYTE_1 src1_sel:DWORD
	v_cmp_ne_u32_e64 s[4:5], s43, v4
	s_waitcnt vmcnt(1)
	v_mov_b32_e32 v27, v61
	s_waitcnt vmcnt(0)
	v_mov_b32_e32 v1, v28
	buffer_store_dword v0, off, s[48:51], 0 ; 4-byte Folded Spill
	s_nop 0
	buffer_store_dword v1, off, s[48:51], 0 offset:4 ; 4-byte Folded Spill
	s_and_saveexec_b64 s[36:37], s[4:5]
	s_cbranch_execz .LBB213_235
; %bb.234:                              ;   in Loop: Header=BB213_9 Depth=1
	v_mov_b32_e32 v0, 7
	v_and_b32_sdwa v5, v3, v0 dst_sel:DWORD dst_unused:UNUSED_PAD src0_sel:BYTE_1 src1_sel:DWORD
	v_lshrrev_b32_e32 v8, 3, v4
	v_cmp_gt_u32_e64 s[4:5], 8, v4
	v_ffbh_u32_e32 v4, v5
	v_min_u32_e32 v4, 32, v4
	v_mov_b32_e32 v6, v61
	v_subrev_u32_e32 v7, 28, v4
	v_lshlrev_b64 v[6:7], v7, v[5:6]
	v_sub_u32_e32 v4, 29, v4
	v_and_b32_e32 v6, 7, v6
	v_cndmask_b32_e64 v4, v8, v4, s[4:5]
	v_bfrev_b32_e32 v0, 60
	v_cndmask_b32_e64 v5, v5, v6, s[4:5]
	v_lshlrev_b32_e32 v3, 16, v3
	v_lshl_add_u32 v4, v4, 23, v0
	v_and_or_b32 v3, v3, s44, v4
	v_lshlrev_b32_e32 v4, 20, v5
	v_or_b32_e32 v28, v3, v4
	v_mov_b32_e32 v27, v61
.LBB213_235:                            ;   in Loop: Header=BB213_9 Depth=1
	s_or_b64 exec, exec, s[36:37]
.LBB213_236:                            ;   in Loop: Header=BB213_9 Depth=1
	s_or_b64 exec, exec, s[34:35]
.LBB213_237:                            ;   in Loop: Header=BB213_9 Depth=1
	s_or_b64 exec, exec, s[16:17]
	global_load_ushort v4, v[13:14], off offset:2060
	v_mov_b32_e32 v31, 0
	v_mov_b32_e32 v29, 0
	;; [unrolled: 1-line block ×4, first 2 shown]
	s_waitcnt vmcnt(0)
	v_and_b32_e32 v3, 0xffff, v4
	v_cmp_ne_u16_sdwa s[4:5], v4, v61 src0_sel:BYTE_0 src1_sel:DWORD
	s_and_saveexec_b64 s[16:17], s[4:5]
	s_cbranch_execz .LBB213_243
; %bb.238:                              ;   in Loop: Header=BB213_9 Depth=1
	v_bfrev_b32_e32 v29, 1
	v_mov_b32_e32 v30, 0
	v_cmp_ne_u16_sdwa s[4:5], v3, s42 src0_sel:BYTE_0 src1_sel:DWORD
	s_and_saveexec_b64 s[34:35], s[4:5]
	s_cbranch_execz .LBB213_242
; %bb.239:                              ;   in Loop: Header=BB213_9 Depth=1
	v_and_b32_e32 v4, 0x7f, v3
	v_mov_b32_e32 v29, 0x7f800001
	v_mov_b32_e32 v30, 0
	v_cmp_ne_u32_e64 s[4:5], s43, v4
	s_and_saveexec_b64 s[36:37], s[4:5]
	s_cbranch_execz .LBB213_241
; %bb.240:                              ;   in Loop: Header=BB213_9 Depth=1
	v_and_b32_e32 v6, 7, v3
	v_lshrrev_b32_e32 v7, 3, v4
	v_cmp_gt_u32_e64 s[4:5], 8, v4
	v_ffbh_u32_e32 v4, v6
	v_min_u32_e32 v8, 32, v4
	v_subrev_u32_e32 v4, 28, v8
	v_lshlrev_b64 v[4:5], v4, v[3:4]
	v_sub_u32_e32 v5, 29, v8
	v_and_b32_e32 v4, 7, v4
	v_cndmask_b32_e64 v5, v7, v5, s[4:5]
	v_cndmask_b32_e64 v4, v6, v4, s[4:5]
	v_bfrev_b32_e32 v0, 60
	v_lshlrev_b32_e32 v4, 20, v4
	v_and_b32_sdwa v6, sext(v3), s44 dst_sel:DWORD dst_unused:UNUSED_PAD src0_sel:BYTE_0 src1_sel:DWORD
	v_lshl_add_u32 v5, v5, 23, v0
	v_or3_b32 v29, v6, v5, v4
	v_mov_b32_e32 v30, v61
.LBB213_241:                            ;   in Loop: Header=BB213_9 Depth=1
	s_or_b64 exec, exec, s[36:37]
.LBB213_242:                            ;   in Loop: Header=BB213_9 Depth=1
	s_or_b64 exec, exec, s[34:35]
.LBB213_243:                            ;   in Loop: Header=BB213_9 Depth=1
	s_or_b64 exec, exec, s[16:17]
	v_cmp_ne_u16_sdwa s[4:5], v3, v61 src0_sel:BYTE_1 src1_sel:DWORD
	s_and_saveexec_b64 s[16:17], s[4:5]
	s_cbranch_execz .LBB213_249
; %bb.244:                              ;   in Loop: Header=BB213_9 Depth=1
	v_mov_b32_e32 v31, v61
	v_cmp_ne_u16_sdwa s[4:5], v3, s42 src0_sel:BYTE_1 src1_sel:DWORD
	v_mov_b32_e32 v32, v62
	s_and_saveexec_b64 s[34:35], s[4:5]
	s_cbranch_execz .LBB213_248
; %bb.245:                              ;   in Loop: Header=BB213_9 Depth=1
	buffer_load_dword v31, off, s[48:51], 0 ; 4-byte Folded Reload
	buffer_load_dword v32, off, s[48:51], 0 offset:4 ; 4-byte Folded Reload
	v_and_b32_sdwa v4, v3, s43 dst_sel:DWORD dst_unused:UNUSED_PAD src0_sel:BYTE_1 src1_sel:DWORD
	v_cmp_ne_u32_e64 s[4:5], s43, v4
	s_waitcnt vmcnt(1)
	v_mov_b32_e32 v31, v61
	s_waitcnt vmcnt(0)
	v_mov_b32_e32 v1, v32
	buffer_store_dword v0, off, s[48:51], 0 ; 4-byte Folded Spill
	s_nop 0
	buffer_store_dword v1, off, s[48:51], 0 offset:4 ; 4-byte Folded Spill
	s_and_saveexec_b64 s[36:37], s[4:5]
	s_cbranch_execz .LBB213_247
; %bb.246:                              ;   in Loop: Header=BB213_9 Depth=1
	v_mov_b32_e32 v0, 7
	v_and_b32_sdwa v5, v3, v0 dst_sel:DWORD dst_unused:UNUSED_PAD src0_sel:BYTE_1 src1_sel:DWORD
	v_lshrrev_b32_e32 v8, 3, v4
	v_cmp_gt_u32_e64 s[4:5], 8, v4
	v_ffbh_u32_e32 v4, v5
	v_min_u32_e32 v4, 32, v4
	v_mov_b32_e32 v6, v61
	v_subrev_u32_e32 v7, 28, v4
	v_lshlrev_b64 v[6:7], v7, v[5:6]
	v_sub_u32_e32 v4, 29, v4
	v_and_b32_e32 v6, 7, v6
	v_cndmask_b32_e64 v4, v8, v4, s[4:5]
	v_bfrev_b32_e32 v0, 60
	v_cndmask_b32_e64 v5, v5, v6, s[4:5]
	v_lshlrev_b32_e32 v3, 16, v3
	v_lshl_add_u32 v4, v4, 23, v0
	v_and_or_b32 v3, v3, s44, v4
	v_lshlrev_b32_e32 v4, 20, v5
	v_or_b32_e32 v32, v3, v4
	v_mov_b32_e32 v31, v61
.LBB213_247:                            ;   in Loop: Header=BB213_9 Depth=1
	s_or_b64 exec, exec, s[36:37]
.LBB213_248:                            ;   in Loop: Header=BB213_9 Depth=1
	s_or_b64 exec, exec, s[34:35]
.LBB213_249:                            ;   in Loop: Header=BB213_9 Depth=1
	s_or_b64 exec, exec, s[16:17]
	global_load_ushort v4, v[13:14], off offset:2560
	v_mov_b32_e32 v35, 0
	v_mov_b32_e32 v33, 0
	;; [unrolled: 1-line block ×4, first 2 shown]
	s_waitcnt vmcnt(0)
	v_and_b32_e32 v3, 0xffff, v4
	v_cmp_ne_u16_sdwa s[4:5], v4, v61 src0_sel:BYTE_0 src1_sel:DWORD
	s_and_saveexec_b64 s[16:17], s[4:5]
	s_cbranch_execz .LBB213_255
; %bb.250:                              ;   in Loop: Header=BB213_9 Depth=1
	v_bfrev_b32_e32 v33, 1
	v_mov_b32_e32 v34, 0
	v_cmp_ne_u16_sdwa s[4:5], v3, s42 src0_sel:BYTE_0 src1_sel:DWORD
	s_and_saveexec_b64 s[34:35], s[4:5]
	s_cbranch_execz .LBB213_254
; %bb.251:                              ;   in Loop: Header=BB213_9 Depth=1
	v_and_b32_e32 v4, 0x7f, v3
	v_mov_b32_e32 v33, 0x7f800001
	v_mov_b32_e32 v34, 0
	v_cmp_ne_u32_e64 s[4:5], s43, v4
	s_and_saveexec_b64 s[36:37], s[4:5]
	s_cbranch_execz .LBB213_253
; %bb.252:                              ;   in Loop: Header=BB213_9 Depth=1
	v_and_b32_e32 v6, 7, v3
	v_lshrrev_b32_e32 v7, 3, v4
	v_cmp_gt_u32_e64 s[4:5], 8, v4
	v_ffbh_u32_e32 v4, v6
	v_min_u32_e32 v8, 32, v4
	v_subrev_u32_e32 v4, 28, v8
	v_lshlrev_b64 v[4:5], v4, v[3:4]
	v_sub_u32_e32 v5, 29, v8
	v_and_b32_e32 v4, 7, v4
	v_cndmask_b32_e64 v5, v7, v5, s[4:5]
	v_cndmask_b32_e64 v4, v6, v4, s[4:5]
	v_bfrev_b32_e32 v0, 60
	v_lshlrev_b32_e32 v4, 20, v4
	v_and_b32_sdwa v6, sext(v3), s44 dst_sel:DWORD dst_unused:UNUSED_PAD src0_sel:BYTE_0 src1_sel:DWORD
	v_lshl_add_u32 v5, v5, 23, v0
	v_or3_b32 v33, v6, v5, v4
	v_mov_b32_e32 v34, v61
.LBB213_253:                            ;   in Loop: Header=BB213_9 Depth=1
	s_or_b64 exec, exec, s[36:37]
.LBB213_254:                            ;   in Loop: Header=BB213_9 Depth=1
	s_or_b64 exec, exec, s[34:35]
.LBB213_255:                            ;   in Loop: Header=BB213_9 Depth=1
	s_or_b64 exec, exec, s[16:17]
	v_cmp_ne_u16_sdwa s[4:5], v3, v61 src0_sel:BYTE_1 src1_sel:DWORD
	s_and_saveexec_b64 s[16:17], s[4:5]
	s_cbranch_execz .LBB213_261
; %bb.256:                              ;   in Loop: Header=BB213_9 Depth=1
	v_mov_b32_e32 v35, v61
	v_cmp_ne_u16_sdwa s[4:5], v3, s42 src0_sel:BYTE_1 src1_sel:DWORD
	v_mov_b32_e32 v36, v62
	s_and_saveexec_b64 s[34:35], s[4:5]
	s_cbranch_execz .LBB213_260
; %bb.257:                              ;   in Loop: Header=BB213_9 Depth=1
	buffer_load_dword v35, off, s[48:51], 0 ; 4-byte Folded Reload
	buffer_load_dword v36, off, s[48:51], 0 offset:4 ; 4-byte Folded Reload
	v_and_b32_sdwa v4, v3, s43 dst_sel:DWORD dst_unused:UNUSED_PAD src0_sel:BYTE_1 src1_sel:DWORD
	v_cmp_ne_u32_e64 s[4:5], s43, v4
	s_waitcnt vmcnt(1)
	v_mov_b32_e32 v35, v61
	s_waitcnt vmcnt(0)
	v_mov_b32_e32 v1, v36
	buffer_store_dword v0, off, s[48:51], 0 ; 4-byte Folded Spill
	s_nop 0
	buffer_store_dword v1, off, s[48:51], 0 offset:4 ; 4-byte Folded Spill
	s_and_saveexec_b64 s[36:37], s[4:5]
	s_cbranch_execz .LBB213_259
; %bb.258:                              ;   in Loop: Header=BB213_9 Depth=1
	v_mov_b32_e32 v0, 7
	v_and_b32_sdwa v5, v3, v0 dst_sel:DWORD dst_unused:UNUSED_PAD src0_sel:BYTE_1 src1_sel:DWORD
	v_lshrrev_b32_e32 v8, 3, v4
	v_cmp_gt_u32_e64 s[4:5], 8, v4
	v_ffbh_u32_e32 v4, v5
	v_min_u32_e32 v4, 32, v4
	v_mov_b32_e32 v6, v61
	v_subrev_u32_e32 v7, 28, v4
	v_lshlrev_b64 v[6:7], v7, v[5:6]
	v_sub_u32_e32 v4, 29, v4
	v_and_b32_e32 v6, 7, v6
	v_cndmask_b32_e64 v4, v8, v4, s[4:5]
	v_bfrev_b32_e32 v0, 60
	v_cndmask_b32_e64 v5, v5, v6, s[4:5]
	v_lshlrev_b32_e32 v3, 16, v3
	v_lshl_add_u32 v4, v4, 23, v0
	v_and_or_b32 v3, v3, s44, v4
	v_lshlrev_b32_e32 v4, 20, v5
	v_or_b32_e32 v36, v3, v4
	v_mov_b32_e32 v35, v61
.LBB213_259:                            ;   in Loop: Header=BB213_9 Depth=1
	s_or_b64 exec, exec, s[36:37]
.LBB213_260:                            ;   in Loop: Header=BB213_9 Depth=1
	s_or_b64 exec, exec, s[34:35]
.LBB213_261:                            ;   in Loop: Header=BB213_9 Depth=1
	s_or_b64 exec, exec, s[16:17]
	global_load_ushort v4, v[13:14], off offset:2564
	v_mov_b32_e32 v39, 0
	v_mov_b32_e32 v37, 0
	;; [unrolled: 1-line block ×4, first 2 shown]
	s_waitcnt vmcnt(0)
	v_and_b32_e32 v3, 0xffff, v4
	v_cmp_ne_u16_sdwa s[4:5], v4, v61 src0_sel:BYTE_0 src1_sel:DWORD
	s_and_saveexec_b64 s[16:17], s[4:5]
	s_cbranch_execz .LBB213_267
; %bb.262:                              ;   in Loop: Header=BB213_9 Depth=1
	v_bfrev_b32_e32 v37, 1
	v_mov_b32_e32 v38, 0
	v_cmp_ne_u16_sdwa s[4:5], v3, s42 src0_sel:BYTE_0 src1_sel:DWORD
	s_and_saveexec_b64 s[34:35], s[4:5]
	s_cbranch_execz .LBB213_266
; %bb.263:                              ;   in Loop: Header=BB213_9 Depth=1
	v_and_b32_e32 v4, 0x7f, v3
	v_mov_b32_e32 v37, 0x7f800001
	v_mov_b32_e32 v38, 0
	v_cmp_ne_u32_e64 s[4:5], s43, v4
	s_and_saveexec_b64 s[36:37], s[4:5]
	s_cbranch_execz .LBB213_265
; %bb.264:                              ;   in Loop: Header=BB213_9 Depth=1
	v_and_b32_e32 v6, 7, v3
	v_lshrrev_b32_e32 v7, 3, v4
	v_cmp_gt_u32_e64 s[4:5], 8, v4
	v_ffbh_u32_e32 v4, v6
	v_min_u32_e32 v8, 32, v4
	v_subrev_u32_e32 v4, 28, v8
	v_lshlrev_b64 v[4:5], v4, v[3:4]
	v_sub_u32_e32 v5, 29, v8
	v_and_b32_e32 v4, 7, v4
	v_cndmask_b32_e64 v5, v7, v5, s[4:5]
	v_cndmask_b32_e64 v4, v6, v4, s[4:5]
	v_bfrev_b32_e32 v0, 60
	v_lshlrev_b32_e32 v4, 20, v4
	v_and_b32_sdwa v6, sext(v3), s44 dst_sel:DWORD dst_unused:UNUSED_PAD src0_sel:BYTE_0 src1_sel:DWORD
	v_lshl_add_u32 v5, v5, 23, v0
	v_or3_b32 v37, v6, v5, v4
	v_mov_b32_e32 v38, v61
.LBB213_265:                            ;   in Loop: Header=BB213_9 Depth=1
	s_or_b64 exec, exec, s[36:37]
.LBB213_266:                            ;   in Loop: Header=BB213_9 Depth=1
	s_or_b64 exec, exec, s[34:35]
.LBB213_267:                            ;   in Loop: Header=BB213_9 Depth=1
	s_or_b64 exec, exec, s[16:17]
	v_cmp_ne_u16_sdwa s[4:5], v3, v61 src0_sel:BYTE_1 src1_sel:DWORD
	s_and_saveexec_b64 s[16:17], s[4:5]
	s_cbranch_execz .LBB213_273
; %bb.268:                              ;   in Loop: Header=BB213_9 Depth=1
	v_mov_b32_e32 v39, v61
	v_cmp_ne_u16_sdwa s[4:5], v3, s42 src0_sel:BYTE_1 src1_sel:DWORD
	v_mov_b32_e32 v40, v62
	s_and_saveexec_b64 s[34:35], s[4:5]
	s_cbranch_execz .LBB213_272
; %bb.269:                              ;   in Loop: Header=BB213_9 Depth=1
	buffer_load_dword v39, off, s[48:51], 0 ; 4-byte Folded Reload
	buffer_load_dword v40, off, s[48:51], 0 offset:4 ; 4-byte Folded Reload
	v_and_b32_sdwa v4, v3, s43 dst_sel:DWORD dst_unused:UNUSED_PAD src0_sel:BYTE_1 src1_sel:DWORD
	v_cmp_ne_u32_e64 s[4:5], s43, v4
	s_waitcnt vmcnt(1)
	v_mov_b32_e32 v39, v61
	s_waitcnt vmcnt(0)
	v_mov_b32_e32 v1, v40
	buffer_store_dword v0, off, s[48:51], 0 ; 4-byte Folded Spill
	s_nop 0
	buffer_store_dword v1, off, s[48:51], 0 offset:4 ; 4-byte Folded Spill
	s_and_saveexec_b64 s[36:37], s[4:5]
	s_cbranch_execz .LBB213_271
; %bb.270:                              ;   in Loop: Header=BB213_9 Depth=1
	v_mov_b32_e32 v0, 7
	v_and_b32_sdwa v5, v3, v0 dst_sel:DWORD dst_unused:UNUSED_PAD src0_sel:BYTE_1 src1_sel:DWORD
	v_lshrrev_b32_e32 v8, 3, v4
	v_cmp_gt_u32_e64 s[4:5], 8, v4
	v_ffbh_u32_e32 v4, v5
	v_min_u32_e32 v4, 32, v4
	v_mov_b32_e32 v6, v61
	v_subrev_u32_e32 v7, 28, v4
	v_lshlrev_b64 v[6:7], v7, v[5:6]
	v_sub_u32_e32 v4, 29, v4
	v_and_b32_e32 v6, 7, v6
	v_cndmask_b32_e64 v4, v8, v4, s[4:5]
	v_bfrev_b32_e32 v0, 60
	v_cndmask_b32_e64 v5, v5, v6, s[4:5]
	v_lshlrev_b32_e32 v3, 16, v3
	v_lshl_add_u32 v4, v4, 23, v0
	v_and_or_b32 v3, v3, s44, v4
	v_lshlrev_b32_e32 v4, 20, v5
	v_or_b32_e32 v40, v3, v4
	v_mov_b32_e32 v39, v61
.LBB213_271:                            ;   in Loop: Header=BB213_9 Depth=1
	s_or_b64 exec, exec, s[36:37]
.LBB213_272:                            ;   in Loop: Header=BB213_9 Depth=1
	s_or_b64 exec, exec, s[34:35]
.LBB213_273:                            ;   in Loop: Header=BB213_9 Depth=1
	s_or_b64 exec, exec, s[16:17]
	global_load_ushort v4, v[13:14], off offset:2568
	v_mov_b32_e32 v43, 0
	v_mov_b32_e32 v41, 0
	;; [unrolled: 1-line block ×4, first 2 shown]
	s_waitcnt vmcnt(0)
	v_and_b32_e32 v3, 0xffff, v4
	v_cmp_ne_u16_sdwa s[4:5], v4, v61 src0_sel:BYTE_0 src1_sel:DWORD
	s_and_saveexec_b64 s[16:17], s[4:5]
	s_cbranch_execz .LBB213_279
; %bb.274:                              ;   in Loop: Header=BB213_9 Depth=1
	v_bfrev_b32_e32 v41, 1
	v_mov_b32_e32 v42, 0
	v_cmp_ne_u16_sdwa s[4:5], v3, s42 src0_sel:BYTE_0 src1_sel:DWORD
	s_and_saveexec_b64 s[34:35], s[4:5]
	s_cbranch_execz .LBB213_278
; %bb.275:                              ;   in Loop: Header=BB213_9 Depth=1
	v_and_b32_e32 v4, 0x7f, v3
	v_mov_b32_e32 v41, 0x7f800001
	v_mov_b32_e32 v42, 0
	v_cmp_ne_u32_e64 s[4:5], s43, v4
	s_and_saveexec_b64 s[36:37], s[4:5]
	s_cbranch_execz .LBB213_277
; %bb.276:                              ;   in Loop: Header=BB213_9 Depth=1
	v_and_b32_e32 v6, 7, v3
	v_lshrrev_b32_e32 v7, 3, v4
	v_cmp_gt_u32_e64 s[4:5], 8, v4
	v_ffbh_u32_e32 v4, v6
	v_min_u32_e32 v8, 32, v4
	v_subrev_u32_e32 v4, 28, v8
	v_lshlrev_b64 v[4:5], v4, v[3:4]
	v_sub_u32_e32 v5, 29, v8
	v_and_b32_e32 v4, 7, v4
	v_cndmask_b32_e64 v5, v7, v5, s[4:5]
	v_cndmask_b32_e64 v4, v6, v4, s[4:5]
	v_bfrev_b32_e32 v0, 60
	v_lshlrev_b32_e32 v4, 20, v4
	v_and_b32_sdwa v6, sext(v3), s44 dst_sel:DWORD dst_unused:UNUSED_PAD src0_sel:BYTE_0 src1_sel:DWORD
	v_lshl_add_u32 v5, v5, 23, v0
	v_or3_b32 v41, v6, v5, v4
	v_mov_b32_e32 v42, v61
.LBB213_277:                            ;   in Loop: Header=BB213_9 Depth=1
	s_or_b64 exec, exec, s[36:37]
.LBB213_278:                            ;   in Loop: Header=BB213_9 Depth=1
	s_or_b64 exec, exec, s[34:35]
.LBB213_279:                            ;   in Loop: Header=BB213_9 Depth=1
	s_or_b64 exec, exec, s[16:17]
	v_cmp_ne_u16_sdwa s[4:5], v3, v61 src0_sel:BYTE_1 src1_sel:DWORD
	s_and_saveexec_b64 s[16:17], s[4:5]
	s_cbranch_execz .LBB213_285
; %bb.280:                              ;   in Loop: Header=BB213_9 Depth=1
	v_mov_b32_e32 v43, v61
	v_cmp_ne_u16_sdwa s[4:5], v3, s42 src0_sel:BYTE_1 src1_sel:DWORD
	v_mov_b32_e32 v44, v62
	s_and_saveexec_b64 s[34:35], s[4:5]
	s_cbranch_execz .LBB213_284
; %bb.281:                              ;   in Loop: Header=BB213_9 Depth=1
	buffer_load_dword v43, off, s[48:51], 0 ; 4-byte Folded Reload
	buffer_load_dword v44, off, s[48:51], 0 offset:4 ; 4-byte Folded Reload
	v_and_b32_sdwa v4, v3, s43 dst_sel:DWORD dst_unused:UNUSED_PAD src0_sel:BYTE_1 src1_sel:DWORD
	v_cmp_ne_u32_e64 s[4:5], s43, v4
	s_waitcnt vmcnt(1)
	v_mov_b32_e32 v43, v61
	s_waitcnt vmcnt(0)
	v_mov_b32_e32 v1, v44
	buffer_store_dword v0, off, s[48:51], 0 ; 4-byte Folded Spill
	s_nop 0
	buffer_store_dword v1, off, s[48:51], 0 offset:4 ; 4-byte Folded Spill
	s_and_saveexec_b64 s[36:37], s[4:5]
	s_cbranch_execz .LBB213_283
; %bb.282:                              ;   in Loop: Header=BB213_9 Depth=1
	v_mov_b32_e32 v0, 7
	v_and_b32_sdwa v5, v3, v0 dst_sel:DWORD dst_unused:UNUSED_PAD src0_sel:BYTE_1 src1_sel:DWORD
	v_lshrrev_b32_e32 v8, 3, v4
	v_cmp_gt_u32_e64 s[4:5], 8, v4
	v_ffbh_u32_e32 v4, v5
	v_min_u32_e32 v4, 32, v4
	v_mov_b32_e32 v6, v61
	v_subrev_u32_e32 v7, 28, v4
	v_lshlrev_b64 v[6:7], v7, v[5:6]
	v_sub_u32_e32 v4, 29, v4
	v_and_b32_e32 v6, 7, v6
	v_cndmask_b32_e64 v4, v8, v4, s[4:5]
	v_bfrev_b32_e32 v0, 60
	v_cndmask_b32_e64 v5, v5, v6, s[4:5]
	v_lshlrev_b32_e32 v3, 16, v3
	v_lshl_add_u32 v4, v4, 23, v0
	v_and_or_b32 v3, v3, s44, v4
	v_lshlrev_b32_e32 v4, 20, v5
	v_or_b32_e32 v44, v3, v4
	v_mov_b32_e32 v43, v61
.LBB213_283:                            ;   in Loop: Header=BB213_9 Depth=1
	s_or_b64 exec, exec, s[36:37]
.LBB213_284:                            ;   in Loop: Header=BB213_9 Depth=1
	s_or_b64 exec, exec, s[34:35]
.LBB213_285:                            ;   in Loop: Header=BB213_9 Depth=1
	s_or_b64 exec, exec, s[16:17]
	global_load_ushort v4, v[13:14], off offset:2572
	v_mov_b32_e32 v47, 0
	v_mov_b32_e32 v23, 0
	;; [unrolled: 1-line block ×4, first 2 shown]
	s_waitcnt vmcnt(0)
	v_and_b32_e32 v3, 0xffff, v4
	v_cmp_ne_u16_sdwa s[4:5], v4, v61 src0_sel:BYTE_0 src1_sel:DWORD
	s_and_saveexec_b64 s[16:17], s[4:5]
	s_cbranch_execz .LBB213_291
; %bb.286:                              ;   in Loop: Header=BB213_9 Depth=1
	v_bfrev_b32_e32 v23, 1
	v_mov_b32_e32 v24, 0
	v_cmp_ne_u16_sdwa s[4:5], v3, s42 src0_sel:BYTE_0 src1_sel:DWORD
	s_and_saveexec_b64 s[34:35], s[4:5]
	s_cbranch_execz .LBB213_290
; %bb.287:                              ;   in Loop: Header=BB213_9 Depth=1
	v_and_b32_e32 v4, 0x7f, v3
	v_mov_b32_e32 v23, 0x7f800001
	v_mov_b32_e32 v24, 0
	v_cmp_ne_u32_e64 s[4:5], s43, v4
	s_and_saveexec_b64 s[36:37], s[4:5]
	s_cbranch_execz .LBB213_289
; %bb.288:                              ;   in Loop: Header=BB213_9 Depth=1
	v_and_b32_e32 v6, 7, v3
	v_lshrrev_b32_e32 v7, 3, v4
	v_cmp_gt_u32_e64 s[4:5], 8, v4
	v_ffbh_u32_e32 v4, v6
	v_min_u32_e32 v8, 32, v4
	v_subrev_u32_e32 v4, 28, v8
	v_lshlrev_b64 v[4:5], v4, v[3:4]
	v_sub_u32_e32 v5, 29, v8
	v_and_b32_e32 v4, 7, v4
	v_cndmask_b32_e64 v5, v7, v5, s[4:5]
	v_cndmask_b32_e64 v4, v6, v4, s[4:5]
	v_bfrev_b32_e32 v0, 60
	v_lshlrev_b32_e32 v4, 20, v4
	v_and_b32_sdwa v6, sext(v3), s44 dst_sel:DWORD dst_unused:UNUSED_PAD src0_sel:BYTE_0 src1_sel:DWORD
	v_lshl_add_u32 v5, v5, 23, v0
	v_or3_b32 v23, v6, v5, v4
	v_mov_b32_e32 v24, v61
.LBB213_289:                            ;   in Loop: Header=BB213_9 Depth=1
	s_or_b64 exec, exec, s[36:37]
.LBB213_290:                            ;   in Loop: Header=BB213_9 Depth=1
	s_or_b64 exec, exec, s[34:35]
.LBB213_291:                            ;   in Loop: Header=BB213_9 Depth=1
	s_or_b64 exec, exec, s[16:17]
	v_cmp_ne_u16_sdwa s[4:5], v3, v61 src0_sel:BYTE_1 src1_sel:DWORD
	s_and_saveexec_b64 s[16:17], s[4:5]
	s_cbranch_execz .LBB213_297
; %bb.292:                              ;   in Loop: Header=BB213_9 Depth=1
	v_mov_b32_e32 v47, v61
	v_cmp_ne_u16_sdwa s[4:5], v3, s42 src0_sel:BYTE_1 src1_sel:DWORD
	v_mov_b32_e32 v48, v62
	s_and_saveexec_b64 s[34:35], s[4:5]
	s_cbranch_execz .LBB213_296
; %bb.293:                              ;   in Loop: Header=BB213_9 Depth=1
	buffer_load_dword v47, off, s[48:51], 0 ; 4-byte Folded Reload
	buffer_load_dword v48, off, s[48:51], 0 offset:4 ; 4-byte Folded Reload
	v_and_b32_sdwa v4, v3, s43 dst_sel:DWORD dst_unused:UNUSED_PAD src0_sel:BYTE_1 src1_sel:DWORD
	v_cmp_ne_u32_e64 s[4:5], s43, v4
	s_waitcnt vmcnt(1)
	v_mov_b32_e32 v47, v61
	s_waitcnt vmcnt(0)
	v_mov_b32_e32 v1, v48
	buffer_store_dword v0, off, s[48:51], 0 ; 4-byte Folded Spill
	s_nop 0
	buffer_store_dword v1, off, s[48:51], 0 offset:4 ; 4-byte Folded Spill
	s_and_saveexec_b64 s[36:37], s[4:5]
	s_cbranch_execz .LBB213_295
; %bb.294:                              ;   in Loop: Header=BB213_9 Depth=1
	v_mov_b32_e32 v0, 7
	v_and_b32_sdwa v5, v3, v0 dst_sel:DWORD dst_unused:UNUSED_PAD src0_sel:BYTE_1 src1_sel:DWORD
	v_lshrrev_b32_e32 v8, 3, v4
	v_cmp_gt_u32_e64 s[4:5], 8, v4
	v_ffbh_u32_e32 v4, v5
	v_min_u32_e32 v4, 32, v4
	v_mov_b32_e32 v6, v61
	v_subrev_u32_e32 v7, 28, v4
	v_lshlrev_b64 v[6:7], v7, v[5:6]
	v_sub_u32_e32 v4, 29, v4
	v_and_b32_e32 v6, 7, v6
	v_cndmask_b32_e64 v4, v8, v4, s[4:5]
	v_bfrev_b32_e32 v0, 60
	v_cndmask_b32_e64 v5, v5, v6, s[4:5]
	v_lshlrev_b32_e32 v3, 16, v3
	v_lshl_add_u32 v4, v4, 23, v0
	v_and_or_b32 v3, v3, s44, v4
	v_lshlrev_b32_e32 v4, 20, v5
	v_or_b32_e32 v48, v3, v4
	v_mov_b32_e32 v47, v61
.LBB213_295:                            ;   in Loop: Header=BB213_9 Depth=1
	s_or_b64 exec, exec, s[36:37]
.LBB213_296:                            ;   in Loop: Header=BB213_9 Depth=1
	s_or_b64 exec, exec, s[34:35]
.LBB213_297:                            ;   in Loop: Header=BB213_9 Depth=1
	s_or_b64 exec, exec, s[16:17]
	global_load_ushort v3, v[13:14], off offset:3072
	v_mov_b32_e32 v21, 0
	v_mov_b32_e32 v49, 0
	;; [unrolled: 1-line block ×4, first 2 shown]
	s_waitcnt vmcnt(0)
	v_and_b32_e32 v5, 0xffff, v3
	v_cmp_ne_u16_sdwa s[4:5], v3, v61 src0_sel:BYTE_0 src1_sel:DWORD
	s_and_saveexec_b64 s[16:17], s[4:5]
	s_cbranch_execz .LBB213_303
; %bb.298:                              ;   in Loop: Header=BB213_9 Depth=1
	v_bfrev_b32_e32 v49, 1
	v_mov_b32_e32 v50, 0
	v_cmp_ne_u16_sdwa s[4:5], v5, s42 src0_sel:BYTE_0 src1_sel:DWORD
	s_and_saveexec_b64 s[34:35], s[4:5]
	s_cbranch_execz .LBB213_302
; %bb.299:                              ;   in Loop: Header=BB213_9 Depth=1
	v_and_b32_e32 v6, 0x7f, v5
	v_mov_b32_e32 v49, 0x7f800001
	v_mov_b32_e32 v50, 0
	v_cmp_ne_u32_e64 s[4:5], s43, v6
	s_and_saveexec_b64 s[36:37], s[4:5]
	s_cbranch_execz .LBB213_301
; %bb.300:                              ;   in Loop: Header=BB213_9 Depth=1
	v_and_b32_e32 v8, 7, v5
	v_lshrrev_b32_e32 v9, 3, v6
	v_cmp_gt_u32_e64 s[4:5], 8, v6
	v_ffbh_u32_e32 v6, v8
	v_min_u32_e32 v10, 32, v6
	v_subrev_u32_e32 v6, 28, v10
	v_lshlrev_b64 v[6:7], v6, v[5:6]
	v_sub_u32_e32 v7, 29, v10
	v_and_b32_e32 v6, 7, v6
	v_cndmask_b32_e64 v7, v9, v7, s[4:5]
	v_cndmask_b32_e64 v6, v8, v6, s[4:5]
	v_bfrev_b32_e32 v0, 60
	v_lshlrev_b32_e32 v6, 20, v6
	v_and_b32_sdwa v8, sext(v5), s44 dst_sel:DWORD dst_unused:UNUSED_PAD src0_sel:BYTE_0 src1_sel:DWORD
	v_lshl_add_u32 v7, v7, 23, v0
	v_or3_b32 v49, v8, v7, v6
	v_mov_b32_e32 v50, v61
.LBB213_301:                            ;   in Loop: Header=BB213_9 Depth=1
	s_or_b64 exec, exec, s[36:37]
.LBB213_302:                            ;   in Loop: Header=BB213_9 Depth=1
	s_or_b64 exec, exec, s[34:35]
.LBB213_303:                            ;   in Loop: Header=BB213_9 Depth=1
	s_or_b64 exec, exec, s[16:17]
	v_cmp_ne_u16_sdwa s[4:5], v5, v61 src0_sel:BYTE_1 src1_sel:DWORD
	s_and_saveexec_b64 s[16:17], s[4:5]
	s_cbranch_execz .LBB213_309
; %bb.304:                              ;   in Loop: Header=BB213_9 Depth=1
	v_mov_b32_e32 v21, v61
	v_cmp_ne_u16_sdwa s[4:5], v5, s42 src0_sel:BYTE_1 src1_sel:DWORD
	v_mov_b32_e32 v22, v62
	s_and_saveexec_b64 s[34:35], s[4:5]
	s_cbranch_execz .LBB213_308
; %bb.305:                              ;   in Loop: Header=BB213_9 Depth=1
	buffer_load_dword v21, off, s[48:51], 0 ; 4-byte Folded Reload
	buffer_load_dword v22, off, s[48:51], 0 offset:4 ; 4-byte Folded Reload
	v_and_b32_sdwa v6, v5, s43 dst_sel:DWORD dst_unused:UNUSED_PAD src0_sel:BYTE_1 src1_sel:DWORD
	v_cmp_ne_u32_e64 s[4:5], s43, v6
	s_waitcnt vmcnt(1)
	v_mov_b32_e32 v21, v61
	s_waitcnt vmcnt(0)
	v_mov_b32_e32 v1, v22
	buffer_store_dword v0, off, s[48:51], 0 ; 4-byte Folded Spill
	s_nop 0
	buffer_store_dword v1, off, s[48:51], 0 offset:4 ; 4-byte Folded Spill
	s_and_saveexec_b64 s[36:37], s[4:5]
	s_cbranch_execz .LBB213_307
; %bb.306:                              ;   in Loop: Header=BB213_9 Depth=1
	v_mov_b32_e32 v0, 7
	v_and_b32_sdwa v3, v5, v0 dst_sel:DWORD dst_unused:UNUSED_PAD src0_sel:BYTE_1 src1_sel:DWORD
	v_lshrrev_b32_e32 v8, 3, v6
	v_cmp_gt_u32_e64 s[4:5], 8, v6
	v_ffbh_u32_e32 v6, v3
	v_min_u32_e32 v9, 32, v6
	v_mov_b32_e32 v4, v61
	v_subrev_u32_e32 v6, 28, v9
	v_lshlrev_b64 v[6:7], v6, v[3:4]
	v_sub_u32_e32 v4, 29, v9
	v_and_b32_e32 v6, 7, v6
	v_cndmask_b32_e64 v4, v8, v4, s[4:5]
	v_bfrev_b32_e32 v0, 60
	v_cndmask_b32_e64 v3, v3, v6, s[4:5]
	v_lshlrev_b32_e32 v5, 16, v5
	v_lshl_add_u32 v4, v4, 23, v0
	v_and_or_b32 v4, v5, s44, v4
	v_lshlrev_b32_e32 v3, 20, v3
	v_or_b32_e32 v22, v4, v3
	v_mov_b32_e32 v21, v61
.LBB213_307:                            ;   in Loop: Header=BB213_9 Depth=1
	s_or_b64 exec, exec, s[36:37]
.LBB213_308:                            ;   in Loop: Header=BB213_9 Depth=1
	s_or_b64 exec, exec, s[34:35]
.LBB213_309:                            ;   in Loop: Header=BB213_9 Depth=1
	s_or_b64 exec, exec, s[16:17]
	global_load_ushort v6, v[13:14], off offset:3076
	v_mov_b32_e32 v53, 0
	v_mov_b32_e32 v51, 0
	;; [unrolled: 1-line block ×4, first 2 shown]
	s_waitcnt vmcnt(0)
	v_and_b32_e32 v5, 0xffff, v6
	v_cmp_ne_u16_sdwa s[4:5], v6, v61 src0_sel:BYTE_0 src1_sel:DWORD
	s_and_saveexec_b64 s[16:17], s[4:5]
	s_cbranch_execz .LBB213_315
; %bb.310:                              ;   in Loop: Header=BB213_9 Depth=1
	v_bfrev_b32_e32 v51, 1
	v_mov_b32_e32 v52, 0
	v_cmp_ne_u16_sdwa s[4:5], v5, s42 src0_sel:BYTE_0 src1_sel:DWORD
	s_and_saveexec_b64 s[34:35], s[4:5]
	s_cbranch_execz .LBB213_314
; %bb.311:                              ;   in Loop: Header=BB213_9 Depth=1
	v_and_b32_e32 v6, 0x7f, v5
	v_mov_b32_e32 v51, 0x7f800001
	v_mov_b32_e32 v52, 0
	v_cmp_ne_u32_e64 s[4:5], s43, v6
	s_and_saveexec_b64 s[36:37], s[4:5]
	s_cbranch_execz .LBB213_313
; %bb.312:                              ;   in Loop: Header=BB213_9 Depth=1
	v_and_b32_e32 v8, 7, v5
	v_lshrrev_b32_e32 v9, 3, v6
	v_cmp_gt_u32_e64 s[4:5], 8, v6
	v_ffbh_u32_e32 v6, v8
	v_min_u32_e32 v10, 32, v6
	v_subrev_u32_e32 v6, 28, v10
	v_lshlrev_b64 v[6:7], v6, v[5:6]
	v_sub_u32_e32 v7, 29, v10
	v_and_b32_e32 v6, 7, v6
	v_cndmask_b32_e64 v7, v9, v7, s[4:5]
	v_cndmask_b32_e64 v6, v8, v6, s[4:5]
	v_bfrev_b32_e32 v0, 60
	v_lshlrev_b32_e32 v6, 20, v6
	v_and_b32_sdwa v8, sext(v5), s44 dst_sel:DWORD dst_unused:UNUSED_PAD src0_sel:BYTE_0 src1_sel:DWORD
	v_lshl_add_u32 v7, v7, 23, v0
	v_or3_b32 v51, v8, v7, v6
	v_mov_b32_e32 v52, v61
.LBB213_313:                            ;   in Loop: Header=BB213_9 Depth=1
	s_or_b64 exec, exec, s[36:37]
.LBB213_314:                            ;   in Loop: Header=BB213_9 Depth=1
	s_or_b64 exec, exec, s[34:35]
.LBB213_315:                            ;   in Loop: Header=BB213_9 Depth=1
	s_or_b64 exec, exec, s[16:17]
	v_cmp_ne_u16_sdwa s[4:5], v5, v61 src0_sel:BYTE_1 src1_sel:DWORD
	s_and_saveexec_b64 s[16:17], s[4:5]
	s_cbranch_execz .LBB213_321
; %bb.316:                              ;   in Loop: Header=BB213_9 Depth=1
	v_mov_b32_e32 v53, v61
	v_cmp_ne_u16_sdwa s[4:5], v5, s42 src0_sel:BYTE_1 src1_sel:DWORD
	v_mov_b32_e32 v54, v62
	s_and_saveexec_b64 s[34:35], s[4:5]
	s_cbranch_execz .LBB213_320
; %bb.317:                              ;   in Loop: Header=BB213_9 Depth=1
	buffer_load_dword v53, off, s[48:51], 0 ; 4-byte Folded Reload
	buffer_load_dword v54, off, s[48:51], 0 offset:4 ; 4-byte Folded Reload
	v_and_b32_sdwa v6, v5, s43 dst_sel:DWORD dst_unused:UNUSED_PAD src0_sel:BYTE_1 src1_sel:DWORD
	v_cmp_ne_u32_e64 s[4:5], s43, v6
	s_waitcnt vmcnt(1)
	v_mov_b32_e32 v53, v61
	s_waitcnt vmcnt(0)
	v_mov_b32_e32 v1, v54
	buffer_store_dword v0, off, s[48:51], 0 ; 4-byte Folded Spill
	s_nop 0
	buffer_store_dword v1, off, s[48:51], 0 offset:4 ; 4-byte Folded Spill
	s_and_saveexec_b64 s[36:37], s[4:5]
	s_cbranch_execz .LBB213_319
; %bb.318:                              ;   in Loop: Header=BB213_9 Depth=1
	v_mov_b32_e32 v0, 7
	v_and_b32_sdwa v7, v5, v0 dst_sel:DWORD dst_unused:UNUSED_PAD src0_sel:BYTE_1 src1_sel:DWORD
	v_lshrrev_b32_e32 v10, 3, v6
	v_cmp_gt_u32_e64 s[4:5], 8, v6
	v_ffbh_u32_e32 v6, v7
	v_min_u32_e32 v6, 32, v6
	v_mov_b32_e32 v8, v61
	v_subrev_u32_e32 v9, 28, v6
	v_lshlrev_b64 v[8:9], v9, v[7:8]
	v_sub_u32_e32 v6, 29, v6
	v_and_b32_e32 v8, 7, v8
	v_cndmask_b32_e64 v6, v10, v6, s[4:5]
	v_bfrev_b32_e32 v0, 60
	v_cndmask_b32_e64 v7, v7, v8, s[4:5]
	v_lshlrev_b32_e32 v5, 16, v5
	v_lshl_add_u32 v6, v6, 23, v0
	v_and_or_b32 v5, v5, s44, v6
	v_lshlrev_b32_e32 v6, 20, v7
	v_or_b32_e32 v54, v5, v6
	v_mov_b32_e32 v53, v61
.LBB213_319:                            ;   in Loop: Header=BB213_9 Depth=1
	s_or_b64 exec, exec, s[36:37]
.LBB213_320:                            ;   in Loop: Header=BB213_9 Depth=1
	s_or_b64 exec, exec, s[34:35]
.LBB213_321:                            ;   in Loop: Header=BB213_9 Depth=1
	s_or_b64 exec, exec, s[16:17]
	global_load_ushort v6, v[13:14], off offset:3080
	v_mov_b32_e32 v57, 0
	v_mov_b32_e32 v55, 0
	;; [unrolled: 1-line block ×4, first 2 shown]
	s_waitcnt vmcnt(0)
	v_and_b32_e32 v5, 0xffff, v6
	v_cmp_ne_u16_sdwa s[4:5], v6, v61 src0_sel:BYTE_0 src1_sel:DWORD
	s_and_saveexec_b64 s[16:17], s[4:5]
	s_cbranch_execz .LBB213_327
; %bb.322:                              ;   in Loop: Header=BB213_9 Depth=1
	v_bfrev_b32_e32 v55, 1
	v_mov_b32_e32 v56, 0
	v_cmp_ne_u16_sdwa s[4:5], v5, s42 src0_sel:BYTE_0 src1_sel:DWORD
	s_and_saveexec_b64 s[34:35], s[4:5]
	s_cbranch_execz .LBB213_326
; %bb.323:                              ;   in Loop: Header=BB213_9 Depth=1
	v_and_b32_e32 v6, 0x7f, v5
	v_mov_b32_e32 v55, 0x7f800001
	v_mov_b32_e32 v56, 0
	v_cmp_ne_u32_e64 s[4:5], s43, v6
	s_and_saveexec_b64 s[36:37], s[4:5]
	s_cbranch_execz .LBB213_325
; %bb.324:                              ;   in Loop: Header=BB213_9 Depth=1
	v_and_b32_e32 v8, 7, v5
	v_lshrrev_b32_e32 v9, 3, v6
	v_cmp_gt_u32_e64 s[4:5], 8, v6
	v_ffbh_u32_e32 v6, v8
	v_min_u32_e32 v10, 32, v6
	v_subrev_u32_e32 v6, 28, v10
	v_lshlrev_b64 v[6:7], v6, v[5:6]
	v_sub_u32_e32 v7, 29, v10
	v_and_b32_e32 v6, 7, v6
	v_cndmask_b32_e64 v7, v9, v7, s[4:5]
	v_cndmask_b32_e64 v6, v8, v6, s[4:5]
	v_bfrev_b32_e32 v0, 60
	v_lshlrev_b32_e32 v6, 20, v6
	v_and_b32_sdwa v8, sext(v5), s44 dst_sel:DWORD dst_unused:UNUSED_PAD src0_sel:BYTE_0 src1_sel:DWORD
	v_lshl_add_u32 v7, v7, 23, v0
	v_or3_b32 v55, v8, v7, v6
	v_mov_b32_e32 v56, v61
.LBB213_325:                            ;   in Loop: Header=BB213_9 Depth=1
	s_or_b64 exec, exec, s[36:37]
.LBB213_326:                            ;   in Loop: Header=BB213_9 Depth=1
	s_or_b64 exec, exec, s[34:35]
.LBB213_327:                            ;   in Loop: Header=BB213_9 Depth=1
	s_or_b64 exec, exec, s[16:17]
	v_cmp_ne_u16_sdwa s[4:5], v5, v61 src0_sel:BYTE_1 src1_sel:DWORD
	s_and_saveexec_b64 s[16:17], s[4:5]
	s_cbranch_execz .LBB213_333
; %bb.328:                              ;   in Loop: Header=BB213_9 Depth=1
	v_mov_b32_e32 v57, v61
	v_cmp_ne_u16_sdwa s[4:5], v5, s42 src0_sel:BYTE_1 src1_sel:DWORD
	v_mov_b32_e32 v58, v62
	s_and_saveexec_b64 s[34:35], s[4:5]
	s_cbranch_execz .LBB213_332
; %bb.329:                              ;   in Loop: Header=BB213_9 Depth=1
	buffer_load_dword v57, off, s[48:51], 0 ; 4-byte Folded Reload
	buffer_load_dword v58, off, s[48:51], 0 offset:4 ; 4-byte Folded Reload
	v_and_b32_sdwa v6, v5, s43 dst_sel:DWORD dst_unused:UNUSED_PAD src0_sel:BYTE_1 src1_sel:DWORD
	v_cmp_ne_u32_e64 s[4:5], s43, v6
	s_waitcnt vmcnt(1)
	v_mov_b32_e32 v57, v61
	s_waitcnt vmcnt(0)
	v_mov_b32_e32 v1, v58
	buffer_store_dword v0, off, s[48:51], 0 ; 4-byte Folded Spill
	s_nop 0
	buffer_store_dword v1, off, s[48:51], 0 offset:4 ; 4-byte Folded Spill
	s_and_saveexec_b64 s[36:37], s[4:5]
	s_cbranch_execz .LBB213_331
; %bb.330:                              ;   in Loop: Header=BB213_9 Depth=1
	v_mov_b32_e32 v0, 7
	v_and_b32_sdwa v7, v5, v0 dst_sel:DWORD dst_unused:UNUSED_PAD src0_sel:BYTE_1 src1_sel:DWORD
	v_lshrrev_b32_e32 v10, 3, v6
	v_cmp_gt_u32_e64 s[4:5], 8, v6
	v_ffbh_u32_e32 v6, v7
	v_min_u32_e32 v6, 32, v6
	v_mov_b32_e32 v8, v61
	v_subrev_u32_e32 v9, 28, v6
	v_lshlrev_b64 v[8:9], v9, v[7:8]
	v_sub_u32_e32 v6, 29, v6
	v_and_b32_e32 v8, 7, v8
	v_cndmask_b32_e64 v6, v10, v6, s[4:5]
	v_bfrev_b32_e32 v0, 60
	v_cndmask_b32_e64 v7, v7, v8, s[4:5]
	v_lshlrev_b32_e32 v5, 16, v5
	v_lshl_add_u32 v6, v6, 23, v0
	v_and_or_b32 v5, v5, s44, v6
	v_lshlrev_b32_e32 v6, 20, v7
	v_or_b32_e32 v58, v5, v6
	v_mov_b32_e32 v57, v61
.LBB213_331:                            ;   in Loop: Header=BB213_9 Depth=1
	s_or_b64 exec, exec, s[36:37]
.LBB213_332:                            ;   in Loop: Header=BB213_9 Depth=1
	s_or_b64 exec, exec, s[34:35]
.LBB213_333:                            ;   in Loop: Header=BB213_9 Depth=1
	s_or_b64 exec, exec, s[16:17]
	global_load_ushort v5, v[13:14], off offset:3084
	v_mov_b32_e32 v59, 0
	v_mov_b32_e32 v60, 0
	s_waitcnt vmcnt(0)
	v_and_b32_e32 v7, 0xffff, v5
	v_cmp_ne_u16_sdwa s[4:5], v5, v61 src0_sel:BYTE_0 src1_sel:DWORD
	v_mov_b32_e32 v5, 0
	v_mov_b32_e32 v6, 0
	s_and_saveexec_b64 s[16:17], s[4:5]
	s_cbranch_execz .LBB213_339
; %bb.334:                              ;   in Loop: Header=BB213_9 Depth=1
	v_bfrev_b32_e32 v59, 1
	v_mov_b32_e32 v60, 0
	v_cmp_ne_u16_sdwa s[4:5], v7, s42 src0_sel:BYTE_0 src1_sel:DWORD
	s_and_saveexec_b64 s[34:35], s[4:5]
	s_cbranch_execz .LBB213_338
; %bb.335:                              ;   in Loop: Header=BB213_9 Depth=1
	v_and_b32_e32 v8, 0x7f, v7
	v_mov_b32_e32 v59, 0x7f800001
	v_mov_b32_e32 v60, 0
	v_cmp_ne_u32_e64 s[4:5], s43, v8
	s_and_saveexec_b64 s[36:37], s[4:5]
	s_cbranch_execz .LBB213_337
; %bb.336:                              ;   in Loop: Header=BB213_9 Depth=1
	v_and_b32_e32 v10, 7, v7
	v_lshrrev_b32_e32 v11, 3, v8
	v_cmp_gt_u32_e64 s[4:5], 8, v8
	v_ffbh_u32_e32 v8, v10
	v_min_u32_e32 v15, 32, v8
	v_subrev_u32_e32 v8, 28, v15
	v_lshlrev_b64 v[8:9], v8, v[7:8]
	v_sub_u32_e32 v9, 29, v15
	v_and_b32_e32 v8, 7, v8
	v_cndmask_b32_e64 v9, v11, v9, s[4:5]
	v_cndmask_b32_e64 v8, v10, v8, s[4:5]
	v_bfrev_b32_e32 v0, 60
	v_lshlrev_b32_e32 v8, 20, v8
	v_and_b32_sdwa v10, sext(v7), s44 dst_sel:DWORD dst_unused:UNUSED_PAD src0_sel:BYTE_0 src1_sel:DWORD
	v_lshl_add_u32 v9, v9, 23, v0
	v_or3_b32 v59, v10, v9, v8
	v_mov_b32_e32 v60, v61
.LBB213_337:                            ;   in Loop: Header=BB213_9 Depth=1
	s_or_b64 exec, exec, s[36:37]
.LBB213_338:                            ;   in Loop: Header=BB213_9 Depth=1
	s_or_b64 exec, exec, s[34:35]
.LBB213_339:                            ;   in Loop: Header=BB213_9 Depth=1
	s_or_b64 exec, exec, s[16:17]
	v_cmp_ne_u16_sdwa s[4:5], v7, v61 src0_sel:BYTE_1 src1_sel:DWORD
	s_and_saveexec_b64 s[16:17], s[4:5]
	s_cbranch_execz .LBB213_345
; %bb.340:                              ;   in Loop: Header=BB213_9 Depth=1
	v_mov_b32_e32 v5, v61
	v_cmp_ne_u16_sdwa s[4:5], v7, s42 src0_sel:BYTE_1 src1_sel:DWORD
	v_mov_b32_e32 v6, v62
	s_and_saveexec_b64 s[34:35], s[4:5]
	s_cbranch_execz .LBB213_344
; %bb.341:                              ;   in Loop: Header=BB213_9 Depth=1
	buffer_load_dword v5, off, s[48:51], 0  ; 4-byte Folded Reload
	buffer_load_dword v6, off, s[48:51], 0 offset:4 ; 4-byte Folded Reload
	v_and_b32_sdwa v8, v7, s43 dst_sel:DWORD dst_unused:UNUSED_PAD src0_sel:BYTE_1 src1_sel:DWORD
	v_cmp_ne_u32_e64 s[4:5], s43, v8
	s_waitcnt vmcnt(1)
	v_mov_b32_e32 v5, v61
	s_waitcnt vmcnt(0)
	v_mov_b32_e32 v1, v6
	buffer_store_dword v0, off, s[48:51], 0 ; 4-byte Folded Spill
	s_nop 0
	buffer_store_dword v1, off, s[48:51], 0 offset:4 ; 4-byte Folded Spill
	s_and_saveexec_b64 s[36:37], s[4:5]
	s_cbranch_execz .LBB213_343
; %bb.342:                              ;   in Loop: Header=BB213_9 Depth=1
	v_mov_b32_e32 v0, 7
	v_and_b32_sdwa v5, v7, v0 dst_sel:DWORD dst_unused:UNUSED_PAD src0_sel:BYTE_1 src1_sel:DWORD
	v_lshrrev_b32_e32 v10, 3, v8
	v_cmp_gt_u32_e64 s[4:5], 8, v8
	v_ffbh_u32_e32 v8, v5
	v_min_u32_e32 v11, 32, v8
	v_mov_b32_e32 v6, v61
	v_subrev_u32_e32 v8, 28, v11
	v_lshlrev_b64 v[8:9], v8, v[5:6]
	v_sub_u32_e32 v6, 29, v11
	v_and_b32_e32 v8, 7, v8
	v_cndmask_b32_e64 v6, v10, v6, s[4:5]
	v_bfrev_b32_e32 v0, 60
	v_cndmask_b32_e64 v5, v5, v8, s[4:5]
	v_lshlrev_b32_e32 v7, 16, v7
	v_lshl_add_u32 v6, v6, 23, v0
	v_and_or_b32 v6, v7, s44, v6
	v_lshlrev_b32_e32 v5, 20, v5
	v_or_b32_e32 v6, v6, v5
	v_mov_b32_e32 v5, v61
.LBB213_343:                            ;   in Loop: Header=BB213_9 Depth=1
	s_or_b64 exec, exec, s[36:37]
.LBB213_344:                            ;   in Loop: Header=BB213_9 Depth=1
	s_or_b64 exec, exec, s[34:35]
.LBB213_345:                            ;   in Loop: Header=BB213_9 Depth=1
	s_or_b64 exec, exec, s[16:17]
	global_load_ushort v7, v[13:14], off offset:3584
	v_mov_b32_e32 v9, 0
	v_mov_b32_e32 v10, 0
	s_waitcnt vmcnt(0)
	v_and_b32_e32 v15, 0xffff, v7
	v_cmp_ne_u16_sdwa s[4:5], v7, v61 src0_sel:BYTE_0 src1_sel:DWORD
	v_mov_b32_e32 v7, 0
	v_mov_b32_e32 v8, 0
	s_and_saveexec_b64 s[16:17], s[4:5]
	s_cbranch_execz .LBB213_351
; %bb.346:                              ;   in Loop: Header=BB213_9 Depth=1
	v_bfrev_b32_e32 v7, 1
	v_mov_b32_e32 v8, 0
	v_cmp_ne_u16_sdwa s[4:5], v15, s42 src0_sel:BYTE_0 src1_sel:DWORD
	s_and_saveexec_b64 s[34:35], s[4:5]
	s_cbranch_execz .LBB213_350
; %bb.347:                              ;   in Loop: Header=BB213_9 Depth=1
	v_and_b32_e32 v11, 0x7f, v15
	v_mov_b32_e32 v7, 0x7f800001
	v_mov_b32_e32 v8, 0
	v_cmp_ne_u32_e64 s[4:5], s43, v11
	s_and_saveexec_b64 s[36:37], s[4:5]
	s_cbranch_execz .LBB213_349
; %bb.348:                              ;   in Loop: Header=BB213_9 Depth=1
	v_and_b32_e32 v16, 7, v15
	v_ffbh_u32_e32 v7, v16
	v_lshrrev_b32_e32 v17, 3, v11
	v_cmp_gt_u32_e64 s[4:5], 8, v11
	v_min_u32_e32 v11, 32, v7
	v_subrev_u32_e32 v7, 28, v11
	v_lshlrev_b64 v[7:8], v7, v[15:16]
	v_sub_u32_e32 v8, 29, v11
	v_and_b32_e32 v7, 7, v7
	v_cndmask_b32_e64 v8, v17, v8, s[4:5]
	v_cndmask_b32_e64 v7, v16, v7, s[4:5]
	v_bfrev_b32_e32 v0, 60
	v_lshlrev_b32_e32 v7, 20, v7
	v_and_b32_sdwa v11, sext(v15), s44 dst_sel:DWORD dst_unused:UNUSED_PAD src0_sel:BYTE_0 src1_sel:DWORD
	v_lshl_add_u32 v8, v8, 23, v0
	v_or3_b32 v7, v11, v8, v7
	v_mov_b32_e32 v8, v61
.LBB213_349:                            ;   in Loop: Header=BB213_9 Depth=1
	s_or_b64 exec, exec, s[36:37]
.LBB213_350:                            ;   in Loop: Header=BB213_9 Depth=1
	s_or_b64 exec, exec, s[34:35]
.LBB213_351:                            ;   in Loop: Header=BB213_9 Depth=1
	s_or_b64 exec, exec, s[16:17]
	v_cmp_ne_u16_sdwa s[4:5], v15, v61 src0_sel:BYTE_1 src1_sel:DWORD
	s_and_saveexec_b64 s[16:17], s[4:5]
	s_cbranch_execz .LBB213_357
; %bb.352:                              ;   in Loop: Header=BB213_9 Depth=1
	v_mov_b32_e32 v9, v61
	v_cmp_ne_u16_sdwa s[4:5], v15, s42 src0_sel:BYTE_1 src1_sel:DWORD
	v_mov_b32_e32 v10, v62
	s_and_saveexec_b64 s[34:35], s[4:5]
	s_cbranch_execz .LBB213_356
; %bb.353:                              ;   in Loop: Header=BB213_9 Depth=1
	buffer_load_dword v9, off, s[48:51], 0  ; 4-byte Folded Reload
	buffer_load_dword v10, off, s[48:51], 0 offset:4 ; 4-byte Folded Reload
	v_and_b32_sdwa v16, v15, s43 dst_sel:DWORD dst_unused:UNUSED_PAD src0_sel:BYTE_1 src1_sel:DWORD
	v_cmp_ne_u32_e64 s[4:5], s43, v16
	s_waitcnt vmcnt(1)
	v_mov_b32_e32 v9, v61
	s_waitcnt vmcnt(0)
	v_mov_b32_e32 v1, v10
	buffer_store_dword v0, off, s[48:51], 0 ; 4-byte Folded Spill
	s_nop 0
	buffer_store_dword v1, off, s[48:51], 0 offset:4 ; 4-byte Folded Spill
	s_and_saveexec_b64 s[36:37], s[4:5]
	s_cbranch_execz .LBB213_355
; %bb.354:                              ;   in Loop: Header=BB213_9 Depth=1
	v_mov_b32_e32 v0, 7
	v_and_b32_sdwa v9, v15, v0 dst_sel:DWORD dst_unused:UNUSED_PAD src0_sel:BYTE_1 src1_sel:DWORD
	v_ffbh_u32_e32 v11, v9
	v_lshrrev_b32_e32 v17, 3, v16
	v_cmp_gt_u32_e64 s[4:5], 8, v16
	v_min_u32_e32 v16, 32, v11
	v_mov_b32_e32 v10, v61
	v_subrev_u32_e32 v11, 28, v16
	v_lshlrev_b64 v[10:11], v11, v[9:10]
	v_sub_u32_e32 v11, 29, v16
	v_and_b32_e32 v10, 7, v10
	v_cndmask_b32_e64 v11, v17, v11, s[4:5]
	v_bfrev_b32_e32 v0, 60
	v_cndmask_b32_e64 v9, v9, v10, s[4:5]
	v_lshlrev_b32_e32 v10, 16, v15
	v_lshl_add_u32 v11, v11, 23, v0
	v_and_or_b32 v10, v10, s44, v11
	v_lshlrev_b32_e32 v9, 20, v9
	v_or_b32_e32 v10, v10, v9
	v_mov_b32_e32 v9, v61
.LBB213_355:                            ;   in Loop: Header=BB213_9 Depth=1
	s_or_b64 exec, exec, s[36:37]
.LBB213_356:                            ;   in Loop: Header=BB213_9 Depth=1
	s_or_b64 exec, exec, s[34:35]
.LBB213_357:                            ;   in Loop: Header=BB213_9 Depth=1
	s_or_b64 exec, exec, s[16:17]
	global_load_ushort v11, v[13:14], off offset:3588
	v_mov_b32_e32 v15, 0
	v_mov_b32_e32 v45, 0
	;; [unrolled: 1-line block ×4, first 2 shown]
	s_waitcnt vmcnt(0)
	v_and_b32_e32 v17, 0xffff, v11
	v_cmp_ne_u16_sdwa s[4:5], v11, v61 src0_sel:BYTE_0 src1_sel:DWORD
	s_and_saveexec_b64 s[16:17], s[4:5]
	s_cbranch_execz .LBB213_363
; %bb.358:                              ;   in Loop: Header=BB213_9 Depth=1
	v_bfrev_b32_e32 v45, 1
	v_mov_b32_e32 v46, 0
	v_cmp_ne_u16_sdwa s[4:5], v17, s42 src0_sel:BYTE_0 src1_sel:DWORD
	s_and_saveexec_b64 s[34:35], s[4:5]
	s_cbranch_execz .LBB213_362
; %bb.359:                              ;   in Loop: Header=BB213_9 Depth=1
	v_and_b32_e32 v11, 0x7f, v17
	v_mov_b32_e32 v45, 0x7f800001
	v_mov_b32_e32 v46, 0
	v_cmp_ne_u32_e64 s[4:5], s43, v11
	s_and_saveexec_b64 s[36:37], s[4:5]
	s_cbranch_execz .LBB213_361
; %bb.360:                              ;   in Loop: Header=BB213_9 Depth=1
	v_mov_b32_e32 v0, v18
	v_mov_b32_e32 v1, v19
	v_and_b32_e32 v18, 7, v17
	v_lshrrev_b32_e32 v19, 3, v11
	v_cmp_gt_u32_e64 s[4:5], 8, v11
	v_ffbh_u32_e32 v11, v18
	v_min_u32_e32 v11, 32, v11
	v_subrev_u32_e32 v13, 28, v11
	v_lshlrev_b64 v[13:14], v13, v[17:18]
	v_sub_u32_e32 v11, 29, v11
	v_and_b32_e32 v13, 7, v13
	v_cndmask_b32_e64 v11, v19, v11, s[4:5]
	v_cndmask_b32_e64 v13, v18, v13, s[4:5]
	v_mov_b32_e32 v19, v1
	v_mov_b32_e32 v18, v0
	v_bfrev_b32_e32 v0, 60
	v_lshlrev_b32_e32 v13, 20, v13
	v_and_b32_sdwa v14, sext(v17), s44 dst_sel:DWORD dst_unused:UNUSED_PAD src0_sel:BYTE_0 src1_sel:DWORD
	v_lshl_add_u32 v11, v11, 23, v0
	v_or3_b32 v45, v14, v11, v13
	v_mov_b32_e32 v46, v61
.LBB213_361:                            ;   in Loop: Header=BB213_9 Depth=1
	s_or_b64 exec, exec, s[36:37]
.LBB213_362:                            ;   in Loop: Header=BB213_9 Depth=1
	s_or_b64 exec, exec, s[34:35]
.LBB213_363:                            ;   in Loop: Header=BB213_9 Depth=1
	s_or_b64 exec, exec, s[16:17]
	v_mov_b32_e32 v2, v18
	v_mov_b32_e32 v3, v19
	v_cmp_ne_u16_sdwa s[4:5], v17, v61 src0_sel:BYTE_1 src1_sel:DWORD
	s_and_saveexec_b64 s[16:17], s[4:5]
	s_cbranch_execz .LBB213_369
; %bb.364:                              ;   in Loop: Header=BB213_9 Depth=1
	v_mov_b32_e32 v15, v61
	v_cmp_ne_u16_sdwa s[4:5], v17, s42 src0_sel:BYTE_1 src1_sel:DWORD
	v_mov_b32_e32 v16, v62
	s_and_saveexec_b64 s[34:35], s[4:5]
	s_cbranch_execz .LBB213_368
; %bb.365:                              ;   in Loop: Header=BB213_9 Depth=1
	buffer_load_dword v15, off, s[48:51], 0 ; 4-byte Folded Reload
	buffer_load_dword v16, off, s[48:51], 0 offset:4 ; 4-byte Folded Reload
	v_and_b32_sdwa v18, v17, s43 dst_sel:DWORD dst_unused:UNUSED_PAD src0_sel:BYTE_1 src1_sel:DWORD
	v_cmp_ne_u32_e64 s[4:5], s43, v18
	s_waitcnt vmcnt(1)
	v_mov_b32_e32 v15, v61
	s_waitcnt vmcnt(0)
	v_mov_b32_e32 v1, v16
	buffer_store_dword v0, off, s[48:51], 0 ; 4-byte Folded Spill
	s_nop 0
	buffer_store_dword v1, off, s[48:51], 0 offset:4 ; 4-byte Folded Spill
	s_and_saveexec_b64 s[36:37], s[4:5]
	s_cbranch_execz .LBB213_367
; %bb.366:                              ;   in Loop: Header=BB213_9 Depth=1
	v_mov_b32_e32 v0, 7
	v_and_b32_sdwa v15, v17, v0 dst_sel:DWORD dst_unused:UNUSED_PAD src0_sel:BYTE_1 src1_sel:DWORD
	v_lshrrev_b32_e32 v11, 3, v18
	v_cmp_gt_u32_e64 s[4:5], 8, v18
	v_ffbh_u32_e32 v18, v15
	v_min_u32_e32 v20, 32, v18
	v_mov_b32_e32 v16, v61
	v_subrev_u32_e32 v18, 28, v20
	v_lshlrev_b64 v[18:19], v18, v[15:16]
	v_sub_u32_e32 v16, 29, v20
	v_and_b32_e32 v18, 7, v18
	v_cndmask_b32_e64 v11, v11, v16, s[4:5]
	v_bfrev_b32_e32 v0, 60
	v_cndmask_b32_e64 v15, v15, v18, s[4:5]
	v_lshlrev_b32_e32 v16, 16, v17
	v_lshl_add_u32 v11, v11, 23, v0
	v_and_or_b32 v11, v16, s44, v11
	v_lshlrev_b32_e32 v15, 20, v15
	v_or_b32_e32 v16, v11, v15
	v_mov_b32_e32 v15, v61
.LBB213_367:                            ;   in Loop: Header=BB213_9 Depth=1
	s_or_b64 exec, exec, s[36:37]
.LBB213_368:                            ;   in Loop: Header=BB213_9 Depth=1
	s_or_b64 exec, exec, s[34:35]
.LBB213_369:                            ;   in Loop: Header=BB213_9 Depth=1
	s_or_b64 exec, exec, s[16:17]
	v_or_b32_e32 v0, v10, v8
	buffer_store_dword v0, off, s[48:51], 0 offset:312 ; 4-byte Folded Spill
	v_or_b32_e32 v0, v9, v7
	buffer_store_dword v0, off, s[48:51], 0 offset:316 ; 4-byte Folded Spill
	v_or_b32_e32 v0, v6, v60
	buffer_store_dword v0, off, s[48:51], 0 offset:320 ; 4-byte Folded Spill
	v_or_b32_e32 v0, v58, v56
	buffer_store_dword v0, off, s[48:51], 0 offset:324 ; 4-byte Folded Spill
	v_or_b32_e32 v0, v57, v55
	buffer_store_dword v0, off, s[48:51], 0 offset:328 ; 4-byte Folded Spill
	v_or_b32_e32 v0, v54, v52
	buffer_store_dword v0, off, s[48:51], 0 offset:332 ; 4-byte Folded Spill
	buffer_load_dword v0, off, s[48:51], 0 offset:276 ; 4-byte Folded Reload
	s_nop 0
	buffer_load_dword v1, off, s[48:51], 0 offset:280 ; 4-byte Folded Reload
	buffer_load_dword v9, off, s[48:51], 0 offset:284 ; 4-byte Folded Reload
	;; [unrolled: 1-line block ×3, first 2 shown]
	v_or_b32_e32 v7, v22, v50
	v_or_b32_e32 v6, v21, v49
	v_or_b32_e32 v8, v5, v59
	v_or_b32_e32 v5, v48, v24
	v_or_b32_e32 v11, v47, v23
	v_or_b32_e32 v26, v28, v26
	v_or_b32_e32 v25, v27, v25
	v_or_b32_e32 v30, v32, v30
	v_or_b32_e32 v29, v31, v29
	v_or_b32_e32 v33, v35, v33
	v_or_b32_e32 v37, v39, v37
	v_or_b32_e32 v34, v36, v34
	v_or_b32_e32 v41, v43, v41
	v_or_b32_e32 v38, v40, v38
	v_or_b32_e32 v42, v44, v42
	v_or_b32_e32 v17, v53, v51
	v_or_b32_e32 v14, v16, v46
	v_or_b32_e32 v15, v15, v45
	s_waitcnt vmcnt(1)
	v_or_b32_e32 v21, v9, v0
	s_waitcnt vmcnt(0)
	v_or_b32_e32 v22, v10, v1
	buffer_load_dword v0, off, s[48:51], 0 offset:260 ; 4-byte Folded Reload
	buffer_load_dword v1, off, s[48:51], 0 offset:264 ; 4-byte Folded Reload
	buffer_load_dword v9, off, s[48:51], 0 offset:268 ; 4-byte Folded Reload
	buffer_load_dword v10, off, s[48:51], 0 offset:272 ; 4-byte Folded Reload
	s_waitcnt vmcnt(1)
	v_or_b32_e32 v19, v9, v0
	s_waitcnt vmcnt(0)
	v_or_b32_e32 v20, v10, v1
	buffer_load_dword v0, off, s[48:51], 0 offset:244 ; 4-byte Folded Reload
	buffer_load_dword v1, off, s[48:51], 0 offset:248 ; 4-byte Folded Reload
	buffer_load_dword v9, off, s[48:51], 0 offset:252 ; 4-byte Folded Reload
	buffer_load_dword v10, off, s[48:51], 0 offset:256 ; 4-byte Folded Reload
	;; [unrolled: 8-line block ×16, first 2 shown]
	s_waitcnt vmcnt(0)
	v_or_b32_e32 v63, v13, v1
	v_or_b32_e32 v1, v12, v0
	buffer_load_dword v12, off, s[48:51], 0 offset:12 ; 4-byte Folded Reload
	buffer_load_dword v13, off, s[48:51], 0 offset:16 ; 4-byte Folded Reload
	s_waitcnt vmcnt(1)
	v_or_b32_e32 v12, v12, v2
	s_waitcnt vmcnt(0)
	v_or_b32_e32 v10, v13, v3
	v_mul_f32_e32 v13, s39, v1
	buffer_load_dword v0, off, s[48:51], 0 offset:340 ; 4-byte Folded Reload
	buffer_load_dword v1, off, s[48:51], 0 offset:344 ; 4-byte Folded Reload
	;; [unrolled: 1-line block ×4, first 2 shown]
	v_mul_f32_e32 v12, s39, v12
	s_waitcnt vmcnt(1)
	v_mul_f32_e32 v13, v2, v13
	v_fmac_f32_e32 v13, v0, v12
	v_mul_f32_e32 v0, s40, v63
	v_mul_f32_e32 v2, s40, v10
	s_waitcnt vmcnt(0)
	v_mul_f32_e32 v16, v3, v0
	v_fmac_f32_e32 v16, v1, v2
	buffer_load_dword v1, off, s[48:51], 0 offset:356 ; 4-byte Folded Reload
	buffer_load_dword v2, off, s[48:51], 0 offset:360 ; 4-byte Folded Reload
	buffer_load_dword v3, off, s[48:51], 0 offset:364 ; 4-byte Folded Reload
	buffer_load_dword v4, off, s[48:51], 0 offset:368 ; 4-byte Folded Reload
	v_mul_f32_e32 v0, s39, v9
	s_waitcnt vmcnt(3)
	v_fmac_f32_e32 v13, v1, v0
	v_mul_f32_e32 v0, s40, v60
	s_waitcnt vmcnt(2)
	v_fmac_f32_e32 v16, v2, v0
	v_mul_f32_e32 v0, s39, v59
	s_waitcnt vmcnt(1)
	v_fmac_f32_e32 v13, v3, v0
	v_mul_f32_e32 v0, s40, v58
	s_waitcnt vmcnt(0)
	v_fmac_f32_e32 v16, v4, v0
	buffer_load_dword v1, off, s[48:51], 0 offset:372 ; 4-byte Folded Reload
	buffer_load_dword v2, off, s[48:51], 0 offset:376 ; 4-byte Folded Reload
	buffer_load_dword v3, off, s[48:51], 0 offset:380 ; 4-byte Folded Reload
	buffer_load_dword v4, off, s[48:51], 0 offset:384 ; 4-byte Folded Reload
	v_mul_f32_e32 v0, s39, v57
	s_waitcnt vmcnt(3)
	v_fmac_f32_e32 v13, v1, v0
	v_mul_f32_e32 v0, s40, v56
	s_waitcnt vmcnt(2)
	v_fmac_f32_e32 v16, v2, v0
	v_mul_f32_e32 v0, s39, v55
	s_waitcnt vmcnt(1)
	v_fmac_f32_e32 v13, v3, v0
	v_mul_f32_e32 v0, s40, v54
	s_waitcnt vmcnt(0)
	;; [unrolled: 16-line block ×11, first 2 shown]
	v_fmac_f32_e32 v16, v4, v0
	buffer_load_dword v1, off, s[48:51], 0 offset:532 ; 4-byte Folded Reload
	buffer_load_dword v2, off, s[48:51], 0 offset:536 ; 4-byte Folded Reload
	;; [unrolled: 1-line block ×4, first 2 shown]
	v_mul_f32_e32 v0, s39, v6
	s_waitcnt vmcnt(3)
	v_fmac_f32_e32 v13, v1, v0
	v_mul_f32_e32 v0, s40, v7
	s_waitcnt vmcnt(2)
	v_fmac_f32_e32 v16, v2, v0
	;; [unrolled: 3-line block ×3, first 2 shown]
	buffer_load_dword v0, off, s[48:51], 0 offset:332 ; 4-byte Folded Reload
	s_waitcnt vmcnt(0)
	v_mul_f32_e32 v0, s40, v0
	v_fmac_f32_e32 v16, v4, v0
	buffer_load_dword v0, off, s[48:51], 0 offset:328 ; 4-byte Folded Reload
	buffer_load_dword v1, off, s[48:51], 0 offset:552 ; 4-byte Folded Reload
	;; [unrolled: 1-line block ×5, first 2 shown]
	s_waitcnt vmcnt(4)
	v_mul_f32_e32 v0, s39, v0
	s_waitcnt vmcnt(3)
	v_fmac_f32_e32 v13, v1, v0
	buffer_load_dword v0, off, s[48:51], 0 offset:324 ; 4-byte Folded Reload
	s_waitcnt vmcnt(0)
	v_mul_f32_e32 v0, s40, v0
	v_fmac_f32_e32 v16, v2, v0
	v_mul_f32_e32 v0, s39, v8
	v_fmac_f32_e32 v13, v3, v0
	buffer_load_dword v0, off, s[48:51], 0 offset:320 ; 4-byte Folded Reload
	s_waitcnt vmcnt(0)
	v_mul_f32_e32 v0, s40, v0
	v_fmac_f32_e32 v16, v4, v0
	buffer_load_dword v0, off, s[48:51], 0 offset:316 ; 4-byte Folded Reload
	buffer_load_dword v1, off, s[48:51], 0 offset:568 ; 4-byte Folded Reload
	;; [unrolled: 1-line block ×5, first 2 shown]
	s_waitcnt vmcnt(4)
	v_mul_f32_e32 v0, s39, v0
	s_waitcnt vmcnt(3)
	v_fmac_f32_e32 v13, v1, v0
	buffer_load_dword v0, off, s[48:51], 0 offset:312 ; 4-byte Folded Reload
	s_waitcnt vmcnt(0)
	v_mul_f32_e32 v0, s40, v0
	v_fmac_f32_e32 v16, v2, v0
	v_mul_f32_e32 v0, s39, v15
	v_fmac_f32_e32 v13, v3, v0
	;; [unrolled: 2-line block ×3, first 2 shown]
	buffer_load_dword v0, off, s[48:51], 0 offset:548 ; 4-byte Folded Reload
	v_add_f32_e32 v3, v13, v16
	s_waitcnt vmcnt(0)
	ds_bpermute_b32 v4, v0, v3
	s_mov_b64 s[16:17], exec
	buffer_load_dword v6, off, s[48:51], 0 offset:308 ; 4-byte Folded Reload
	s_and_b64 s[4:5], s[16:17], vcc
	s_mov_b64 exec, s[4:5]
	s_cbranch_execz .LBB213_8
; %bb.370:                              ;   in Loop: Header=BB213_9 Depth=1
	buffer_load_dword v5, off, s[48:51], 0 offset:292 ; 4-byte Folded Reload
	s_waitcnt lgkmcnt(0)
	v_add_f32_e32 v1, v3, v4
	buffer_load_dword v3, off, s[48:51], 0 offset:336 ; 4-byte Folded Reload
	buffer_load_dword v4, off, s[48:51], 0 offset:296 ; 4-byte Folded Reload
	s_waitcnt vmcnt(2)
	v_add_u32_e32 v0, s41, v5
	v_cvt_f32_i32_e32 v0, v0
	s_waitcnt vmcnt(1)
	v_max_f32_e32 v2, v3, v3
	v_cmp_gt_i32_e64 s[4:5], s30, v5
	v_mul_f32_e32 v0, s33, v0
	v_cndmask_b32_e64 v0, 0, v0, s[2:3]
	v_fmac_f32_e32 v0, s31, v1
	v_cndmask_b32_e64 v1, 0, v0, s[4:5]
	v_max_f32_e32 v0, v2, v0
	v_cndmask_b32_e64 v3, v3, v0, s[4:5]
	s_waitcnt vmcnt(0)
	ds_write_b32 v4, v1
	buffer_store_dword v3, off, s[48:51], 0 offset:336 ; 4-byte Folded Spill
	s_branch .LBB213_8
.LBB213_371:
	s_or_b64 exec, exec, s[14:15]
	buffer_load_dword v6, off, s[48:51], 0 offset:592 ; 4-byte Folded Reload
	buffer_load_dword v10, off, s[48:51], 0 offset:596 ; 4-byte Folded Reload
	;; [unrolled: 1-line block ×7, first 2 shown]
.LBB213_372:
	s_or_b64 exec, exec, s[6:7]
	s_waitcnt vmcnt(3)
	v_xor_b32_e32 v0, 32, v12
	s_waitcnt vmcnt(1)
	v_cmp_lt_i32_e32 vcc, v0, v8
	v_cndmask_b32_e32 v0, v12, v0, vcc
	v_lshlrev_b32_e32 v0, 2, v0
	s_waitcnt vmcnt(0)
	ds_bpermute_b32 v1, v0, v2
	v_xor_b32_e32 v3, 16, v12
	v_max_f32_e32 v2, v2, v2
	v_cmp_lt_i32_e32 vcc, v3, v8
	s_waitcnt lgkmcnt(0)
	v_xor_b32_e32 v4, 8, v12
	v_max_f32_e32 v1, v1, v1
	v_max_f32_e32 v2, v2, v1
	v_cndmask_b32_e32 v1, v12, v3, vcc
	v_lshlrev_b32_e32 v1, 2, v1
	ds_bpermute_b32 v3, v1, v2
	v_cmp_lt_i32_e32 vcc, v4, v8
	v_xor_b32_e32 v5, 4, v12
	v_and_b32_e32 v20, 63, v6
	s_waitcnt lgkmcnt(0)
	v_max_f32_e32 v3, v3, v3
	v_max_f32_e32 v3, v2, v3
	v_cndmask_b32_e32 v2, v12, v4, vcc
	v_lshlrev_b32_e32 v2, 2, v2
	ds_bpermute_b32 v4, v2, v3
	v_cmp_lt_i32_e32 vcc, v5, v8
	s_waitcnt lgkmcnt(0)
	v_max_f32_e32 v4, v4, v4
	v_max_f32_e32 v3, v3, v4
	v_cndmask_b32_e32 v4, v12, v5, vcc
	v_lshlrev_b32_e32 v16, 2, v4
	ds_bpermute_b32 v4, v16, v3
	v_xor_b32_e32 v5, 2, v12
	v_cmp_lt_i32_e32 vcc, v5, v8
	s_waitcnt lgkmcnt(0)
	v_max_f32_e32 v4, v4, v4
	v_max_f32_e32 v4, v3, v4
	v_cndmask_b32_e32 v3, v12, v5, vcc
	v_lshlrev_b32_e32 v19, 2, v3
	buffer_load_dword v3, off, s[48:51], 0 offset:8 ; 4-byte Folded Reload
	ds_bpermute_b32 v5, v19, v4
	v_cmp_eq_u32_e32 vcc, 0, v20
	s_waitcnt vmcnt(0)
	v_lshlrev_b32_e32 v3, 2, v3
	s_and_saveexec_b64 s[2:3], vcc
	s_cbranch_execz .LBB213_374
; %bb.373:
	s_waitcnt lgkmcnt(0)
	v_max_f32_e32 v5, v5, v5
	v_max_f32_e32 v4, v4, v4
	;; [unrolled: 1-line block ×3, first 2 shown]
	ds_write_b32 v3, v4 offset:480
.LBB213_374:
	s_or_b64 exec, exec, s[2:3]
	v_cmp_gt_u32_e64 s[2:3], 2, v20
	s_waitcnt lgkmcnt(0)
	v_mov_b32_e32 v5, 0xff7fffff
	v_lshlrev_b32_e32 v4, 2, v20
	s_barrier
	s_and_saveexec_b64 s[4:5], s[2:3]
; %bb.375:
	ds_read_b32 v5, v4 offset:480
; %bb.376:
	s_or_b64 exec, exec, s[4:5]
	v_xor_b32_e32 v6, 1, v12
	v_cmp_lt_i32_e64 s[4:5], v6, v8
	v_cndmask_b32_e64 v6, v12, v6, s[4:5]
	v_lshlrev_b32_e32 v21, 2, v6
	s_waitcnt lgkmcnt(0)
	ds_bpermute_b32 v6, v21, v5
	v_max_f32_e32 v5, v5, v5
	s_lshl_b32 s4, s21, 5
	s_min_i32 s31, s4, s30
	s_waitcnt lgkmcnt(0)
	v_max_f32_e32 v6, v6, v6
	v_max_f32_e32 v5, v5, v6
	v_lshlrev_b32_e32 v6, 2, v7
	ds_bpermute_b32 v6, v6, v5
	buffer_load_dword v5, off, s[48:51], 0 offset:592 ; 4-byte Folded Reload
	s_waitcnt vmcnt(0)
	v_cmp_gt_i32_e64 s[4:5], s31, v5
	v_mov_b32_e32 v5, 0
	s_and_saveexec_b64 s[14:15], s[4:5]
	s_cbranch_execz .LBB213_380
; %bb.377:
	buffer_load_dword v8, off, s[48:51], 0 offset:592 ; 4-byte Folded Reload
	v_mov_b32_e32 v5, 0x1f0
	s_mov_b64 s[16:17], 0
	s_waitcnt vmcnt(0)
	v_lshl_add_u32 v7, v8, 2, v5
	v_mov_b32_e32 v5, 0
.LBB213_378:                            ; =>This Inner Loop Header: Depth=1
	ds_read_b32 v9, v7
	v_add_u32_e32 v8, 0x80, v8
	v_cmp_le_i32_e64 s[6:7], s31, v8
	s_or_b64 s[16:17], s[6:7], s[16:17]
	s_waitcnt lgkmcnt(0)
	v_sub_f32_e32 v9, v9, v6
	v_mul_f32_e32 v9, 0x3fb8aa3b, v9
	v_exp_f32_e32 v9, v9
	ds_write_b32 v7, v9
	v_add_f32_e32 v5, v5, v9
	v_add_u32_e32 v7, 0x200, v7
	s_andn2_b64 exec, exec, s[16:17]
	s_cbranch_execnz .LBB213_378
; %bb.379:
	s_or_b64 exec, exec, s[16:17]
.LBB213_380:
	s_or_b64 exec, exec, s[14:15]
	ds_bpermute_b32 v0, v0, v5
	s_waitcnt lgkmcnt(0)
	v_add_f32_e32 v0, v5, v0
	ds_bpermute_b32 v1, v1, v0
	s_waitcnt lgkmcnt(0)
	v_add_f32_e32 v0, v0, v1
	ds_bpermute_b32 v1, v2, v0
	s_waitcnt lgkmcnt(0)
	v_add_f32_e32 v0, v0, v1
	ds_bpermute_b32 v1, v16, v0
	s_waitcnt lgkmcnt(0)
	v_add_f32_e32 v0, v0, v1
	ds_bpermute_b32 v1, v19, v0
	s_waitcnt lgkmcnt(0)
	v_add_f32_e32 v0, v0, v1
	ds_bpermute_b32 v1, v21, v0
	s_waitcnt lgkmcnt(0)
	v_add_f32_e32 v0, v0, v1
	s_mov_b64 s[6:7], exec
	buffer_load_dword v6, off, s[48:51], 0 offset:592 ; 4-byte Folded Reload
	s_and_b64 s[14:15], s[6:7], vcc
	s_mov_b64 exec, s[14:15]
; %bb.381:
	ds_write_b32 v3, v0 offset:488
; %bb.382:
	s_or_b64 exec, exec, s[6:7]
	s_waitcnt vmcnt(0) lgkmcnt(0)
	s_barrier
	s_and_saveexec_b64 s[6:7], s[2:3]
; %bb.383:
	ds_read_b32 v0, v4 offset:488
; %bb.384:
	s_or_b64 exec, exec, s[6:7]
	s_waitcnt lgkmcnt(0)
	ds_bpermute_b32 v1, v21, v0
	v_lshlrev_b32_e32 v2, 2, v12
	s_waitcnt lgkmcnt(0)
	v_add_f32_e32 v0, v0, v1
	v_and_b32_e32 v1, 0xffffff00, v2
	ds_bpermute_b32 v0, v1, v0
	s_and_saveexec_b64 s[2:3], s[4:5]
	s_cbranch_execz .LBB213_387
; %bb.385:
	s_waitcnt lgkmcnt(0)
	v_add_f32_e32 v1, 0x358637bd, v0
	v_div_scale_f32 v0, s[4:5], v1, v1, 1.0
	v_div_scale_f32 v2, vcc, 1.0, v1, 1.0
	s_mov_b64 s[4:5], 0
	v_rcp_f32_e32 v3, v0
	v_fma_f32 v4, -v0, v3, 1.0
	v_fmac_f32_e32 v3, v4, v3
	v_mul_f32_e32 v4, v2, v3
	v_fma_f32 v5, -v0, v4, v2
	v_fmac_f32_e32 v4, v5, v3
	v_fma_f32 v0, -v0, v4, v2
	v_div_fmas_f32 v2, v0, v3, v4
	v_mov_b32_e32 v0, 0x1f0
	v_lshl_add_u32 v0, v6, 2, v0
	v_div_fixup_f32 v1, v2, v1, 1.0
	v_mov_b32_e32 v2, v6
.LBB213_386:                            ; =>This Inner Loop Header: Depth=1
	ds_read_b32 v3, v0
	v_add_u32_e32 v2, 0x80, v2
	v_cmp_le_i32_e32 vcc, s31, v2
	s_or_b64 s[4:5], vcc, s[4:5]
	s_waitcnt lgkmcnt(0)
	v_mul_f32_e32 v3, v1, v3
	ds_write_b32 v0, v3
	v_add_u32_e32 v0, 0x200, v0
	s_andn2_b64 exec, exec, s[4:5]
	s_cbranch_execnz .LBB213_386
.LBB213_387:
	s_or_b64 exec, exec, s[2:3]
	v_mov_b32_e32 v57, 0
	v_and_b32_e32 v22, 7, v6
	v_mov_b32_e32 v58, 0
	v_mov_b32_e32 v42, 0
	;; [unrolled: 1-line block ×14, first 2 shown]
	s_waitcnt lgkmcnt(0)
	s_barrier
	s_and_saveexec_b64 s[2:3], s[0:1]
	s_cbranch_execz .LBB213_781
; %bb.388:
	s_ashr_i32 s0, s12, 31
	s_add_u32 s1, s28, s12
	s_addc_u32 s0, s29, s0
	v_and_b32_e32 v1, 0xfc, v10
	v_mov_b32_e32 v2, s0
	v_add_co_u32_e32 v1, vcc, s1, v1
	buffer_store_dword v21, off, s[48:51], 0 offset:284 ; 4-byte Folded Spill
	buffer_store_dword v19, off, s[48:51], 0 offset:276 ; 4-byte Folded Spill
	;; [unrolled: 1-line block ×4, first 2 shown]
	v_addc_co_u32_e32 v2, vcc, 0, v2, vcc
	s_load_dword s17, s[18:19], 0x0
	buffer_store_dword v1, off, s[48:51], 0 offset:252 ; 4-byte Folded Spill
	s_nop 0
	buffer_store_dword v2, off, s[48:51], 0 offset:256 ; 4-byte Folded Spill
	buffer_load_dword v2, off, s[48:51], 0 offset:8 ; 4-byte Folded Reload
	v_and_b32_e32 v0, 28, v10
	s_add_i32 s19, s21, -1
	s_lshl_b64 s[0:1], s[26:27], 2
	s_add_u32 s0, s24, s0
	s_addc_u32 s1, s25, s1
	v_mov_b32_e32 v5, 0
	s_mov_b32 s16, s13
	s_waitcnt lgkmcnt(0)
	s_mov_b32 s18, s17
	s_mov_b64 s[4:5], 0
	s_movk_i32 s24, 0x80
	s_movk_i32 s25, 0x7f
	s_brev_b32 s26, 1
	s_mov_b32 s27, 0xffffff
	v_bfrev_b32_e32 v59, 60
	v_bfrev_b32_e32 v6, 1
	v_mov_b32_e32 v12, 0x7f800001
	v_mov_b32_e32 v29, 7
	;; [unrolled: 1-line block ×17, first 2 shown]
	buffer_store_dword v22, off, s[48:51], 0 offset:292 ; 4-byte Folded Spill
	s_waitcnt vmcnt(1)
	v_lshlrev_b32_e32 v1, 5, v2
	v_or3_b32 v43, v1, v0, 3
	v_lshlrev_b32_e32 v0, 4, v22
	v_lshl_or_b32 v0, v2, 7, v0
	v_add_u32_e32 v44, 0x1f0, v0
	v_and_b32_e32 v0, 60, v11
	v_mov_b32_e32 v1, s1
	v_add_co_u32_e32 v9, vcc, s0, v0
	v_addc_co_u32_e32 v10, vcc, 0, v1, vcc
	s_branch .LBB213_390
.LBB213_389:                            ;   in Loop: Header=BB213_390 Depth=1
	s_or_b64 exec, exec, s[0:1]
	s_waitcnt lgkmcnt(0)
	v_mul_f32_e32 v0, v1, v56
	v_fmac_f32_e32 v0, v2, v55
	v_fmac_f32_e32 v0, v3, v23
	v_fmac_f32_e32 v0, v4, v22
	v_add_f32_e32 v31, v31, v0
	v_mul_f32_e32 v0, v1, v51
	v_fmac_f32_e32 v0, v2, v48
	v_fmac_f32_e32 v0, v3, v50
	v_fmac_f32_e32 v0, v4, v49
	v_add_f32_e32 v32, v32, v0
	;; [unrolled: 5-line block ×3, first 2 shown]
	v_mul_f32_e32 v0, v1, v52
	v_fmac_f32_e32 v0, v2, v26
	v_fmac_f32_e32 v0, v3, v8
	;; [unrolled: 1-line block ×3, first 2 shown]
	buffer_load_dword v7, off, s[48:51], 0 offset:228 ; 4-byte Folded Reload
	v_add_f32_e32 v34, v34, v0
	v_mul_f32_e32 v0, v1, v25
	v_fmac_f32_e32 v0, v2, v28
	v_fmac_f32_e32 v0, v3, v47
	;; [unrolled: 1-line block ×3, first 2 shown]
	v_add_f32_e32 v35, v35, v0
	v_mul_f32_e32 v0, v1, v63
	v_fmac_f32_e32 v0, v2, v45
	v_fmac_f32_e32 v0, v3, v62
	;; [unrolled: 1-line block ×3, first 2 shown]
	v_add_f32_e32 v36, v36, v0
	v_mul_f32_e32 v0, v1, v60
	v_add_u32_e32 v43, 64, v43
	v_add_u32_e32 v44, 0x100, v44
	s_waitcnt vmcnt(0)
	v_fmac_f32_e32 v0, v2, v7
	buffer_load_dword v7, off, s[48:51], 0 offset:244 ; 4-byte Folded Reload
	s_waitcnt vmcnt(0)
	v_fmac_f32_e32 v0, v3, v7
	buffer_load_dword v7, off, s[48:51], 0 offset:236 ; 4-byte Folded Reload
	s_waitcnt vmcnt(0)
	v_fmac_f32_e32 v0, v4, v7
	v_add_f32_e32 v37, v37, v0
	buffer_load_dword v0, off, s[48:51], 0 offset:220 ; 4-byte Folded Reload
	buffer_load_dword v7, off, s[48:51], 0 offset:196 ; 4-byte Folded Reload
	s_waitcnt vmcnt(1)
	v_mul_f32_e32 v0, v1, v0
	s_waitcnt vmcnt(0)
	v_fmac_f32_e32 v0, v2, v7
	buffer_load_dword v7, off, s[48:51], 0 offset:212 ; 4-byte Folded Reload
	s_waitcnt vmcnt(0)
	v_fmac_f32_e32 v0, v3, v7
	buffer_load_dword v7, off, s[48:51], 0 offset:204 ; 4-byte Folded Reload
	s_waitcnt vmcnt(0)
	v_fmac_f32_e32 v0, v4, v7
	v_add_f32_e32 v38, v38, v0
	buffer_load_dword v0, off, s[48:51], 0 offset:188 ; 4-byte Folded Reload
	buffer_load_dword v7, off, s[48:51], 0 offset:164 ; 4-byte Folded Reload
	s_waitcnt vmcnt(1)
	v_mul_f32_e32 v0, v1, v0
	;; [unrolled: 13-line block ×6, first 2 shown]
	s_waitcnt vmcnt(0)
	v_fmac_f32_e32 v0, v2, v7
	buffer_load_dword v7, off, s[48:51], 0 offset:52 ; 4-byte Folded Reload
	s_waitcnt vmcnt(0)
	v_fmac_f32_e32 v0, v3, v7
	buffer_load_dword v7, off, s[48:51], 0 offset:44 ; 4-byte Folded Reload
	s_waitcnt vmcnt(0)
	v_fmac_f32_e32 v0, v4, v7
	v_add_f32_e32 v58, v58, v0
	buffer_load_dword v0, off, s[48:51], 0 offset:28 ; 4-byte Folded Reload
	buffer_load_dword v7, off, s[48:51], 0  ; 4-byte Folded Reload
	s_waitcnt vmcnt(1)
	v_mul_f32_e32 v0, v1, v0
	s_waitcnt vmcnt(0)
	v_fmac_f32_e32 v0, v2, v7
	buffer_load_dword v7, off, s[48:51], 0 offset:20 ; 4-byte Folded Reload
	s_waitcnt vmcnt(0)
	v_fmac_f32_e32 v0, v3, v7
	buffer_load_dword v7, off, s[48:51], 0 offset:12 ; 4-byte Folded Reload
	s_waitcnt vmcnt(0)
	v_fmac_f32_e32 v0, v4, v7
	v_add_f32_e32 v57, v57, v0
	v_mul_f32_e32 v0, v1, v15
	v_fmac_f32_e32 v0, v2, v11
	v_fmac_f32_e32 v0, v3, v14
	;; [unrolled: 1-line block ×3, first 2 shown]
	v_add_f32_e32 v30, v30, v0
	buffer_load_dword v0, off, s[48:51], 0 offset:8 ; 4-byte Folded Reload
	s_waitcnt vmcnt(0)
	v_add_u32_e32 v0, 2, v0
	v_cmp_le_i32_e32 vcc, s21, v0
	s_or_b64 s[4:5], vcc, s[4:5]
	v_add_co_u32_e32 v9, vcc, 8, v9
	v_addc_co_u32_e32 v10, vcc, 0, v10, vcc
	buffer_store_dword v0, off, s[48:51], 0 offset:8 ; 4-byte Folded Spill
	s_andn2_b64 exec, exec, s[4:5]
	s_cbranch_execz .LBB213_780
.LBB213_390:                            ; =>This Inner Loop Header: Depth=1
	global_load_dword v0, v[9:10], off
	buffer_load_dword v1, off, s[48:51], 0 offset:252 ; 4-byte Folded Reload
	buffer_load_dword v2, off, s[48:51], 0 offset:256 ; 4-byte Folded Reload
	v_mov_b32_e32 v18, 0
	v_mov_b32_e32 v16, 0
	;; [unrolled: 1-line block ×4, first 2 shown]
	s_waitcnt vmcnt(0)
	v_mad_i64_i32 v[13:14], s[0:1], v0, s16, v[1:2]
	ds_read_b128 v[1:4], v44
	global_load_dword v15, v[13:14], off
	s_waitcnt vmcnt(0)
	v_cmp_ne_u16_sdwa s[6:7], v15, v5 src0_sel:BYTE_0 src1_sel:DWORD
	s_and_saveexec_b64 s[0:1], s[6:7]
	s_cbranch_execz .LBB213_396
; %bb.391:                              ;   in Loop: Header=BB213_390 Depth=1
	v_bfrev_b32_e32 v16, 1
	v_mov_b32_e32 v17, 0
	v_cmp_ne_u16_sdwa s[12:13], v15, s24 src0_sel:BYTE_0 src1_sel:DWORD
	s_and_saveexec_b64 s[6:7], s[12:13]
	s_cbranch_execz .LBB213_395
; %bb.392:                              ;   in Loop: Header=BB213_390 Depth=1
	v_and_b32_e32 v7, 0x7f, v15
	v_mov_b32_e32 v16, 0x7f800001
	v_mov_b32_e32 v17, 0
	v_cmp_ne_u32_e32 vcc, s25, v7
	s_and_saveexec_b64 s[12:13], vcc
	s_cbranch_execz .LBB213_394
; %bb.393:                              ;   in Loop: Header=BB213_390 Depth=1
	v_and_b32_e32 v0, 7, v15
	v_ffbh_u32_e32 v11, v0
	v_min_u32_e32 v11, 32, v11
	v_subrev_u32_e32 v16, 28, v11
	v_lshlrev_b64 v[16:17], v16, v[15:16]
	v_lshrrev_b32_e32 v8, 3, v7
	v_sub_u32_e32 v11, 29, v11
	v_and_b32_e32 v16, 7, v16
	v_cmp_gt_u32_e32 vcc, 8, v7
	v_cndmask_b32_e32 v7, v8, v11, vcc
	v_cndmask_b32_e32 v0, v0, v16, vcc
	v_lshlrev_b32_e32 v0, 20, v0
	v_and_b32_sdwa v8, sext(v15), s26 dst_sel:DWORD dst_unused:UNUSED_PAD src0_sel:BYTE_0 src1_sel:DWORD
	v_lshl_add_u32 v7, v7, 23, v59
	v_or3_b32 v16, v8, v7, v0
	v_mov_b32_e32 v17, v5
.LBB213_394:                            ;   in Loop: Header=BB213_390 Depth=1
	s_or_b64 exec, exec, s[12:13]
.LBB213_395:                            ;   in Loop: Header=BB213_390 Depth=1
	s_or_b64 exec, exec, s[6:7]
.LBB213_396:                            ;   in Loop: Header=BB213_390 Depth=1
	s_or_b64 exec, exec, s[0:1]
	v_cmp_ne_u16_sdwa s[6:7], v15, v5 src0_sel:BYTE_1 src1_sel:DWORD
	s_and_saveexec_b64 s[0:1], s[6:7]
	s_cbranch_execz .LBB213_402
; %bb.397:                              ;   in Loop: Header=BB213_390 Depth=1
	v_mov_b32_e32 v19, v6
	v_cmp_ne_u16_sdwa s[12:13], v15, s24 src0_sel:BYTE_1 src1_sel:DWORD
	v_mov_b32_e32 v18, v5
	s_and_saveexec_b64 s[6:7], s[12:13]
	s_cbranch_execz .LBB213_401
; %bb.398:                              ;   in Loop: Header=BB213_390 Depth=1
	v_and_b32_sdwa v7, v15, s25 dst_sel:DWORD dst_unused:UNUSED_PAD src0_sel:BYTE_1 src1_sel:DWORD
	v_mov_b32_e32 v11, v5
	v_mov_b32_e32 v19, v12
	v_cmp_ne_u32_e32 vcc, s25, v7
	v_mov_b32_e32 v18, v11
	s_and_saveexec_b64 s[12:13], vcc
	s_cbranch_execz .LBB213_400
; %bb.399:                              ;   in Loop: Header=BB213_390 Depth=1
	v_and_b32_sdwa v18, v15, v29 dst_sel:DWORD dst_unused:UNUSED_PAD src0_sel:BYTE_1 src1_sel:DWORD
	v_ffbh_u32_e32 v8, v18
	v_min_u32_e32 v8, 32, v8
	v_mov_b32_e32 v19, v5
	v_subrev_u32_e32 v11, 28, v8
	v_lshlrev_b64 v[19:20], v11, v[18:19]
	v_lshrrev_b32_e32 v0, 3, v7
	v_sub_u32_e32 v8, 29, v8
	v_cmp_gt_u32_e32 vcc, 8, v7
	v_and_b32_e32 v11, 7, v19
	v_cndmask_b32_e32 v0, v0, v8, vcc
	v_cndmask_b32_e32 v7, v18, v11, vcc
	v_lshlrev_b32_e32 v8, 16, v15
	v_lshl_add_u32 v0, v0, 23, v59
	v_and_or_b32 v0, v8, s26, v0
	v_lshlrev_b32_e32 v7, 20, v7
	v_or_b32_e32 v19, v0, v7
	v_mov_b32_e32 v18, v5
.LBB213_400:                            ;   in Loop: Header=BB213_390 Depth=1
	s_or_b64 exec, exec, s[12:13]
.LBB213_401:                            ;   in Loop: Header=BB213_390 Depth=1
	s_or_b64 exec, exec, s[6:7]
.LBB213_402:                            ;   in Loop: Header=BB213_390 Depth=1
	s_or_b64 exec, exec, s[0:1]
	v_lshrrev_b32_e32 v11, 16, v15
	v_mov_b32_e32 v22, 0
	v_mov_b32_e32 v20, 0
	;; [unrolled: 1-line block ×4, first 2 shown]
	v_cmp_ne_u16_sdwa s[6:7], v11, v5 src0_sel:BYTE_0 src1_sel:DWORD
	s_and_saveexec_b64 s[0:1], s[6:7]
	s_cbranch_execz .LBB213_408
; %bb.403:                              ;   in Loop: Header=BB213_390 Depth=1
	v_bfrev_b32_e32 v20, 1
	v_mov_b32_e32 v21, 0
	v_cmp_ne_u16_sdwa s[12:13], v11, s24 src0_sel:BYTE_0 src1_sel:DWORD
	s_and_saveexec_b64 s[6:7], s[12:13]
	s_cbranch_execz .LBB213_407
; %bb.404:                              ;   in Loop: Header=BB213_390 Depth=1
	v_bfe_u32 v7, v15, 16, 7
	v_mov_b32_e32 v20, 0x7f800001
	v_mov_b32_e32 v21, 0
	v_cmp_ne_u32_e32 vcc, s25, v7
	s_and_saveexec_b64 s[12:13], vcc
	s_cbranch_execz .LBB213_406
; %bb.405:                              ;   in Loop: Header=BB213_390 Depth=1
	v_and_b32_e32 v0, 7, v11
	v_ffbh_u32_e32 v20, v0
	v_min_u32_e32 v24, 32, v20
	v_subrev_u32_e32 v20, 28, v24
	v_lshlrev_b64 v[20:21], v20, v[11:12]
	v_lshrrev_b32_e32 v8, 3, v7
	v_sub_u32_e32 v21, 29, v24
	v_and_b32_e32 v20, 7, v20
	v_cmp_gt_u32_e32 vcc, 8, v7
	v_cndmask_b32_e32 v7, v8, v21, vcc
	v_cndmask_b32_e32 v0, v0, v20, vcc
	v_lshlrev_b32_e32 v0, 20, v0
	v_and_b32_sdwa v8, sext(v11), s26 dst_sel:DWORD dst_unused:UNUSED_PAD src0_sel:BYTE_0 src1_sel:DWORD
	v_lshl_add_u32 v7, v7, 23, v59
	v_or3_b32 v20, v8, v7, v0
	v_mov_b32_e32 v21, v5
.LBB213_406:                            ;   in Loop: Header=BB213_390 Depth=1
	s_or_b64 exec, exec, s[12:13]
.LBB213_407:                            ;   in Loop: Header=BB213_390 Depth=1
	s_or_b64 exec, exec, s[6:7]
.LBB213_408:                            ;   in Loop: Header=BB213_390 Depth=1
	s_or_b64 exec, exec, s[0:1]
	v_cmp_lt_u32_e32 vcc, s27, v15
	s_and_saveexec_b64 s[0:1], vcc
	s_cbranch_execz .LBB213_414
; %bb.409:                              ;   in Loop: Header=BB213_390 Depth=1
	v_mov_b32_e32 v23, v6
	v_cmp_ne_u32_sdwa s[12:13], v15, s24 src0_sel:BYTE_3 src1_sel:DWORD
	v_mov_b32_e32 v22, v5
	s_and_saveexec_b64 s[6:7], s[12:13]
	s_cbranch_execz .LBB213_413
; %bb.410:                              ;   in Loop: Header=BB213_390 Depth=1
	v_bfe_u32 v7, v15, 24, 7
	v_mov_b32_e32 v11, v5
	v_mov_b32_e32 v23, v12
	v_cmp_ne_u32_e32 vcc, s25, v7
	v_mov_b32_e32 v22, v11
	s_and_saveexec_b64 s[12:13], vcc
	s_cbranch_execz .LBB213_412
; %bb.411:                              ;   in Loop: Header=BB213_390 Depth=1
	v_and_b32_sdwa v22, v15, v29 dst_sel:DWORD dst_unused:UNUSED_PAD src0_sel:BYTE_3 src1_sel:DWORD
	v_ffbh_u32_e32 v8, v22
	v_min_u32_e32 v8, 32, v8
	v_mov_b32_e32 v23, v5
	v_subrev_u32_e32 v11, 28, v8
	v_lshlrev_b64 v[23:24], v11, v[22:23]
	v_lshrrev_b32_e32 v0, 3, v7
	v_sub_u32_e32 v8, 29, v8
	v_cmp_gt_u32_e32 vcc, 8, v7
	v_and_b32_e32 v11, 7, v23
	v_cndmask_b32_e32 v0, v0, v8, vcc
	v_mov_b32_e32 v8, 24
	v_cndmask_b32_e32 v7, v22, v11, vcc
	v_lshlrev_b32_sdwa v8, v8, v15 dst_sel:DWORD dst_unused:UNUSED_PAD src0_sel:DWORD src1_sel:BYTE_3
	v_lshl_add_u32 v0, v0, 23, v59
	v_and_or_b32 v0, v8, s26, v0
	v_lshlrev_b32_e32 v7, 20, v7
	v_or_b32_e32 v23, v0, v7
	v_mov_b32_e32 v22, v5
.LBB213_412:                            ;   in Loop: Header=BB213_390 Depth=1
	s_or_b64 exec, exec, s[12:13]
.LBB213_413:                            ;   in Loop: Header=BB213_390 Depth=1
	s_or_b64 exec, exec, s[6:7]
.LBB213_414:                            ;   in Loop: Header=BB213_390 Depth=1
	s_or_b64 exec, exec, s[0:1]
	buffer_load_dword v0, off, s[48:51], 0 offset:8 ; 4-byte Folded Reload
	v_or_b32_e32 v7, v18, v16
	s_waitcnt vmcnt(0)
	v_cmp_eq_u32_e32 vcc, s19, v0
	v_or_b32_e32 v0, v19, v17
	v_mul_f32_e32 v0, s18, v0
	buffer_store_dword v0, off, s[48:51], 0 ; 4-byte Folded Spill
	v_mul_f32_e32 v0, s17, v7
	buffer_store_dword v0, off, s[48:51], 0 offset:28 ; 4-byte Folded Spill
	v_or_b32_e32 v0, v23, v21
	v_or_b32_e32 v7, v22, v20
	v_mul_f32_e32 v7, s17, v7
	v_mul_f32_e32 v0, s18, v0
	buffer_store_dword v7, off, s[48:51], 0 offset:20 ; 4-byte Folded Spill
	buffer_store_dword v0, off, s[48:51], 0 offset:12 ; 4-byte Folded Spill
	s_and_saveexec_b64 s[6:7], vcc
	s_cbranch_execz .LBB213_416
; %bb.415:                              ;   in Loop: Header=BB213_390 Depth=1
	v_add_u32_e32 v0, -3, v43
	v_cmp_gt_i32_e64 s[0:1], s30, v0
	buffer_load_dword v0, off, s[48:51], 0 offset:28 ; 4-byte Folded Reload
	s_waitcnt vmcnt(0)
	v_cndmask_b32_e64 v0, 0, v0, s[0:1]
	buffer_store_dword v0, off, s[48:51], 0 offset:28 ; 4-byte Folded Spill
	v_add_u32_e32 v0, -2, v43
	v_cmp_gt_i32_e64 s[0:1], s30, v0
	buffer_load_dword v0, off, s[48:51], 0  ; 4-byte Folded Reload
	s_waitcnt vmcnt(0)
	v_cndmask_b32_e64 v0, 0, v0, s[0:1]
	buffer_store_dword v0, off, s[48:51], 0 ; 4-byte Folded Spill
	v_add_u32_e32 v0, -1, v43
	v_cmp_gt_i32_e64 s[0:1], s30, v0
	buffer_load_dword v0, off, s[48:51], 0 offset:20 ; 4-byte Folded Reload
	s_waitcnt vmcnt(0)
	v_cndmask_b32_e64 v0, 0, v0, s[0:1]
	buffer_store_dword v0, off, s[48:51], 0 offset:20 ; 4-byte Folded Spill
	buffer_load_dword v0, off, s[48:51], 0 offset:12 ; 4-byte Folded Reload
	v_cmp_gt_i32_e64 s[0:1], s30, v43
	s_waitcnt vmcnt(0)
	v_cndmask_b32_e64 v0, 0, v0, s[0:1]
	buffer_store_dword v0, off, s[48:51], 0 offset:12 ; 4-byte Folded Spill
.LBB213_416:                            ;   in Loop: Header=BB213_390 Depth=1
	s_or_b64 exec, exec, s[6:7]
	global_load_dword v15, v[13:14], off offset:256
	v_mov_b32_e32 v18, 0
	v_mov_b32_e32 v16, 0
	v_mov_b32_e32 v19, 0
	v_mov_b32_e32 v17, 0
	s_waitcnt vmcnt(0)
	v_cmp_ne_u16_sdwa s[0:1], v15, v5 src0_sel:BYTE_0 src1_sel:DWORD
	s_and_saveexec_b64 s[6:7], s[0:1]
	s_cbranch_execz .LBB213_422
; %bb.417:                              ;   in Loop: Header=BB213_390 Depth=1
	v_bfrev_b32_e32 v16, 1
	v_mov_b32_e32 v17, 0
	v_cmp_ne_u16_sdwa s[0:1], v15, s24 src0_sel:BYTE_0 src1_sel:DWORD
	s_and_saveexec_b64 s[12:13], s[0:1]
	s_cbranch_execz .LBB213_421
; %bb.418:                              ;   in Loop: Header=BB213_390 Depth=1
	v_and_b32_e32 v7, 0x7f, v15
	v_mov_b32_e32 v16, 0x7f800001
	v_mov_b32_e32 v17, 0
	v_cmp_ne_u32_e64 s[0:1], s25, v7
	s_and_saveexec_b64 s[14:15], s[0:1]
	s_cbranch_execz .LBB213_420
; %bb.419:                              ;   in Loop: Header=BB213_390 Depth=1
	v_and_b32_e32 v0, 7, v15
	v_ffbh_u32_e32 v11, v0
	v_min_u32_e32 v11, 32, v11
	v_subrev_u32_e32 v16, 28, v11
	v_lshlrev_b64 v[16:17], v16, v[15:16]
	v_lshrrev_b32_e32 v8, 3, v7
	v_sub_u32_e32 v11, 29, v11
	v_and_b32_e32 v16, 7, v16
	v_cmp_gt_u32_e64 s[0:1], 8, v7
	v_cndmask_b32_e64 v7, v8, v11, s[0:1]
	v_cndmask_b32_e64 v0, v0, v16, s[0:1]
	v_lshlrev_b32_e32 v0, 20, v0
	v_and_b32_sdwa v8, sext(v15), s26 dst_sel:DWORD dst_unused:UNUSED_PAD src0_sel:BYTE_0 src1_sel:DWORD
	v_lshl_add_u32 v7, v7, 23, v59
	v_or3_b32 v16, v8, v7, v0
	v_mov_b32_e32 v17, v5
.LBB213_420:                            ;   in Loop: Header=BB213_390 Depth=1
	s_or_b64 exec, exec, s[14:15]
.LBB213_421:                            ;   in Loop: Header=BB213_390 Depth=1
	s_or_b64 exec, exec, s[12:13]
.LBB213_422:                            ;   in Loop: Header=BB213_390 Depth=1
	s_or_b64 exec, exec, s[6:7]
	v_cmp_ne_u16_sdwa s[0:1], v15, v5 src0_sel:BYTE_1 src1_sel:DWORD
	s_and_saveexec_b64 s[6:7], s[0:1]
	s_cbranch_execz .LBB213_428
; %bb.423:                              ;   in Loop: Header=BB213_390 Depth=1
	v_mov_b32_e32 v19, v6
	v_cmp_ne_u16_sdwa s[0:1], v15, s24 src0_sel:BYTE_1 src1_sel:DWORD
	v_mov_b32_e32 v18, v5
	s_and_saveexec_b64 s[12:13], s[0:1]
	s_cbranch_execz .LBB213_427
; %bb.424:                              ;   in Loop: Header=BB213_390 Depth=1
	v_and_b32_sdwa v7, v15, s25 dst_sel:DWORD dst_unused:UNUSED_PAD src0_sel:BYTE_1 src1_sel:DWORD
	v_mov_b32_e32 v11, v5
	v_mov_b32_e32 v19, v12
	v_cmp_ne_u32_e64 s[0:1], s25, v7
	v_mov_b32_e32 v18, v11
	s_and_saveexec_b64 s[14:15], s[0:1]
	s_cbranch_execz .LBB213_426
; %bb.425:                              ;   in Loop: Header=BB213_390 Depth=1
	v_and_b32_sdwa v18, v15, v29 dst_sel:DWORD dst_unused:UNUSED_PAD src0_sel:BYTE_1 src1_sel:DWORD
	v_ffbh_u32_e32 v8, v18
	v_min_u32_e32 v8, 32, v8
	v_mov_b32_e32 v19, v5
	v_subrev_u32_e32 v11, 28, v8
	v_lshlrev_b64 v[19:20], v11, v[18:19]
	v_lshrrev_b32_e32 v0, 3, v7
	v_sub_u32_e32 v8, 29, v8
	v_cmp_gt_u32_e64 s[0:1], 8, v7
	v_and_b32_e32 v11, 7, v19
	v_cndmask_b32_e64 v0, v0, v8, s[0:1]
	v_cndmask_b32_e64 v7, v18, v11, s[0:1]
	v_lshlrev_b32_e32 v8, 16, v15
	v_lshl_add_u32 v0, v0, 23, v59
	v_and_or_b32 v0, v8, s26, v0
	v_lshlrev_b32_e32 v7, 20, v7
	v_or_b32_e32 v19, v0, v7
	v_mov_b32_e32 v18, v5
.LBB213_426:                            ;   in Loop: Header=BB213_390 Depth=1
	s_or_b64 exec, exec, s[14:15]
.LBB213_427:                            ;   in Loop: Header=BB213_390 Depth=1
	s_or_b64 exec, exec, s[12:13]
.LBB213_428:                            ;   in Loop: Header=BB213_390 Depth=1
	s_or_b64 exec, exec, s[6:7]
	v_lshrrev_b32_e32 v11, 16, v15
	v_mov_b32_e32 v22, 0
	v_mov_b32_e32 v20, 0
	;; [unrolled: 1-line block ×4, first 2 shown]
	v_cmp_ne_u16_sdwa s[0:1], v11, v5 src0_sel:BYTE_0 src1_sel:DWORD
	s_and_saveexec_b64 s[6:7], s[0:1]
	s_cbranch_execz .LBB213_434
; %bb.429:                              ;   in Loop: Header=BB213_390 Depth=1
	v_bfrev_b32_e32 v20, 1
	v_mov_b32_e32 v21, 0
	v_cmp_ne_u16_sdwa s[0:1], v11, s24 src0_sel:BYTE_0 src1_sel:DWORD
	s_and_saveexec_b64 s[12:13], s[0:1]
	s_cbranch_execz .LBB213_433
; %bb.430:                              ;   in Loop: Header=BB213_390 Depth=1
	v_bfe_u32 v7, v15, 16, 7
	v_mov_b32_e32 v20, 0x7f800001
	v_mov_b32_e32 v21, 0
	v_cmp_ne_u32_e64 s[0:1], s25, v7
	s_and_saveexec_b64 s[14:15], s[0:1]
	s_cbranch_execz .LBB213_432
; %bb.431:                              ;   in Loop: Header=BB213_390 Depth=1
	v_and_b32_e32 v0, 7, v11
	v_ffbh_u32_e32 v20, v0
	v_min_u32_e32 v24, 32, v20
	v_subrev_u32_e32 v20, 28, v24
	v_lshlrev_b64 v[20:21], v20, v[11:12]
	v_lshrrev_b32_e32 v8, 3, v7
	v_sub_u32_e32 v21, 29, v24
	v_and_b32_e32 v20, 7, v20
	v_cmp_gt_u32_e64 s[0:1], 8, v7
	v_cndmask_b32_e64 v7, v8, v21, s[0:1]
	v_cndmask_b32_e64 v0, v0, v20, s[0:1]
	v_lshlrev_b32_e32 v0, 20, v0
	v_and_b32_sdwa v8, sext(v11), s26 dst_sel:DWORD dst_unused:UNUSED_PAD src0_sel:BYTE_0 src1_sel:DWORD
	v_lshl_add_u32 v7, v7, 23, v59
	v_or3_b32 v20, v8, v7, v0
	v_mov_b32_e32 v21, v5
.LBB213_432:                            ;   in Loop: Header=BB213_390 Depth=1
	s_or_b64 exec, exec, s[14:15]
.LBB213_433:                            ;   in Loop: Header=BB213_390 Depth=1
	s_or_b64 exec, exec, s[12:13]
.LBB213_434:                            ;   in Loop: Header=BB213_390 Depth=1
	s_or_b64 exec, exec, s[6:7]
	v_cmp_lt_u32_e64 s[0:1], s27, v15
	s_and_saveexec_b64 s[6:7], s[0:1]
	s_cbranch_execz .LBB213_440
; %bb.435:                              ;   in Loop: Header=BB213_390 Depth=1
	v_mov_b32_e32 v23, v6
	v_cmp_ne_u32_sdwa s[0:1], v15, s24 src0_sel:BYTE_3 src1_sel:DWORD
	v_mov_b32_e32 v22, v5
	s_and_saveexec_b64 s[12:13], s[0:1]
	s_cbranch_execz .LBB213_439
; %bb.436:                              ;   in Loop: Header=BB213_390 Depth=1
	v_bfe_u32 v7, v15, 24, 7
	v_mov_b32_e32 v11, v5
	v_mov_b32_e32 v23, v12
	v_cmp_ne_u32_e64 s[0:1], s25, v7
	v_mov_b32_e32 v22, v11
	s_and_saveexec_b64 s[14:15], s[0:1]
	s_cbranch_execz .LBB213_438
; %bb.437:                              ;   in Loop: Header=BB213_390 Depth=1
	v_and_b32_sdwa v22, v15, v29 dst_sel:DWORD dst_unused:UNUSED_PAD src0_sel:BYTE_3 src1_sel:DWORD
	v_ffbh_u32_e32 v8, v22
	v_min_u32_e32 v8, 32, v8
	v_mov_b32_e32 v23, v5
	v_subrev_u32_e32 v11, 28, v8
	v_lshlrev_b64 v[23:24], v11, v[22:23]
	v_lshrrev_b32_e32 v0, 3, v7
	v_sub_u32_e32 v8, 29, v8
	v_cmp_gt_u32_e64 s[0:1], 8, v7
	v_and_b32_e32 v11, 7, v23
	v_cndmask_b32_e64 v0, v0, v8, s[0:1]
	v_mov_b32_e32 v8, 24
	v_cndmask_b32_e64 v7, v22, v11, s[0:1]
	v_lshlrev_b32_sdwa v8, v8, v15 dst_sel:DWORD dst_unused:UNUSED_PAD src0_sel:DWORD src1_sel:BYTE_3
	v_lshl_add_u32 v0, v0, 23, v59
	v_and_or_b32 v0, v8, s26, v0
	v_lshlrev_b32_e32 v7, 20, v7
	v_or_b32_e32 v23, v0, v7
	v_mov_b32_e32 v22, v5
.LBB213_438:                            ;   in Loop: Header=BB213_390 Depth=1
	s_or_b64 exec, exec, s[14:15]
.LBB213_439:                            ;   in Loop: Header=BB213_390 Depth=1
	s_or_b64 exec, exec, s[12:13]
.LBB213_440:                            ;   in Loop: Header=BB213_390 Depth=1
	s_or_b64 exec, exec, s[6:7]
	v_or_b32_e32 v0, v19, v17
	v_or_b32_e32 v7, v18, v16
	v_mul_f32_e32 v0, s18, v0
	buffer_store_dword v0, off, s[48:51], 0 offset:36 ; 4-byte Folded Spill
	v_mul_f32_e32 v0, s17, v7
	buffer_store_dword v0, off, s[48:51], 0 offset:60 ; 4-byte Folded Spill
	v_or_b32_e32 v0, v23, v21
	v_or_b32_e32 v7, v22, v20
	v_mul_f32_e32 v7, s17, v7
	v_mul_f32_e32 v0, s18, v0
	buffer_store_dword v7, off, s[48:51], 0 offset:52 ; 4-byte Folded Spill
	buffer_store_dword v0, off, s[48:51], 0 offset:44 ; 4-byte Folded Spill
	s_and_saveexec_b64 s[6:7], vcc
	s_cbranch_execz .LBB213_442
; %bb.441:                              ;   in Loop: Header=BB213_390 Depth=1
	v_add_u32_e32 v0, -3, v43
	v_cmp_gt_i32_e64 s[0:1], s30, v0
	buffer_load_dword v0, off, s[48:51], 0 offset:60 ; 4-byte Folded Reload
	s_waitcnt vmcnt(0)
	v_cndmask_b32_e64 v0, 0, v0, s[0:1]
	buffer_store_dword v0, off, s[48:51], 0 offset:60 ; 4-byte Folded Spill
	v_add_u32_e32 v0, -2, v43
	v_cmp_gt_i32_e64 s[0:1], s30, v0
	buffer_load_dword v0, off, s[48:51], 0 offset:36 ; 4-byte Folded Reload
	s_waitcnt vmcnt(0)
	v_cndmask_b32_e64 v0, 0, v0, s[0:1]
	buffer_store_dword v0, off, s[48:51], 0 offset:36 ; 4-byte Folded Spill
	;; [unrolled: 6-line block ×3, first 2 shown]
	buffer_load_dword v0, off, s[48:51], 0 offset:44 ; 4-byte Folded Reload
	v_cmp_gt_i32_e64 s[0:1], s30, v43
	s_waitcnt vmcnt(0)
	v_cndmask_b32_e64 v0, 0, v0, s[0:1]
	buffer_store_dword v0, off, s[48:51], 0 offset:44 ; 4-byte Folded Spill
.LBB213_442:                            ;   in Loop: Header=BB213_390 Depth=1
	s_or_b64 exec, exec, s[6:7]
	global_load_dword v15, v[13:14], off offset:512
	v_mov_b32_e32 v18, 0
	v_mov_b32_e32 v16, 0
	;; [unrolled: 1-line block ×4, first 2 shown]
	s_waitcnt vmcnt(0)
	v_cmp_ne_u16_sdwa s[0:1], v15, v5 src0_sel:BYTE_0 src1_sel:DWORD
	s_and_saveexec_b64 s[6:7], s[0:1]
	s_cbranch_execz .LBB213_448
; %bb.443:                              ;   in Loop: Header=BB213_390 Depth=1
	v_bfrev_b32_e32 v16, 1
	v_mov_b32_e32 v17, 0
	v_cmp_ne_u16_sdwa s[0:1], v15, s24 src0_sel:BYTE_0 src1_sel:DWORD
	s_and_saveexec_b64 s[12:13], s[0:1]
	s_cbranch_execz .LBB213_447
; %bb.444:                              ;   in Loop: Header=BB213_390 Depth=1
	v_and_b32_e32 v7, 0x7f, v15
	v_mov_b32_e32 v16, 0x7f800001
	v_mov_b32_e32 v17, 0
	v_cmp_ne_u32_e64 s[0:1], s25, v7
	s_and_saveexec_b64 s[14:15], s[0:1]
	s_cbranch_execz .LBB213_446
; %bb.445:                              ;   in Loop: Header=BB213_390 Depth=1
	v_and_b32_e32 v0, 7, v15
	v_ffbh_u32_e32 v11, v0
	v_min_u32_e32 v11, 32, v11
	v_subrev_u32_e32 v16, 28, v11
	v_lshlrev_b64 v[16:17], v16, v[15:16]
	v_lshrrev_b32_e32 v8, 3, v7
	v_sub_u32_e32 v11, 29, v11
	v_and_b32_e32 v16, 7, v16
	v_cmp_gt_u32_e64 s[0:1], 8, v7
	v_cndmask_b32_e64 v7, v8, v11, s[0:1]
	v_cndmask_b32_e64 v0, v0, v16, s[0:1]
	v_lshlrev_b32_e32 v0, 20, v0
	v_and_b32_sdwa v8, sext(v15), s26 dst_sel:DWORD dst_unused:UNUSED_PAD src0_sel:BYTE_0 src1_sel:DWORD
	v_lshl_add_u32 v7, v7, 23, v59
	v_or3_b32 v16, v8, v7, v0
	v_mov_b32_e32 v17, v5
.LBB213_446:                            ;   in Loop: Header=BB213_390 Depth=1
	s_or_b64 exec, exec, s[14:15]
.LBB213_447:                            ;   in Loop: Header=BB213_390 Depth=1
	s_or_b64 exec, exec, s[12:13]
.LBB213_448:                            ;   in Loop: Header=BB213_390 Depth=1
	s_or_b64 exec, exec, s[6:7]
	v_cmp_ne_u16_sdwa s[0:1], v15, v5 src0_sel:BYTE_1 src1_sel:DWORD
	s_and_saveexec_b64 s[6:7], s[0:1]
	s_cbranch_execz .LBB213_454
; %bb.449:                              ;   in Loop: Header=BB213_390 Depth=1
	v_mov_b32_e32 v19, v6
	v_cmp_ne_u16_sdwa s[0:1], v15, s24 src0_sel:BYTE_1 src1_sel:DWORD
	v_mov_b32_e32 v18, v5
	s_and_saveexec_b64 s[12:13], s[0:1]
	s_cbranch_execz .LBB213_453
; %bb.450:                              ;   in Loop: Header=BB213_390 Depth=1
	v_and_b32_sdwa v7, v15, s25 dst_sel:DWORD dst_unused:UNUSED_PAD src0_sel:BYTE_1 src1_sel:DWORD
	v_mov_b32_e32 v11, v5
	v_mov_b32_e32 v19, v12
	v_cmp_ne_u32_e64 s[0:1], s25, v7
	v_mov_b32_e32 v18, v11
	s_and_saveexec_b64 s[14:15], s[0:1]
	s_cbranch_execz .LBB213_452
; %bb.451:                              ;   in Loop: Header=BB213_390 Depth=1
	v_and_b32_sdwa v18, v15, v29 dst_sel:DWORD dst_unused:UNUSED_PAD src0_sel:BYTE_1 src1_sel:DWORD
	v_ffbh_u32_e32 v8, v18
	v_min_u32_e32 v8, 32, v8
	v_mov_b32_e32 v19, v5
	v_subrev_u32_e32 v11, 28, v8
	v_lshlrev_b64 v[19:20], v11, v[18:19]
	v_lshrrev_b32_e32 v0, 3, v7
	v_sub_u32_e32 v8, 29, v8
	v_cmp_gt_u32_e64 s[0:1], 8, v7
	v_and_b32_e32 v11, 7, v19
	v_cndmask_b32_e64 v0, v0, v8, s[0:1]
	v_cndmask_b32_e64 v7, v18, v11, s[0:1]
	v_lshlrev_b32_e32 v8, 16, v15
	v_lshl_add_u32 v0, v0, 23, v59
	v_and_or_b32 v0, v8, s26, v0
	v_lshlrev_b32_e32 v7, 20, v7
	v_or_b32_e32 v19, v0, v7
	v_mov_b32_e32 v18, v5
.LBB213_452:                            ;   in Loop: Header=BB213_390 Depth=1
	s_or_b64 exec, exec, s[14:15]
.LBB213_453:                            ;   in Loop: Header=BB213_390 Depth=1
	s_or_b64 exec, exec, s[12:13]
.LBB213_454:                            ;   in Loop: Header=BB213_390 Depth=1
	s_or_b64 exec, exec, s[6:7]
	v_lshrrev_b32_e32 v11, 16, v15
	v_mov_b32_e32 v22, 0
	v_mov_b32_e32 v20, 0
	;; [unrolled: 1-line block ×4, first 2 shown]
	v_cmp_ne_u16_sdwa s[0:1], v11, v5 src0_sel:BYTE_0 src1_sel:DWORD
	s_and_saveexec_b64 s[6:7], s[0:1]
	s_cbranch_execz .LBB213_460
; %bb.455:                              ;   in Loop: Header=BB213_390 Depth=1
	v_bfrev_b32_e32 v20, 1
	v_mov_b32_e32 v21, 0
	v_cmp_ne_u16_sdwa s[0:1], v11, s24 src0_sel:BYTE_0 src1_sel:DWORD
	s_and_saveexec_b64 s[12:13], s[0:1]
	s_cbranch_execz .LBB213_459
; %bb.456:                              ;   in Loop: Header=BB213_390 Depth=1
	v_bfe_u32 v0, v15, 16, 7
	v_mov_b32_e32 v20, 0x7f800001
	v_mov_b32_e32 v21, 0
	v_cmp_ne_u32_e64 s[0:1], s25, v0
	s_and_saveexec_b64 s[14:15], s[0:1]
	s_cbranch_execz .LBB213_458
; %bb.457:                              ;   in Loop: Header=BB213_390 Depth=1
	v_and_b32_e32 v20, 7, v11
	v_lshrrev_b32_e32 v21, 3, v0
	v_cmp_gt_u32_e64 s[0:1], 8, v0
	v_ffbh_u32_e32 v0, v20
	v_min_u32_e32 v0, 32, v0
	v_subrev_u32_e32 v7, 28, v0
	v_lshlrev_b64 v[7:8], v7, v[11:12]
	v_sub_u32_e32 v0, 29, v0
	v_and_b32_e32 v7, 7, v7
	v_cndmask_b32_e64 v0, v21, v0, s[0:1]
	v_cndmask_b32_e64 v7, v20, v7, s[0:1]
	v_lshlrev_b32_e32 v7, 20, v7
	v_and_b32_sdwa v8, sext(v11), s26 dst_sel:DWORD dst_unused:UNUSED_PAD src0_sel:BYTE_0 src1_sel:DWORD
	v_lshl_add_u32 v0, v0, 23, v59
	v_or3_b32 v20, v8, v0, v7
	v_mov_b32_e32 v21, v5
.LBB213_458:                            ;   in Loop: Header=BB213_390 Depth=1
	s_or_b64 exec, exec, s[14:15]
.LBB213_459:                            ;   in Loop: Header=BB213_390 Depth=1
	s_or_b64 exec, exec, s[12:13]
.LBB213_460:                            ;   in Loop: Header=BB213_390 Depth=1
	s_or_b64 exec, exec, s[6:7]
	v_cmp_lt_u32_e64 s[0:1], s27, v15
	s_and_saveexec_b64 s[6:7], s[0:1]
	s_cbranch_execz .LBB213_466
; %bb.461:                              ;   in Loop: Header=BB213_390 Depth=1
	v_mov_b32_e32 v23, v6
	v_cmp_ne_u32_sdwa s[0:1], v15, s24 src0_sel:BYTE_3 src1_sel:DWORD
	v_mov_b32_e32 v22, v5
	s_and_saveexec_b64 s[12:13], s[0:1]
	s_cbranch_execz .LBB213_465
; %bb.462:                              ;   in Loop: Header=BB213_390 Depth=1
	v_bfe_u32 v7, v15, 24, 7
	v_mov_b32_e32 v11, v5
	v_mov_b32_e32 v23, v12
	v_cmp_ne_u32_e64 s[0:1], s25, v7
	v_mov_b32_e32 v22, v11
	s_and_saveexec_b64 s[14:15], s[0:1]
	s_cbranch_execz .LBB213_464
; %bb.463:                              ;   in Loop: Header=BB213_390 Depth=1
	v_and_b32_sdwa v22, v15, v29 dst_sel:DWORD dst_unused:UNUSED_PAD src0_sel:BYTE_3 src1_sel:DWORD
	v_lshrrev_b32_e32 v0, 3, v7
	v_cmp_gt_u32_e64 s[0:1], 8, v7
	v_ffbh_u32_e32 v7, v22
	v_min_u32_e32 v11, 32, v7
	v_mov_b32_e32 v23, v5
	v_subrev_u32_e32 v7, 28, v11
	v_lshlrev_b64 v[7:8], v7, v[22:23]
	v_sub_u32_e32 v8, 29, v11
	v_and_b32_e32 v7, 7, v7
	v_cndmask_b32_e64 v0, v0, v8, s[0:1]
	v_mov_b32_e32 v8, 24
	v_cndmask_b32_e64 v7, v22, v7, s[0:1]
	v_lshlrev_b32_sdwa v8, v8, v15 dst_sel:DWORD dst_unused:UNUSED_PAD src0_sel:DWORD src1_sel:BYTE_3
	v_lshl_add_u32 v0, v0, 23, v59
	v_and_or_b32 v0, v8, s26, v0
	v_lshlrev_b32_e32 v7, 20, v7
	v_or_b32_e32 v23, v0, v7
	v_mov_b32_e32 v22, v5
.LBB213_464:                            ;   in Loop: Header=BB213_390 Depth=1
	s_or_b64 exec, exec, s[14:15]
.LBB213_465:                            ;   in Loop: Header=BB213_390 Depth=1
	s_or_b64 exec, exec, s[12:13]
.LBB213_466:                            ;   in Loop: Header=BB213_390 Depth=1
	s_or_b64 exec, exec, s[6:7]
	v_or_b32_e32 v0, v19, v17
	v_or_b32_e32 v7, v18, v16
	v_mul_f32_e32 v0, s18, v0
	buffer_store_dword v0, off, s[48:51], 0 offset:68 ; 4-byte Folded Spill
	v_mul_f32_e32 v0, s17, v7
	buffer_store_dword v0, off, s[48:51], 0 offset:92 ; 4-byte Folded Spill
	v_or_b32_e32 v0, v23, v21
	v_or_b32_e32 v7, v22, v20
	v_mul_f32_e32 v7, s17, v7
	v_mul_f32_e32 v0, s18, v0
	buffer_store_dword v7, off, s[48:51], 0 offset:84 ; 4-byte Folded Spill
	buffer_store_dword v0, off, s[48:51], 0 offset:76 ; 4-byte Folded Spill
	s_and_saveexec_b64 s[6:7], vcc
	s_cbranch_execz .LBB213_468
; %bb.467:                              ;   in Loop: Header=BB213_390 Depth=1
	v_add_u32_e32 v0, -3, v43
	v_cmp_gt_i32_e64 s[0:1], s30, v0
	buffer_load_dword v0, off, s[48:51], 0 offset:92 ; 4-byte Folded Reload
	s_waitcnt vmcnt(0)
	v_cndmask_b32_e64 v0, 0, v0, s[0:1]
	buffer_store_dword v0, off, s[48:51], 0 offset:92 ; 4-byte Folded Spill
	v_add_u32_e32 v0, -2, v43
	v_cmp_gt_i32_e64 s[0:1], s30, v0
	buffer_load_dword v0, off, s[48:51], 0 offset:68 ; 4-byte Folded Reload
	s_waitcnt vmcnt(0)
	v_cndmask_b32_e64 v0, 0, v0, s[0:1]
	buffer_store_dword v0, off, s[48:51], 0 offset:68 ; 4-byte Folded Spill
	;; [unrolled: 6-line block ×3, first 2 shown]
	buffer_load_dword v0, off, s[48:51], 0 offset:76 ; 4-byte Folded Reload
	v_cmp_gt_i32_e64 s[0:1], s30, v43
	s_waitcnt vmcnt(0)
	v_cndmask_b32_e64 v0, 0, v0, s[0:1]
	buffer_store_dword v0, off, s[48:51], 0 offset:76 ; 4-byte Folded Spill
.LBB213_468:                            ;   in Loop: Header=BB213_390 Depth=1
	s_or_b64 exec, exec, s[6:7]
	global_load_dword v15, v[13:14], off offset:768
	v_mov_b32_e32 v18, 0
	v_mov_b32_e32 v16, 0
	;; [unrolled: 1-line block ×4, first 2 shown]
	s_waitcnt vmcnt(0)
	v_cmp_ne_u16_sdwa s[0:1], v15, v5 src0_sel:BYTE_0 src1_sel:DWORD
	s_and_saveexec_b64 s[6:7], s[0:1]
	s_cbranch_execz .LBB213_474
; %bb.469:                              ;   in Loop: Header=BB213_390 Depth=1
	v_bfrev_b32_e32 v16, 1
	v_mov_b32_e32 v17, 0
	v_cmp_ne_u16_sdwa s[0:1], v15, s24 src0_sel:BYTE_0 src1_sel:DWORD
	s_and_saveexec_b64 s[12:13], s[0:1]
	s_cbranch_execz .LBB213_473
; %bb.470:                              ;   in Loop: Header=BB213_390 Depth=1
	v_and_b32_e32 v0, 0x7f, v15
	v_mov_b32_e32 v16, 0x7f800001
	v_mov_b32_e32 v17, 0
	v_cmp_ne_u32_e64 s[0:1], s25, v0
	s_and_saveexec_b64 s[14:15], s[0:1]
	s_cbranch_execz .LBB213_472
; %bb.471:                              ;   in Loop: Header=BB213_390 Depth=1
	v_and_b32_e32 v11, 7, v15
	v_lshrrev_b32_e32 v16, 3, v0
	v_cmp_gt_u32_e64 s[0:1], 8, v0
	v_ffbh_u32_e32 v0, v11
	v_min_u32_e32 v0, 32, v0
	v_subrev_u32_e32 v7, 28, v0
	v_lshlrev_b64 v[7:8], v7, v[15:16]
	v_sub_u32_e32 v0, 29, v0
	v_and_b32_e32 v7, 7, v7
	v_cndmask_b32_e64 v0, v16, v0, s[0:1]
	v_cndmask_b32_e64 v7, v11, v7, s[0:1]
	v_lshlrev_b32_e32 v7, 20, v7
	v_and_b32_sdwa v8, sext(v15), s26 dst_sel:DWORD dst_unused:UNUSED_PAD src0_sel:BYTE_0 src1_sel:DWORD
	v_lshl_add_u32 v0, v0, 23, v59
	v_or3_b32 v16, v8, v0, v7
	v_mov_b32_e32 v17, v5
.LBB213_472:                            ;   in Loop: Header=BB213_390 Depth=1
	s_or_b64 exec, exec, s[14:15]
.LBB213_473:                            ;   in Loop: Header=BB213_390 Depth=1
	s_or_b64 exec, exec, s[12:13]
.LBB213_474:                            ;   in Loop: Header=BB213_390 Depth=1
	s_or_b64 exec, exec, s[6:7]
	v_cmp_ne_u16_sdwa s[0:1], v15, v5 src0_sel:BYTE_1 src1_sel:DWORD
	s_and_saveexec_b64 s[6:7], s[0:1]
	s_cbranch_execz .LBB213_480
; %bb.475:                              ;   in Loop: Header=BB213_390 Depth=1
	v_mov_b32_e32 v19, v6
	v_cmp_ne_u16_sdwa s[0:1], v15, s24 src0_sel:BYTE_1 src1_sel:DWORD
	v_mov_b32_e32 v18, v5
	s_and_saveexec_b64 s[12:13], s[0:1]
	s_cbranch_execz .LBB213_479
; %bb.476:                              ;   in Loop: Header=BB213_390 Depth=1
	v_and_b32_sdwa v7, v15, s25 dst_sel:DWORD dst_unused:UNUSED_PAD src0_sel:BYTE_1 src1_sel:DWORD
	v_mov_b32_e32 v11, v5
	v_mov_b32_e32 v19, v12
	v_cmp_ne_u32_e64 s[0:1], s25, v7
	v_mov_b32_e32 v18, v11
	s_and_saveexec_b64 s[14:15], s[0:1]
	s_cbranch_execz .LBB213_478
; %bb.477:                              ;   in Loop: Header=BB213_390 Depth=1
	v_and_b32_sdwa v18, v15, v29 dst_sel:DWORD dst_unused:UNUSED_PAD src0_sel:BYTE_1 src1_sel:DWORD
	v_lshrrev_b32_e32 v0, 3, v7
	v_cmp_gt_u32_e64 s[0:1], 8, v7
	v_ffbh_u32_e32 v7, v18
	v_min_u32_e32 v11, 32, v7
	v_mov_b32_e32 v19, v5
	v_subrev_u32_e32 v7, 28, v11
	v_lshlrev_b64 v[7:8], v7, v[18:19]
	v_sub_u32_e32 v8, 29, v11
	v_and_b32_e32 v7, 7, v7
	v_cndmask_b32_e64 v0, v0, v8, s[0:1]
	v_cndmask_b32_e64 v7, v18, v7, s[0:1]
	v_lshlrev_b32_e32 v8, 16, v15
	v_lshl_add_u32 v0, v0, 23, v59
	v_and_or_b32 v0, v8, s26, v0
	v_lshlrev_b32_e32 v7, 20, v7
	v_or_b32_e32 v19, v0, v7
	v_mov_b32_e32 v18, v5
.LBB213_478:                            ;   in Loop: Header=BB213_390 Depth=1
	s_or_b64 exec, exec, s[14:15]
.LBB213_479:                            ;   in Loop: Header=BB213_390 Depth=1
	s_or_b64 exec, exec, s[12:13]
.LBB213_480:                            ;   in Loop: Header=BB213_390 Depth=1
	s_or_b64 exec, exec, s[6:7]
	v_lshrrev_b32_e32 v11, 16, v15
	v_mov_b32_e32 v22, 0
	v_mov_b32_e32 v20, 0
	;; [unrolled: 1-line block ×4, first 2 shown]
	v_cmp_ne_u16_sdwa s[0:1], v11, v5 src0_sel:BYTE_0 src1_sel:DWORD
	s_and_saveexec_b64 s[6:7], s[0:1]
	s_cbranch_execz .LBB213_486
; %bb.481:                              ;   in Loop: Header=BB213_390 Depth=1
	v_bfrev_b32_e32 v20, 1
	v_mov_b32_e32 v21, 0
	v_cmp_ne_u16_sdwa s[0:1], v11, s24 src0_sel:BYTE_0 src1_sel:DWORD
	s_and_saveexec_b64 s[12:13], s[0:1]
	s_cbranch_execz .LBB213_485
; %bb.482:                              ;   in Loop: Header=BB213_390 Depth=1
	v_bfe_u32 v0, v15, 16, 7
	v_mov_b32_e32 v20, 0x7f800001
	v_mov_b32_e32 v21, 0
	v_cmp_ne_u32_e64 s[0:1], s25, v0
	s_and_saveexec_b64 s[14:15], s[0:1]
	s_cbranch_execz .LBB213_484
; %bb.483:                              ;   in Loop: Header=BB213_390 Depth=1
	v_and_b32_e32 v20, 7, v11
	v_lshrrev_b32_e32 v21, 3, v0
	v_cmp_gt_u32_e64 s[0:1], 8, v0
	v_ffbh_u32_e32 v0, v20
	v_min_u32_e32 v0, 32, v0
	v_subrev_u32_e32 v7, 28, v0
	v_lshlrev_b64 v[7:8], v7, v[11:12]
	v_sub_u32_e32 v0, 29, v0
	v_and_b32_e32 v7, 7, v7
	v_cndmask_b32_e64 v0, v21, v0, s[0:1]
	v_cndmask_b32_e64 v7, v20, v7, s[0:1]
	v_lshlrev_b32_e32 v7, 20, v7
	v_and_b32_sdwa v8, sext(v11), s26 dst_sel:DWORD dst_unused:UNUSED_PAD src0_sel:BYTE_0 src1_sel:DWORD
	v_lshl_add_u32 v0, v0, 23, v59
	v_or3_b32 v20, v8, v0, v7
	v_mov_b32_e32 v21, v5
.LBB213_484:                            ;   in Loop: Header=BB213_390 Depth=1
	s_or_b64 exec, exec, s[14:15]
.LBB213_485:                            ;   in Loop: Header=BB213_390 Depth=1
	s_or_b64 exec, exec, s[12:13]
.LBB213_486:                            ;   in Loop: Header=BB213_390 Depth=1
	s_or_b64 exec, exec, s[6:7]
	v_cmp_lt_u32_e64 s[0:1], s27, v15
	s_and_saveexec_b64 s[6:7], s[0:1]
	s_cbranch_execz .LBB213_492
; %bb.487:                              ;   in Loop: Header=BB213_390 Depth=1
	v_mov_b32_e32 v23, v6
	v_cmp_ne_u32_sdwa s[0:1], v15, s24 src0_sel:BYTE_3 src1_sel:DWORD
	v_mov_b32_e32 v22, v5
	s_and_saveexec_b64 s[12:13], s[0:1]
	s_cbranch_execz .LBB213_491
; %bb.488:                              ;   in Loop: Header=BB213_390 Depth=1
	v_bfe_u32 v7, v15, 24, 7
	v_mov_b32_e32 v11, v5
	v_mov_b32_e32 v23, v12
	v_cmp_ne_u32_e64 s[0:1], s25, v7
	v_mov_b32_e32 v22, v11
	s_and_saveexec_b64 s[14:15], s[0:1]
	s_cbranch_execz .LBB213_490
; %bb.489:                              ;   in Loop: Header=BB213_390 Depth=1
	v_and_b32_sdwa v22, v15, v29 dst_sel:DWORD dst_unused:UNUSED_PAD src0_sel:BYTE_3 src1_sel:DWORD
	v_lshrrev_b32_e32 v0, 3, v7
	v_cmp_gt_u32_e64 s[0:1], 8, v7
	v_ffbh_u32_e32 v7, v22
	v_min_u32_e32 v11, 32, v7
	v_mov_b32_e32 v23, v5
	v_subrev_u32_e32 v7, 28, v11
	v_lshlrev_b64 v[7:8], v7, v[22:23]
	v_sub_u32_e32 v8, 29, v11
	v_and_b32_e32 v7, 7, v7
	v_cndmask_b32_e64 v0, v0, v8, s[0:1]
	v_mov_b32_e32 v8, 24
	v_cndmask_b32_e64 v7, v22, v7, s[0:1]
	v_lshlrev_b32_sdwa v8, v8, v15 dst_sel:DWORD dst_unused:UNUSED_PAD src0_sel:DWORD src1_sel:BYTE_3
	v_lshl_add_u32 v0, v0, 23, v59
	v_and_or_b32 v0, v8, s26, v0
	v_lshlrev_b32_e32 v7, 20, v7
	v_or_b32_e32 v23, v0, v7
	v_mov_b32_e32 v22, v5
.LBB213_490:                            ;   in Loop: Header=BB213_390 Depth=1
	s_or_b64 exec, exec, s[14:15]
.LBB213_491:                            ;   in Loop: Header=BB213_390 Depth=1
	s_or_b64 exec, exec, s[12:13]
.LBB213_492:                            ;   in Loop: Header=BB213_390 Depth=1
	s_or_b64 exec, exec, s[6:7]
	v_or_b32_e32 v0, v19, v17
	v_or_b32_e32 v7, v18, v16
	v_mul_f32_e32 v0, s18, v0
	buffer_store_dword v0, off, s[48:51], 0 offset:100 ; 4-byte Folded Spill
	v_mul_f32_e32 v0, s17, v7
	buffer_store_dword v0, off, s[48:51], 0 offset:124 ; 4-byte Folded Spill
	v_or_b32_e32 v0, v23, v21
	v_or_b32_e32 v7, v22, v20
	v_mul_f32_e32 v7, s17, v7
	v_mul_f32_e32 v0, s18, v0
	buffer_store_dword v7, off, s[48:51], 0 offset:116 ; 4-byte Folded Spill
	buffer_store_dword v0, off, s[48:51], 0 offset:108 ; 4-byte Folded Spill
	s_and_saveexec_b64 s[6:7], vcc
	s_cbranch_execz .LBB213_494
; %bb.493:                              ;   in Loop: Header=BB213_390 Depth=1
	v_add_u32_e32 v0, -3, v43
	v_cmp_gt_i32_e64 s[0:1], s30, v0
	buffer_load_dword v0, off, s[48:51], 0 offset:124 ; 4-byte Folded Reload
	s_waitcnt vmcnt(0)
	v_cndmask_b32_e64 v0, 0, v0, s[0:1]
	buffer_store_dword v0, off, s[48:51], 0 offset:124 ; 4-byte Folded Spill
	v_add_u32_e32 v0, -2, v43
	v_cmp_gt_i32_e64 s[0:1], s30, v0
	buffer_load_dword v0, off, s[48:51], 0 offset:100 ; 4-byte Folded Reload
	s_waitcnt vmcnt(0)
	v_cndmask_b32_e64 v0, 0, v0, s[0:1]
	buffer_store_dword v0, off, s[48:51], 0 offset:100 ; 4-byte Folded Spill
	;; [unrolled: 6-line block ×3, first 2 shown]
	buffer_load_dword v0, off, s[48:51], 0 offset:108 ; 4-byte Folded Reload
	v_cmp_gt_i32_e64 s[0:1], s30, v43
	s_waitcnt vmcnt(0)
	v_cndmask_b32_e64 v0, 0, v0, s[0:1]
	buffer_store_dword v0, off, s[48:51], 0 offset:108 ; 4-byte Folded Spill
.LBB213_494:                            ;   in Loop: Header=BB213_390 Depth=1
	s_or_b64 exec, exec, s[6:7]
	global_load_dword v15, v[13:14], off offset:1024
	v_mov_b32_e32 v18, 0
	v_mov_b32_e32 v16, 0
	;; [unrolled: 1-line block ×4, first 2 shown]
	s_waitcnt vmcnt(0)
	v_cmp_ne_u16_sdwa s[0:1], v15, v5 src0_sel:BYTE_0 src1_sel:DWORD
	s_and_saveexec_b64 s[6:7], s[0:1]
	s_cbranch_execz .LBB213_500
; %bb.495:                              ;   in Loop: Header=BB213_390 Depth=1
	v_bfrev_b32_e32 v16, 1
	v_mov_b32_e32 v17, 0
	v_cmp_ne_u16_sdwa s[0:1], v15, s24 src0_sel:BYTE_0 src1_sel:DWORD
	s_and_saveexec_b64 s[12:13], s[0:1]
	s_cbranch_execz .LBB213_499
; %bb.496:                              ;   in Loop: Header=BB213_390 Depth=1
	v_and_b32_e32 v0, 0x7f, v15
	v_mov_b32_e32 v16, 0x7f800001
	v_mov_b32_e32 v17, 0
	v_cmp_ne_u32_e64 s[0:1], s25, v0
	s_and_saveexec_b64 s[14:15], s[0:1]
	s_cbranch_execz .LBB213_498
; %bb.497:                              ;   in Loop: Header=BB213_390 Depth=1
	v_and_b32_e32 v11, 7, v15
	v_lshrrev_b32_e32 v16, 3, v0
	v_cmp_gt_u32_e64 s[0:1], 8, v0
	v_ffbh_u32_e32 v0, v11
	v_min_u32_e32 v0, 32, v0
	v_subrev_u32_e32 v7, 28, v0
	v_lshlrev_b64 v[7:8], v7, v[15:16]
	v_sub_u32_e32 v0, 29, v0
	v_and_b32_e32 v7, 7, v7
	v_cndmask_b32_e64 v0, v16, v0, s[0:1]
	v_cndmask_b32_e64 v7, v11, v7, s[0:1]
	v_lshlrev_b32_e32 v7, 20, v7
	v_and_b32_sdwa v8, sext(v15), s26 dst_sel:DWORD dst_unused:UNUSED_PAD src0_sel:BYTE_0 src1_sel:DWORD
	v_lshl_add_u32 v0, v0, 23, v59
	v_or3_b32 v16, v8, v0, v7
	v_mov_b32_e32 v17, v5
.LBB213_498:                            ;   in Loop: Header=BB213_390 Depth=1
	s_or_b64 exec, exec, s[14:15]
.LBB213_499:                            ;   in Loop: Header=BB213_390 Depth=1
	s_or_b64 exec, exec, s[12:13]
.LBB213_500:                            ;   in Loop: Header=BB213_390 Depth=1
	s_or_b64 exec, exec, s[6:7]
	v_cmp_ne_u16_sdwa s[0:1], v15, v5 src0_sel:BYTE_1 src1_sel:DWORD
	s_and_saveexec_b64 s[6:7], s[0:1]
	s_cbranch_execz .LBB213_506
; %bb.501:                              ;   in Loop: Header=BB213_390 Depth=1
	v_mov_b32_e32 v19, v6
	v_cmp_ne_u16_sdwa s[0:1], v15, s24 src0_sel:BYTE_1 src1_sel:DWORD
	v_mov_b32_e32 v18, v5
	s_and_saveexec_b64 s[12:13], s[0:1]
	s_cbranch_execz .LBB213_505
; %bb.502:                              ;   in Loop: Header=BB213_390 Depth=1
	v_and_b32_sdwa v7, v15, s25 dst_sel:DWORD dst_unused:UNUSED_PAD src0_sel:BYTE_1 src1_sel:DWORD
	v_mov_b32_e32 v11, v5
	v_mov_b32_e32 v19, v12
	v_cmp_ne_u32_e64 s[0:1], s25, v7
	v_mov_b32_e32 v18, v11
	s_and_saveexec_b64 s[14:15], s[0:1]
	s_cbranch_execz .LBB213_504
; %bb.503:                              ;   in Loop: Header=BB213_390 Depth=1
	v_and_b32_sdwa v18, v15, v29 dst_sel:DWORD dst_unused:UNUSED_PAD src0_sel:BYTE_1 src1_sel:DWORD
	v_lshrrev_b32_e32 v0, 3, v7
	v_cmp_gt_u32_e64 s[0:1], 8, v7
	v_ffbh_u32_e32 v7, v18
	v_min_u32_e32 v11, 32, v7
	v_mov_b32_e32 v19, v5
	v_subrev_u32_e32 v7, 28, v11
	v_lshlrev_b64 v[7:8], v7, v[18:19]
	v_sub_u32_e32 v8, 29, v11
	v_and_b32_e32 v7, 7, v7
	v_cndmask_b32_e64 v0, v0, v8, s[0:1]
	v_cndmask_b32_e64 v7, v18, v7, s[0:1]
	v_lshlrev_b32_e32 v8, 16, v15
	v_lshl_add_u32 v0, v0, 23, v59
	v_and_or_b32 v0, v8, s26, v0
	v_lshlrev_b32_e32 v7, 20, v7
	v_or_b32_e32 v19, v0, v7
	v_mov_b32_e32 v18, v5
.LBB213_504:                            ;   in Loop: Header=BB213_390 Depth=1
	s_or_b64 exec, exec, s[14:15]
.LBB213_505:                            ;   in Loop: Header=BB213_390 Depth=1
	s_or_b64 exec, exec, s[12:13]
.LBB213_506:                            ;   in Loop: Header=BB213_390 Depth=1
	s_or_b64 exec, exec, s[6:7]
	v_lshrrev_b32_e32 v11, 16, v15
	v_mov_b32_e32 v22, 0
	v_mov_b32_e32 v20, 0
	;; [unrolled: 1-line block ×4, first 2 shown]
	v_cmp_ne_u16_sdwa s[0:1], v11, v5 src0_sel:BYTE_0 src1_sel:DWORD
	s_and_saveexec_b64 s[6:7], s[0:1]
	s_cbranch_execz .LBB213_512
; %bb.507:                              ;   in Loop: Header=BB213_390 Depth=1
	v_bfrev_b32_e32 v20, 1
	v_mov_b32_e32 v21, 0
	v_cmp_ne_u16_sdwa s[0:1], v11, s24 src0_sel:BYTE_0 src1_sel:DWORD
	s_and_saveexec_b64 s[12:13], s[0:1]
	s_cbranch_execz .LBB213_511
; %bb.508:                              ;   in Loop: Header=BB213_390 Depth=1
	v_bfe_u32 v0, v15, 16, 7
	v_mov_b32_e32 v20, 0x7f800001
	v_mov_b32_e32 v21, 0
	v_cmp_ne_u32_e64 s[0:1], s25, v0
	s_and_saveexec_b64 s[14:15], s[0:1]
	s_cbranch_execz .LBB213_510
; %bb.509:                              ;   in Loop: Header=BB213_390 Depth=1
	v_and_b32_e32 v20, 7, v11
	v_lshrrev_b32_e32 v21, 3, v0
	v_cmp_gt_u32_e64 s[0:1], 8, v0
	v_ffbh_u32_e32 v0, v20
	v_min_u32_e32 v0, 32, v0
	v_subrev_u32_e32 v7, 28, v0
	v_lshlrev_b64 v[7:8], v7, v[11:12]
	v_sub_u32_e32 v0, 29, v0
	v_and_b32_e32 v7, 7, v7
	v_cndmask_b32_e64 v0, v21, v0, s[0:1]
	v_cndmask_b32_e64 v7, v20, v7, s[0:1]
	v_lshlrev_b32_e32 v7, 20, v7
	v_and_b32_sdwa v8, sext(v11), s26 dst_sel:DWORD dst_unused:UNUSED_PAD src0_sel:BYTE_0 src1_sel:DWORD
	v_lshl_add_u32 v0, v0, 23, v59
	v_or3_b32 v20, v8, v0, v7
	v_mov_b32_e32 v21, v5
.LBB213_510:                            ;   in Loop: Header=BB213_390 Depth=1
	s_or_b64 exec, exec, s[14:15]
.LBB213_511:                            ;   in Loop: Header=BB213_390 Depth=1
	s_or_b64 exec, exec, s[12:13]
.LBB213_512:                            ;   in Loop: Header=BB213_390 Depth=1
	s_or_b64 exec, exec, s[6:7]
	v_cmp_lt_u32_e64 s[0:1], s27, v15
	s_and_saveexec_b64 s[6:7], s[0:1]
	s_cbranch_execz .LBB213_518
; %bb.513:                              ;   in Loop: Header=BB213_390 Depth=1
	v_mov_b32_e32 v23, v6
	v_cmp_ne_u32_sdwa s[0:1], v15, s24 src0_sel:BYTE_3 src1_sel:DWORD
	v_mov_b32_e32 v22, v5
	s_and_saveexec_b64 s[12:13], s[0:1]
	s_cbranch_execz .LBB213_517
; %bb.514:                              ;   in Loop: Header=BB213_390 Depth=1
	v_bfe_u32 v7, v15, 24, 7
	v_mov_b32_e32 v11, v5
	v_mov_b32_e32 v23, v12
	v_cmp_ne_u32_e64 s[0:1], s25, v7
	v_mov_b32_e32 v22, v11
	s_and_saveexec_b64 s[14:15], s[0:1]
	s_cbranch_execz .LBB213_516
; %bb.515:                              ;   in Loop: Header=BB213_390 Depth=1
	v_and_b32_sdwa v22, v15, v29 dst_sel:DWORD dst_unused:UNUSED_PAD src0_sel:BYTE_3 src1_sel:DWORD
	v_lshrrev_b32_e32 v0, 3, v7
	v_cmp_gt_u32_e64 s[0:1], 8, v7
	v_ffbh_u32_e32 v7, v22
	v_min_u32_e32 v11, 32, v7
	v_mov_b32_e32 v23, v5
	v_subrev_u32_e32 v7, 28, v11
	v_lshlrev_b64 v[7:8], v7, v[22:23]
	v_sub_u32_e32 v8, 29, v11
	v_and_b32_e32 v7, 7, v7
	v_cndmask_b32_e64 v0, v0, v8, s[0:1]
	v_mov_b32_e32 v8, 24
	v_cndmask_b32_e64 v7, v22, v7, s[0:1]
	v_lshlrev_b32_sdwa v8, v8, v15 dst_sel:DWORD dst_unused:UNUSED_PAD src0_sel:DWORD src1_sel:BYTE_3
	v_lshl_add_u32 v0, v0, 23, v59
	v_and_or_b32 v0, v8, s26, v0
	v_lshlrev_b32_e32 v7, 20, v7
	v_or_b32_e32 v23, v0, v7
	v_mov_b32_e32 v22, v5
.LBB213_516:                            ;   in Loop: Header=BB213_390 Depth=1
	s_or_b64 exec, exec, s[14:15]
.LBB213_517:                            ;   in Loop: Header=BB213_390 Depth=1
	s_or_b64 exec, exec, s[12:13]
.LBB213_518:                            ;   in Loop: Header=BB213_390 Depth=1
	s_or_b64 exec, exec, s[6:7]
	v_or_b32_e32 v0, v19, v17
	v_or_b32_e32 v7, v18, v16
	v_mul_f32_e32 v0, s18, v0
	buffer_store_dword v0, off, s[48:51], 0 offset:132 ; 4-byte Folded Spill
	v_mul_f32_e32 v0, s17, v7
	buffer_store_dword v0, off, s[48:51], 0 offset:156 ; 4-byte Folded Spill
	v_or_b32_e32 v0, v23, v21
	v_or_b32_e32 v7, v22, v20
	v_mul_f32_e32 v7, s17, v7
	v_mul_f32_e32 v0, s18, v0
	buffer_store_dword v7, off, s[48:51], 0 offset:148 ; 4-byte Folded Spill
	buffer_store_dword v0, off, s[48:51], 0 offset:140 ; 4-byte Folded Spill
	s_and_saveexec_b64 s[6:7], vcc
	s_cbranch_execz .LBB213_520
; %bb.519:                              ;   in Loop: Header=BB213_390 Depth=1
	v_add_u32_e32 v0, -3, v43
	v_cmp_gt_i32_e64 s[0:1], s30, v0
	buffer_load_dword v0, off, s[48:51], 0 offset:156 ; 4-byte Folded Reload
	s_waitcnt vmcnt(0)
	v_cndmask_b32_e64 v0, 0, v0, s[0:1]
	buffer_store_dword v0, off, s[48:51], 0 offset:156 ; 4-byte Folded Spill
	v_add_u32_e32 v0, -2, v43
	v_cmp_gt_i32_e64 s[0:1], s30, v0
	buffer_load_dword v0, off, s[48:51], 0 offset:132 ; 4-byte Folded Reload
	s_waitcnt vmcnt(0)
	v_cndmask_b32_e64 v0, 0, v0, s[0:1]
	buffer_store_dword v0, off, s[48:51], 0 offset:132 ; 4-byte Folded Spill
	;; [unrolled: 6-line block ×3, first 2 shown]
	buffer_load_dword v0, off, s[48:51], 0 offset:140 ; 4-byte Folded Reload
	v_cmp_gt_i32_e64 s[0:1], s30, v43
	s_waitcnt vmcnt(0)
	v_cndmask_b32_e64 v0, 0, v0, s[0:1]
	buffer_store_dword v0, off, s[48:51], 0 offset:140 ; 4-byte Folded Spill
.LBB213_520:                            ;   in Loop: Header=BB213_390 Depth=1
	s_or_b64 exec, exec, s[6:7]
	global_load_dword v15, v[13:14], off offset:1280
	v_mov_b32_e32 v18, 0
	v_mov_b32_e32 v16, 0
	;; [unrolled: 1-line block ×4, first 2 shown]
	s_waitcnt vmcnt(0)
	v_cmp_ne_u16_sdwa s[0:1], v15, v5 src0_sel:BYTE_0 src1_sel:DWORD
	s_and_saveexec_b64 s[6:7], s[0:1]
	s_cbranch_execz .LBB213_526
; %bb.521:                              ;   in Loop: Header=BB213_390 Depth=1
	v_bfrev_b32_e32 v16, 1
	v_mov_b32_e32 v17, 0
	v_cmp_ne_u16_sdwa s[0:1], v15, s24 src0_sel:BYTE_0 src1_sel:DWORD
	s_and_saveexec_b64 s[12:13], s[0:1]
	s_cbranch_execz .LBB213_525
; %bb.522:                              ;   in Loop: Header=BB213_390 Depth=1
	v_and_b32_e32 v0, 0x7f, v15
	v_mov_b32_e32 v16, 0x7f800001
	v_mov_b32_e32 v17, 0
	v_cmp_ne_u32_e64 s[0:1], s25, v0
	s_and_saveexec_b64 s[14:15], s[0:1]
	s_cbranch_execz .LBB213_524
; %bb.523:                              ;   in Loop: Header=BB213_390 Depth=1
	v_and_b32_e32 v11, 7, v15
	v_lshrrev_b32_e32 v16, 3, v0
	v_cmp_gt_u32_e64 s[0:1], 8, v0
	v_ffbh_u32_e32 v0, v11
	v_min_u32_e32 v0, 32, v0
	v_subrev_u32_e32 v7, 28, v0
	v_lshlrev_b64 v[7:8], v7, v[15:16]
	v_sub_u32_e32 v0, 29, v0
	v_and_b32_e32 v7, 7, v7
	v_cndmask_b32_e64 v0, v16, v0, s[0:1]
	v_cndmask_b32_e64 v7, v11, v7, s[0:1]
	v_lshlrev_b32_e32 v7, 20, v7
	v_and_b32_sdwa v8, sext(v15), s26 dst_sel:DWORD dst_unused:UNUSED_PAD src0_sel:BYTE_0 src1_sel:DWORD
	v_lshl_add_u32 v0, v0, 23, v59
	v_or3_b32 v16, v8, v0, v7
	v_mov_b32_e32 v17, v5
.LBB213_524:                            ;   in Loop: Header=BB213_390 Depth=1
	s_or_b64 exec, exec, s[14:15]
.LBB213_525:                            ;   in Loop: Header=BB213_390 Depth=1
	s_or_b64 exec, exec, s[12:13]
.LBB213_526:                            ;   in Loop: Header=BB213_390 Depth=1
	s_or_b64 exec, exec, s[6:7]
	v_cmp_ne_u16_sdwa s[0:1], v15, v5 src0_sel:BYTE_1 src1_sel:DWORD
	s_and_saveexec_b64 s[6:7], s[0:1]
	s_cbranch_execz .LBB213_532
; %bb.527:                              ;   in Loop: Header=BB213_390 Depth=1
	v_mov_b32_e32 v19, v6
	v_cmp_ne_u16_sdwa s[0:1], v15, s24 src0_sel:BYTE_1 src1_sel:DWORD
	v_mov_b32_e32 v18, v5
	s_and_saveexec_b64 s[12:13], s[0:1]
	s_cbranch_execz .LBB213_531
; %bb.528:                              ;   in Loop: Header=BB213_390 Depth=1
	v_and_b32_sdwa v7, v15, s25 dst_sel:DWORD dst_unused:UNUSED_PAD src0_sel:BYTE_1 src1_sel:DWORD
	v_mov_b32_e32 v11, v5
	v_mov_b32_e32 v19, v12
	v_cmp_ne_u32_e64 s[0:1], s25, v7
	v_mov_b32_e32 v18, v11
	s_and_saveexec_b64 s[14:15], s[0:1]
	s_cbranch_execz .LBB213_530
; %bb.529:                              ;   in Loop: Header=BB213_390 Depth=1
	v_and_b32_sdwa v18, v15, v29 dst_sel:DWORD dst_unused:UNUSED_PAD src0_sel:BYTE_1 src1_sel:DWORD
	v_lshrrev_b32_e32 v0, 3, v7
	v_cmp_gt_u32_e64 s[0:1], 8, v7
	v_ffbh_u32_e32 v7, v18
	v_min_u32_e32 v11, 32, v7
	v_mov_b32_e32 v19, v5
	v_subrev_u32_e32 v7, 28, v11
	v_lshlrev_b64 v[7:8], v7, v[18:19]
	v_sub_u32_e32 v8, 29, v11
	v_and_b32_e32 v7, 7, v7
	v_cndmask_b32_e64 v0, v0, v8, s[0:1]
	v_cndmask_b32_e64 v7, v18, v7, s[0:1]
	v_lshlrev_b32_e32 v8, 16, v15
	v_lshl_add_u32 v0, v0, 23, v59
	v_and_or_b32 v0, v8, s26, v0
	v_lshlrev_b32_e32 v7, 20, v7
	v_or_b32_e32 v19, v0, v7
	v_mov_b32_e32 v18, v5
.LBB213_530:                            ;   in Loop: Header=BB213_390 Depth=1
	s_or_b64 exec, exec, s[14:15]
.LBB213_531:                            ;   in Loop: Header=BB213_390 Depth=1
	s_or_b64 exec, exec, s[12:13]
.LBB213_532:                            ;   in Loop: Header=BB213_390 Depth=1
	s_or_b64 exec, exec, s[6:7]
	v_lshrrev_b32_e32 v11, 16, v15
	v_mov_b32_e32 v22, 0
	v_mov_b32_e32 v20, 0
	;; [unrolled: 1-line block ×4, first 2 shown]
	v_cmp_ne_u16_sdwa s[0:1], v11, v5 src0_sel:BYTE_0 src1_sel:DWORD
	s_and_saveexec_b64 s[6:7], s[0:1]
	s_cbranch_execz .LBB213_538
; %bb.533:                              ;   in Loop: Header=BB213_390 Depth=1
	v_bfrev_b32_e32 v20, 1
	v_mov_b32_e32 v21, 0
	v_cmp_ne_u16_sdwa s[0:1], v11, s24 src0_sel:BYTE_0 src1_sel:DWORD
	s_and_saveexec_b64 s[12:13], s[0:1]
	s_cbranch_execz .LBB213_537
; %bb.534:                              ;   in Loop: Header=BB213_390 Depth=1
	v_bfe_u32 v0, v15, 16, 7
	v_mov_b32_e32 v20, 0x7f800001
	v_mov_b32_e32 v21, 0
	v_cmp_ne_u32_e64 s[0:1], s25, v0
	s_and_saveexec_b64 s[14:15], s[0:1]
	s_cbranch_execz .LBB213_536
; %bb.535:                              ;   in Loop: Header=BB213_390 Depth=1
	v_and_b32_e32 v20, 7, v11
	v_lshrrev_b32_e32 v21, 3, v0
	v_cmp_gt_u32_e64 s[0:1], 8, v0
	v_ffbh_u32_e32 v0, v20
	v_min_u32_e32 v0, 32, v0
	v_subrev_u32_e32 v7, 28, v0
	v_lshlrev_b64 v[7:8], v7, v[11:12]
	v_sub_u32_e32 v0, 29, v0
	v_and_b32_e32 v7, 7, v7
	v_cndmask_b32_e64 v0, v21, v0, s[0:1]
	v_cndmask_b32_e64 v7, v20, v7, s[0:1]
	v_lshlrev_b32_e32 v7, 20, v7
	v_and_b32_sdwa v8, sext(v11), s26 dst_sel:DWORD dst_unused:UNUSED_PAD src0_sel:BYTE_0 src1_sel:DWORD
	v_lshl_add_u32 v0, v0, 23, v59
	v_or3_b32 v20, v8, v0, v7
	v_mov_b32_e32 v21, v5
.LBB213_536:                            ;   in Loop: Header=BB213_390 Depth=1
	s_or_b64 exec, exec, s[14:15]
.LBB213_537:                            ;   in Loop: Header=BB213_390 Depth=1
	s_or_b64 exec, exec, s[12:13]
.LBB213_538:                            ;   in Loop: Header=BB213_390 Depth=1
	s_or_b64 exec, exec, s[6:7]
	v_cmp_lt_u32_e64 s[0:1], s27, v15
	s_and_saveexec_b64 s[6:7], s[0:1]
	s_cbranch_execz .LBB213_544
; %bb.539:                              ;   in Loop: Header=BB213_390 Depth=1
	v_mov_b32_e32 v23, v6
	v_cmp_ne_u32_sdwa s[0:1], v15, s24 src0_sel:BYTE_3 src1_sel:DWORD
	v_mov_b32_e32 v22, v5
	s_and_saveexec_b64 s[12:13], s[0:1]
	s_cbranch_execz .LBB213_543
; %bb.540:                              ;   in Loop: Header=BB213_390 Depth=1
	v_bfe_u32 v7, v15, 24, 7
	v_mov_b32_e32 v11, v5
	v_mov_b32_e32 v23, v12
	v_cmp_ne_u32_e64 s[0:1], s25, v7
	v_mov_b32_e32 v22, v11
	s_and_saveexec_b64 s[14:15], s[0:1]
	s_cbranch_execz .LBB213_542
; %bb.541:                              ;   in Loop: Header=BB213_390 Depth=1
	v_and_b32_sdwa v22, v15, v29 dst_sel:DWORD dst_unused:UNUSED_PAD src0_sel:BYTE_3 src1_sel:DWORD
	v_lshrrev_b32_e32 v0, 3, v7
	v_cmp_gt_u32_e64 s[0:1], 8, v7
	v_ffbh_u32_e32 v7, v22
	v_min_u32_e32 v11, 32, v7
	v_mov_b32_e32 v23, v5
	v_subrev_u32_e32 v7, 28, v11
	v_lshlrev_b64 v[7:8], v7, v[22:23]
	v_sub_u32_e32 v8, 29, v11
	v_and_b32_e32 v7, 7, v7
	v_cndmask_b32_e64 v0, v0, v8, s[0:1]
	v_mov_b32_e32 v8, 24
	v_cndmask_b32_e64 v7, v22, v7, s[0:1]
	v_lshlrev_b32_sdwa v8, v8, v15 dst_sel:DWORD dst_unused:UNUSED_PAD src0_sel:DWORD src1_sel:BYTE_3
	v_lshl_add_u32 v0, v0, 23, v59
	v_and_or_b32 v0, v8, s26, v0
	v_lshlrev_b32_e32 v7, 20, v7
	v_or_b32_e32 v23, v0, v7
	v_mov_b32_e32 v22, v5
.LBB213_542:                            ;   in Loop: Header=BB213_390 Depth=1
	s_or_b64 exec, exec, s[14:15]
.LBB213_543:                            ;   in Loop: Header=BB213_390 Depth=1
	s_or_b64 exec, exec, s[12:13]
.LBB213_544:                            ;   in Loop: Header=BB213_390 Depth=1
	s_or_b64 exec, exec, s[6:7]
	v_or_b32_e32 v0, v19, v17
	v_or_b32_e32 v7, v18, v16
	v_mul_f32_e32 v0, s18, v0
	buffer_store_dword v0, off, s[48:51], 0 offset:164 ; 4-byte Folded Spill
	v_mul_f32_e32 v0, s17, v7
	buffer_store_dword v0, off, s[48:51], 0 offset:188 ; 4-byte Folded Spill
	v_or_b32_e32 v0, v23, v21
	v_or_b32_e32 v7, v22, v20
	v_mul_f32_e32 v7, s17, v7
	v_mul_f32_e32 v0, s18, v0
	buffer_store_dword v7, off, s[48:51], 0 offset:180 ; 4-byte Folded Spill
	buffer_store_dword v0, off, s[48:51], 0 offset:172 ; 4-byte Folded Spill
	s_and_saveexec_b64 s[6:7], vcc
	s_cbranch_execz .LBB213_546
; %bb.545:                              ;   in Loop: Header=BB213_390 Depth=1
	v_add_u32_e32 v0, -3, v43
	v_cmp_gt_i32_e64 s[0:1], s30, v0
	buffer_load_dword v0, off, s[48:51], 0 offset:188 ; 4-byte Folded Reload
	s_waitcnt vmcnt(0)
	v_cndmask_b32_e64 v0, 0, v0, s[0:1]
	buffer_store_dword v0, off, s[48:51], 0 offset:188 ; 4-byte Folded Spill
	v_add_u32_e32 v0, -2, v43
	v_cmp_gt_i32_e64 s[0:1], s30, v0
	buffer_load_dword v0, off, s[48:51], 0 offset:164 ; 4-byte Folded Reload
	s_waitcnt vmcnt(0)
	v_cndmask_b32_e64 v0, 0, v0, s[0:1]
	buffer_store_dword v0, off, s[48:51], 0 offset:164 ; 4-byte Folded Spill
	v_add_u32_e32 v0, -1, v43
	v_cmp_gt_i32_e64 s[0:1], s30, v0
	buffer_load_dword v0, off, s[48:51], 0 offset:180 ; 4-byte Folded Reload
	s_waitcnt vmcnt(0)
	v_cndmask_b32_e64 v0, 0, v0, s[0:1]
	buffer_store_dword v0, off, s[48:51], 0 offset:180 ; 4-byte Folded Spill
	buffer_load_dword v0, off, s[48:51], 0 offset:172 ; 4-byte Folded Reload
	v_cmp_gt_i32_e64 s[0:1], s30, v43
	s_waitcnt vmcnt(0)
	v_cndmask_b32_e64 v0, 0, v0, s[0:1]
	buffer_store_dword v0, off, s[48:51], 0 offset:172 ; 4-byte Folded Spill
.LBB213_546:                            ;   in Loop: Header=BB213_390 Depth=1
	s_or_b64 exec, exec, s[6:7]
	global_load_dword v15, v[13:14], off offset:1536
	v_mov_b32_e32 v18, 0
	v_mov_b32_e32 v16, 0
	;; [unrolled: 1-line block ×4, first 2 shown]
	s_waitcnt vmcnt(0)
	v_cmp_ne_u16_sdwa s[0:1], v15, v5 src0_sel:BYTE_0 src1_sel:DWORD
	s_and_saveexec_b64 s[6:7], s[0:1]
	s_cbranch_execz .LBB213_552
; %bb.547:                              ;   in Loop: Header=BB213_390 Depth=1
	v_bfrev_b32_e32 v16, 1
	v_mov_b32_e32 v17, 0
	v_cmp_ne_u16_sdwa s[0:1], v15, s24 src0_sel:BYTE_0 src1_sel:DWORD
	s_and_saveexec_b64 s[12:13], s[0:1]
	s_cbranch_execz .LBB213_551
; %bb.548:                              ;   in Loop: Header=BB213_390 Depth=1
	v_and_b32_e32 v0, 0x7f, v15
	v_mov_b32_e32 v16, 0x7f800001
	v_mov_b32_e32 v17, 0
	v_cmp_ne_u32_e64 s[0:1], s25, v0
	s_and_saveexec_b64 s[14:15], s[0:1]
	s_cbranch_execz .LBB213_550
; %bb.549:                              ;   in Loop: Header=BB213_390 Depth=1
	v_and_b32_e32 v11, 7, v15
	v_lshrrev_b32_e32 v16, 3, v0
	v_cmp_gt_u32_e64 s[0:1], 8, v0
	v_ffbh_u32_e32 v0, v11
	v_min_u32_e32 v0, 32, v0
	v_subrev_u32_e32 v7, 28, v0
	v_lshlrev_b64 v[7:8], v7, v[15:16]
	v_sub_u32_e32 v0, 29, v0
	v_and_b32_e32 v7, 7, v7
	v_cndmask_b32_e64 v0, v16, v0, s[0:1]
	v_cndmask_b32_e64 v7, v11, v7, s[0:1]
	v_lshlrev_b32_e32 v7, 20, v7
	v_and_b32_sdwa v8, sext(v15), s26 dst_sel:DWORD dst_unused:UNUSED_PAD src0_sel:BYTE_0 src1_sel:DWORD
	v_lshl_add_u32 v0, v0, 23, v59
	v_or3_b32 v16, v8, v0, v7
	v_mov_b32_e32 v17, v5
.LBB213_550:                            ;   in Loop: Header=BB213_390 Depth=1
	s_or_b64 exec, exec, s[14:15]
.LBB213_551:                            ;   in Loop: Header=BB213_390 Depth=1
	s_or_b64 exec, exec, s[12:13]
.LBB213_552:                            ;   in Loop: Header=BB213_390 Depth=1
	s_or_b64 exec, exec, s[6:7]
	v_cmp_ne_u16_sdwa s[0:1], v15, v5 src0_sel:BYTE_1 src1_sel:DWORD
	s_and_saveexec_b64 s[6:7], s[0:1]
	s_cbranch_execz .LBB213_558
; %bb.553:                              ;   in Loop: Header=BB213_390 Depth=1
	v_mov_b32_e32 v19, v6
	v_cmp_ne_u16_sdwa s[0:1], v15, s24 src0_sel:BYTE_1 src1_sel:DWORD
	v_mov_b32_e32 v18, v5
	s_and_saveexec_b64 s[12:13], s[0:1]
	s_cbranch_execz .LBB213_557
; %bb.554:                              ;   in Loop: Header=BB213_390 Depth=1
	v_and_b32_sdwa v7, v15, s25 dst_sel:DWORD dst_unused:UNUSED_PAD src0_sel:BYTE_1 src1_sel:DWORD
	v_mov_b32_e32 v11, v5
	v_mov_b32_e32 v19, v12
	v_cmp_ne_u32_e64 s[0:1], s25, v7
	v_mov_b32_e32 v18, v11
	s_and_saveexec_b64 s[14:15], s[0:1]
	s_cbranch_execz .LBB213_556
; %bb.555:                              ;   in Loop: Header=BB213_390 Depth=1
	v_and_b32_sdwa v18, v15, v29 dst_sel:DWORD dst_unused:UNUSED_PAD src0_sel:BYTE_1 src1_sel:DWORD
	v_lshrrev_b32_e32 v0, 3, v7
	v_cmp_gt_u32_e64 s[0:1], 8, v7
	v_ffbh_u32_e32 v7, v18
	v_min_u32_e32 v11, 32, v7
	v_mov_b32_e32 v19, v5
	v_subrev_u32_e32 v7, 28, v11
	v_lshlrev_b64 v[7:8], v7, v[18:19]
	v_sub_u32_e32 v8, 29, v11
	v_and_b32_e32 v7, 7, v7
	v_cndmask_b32_e64 v0, v0, v8, s[0:1]
	v_cndmask_b32_e64 v7, v18, v7, s[0:1]
	v_lshlrev_b32_e32 v8, 16, v15
	v_lshl_add_u32 v0, v0, 23, v59
	v_and_or_b32 v0, v8, s26, v0
	v_lshlrev_b32_e32 v7, 20, v7
	v_or_b32_e32 v19, v0, v7
	v_mov_b32_e32 v18, v5
.LBB213_556:                            ;   in Loop: Header=BB213_390 Depth=1
	s_or_b64 exec, exec, s[14:15]
.LBB213_557:                            ;   in Loop: Header=BB213_390 Depth=1
	s_or_b64 exec, exec, s[12:13]
.LBB213_558:                            ;   in Loop: Header=BB213_390 Depth=1
	s_or_b64 exec, exec, s[6:7]
	v_lshrrev_b32_e32 v11, 16, v15
	v_mov_b32_e32 v22, 0
	v_mov_b32_e32 v20, 0
	;; [unrolled: 1-line block ×4, first 2 shown]
	v_cmp_ne_u16_sdwa s[0:1], v11, v5 src0_sel:BYTE_0 src1_sel:DWORD
	s_and_saveexec_b64 s[6:7], s[0:1]
	s_cbranch_execz .LBB213_564
; %bb.559:                              ;   in Loop: Header=BB213_390 Depth=1
	v_bfrev_b32_e32 v20, 1
	v_mov_b32_e32 v21, 0
	v_cmp_ne_u16_sdwa s[0:1], v11, s24 src0_sel:BYTE_0 src1_sel:DWORD
	s_and_saveexec_b64 s[12:13], s[0:1]
	s_cbranch_execz .LBB213_563
; %bb.560:                              ;   in Loop: Header=BB213_390 Depth=1
	v_bfe_u32 v0, v15, 16, 7
	v_mov_b32_e32 v20, 0x7f800001
	v_mov_b32_e32 v21, 0
	v_cmp_ne_u32_e64 s[0:1], s25, v0
	s_and_saveexec_b64 s[14:15], s[0:1]
	s_cbranch_execz .LBB213_562
; %bb.561:                              ;   in Loop: Header=BB213_390 Depth=1
	v_and_b32_e32 v20, 7, v11
	v_lshrrev_b32_e32 v21, 3, v0
	v_cmp_gt_u32_e64 s[0:1], 8, v0
	v_ffbh_u32_e32 v0, v20
	v_min_u32_e32 v0, 32, v0
	v_subrev_u32_e32 v7, 28, v0
	v_lshlrev_b64 v[7:8], v7, v[11:12]
	v_sub_u32_e32 v0, 29, v0
	v_and_b32_e32 v7, 7, v7
	v_cndmask_b32_e64 v0, v21, v0, s[0:1]
	v_cndmask_b32_e64 v7, v20, v7, s[0:1]
	v_lshlrev_b32_e32 v7, 20, v7
	v_and_b32_sdwa v8, sext(v11), s26 dst_sel:DWORD dst_unused:UNUSED_PAD src0_sel:BYTE_0 src1_sel:DWORD
	v_lshl_add_u32 v0, v0, 23, v59
	v_or3_b32 v20, v8, v0, v7
	v_mov_b32_e32 v21, v5
.LBB213_562:                            ;   in Loop: Header=BB213_390 Depth=1
	s_or_b64 exec, exec, s[14:15]
.LBB213_563:                            ;   in Loop: Header=BB213_390 Depth=1
	s_or_b64 exec, exec, s[12:13]
.LBB213_564:                            ;   in Loop: Header=BB213_390 Depth=1
	s_or_b64 exec, exec, s[6:7]
	v_cmp_lt_u32_e64 s[0:1], s27, v15
	s_and_saveexec_b64 s[6:7], s[0:1]
	s_cbranch_execz .LBB213_570
; %bb.565:                              ;   in Loop: Header=BB213_390 Depth=1
	v_mov_b32_e32 v23, v6
	v_cmp_ne_u32_sdwa s[0:1], v15, s24 src0_sel:BYTE_3 src1_sel:DWORD
	v_mov_b32_e32 v22, v5
	s_and_saveexec_b64 s[12:13], s[0:1]
	s_cbranch_execz .LBB213_569
; %bb.566:                              ;   in Loop: Header=BB213_390 Depth=1
	v_bfe_u32 v7, v15, 24, 7
	v_mov_b32_e32 v11, v5
	v_mov_b32_e32 v23, v12
	v_cmp_ne_u32_e64 s[0:1], s25, v7
	v_mov_b32_e32 v22, v11
	s_and_saveexec_b64 s[14:15], s[0:1]
	s_cbranch_execz .LBB213_568
; %bb.567:                              ;   in Loop: Header=BB213_390 Depth=1
	v_and_b32_sdwa v22, v15, v29 dst_sel:DWORD dst_unused:UNUSED_PAD src0_sel:BYTE_3 src1_sel:DWORD
	v_lshrrev_b32_e32 v0, 3, v7
	v_cmp_gt_u32_e64 s[0:1], 8, v7
	v_ffbh_u32_e32 v7, v22
	v_min_u32_e32 v11, 32, v7
	v_mov_b32_e32 v23, v5
	v_subrev_u32_e32 v7, 28, v11
	v_lshlrev_b64 v[7:8], v7, v[22:23]
	v_sub_u32_e32 v8, 29, v11
	v_and_b32_e32 v7, 7, v7
	v_cndmask_b32_e64 v0, v0, v8, s[0:1]
	v_mov_b32_e32 v8, 24
	v_cndmask_b32_e64 v7, v22, v7, s[0:1]
	v_lshlrev_b32_sdwa v8, v8, v15 dst_sel:DWORD dst_unused:UNUSED_PAD src0_sel:DWORD src1_sel:BYTE_3
	v_lshl_add_u32 v0, v0, 23, v59
	v_and_or_b32 v0, v8, s26, v0
	v_lshlrev_b32_e32 v7, 20, v7
	v_or_b32_e32 v23, v0, v7
	v_mov_b32_e32 v22, v5
.LBB213_568:                            ;   in Loop: Header=BB213_390 Depth=1
	s_or_b64 exec, exec, s[14:15]
.LBB213_569:                            ;   in Loop: Header=BB213_390 Depth=1
	s_or_b64 exec, exec, s[12:13]
.LBB213_570:                            ;   in Loop: Header=BB213_390 Depth=1
	s_or_b64 exec, exec, s[6:7]
	v_or_b32_e32 v0, v19, v17
	v_or_b32_e32 v7, v18, v16
	v_mul_f32_e32 v0, s18, v0
	buffer_store_dword v0, off, s[48:51], 0 offset:196 ; 4-byte Folded Spill
	v_mul_f32_e32 v0, s17, v7
	buffer_store_dword v0, off, s[48:51], 0 offset:220 ; 4-byte Folded Spill
	v_or_b32_e32 v0, v23, v21
	v_or_b32_e32 v7, v22, v20
	v_mul_f32_e32 v7, s17, v7
	v_mul_f32_e32 v0, s18, v0
	buffer_store_dword v7, off, s[48:51], 0 offset:212 ; 4-byte Folded Spill
	buffer_store_dword v0, off, s[48:51], 0 offset:204 ; 4-byte Folded Spill
	s_and_saveexec_b64 s[6:7], vcc
	s_cbranch_execz .LBB213_572
; %bb.571:                              ;   in Loop: Header=BB213_390 Depth=1
	v_add_u32_e32 v0, -3, v43
	v_cmp_gt_i32_e64 s[0:1], s30, v0
	buffer_load_dword v0, off, s[48:51], 0 offset:220 ; 4-byte Folded Reload
	s_waitcnt vmcnt(0)
	v_cndmask_b32_e64 v0, 0, v0, s[0:1]
	buffer_store_dword v0, off, s[48:51], 0 offset:220 ; 4-byte Folded Spill
	v_add_u32_e32 v0, -2, v43
	v_cmp_gt_i32_e64 s[0:1], s30, v0
	buffer_load_dword v0, off, s[48:51], 0 offset:196 ; 4-byte Folded Reload
	s_waitcnt vmcnt(0)
	v_cndmask_b32_e64 v0, 0, v0, s[0:1]
	buffer_store_dword v0, off, s[48:51], 0 offset:196 ; 4-byte Folded Spill
	;; [unrolled: 6-line block ×3, first 2 shown]
	buffer_load_dword v0, off, s[48:51], 0 offset:204 ; 4-byte Folded Reload
	v_cmp_gt_i32_e64 s[0:1], s30, v43
	s_waitcnt vmcnt(0)
	v_cndmask_b32_e64 v0, 0, v0, s[0:1]
	buffer_store_dword v0, off, s[48:51], 0 offset:204 ; 4-byte Folded Spill
.LBB213_572:                            ;   in Loop: Header=BB213_390 Depth=1
	s_or_b64 exec, exec, s[6:7]
	global_load_dword v15, v[13:14], off offset:1792
	v_mov_b32_e32 v18, 0
	v_mov_b32_e32 v16, 0
	;; [unrolled: 1-line block ×4, first 2 shown]
	s_waitcnt vmcnt(0)
	v_cmp_ne_u16_sdwa s[0:1], v15, v5 src0_sel:BYTE_0 src1_sel:DWORD
	s_and_saveexec_b64 s[6:7], s[0:1]
	s_cbranch_execz .LBB213_578
; %bb.573:                              ;   in Loop: Header=BB213_390 Depth=1
	v_bfrev_b32_e32 v16, 1
	v_mov_b32_e32 v17, 0
	v_cmp_ne_u16_sdwa s[0:1], v15, s24 src0_sel:BYTE_0 src1_sel:DWORD
	s_and_saveexec_b64 s[12:13], s[0:1]
	s_cbranch_execz .LBB213_577
; %bb.574:                              ;   in Loop: Header=BB213_390 Depth=1
	v_and_b32_e32 v0, 0x7f, v15
	v_mov_b32_e32 v16, 0x7f800001
	v_mov_b32_e32 v17, 0
	v_cmp_ne_u32_e64 s[0:1], s25, v0
	s_and_saveexec_b64 s[14:15], s[0:1]
	s_cbranch_execz .LBB213_576
; %bb.575:                              ;   in Loop: Header=BB213_390 Depth=1
	v_and_b32_e32 v11, 7, v15
	v_lshrrev_b32_e32 v16, 3, v0
	v_cmp_gt_u32_e64 s[0:1], 8, v0
	v_ffbh_u32_e32 v0, v11
	v_min_u32_e32 v0, 32, v0
	v_subrev_u32_e32 v7, 28, v0
	v_lshlrev_b64 v[7:8], v7, v[15:16]
	v_sub_u32_e32 v0, 29, v0
	v_and_b32_e32 v7, 7, v7
	v_cndmask_b32_e64 v0, v16, v0, s[0:1]
	v_cndmask_b32_e64 v7, v11, v7, s[0:1]
	v_lshlrev_b32_e32 v7, 20, v7
	v_and_b32_sdwa v8, sext(v15), s26 dst_sel:DWORD dst_unused:UNUSED_PAD src0_sel:BYTE_0 src1_sel:DWORD
	v_lshl_add_u32 v0, v0, 23, v59
	v_or3_b32 v16, v8, v0, v7
	v_mov_b32_e32 v17, v5
.LBB213_576:                            ;   in Loop: Header=BB213_390 Depth=1
	s_or_b64 exec, exec, s[14:15]
.LBB213_577:                            ;   in Loop: Header=BB213_390 Depth=1
	s_or_b64 exec, exec, s[12:13]
.LBB213_578:                            ;   in Loop: Header=BB213_390 Depth=1
	s_or_b64 exec, exec, s[6:7]
	v_cmp_ne_u16_sdwa s[0:1], v15, v5 src0_sel:BYTE_1 src1_sel:DWORD
	s_and_saveexec_b64 s[6:7], s[0:1]
	s_cbranch_execz .LBB213_584
; %bb.579:                              ;   in Loop: Header=BB213_390 Depth=1
	v_mov_b32_e32 v19, v6
	v_cmp_ne_u16_sdwa s[0:1], v15, s24 src0_sel:BYTE_1 src1_sel:DWORD
	v_mov_b32_e32 v18, v5
	s_and_saveexec_b64 s[12:13], s[0:1]
	s_cbranch_execz .LBB213_583
; %bb.580:                              ;   in Loop: Header=BB213_390 Depth=1
	v_and_b32_sdwa v7, v15, s25 dst_sel:DWORD dst_unused:UNUSED_PAD src0_sel:BYTE_1 src1_sel:DWORD
	v_mov_b32_e32 v11, v5
	v_mov_b32_e32 v19, v12
	v_cmp_ne_u32_e64 s[0:1], s25, v7
	v_mov_b32_e32 v18, v11
	s_and_saveexec_b64 s[14:15], s[0:1]
	s_cbranch_execz .LBB213_582
; %bb.581:                              ;   in Loop: Header=BB213_390 Depth=1
	v_and_b32_sdwa v18, v15, v29 dst_sel:DWORD dst_unused:UNUSED_PAD src0_sel:BYTE_1 src1_sel:DWORD
	v_lshrrev_b32_e32 v0, 3, v7
	v_cmp_gt_u32_e64 s[0:1], 8, v7
	v_ffbh_u32_e32 v7, v18
	v_min_u32_e32 v11, 32, v7
	v_mov_b32_e32 v19, v5
	v_subrev_u32_e32 v7, 28, v11
	v_lshlrev_b64 v[7:8], v7, v[18:19]
	v_sub_u32_e32 v8, 29, v11
	v_and_b32_e32 v7, 7, v7
	v_cndmask_b32_e64 v0, v0, v8, s[0:1]
	v_cndmask_b32_e64 v7, v18, v7, s[0:1]
	v_lshlrev_b32_e32 v8, 16, v15
	v_lshl_add_u32 v0, v0, 23, v59
	v_and_or_b32 v0, v8, s26, v0
	v_lshlrev_b32_e32 v7, 20, v7
	v_or_b32_e32 v19, v0, v7
	v_mov_b32_e32 v18, v5
.LBB213_582:                            ;   in Loop: Header=BB213_390 Depth=1
	s_or_b64 exec, exec, s[14:15]
.LBB213_583:                            ;   in Loop: Header=BB213_390 Depth=1
	s_or_b64 exec, exec, s[12:13]
.LBB213_584:                            ;   in Loop: Header=BB213_390 Depth=1
	s_or_b64 exec, exec, s[6:7]
	v_lshrrev_b32_e32 v11, 16, v15
	v_mov_b32_e32 v22, 0
	v_mov_b32_e32 v20, 0
	v_mov_b32_e32 v23, 0
	v_mov_b32_e32 v21, 0
	v_cmp_ne_u16_sdwa s[0:1], v11, v5 src0_sel:BYTE_0 src1_sel:DWORD
	s_and_saveexec_b64 s[6:7], s[0:1]
	s_cbranch_execz .LBB213_590
; %bb.585:                              ;   in Loop: Header=BB213_390 Depth=1
	v_bfrev_b32_e32 v20, 1
	v_mov_b32_e32 v21, 0
	v_cmp_ne_u16_sdwa s[0:1], v11, s24 src0_sel:BYTE_0 src1_sel:DWORD
	s_and_saveexec_b64 s[12:13], s[0:1]
	s_cbranch_execz .LBB213_589
; %bb.586:                              ;   in Loop: Header=BB213_390 Depth=1
	v_bfe_u32 v0, v15, 16, 7
	v_mov_b32_e32 v20, 0x7f800001
	v_mov_b32_e32 v21, 0
	v_cmp_ne_u32_e64 s[0:1], s25, v0
	s_and_saveexec_b64 s[14:15], s[0:1]
	s_cbranch_execz .LBB213_588
; %bb.587:                              ;   in Loop: Header=BB213_390 Depth=1
	v_and_b32_e32 v20, 7, v11
	v_lshrrev_b32_e32 v21, 3, v0
	v_cmp_gt_u32_e64 s[0:1], 8, v0
	v_ffbh_u32_e32 v0, v20
	v_min_u32_e32 v0, 32, v0
	v_subrev_u32_e32 v7, 28, v0
	v_lshlrev_b64 v[7:8], v7, v[11:12]
	v_sub_u32_e32 v0, 29, v0
	v_and_b32_e32 v7, 7, v7
	v_cndmask_b32_e64 v0, v21, v0, s[0:1]
	v_cndmask_b32_e64 v7, v20, v7, s[0:1]
	v_lshlrev_b32_e32 v7, 20, v7
	v_and_b32_sdwa v8, sext(v11), s26 dst_sel:DWORD dst_unused:UNUSED_PAD src0_sel:BYTE_0 src1_sel:DWORD
	v_lshl_add_u32 v0, v0, 23, v59
	v_or3_b32 v20, v8, v0, v7
	v_mov_b32_e32 v21, v5
.LBB213_588:                            ;   in Loop: Header=BB213_390 Depth=1
	s_or_b64 exec, exec, s[14:15]
.LBB213_589:                            ;   in Loop: Header=BB213_390 Depth=1
	s_or_b64 exec, exec, s[12:13]
.LBB213_590:                            ;   in Loop: Header=BB213_390 Depth=1
	s_or_b64 exec, exec, s[6:7]
	v_cmp_lt_u32_e64 s[0:1], s27, v15
	s_and_saveexec_b64 s[6:7], s[0:1]
	s_cbranch_execz .LBB213_596
; %bb.591:                              ;   in Loop: Header=BB213_390 Depth=1
	v_mov_b32_e32 v23, v6
	v_cmp_ne_u32_sdwa s[0:1], v15, s24 src0_sel:BYTE_3 src1_sel:DWORD
	v_mov_b32_e32 v22, v5
	s_and_saveexec_b64 s[12:13], s[0:1]
	s_cbranch_execz .LBB213_595
; %bb.592:                              ;   in Loop: Header=BB213_390 Depth=1
	v_bfe_u32 v7, v15, 24, 7
	v_mov_b32_e32 v11, v5
	v_mov_b32_e32 v23, v12
	v_cmp_ne_u32_e64 s[0:1], s25, v7
	v_mov_b32_e32 v22, v11
	s_and_saveexec_b64 s[14:15], s[0:1]
	s_cbranch_execz .LBB213_594
; %bb.593:                              ;   in Loop: Header=BB213_390 Depth=1
	v_and_b32_sdwa v22, v15, v29 dst_sel:DWORD dst_unused:UNUSED_PAD src0_sel:BYTE_3 src1_sel:DWORD
	v_lshrrev_b32_e32 v0, 3, v7
	v_cmp_gt_u32_e64 s[0:1], 8, v7
	v_ffbh_u32_e32 v7, v22
	v_min_u32_e32 v11, 32, v7
	v_mov_b32_e32 v23, v5
	v_subrev_u32_e32 v7, 28, v11
	v_lshlrev_b64 v[7:8], v7, v[22:23]
	v_sub_u32_e32 v8, 29, v11
	v_and_b32_e32 v7, 7, v7
	v_cndmask_b32_e64 v0, v0, v8, s[0:1]
	v_mov_b32_e32 v8, 24
	v_cndmask_b32_e64 v7, v22, v7, s[0:1]
	v_lshlrev_b32_sdwa v8, v8, v15 dst_sel:DWORD dst_unused:UNUSED_PAD src0_sel:DWORD src1_sel:BYTE_3
	v_lshl_add_u32 v0, v0, 23, v59
	v_and_or_b32 v0, v8, s26, v0
	v_lshlrev_b32_e32 v7, 20, v7
	v_or_b32_e32 v23, v0, v7
	v_mov_b32_e32 v22, v5
.LBB213_594:                            ;   in Loop: Header=BB213_390 Depth=1
	s_or_b64 exec, exec, s[14:15]
.LBB213_595:                            ;   in Loop: Header=BB213_390 Depth=1
	s_or_b64 exec, exec, s[12:13]
.LBB213_596:                            ;   in Loop: Header=BB213_390 Depth=1
	s_or_b64 exec, exec, s[6:7]
	v_or_b32_e32 v0, v19, v17
	v_or_b32_e32 v7, v18, v16
	v_mul_f32_e32 v0, s18, v0
	buffer_store_dword v0, off, s[48:51], 0 offset:228 ; 4-byte Folded Spill
	v_mul_f32_e32 v60, s17, v7
	v_or_b32_e32 v0, v23, v21
	v_or_b32_e32 v7, v22, v20
	v_mul_f32_e32 v7, s17, v7
	v_mul_f32_e32 v0, s18, v0
	buffer_store_dword v7, off, s[48:51], 0 offset:244 ; 4-byte Folded Spill
	buffer_store_dword v0, off, s[48:51], 0 offset:236 ; 4-byte Folded Spill
	s_and_saveexec_b64 s[6:7], vcc
	s_cbranch_execz .LBB213_598
; %bb.597:                              ;   in Loop: Header=BB213_390 Depth=1
	v_add_u32_e32 v0, -3, v43
	v_cmp_gt_i32_e64 s[0:1], s30, v0
	v_add_u32_e32 v0, -2, v43
	v_cndmask_b32_e64 v60, 0, v60, s[0:1]
	v_cmp_gt_i32_e64 s[0:1], s30, v0
	buffer_load_dword v0, off, s[48:51], 0 offset:228 ; 4-byte Folded Reload
	s_waitcnt vmcnt(0)
	v_cndmask_b32_e64 v0, 0, v0, s[0:1]
	buffer_store_dword v0, off, s[48:51], 0 offset:228 ; 4-byte Folded Spill
	v_add_u32_e32 v0, -1, v43
	v_cmp_gt_i32_e64 s[0:1], s30, v0
	buffer_load_dword v0, off, s[48:51], 0 offset:244 ; 4-byte Folded Reload
	s_waitcnt vmcnt(0)
	v_cndmask_b32_e64 v0, 0, v0, s[0:1]
	buffer_store_dword v0, off, s[48:51], 0 offset:244 ; 4-byte Folded Spill
	buffer_load_dword v0, off, s[48:51], 0 offset:236 ; 4-byte Folded Reload
	v_cmp_gt_i32_e64 s[0:1], s30, v43
	s_waitcnt vmcnt(0)
	v_cndmask_b32_e64 v0, 0, v0, s[0:1]
	buffer_store_dword v0, off, s[48:51], 0 offset:236 ; 4-byte Folded Spill
.LBB213_598:                            ;   in Loop: Header=BB213_390 Depth=1
	s_or_b64 exec, exec, s[6:7]
	global_load_dword v15, v[13:14], off offset:2048
	v_mov_b32_e32 v18, 0
	v_mov_b32_e32 v16, 0
	;; [unrolled: 1-line block ×4, first 2 shown]
	s_waitcnt vmcnt(0)
	v_cmp_ne_u16_sdwa s[0:1], v15, v5 src0_sel:BYTE_0 src1_sel:DWORD
	s_and_saveexec_b64 s[6:7], s[0:1]
	s_cbranch_execz .LBB213_604
; %bb.599:                              ;   in Loop: Header=BB213_390 Depth=1
	v_bfrev_b32_e32 v16, 1
	v_mov_b32_e32 v17, 0
	v_cmp_ne_u16_sdwa s[0:1], v15, s24 src0_sel:BYTE_0 src1_sel:DWORD
	s_and_saveexec_b64 s[12:13], s[0:1]
	s_cbranch_execz .LBB213_603
; %bb.600:                              ;   in Loop: Header=BB213_390 Depth=1
	v_and_b32_e32 v0, 0x7f, v15
	v_mov_b32_e32 v16, 0x7f800001
	v_mov_b32_e32 v17, 0
	v_cmp_ne_u32_e64 s[0:1], s25, v0
	s_and_saveexec_b64 s[14:15], s[0:1]
	s_cbranch_execz .LBB213_602
; %bb.601:                              ;   in Loop: Header=BB213_390 Depth=1
	v_and_b32_e32 v11, 7, v15
	v_lshrrev_b32_e32 v16, 3, v0
	v_cmp_gt_u32_e64 s[0:1], 8, v0
	v_ffbh_u32_e32 v0, v11
	v_min_u32_e32 v0, 32, v0
	v_subrev_u32_e32 v7, 28, v0
	v_lshlrev_b64 v[7:8], v7, v[15:16]
	v_sub_u32_e32 v0, 29, v0
	v_and_b32_e32 v7, 7, v7
	v_cndmask_b32_e64 v0, v16, v0, s[0:1]
	v_cndmask_b32_e64 v7, v11, v7, s[0:1]
	v_lshlrev_b32_e32 v7, 20, v7
	v_and_b32_sdwa v8, sext(v15), s26 dst_sel:DWORD dst_unused:UNUSED_PAD src0_sel:BYTE_0 src1_sel:DWORD
	v_lshl_add_u32 v0, v0, 23, v59
	v_or3_b32 v16, v8, v0, v7
	v_mov_b32_e32 v17, v5
.LBB213_602:                            ;   in Loop: Header=BB213_390 Depth=1
	s_or_b64 exec, exec, s[14:15]
.LBB213_603:                            ;   in Loop: Header=BB213_390 Depth=1
	s_or_b64 exec, exec, s[12:13]
.LBB213_604:                            ;   in Loop: Header=BB213_390 Depth=1
	s_or_b64 exec, exec, s[6:7]
	v_cmp_ne_u16_sdwa s[0:1], v15, v5 src0_sel:BYTE_1 src1_sel:DWORD
	s_and_saveexec_b64 s[6:7], s[0:1]
	s_cbranch_execz .LBB213_610
; %bb.605:                              ;   in Loop: Header=BB213_390 Depth=1
	v_mov_b32_e32 v19, v6
	v_cmp_ne_u16_sdwa s[0:1], v15, s24 src0_sel:BYTE_1 src1_sel:DWORD
	v_mov_b32_e32 v18, v5
	s_and_saveexec_b64 s[12:13], s[0:1]
	s_cbranch_execz .LBB213_609
; %bb.606:                              ;   in Loop: Header=BB213_390 Depth=1
	v_and_b32_sdwa v7, v15, s25 dst_sel:DWORD dst_unused:UNUSED_PAD src0_sel:BYTE_1 src1_sel:DWORD
	v_mov_b32_e32 v11, v5
	v_mov_b32_e32 v19, v12
	v_cmp_ne_u32_e64 s[0:1], s25, v7
	v_mov_b32_e32 v18, v11
	s_and_saveexec_b64 s[14:15], s[0:1]
	s_cbranch_execz .LBB213_608
; %bb.607:                              ;   in Loop: Header=BB213_390 Depth=1
	v_and_b32_sdwa v18, v15, v29 dst_sel:DWORD dst_unused:UNUSED_PAD src0_sel:BYTE_1 src1_sel:DWORD
	v_lshrrev_b32_e32 v0, 3, v7
	v_cmp_gt_u32_e64 s[0:1], 8, v7
	v_ffbh_u32_e32 v7, v18
	v_min_u32_e32 v11, 32, v7
	v_mov_b32_e32 v19, v5
	v_subrev_u32_e32 v7, 28, v11
	v_lshlrev_b64 v[7:8], v7, v[18:19]
	v_sub_u32_e32 v8, 29, v11
	v_and_b32_e32 v7, 7, v7
	v_cndmask_b32_e64 v0, v0, v8, s[0:1]
	v_cndmask_b32_e64 v7, v18, v7, s[0:1]
	v_lshlrev_b32_e32 v8, 16, v15
	v_lshl_add_u32 v0, v0, 23, v59
	v_and_or_b32 v0, v8, s26, v0
	v_lshlrev_b32_e32 v7, 20, v7
	v_or_b32_e32 v19, v0, v7
	v_mov_b32_e32 v18, v5
.LBB213_608:                            ;   in Loop: Header=BB213_390 Depth=1
	s_or_b64 exec, exec, s[14:15]
.LBB213_609:                            ;   in Loop: Header=BB213_390 Depth=1
	s_or_b64 exec, exec, s[12:13]
.LBB213_610:                            ;   in Loop: Header=BB213_390 Depth=1
	s_or_b64 exec, exec, s[6:7]
	v_lshrrev_b32_e32 v11, 16, v15
	v_mov_b32_e32 v22, 0
	v_mov_b32_e32 v20, 0
	;; [unrolled: 1-line block ×4, first 2 shown]
	v_cmp_ne_u16_sdwa s[0:1], v11, v5 src0_sel:BYTE_0 src1_sel:DWORD
	s_and_saveexec_b64 s[6:7], s[0:1]
	s_cbranch_execz .LBB213_616
; %bb.611:                              ;   in Loop: Header=BB213_390 Depth=1
	v_bfrev_b32_e32 v20, 1
	v_mov_b32_e32 v21, 0
	v_cmp_ne_u16_sdwa s[0:1], v11, s24 src0_sel:BYTE_0 src1_sel:DWORD
	s_and_saveexec_b64 s[12:13], s[0:1]
	s_cbranch_execz .LBB213_615
; %bb.612:                              ;   in Loop: Header=BB213_390 Depth=1
	v_bfe_u32 v0, v15, 16, 7
	v_mov_b32_e32 v20, 0x7f800001
	v_mov_b32_e32 v21, 0
	v_cmp_ne_u32_e64 s[0:1], s25, v0
	s_and_saveexec_b64 s[14:15], s[0:1]
	s_cbranch_execz .LBB213_614
; %bb.613:                              ;   in Loop: Header=BB213_390 Depth=1
	v_and_b32_e32 v20, 7, v11
	v_lshrrev_b32_e32 v21, 3, v0
	v_cmp_gt_u32_e64 s[0:1], 8, v0
	v_ffbh_u32_e32 v0, v20
	v_min_u32_e32 v0, 32, v0
	v_subrev_u32_e32 v7, 28, v0
	v_lshlrev_b64 v[7:8], v7, v[11:12]
	v_sub_u32_e32 v0, 29, v0
	v_and_b32_e32 v7, 7, v7
	v_cndmask_b32_e64 v0, v21, v0, s[0:1]
	v_cndmask_b32_e64 v7, v20, v7, s[0:1]
	v_lshlrev_b32_e32 v7, 20, v7
	v_and_b32_sdwa v8, sext(v11), s26 dst_sel:DWORD dst_unused:UNUSED_PAD src0_sel:BYTE_0 src1_sel:DWORD
	v_lshl_add_u32 v0, v0, 23, v59
	v_or3_b32 v20, v8, v0, v7
	v_mov_b32_e32 v21, v5
.LBB213_614:                            ;   in Loop: Header=BB213_390 Depth=1
	s_or_b64 exec, exec, s[14:15]
.LBB213_615:                            ;   in Loop: Header=BB213_390 Depth=1
	s_or_b64 exec, exec, s[12:13]
.LBB213_616:                            ;   in Loop: Header=BB213_390 Depth=1
	s_or_b64 exec, exec, s[6:7]
	v_cmp_lt_u32_e64 s[0:1], s27, v15
	s_and_saveexec_b64 s[6:7], s[0:1]
	s_cbranch_execz .LBB213_622
; %bb.617:                              ;   in Loop: Header=BB213_390 Depth=1
	v_mov_b32_e32 v23, v6
	v_cmp_ne_u32_sdwa s[0:1], v15, s24 src0_sel:BYTE_3 src1_sel:DWORD
	v_mov_b32_e32 v22, v5
	s_and_saveexec_b64 s[12:13], s[0:1]
	s_cbranch_execz .LBB213_621
; %bb.618:                              ;   in Loop: Header=BB213_390 Depth=1
	v_bfe_u32 v7, v15, 24, 7
	v_mov_b32_e32 v11, v5
	v_mov_b32_e32 v23, v12
	v_cmp_ne_u32_e64 s[0:1], s25, v7
	v_mov_b32_e32 v22, v11
	s_and_saveexec_b64 s[14:15], s[0:1]
	s_cbranch_execz .LBB213_620
; %bb.619:                              ;   in Loop: Header=BB213_390 Depth=1
	v_and_b32_sdwa v22, v15, v29 dst_sel:DWORD dst_unused:UNUSED_PAD src0_sel:BYTE_3 src1_sel:DWORD
	v_lshrrev_b32_e32 v0, 3, v7
	v_cmp_gt_u32_e64 s[0:1], 8, v7
	v_ffbh_u32_e32 v7, v22
	v_min_u32_e32 v11, 32, v7
	v_mov_b32_e32 v23, v5
	v_subrev_u32_e32 v7, 28, v11
	v_lshlrev_b64 v[7:8], v7, v[22:23]
	v_sub_u32_e32 v8, 29, v11
	v_and_b32_e32 v7, 7, v7
	v_cndmask_b32_e64 v0, v0, v8, s[0:1]
	v_mov_b32_e32 v8, 24
	v_cndmask_b32_e64 v7, v22, v7, s[0:1]
	v_lshlrev_b32_sdwa v8, v8, v15 dst_sel:DWORD dst_unused:UNUSED_PAD src0_sel:DWORD src1_sel:BYTE_3
	v_lshl_add_u32 v0, v0, 23, v59
	v_and_or_b32 v0, v8, s26, v0
	v_lshlrev_b32_e32 v7, 20, v7
	v_or_b32_e32 v23, v0, v7
	v_mov_b32_e32 v22, v5
.LBB213_620:                            ;   in Loop: Header=BB213_390 Depth=1
	s_or_b64 exec, exec, s[14:15]
.LBB213_621:                            ;   in Loop: Header=BB213_390 Depth=1
	s_or_b64 exec, exec, s[12:13]
.LBB213_622:                            ;   in Loop: Header=BB213_390 Depth=1
	s_or_b64 exec, exec, s[6:7]
	v_or_b32_e32 v0, v19, v17
	v_or_b32_e32 v7, v18, v16
	v_mul_f32_e32 v45, s18, v0
	v_mul_f32_e32 v63, s17, v7
	v_or_b32_e32 v0, v23, v21
	v_or_b32_e32 v7, v22, v20
	v_mul_f32_e32 v62, s17, v7
	v_mul_f32_e32 v61, s18, v0
	s_and_saveexec_b64 s[6:7], vcc
	s_cbranch_execz .LBB213_624
; %bb.623:                              ;   in Loop: Header=BB213_390 Depth=1
	v_add_u32_e32 v0, -3, v43
	v_cmp_gt_i32_e64 s[0:1], s30, v0
	v_add_u32_e32 v0, -2, v43
	v_cndmask_b32_e64 v63, 0, v63, s[0:1]
	v_cmp_gt_i32_e64 s[0:1], s30, v0
	v_add_u32_e32 v0, -1, v43
	v_cndmask_b32_e64 v45, 0, v45, s[0:1]
	v_cmp_gt_i32_e64 s[0:1], s30, v0
	v_cndmask_b32_e64 v62, 0, v62, s[0:1]
	v_cmp_gt_i32_e64 s[0:1], s30, v43
	v_cndmask_b32_e64 v61, 0, v61, s[0:1]
.LBB213_624:                            ;   in Loop: Header=BB213_390 Depth=1
	s_or_b64 exec, exec, s[6:7]
	global_load_dword v15, v[13:14], off offset:2304
	v_mov_b32_e32 v18, 0
	v_mov_b32_e32 v16, 0
	;; [unrolled: 1-line block ×4, first 2 shown]
	s_waitcnt vmcnt(0)
	v_cmp_ne_u16_sdwa s[0:1], v15, v5 src0_sel:BYTE_0 src1_sel:DWORD
	s_and_saveexec_b64 s[6:7], s[0:1]
	s_cbranch_execz .LBB213_630
; %bb.625:                              ;   in Loop: Header=BB213_390 Depth=1
	v_bfrev_b32_e32 v16, 1
	v_mov_b32_e32 v17, 0
	v_cmp_ne_u16_sdwa s[0:1], v15, s24 src0_sel:BYTE_0 src1_sel:DWORD
	s_and_saveexec_b64 s[12:13], s[0:1]
	s_cbranch_execz .LBB213_629
; %bb.626:                              ;   in Loop: Header=BB213_390 Depth=1
	v_and_b32_e32 v0, 0x7f, v15
	v_mov_b32_e32 v16, 0x7f800001
	v_mov_b32_e32 v17, 0
	v_cmp_ne_u32_e64 s[0:1], s25, v0
	s_and_saveexec_b64 s[14:15], s[0:1]
	s_cbranch_execz .LBB213_628
; %bb.627:                              ;   in Loop: Header=BB213_390 Depth=1
	v_and_b32_e32 v11, 7, v15
	v_lshrrev_b32_e32 v16, 3, v0
	v_cmp_gt_u32_e64 s[0:1], 8, v0
	v_ffbh_u32_e32 v0, v11
	v_min_u32_e32 v0, 32, v0
	v_subrev_u32_e32 v7, 28, v0
	v_lshlrev_b64 v[7:8], v7, v[15:16]
	v_sub_u32_e32 v0, 29, v0
	v_and_b32_e32 v7, 7, v7
	v_cndmask_b32_e64 v0, v16, v0, s[0:1]
	v_cndmask_b32_e64 v7, v11, v7, s[0:1]
	v_lshlrev_b32_e32 v7, 20, v7
	v_and_b32_sdwa v8, sext(v15), s26 dst_sel:DWORD dst_unused:UNUSED_PAD src0_sel:BYTE_0 src1_sel:DWORD
	v_lshl_add_u32 v0, v0, 23, v59
	v_or3_b32 v16, v8, v0, v7
	v_mov_b32_e32 v17, v5
.LBB213_628:                            ;   in Loop: Header=BB213_390 Depth=1
	s_or_b64 exec, exec, s[14:15]
.LBB213_629:                            ;   in Loop: Header=BB213_390 Depth=1
	s_or_b64 exec, exec, s[12:13]
.LBB213_630:                            ;   in Loop: Header=BB213_390 Depth=1
	s_or_b64 exec, exec, s[6:7]
	v_cmp_ne_u16_sdwa s[0:1], v15, v5 src0_sel:BYTE_1 src1_sel:DWORD
	s_and_saveexec_b64 s[6:7], s[0:1]
	s_cbranch_execz .LBB213_636
; %bb.631:                              ;   in Loop: Header=BB213_390 Depth=1
	v_mov_b32_e32 v19, v6
	v_cmp_ne_u16_sdwa s[0:1], v15, s24 src0_sel:BYTE_1 src1_sel:DWORD
	v_mov_b32_e32 v18, v5
	s_and_saveexec_b64 s[12:13], s[0:1]
	s_cbranch_execz .LBB213_635
; %bb.632:                              ;   in Loop: Header=BB213_390 Depth=1
	v_and_b32_sdwa v7, v15, s25 dst_sel:DWORD dst_unused:UNUSED_PAD src0_sel:BYTE_1 src1_sel:DWORD
	v_mov_b32_e32 v11, v5
	v_mov_b32_e32 v19, v12
	v_cmp_ne_u32_e64 s[0:1], s25, v7
	v_mov_b32_e32 v18, v11
	s_and_saveexec_b64 s[14:15], s[0:1]
	s_cbranch_execz .LBB213_634
; %bb.633:                              ;   in Loop: Header=BB213_390 Depth=1
	v_and_b32_sdwa v18, v15, v29 dst_sel:DWORD dst_unused:UNUSED_PAD src0_sel:BYTE_1 src1_sel:DWORD
	v_lshrrev_b32_e32 v0, 3, v7
	v_cmp_gt_u32_e64 s[0:1], 8, v7
	v_ffbh_u32_e32 v7, v18
	v_min_u32_e32 v11, 32, v7
	v_mov_b32_e32 v19, v5
	v_subrev_u32_e32 v7, 28, v11
	v_lshlrev_b64 v[7:8], v7, v[18:19]
	v_sub_u32_e32 v8, 29, v11
	v_and_b32_e32 v7, 7, v7
	v_cndmask_b32_e64 v0, v0, v8, s[0:1]
	v_cndmask_b32_e64 v7, v18, v7, s[0:1]
	v_lshlrev_b32_e32 v8, 16, v15
	v_lshl_add_u32 v0, v0, 23, v59
	v_and_or_b32 v0, v8, s26, v0
	v_lshlrev_b32_e32 v7, 20, v7
	v_or_b32_e32 v19, v0, v7
	v_mov_b32_e32 v18, v5
.LBB213_634:                            ;   in Loop: Header=BB213_390 Depth=1
	s_or_b64 exec, exec, s[14:15]
.LBB213_635:                            ;   in Loop: Header=BB213_390 Depth=1
	s_or_b64 exec, exec, s[12:13]
.LBB213_636:                            ;   in Loop: Header=BB213_390 Depth=1
	s_or_b64 exec, exec, s[6:7]
	v_lshrrev_b32_e32 v11, 16, v15
	v_mov_b32_e32 v22, 0
	v_mov_b32_e32 v20, 0
	;; [unrolled: 1-line block ×4, first 2 shown]
	v_cmp_ne_u16_sdwa s[0:1], v11, v5 src0_sel:BYTE_0 src1_sel:DWORD
	s_and_saveexec_b64 s[6:7], s[0:1]
	s_cbranch_execz .LBB213_642
; %bb.637:                              ;   in Loop: Header=BB213_390 Depth=1
	v_bfrev_b32_e32 v20, 1
	v_mov_b32_e32 v21, 0
	v_cmp_ne_u16_sdwa s[0:1], v11, s24 src0_sel:BYTE_0 src1_sel:DWORD
	s_and_saveexec_b64 s[12:13], s[0:1]
	s_cbranch_execz .LBB213_641
; %bb.638:                              ;   in Loop: Header=BB213_390 Depth=1
	v_bfe_u32 v0, v15, 16, 7
	v_mov_b32_e32 v20, 0x7f800001
	v_mov_b32_e32 v21, 0
	v_cmp_ne_u32_e64 s[0:1], s25, v0
	s_and_saveexec_b64 s[14:15], s[0:1]
	s_cbranch_execz .LBB213_640
; %bb.639:                              ;   in Loop: Header=BB213_390 Depth=1
	v_and_b32_e32 v20, 7, v11
	v_lshrrev_b32_e32 v21, 3, v0
	v_cmp_gt_u32_e64 s[0:1], 8, v0
	v_ffbh_u32_e32 v0, v20
	v_min_u32_e32 v0, 32, v0
	v_subrev_u32_e32 v7, 28, v0
	v_lshlrev_b64 v[7:8], v7, v[11:12]
	v_sub_u32_e32 v0, 29, v0
	v_and_b32_e32 v7, 7, v7
	v_cndmask_b32_e64 v0, v21, v0, s[0:1]
	v_cndmask_b32_e64 v7, v20, v7, s[0:1]
	v_lshlrev_b32_e32 v7, 20, v7
	v_and_b32_sdwa v8, sext(v11), s26 dst_sel:DWORD dst_unused:UNUSED_PAD src0_sel:BYTE_0 src1_sel:DWORD
	v_lshl_add_u32 v0, v0, 23, v59
	v_or3_b32 v20, v8, v0, v7
	v_mov_b32_e32 v21, v5
.LBB213_640:                            ;   in Loop: Header=BB213_390 Depth=1
	s_or_b64 exec, exec, s[14:15]
.LBB213_641:                            ;   in Loop: Header=BB213_390 Depth=1
	s_or_b64 exec, exec, s[12:13]
.LBB213_642:                            ;   in Loop: Header=BB213_390 Depth=1
	s_or_b64 exec, exec, s[6:7]
	v_cmp_lt_u32_e64 s[0:1], s27, v15
	s_and_saveexec_b64 s[6:7], s[0:1]
	s_cbranch_execz .LBB213_648
; %bb.643:                              ;   in Loop: Header=BB213_390 Depth=1
	v_mov_b32_e32 v23, v6
	v_cmp_ne_u32_sdwa s[0:1], v15, s24 src0_sel:BYTE_3 src1_sel:DWORD
	v_mov_b32_e32 v22, v5
	s_and_saveexec_b64 s[12:13], s[0:1]
	s_cbranch_execz .LBB213_647
; %bb.644:                              ;   in Loop: Header=BB213_390 Depth=1
	v_bfe_u32 v7, v15, 24, 7
	v_mov_b32_e32 v11, v5
	v_mov_b32_e32 v23, v12
	v_cmp_ne_u32_e64 s[0:1], s25, v7
	v_mov_b32_e32 v22, v11
	s_and_saveexec_b64 s[14:15], s[0:1]
	s_cbranch_execz .LBB213_646
; %bb.645:                              ;   in Loop: Header=BB213_390 Depth=1
	v_and_b32_sdwa v22, v15, v29 dst_sel:DWORD dst_unused:UNUSED_PAD src0_sel:BYTE_3 src1_sel:DWORD
	v_lshrrev_b32_e32 v0, 3, v7
	v_cmp_gt_u32_e64 s[0:1], 8, v7
	v_ffbh_u32_e32 v7, v22
	v_min_u32_e32 v11, 32, v7
	v_mov_b32_e32 v23, v5
	v_subrev_u32_e32 v7, 28, v11
	v_lshlrev_b64 v[7:8], v7, v[22:23]
	v_sub_u32_e32 v8, 29, v11
	v_and_b32_e32 v7, 7, v7
	v_cndmask_b32_e64 v0, v0, v8, s[0:1]
	v_mov_b32_e32 v8, 24
	v_cndmask_b32_e64 v7, v22, v7, s[0:1]
	v_lshlrev_b32_sdwa v8, v8, v15 dst_sel:DWORD dst_unused:UNUSED_PAD src0_sel:DWORD src1_sel:BYTE_3
	v_lshl_add_u32 v0, v0, 23, v59
	v_and_or_b32 v0, v8, s26, v0
	v_lshlrev_b32_e32 v7, 20, v7
	v_or_b32_e32 v23, v0, v7
	v_mov_b32_e32 v22, v5
.LBB213_646:                            ;   in Loop: Header=BB213_390 Depth=1
	s_or_b64 exec, exec, s[14:15]
.LBB213_647:                            ;   in Loop: Header=BB213_390 Depth=1
	s_or_b64 exec, exec, s[12:13]
.LBB213_648:                            ;   in Loop: Header=BB213_390 Depth=1
	s_or_b64 exec, exec, s[6:7]
	v_or_b32_e32 v0, v19, v17
	v_or_b32_e32 v7, v18, v16
	v_mul_f32_e32 v28, s18, v0
	v_mul_f32_e32 v25, s17, v7
	v_or_b32_e32 v0, v23, v21
	v_or_b32_e32 v7, v22, v20
	v_mul_f32_e32 v47, s17, v7
	v_mul_f32_e32 v24, s18, v0
	s_and_saveexec_b64 s[6:7], vcc
	s_cbranch_execz .LBB213_650
; %bb.649:                              ;   in Loop: Header=BB213_390 Depth=1
	v_add_u32_e32 v0, -3, v43
	v_cmp_gt_i32_e64 s[0:1], s30, v0
	v_add_u32_e32 v0, -2, v43
	v_cndmask_b32_e64 v25, 0, v25, s[0:1]
	v_cmp_gt_i32_e64 s[0:1], s30, v0
	v_add_u32_e32 v0, -1, v43
	v_cndmask_b32_e64 v28, 0, v28, s[0:1]
	v_cmp_gt_i32_e64 s[0:1], s30, v0
	v_cndmask_b32_e64 v47, 0, v47, s[0:1]
	v_cmp_gt_i32_e64 s[0:1], s30, v43
	v_cndmask_b32_e64 v24, 0, v24, s[0:1]
.LBB213_650:                            ;   in Loop: Header=BB213_390 Depth=1
	s_or_b64 exec, exec, s[6:7]
	global_load_dword v15, v[13:14], off offset:2560
	v_mov_b32_e32 v18, 0
	v_mov_b32_e32 v16, 0
	;; [unrolled: 1-line block ×4, first 2 shown]
	s_waitcnt vmcnt(0)
	v_cmp_ne_u16_sdwa s[0:1], v15, v5 src0_sel:BYTE_0 src1_sel:DWORD
	s_and_saveexec_b64 s[6:7], s[0:1]
	s_cbranch_execz .LBB213_656
; %bb.651:                              ;   in Loop: Header=BB213_390 Depth=1
	v_bfrev_b32_e32 v16, 1
	v_mov_b32_e32 v17, 0
	v_cmp_ne_u16_sdwa s[0:1], v15, s24 src0_sel:BYTE_0 src1_sel:DWORD
	s_and_saveexec_b64 s[12:13], s[0:1]
	s_cbranch_execz .LBB213_655
; %bb.652:                              ;   in Loop: Header=BB213_390 Depth=1
	v_and_b32_e32 v0, 0x7f, v15
	v_mov_b32_e32 v16, 0x7f800001
	v_mov_b32_e32 v17, 0
	v_cmp_ne_u32_e64 s[0:1], s25, v0
	s_and_saveexec_b64 s[14:15], s[0:1]
	s_cbranch_execz .LBB213_654
; %bb.653:                              ;   in Loop: Header=BB213_390 Depth=1
	v_and_b32_e32 v11, 7, v15
	v_lshrrev_b32_e32 v16, 3, v0
	v_cmp_gt_u32_e64 s[0:1], 8, v0
	v_ffbh_u32_e32 v0, v11
	v_min_u32_e32 v0, 32, v0
	v_subrev_u32_e32 v7, 28, v0
	v_lshlrev_b64 v[7:8], v7, v[15:16]
	v_sub_u32_e32 v0, 29, v0
	v_and_b32_e32 v7, 7, v7
	v_cndmask_b32_e64 v0, v16, v0, s[0:1]
	v_cndmask_b32_e64 v7, v11, v7, s[0:1]
	v_lshlrev_b32_e32 v7, 20, v7
	v_and_b32_sdwa v8, sext(v15), s26 dst_sel:DWORD dst_unused:UNUSED_PAD src0_sel:BYTE_0 src1_sel:DWORD
	v_lshl_add_u32 v0, v0, 23, v59
	v_or3_b32 v16, v8, v0, v7
	v_mov_b32_e32 v17, v5
.LBB213_654:                            ;   in Loop: Header=BB213_390 Depth=1
	s_or_b64 exec, exec, s[14:15]
.LBB213_655:                            ;   in Loop: Header=BB213_390 Depth=1
	s_or_b64 exec, exec, s[12:13]
.LBB213_656:                            ;   in Loop: Header=BB213_390 Depth=1
	s_or_b64 exec, exec, s[6:7]
	v_cmp_ne_u16_sdwa s[0:1], v15, v5 src0_sel:BYTE_1 src1_sel:DWORD
	s_and_saveexec_b64 s[6:7], s[0:1]
	s_cbranch_execz .LBB213_662
; %bb.657:                              ;   in Loop: Header=BB213_390 Depth=1
	v_mov_b32_e32 v19, v6
	v_cmp_ne_u16_sdwa s[0:1], v15, s24 src0_sel:BYTE_1 src1_sel:DWORD
	v_mov_b32_e32 v18, v5
	s_and_saveexec_b64 s[12:13], s[0:1]
	s_cbranch_execz .LBB213_661
; %bb.658:                              ;   in Loop: Header=BB213_390 Depth=1
	v_and_b32_sdwa v7, v15, s25 dst_sel:DWORD dst_unused:UNUSED_PAD src0_sel:BYTE_1 src1_sel:DWORD
	v_mov_b32_e32 v11, v5
	v_mov_b32_e32 v19, v12
	v_cmp_ne_u32_e64 s[0:1], s25, v7
	v_mov_b32_e32 v18, v11
	s_and_saveexec_b64 s[14:15], s[0:1]
	s_cbranch_execz .LBB213_660
; %bb.659:                              ;   in Loop: Header=BB213_390 Depth=1
	v_and_b32_sdwa v18, v15, v29 dst_sel:DWORD dst_unused:UNUSED_PAD src0_sel:BYTE_1 src1_sel:DWORD
	v_lshrrev_b32_e32 v0, 3, v7
	v_cmp_gt_u32_e64 s[0:1], 8, v7
	v_ffbh_u32_e32 v7, v18
	v_min_u32_e32 v11, 32, v7
	v_mov_b32_e32 v19, v5
	v_subrev_u32_e32 v7, 28, v11
	v_lshlrev_b64 v[7:8], v7, v[18:19]
	v_sub_u32_e32 v8, 29, v11
	v_and_b32_e32 v7, 7, v7
	v_cndmask_b32_e64 v0, v0, v8, s[0:1]
	v_cndmask_b32_e64 v7, v18, v7, s[0:1]
	v_lshlrev_b32_e32 v8, 16, v15
	v_lshl_add_u32 v0, v0, 23, v59
	v_and_or_b32 v0, v8, s26, v0
	v_lshlrev_b32_e32 v7, 20, v7
	v_or_b32_e32 v19, v0, v7
	v_mov_b32_e32 v18, v5
.LBB213_660:                            ;   in Loop: Header=BB213_390 Depth=1
	s_or_b64 exec, exec, s[14:15]
.LBB213_661:                            ;   in Loop: Header=BB213_390 Depth=1
	s_or_b64 exec, exec, s[12:13]
.LBB213_662:                            ;   in Loop: Header=BB213_390 Depth=1
	s_or_b64 exec, exec, s[6:7]
	v_lshrrev_b32_e32 v11, 16, v15
	v_mov_b32_e32 v22, 0
	v_mov_b32_e32 v20, 0
	;; [unrolled: 1-line block ×4, first 2 shown]
	v_cmp_ne_u16_sdwa s[0:1], v11, v5 src0_sel:BYTE_0 src1_sel:DWORD
	s_and_saveexec_b64 s[6:7], s[0:1]
	s_cbranch_execz .LBB213_668
; %bb.663:                              ;   in Loop: Header=BB213_390 Depth=1
	v_bfrev_b32_e32 v20, 1
	v_mov_b32_e32 v21, 0
	v_cmp_ne_u16_sdwa s[0:1], v11, s24 src0_sel:BYTE_0 src1_sel:DWORD
	s_and_saveexec_b64 s[12:13], s[0:1]
	s_cbranch_execz .LBB213_667
; %bb.664:                              ;   in Loop: Header=BB213_390 Depth=1
	v_bfe_u32 v0, v15, 16, 7
	v_mov_b32_e32 v20, 0x7f800001
	v_mov_b32_e32 v21, 0
	v_cmp_ne_u32_e64 s[0:1], s25, v0
	s_and_saveexec_b64 s[14:15], s[0:1]
	s_cbranch_execz .LBB213_666
; %bb.665:                              ;   in Loop: Header=BB213_390 Depth=1
	v_and_b32_e32 v20, 7, v11
	v_lshrrev_b32_e32 v21, 3, v0
	v_cmp_gt_u32_e64 s[0:1], 8, v0
	v_ffbh_u32_e32 v0, v20
	v_min_u32_e32 v0, 32, v0
	v_subrev_u32_e32 v7, 28, v0
	v_lshlrev_b64 v[7:8], v7, v[11:12]
	v_sub_u32_e32 v0, 29, v0
	v_and_b32_e32 v7, 7, v7
	v_cndmask_b32_e64 v0, v21, v0, s[0:1]
	v_cndmask_b32_e64 v7, v20, v7, s[0:1]
	v_lshlrev_b32_e32 v7, 20, v7
	v_and_b32_sdwa v8, sext(v11), s26 dst_sel:DWORD dst_unused:UNUSED_PAD src0_sel:BYTE_0 src1_sel:DWORD
	v_lshl_add_u32 v0, v0, 23, v59
	v_or3_b32 v20, v8, v0, v7
	v_mov_b32_e32 v21, v5
.LBB213_666:                            ;   in Loop: Header=BB213_390 Depth=1
	s_or_b64 exec, exec, s[14:15]
.LBB213_667:                            ;   in Loop: Header=BB213_390 Depth=1
	s_or_b64 exec, exec, s[12:13]
.LBB213_668:                            ;   in Loop: Header=BB213_390 Depth=1
	s_or_b64 exec, exec, s[6:7]
	v_cmp_lt_u32_e64 s[0:1], s27, v15
	s_and_saveexec_b64 s[6:7], s[0:1]
	s_cbranch_execz .LBB213_674
; %bb.669:                              ;   in Loop: Header=BB213_390 Depth=1
	v_mov_b32_e32 v23, v6
	v_cmp_ne_u32_sdwa s[0:1], v15, s24 src0_sel:BYTE_3 src1_sel:DWORD
	v_mov_b32_e32 v22, v5
	s_and_saveexec_b64 s[12:13], s[0:1]
	s_cbranch_execz .LBB213_673
; %bb.670:                              ;   in Loop: Header=BB213_390 Depth=1
	v_bfe_u32 v7, v15, 24, 7
	v_mov_b32_e32 v11, v5
	v_mov_b32_e32 v23, v12
	v_cmp_ne_u32_e64 s[0:1], s25, v7
	v_mov_b32_e32 v22, v11
	s_and_saveexec_b64 s[14:15], s[0:1]
	s_cbranch_execz .LBB213_672
; %bb.671:                              ;   in Loop: Header=BB213_390 Depth=1
	v_and_b32_sdwa v22, v15, v29 dst_sel:DWORD dst_unused:UNUSED_PAD src0_sel:BYTE_3 src1_sel:DWORD
	v_lshrrev_b32_e32 v0, 3, v7
	v_cmp_gt_u32_e64 s[0:1], 8, v7
	v_ffbh_u32_e32 v7, v22
	v_min_u32_e32 v11, 32, v7
	v_mov_b32_e32 v23, v5
	v_subrev_u32_e32 v7, 28, v11
	v_lshlrev_b64 v[7:8], v7, v[22:23]
	v_sub_u32_e32 v8, 29, v11
	v_and_b32_e32 v7, 7, v7
	v_cndmask_b32_e64 v0, v0, v8, s[0:1]
	v_mov_b32_e32 v8, 24
	v_cndmask_b32_e64 v7, v22, v7, s[0:1]
	v_lshlrev_b32_sdwa v8, v8, v15 dst_sel:DWORD dst_unused:UNUSED_PAD src0_sel:DWORD src1_sel:BYTE_3
	v_lshl_add_u32 v0, v0, 23, v59
	v_and_or_b32 v0, v8, s26, v0
	v_lshlrev_b32_e32 v7, 20, v7
	v_or_b32_e32 v23, v0, v7
	v_mov_b32_e32 v22, v5
.LBB213_672:                            ;   in Loop: Header=BB213_390 Depth=1
	s_or_b64 exec, exec, s[14:15]
.LBB213_673:                            ;   in Loop: Header=BB213_390 Depth=1
	s_or_b64 exec, exec, s[12:13]
.LBB213_674:                            ;   in Loop: Header=BB213_390 Depth=1
	s_or_b64 exec, exec, s[6:7]
	v_or_b32_e32 v0, v19, v17
	v_or_b32_e32 v7, v18, v16
	v_mul_f32_e32 v26, s18, v0
	v_mul_f32_e32 v52, s17, v7
	v_or_b32_e32 v0, v23, v21
	v_or_b32_e32 v7, v22, v20
	v_mul_f32_e32 v8, s17, v7
	v_mul_f32_e32 v7, s18, v0
	s_and_saveexec_b64 s[6:7], vcc
	s_cbranch_execz .LBB213_676
; %bb.675:                              ;   in Loop: Header=BB213_390 Depth=1
	v_add_u32_e32 v0, -3, v43
	v_cmp_gt_i32_e64 s[0:1], s30, v0
	v_add_u32_e32 v0, -2, v43
	v_cndmask_b32_e64 v52, 0, v52, s[0:1]
	v_cmp_gt_i32_e64 s[0:1], s30, v0
	v_add_u32_e32 v0, -1, v43
	v_cndmask_b32_e64 v26, 0, v26, s[0:1]
	v_cmp_gt_i32_e64 s[0:1], s30, v0
	v_cndmask_b32_e64 v8, 0, v8, s[0:1]
	v_cmp_gt_i32_e64 s[0:1], s30, v43
	v_cndmask_b32_e64 v7, 0, v7, s[0:1]
.LBB213_676:                            ;   in Loop: Header=BB213_390 Depth=1
	s_or_b64 exec, exec, s[6:7]
	global_load_dword v15, v[13:14], off offset:2816
	v_mov_b32_e32 v18, 0
	v_mov_b32_e32 v16, 0
	;; [unrolled: 1-line block ×4, first 2 shown]
	s_waitcnt vmcnt(0)
	v_cmp_ne_u16_sdwa s[0:1], v15, v5 src0_sel:BYTE_0 src1_sel:DWORD
	s_and_saveexec_b64 s[6:7], s[0:1]
	s_cbranch_execz .LBB213_682
; %bb.677:                              ;   in Loop: Header=BB213_390 Depth=1
	v_bfrev_b32_e32 v16, 1
	v_mov_b32_e32 v17, 0
	v_cmp_ne_u16_sdwa s[0:1], v15, s24 src0_sel:BYTE_0 src1_sel:DWORD
	s_and_saveexec_b64 s[12:13], s[0:1]
	s_cbranch_execz .LBB213_681
; %bb.678:                              ;   in Loop: Header=BB213_390 Depth=1
	v_and_b32_e32 v0, 0x7f, v15
	v_mov_b32_e32 v16, 0x7f800001
	v_mov_b32_e32 v17, 0
	v_cmp_ne_u32_e64 s[0:1], s25, v0
	s_and_saveexec_b64 s[14:15], s[0:1]
	s_cbranch_execz .LBB213_680
; %bb.679:                              ;   in Loop: Header=BB213_390 Depth=1
	v_and_b32_e32 v11, 7, v15
	v_lshrrev_b32_e32 v20, 3, v0
	v_cmp_gt_u32_e64 s[0:1], 8, v0
	v_ffbh_u32_e32 v0, v11
	v_min_u32_e32 v0, 32, v0
	v_subrev_u32_e32 v16, 28, v0
	v_lshlrev_b64 v[16:17], v16, v[15:16]
	v_sub_u32_e32 v0, 29, v0
	v_and_b32_e32 v16, 7, v16
	v_cndmask_b32_e64 v0, v20, v0, s[0:1]
	v_cndmask_b32_e64 v11, v11, v16, s[0:1]
	v_lshlrev_b32_e32 v11, 20, v11
	v_and_b32_sdwa v16, sext(v15), s26 dst_sel:DWORD dst_unused:UNUSED_PAD src0_sel:BYTE_0 src1_sel:DWORD
	v_lshl_add_u32 v0, v0, 23, v59
	v_or3_b32 v16, v16, v0, v11
	v_mov_b32_e32 v17, v5
.LBB213_680:                            ;   in Loop: Header=BB213_390 Depth=1
	s_or_b64 exec, exec, s[14:15]
.LBB213_681:                            ;   in Loop: Header=BB213_390 Depth=1
	s_or_b64 exec, exec, s[12:13]
.LBB213_682:                            ;   in Loop: Header=BB213_390 Depth=1
	s_or_b64 exec, exec, s[6:7]
	v_cmp_ne_u16_sdwa s[0:1], v15, v5 src0_sel:BYTE_1 src1_sel:DWORD
	s_and_saveexec_b64 s[6:7], s[0:1]
	s_cbranch_execz .LBB213_688
; %bb.683:                              ;   in Loop: Header=BB213_390 Depth=1
	v_mov_b32_e32 v19, v6
	v_cmp_ne_u16_sdwa s[0:1], v15, s24 src0_sel:BYTE_1 src1_sel:DWORD
	v_mov_b32_e32 v18, v5
	s_and_saveexec_b64 s[12:13], s[0:1]
	s_cbranch_execz .LBB213_687
; %bb.684:                              ;   in Loop: Header=BB213_390 Depth=1
	v_and_b32_sdwa v20, v15, s25 dst_sel:DWORD dst_unused:UNUSED_PAD src0_sel:BYTE_1 src1_sel:DWORD
	v_mov_b32_e32 v11, v5
	v_mov_b32_e32 v19, v12
	v_cmp_ne_u32_e64 s[0:1], s25, v20
	v_mov_b32_e32 v18, v11
	s_and_saveexec_b64 s[14:15], s[0:1]
	s_cbranch_execz .LBB213_686
; %bb.685:                              ;   in Loop: Header=BB213_390 Depth=1
	v_and_b32_sdwa v18, v15, v29 dst_sel:DWORD dst_unused:UNUSED_PAD src0_sel:BYTE_1 src1_sel:DWORD
	v_ffbh_u32_e32 v11, v18
	v_min_u32_e32 v11, 32, v11
	v_mov_b32_e32 v19, v5
	v_lshrrev_b32_e32 v0, 3, v20
	v_cmp_gt_u32_e64 s[0:1], 8, v20
	v_subrev_u32_e32 v20, 28, v11
	v_lshlrev_b64 v[19:20], v20, v[18:19]
	v_sub_u32_e32 v11, 29, v11
	v_and_b32_e32 v19, 7, v19
	v_cndmask_b32_e64 v0, v0, v11, s[0:1]
	v_cndmask_b32_e64 v11, v18, v19, s[0:1]
	v_lshlrev_b32_e32 v18, 16, v15
	v_lshl_add_u32 v0, v0, 23, v59
	v_and_or_b32 v0, v18, s26, v0
	v_lshlrev_b32_e32 v11, 20, v11
	v_or_b32_e32 v19, v0, v11
	v_mov_b32_e32 v18, v5
.LBB213_686:                            ;   in Loop: Header=BB213_390 Depth=1
	s_or_b64 exec, exec, s[14:15]
.LBB213_687:                            ;   in Loop: Header=BB213_390 Depth=1
	s_or_b64 exec, exec, s[12:13]
.LBB213_688:                            ;   in Loop: Header=BB213_390 Depth=1
	s_or_b64 exec, exec, s[6:7]
	v_lshrrev_b32_e32 v11, 16, v15
	v_mov_b32_e32 v22, 0
	v_mov_b32_e32 v20, 0
	;; [unrolled: 1-line block ×4, first 2 shown]
	v_cmp_ne_u16_sdwa s[0:1], v11, v5 src0_sel:BYTE_0 src1_sel:DWORD
	s_and_saveexec_b64 s[6:7], s[0:1]
	s_cbranch_execz .LBB213_694
; %bb.689:                              ;   in Loop: Header=BB213_390 Depth=1
	v_bfrev_b32_e32 v20, 1
	v_mov_b32_e32 v21, 0
	v_cmp_ne_u16_sdwa s[0:1], v11, s24 src0_sel:BYTE_0 src1_sel:DWORD
	s_and_saveexec_b64 s[12:13], s[0:1]
	s_cbranch_execz .LBB213_693
; %bb.690:                              ;   in Loop: Header=BB213_390 Depth=1
	v_bfe_u32 v0, v15, 16, 7
	v_mov_b32_e32 v20, 0x7f800001
	v_mov_b32_e32 v21, 0
	v_cmp_ne_u32_e64 s[0:1], s25, v0
	s_and_saveexec_b64 s[14:15], s[0:1]
	s_cbranch_execz .LBB213_692
; %bb.691:                              ;   in Loop: Header=BB213_390 Depth=1
	v_and_b32_e32 v27, 7, v11
	v_lshrrev_b32_e32 v29, 3, v0
	v_cmp_gt_u32_e64 s[0:1], 8, v0
	v_ffbh_u32_e32 v0, v27
	v_min_u32_e32 v0, 32, v0
	v_subrev_u32_e32 v20, 28, v0
	v_lshlrev_b64 v[20:21], v20, v[11:12]
	v_sub_u32_e32 v0, 29, v0
	v_and_b32_e32 v20, 7, v20
	v_cndmask_b32_e64 v0, v29, v0, s[0:1]
	v_cndmask_b32_e64 v20, v27, v20, s[0:1]
	v_lshlrev_b32_e32 v20, 20, v20
	v_and_b32_sdwa v11, sext(v11), s26 dst_sel:DWORD dst_unused:UNUSED_PAD src0_sel:BYTE_0 src1_sel:DWORD
	v_lshl_add_u32 v0, v0, 23, v59
	v_mov_b32_e32 v29, 7
	v_or3_b32 v20, v11, v0, v20
	v_mov_b32_e32 v21, v5
.LBB213_692:                            ;   in Loop: Header=BB213_390 Depth=1
	s_or_b64 exec, exec, s[14:15]
.LBB213_693:                            ;   in Loop: Header=BB213_390 Depth=1
	s_or_b64 exec, exec, s[12:13]
.LBB213_694:                            ;   in Loop: Header=BB213_390 Depth=1
	s_or_b64 exec, exec, s[6:7]
	v_cmp_lt_u32_e64 s[0:1], s27, v15
	s_and_saveexec_b64 s[6:7], s[0:1]
	s_cbranch_execz .LBB213_700
; %bb.695:                              ;   in Loop: Header=BB213_390 Depth=1
	v_mov_b32_e32 v23, v6
	v_cmp_ne_u32_sdwa s[0:1], v15, s24 src0_sel:BYTE_3 src1_sel:DWORD
	v_mov_b32_e32 v22, v5
	s_and_saveexec_b64 s[12:13], s[0:1]
	s_cbranch_execz .LBB213_699
; %bb.696:                              ;   in Loop: Header=BB213_390 Depth=1
	v_bfe_u32 v27, v15, 24, 7
	v_mov_b32_e32 v11, v5
	v_mov_b32_e32 v23, v12
	v_cmp_ne_u32_e64 s[0:1], s25, v27
	v_mov_b32_e32 v22, v11
	s_and_saveexec_b64 s[14:15], s[0:1]
	s_cbranch_execz .LBB213_698
; %bb.697:                              ;   in Loop: Header=BB213_390 Depth=1
	v_and_b32_sdwa v22, v15, v29 dst_sel:DWORD dst_unused:UNUSED_PAD src0_sel:BYTE_3 src1_sel:DWORD
	v_ffbh_u32_e32 v11, v22
	v_min_u32_e32 v11, 32, v11
	v_mov_b32_e32 v23, v5
	v_lshrrev_b32_e32 v0, 3, v27
	v_cmp_gt_u32_e64 s[0:1], 8, v27
	v_subrev_u32_e32 v27, 28, v11
	v_lshlrev_b64 v[48:49], v27, v[22:23]
	v_sub_u32_e32 v11, 29, v11
	v_and_b32_e32 v23, 7, v48
	v_cndmask_b32_e64 v0, v0, v11, s[0:1]
	v_cndmask_b32_e64 v11, v22, v23, s[0:1]
	v_mov_b32_e32 v22, 24
	v_lshlrev_b32_sdwa v15, v22, v15 dst_sel:DWORD dst_unused:UNUSED_PAD src0_sel:DWORD src1_sel:BYTE_3
	v_lshl_add_u32 v0, v0, 23, v59
	v_and_or_b32 v0, v15, s26, v0
	v_lshlrev_b32_e32 v11, 20, v11
	v_or_b32_e32 v23, v0, v11
	v_mov_b32_e32 v22, v5
.LBB213_698:                            ;   in Loop: Header=BB213_390 Depth=1
	s_or_b64 exec, exec, s[14:15]
.LBB213_699:                            ;   in Loop: Header=BB213_390 Depth=1
	s_or_b64 exec, exec, s[12:13]
.LBB213_700:                            ;   in Loop: Header=BB213_390 Depth=1
	s_or_b64 exec, exec, s[6:7]
	v_or_b32_e32 v0, v19, v17
	v_or_b32_e32 v11, v18, v16
	v_mul_f32_e32 v53, s18, v0
	v_mul_f32_e32 v46, s17, v11
	v_or_b32_e32 v0, v23, v21
	v_or_b32_e32 v11, v22, v20
	v_mul_f32_e32 v27, s17, v11
	v_mul_f32_e32 v54, s18, v0
	s_and_saveexec_b64 s[6:7], vcc
	s_cbranch_execz .LBB213_702
; %bb.701:                              ;   in Loop: Header=BB213_390 Depth=1
	v_add_u32_e32 v0, -3, v43
	v_cmp_gt_i32_e64 s[0:1], s30, v0
	v_add_u32_e32 v0, -2, v43
	v_cndmask_b32_e64 v46, 0, v46, s[0:1]
	v_cmp_gt_i32_e64 s[0:1], s30, v0
	v_add_u32_e32 v0, -1, v43
	v_cndmask_b32_e64 v53, 0, v53, s[0:1]
	v_cmp_gt_i32_e64 s[0:1], s30, v0
	v_cndmask_b32_e64 v27, 0, v27, s[0:1]
	v_cmp_gt_i32_e64 s[0:1], s30, v43
	v_cndmask_b32_e64 v54, 0, v54, s[0:1]
.LBB213_702:                            ;   in Loop: Header=BB213_390 Depth=1
	s_or_b64 exec, exec, s[6:7]
	global_load_dword v15, v[13:14], off offset:3072
	v_mov_b32_e32 v18, 0
	v_mov_b32_e32 v16, 0
	v_mov_b32_e32 v19, 0
	v_mov_b32_e32 v17, 0
	s_waitcnt vmcnt(0)
	v_cmp_ne_u16_sdwa s[0:1], v15, v5 src0_sel:BYTE_0 src1_sel:DWORD
	s_and_saveexec_b64 s[6:7], s[0:1]
	s_cbranch_execz .LBB213_708
; %bb.703:                              ;   in Loop: Header=BB213_390 Depth=1
	v_bfrev_b32_e32 v16, 1
	v_mov_b32_e32 v17, 0
	v_cmp_ne_u16_sdwa s[0:1], v15, s24 src0_sel:BYTE_0 src1_sel:DWORD
	s_and_saveexec_b64 s[12:13], s[0:1]
	s_cbranch_execz .LBB213_707
; %bb.704:                              ;   in Loop: Header=BB213_390 Depth=1
	v_and_b32_e32 v0, 0x7f, v15
	v_mov_b32_e32 v16, 0x7f800001
	v_mov_b32_e32 v17, 0
	v_cmp_ne_u32_e64 s[0:1], s25, v0
	s_and_saveexec_b64 s[14:15], s[0:1]
	s_cbranch_execz .LBB213_706
; %bb.705:                              ;   in Loop: Header=BB213_390 Depth=1
	v_and_b32_e32 v11, 7, v15
	v_lshrrev_b32_e32 v20, 3, v0
	v_cmp_gt_u32_e64 s[0:1], 8, v0
	v_ffbh_u32_e32 v0, v11
	v_min_u32_e32 v0, 32, v0
	v_subrev_u32_e32 v16, 28, v0
	v_lshlrev_b64 v[16:17], v16, v[15:16]
	v_sub_u32_e32 v0, 29, v0
	v_and_b32_e32 v16, 7, v16
	v_cndmask_b32_e64 v0, v20, v0, s[0:1]
	v_cndmask_b32_e64 v11, v11, v16, s[0:1]
	v_lshlrev_b32_e32 v11, 20, v11
	v_and_b32_sdwa v16, sext(v15), s26 dst_sel:DWORD dst_unused:UNUSED_PAD src0_sel:BYTE_0 src1_sel:DWORD
	v_lshl_add_u32 v0, v0, 23, v59
	v_or3_b32 v16, v16, v0, v11
	v_mov_b32_e32 v17, v5
.LBB213_706:                            ;   in Loop: Header=BB213_390 Depth=1
	s_or_b64 exec, exec, s[14:15]
.LBB213_707:                            ;   in Loop: Header=BB213_390 Depth=1
	s_or_b64 exec, exec, s[12:13]
.LBB213_708:                            ;   in Loop: Header=BB213_390 Depth=1
	s_or_b64 exec, exec, s[6:7]
	v_cmp_ne_u16_sdwa s[0:1], v15, v5 src0_sel:BYTE_1 src1_sel:DWORD
	s_and_saveexec_b64 s[6:7], s[0:1]
	s_cbranch_execz .LBB213_714
; %bb.709:                              ;   in Loop: Header=BB213_390 Depth=1
	v_mov_b32_e32 v19, v6
	v_cmp_ne_u16_sdwa s[0:1], v15, s24 src0_sel:BYTE_1 src1_sel:DWORD
	v_mov_b32_e32 v18, v5
	s_and_saveexec_b64 s[12:13], s[0:1]
	s_cbranch_execz .LBB213_713
; %bb.710:                              ;   in Loop: Header=BB213_390 Depth=1
	v_and_b32_sdwa v20, v15, s25 dst_sel:DWORD dst_unused:UNUSED_PAD src0_sel:BYTE_1 src1_sel:DWORD
	v_mov_b32_e32 v11, v5
	v_mov_b32_e32 v19, v12
	v_cmp_ne_u32_e64 s[0:1], s25, v20
	v_mov_b32_e32 v18, v11
	s_and_saveexec_b64 s[14:15], s[0:1]
	s_cbranch_execz .LBB213_712
; %bb.711:                              ;   in Loop: Header=BB213_390 Depth=1
	v_and_b32_sdwa v18, v15, v29 dst_sel:DWORD dst_unused:UNUSED_PAD src0_sel:BYTE_1 src1_sel:DWORD
	v_ffbh_u32_e32 v11, v18
	v_min_u32_e32 v11, 32, v11
	v_mov_b32_e32 v19, v5
	v_lshrrev_b32_e32 v0, 3, v20
	v_cmp_gt_u32_e64 s[0:1], 8, v20
	v_subrev_u32_e32 v20, 28, v11
	v_lshlrev_b64 v[19:20], v20, v[18:19]
	v_sub_u32_e32 v11, 29, v11
	v_and_b32_e32 v19, 7, v19
	v_cndmask_b32_e64 v0, v0, v11, s[0:1]
	v_cndmask_b32_e64 v11, v18, v19, s[0:1]
	v_lshlrev_b32_e32 v18, 16, v15
	v_lshl_add_u32 v0, v0, 23, v59
	v_and_or_b32 v0, v18, s26, v0
	v_lshlrev_b32_e32 v11, 20, v11
	v_or_b32_e32 v19, v0, v11
	v_mov_b32_e32 v18, v5
.LBB213_712:                            ;   in Loop: Header=BB213_390 Depth=1
	s_or_b64 exec, exec, s[14:15]
.LBB213_713:                            ;   in Loop: Header=BB213_390 Depth=1
	s_or_b64 exec, exec, s[12:13]
.LBB213_714:                            ;   in Loop: Header=BB213_390 Depth=1
	s_or_b64 exec, exec, s[6:7]
	v_lshrrev_b32_e32 v11, 16, v15
	v_mov_b32_e32 v22, 0
	v_mov_b32_e32 v20, 0
	;; [unrolled: 1-line block ×4, first 2 shown]
	v_cmp_ne_u16_sdwa s[0:1], v11, v5 src0_sel:BYTE_0 src1_sel:DWORD
	s_and_saveexec_b64 s[6:7], s[0:1]
	s_cbranch_execz .LBB213_720
; %bb.715:                              ;   in Loop: Header=BB213_390 Depth=1
	v_bfrev_b32_e32 v20, 1
	v_mov_b32_e32 v21, 0
	v_cmp_ne_u16_sdwa s[0:1], v11, s24 src0_sel:BYTE_0 src1_sel:DWORD
	s_and_saveexec_b64 s[12:13], s[0:1]
	s_cbranch_execz .LBB213_719
; %bb.716:                              ;   in Loop: Header=BB213_390 Depth=1
	v_bfe_u32 v0, v15, 16, 7
	v_mov_b32_e32 v20, 0x7f800001
	v_mov_b32_e32 v21, 0
	v_cmp_ne_u32_e64 s[0:1], s25, v0
	s_and_saveexec_b64 s[14:15], s[0:1]
	s_cbranch_execz .LBB213_718
; %bb.717:                              ;   in Loop: Header=BB213_390 Depth=1
	v_and_b32_e32 v29, 7, v11
	v_mov_b32_e32 v48, v30
	v_lshrrev_b32_e32 v30, 3, v0
	v_cmp_gt_u32_e64 s[0:1], 8, v0
	v_ffbh_u32_e32 v0, v29
	v_min_u32_e32 v0, 32, v0
	v_subrev_u32_e32 v20, 28, v0
	v_lshlrev_b64 v[20:21], v20, v[11:12]
	v_sub_u32_e32 v0, 29, v0
	v_and_b32_e32 v20, 7, v20
	v_cndmask_b32_e64 v0, v30, v0, s[0:1]
	v_cndmask_b32_e64 v20, v29, v20, s[0:1]
	v_lshlrev_b32_e32 v20, 20, v20
	v_and_b32_sdwa v11, sext(v11), s26 dst_sel:DWORD dst_unused:UNUSED_PAD src0_sel:BYTE_0 src1_sel:DWORD
	v_lshl_add_u32 v0, v0, 23, v59
	v_mov_b32_e32 v30, v48
	v_mov_b32_e32 v29, 7
	v_or3_b32 v20, v11, v0, v20
	v_mov_b32_e32 v21, v5
.LBB213_718:                            ;   in Loop: Header=BB213_390 Depth=1
	s_or_b64 exec, exec, s[14:15]
.LBB213_719:                            ;   in Loop: Header=BB213_390 Depth=1
	s_or_b64 exec, exec, s[12:13]
.LBB213_720:                            ;   in Loop: Header=BB213_390 Depth=1
	s_or_b64 exec, exec, s[6:7]
	v_cmp_lt_u32_e64 s[0:1], s27, v15
	s_and_saveexec_b64 s[6:7], s[0:1]
	s_cbranch_execz .LBB213_726
; %bb.721:                              ;   in Loop: Header=BB213_390 Depth=1
	v_mov_b32_e32 v23, v6
	v_cmp_ne_u32_sdwa s[0:1], v15, s24 src0_sel:BYTE_3 src1_sel:DWORD
	v_mov_b32_e32 v22, v5
	s_and_saveexec_b64 s[12:13], s[0:1]
	s_cbranch_execz .LBB213_725
; %bb.722:                              ;   in Loop: Header=BB213_390 Depth=1
	v_bfe_u32 v48, v15, 24, 7
	v_mov_b32_e32 v11, v5
	v_mov_b32_e32 v23, v12
	v_cmp_ne_u32_e64 s[0:1], s25, v48
	v_mov_b32_e32 v22, v11
	s_and_saveexec_b64 s[14:15], s[0:1]
	s_cbranch_execz .LBB213_724
; %bb.723:                              ;   in Loop: Header=BB213_390 Depth=1
	v_and_b32_sdwa v22, v15, v29 dst_sel:DWORD dst_unused:UNUSED_PAD src0_sel:BYTE_3 src1_sel:DWORD
	v_ffbh_u32_e32 v11, v22
	v_min_u32_e32 v11, 32, v11
	v_mov_b32_e32 v23, v5
	v_subrev_u32_e32 v29, 28, v11
	v_lshrrev_b32_e32 v0, 3, v48
	v_cmp_gt_u32_e64 s[0:1], 8, v48
	v_lshlrev_b64 v[48:49], v29, v[22:23]
	v_sub_u32_e32 v11, 29, v11
	v_and_b32_e32 v23, 7, v48
	v_cndmask_b32_e64 v0, v0, v11, s[0:1]
	v_cndmask_b32_e64 v11, v22, v23, s[0:1]
	v_mov_b32_e32 v22, 24
	v_lshlrev_b32_sdwa v15, v22, v15 dst_sel:DWORD dst_unused:UNUSED_PAD src0_sel:DWORD src1_sel:BYTE_3
	v_lshl_add_u32 v0, v0, 23, v59
	v_and_or_b32 v0, v15, s26, v0
	v_lshlrev_b32_e32 v11, 20, v11
	v_mov_b32_e32 v29, 7
	v_or_b32_e32 v23, v0, v11
	v_mov_b32_e32 v22, v5
.LBB213_724:                            ;   in Loop: Header=BB213_390 Depth=1
	s_or_b64 exec, exec, s[14:15]
.LBB213_725:                            ;   in Loop: Header=BB213_390 Depth=1
	s_or_b64 exec, exec, s[12:13]
.LBB213_726:                            ;   in Loop: Header=BB213_390 Depth=1
	s_or_b64 exec, exec, s[6:7]
	v_or_b32_e32 v0, v19, v17
	v_or_b32_e32 v11, v18, v16
	v_mul_f32_e32 v48, s18, v0
	v_mul_f32_e32 v51, s17, v11
	v_or_b32_e32 v0, v23, v21
	v_or_b32_e32 v11, v22, v20
	v_mul_f32_e32 v50, s17, v11
	v_mul_f32_e32 v49, s18, v0
	s_and_saveexec_b64 s[6:7], vcc
	s_cbranch_execz .LBB213_728
; %bb.727:                              ;   in Loop: Header=BB213_390 Depth=1
	v_add_u32_e32 v0, -3, v43
	v_cmp_gt_i32_e64 s[0:1], s30, v0
	v_add_u32_e32 v0, -2, v43
	v_cndmask_b32_e64 v51, 0, v51, s[0:1]
	v_cmp_gt_i32_e64 s[0:1], s30, v0
	v_add_u32_e32 v0, -1, v43
	v_cndmask_b32_e64 v48, 0, v48, s[0:1]
	v_cmp_gt_i32_e64 s[0:1], s30, v0
	v_cndmask_b32_e64 v50, 0, v50, s[0:1]
	v_cmp_gt_i32_e64 s[0:1], s30, v43
	v_cndmask_b32_e64 v49, 0, v49, s[0:1]
.LBB213_728:                            ;   in Loop: Header=BB213_390 Depth=1
	s_or_b64 exec, exec, s[6:7]
	global_load_dword v15, v[13:14], off offset:3328
	v_mov_b32_e32 v18, 0
	v_mov_b32_e32 v16, 0
	;; [unrolled: 1-line block ×4, first 2 shown]
	s_waitcnt vmcnt(0)
	v_cmp_ne_u16_sdwa s[0:1], v15, v5 src0_sel:BYTE_0 src1_sel:DWORD
	s_and_saveexec_b64 s[6:7], s[0:1]
	s_cbranch_execz .LBB213_734
; %bb.729:                              ;   in Loop: Header=BB213_390 Depth=1
	v_bfrev_b32_e32 v16, 1
	v_mov_b32_e32 v17, 0
	v_cmp_ne_u16_sdwa s[0:1], v15, s24 src0_sel:BYTE_0 src1_sel:DWORD
	s_and_saveexec_b64 s[12:13], s[0:1]
	s_cbranch_execz .LBB213_733
; %bb.730:                              ;   in Loop: Header=BB213_390 Depth=1
	v_and_b32_e32 v0, 0x7f, v15
	v_mov_b32_e32 v16, 0x7f800001
	v_mov_b32_e32 v17, 0
	v_cmp_ne_u32_e64 s[0:1], s25, v0
	s_and_saveexec_b64 s[14:15], s[0:1]
	s_cbranch_execz .LBB213_732
; %bb.731:                              ;   in Loop: Header=BB213_390 Depth=1
	v_and_b32_e32 v11, 7, v15
	v_lshrrev_b32_e32 v20, 3, v0
	v_cmp_gt_u32_e64 s[0:1], 8, v0
	v_ffbh_u32_e32 v0, v11
	v_min_u32_e32 v0, 32, v0
	v_subrev_u32_e32 v16, 28, v0
	v_lshlrev_b64 v[16:17], v16, v[15:16]
	v_sub_u32_e32 v0, 29, v0
	v_and_b32_e32 v16, 7, v16
	v_cndmask_b32_e64 v0, v20, v0, s[0:1]
	v_cndmask_b32_e64 v11, v11, v16, s[0:1]
	v_lshlrev_b32_e32 v11, 20, v11
	v_and_b32_sdwa v16, sext(v15), s26 dst_sel:DWORD dst_unused:UNUSED_PAD src0_sel:BYTE_0 src1_sel:DWORD
	v_lshl_add_u32 v0, v0, 23, v59
	v_or3_b32 v16, v16, v0, v11
	v_mov_b32_e32 v17, v5
.LBB213_732:                            ;   in Loop: Header=BB213_390 Depth=1
	s_or_b64 exec, exec, s[14:15]
.LBB213_733:                            ;   in Loop: Header=BB213_390 Depth=1
	s_or_b64 exec, exec, s[12:13]
.LBB213_734:                            ;   in Loop: Header=BB213_390 Depth=1
	s_or_b64 exec, exec, s[6:7]
	v_cmp_ne_u16_sdwa s[0:1], v15, v5 src0_sel:BYTE_1 src1_sel:DWORD
	s_and_saveexec_b64 s[6:7], s[0:1]
	s_cbranch_execz .LBB213_740
; %bb.735:                              ;   in Loop: Header=BB213_390 Depth=1
	v_mov_b32_e32 v19, v6
	v_cmp_ne_u16_sdwa s[0:1], v15, s24 src0_sel:BYTE_1 src1_sel:DWORD
	v_mov_b32_e32 v18, v5
	s_and_saveexec_b64 s[12:13], s[0:1]
	s_cbranch_execz .LBB213_739
; %bb.736:                              ;   in Loop: Header=BB213_390 Depth=1
	v_and_b32_sdwa v20, v15, s25 dst_sel:DWORD dst_unused:UNUSED_PAD src0_sel:BYTE_1 src1_sel:DWORD
	v_mov_b32_e32 v11, v5
	v_mov_b32_e32 v19, v12
	v_cmp_ne_u32_e64 s[0:1], s25, v20
	v_mov_b32_e32 v18, v11
	s_and_saveexec_b64 s[14:15], s[0:1]
	s_cbranch_execz .LBB213_738
; %bb.737:                              ;   in Loop: Header=BB213_390 Depth=1
	v_and_b32_sdwa v18, v15, v29 dst_sel:DWORD dst_unused:UNUSED_PAD src0_sel:BYTE_1 src1_sel:DWORD
	v_ffbh_u32_e32 v11, v18
	v_min_u32_e32 v11, 32, v11
	v_mov_b32_e32 v19, v5
	v_lshrrev_b32_e32 v0, 3, v20
	v_cmp_gt_u32_e64 s[0:1], 8, v20
	v_subrev_u32_e32 v20, 28, v11
	v_lshlrev_b64 v[19:20], v20, v[18:19]
	v_sub_u32_e32 v11, 29, v11
	v_and_b32_e32 v19, 7, v19
	v_cndmask_b32_e64 v0, v0, v11, s[0:1]
	v_cndmask_b32_e64 v11, v18, v19, s[0:1]
	v_lshlrev_b32_e32 v18, 16, v15
	v_lshl_add_u32 v0, v0, 23, v59
	v_and_or_b32 v0, v18, s26, v0
	v_lshlrev_b32_e32 v11, 20, v11
	v_or_b32_e32 v19, v0, v11
	v_mov_b32_e32 v18, v5
.LBB213_738:                            ;   in Loop: Header=BB213_390 Depth=1
	s_or_b64 exec, exec, s[14:15]
.LBB213_739:                            ;   in Loop: Header=BB213_390 Depth=1
	s_or_b64 exec, exec, s[12:13]
.LBB213_740:                            ;   in Loop: Header=BB213_390 Depth=1
	s_or_b64 exec, exec, s[6:7]
	v_lshrrev_b32_e32 v11, 16, v15
	v_mov_b32_e32 v22, 0
	v_mov_b32_e32 v20, 0
	;; [unrolled: 1-line block ×4, first 2 shown]
	v_cmp_ne_u16_sdwa s[0:1], v11, v5 src0_sel:BYTE_0 src1_sel:DWORD
	s_and_saveexec_b64 s[6:7], s[0:1]
	s_cbranch_execz .LBB213_746
; %bb.741:                              ;   in Loop: Header=BB213_390 Depth=1
	v_bfrev_b32_e32 v20, 1
	v_mov_b32_e32 v21, 0
	v_cmp_ne_u16_sdwa s[0:1], v11, s24 src0_sel:BYTE_0 src1_sel:DWORD
	s_and_saveexec_b64 s[12:13], s[0:1]
	s_cbranch_execz .LBB213_745
; %bb.742:                              ;   in Loop: Header=BB213_390 Depth=1
	v_bfe_u32 v0, v15, 16, 7
	v_mov_b32_e32 v20, 0x7f800001
	v_mov_b32_e32 v21, 0
	v_cmp_ne_u32_e64 s[0:1], s25, v0
	s_and_saveexec_b64 s[14:15], s[0:1]
	s_cbranch_execz .LBB213_744
; %bb.743:                              ;   in Loop: Header=BB213_390 Depth=1
	v_and_b32_e32 v29, 7, v11
	v_mov_b32_e32 v55, v30
	v_lshrrev_b32_e32 v30, 3, v0
	v_cmp_gt_u32_e64 s[0:1], 8, v0
	v_ffbh_u32_e32 v0, v29
	v_min_u32_e32 v0, 32, v0
	v_subrev_u32_e32 v20, 28, v0
	v_lshlrev_b64 v[20:21], v20, v[11:12]
	v_sub_u32_e32 v0, 29, v0
	v_and_b32_e32 v20, 7, v20
	v_cndmask_b32_e64 v0, v30, v0, s[0:1]
	v_cndmask_b32_e64 v20, v29, v20, s[0:1]
	v_lshlrev_b32_e32 v20, 20, v20
	v_and_b32_sdwa v11, sext(v11), s26 dst_sel:DWORD dst_unused:UNUSED_PAD src0_sel:BYTE_0 src1_sel:DWORD
	v_lshl_add_u32 v0, v0, 23, v59
	v_mov_b32_e32 v30, v55
	v_mov_b32_e32 v29, 7
	v_or3_b32 v20, v11, v0, v20
	v_mov_b32_e32 v21, v5
.LBB213_744:                            ;   in Loop: Header=BB213_390 Depth=1
	s_or_b64 exec, exec, s[14:15]
.LBB213_745:                            ;   in Loop: Header=BB213_390 Depth=1
	s_or_b64 exec, exec, s[12:13]
.LBB213_746:                            ;   in Loop: Header=BB213_390 Depth=1
	s_or_b64 exec, exec, s[6:7]
	v_cmp_lt_u32_e64 s[0:1], s27, v15
	s_and_saveexec_b64 s[6:7], s[0:1]
	s_cbranch_execz .LBB213_752
; %bb.747:                              ;   in Loop: Header=BB213_390 Depth=1
	v_mov_b32_e32 v23, v6
	v_cmp_ne_u32_sdwa s[0:1], v15, s24 src0_sel:BYTE_3 src1_sel:DWORD
	v_mov_b32_e32 v22, v5
	s_and_saveexec_b64 s[12:13], s[0:1]
	s_cbranch_execz .LBB213_751
; %bb.748:                              ;   in Loop: Header=BB213_390 Depth=1
	v_bfe_u32 v55, v15, 24, 7
	v_mov_b32_e32 v11, v5
	v_mov_b32_e32 v23, v12
	v_cmp_ne_u32_e64 s[0:1], s25, v55
	v_mov_b32_e32 v22, v11
	s_and_saveexec_b64 s[14:15], s[0:1]
	s_cbranch_execz .LBB213_750
; %bb.749:                              ;   in Loop: Header=BB213_390 Depth=1
	v_and_b32_sdwa v22, v15, v29 dst_sel:DWORD dst_unused:UNUSED_PAD src0_sel:BYTE_3 src1_sel:DWORD
	v_ffbh_u32_e32 v11, v22
	v_min_u32_e32 v11, 32, v11
	v_mov_b32_e32 v23, v5
	v_subrev_u32_e32 v29, 28, v11
	v_lshrrev_b32_e32 v0, 3, v55
	v_cmp_gt_u32_e64 s[0:1], 8, v55
	v_lshlrev_b64 v[55:56], v29, v[22:23]
	v_sub_u32_e32 v11, 29, v11
	v_and_b32_e32 v23, 7, v55
	v_cndmask_b32_e64 v0, v0, v11, s[0:1]
	v_cndmask_b32_e64 v11, v22, v23, s[0:1]
	v_mov_b32_e32 v22, 24
	v_lshlrev_b32_sdwa v15, v22, v15 dst_sel:DWORD dst_unused:UNUSED_PAD src0_sel:DWORD src1_sel:BYTE_3
	v_lshl_add_u32 v0, v0, 23, v59
	v_and_or_b32 v0, v15, s26, v0
	v_lshlrev_b32_e32 v11, 20, v11
	v_mov_b32_e32 v29, 7
	v_or_b32_e32 v23, v0, v11
	v_mov_b32_e32 v22, v5
.LBB213_750:                            ;   in Loop: Header=BB213_390 Depth=1
	s_or_b64 exec, exec, s[14:15]
.LBB213_751:                            ;   in Loop: Header=BB213_390 Depth=1
	s_or_b64 exec, exec, s[12:13]
.LBB213_752:                            ;   in Loop: Header=BB213_390 Depth=1
	s_or_b64 exec, exec, s[6:7]
	v_or_b32_e32 v0, v19, v17
	v_or_b32_e32 v11, v18, v16
	v_mul_f32_e32 v55, s18, v0
	v_mul_f32_e32 v56, s17, v11
	v_or_b32_e32 v0, v23, v21
	v_or_b32_e32 v11, v22, v20
	v_mul_f32_e32 v23, s17, v11
	v_mul_f32_e32 v22, s18, v0
	s_and_saveexec_b64 s[6:7], vcc
	s_cbranch_execz .LBB213_754
; %bb.753:                              ;   in Loop: Header=BB213_390 Depth=1
	v_add_u32_e32 v0, -3, v43
	v_cmp_gt_i32_e64 s[0:1], s30, v0
	v_add_u32_e32 v0, -2, v43
	v_cndmask_b32_e64 v56, 0, v56, s[0:1]
	v_cmp_gt_i32_e64 s[0:1], s30, v0
	v_add_u32_e32 v0, -1, v43
	v_cndmask_b32_e64 v55, 0, v55, s[0:1]
	v_cmp_gt_i32_e64 s[0:1], s30, v0
	v_cndmask_b32_e64 v23, 0, v23, s[0:1]
	v_cmp_gt_i32_e64 s[0:1], s30, v43
	v_cndmask_b32_e64 v22, 0, v22, s[0:1]
.LBB213_754:                            ;   in Loop: Header=BB213_390 Depth=1
	s_or_b64 exec, exec, s[6:7]
	global_load_dword v13, v[13:14], off offset:3584
	v_mov_b32_e32 v16, 0
	v_mov_b32_e32 v14, 0
	v_mov_b32_e32 v17, 0
	v_mov_b32_e32 v15, 0
	s_waitcnt vmcnt(0)
	v_cmp_ne_u16_sdwa s[0:1], v13, v5 src0_sel:BYTE_0 src1_sel:DWORD
	s_and_saveexec_b64 s[6:7], s[0:1]
	s_cbranch_execz .LBB213_760
; %bb.755:                              ;   in Loop: Header=BB213_390 Depth=1
	v_bfrev_b32_e32 v14, 1
	v_mov_b32_e32 v15, 0
	v_cmp_ne_u16_sdwa s[0:1], v13, s24 src0_sel:BYTE_0 src1_sel:DWORD
	s_and_saveexec_b64 s[12:13], s[0:1]
	s_cbranch_execz .LBB213_759
; %bb.756:                              ;   in Loop: Header=BB213_390 Depth=1
	v_and_b32_e32 v0, 0x7f, v13
	v_mov_b32_e32 v14, 0x7f800001
	v_mov_b32_e32 v15, 0
	v_cmp_ne_u32_e64 s[0:1], s25, v0
	s_and_saveexec_b64 s[14:15], s[0:1]
	s_cbranch_execz .LBB213_758
; %bb.757:                              ;   in Loop: Header=BB213_390 Depth=1
	v_and_b32_e32 v11, 7, v13
	v_lshrrev_b32_e32 v18, 3, v0
	v_cmp_gt_u32_e64 s[0:1], 8, v0
	v_ffbh_u32_e32 v0, v11
	v_min_u32_e32 v0, 32, v0
	v_subrev_u32_e32 v14, 28, v0
	v_lshlrev_b64 v[14:15], v14, v[13:14]
	v_sub_u32_e32 v0, 29, v0
	v_and_b32_e32 v14, 7, v14
	v_cndmask_b32_e64 v0, v18, v0, s[0:1]
	v_cndmask_b32_e64 v11, v11, v14, s[0:1]
	v_lshlrev_b32_e32 v11, 20, v11
	v_and_b32_sdwa v14, sext(v13), s26 dst_sel:DWORD dst_unused:UNUSED_PAD src0_sel:BYTE_0 src1_sel:DWORD
	v_lshl_add_u32 v0, v0, 23, v59
	v_or3_b32 v14, v14, v0, v11
	v_mov_b32_e32 v15, v5
.LBB213_758:                            ;   in Loop: Header=BB213_390 Depth=1
	s_or_b64 exec, exec, s[14:15]
.LBB213_759:                            ;   in Loop: Header=BB213_390 Depth=1
	s_or_b64 exec, exec, s[12:13]
.LBB213_760:                            ;   in Loop: Header=BB213_390 Depth=1
	s_or_b64 exec, exec, s[6:7]
	v_cmp_ne_u16_sdwa s[0:1], v13, v5 src0_sel:BYTE_1 src1_sel:DWORD
	s_and_saveexec_b64 s[6:7], s[0:1]
	s_cbranch_execz .LBB213_766
; %bb.761:                              ;   in Loop: Header=BB213_390 Depth=1
	v_mov_b32_e32 v17, v6
	v_cmp_ne_u16_sdwa s[0:1], v13, s24 src0_sel:BYTE_1 src1_sel:DWORD
	v_mov_b32_e32 v16, v5
	s_and_saveexec_b64 s[12:13], s[0:1]
	s_cbranch_execz .LBB213_765
; %bb.762:                              ;   in Loop: Header=BB213_390 Depth=1
	v_and_b32_sdwa v18, v13, s25 dst_sel:DWORD dst_unused:UNUSED_PAD src0_sel:BYTE_1 src1_sel:DWORD
	v_mov_b32_e32 v11, v5
	v_mov_b32_e32 v17, v12
	v_cmp_ne_u32_e64 s[0:1], s25, v18
	v_mov_b32_e32 v16, v11
	s_and_saveexec_b64 s[14:15], s[0:1]
	s_cbranch_execz .LBB213_764
; %bb.763:                              ;   in Loop: Header=BB213_390 Depth=1
	v_and_b32_sdwa v16, v13, v29 dst_sel:DWORD dst_unused:UNUSED_PAD src0_sel:BYTE_1 src1_sel:DWORD
	v_ffbh_u32_e32 v11, v16
	v_min_u32_e32 v11, 32, v11
	v_mov_b32_e32 v17, v5
	v_lshrrev_b32_e32 v0, 3, v18
	v_cmp_gt_u32_e64 s[0:1], 8, v18
	v_subrev_u32_e32 v18, 28, v11
	v_lshlrev_b64 v[17:18], v18, v[16:17]
	v_sub_u32_e32 v11, 29, v11
	v_and_b32_e32 v17, 7, v17
	v_cndmask_b32_e64 v0, v0, v11, s[0:1]
	v_cndmask_b32_e64 v11, v16, v17, s[0:1]
	v_lshlrev_b32_e32 v16, 16, v13
	v_lshl_add_u32 v0, v0, 23, v59
	v_and_or_b32 v0, v16, s26, v0
	v_lshlrev_b32_e32 v11, 20, v11
	v_or_b32_e32 v17, v0, v11
	v_mov_b32_e32 v16, v5
.LBB213_764:                            ;   in Loop: Header=BB213_390 Depth=1
	s_or_b64 exec, exec, s[14:15]
.LBB213_765:                            ;   in Loop: Header=BB213_390 Depth=1
	s_or_b64 exec, exec, s[12:13]
.LBB213_766:                            ;   in Loop: Header=BB213_390 Depth=1
	s_or_b64 exec, exec, s[6:7]
	v_lshrrev_b32_e32 v11, 16, v13
	v_mov_b32_e32 v20, 0
	v_mov_b32_e32 v18, 0
	;; [unrolled: 1-line block ×4, first 2 shown]
	v_cmp_ne_u16_sdwa s[0:1], v11, v5 src0_sel:BYTE_0 src1_sel:DWORD
	s_and_saveexec_b64 s[6:7], s[0:1]
	s_cbranch_execz .LBB213_772
; %bb.767:                              ;   in Loop: Header=BB213_390 Depth=1
	v_bfrev_b32_e32 v18, 1
	v_mov_b32_e32 v19, 0
	v_cmp_ne_u16_sdwa s[0:1], v11, s24 src0_sel:BYTE_0 src1_sel:DWORD
	s_and_saveexec_b64 s[12:13], s[0:1]
	s_cbranch_execz .LBB213_771
; %bb.768:                              ;   in Loop: Header=BB213_390 Depth=1
	v_bfe_u32 v0, v13, 16, 7
	v_mov_b32_e32 v18, 0x7f800001
	v_mov_b32_e32 v19, 0
	v_cmp_ne_u32_e64 s[0:1], s25, v0
	s_and_saveexec_b64 s[14:15], s[0:1]
	s_cbranch_execz .LBB213_770
; %bb.769:                              ;   in Loop: Header=BB213_390 Depth=1
	v_and_b32_e32 v29, 7, v11
	v_mov_b32_e32 v59, v58
	v_mov_b32_e32 v58, v57
	;; [unrolled: 1-line block ×15, first 2 shown]
	v_lshrrev_b32_e32 v30, 3, v0
	v_cmp_gt_u32_e64 s[0:1], 8, v0
	v_ffbh_u32_e32 v0, v29
	v_min_u32_e32 v0, 32, v0
	v_subrev_u32_e32 v18, 28, v0
	v_lshlrev_b64 v[18:19], v18, v[11:12]
	v_sub_u32_e32 v0, 29, v0
	v_and_b32_e32 v18, 7, v18
	v_cndmask_b32_e64 v0, v30, v0, s[0:1]
	v_mov_b32_e32 v30, v31
	v_mov_b32_e32 v31, v32
	;; [unrolled: 1-line block ×15, first 2 shown]
	v_bfrev_b32_e32 v59, 60
	v_cndmask_b32_e64 v18, v29, v18, s[0:1]
	v_lshlrev_b32_e32 v18, 20, v18
	v_and_b32_sdwa v11, sext(v11), s26 dst_sel:DWORD dst_unused:UNUSED_PAD src0_sel:BYTE_0 src1_sel:DWORD
	v_lshl_add_u32 v0, v0, 23, v59
	v_mov_b32_e32 v29, 7
	v_or3_b32 v18, v11, v0, v18
	v_mov_b32_e32 v19, v5
.LBB213_770:                            ;   in Loop: Header=BB213_390 Depth=1
	s_or_b64 exec, exec, s[14:15]
.LBB213_771:                            ;   in Loop: Header=BB213_390 Depth=1
	s_or_b64 exec, exec, s[12:13]
.LBB213_772:                            ;   in Loop: Header=BB213_390 Depth=1
	s_or_b64 exec, exec, s[6:7]
	v_cmp_lt_u32_e64 s[0:1], s27, v13
	s_and_saveexec_b64 s[6:7], s[0:1]
	s_cbranch_execz .LBB213_778
; %bb.773:                              ;   in Loop: Header=BB213_390 Depth=1
	v_mov_b32_e32 v21, v6
	v_cmp_ne_u32_sdwa s[0:1], v13, s24 src0_sel:BYTE_3 src1_sel:DWORD
	v_mov_b32_e32 v20, v5
	s_and_saveexec_b64 s[12:13], s[0:1]
	s_cbranch_execz .LBB213_777
; %bb.774:                              ;   in Loop: Header=BB213_390 Depth=1
	v_bfe_u32 v0, v13, 24, 7
	v_mov_b32_e32 v11, v5
	v_mov_b32_e32 v21, v12
	v_cmp_ne_u32_e64 s[0:1], s25, v0
	v_mov_b32_e32 v20, v11
	s_and_saveexec_b64 s[14:15], s[0:1]
	s_cbranch_execz .LBB213_776
; %bb.775:                              ;   in Loop: Header=BB213_390 Depth=1
	v_and_b32_sdwa v20, v13, v29 dst_sel:DWORD dst_unused:UNUSED_PAD src0_sel:BYTE_3 src1_sel:DWORD
	v_lshrrev_b32_e32 v11, 3, v0
	v_cmp_gt_u32_e64 s[0:1], 8, v0
	v_ffbh_u32_e32 v0, v20
	v_min_u32_e32 v0, 32, v0
	v_mov_b32_e32 v21, v5
	v_subrev_u32_e32 v29, 28, v0
	v_mov_b32_e32 v59, v58
	v_mov_b32_e32 v58, v57
	;; [unrolled: 1-line block ×15, first 2 shown]
	v_lshlrev_b64 v[29:30], v29, v[20:21]
	v_sub_u32_e32 v0, 29, v0
	v_and_b32_e32 v21, 7, v29
	v_mov_b32_e32 v30, v31
	v_mov_b32_e32 v31, v32
	;; [unrolled: 1-line block ×15, first 2 shown]
	v_bfrev_b32_e32 v59, 60
	v_cndmask_b32_e64 v0, v11, v0, s[0:1]
	v_cndmask_b32_e64 v11, v20, v21, s[0:1]
	v_mov_b32_e32 v20, 24
	v_lshlrev_b32_sdwa v13, v20, v13 dst_sel:DWORD dst_unused:UNUSED_PAD src0_sel:DWORD src1_sel:BYTE_3
	v_lshl_add_u32 v0, v0, 23, v59
	v_and_or_b32 v0, v13, s26, v0
	v_lshlrev_b32_e32 v11, 20, v11
	v_mov_b32_e32 v29, 7
	v_or_b32_e32 v21, v0, v11
	v_mov_b32_e32 v20, v5
.LBB213_776:                            ;   in Loop: Header=BB213_390 Depth=1
	s_or_b64 exec, exec, s[14:15]
.LBB213_777:                            ;   in Loop: Header=BB213_390 Depth=1
	s_or_b64 exec, exec, s[12:13]
.LBB213_778:                            ;   in Loop: Header=BB213_390 Depth=1
	s_or_b64 exec, exec, s[6:7]
	v_or_b32_e32 v0, v17, v15
	v_or_b32_e32 v13, v16, v14
	v_mul_f32_e32 v11, s18, v0
	v_mul_f32_e32 v15, s17, v13
	v_or_b32_e32 v0, v21, v19
	v_or_b32_e32 v13, v20, v18
	v_mul_f32_e32 v14, s17, v13
	v_mul_f32_e32 v13, s18, v0
	s_and_saveexec_b64 s[0:1], vcc
	s_cbranch_execz .LBB213_389
; %bb.779:                              ;   in Loop: Header=BB213_390 Depth=1
	v_add_u32_e32 v0, -3, v43
	v_cmp_gt_i32_e32 vcc, s30, v0
	v_add_u32_e32 v0, -2, v43
	v_cndmask_b32_e32 v15, 0, v15, vcc
	v_cmp_gt_i32_e32 vcc, s30, v0
	v_add_u32_e32 v0, -1, v43
	v_cndmask_b32_e32 v11, 0, v11, vcc
	v_cmp_gt_i32_e32 vcc, s30, v0
	v_cndmask_b32_e32 v14, 0, v14, vcc
	v_cmp_gt_i32_e32 vcc, s30, v43
	v_cndmask_b32_e32 v13, 0, v13, vcc
	s_branch .LBB213_389
.LBB213_780:
	s_or_b64 exec, exec, s[4:5]
	buffer_load_dword v20, off, s[48:51], 0 offset:260 ; 4-byte Folded Reload
	buffer_load_dword v16, off, s[48:51], 0 offset:268 ; 4-byte Folded Reload
	;; [unrolled: 1-line block ×5, first 2 shown]
.LBB213_781:
	s_or_b64 exec, exec, s[2:3]
	s_waitcnt vmcnt(3)
	ds_bpermute_b32 v0, v16, v57
	ds_bpermute_b32 v1, v16, v58
	;; [unrolled: 1-line block ×4, first 2 shown]
	s_waitcnt lgkmcnt(0)
	v_add_f32_e32 v0, v57, v0
	v_add_f32_e32 v1, v58, v1
	s_waitcnt vmcnt(2)
	ds_bpermute_b32 v3, v19, v0
	ds_bpermute_b32 v4, v19, v1
	v_add_f32_e32 v6, v42, v2
	v_add_f32_e32 v5, v41, v5
	ds_bpermute_b32 v7, v19, v5
	s_waitcnt lgkmcnt(2)
	v_add_f32_e32 v0, v0, v3
	s_waitcnt lgkmcnt(1)
	v_add_f32_e32 v2, v1, v4
	s_waitcnt vmcnt(1)
	ds_bpermute_b32 v1, v21, v0
	ds_bpermute_b32 v4, v19, v6
	;; [unrolled: 1-line block ×3, first 2 shown]
	s_waitcnt lgkmcnt(3)
	v_add_f32_e32 v5, v5, v7
	ds_bpermute_b32 v7, v21, v5
	s_waitcnt lgkmcnt(3)
	v_add_f32_e32 v1, v0, v1
	s_waitcnt lgkmcnt(2)
	v_add_f32_e32 v0, v6, v4
	s_waitcnt lgkmcnt(1)
	v_add_f32_e32 v2, v2, v3
	ds_bpermute_b32 v3, v16, v40
	ds_bpermute_b32 v4, v21, v0
	;; [unrolled: 1-line block ×3, first 2 shown]
	s_waitcnt vmcnt(0) lgkmcnt(0)
	s_barrier
	v_add_f32_e32 v8, v40, v3
	v_add_f32_e32 v3, v0, v4
	;; [unrolled: 1-line block ×3, first 2 shown]
	ds_bpermute_b32 v9, v19, v8
	ds_bpermute_b32 v6, v19, v0
	v_add_f32_e32 v4, v5, v7
	ds_bpermute_b32 v7, v16, v38
	s_waitcnt lgkmcnt(2)
	v_add_f32_e32 v5, v8, v9
	s_waitcnt lgkmcnt(1)
	v_add_f32_e32 v0, v0, v6
	ds_bpermute_b32 v8, v21, v5
	s_waitcnt lgkmcnt(1)
	v_add_f32_e32 v7, v38, v7
	ds_bpermute_b32 v6, v16, v37
	ds_bpermute_b32 v9, v21, v0
	;; [unrolled: 1-line block ×3, first 2 shown]
	s_waitcnt lgkmcnt(3)
	v_add_f32_e32 v5, v5, v8
	s_waitcnt lgkmcnt(2)
	v_add_f32_e32 v8, v37, v6
	;; [unrolled: 2-line block ×4, first 2 shown]
	ds_bpermute_b32 v7, v16, v36
	ds_bpermute_b32 v11, v19, v8
	;; [unrolled: 1-line block ×4, first 2 shown]
	s_waitcnt lgkmcnt(3)
	v_add_f32_e32 v12, v36, v7
	s_waitcnt lgkmcnt(2)
	v_add_f32_e32 v8, v8, v11
	ds_bpermute_b32 v13, v19, v12
	ds_bpermute_b32 v11, v21, v8
	s_waitcnt lgkmcnt(3)
	v_add_f32_e32 v7, v0, v9
	s_waitcnt lgkmcnt(2)
	v_add_f32_e32 v0, v35, v10
	ds_bpermute_b32 v9, v19, v0
	s_waitcnt lgkmcnt(2)
	v_add_f32_e32 v10, v12, v13
	s_waitcnt lgkmcnt(1)
	v_add_f32_e32 v8, v8, v11
	ds_bpermute_b32 v11, v16, v34
	ds_bpermute_b32 v12, v21, v10
	;; [unrolled: 1-line block ×3, first 2 shown]
	s_waitcnt lgkmcnt(3)
	v_add_f32_e32 v0, v0, v9
	ds_bpermute_b32 v14, v21, v0
	s_waitcnt lgkmcnt(3)
	v_add_f32_e32 v11, v34, v11
	s_waitcnt lgkmcnt(2)
	v_add_f32_e32 v9, v10, v12
	;; [unrolled: 2-line block ×3, first 2 shown]
	ds_bpermute_b32 v15, v19, v11
	ds_bpermute_b32 v13, v19, v12
	s_waitcnt lgkmcnt(2)
	v_add_f32_e32 v10, v0, v14
	ds_bpermute_b32 v14, v16, v32
	s_waitcnt lgkmcnt(2)
	v_add_f32_e32 v0, v11, v15
	s_waitcnt lgkmcnt(1)
	v_add_f32_e32 v12, v12, v13
	ds_bpermute_b32 v11, v21, v0
	ds_bpermute_b32 v15, v21, v12
	;; [unrolled: 1-line block ×4, first 2 shown]
	s_waitcnt lgkmcnt(4)
	v_add_f32_e32 v14, v32, v14
	s_waitcnt lgkmcnt(3)
	v_add_f32_e32 v0, v0, v11
	s_waitcnt lgkmcnt(2)
	v_add_f32_e32 v11, v12, v15
	buffer_load_dword v15, off, s[48:51], 0 offset:592 ; 4-byte Folded Reload
	s_waitcnt lgkmcnt(1)
	v_add_f32_e32 v13, v31, v13
	s_waitcnt lgkmcnt(0)
	v_add_f32_e32 v16, v30, v16
	ds_bpermute_b32 v17, v19, v14
	ds_bpermute_b32 v18, v19, v13
	;; [unrolled: 1-line block ×3, first 2 shown]
	s_waitcnt lgkmcnt(2)
	v_add_f32_e32 v14, v14, v17
	ds_bpermute_b32 v17, v21, v14
	s_waitcnt lgkmcnt(1)
	v_add_f32_e32 v16, v16, v19
	v_add_f32_e32 v13, v13, v18
	ds_bpermute_b32 v19, v21, v16
	ds_bpermute_b32 v18, v21, v13
	s_waitcnt lgkmcnt(2)
	v_add_f32_e32 v12, v14, v17
	s_waitcnt lgkmcnt(1)
	v_add_f32_e32 v14, v16, v19
	;; [unrolled: 2-line block ×3, first 2 shown]
	s_waitcnt vmcnt(0)
	v_and_b32_e32 v16, 0x3c7, v15
	v_cmp_eq_u32_e32 vcc, 64, v16
	s_and_saveexec_b64 s[0:1], vcc
	s_cbranch_execz .LBB213_783
; %bb.782:
	v_lshrrev_b32_e32 v15, 1, v20
	v_add_u32_e32 v15, 0x1f0, v15
	ds_write2_b32 v15, v1, v2 offset1:8
	ds_write2_b32 v15, v3, v4 offset0:16 offset1:24
	ds_write2_b32 v15, v5, v6 offset0:32 offset1:40
	;; [unrolled: 1-line block ×6, first 2 shown]
	ds_write_b32 v15, v14 offset:448
.LBB213_783:
	s_or_b64 exec, exec, s[0:1]
	buffer_load_dword v15, off, s[48:51], 0 offset:592 ; 4-byte Folded Reload
	s_waitcnt vmcnt(0) lgkmcnt(0)
	s_barrier
	v_cmp_gt_u32_e32 vcc, 64, v15
	v_lshrrev_b32_e32 v15, 3, v15
	s_and_saveexec_b64 s[0:1], vcc
	s_cbranch_execz .LBB213_801
; %bb.784:
	v_mov_b32_e32 v17, 0x1f0
	v_cmp_eq_u32_e32 vcc, 0, v22
	v_lshl_add_u32 v17, v15, 2, v17
	s_and_saveexec_b64 s[2:3], vcc
	s_cbranch_execnz .LBB213_804
; %bb.785:
	s_or_b64 exec, exec, s[2:3]
	s_and_saveexec_b64 s[2:3], vcc
	s_cbranch_execnz .LBB213_805
.LBB213_786:
	s_or_b64 exec, exec, s[2:3]
	s_and_saveexec_b64 s[2:3], vcc
	s_cbranch_execnz .LBB213_806
.LBB213_787:
	s_or_b64 exec, exec, s[2:3]
	s_and_saveexec_b64 s[2:3], vcc
	s_cbranch_execnz .LBB213_807
.LBB213_788:
	s_or_b64 exec, exec, s[2:3]
	s_and_saveexec_b64 s[2:3], vcc
	s_cbranch_execnz .LBB213_808
.LBB213_789:
	s_or_b64 exec, exec, s[2:3]
	s_and_saveexec_b64 s[2:3], vcc
	s_cbranch_execnz .LBB213_809
.LBB213_790:
	s_or_b64 exec, exec, s[2:3]
	s_and_saveexec_b64 s[2:3], vcc
	s_cbranch_execnz .LBB213_810
.LBB213_791:
	s_or_b64 exec, exec, s[2:3]
	s_and_saveexec_b64 s[2:3], vcc
	s_cbranch_execnz .LBB213_811
.LBB213_792:
	s_or_b64 exec, exec, s[2:3]
	s_and_saveexec_b64 s[2:3], vcc
	s_cbranch_execnz .LBB213_812
.LBB213_793:
	s_or_b64 exec, exec, s[2:3]
	s_and_saveexec_b64 s[2:3], vcc
	s_cbranch_execnz .LBB213_813
.LBB213_794:
	s_or_b64 exec, exec, s[2:3]
	s_and_saveexec_b64 s[2:3], vcc
	s_cbranch_execnz .LBB213_814
.LBB213_795:
	s_or_b64 exec, exec, s[2:3]
	s_and_saveexec_b64 s[2:3], vcc
	s_cbranch_execnz .LBB213_815
.LBB213_796:
	s_or_b64 exec, exec, s[2:3]
	s_and_saveexec_b64 s[2:3], vcc
	s_cbranch_execnz .LBB213_816
.LBB213_797:
	s_or_b64 exec, exec, s[2:3]
	s_and_saveexec_b64 s[2:3], vcc
	s_cbranch_execnz .LBB213_817
.LBB213_798:
	s_or_b64 exec, exec, s[2:3]
	s_and_saveexec_b64 s[2:3], vcc
	s_cbranch_execz .LBB213_800
.LBB213_799:
	ds_read_b32 v17, v17 offset:448
	s_waitcnt lgkmcnt(0)
	v_add_f32_e32 v14, v14, v17
.LBB213_800:
	s_or_b64 exec, exec, s[2:3]
.LBB213_801:
	s_or_b64 exec, exec, s[0:1]
	v_cmp_eq_u32_e32 vcc, 0, v16
	s_barrier
	s_and_saveexec_b64 s[0:1], vcc
	s_cbranch_execz .LBB213_803
; %bb.802:
	s_mul_i32 s0, s10, s11
	s_mul_i32 s0, s0, s9
	s_mulk_i32 s0, 0x78
	s_ashr_i32 s1, s0, 31
	s_lshl_b64 s[0:1], s[0:1], 2
	s_add_u32 s2, s22, s0
	s_mul_i32 s0, s11, s20
	s_addc_u32 s3, s23, s1
	s_ashr_i32 s1, s0, 31
	s_lshl_b64 s[0:1], s[0:1], 2
	s_add_u32 s2, s2, s0
	s_mul_i32 s0, s8, 0x78
	s_addc_u32 s3, s3, s1
	s_ashr_i32 s1, s0, 31
	s_lshl_b64 s[0:1], s[0:1], 2
	s_add_u32 s0, s2, s0
	s_addc_u32 s1, s3, s1
	v_lshlrev_b32_e32 v15, 2, v15
	global_store_dword v15, v1, s[0:1]
	global_store_dword v15, v2, s[0:1] offset:32
	global_store_dword v15, v3, s[0:1] offset:64
	;; [unrolled: 1-line block ×14, first 2 shown]
.LBB213_803:
	s_endpgm
.LBB213_804:
	ds_read_b32 v18, v17
	s_waitcnt lgkmcnt(0)
	v_add_f32_e32 v1, v1, v18
	s_or_b64 exec, exec, s[2:3]
	s_and_saveexec_b64 s[2:3], vcc
	s_cbranch_execz .LBB213_786
.LBB213_805:
	ds_read_b32 v18, v17 offset:32
	s_waitcnt lgkmcnt(0)
	v_add_f32_e32 v2, v2, v18
	s_or_b64 exec, exec, s[2:3]
	s_and_saveexec_b64 s[2:3], vcc
	s_cbranch_execz .LBB213_787
.LBB213_806:
	ds_read_b32 v18, v17 offset:64
	s_waitcnt lgkmcnt(0)
	v_add_f32_e32 v3, v3, v18
	s_or_b64 exec, exec, s[2:3]
	s_and_saveexec_b64 s[2:3], vcc
	s_cbranch_execz .LBB213_788
.LBB213_807:
	ds_read_b32 v18, v17 offset:96
	s_waitcnt lgkmcnt(0)
	v_add_f32_e32 v4, v4, v18
	s_or_b64 exec, exec, s[2:3]
	s_and_saveexec_b64 s[2:3], vcc
	s_cbranch_execz .LBB213_789
.LBB213_808:
	ds_read_b32 v18, v17 offset:128
	s_waitcnt lgkmcnt(0)
	v_add_f32_e32 v5, v5, v18
	s_or_b64 exec, exec, s[2:3]
	s_and_saveexec_b64 s[2:3], vcc
	s_cbranch_execz .LBB213_790
.LBB213_809:
	ds_read_b32 v18, v17 offset:160
	s_waitcnt lgkmcnt(0)
	v_add_f32_e32 v6, v6, v18
	s_or_b64 exec, exec, s[2:3]
	s_and_saveexec_b64 s[2:3], vcc
	s_cbranch_execz .LBB213_791
.LBB213_810:
	ds_read_b32 v18, v17 offset:192
	s_waitcnt lgkmcnt(0)
	v_add_f32_e32 v7, v7, v18
	s_or_b64 exec, exec, s[2:3]
	s_and_saveexec_b64 s[2:3], vcc
	s_cbranch_execz .LBB213_792
.LBB213_811:
	ds_read_b32 v18, v17 offset:224
	s_waitcnt lgkmcnt(0)
	v_add_f32_e32 v8, v8, v18
	s_or_b64 exec, exec, s[2:3]
	s_and_saveexec_b64 s[2:3], vcc
	s_cbranch_execz .LBB213_793
.LBB213_812:
	ds_read_b32 v18, v17 offset:256
	s_waitcnt lgkmcnt(0)
	v_add_f32_e32 v9, v9, v18
	s_or_b64 exec, exec, s[2:3]
	s_and_saveexec_b64 s[2:3], vcc
	s_cbranch_execz .LBB213_794
.LBB213_813:
	ds_read_b32 v18, v17 offset:288
	s_waitcnt lgkmcnt(0)
	v_add_f32_e32 v10, v10, v18
	s_or_b64 exec, exec, s[2:3]
	s_and_saveexec_b64 s[2:3], vcc
	s_cbranch_execz .LBB213_795
.LBB213_814:
	ds_read_b32 v18, v17 offset:320
	s_waitcnt lgkmcnt(0)
	v_add_f32_e32 v0, v0, v18
	s_or_b64 exec, exec, s[2:3]
	s_and_saveexec_b64 s[2:3], vcc
	s_cbranch_execz .LBB213_796
.LBB213_815:
	ds_read_b32 v18, v17 offset:352
	s_waitcnt lgkmcnt(0)
	v_add_f32_e32 v11, v11, v18
	s_or_b64 exec, exec, s[2:3]
	s_and_saveexec_b64 s[2:3], vcc
	s_cbranch_execz .LBB213_797
.LBB213_816:
	ds_read_b32 v18, v17 offset:384
	s_waitcnt lgkmcnt(0)
	v_add_f32_e32 v12, v12, v18
	s_or_b64 exec, exec, s[2:3]
	s_and_saveexec_b64 s[2:3], vcc
	s_cbranch_execz .LBB213_798
.LBB213_817:
	ds_read_b32 v18, v17 offset:416
	s_waitcnt lgkmcnt(0)
	v_add_f32_e32 v13, v13, v18
	s_or_b64 exec, exec, s[2:3]
	s_and_saveexec_b64 s[2:3], vcc
	s_cbranch_execnz .LBB213_799
	s_branch .LBB213_800
	.section	.rodata,"a",@progbits
	.p2align	6, 0x0
	.amdhsa_kernel _ZN4vllm25paged_attention_v1_kernelIfhLi120ELi32ELi128ELNS_18Fp8KVCacheDataTypeE1ELb0EEEvPT_PKS2_PKT0_S8_ifPKiSA_iPKfiiiSC_SC_iiiii
		.amdhsa_group_segment_fixed_size 496
		.amdhsa_private_segment_fixed_size 620
		.amdhsa_kernarg_size 384
		.amdhsa_user_sgpr_count 6
		.amdhsa_user_sgpr_private_segment_buffer 1
		.amdhsa_user_sgpr_dispatch_ptr 0
		.amdhsa_user_sgpr_queue_ptr 0
		.amdhsa_user_sgpr_kernarg_segment_ptr 1
		.amdhsa_user_sgpr_dispatch_id 0
		.amdhsa_user_sgpr_flat_scratch_init 0
		.amdhsa_user_sgpr_private_segment_size 0
		.amdhsa_uses_dynamic_stack 0
		.amdhsa_system_sgpr_private_segment_wavefront_offset 1
		.amdhsa_system_sgpr_workgroup_id_x 1
		.amdhsa_system_sgpr_workgroup_id_y 1
		.amdhsa_system_sgpr_workgroup_id_z 1
		.amdhsa_system_sgpr_workgroup_info 0
		.amdhsa_system_vgpr_workitem_id 0
		.amdhsa_next_free_vgpr 64
		.amdhsa_next_free_sgpr 52
		.amdhsa_reserve_vcc 1
		.amdhsa_reserve_flat_scratch 0
		.amdhsa_float_round_mode_32 0
		.amdhsa_float_round_mode_16_64 0
		.amdhsa_float_denorm_mode_32 3
		.amdhsa_float_denorm_mode_16_64 3
		.amdhsa_dx10_clamp 1
		.amdhsa_ieee_mode 1
		.amdhsa_fp16_overflow 0
		.amdhsa_exception_fp_ieee_invalid_op 0
		.amdhsa_exception_fp_denorm_src 0
		.amdhsa_exception_fp_ieee_div_zero 0
		.amdhsa_exception_fp_ieee_overflow 0
		.amdhsa_exception_fp_ieee_underflow 0
		.amdhsa_exception_fp_ieee_inexact 0
		.amdhsa_exception_int_div_zero 0
	.end_amdhsa_kernel
	.section	.text._ZN4vllm25paged_attention_v1_kernelIfhLi120ELi32ELi128ELNS_18Fp8KVCacheDataTypeE1ELb0EEEvPT_PKS2_PKT0_S8_ifPKiSA_iPKfiiiSC_SC_iiiii,"axG",@progbits,_ZN4vllm25paged_attention_v1_kernelIfhLi120ELi32ELi128ELNS_18Fp8KVCacheDataTypeE1ELb0EEEvPT_PKS2_PKT0_S8_ifPKiSA_iPKfiiiSC_SC_iiiii,comdat
.Lfunc_end213:
	.size	_ZN4vllm25paged_attention_v1_kernelIfhLi120ELi32ELi128ELNS_18Fp8KVCacheDataTypeE1ELb0EEEvPT_PKS2_PKT0_S8_ifPKiSA_iPKfiiiSC_SC_iiiii, .Lfunc_end213-_ZN4vllm25paged_attention_v1_kernelIfhLi120ELi32ELi128ELNS_18Fp8KVCacheDataTypeE1ELb0EEEvPT_PKS2_PKT0_S8_ifPKiSA_iPKfiiiSC_SC_iiiii
                                        ; -- End function
	.set _ZN4vllm25paged_attention_v1_kernelIfhLi120ELi32ELi128ELNS_18Fp8KVCacheDataTypeE1ELb0EEEvPT_PKS2_PKT0_S8_ifPKiSA_iPKfiiiSC_SC_iiiii.num_vgpr, 64
	.set _ZN4vllm25paged_attention_v1_kernelIfhLi120ELi32ELi128ELNS_18Fp8KVCacheDataTypeE1ELb0EEEvPT_PKS2_PKT0_S8_ifPKiSA_iPKfiiiSC_SC_iiiii.num_agpr, 0
	.set _ZN4vllm25paged_attention_v1_kernelIfhLi120ELi32ELi128ELNS_18Fp8KVCacheDataTypeE1ELb0EEEvPT_PKS2_PKT0_S8_ifPKiSA_iPKfiiiSC_SC_iiiii.numbered_sgpr, 52
	.set _ZN4vllm25paged_attention_v1_kernelIfhLi120ELi32ELi128ELNS_18Fp8KVCacheDataTypeE1ELb0EEEvPT_PKS2_PKT0_S8_ifPKiSA_iPKfiiiSC_SC_iiiii.num_named_barrier, 0
	.set _ZN4vllm25paged_attention_v1_kernelIfhLi120ELi32ELi128ELNS_18Fp8KVCacheDataTypeE1ELb0EEEvPT_PKS2_PKT0_S8_ifPKiSA_iPKfiiiSC_SC_iiiii.private_seg_size, 620
	.set _ZN4vllm25paged_attention_v1_kernelIfhLi120ELi32ELi128ELNS_18Fp8KVCacheDataTypeE1ELb0EEEvPT_PKS2_PKT0_S8_ifPKiSA_iPKfiiiSC_SC_iiiii.uses_vcc, 1
	.set _ZN4vllm25paged_attention_v1_kernelIfhLi120ELi32ELi128ELNS_18Fp8KVCacheDataTypeE1ELb0EEEvPT_PKS2_PKT0_S8_ifPKiSA_iPKfiiiSC_SC_iiiii.uses_flat_scratch, 0
	.set _ZN4vllm25paged_attention_v1_kernelIfhLi120ELi32ELi128ELNS_18Fp8KVCacheDataTypeE1ELb0EEEvPT_PKS2_PKT0_S8_ifPKiSA_iPKfiiiSC_SC_iiiii.has_dyn_sized_stack, 0
	.set _ZN4vllm25paged_attention_v1_kernelIfhLi120ELi32ELi128ELNS_18Fp8KVCacheDataTypeE1ELb0EEEvPT_PKS2_PKT0_S8_ifPKiSA_iPKfiiiSC_SC_iiiii.has_recursion, 0
	.set _ZN4vllm25paged_attention_v1_kernelIfhLi120ELi32ELi128ELNS_18Fp8KVCacheDataTypeE1ELb0EEEvPT_PKS2_PKT0_S8_ifPKiSA_iPKfiiiSC_SC_iiiii.has_indirect_call, 0
	.section	.AMDGPU.csdata,"",@progbits
; Kernel info:
; codeLenInByte = 39320
; TotalNumSgprs: 56
; NumVgprs: 64
; ScratchSize: 620
; MemoryBound: 0
; FloatMode: 240
; IeeeMode: 1
; LDSByteSize: 496 bytes/workgroup (compile time only)
; SGPRBlocks: 6
; VGPRBlocks: 15
; NumSGPRsForWavesPerEU: 56
; NumVGPRsForWavesPerEU: 64
; Occupancy: 4
; WaveLimiterHint : 1
; COMPUTE_PGM_RSRC2:SCRATCH_EN: 1
; COMPUTE_PGM_RSRC2:USER_SGPR: 6
; COMPUTE_PGM_RSRC2:TRAP_HANDLER: 0
; COMPUTE_PGM_RSRC2:TGID_X_EN: 1
; COMPUTE_PGM_RSRC2:TGID_Y_EN: 1
; COMPUTE_PGM_RSRC2:TGID_Z_EN: 1
; COMPUTE_PGM_RSRC2:TIDIG_COMP_CNT: 0
	.section	.text._ZN4vllm25paged_attention_v1_kernelIfhLi128ELi32ELi128ELNS_18Fp8KVCacheDataTypeE1ELb0EEEvPT_PKS2_PKT0_S8_ifPKiSA_iPKfiiiSC_SC_iiiii,"axG",@progbits,_ZN4vllm25paged_attention_v1_kernelIfhLi128ELi32ELi128ELNS_18Fp8KVCacheDataTypeE1ELb0EEEvPT_PKS2_PKT0_S8_ifPKiSA_iPKfiiiSC_SC_iiiii,comdat
	.protected	_ZN4vllm25paged_attention_v1_kernelIfhLi128ELi32ELi128ELNS_18Fp8KVCacheDataTypeE1ELb0EEEvPT_PKS2_PKT0_S8_ifPKiSA_iPKfiiiSC_SC_iiiii ; -- Begin function _ZN4vllm25paged_attention_v1_kernelIfhLi128ELi32ELi128ELNS_18Fp8KVCacheDataTypeE1ELb0EEEvPT_PKS2_PKT0_S8_ifPKiSA_iPKfiiiSC_SC_iiiii
	.globl	_ZN4vllm25paged_attention_v1_kernelIfhLi128ELi32ELi128ELNS_18Fp8KVCacheDataTypeE1ELb0EEEvPT_PKS2_PKT0_S8_ifPKiSA_iPKfiiiSC_SC_iiiii
	.p2align	8
	.type	_ZN4vllm25paged_attention_v1_kernelIfhLi128ELi32ELi128ELNS_18Fp8KVCacheDataTypeE1ELb0EEEvPT_PKS2_PKT0_S8_ifPKiSA_iPKfiiiSC_SC_iiiii,@function
_ZN4vllm25paged_attention_v1_kernelIfhLi128ELi32ELi128ELNS_18Fp8KVCacheDataTypeE1ELb0EEEvPT_PKS2_PKT0_S8_ifPKiSA_iPKfiiiSC_SC_iiiii: ; @_ZN4vllm25paged_attention_v1_kernelIfhLi128ELi32ELi128ELNS_18Fp8KVCacheDataTypeE1ELb0EEEvPT_PKS2_PKT0_S8_ifPKiSA_iPKfiiiSC_SC_iiiii
; %bb.0:
	s_mov_b64 s[50:51], s[2:3]
	s_mov_b64 s[48:49], s[0:1]
	s_add_u32 s48, s48, s9
	s_load_dword s9, s[4:5], 0x80
	s_load_dwordx2 s[0:1], s[4:5], 0x30
	s_load_dwordx2 s[10:11], s[4:5], 0x20
	s_addc_u32 s49, s49, 0
	s_mov_b32 s20, s7
	s_ashr_i32 s21, s7, 31
	s_lshl_b64 s[2:3], s[20:21], 2
	s_waitcnt lgkmcnt(0)
	s_add_u32 s0, s0, s2
	s_addc_u32 s1, s1, s3
	s_abs_i32 s2, s10
	v_mov_b32_e32 v6, v0
	v_cvt_f32_u32_e32 v0, s2
	s_xor_b32 s3, s9, s10
	s_sub_i32 s10, 0, s2
	s_abs_i32 s7, s9
	v_rcp_iflag_f32_e32 v0, v0
	s_ashr_i32 s3, s3, 31
	v_mul_f32_e32 v0, 0x4f7ffffe, v0
	v_cvt_u32_f32_e32 v0, v0
	v_readfirstlane_b32 s12, v0
	s_mul_i32 s10, s10, s12
	s_mul_hi_u32 s10, s12, s10
	s_add_i32 s12, s12, s10
	s_mul_hi_u32 s10, s7, s12
	s_mul_i32 s12, s10, s2
	s_sub_i32 s7, s7, s12
	s_add_i32 s12, s10, 1
	s_sub_i32 s13, s7, s2
	s_cmp_ge_u32 s7, s2
	s_cselect_b32 s10, s12, s10
	s_cselect_b32 s7, s13, s7
	s_add_i32 s12, s10, 1
	s_cmp_ge_u32 s7, s2
	s_cselect_b32 s2, s12, s10
	s_xor_b32 s2, s2, s3
	s_sub_i32 s12, s2, s3
	s_abs_i32 s16, s12
	v_cvt_f32_u32_e32 v0, s16
	s_load_dwordx2 s[2:3], s[4:5], 0x40
	s_sub_i32 s7, 0, s16
	s_abs_i32 s17, s6
	v_rcp_iflag_f32_e32 v0, v0
	s_mov_b32 s10, 0
	v_mul_f32_e32 v0, 0x4f7ffffe, v0
	v_cvt_u32_f32_e32 v0, v0
	v_readfirstlane_b32 s13, v0
	s_mul_i32 s7, s7, s13
	s_mul_hi_u32 s7, s13, s7
	s_add_i32 s13, s13, s7
	s_waitcnt lgkmcnt(0)
	s_cmp_eq_u64 s[2:3], 0
	s_mul_hi_u32 s18, s17, s13
	s_cbranch_scc1 .LBB214_2
; %bb.1:
	s_ashr_i32 s7, s6, 31
	s_lshl_b64 s[14:15], s[6:7], 2
	s_add_u32 s2, s2, s14
	s_addc_u32 s3, s3, s15
	s_load_dword s10, s[2:3], 0x0
.LBB214_2:
	s_load_dword s33, s[0:1], 0x0
	s_ashr_i32 s19, s12, 31
	s_load_dwordx4 s[12:15], s[4:5], 0x48
	s_ashr_i32 s7, s6, 31
	v_and_b32_e32 v0, 1, v6
	s_lshl_b32 s22, s6, 7
	v_cmp_gt_u32_e64 s[0:1], 64, v6
	v_lshlrev_b32_e32 v10, 2, v6
	s_and_saveexec_b64 s[2:3], s[0:1]
	s_cbranch_execz .LBB214_4
; %bb.3:
	s_load_dwordx2 s[24:25], s[4:5], 0x8
	s_waitcnt lgkmcnt(0)
	s_mul_i32 s26, s12, s20
	s_ashr_i32 s27, s26, 31
	s_lshl_b64 s[26:27], s[26:27], 2
	v_lshlrev_b32_e32 v1, 3, v6
	s_add_u32 s6, s24, s26
	s_addc_u32 s12, s25, s27
	s_ashr_i32 s23, s22, 31
	s_lshl_b64 s[24:25], s[22:23], 2
	s_add_u32 s24, s6, s24
	s_addc_u32 s25, s12, s25
	global_load_dwordx2 v[1:2], v1, s[24:25]
	v_and_b32_e32 v3, 0xff8, v10
	v_lshl_add_u32 v3, v0, 8, v3
	s_waitcnt vmcnt(0)
	ds_write_b64 v3, v[1:2]
.LBB214_4:
	s_or_b64 exec, exec, s[2:3]
	s_waitcnt lgkmcnt(0)
	s_add_i32 s3, s33, 31
	s_ashr_i32 s6, s3, 31
	s_lshr_b32 s6, s6, 27
	s_add_i32 s3, s3, s6
	s_mul_i32 s6, s18, s16
	s_sub_i32 s6, s17, s6
	s_ashr_i32 s23, s3, 5
	s_xor_b32 s3, s7, s19
	s_add_i32 s7, s18, 1
	s_sub_i32 s12, s6, s16
	s_load_dwordx2 s[26:27], s[4:5], 0x28
	s_load_dword s2, s[4:5], 0x38
	s_cmp_ge_u32 s6, s16
	s_cselect_b32 s7, s7, s18
	s_cselect_b32 s6, s12, s6
	s_add_i32 s12, s7, 1
	s_cmp_ge_u32 s6, s16
	s_cselect_b32 s6, s12, s7
	v_lshrrev_b32_e32 v1, 6, v6
	s_xor_b32 s6, s6, s3
	s_waitcnt lgkmcnt(0)
	s_mul_i32 s28, s2, s20
	s_sub_i32 s12, s6, s3
	s_barrier
	s_ashr_i32 s29, s28, 31
	v_cmp_gt_i32_e64 s[2:3], s23, v1
	buffer_store_dword v1, off, s[48:51], 0 offset:8 ; 4-byte Folded Spill
	v_cmp_le_i32_e32 vcc, s23, v1
	v_mbcnt_lo_u32_b32 v1, -1, 0
                                        ; implicit-def: $vgpr12
                                        ; implicit-def: $vgpr7
                                        ; implicit-def: $vgpr8
	s_and_saveexec_b64 s[6:7], vcc
	s_xor_b64 s[6:7], exec, s[6:7]
; %bb.5:
	v_mbcnt_hi_u32_b32 v12, -1, v1
	v_and_b32_e32 v7, 64, v12
	v_add_u32_e32 v8, 64, v7
                                        ; implicit-def: $vgpr0
                                        ; implicit-def: $vgpr1
; %bb.6:
	s_or_saveexec_b64 s[34:35], s[6:7]
	s_load_dwordx2 s[24:25], s[4:5], 0x0
	s_load_dwordx2 s[30:31], s[4:5], 0x18
	s_load_dword s21, s[4:5], 0x88
	s_load_dwordx4 s[16:19], s[4:5], 0x58
	v_mov_b32_e32 v2, 0xff7fffff
	s_mul_i32 s12, s12, s14
	v_lshrrev_b32_e32 v11, 4, v6
	buffer_store_dword v6, off, s[48:51], 0 offset:652 ; 4-byte Folded Spill
	s_xor_b64 exec, exec, s[34:35]
	s_cbranch_execz .LBB214_396
; %bb.7:
	v_bfe_u32 v2, v6, 1, 5
	v_lshlrev_b32_e32 v6, 8, v0
	buffer_store_dword v10, off, s[48:51], 0 offset:656 ; 4-byte Folded Spill
	ds_read_b128 v[7:10], v6
	s_load_dwordx2 s[4:5], s[4:5], 0x10
	s_ashr_i32 s6, s12, 31
	s_waitcnt lgkmcnt(0)
	buffer_store_dword v7, off, s[48:51], 0 offset:384 ; 4-byte Folded Spill
	s_nop 0
	buffer_store_dword v8, off, s[48:51], 0 offset:388 ; 4-byte Folded Spill
	buffer_store_dword v9, off, s[48:51], 0 offset:392 ; 4-byte Folded Spill
	;; [unrolled: 1-line block ×3, first 2 shown]
	ds_read_b128 v[7:10], v6 offset:16
	s_add_u32 s4, s4, s12
	s_addc_u32 s5, s5, s6
	s_waitcnt lgkmcnt(0)
	buffer_store_dword v7, off, s[48:51], 0 offset:400 ; 4-byte Folded Spill
	s_nop 0
	buffer_store_dword v8, off, s[48:51], 0 offset:404 ; 4-byte Folded Spill
	buffer_store_dword v9, off, s[48:51], 0 offset:408 ; 4-byte Folded Spill
	;; [unrolled: 1-line block ×3, first 2 shown]
	ds_read_b128 v[7:10], v6 offset:32
	v_lshlrev_b32_e32 v3, 4, v2
	v_add_co_u32_e32 v3, vcc, s4, v3
	s_waitcnt lgkmcnt(0)
	buffer_store_dword v7, off, s[48:51], 0 offset:416 ; 4-byte Folded Spill
	s_nop 0
	buffer_store_dword v8, off, s[48:51], 0 offset:420 ; 4-byte Folded Spill
	buffer_store_dword v9, off, s[48:51], 0 offset:424 ; 4-byte Folded Spill
	;; [unrolled: 1-line block ×3, first 2 shown]
	ds_read_b128 v[7:10], v6 offset:48
	v_mov_b32_e32 v4, s5
	v_addc_co_u32_e32 v4, vcc, 0, v4, vcc
	s_waitcnt lgkmcnt(0)
	buffer_store_dword v7, off, s[48:51], 0 offset:432 ; 4-byte Folded Spill
	s_nop 0
	buffer_store_dword v8, off, s[48:51], 0 offset:436 ; 4-byte Folded Spill
	buffer_store_dword v9, off, s[48:51], 0 offset:440 ; 4-byte Folded Spill
	;; [unrolled: 1-line block ×3, first 2 shown]
	ds_read_b128 v[7:10], v6 offset:64
	v_lshlrev_b32_e32 v5, 1, v0
	s_sub_i32 s43, 1, s33
	s_waitcnt lgkmcnt(0)
	buffer_store_dword v7, off, s[48:51], 0 offset:448 ; 4-byte Folded Spill
	s_nop 0
	buffer_store_dword v8, off, s[48:51], 0 offset:452 ; 4-byte Folded Spill
	buffer_store_dword v9, off, s[48:51], 0 offset:456 ; 4-byte Folded Spill
	;; [unrolled: 1-line block ×3, first 2 shown]
	ds_read_b128 v[7:10], v6 offset:80
	s_mov_b32 s40, s13
	v_mov_b32_e32 v61, 0
	s_waitcnt lgkmcnt(0)
	buffer_store_dword v7, off, s[48:51], 0 offset:464 ; 4-byte Folded Spill
	s_nop 0
	buffer_store_dword v8, off, s[48:51], 0 offset:468 ; 4-byte Folded Spill
	buffer_store_dword v9, off, s[48:51], 0 offset:472 ; 4-byte Folded Spill
	;; [unrolled: 1-line block ×3, first 2 shown]
	ds_read_b128 v[7:10], v6 offset:96
	v_cmp_neq_f32_e64 s[4:5], s10, 0
	s_movk_i32 s44, 0x80
	s_waitcnt lgkmcnt(0)
	buffer_store_dword v7, off, s[48:51], 0 offset:480 ; 4-byte Folded Spill
	s_nop 0
	buffer_store_dword v8, off, s[48:51], 0 offset:484 ; 4-byte Folded Spill
	buffer_store_dword v9, off, s[48:51], 0 offset:488 ; 4-byte Folded Spill
	;; [unrolled: 1-line block ×3, first 2 shown]
	ds_read_b128 v[7:10], v6 offset:112
	s_movk_i32 s45, 0x7f
	s_brev_b32 s46, 1
	s_waitcnt lgkmcnt(0)
	buffer_store_dword v7, off, s[48:51], 0 offset:496 ; 4-byte Folded Spill
	s_nop 0
	buffer_store_dword v8, off, s[48:51], 0 offset:500 ; 4-byte Folded Spill
	buffer_store_dword v9, off, s[48:51], 0 offset:504 ; 4-byte Folded Spill
	;; [unrolled: 1-line block ×3, first 2 shown]
	ds_read_b128 v[7:10], v6 offset:128
	v_bfrev_b32_e32 v62, 1
	s_waitcnt lgkmcnt(0)
	buffer_store_dword v7, off, s[48:51], 0 offset:512 ; 4-byte Folded Spill
	s_nop 0
	buffer_store_dword v8, off, s[48:51], 0 offset:516 ; 4-byte Folded Spill
	buffer_store_dword v9, off, s[48:51], 0 offset:520 ; 4-byte Folded Spill
	buffer_store_dword v10, off, s[48:51], 0 offset:524 ; 4-byte Folded Spill
	ds_read_b128 v[7:10], v6 offset:144
	s_waitcnt lgkmcnt(0)
	buffer_store_dword v7, off, s[48:51], 0 offset:528 ; 4-byte Folded Spill
	s_nop 0
	buffer_store_dword v8, off, s[48:51], 0 offset:532 ; 4-byte Folded Spill
	buffer_store_dword v9, off, s[48:51], 0 offset:536 ; 4-byte Folded Spill
	buffer_store_dword v10, off, s[48:51], 0 offset:540 ; 4-byte Folded Spill
	ds_read_b128 v[7:10], v6 offset:160
	s_waitcnt lgkmcnt(0)
	buffer_store_dword v7, off, s[48:51], 0 offset:544 ; 4-byte Folded Spill
	s_nop 0
	buffer_store_dword v8, off, s[48:51], 0 offset:548 ; 4-byte Folded Spill
	buffer_store_dword v9, off, s[48:51], 0 offset:552 ; 4-byte Folded Spill
	buffer_store_dword v10, off, s[48:51], 0 offset:556 ; 4-byte Folded Spill
	ds_read_b128 v[7:10], v6 offset:176
	s_waitcnt lgkmcnt(0)
	buffer_store_dword v7, off, s[48:51], 0 offset:560 ; 4-byte Folded Spill
	s_nop 0
	buffer_store_dword v8, off, s[48:51], 0 offset:564 ; 4-byte Folded Spill
	buffer_store_dword v9, off, s[48:51], 0 offset:568 ; 4-byte Folded Spill
	buffer_store_dword v10, off, s[48:51], 0 offset:572 ; 4-byte Folded Spill
	ds_read_b128 v[7:10], v6 offset:192
	s_waitcnt lgkmcnt(0)
	buffer_store_dword v7, off, s[48:51], 0 offset:576 ; 4-byte Folded Spill
	s_nop 0
	buffer_store_dword v8, off, s[48:51], 0 offset:580 ; 4-byte Folded Spill
	buffer_store_dword v9, off, s[48:51], 0 offset:584 ; 4-byte Folded Spill
	;; [unrolled: 1-line block ×3, first 2 shown]
	v_mbcnt_hi_u32_b32 v7, -1, v1
	v_and_b32_e32 v8, 64, v7
	v_xor_b32_e32 v1, 1, v7
	buffer_store_dword v8, off, s[48:51], 0 offset:668 ; 4-byte Folded Spill
	v_add_u32_e32 v8, 64, v8
	v_cmp_lt_i32_e32 vcc, v1, v8
	buffer_store_dword v8, off, s[48:51], 0 offset:672 ; 4-byte Folded Spill
	buffer_store_dword v7, off, s[48:51], 0 offset:664 ; 4-byte Folded Spill
	v_cndmask_b32_e32 v1, v7, v1, vcc
	ds_read_b128 v[7:10], v6 offset:208
	v_lshlrev_b32_e32 v1, 2, v1
	buffer_store_dword v1, off, s[48:51], 0 offset:592 ; 4-byte Folded Spill
	s_waitcnt lgkmcnt(0)
	buffer_store_dword v7, off, s[48:51], 0 offset:596 ; 4-byte Folded Spill
	s_nop 0
	buffer_store_dword v8, off, s[48:51], 0 offset:600 ; 4-byte Folded Spill
	buffer_store_dword v9, off, s[48:51], 0 offset:604 ; 4-byte Folded Spill
	;; [unrolled: 1-line block ×3, first 2 shown]
	ds_read_b128 v[7:10], v6 offset:224
	s_waitcnt lgkmcnt(0)
	buffer_store_dword v7, off, s[48:51], 0 offset:612 ; 4-byte Folded Spill
	s_nop 0
	buffer_store_dword v8, off, s[48:51], 0 offset:616 ; 4-byte Folded Spill
	buffer_store_dword v9, off, s[48:51], 0 offset:620 ; 4-byte Folded Spill
	;; [unrolled: 1-line block ×3, first 2 shown]
	ds_read_b128 v[6:9], v6 offset:240
	v_cmp_eq_u32_e32 vcc, 0, v0
	v_add_co_u32_e64 v0, s[6:7], v3, v5
	s_waitcnt lgkmcnt(0)
	buffer_store_dword v6, off, s[48:51], 0 offset:628 ; 4-byte Folded Spill
	s_nop 0
	buffer_store_dword v7, off, s[48:51], 0 offset:632 ; 4-byte Folded Spill
	buffer_store_dword v8, off, s[48:51], 0 offset:636 ; 4-byte Folded Spill
	;; [unrolled: 1-line block ×3, first 2 shown]
	v_addc_co_u32_e64 v1, s[6:7], 0, v4, s[6:7]
	s_load_dword s41, s[16:17], 0x0
	buffer_store_dword v0, off, s[48:51], 0 offset:644 ; 4-byte Folded Spill
	s_nop 0
	buffer_store_dword v1, off, s[48:51], 0 offset:648 ; 4-byte Folded Spill
	buffer_load_dword v1, off, s[48:51], 0 offset:8 ; 4-byte Folded Reload
	s_lshl_b64 s[6:7], s[28:29], 2
	s_add_u32 s6, s26, s6
	s_addc_u32 s14, s27, s7
	v_mov_b32_e32 v4, 0x7f800001
	s_waitcnt lgkmcnt(0)
	s_mov_b32 s42, s41
	s_waitcnt vmcnt(0)
	v_lshl_or_b32 v0, v1, 5, v2
	buffer_store_dword v0, off, s[48:51], 0 offset:324 ; 4-byte Folded Spill
	v_lshlrev_b32_e32 v0, 2, v2
	v_lshl_or_b32 v0, v1, 7, v0
	v_add_u32_e32 v0, 0x210, v0
	buffer_store_dword v0, off, s[48:51], 0 offset:328 ; 4-byte Folded Spill
	buffer_store_dword v11, off, s[48:51], 0 offset:660 ; 4-byte Folded Spill
	v_and_b32_e32 v0, 60, v11
	v_add_co_u32_e64 v2, s[6:7], s6, v0
	v_mov_b32_e32 v0, s14
	v_addc_co_u32_e64 v3, s[6:7], 0, v0, s[6:7]
	v_mov_b32_e32 v0, 0xff7fffff
	buffer_store_dword v0, off, s[48:51], 0 offset:380 ; 4-byte Folded Spill
	buffer_store_dword v3, off, s[48:51], 0 ; 4-byte Folded Spill
	s_nop 0
	buffer_store_dword v4, off, s[48:51], 0 offset:4 ; 4-byte Folded Spill
	v_mov_b32_e32 v5, v1
	s_mov_b64 s[14:15], 0
	v_mov_b32_e32 v0, v2
	v_mov_b32_e32 v1, v3
	s_branch .LBB214_9
.LBB214_8:                              ;   in Loop: Header=BB214_9 Depth=1
	s_or_b64 exec, exec, s[16:17]
	buffer_load_dword v0, off, s[48:51], 0 offset:324 ; 4-byte Folded Reload
	s_waitcnt vmcnt(1)
	v_add_u32_e32 v5, 2, v5
	v_cmp_le_i32_e64 s[6:7], s23, v5
	s_or_b64 s[14:15], s[6:7], s[14:15]
	s_waitcnt vmcnt(0)
	v_add_u32_e32 v0, 64, v0
	buffer_store_dword v0, off, s[48:51], 0 offset:324 ; 4-byte Folded Spill
	buffer_load_dword v0, off, s[48:51], 0 offset:328 ; 4-byte Folded Reload
	s_waitcnt vmcnt(0)
	v_add_u32_e32 v0, 0x100, v0
	buffer_store_dword v0, off, s[48:51], 0 offset:328 ; 4-byte Folded Spill
	buffer_load_dword v0, off, s[48:51], 0 offset:332 ; 4-byte Folded Reload
	s_nop 0
	buffer_load_dword v1, off, s[48:51], 0 offset:336 ; 4-byte Folded Reload
	s_waitcnt vmcnt(1)
	v_add_co_u32_e64 v0, s[6:7], 8, v0
	s_waitcnt vmcnt(0)
	v_addc_co_u32_e64 v1, s[6:7], 0, v1, s[6:7]
	s_andn2_b64 exec, exec, s[14:15]
	s_cbranch_execz .LBB214_395
.LBB214_9:                              ; =>This Inner Loop Header: Depth=1
	buffer_store_dword v5, off, s[48:51], 0 offset:340 ; 4-byte Folded Spill
	buffer_store_dword v0, off, s[48:51], 0 offset:332 ; 4-byte Folded Spill
	s_nop 0
	buffer_store_dword v1, off, s[48:51], 0 offset:336 ; 4-byte Folded Spill
	v_mov_b32_e32 v30, 0
	v_mov_b32_e32 v31, 0
	global_load_dword v1, v[0:1], off
	s_waitcnt lgkmcnt(0)
	buffer_load_dword v2, off, s[48:51], 0 offset:644 ; 4-byte Folded Reload
	buffer_load_dword v3, off, s[48:51], 0 offset:648 ; 4-byte Folded Reload
	s_waitcnt vmcnt(0)
	v_mad_i64_i32 v[17:18], s[6:7], v1, s40, v[2:3]
	global_load_ushort v2, v[17:18], off
	s_waitcnt vmcnt(0)
	v_and_b32_e32 v1, 0xffff, v2
	v_cmp_ne_u16_sdwa s[6:7], v2, v61 src0_sel:BYTE_0 src1_sel:DWORD
	v_mov_b32_e32 v2, 0
	v_mov_b32_e32 v3, 0
	buffer_store_dword v2, off, s[48:51], 0 offset:12 ; 4-byte Folded Spill
	s_nop 0
	buffer_store_dword v3, off, s[48:51], 0 offset:16 ; 4-byte Folded Spill
	s_and_saveexec_b64 s[16:17], s[6:7]
	s_cbranch_execz .LBB214_15
; %bb.10:                               ;   in Loop: Header=BB214_9 Depth=1
	v_bfrev_b32_e32 v30, 1
	v_mov_b32_e32 v31, 0
	v_cmp_ne_u16_sdwa s[6:7], v1, s44 src0_sel:BYTE_0 src1_sel:DWORD
	s_and_saveexec_b64 s[36:37], s[6:7]
	s_cbranch_execz .LBB214_14
; %bb.11:                               ;   in Loop: Header=BB214_9 Depth=1
	v_and_b32_e32 v2, 0x7f, v1
	v_mov_b32_e32 v30, 0x7f800001
	v_mov_b32_e32 v31, 0
	v_cmp_ne_u32_e64 s[6:7], s45, v2
	s_and_saveexec_b64 s[38:39], s[6:7]
	s_cbranch_execz .LBB214_13
; %bb.12:                               ;   in Loop: Header=BB214_9 Depth=1
	v_and_b32_e32 v4, 7, v1
	v_lshrrev_b32_e32 v7, 3, v2
	v_cmp_gt_u32_e64 s[6:7], 8, v2
	v_ffbh_u32_e32 v2, v4
	v_min_u32_e32 v8, 32, v2
	v_subrev_u32_e32 v2, 28, v8
	v_lshlrev_b64 v[2:3], v2, v[1:2]
	v_sub_u32_e32 v3, 29, v8
	v_and_b32_e32 v2, 7, v2
	v_cndmask_b32_e64 v3, v7, v3, s[6:7]
	v_cndmask_b32_e64 v2, v4, v2, s[6:7]
	v_bfrev_b32_e32 v0, 60
	v_lshlrev_b32_e32 v2, 20, v2
	v_and_b32_sdwa v4, sext(v1), s46 dst_sel:DWORD dst_unused:UNUSED_PAD src0_sel:BYTE_0 src1_sel:DWORD
	v_lshl_add_u32 v3, v3, 23, v0
	v_or3_b32 v30, v4, v3, v2
	v_mov_b32_e32 v31, v61
.LBB214_13:                             ;   in Loop: Header=BB214_9 Depth=1
	s_or_b64 exec, exec, s[38:39]
.LBB214_14:                             ;   in Loop: Header=BB214_9 Depth=1
	s_or_b64 exec, exec, s[36:37]
.LBB214_15:                             ;   in Loop: Header=BB214_9 Depth=1
	s_or_b64 exec, exec, s[16:17]
	v_cmp_ne_u16_sdwa s[6:7], v1, v61 src0_sel:BYTE_1 src1_sel:DWORD
	s_and_saveexec_b64 s[16:17], s[6:7]
	s_cbranch_execz .LBB214_21
; %bb.16:                               ;   in Loop: Header=BB214_9 Depth=1
	v_cmp_ne_u16_sdwa s[6:7], v1, s44 src0_sel:BYTE_1 src1_sel:DWORD
	buffer_store_dword v61, off, s[48:51], 0 offset:12 ; 4-byte Folded Spill
	s_nop 0
	buffer_store_dword v62, off, s[48:51], 0 offset:16 ; 4-byte Folded Spill
	s_and_saveexec_b64 s[36:37], s[6:7]
	s_cbranch_execz .LBB214_20
; %bb.17:                               ;   in Loop: Header=BB214_9 Depth=1
	buffer_load_dword v3, off, s[48:51], 0  ; 4-byte Folded Reload
	buffer_load_dword v4, off, s[48:51], 0 offset:4 ; 4-byte Folded Reload
	v_and_b32_sdwa v2, v1, s45 dst_sel:DWORD dst_unused:UNUSED_PAD src0_sel:BYTE_1 src1_sel:DWORD
	v_cmp_ne_u32_e64 s[6:7], s45, v2
	s_waitcnt vmcnt(1)
	v_mov_b32_e32 v3, v61
	s_waitcnt vmcnt(0)
	v_mov_b32_e32 v5, v4
	buffer_store_dword v4, off, s[48:51], 0 ; 4-byte Folded Spill
	s_nop 0
	buffer_store_dword v5, off, s[48:51], 0 offset:4 ; 4-byte Folded Spill
	buffer_store_dword v3, off, s[48:51], 0 offset:12 ; 4-byte Folded Spill
	s_nop 0
	buffer_store_dword v4, off, s[48:51], 0 offset:16 ; 4-byte Folded Spill
	s_and_saveexec_b64 s[38:39], s[6:7]
	s_cbranch_execz .LBB214_19
; %bb.18:                               ;   in Loop: Header=BB214_9 Depth=1
	v_mov_b32_e32 v0, 7
	v_and_b32_sdwa v3, v1, v0 dst_sel:DWORD dst_unused:UNUSED_PAD src0_sel:BYTE_1 src1_sel:DWORD
	v_lshrrev_b32_e32 v9, 3, v2
	v_cmp_gt_u32_e64 s[6:7], 8, v2
	v_ffbh_u32_e32 v2, v3
	v_min_u32_e32 v2, 32, v2
	v_mov_b32_e32 v4, v61
	v_subrev_u32_e32 v7, 28, v2
	v_lshlrev_b64 v[7:8], v7, v[3:4]
	v_sub_u32_e32 v2, 29, v2
	v_and_b32_e32 v4, 7, v7
	v_cndmask_b32_e64 v2, v9, v2, s[6:7]
	v_bfrev_b32_e32 v0, 60
	v_cndmask_b32_e64 v3, v3, v4, s[6:7]
	v_lshlrev_b32_e32 v1, 16, v1
	v_lshl_add_u32 v2, v2, 23, v0
	v_and_or_b32 v1, v1, s46, v2
	v_lshlrev_b32_e32 v2, 20, v3
	v_or_b32_e32 v1, v1, v2
	v_mov_b32_e32 v0, v61
	buffer_store_dword v0, off, s[48:51], 0 offset:12 ; 4-byte Folded Spill
	s_nop 0
	buffer_store_dword v1, off, s[48:51], 0 offset:16 ; 4-byte Folded Spill
.LBB214_19:                             ;   in Loop: Header=BB214_9 Depth=1
	s_or_b64 exec, exec, s[38:39]
.LBB214_20:                             ;   in Loop: Header=BB214_9 Depth=1
	s_or_b64 exec, exec, s[36:37]
.LBB214_21:                             ;   in Loop: Header=BB214_9 Depth=1
	s_or_b64 exec, exec, s[16:17]
	global_load_ushort v2, v[17:18], off offset:4
	s_waitcnt vmcnt(0)
	v_and_b32_e32 v1, 0xffff, v2
	v_cmp_ne_u16_sdwa s[6:7], v2, v61 src0_sel:BYTE_0 src1_sel:DWORD
	v_mov_b32_e32 v2, 0
	v_mov_b32_e32 v3, 0
	buffer_store_dword v2, off, s[48:51], 0 offset:28 ; 4-byte Folded Spill
	s_nop 0
	buffer_store_dword v3, off, s[48:51], 0 offset:32 ; 4-byte Folded Spill
	v_mov_b32_e32 v2, 0
	v_mov_b32_e32 v3, 0
	buffer_store_dword v2, off, s[48:51], 0 offset:20 ; 4-byte Folded Spill
	s_nop 0
	buffer_store_dword v3, off, s[48:51], 0 offset:24 ; 4-byte Folded Spill
	s_and_saveexec_b64 s[16:17], s[6:7]
	s_cbranch_execz .LBB214_27
; %bb.22:                               ;   in Loop: Header=BB214_9 Depth=1
	v_bfrev_b32_e32 v2, 1
	v_mov_b32_e32 v3, 0
	v_cmp_ne_u16_sdwa s[6:7], v1, s44 src0_sel:BYTE_0 src1_sel:DWORD
	buffer_store_dword v2, off, s[48:51], 0 offset:20 ; 4-byte Folded Spill
	s_nop 0
	buffer_store_dword v3, off, s[48:51], 0 offset:24 ; 4-byte Folded Spill
	s_and_saveexec_b64 s[36:37], s[6:7]
	s_cbranch_execz .LBB214_26
; %bb.23:                               ;   in Loop: Header=BB214_9 Depth=1
	v_and_b32_e32 v2, 0x7f, v1
	v_mov_b32_e32 v3, 0x7f800001
	v_mov_b32_e32 v4, 0
	v_cmp_ne_u32_e64 s[6:7], s45, v2
	buffer_store_dword v3, off, s[48:51], 0 offset:20 ; 4-byte Folded Spill
	s_nop 0
	buffer_store_dword v4, off, s[48:51], 0 offset:24 ; 4-byte Folded Spill
	s_and_saveexec_b64 s[38:39], s[6:7]
	s_cbranch_execz .LBB214_25
; %bb.24:                               ;   in Loop: Header=BB214_9 Depth=1
	v_and_b32_e32 v4, 7, v1
	v_lshrrev_b32_e32 v7, 3, v2
	v_cmp_gt_u32_e64 s[6:7], 8, v2
	v_ffbh_u32_e32 v2, v4
	v_min_u32_e32 v8, 32, v2
	v_subrev_u32_e32 v2, 28, v8
	v_lshlrev_b64 v[2:3], v2, v[1:2]
	v_sub_u32_e32 v3, 29, v8
	v_and_b32_e32 v2, 7, v2
	v_cndmask_b32_e64 v3, v7, v3, s[6:7]
	v_cndmask_b32_e64 v2, v4, v2, s[6:7]
	v_bfrev_b32_e32 v0, 60
	v_lshlrev_b32_e32 v2, 20, v2
	v_and_b32_sdwa v4, sext(v1), s46 dst_sel:DWORD dst_unused:UNUSED_PAD src0_sel:BYTE_0 src1_sel:DWORD
	v_lshl_add_u32 v3, v3, 23, v0
	v_or3_b32 v2, v4, v3, v2
	v_mov_b32_e32 v3, v61
	buffer_store_dword v2, off, s[48:51], 0 offset:20 ; 4-byte Folded Spill
	s_nop 0
	buffer_store_dword v3, off, s[48:51], 0 offset:24 ; 4-byte Folded Spill
.LBB214_25:                             ;   in Loop: Header=BB214_9 Depth=1
	s_or_b64 exec, exec, s[38:39]
.LBB214_26:                             ;   in Loop: Header=BB214_9 Depth=1
	s_or_b64 exec, exec, s[36:37]
.LBB214_27:                             ;   in Loop: Header=BB214_9 Depth=1
	s_or_b64 exec, exec, s[16:17]
	v_cmp_ne_u16_sdwa s[6:7], v1, v61 src0_sel:BYTE_1 src1_sel:DWORD
	s_and_saveexec_b64 s[16:17], s[6:7]
	s_cbranch_execz .LBB214_33
; %bb.28:                               ;   in Loop: Header=BB214_9 Depth=1
	v_cmp_ne_u16_sdwa s[6:7], v1, s44 src0_sel:BYTE_1 src1_sel:DWORD
	buffer_store_dword v61, off, s[48:51], 0 offset:28 ; 4-byte Folded Spill
	s_nop 0
	buffer_store_dword v62, off, s[48:51], 0 offset:32 ; 4-byte Folded Spill
	s_and_saveexec_b64 s[36:37], s[6:7]
	s_cbranch_execz .LBB214_32
; %bb.29:                               ;   in Loop: Header=BB214_9 Depth=1
	buffer_load_dword v3, off, s[48:51], 0  ; 4-byte Folded Reload
	buffer_load_dword v4, off, s[48:51], 0 offset:4 ; 4-byte Folded Reload
	v_and_b32_sdwa v2, v1, s45 dst_sel:DWORD dst_unused:UNUSED_PAD src0_sel:BYTE_1 src1_sel:DWORD
	v_cmp_ne_u32_e64 s[6:7], s45, v2
	s_waitcnt vmcnt(1)
	v_mov_b32_e32 v3, v61
	s_waitcnt vmcnt(0)
	v_mov_b32_e32 v5, v4
	buffer_store_dword v4, off, s[48:51], 0 ; 4-byte Folded Spill
	s_nop 0
	buffer_store_dword v5, off, s[48:51], 0 offset:4 ; 4-byte Folded Spill
	buffer_store_dword v3, off, s[48:51], 0 offset:28 ; 4-byte Folded Spill
	s_nop 0
	buffer_store_dword v4, off, s[48:51], 0 offset:32 ; 4-byte Folded Spill
	s_and_saveexec_b64 s[38:39], s[6:7]
	s_cbranch_execz .LBB214_31
; %bb.30:                               ;   in Loop: Header=BB214_9 Depth=1
	v_mov_b32_e32 v0, 7
	v_and_b32_sdwa v3, v1, v0 dst_sel:DWORD dst_unused:UNUSED_PAD src0_sel:BYTE_1 src1_sel:DWORD
	v_lshrrev_b32_e32 v9, 3, v2
	v_cmp_gt_u32_e64 s[6:7], 8, v2
	v_ffbh_u32_e32 v2, v3
	v_min_u32_e32 v2, 32, v2
	v_mov_b32_e32 v4, v61
	v_subrev_u32_e32 v7, 28, v2
	v_lshlrev_b64 v[7:8], v7, v[3:4]
	v_sub_u32_e32 v2, 29, v2
	v_and_b32_e32 v4, 7, v7
	v_cndmask_b32_e64 v2, v9, v2, s[6:7]
	v_bfrev_b32_e32 v0, 60
	v_cndmask_b32_e64 v3, v3, v4, s[6:7]
	v_lshlrev_b32_e32 v1, 16, v1
	v_lshl_add_u32 v2, v2, 23, v0
	v_and_or_b32 v1, v1, s46, v2
	v_lshlrev_b32_e32 v2, 20, v3
	v_or_b32_e32 v1, v1, v2
	v_mov_b32_e32 v0, v61
	buffer_store_dword v0, off, s[48:51], 0 offset:28 ; 4-byte Folded Spill
	s_nop 0
	buffer_store_dword v1, off, s[48:51], 0 offset:32 ; 4-byte Folded Spill
.LBB214_31:                             ;   in Loop: Header=BB214_9 Depth=1
	s_or_b64 exec, exec, s[38:39]
.LBB214_32:                             ;   in Loop: Header=BB214_9 Depth=1
	s_or_b64 exec, exec, s[36:37]
.LBB214_33:                             ;   in Loop: Header=BB214_9 Depth=1
	s_or_b64 exec, exec, s[16:17]
	global_load_ushort v2, v[17:18], off offset:8
	s_waitcnt vmcnt(0)
	v_and_b32_e32 v1, 0xffff, v2
	v_cmp_ne_u16_sdwa s[6:7], v2, v61 src0_sel:BYTE_0 src1_sel:DWORD
	v_mov_b32_e32 v2, 0
	v_mov_b32_e32 v3, 0
	buffer_store_dword v2, off, s[48:51], 0 offset:44 ; 4-byte Folded Spill
	s_nop 0
	buffer_store_dword v3, off, s[48:51], 0 offset:48 ; 4-byte Folded Spill
	v_mov_b32_e32 v2, 0
	v_mov_b32_e32 v3, 0
	buffer_store_dword v2, off, s[48:51], 0 offset:36 ; 4-byte Folded Spill
	s_nop 0
	buffer_store_dword v3, off, s[48:51], 0 offset:40 ; 4-byte Folded Spill
	s_and_saveexec_b64 s[16:17], s[6:7]
	s_cbranch_execz .LBB214_39
; %bb.34:                               ;   in Loop: Header=BB214_9 Depth=1
	v_bfrev_b32_e32 v2, 1
	v_mov_b32_e32 v3, 0
	v_cmp_ne_u16_sdwa s[6:7], v1, s44 src0_sel:BYTE_0 src1_sel:DWORD
	buffer_store_dword v2, off, s[48:51], 0 offset:36 ; 4-byte Folded Spill
	s_nop 0
	buffer_store_dword v3, off, s[48:51], 0 offset:40 ; 4-byte Folded Spill
	s_and_saveexec_b64 s[36:37], s[6:7]
	s_cbranch_execz .LBB214_38
; %bb.35:                               ;   in Loop: Header=BB214_9 Depth=1
	v_and_b32_e32 v2, 0x7f, v1
	v_mov_b32_e32 v3, 0x7f800001
	v_mov_b32_e32 v4, 0
	v_cmp_ne_u32_e64 s[6:7], s45, v2
	buffer_store_dword v3, off, s[48:51], 0 offset:36 ; 4-byte Folded Spill
	s_nop 0
	buffer_store_dword v4, off, s[48:51], 0 offset:40 ; 4-byte Folded Spill
	s_and_saveexec_b64 s[38:39], s[6:7]
	s_cbranch_execz .LBB214_37
; %bb.36:                               ;   in Loop: Header=BB214_9 Depth=1
	v_and_b32_e32 v4, 7, v1
	v_lshrrev_b32_e32 v7, 3, v2
	v_cmp_gt_u32_e64 s[6:7], 8, v2
	v_ffbh_u32_e32 v2, v4
	v_min_u32_e32 v8, 32, v2
	v_subrev_u32_e32 v2, 28, v8
	v_lshlrev_b64 v[2:3], v2, v[1:2]
	v_sub_u32_e32 v3, 29, v8
	v_and_b32_e32 v2, 7, v2
	v_cndmask_b32_e64 v3, v7, v3, s[6:7]
	v_cndmask_b32_e64 v2, v4, v2, s[6:7]
	v_bfrev_b32_e32 v0, 60
	v_lshlrev_b32_e32 v2, 20, v2
	v_and_b32_sdwa v4, sext(v1), s46 dst_sel:DWORD dst_unused:UNUSED_PAD src0_sel:BYTE_0 src1_sel:DWORD
	v_lshl_add_u32 v3, v3, 23, v0
	v_or3_b32 v2, v4, v3, v2
	v_mov_b32_e32 v3, v61
	buffer_store_dword v2, off, s[48:51], 0 offset:36 ; 4-byte Folded Spill
	s_nop 0
	buffer_store_dword v3, off, s[48:51], 0 offset:40 ; 4-byte Folded Spill
.LBB214_37:                             ;   in Loop: Header=BB214_9 Depth=1
	s_or_b64 exec, exec, s[38:39]
.LBB214_38:                             ;   in Loop: Header=BB214_9 Depth=1
	s_or_b64 exec, exec, s[36:37]
.LBB214_39:                             ;   in Loop: Header=BB214_9 Depth=1
	s_or_b64 exec, exec, s[16:17]
	v_cmp_ne_u16_sdwa s[6:7], v1, v61 src0_sel:BYTE_1 src1_sel:DWORD
	s_and_saveexec_b64 s[16:17], s[6:7]
	s_cbranch_execz .LBB214_45
; %bb.40:                               ;   in Loop: Header=BB214_9 Depth=1
	v_cmp_ne_u16_sdwa s[6:7], v1, s44 src0_sel:BYTE_1 src1_sel:DWORD
	buffer_store_dword v61, off, s[48:51], 0 offset:44 ; 4-byte Folded Spill
	s_nop 0
	buffer_store_dword v62, off, s[48:51], 0 offset:48 ; 4-byte Folded Spill
	s_and_saveexec_b64 s[36:37], s[6:7]
	s_cbranch_execz .LBB214_44
; %bb.41:                               ;   in Loop: Header=BB214_9 Depth=1
	buffer_load_dword v3, off, s[48:51], 0  ; 4-byte Folded Reload
	buffer_load_dword v4, off, s[48:51], 0 offset:4 ; 4-byte Folded Reload
	v_and_b32_sdwa v2, v1, s45 dst_sel:DWORD dst_unused:UNUSED_PAD src0_sel:BYTE_1 src1_sel:DWORD
	v_cmp_ne_u32_e64 s[6:7], s45, v2
	s_waitcnt vmcnt(1)
	v_mov_b32_e32 v3, v61
	s_waitcnt vmcnt(0)
	v_mov_b32_e32 v5, v4
	buffer_store_dword v4, off, s[48:51], 0 ; 4-byte Folded Spill
	s_nop 0
	buffer_store_dword v5, off, s[48:51], 0 offset:4 ; 4-byte Folded Spill
	buffer_store_dword v3, off, s[48:51], 0 offset:44 ; 4-byte Folded Spill
	s_nop 0
	buffer_store_dword v4, off, s[48:51], 0 offset:48 ; 4-byte Folded Spill
	s_and_saveexec_b64 s[38:39], s[6:7]
	s_cbranch_execz .LBB214_43
; %bb.42:                               ;   in Loop: Header=BB214_9 Depth=1
	v_mov_b32_e32 v0, 7
	v_and_b32_sdwa v3, v1, v0 dst_sel:DWORD dst_unused:UNUSED_PAD src0_sel:BYTE_1 src1_sel:DWORD
	v_lshrrev_b32_e32 v9, 3, v2
	v_cmp_gt_u32_e64 s[6:7], 8, v2
	v_ffbh_u32_e32 v2, v3
	v_min_u32_e32 v2, 32, v2
	v_mov_b32_e32 v4, v61
	v_subrev_u32_e32 v7, 28, v2
	v_lshlrev_b64 v[7:8], v7, v[3:4]
	v_sub_u32_e32 v2, 29, v2
	v_and_b32_e32 v4, 7, v7
	v_cndmask_b32_e64 v2, v9, v2, s[6:7]
	v_bfrev_b32_e32 v0, 60
	v_cndmask_b32_e64 v3, v3, v4, s[6:7]
	v_lshlrev_b32_e32 v1, 16, v1
	v_lshl_add_u32 v2, v2, 23, v0
	v_and_or_b32 v1, v1, s46, v2
	v_lshlrev_b32_e32 v2, 20, v3
	v_or_b32_e32 v1, v1, v2
	v_mov_b32_e32 v0, v61
	buffer_store_dword v0, off, s[48:51], 0 offset:44 ; 4-byte Folded Spill
	s_nop 0
	buffer_store_dword v1, off, s[48:51], 0 offset:48 ; 4-byte Folded Spill
.LBB214_43:                             ;   in Loop: Header=BB214_9 Depth=1
	s_or_b64 exec, exec, s[38:39]
.LBB214_44:                             ;   in Loop: Header=BB214_9 Depth=1
	s_or_b64 exec, exec, s[36:37]
.LBB214_45:                             ;   in Loop: Header=BB214_9 Depth=1
	s_or_b64 exec, exec, s[16:17]
	global_load_ushort v2, v[17:18], off offset:12
	s_waitcnt vmcnt(0)
	v_and_b32_e32 v1, 0xffff, v2
	v_cmp_ne_u16_sdwa s[6:7], v2, v61 src0_sel:BYTE_0 src1_sel:DWORD
	v_mov_b32_e32 v2, 0
	v_mov_b32_e32 v3, 0
	buffer_store_dword v2, off, s[48:51], 0 offset:60 ; 4-byte Folded Spill
	s_nop 0
	buffer_store_dword v3, off, s[48:51], 0 offset:64 ; 4-byte Folded Spill
	v_mov_b32_e32 v2, 0
	v_mov_b32_e32 v3, 0
	buffer_store_dword v2, off, s[48:51], 0 offset:52 ; 4-byte Folded Spill
	s_nop 0
	buffer_store_dword v3, off, s[48:51], 0 offset:56 ; 4-byte Folded Spill
	s_and_saveexec_b64 s[16:17], s[6:7]
	s_cbranch_execz .LBB214_51
; %bb.46:                               ;   in Loop: Header=BB214_9 Depth=1
	v_bfrev_b32_e32 v2, 1
	v_mov_b32_e32 v3, 0
	v_cmp_ne_u16_sdwa s[6:7], v1, s44 src0_sel:BYTE_0 src1_sel:DWORD
	buffer_store_dword v2, off, s[48:51], 0 offset:52 ; 4-byte Folded Spill
	s_nop 0
	buffer_store_dword v3, off, s[48:51], 0 offset:56 ; 4-byte Folded Spill
	s_and_saveexec_b64 s[36:37], s[6:7]
	s_cbranch_execz .LBB214_50
; %bb.47:                               ;   in Loop: Header=BB214_9 Depth=1
	v_and_b32_e32 v2, 0x7f, v1
	v_mov_b32_e32 v3, 0x7f800001
	v_mov_b32_e32 v4, 0
	v_cmp_ne_u32_e64 s[6:7], s45, v2
	buffer_store_dword v3, off, s[48:51], 0 offset:52 ; 4-byte Folded Spill
	s_nop 0
	buffer_store_dword v4, off, s[48:51], 0 offset:56 ; 4-byte Folded Spill
	s_and_saveexec_b64 s[38:39], s[6:7]
	s_cbranch_execz .LBB214_49
; %bb.48:                               ;   in Loop: Header=BB214_9 Depth=1
	v_and_b32_e32 v4, 7, v1
	v_lshrrev_b32_e32 v7, 3, v2
	v_cmp_gt_u32_e64 s[6:7], 8, v2
	v_ffbh_u32_e32 v2, v4
	v_min_u32_e32 v8, 32, v2
	v_subrev_u32_e32 v2, 28, v8
	v_lshlrev_b64 v[2:3], v2, v[1:2]
	v_sub_u32_e32 v3, 29, v8
	v_and_b32_e32 v2, 7, v2
	v_cndmask_b32_e64 v3, v7, v3, s[6:7]
	v_cndmask_b32_e64 v2, v4, v2, s[6:7]
	v_bfrev_b32_e32 v0, 60
	v_lshlrev_b32_e32 v2, 20, v2
	v_and_b32_sdwa v4, sext(v1), s46 dst_sel:DWORD dst_unused:UNUSED_PAD src0_sel:BYTE_0 src1_sel:DWORD
	v_lshl_add_u32 v3, v3, 23, v0
	v_or3_b32 v2, v4, v3, v2
	v_mov_b32_e32 v3, v61
	buffer_store_dword v2, off, s[48:51], 0 offset:52 ; 4-byte Folded Spill
	s_nop 0
	buffer_store_dword v3, off, s[48:51], 0 offset:56 ; 4-byte Folded Spill
.LBB214_49:                             ;   in Loop: Header=BB214_9 Depth=1
	s_or_b64 exec, exec, s[38:39]
.LBB214_50:                             ;   in Loop: Header=BB214_9 Depth=1
	s_or_b64 exec, exec, s[36:37]
.LBB214_51:                             ;   in Loop: Header=BB214_9 Depth=1
	s_or_b64 exec, exec, s[16:17]
	v_cmp_ne_u16_sdwa s[6:7], v1, v61 src0_sel:BYTE_1 src1_sel:DWORD
	s_and_saveexec_b64 s[16:17], s[6:7]
	s_cbranch_execz .LBB214_57
; %bb.52:                               ;   in Loop: Header=BB214_9 Depth=1
	v_cmp_ne_u16_sdwa s[6:7], v1, s44 src0_sel:BYTE_1 src1_sel:DWORD
	buffer_store_dword v61, off, s[48:51], 0 offset:60 ; 4-byte Folded Spill
	s_nop 0
	buffer_store_dword v62, off, s[48:51], 0 offset:64 ; 4-byte Folded Spill
	s_and_saveexec_b64 s[36:37], s[6:7]
	s_cbranch_execz .LBB214_56
; %bb.53:                               ;   in Loop: Header=BB214_9 Depth=1
	buffer_load_dword v3, off, s[48:51], 0  ; 4-byte Folded Reload
	buffer_load_dword v4, off, s[48:51], 0 offset:4 ; 4-byte Folded Reload
	v_and_b32_sdwa v2, v1, s45 dst_sel:DWORD dst_unused:UNUSED_PAD src0_sel:BYTE_1 src1_sel:DWORD
	v_cmp_ne_u32_e64 s[6:7], s45, v2
	s_waitcnt vmcnt(1)
	v_mov_b32_e32 v3, v61
	s_waitcnt vmcnt(0)
	v_mov_b32_e32 v5, v4
	buffer_store_dword v4, off, s[48:51], 0 ; 4-byte Folded Spill
	s_nop 0
	buffer_store_dword v5, off, s[48:51], 0 offset:4 ; 4-byte Folded Spill
	buffer_store_dword v3, off, s[48:51], 0 offset:60 ; 4-byte Folded Spill
	s_nop 0
	buffer_store_dword v4, off, s[48:51], 0 offset:64 ; 4-byte Folded Spill
	s_and_saveexec_b64 s[38:39], s[6:7]
	s_cbranch_execz .LBB214_55
; %bb.54:                               ;   in Loop: Header=BB214_9 Depth=1
	v_mov_b32_e32 v0, 7
	v_and_b32_sdwa v3, v1, v0 dst_sel:DWORD dst_unused:UNUSED_PAD src0_sel:BYTE_1 src1_sel:DWORD
	v_lshrrev_b32_e32 v9, 3, v2
	v_cmp_gt_u32_e64 s[6:7], 8, v2
	v_ffbh_u32_e32 v2, v3
	v_min_u32_e32 v2, 32, v2
	v_mov_b32_e32 v4, v61
	v_subrev_u32_e32 v7, 28, v2
	v_lshlrev_b64 v[7:8], v7, v[3:4]
	v_sub_u32_e32 v2, 29, v2
	v_and_b32_e32 v4, 7, v7
	v_cndmask_b32_e64 v2, v9, v2, s[6:7]
	v_bfrev_b32_e32 v0, 60
	v_cndmask_b32_e64 v3, v3, v4, s[6:7]
	v_lshlrev_b32_e32 v1, 16, v1
	v_lshl_add_u32 v2, v2, 23, v0
	v_and_or_b32 v1, v1, s46, v2
	v_lshlrev_b32_e32 v2, 20, v3
	v_or_b32_e32 v1, v1, v2
	v_mov_b32_e32 v0, v61
	buffer_store_dword v0, off, s[48:51], 0 offset:60 ; 4-byte Folded Spill
	s_nop 0
	buffer_store_dword v1, off, s[48:51], 0 offset:64 ; 4-byte Folded Spill
.LBB214_55:                             ;   in Loop: Header=BB214_9 Depth=1
	s_or_b64 exec, exec, s[38:39]
.LBB214_56:                             ;   in Loop: Header=BB214_9 Depth=1
	s_or_b64 exec, exec, s[36:37]
.LBB214_57:                             ;   in Loop: Header=BB214_9 Depth=1
	s_or_b64 exec, exec, s[16:17]
	global_load_ushort v2, v[17:18], off offset:512
	s_waitcnt vmcnt(0)
	v_and_b32_e32 v1, 0xffff, v2
	v_cmp_ne_u16_sdwa s[6:7], v2, v61 src0_sel:BYTE_0 src1_sel:DWORD
	v_mov_b32_e32 v2, 0
	v_mov_b32_e32 v3, 0
	buffer_store_dword v2, off, s[48:51], 0 offset:76 ; 4-byte Folded Spill
	s_nop 0
	buffer_store_dword v3, off, s[48:51], 0 offset:80 ; 4-byte Folded Spill
	v_mov_b32_e32 v2, 0
	v_mov_b32_e32 v3, 0
	buffer_store_dword v2, off, s[48:51], 0 offset:68 ; 4-byte Folded Spill
	s_nop 0
	buffer_store_dword v3, off, s[48:51], 0 offset:72 ; 4-byte Folded Spill
	s_and_saveexec_b64 s[16:17], s[6:7]
	s_cbranch_execz .LBB214_63
; %bb.58:                               ;   in Loop: Header=BB214_9 Depth=1
	v_bfrev_b32_e32 v2, 1
	v_mov_b32_e32 v3, 0
	v_cmp_ne_u16_sdwa s[6:7], v1, s44 src0_sel:BYTE_0 src1_sel:DWORD
	buffer_store_dword v2, off, s[48:51], 0 offset:68 ; 4-byte Folded Spill
	s_nop 0
	buffer_store_dword v3, off, s[48:51], 0 offset:72 ; 4-byte Folded Spill
	s_and_saveexec_b64 s[36:37], s[6:7]
	s_cbranch_execz .LBB214_62
; %bb.59:                               ;   in Loop: Header=BB214_9 Depth=1
	v_and_b32_e32 v2, 0x7f, v1
	v_mov_b32_e32 v3, 0x7f800001
	v_mov_b32_e32 v4, 0
	v_cmp_ne_u32_e64 s[6:7], s45, v2
	buffer_store_dword v3, off, s[48:51], 0 offset:68 ; 4-byte Folded Spill
	s_nop 0
	buffer_store_dword v4, off, s[48:51], 0 offset:72 ; 4-byte Folded Spill
	s_and_saveexec_b64 s[38:39], s[6:7]
	s_cbranch_execz .LBB214_61
; %bb.60:                               ;   in Loop: Header=BB214_9 Depth=1
	v_and_b32_e32 v4, 7, v1
	v_lshrrev_b32_e32 v7, 3, v2
	v_cmp_gt_u32_e64 s[6:7], 8, v2
	v_ffbh_u32_e32 v2, v4
	v_min_u32_e32 v8, 32, v2
	v_subrev_u32_e32 v2, 28, v8
	v_lshlrev_b64 v[2:3], v2, v[1:2]
	v_sub_u32_e32 v3, 29, v8
	v_and_b32_e32 v2, 7, v2
	v_cndmask_b32_e64 v3, v7, v3, s[6:7]
	v_cndmask_b32_e64 v2, v4, v2, s[6:7]
	v_bfrev_b32_e32 v0, 60
	v_lshlrev_b32_e32 v2, 20, v2
	v_and_b32_sdwa v4, sext(v1), s46 dst_sel:DWORD dst_unused:UNUSED_PAD src0_sel:BYTE_0 src1_sel:DWORD
	v_lshl_add_u32 v3, v3, 23, v0
	v_or3_b32 v2, v4, v3, v2
	v_mov_b32_e32 v3, v61
	buffer_store_dword v2, off, s[48:51], 0 offset:68 ; 4-byte Folded Spill
	s_nop 0
	buffer_store_dword v3, off, s[48:51], 0 offset:72 ; 4-byte Folded Spill
.LBB214_61:                             ;   in Loop: Header=BB214_9 Depth=1
	s_or_b64 exec, exec, s[38:39]
.LBB214_62:                             ;   in Loop: Header=BB214_9 Depth=1
	s_or_b64 exec, exec, s[36:37]
.LBB214_63:                             ;   in Loop: Header=BB214_9 Depth=1
	s_or_b64 exec, exec, s[16:17]
	v_cmp_ne_u16_sdwa s[6:7], v1, v61 src0_sel:BYTE_1 src1_sel:DWORD
	s_and_saveexec_b64 s[16:17], s[6:7]
	s_cbranch_execz .LBB214_69
; %bb.64:                               ;   in Loop: Header=BB214_9 Depth=1
	v_cmp_ne_u16_sdwa s[6:7], v1, s44 src0_sel:BYTE_1 src1_sel:DWORD
	buffer_store_dword v61, off, s[48:51], 0 offset:76 ; 4-byte Folded Spill
	s_nop 0
	buffer_store_dword v62, off, s[48:51], 0 offset:80 ; 4-byte Folded Spill
	s_and_saveexec_b64 s[36:37], s[6:7]
	s_cbranch_execz .LBB214_68
; %bb.65:                               ;   in Loop: Header=BB214_9 Depth=1
	buffer_load_dword v3, off, s[48:51], 0  ; 4-byte Folded Reload
	buffer_load_dword v4, off, s[48:51], 0 offset:4 ; 4-byte Folded Reload
	v_and_b32_sdwa v2, v1, s45 dst_sel:DWORD dst_unused:UNUSED_PAD src0_sel:BYTE_1 src1_sel:DWORD
	v_cmp_ne_u32_e64 s[6:7], s45, v2
	s_waitcnt vmcnt(1)
	v_mov_b32_e32 v3, v61
	s_waitcnt vmcnt(0)
	v_mov_b32_e32 v5, v4
	buffer_store_dword v4, off, s[48:51], 0 ; 4-byte Folded Spill
	s_nop 0
	buffer_store_dword v5, off, s[48:51], 0 offset:4 ; 4-byte Folded Spill
	buffer_store_dword v3, off, s[48:51], 0 offset:76 ; 4-byte Folded Spill
	s_nop 0
	buffer_store_dword v4, off, s[48:51], 0 offset:80 ; 4-byte Folded Spill
	s_and_saveexec_b64 s[38:39], s[6:7]
	s_cbranch_execz .LBB214_67
; %bb.66:                               ;   in Loop: Header=BB214_9 Depth=1
	v_mov_b32_e32 v0, 7
	v_and_b32_sdwa v3, v1, v0 dst_sel:DWORD dst_unused:UNUSED_PAD src0_sel:BYTE_1 src1_sel:DWORD
	v_lshrrev_b32_e32 v9, 3, v2
	v_cmp_gt_u32_e64 s[6:7], 8, v2
	v_ffbh_u32_e32 v2, v3
	v_min_u32_e32 v2, 32, v2
	v_mov_b32_e32 v4, v61
	v_subrev_u32_e32 v7, 28, v2
	v_lshlrev_b64 v[7:8], v7, v[3:4]
	v_sub_u32_e32 v2, 29, v2
	v_and_b32_e32 v4, 7, v7
	v_cndmask_b32_e64 v2, v9, v2, s[6:7]
	v_bfrev_b32_e32 v0, 60
	v_cndmask_b32_e64 v3, v3, v4, s[6:7]
	v_lshlrev_b32_e32 v1, 16, v1
	v_lshl_add_u32 v2, v2, 23, v0
	v_and_or_b32 v1, v1, s46, v2
	v_lshlrev_b32_e32 v2, 20, v3
	v_or_b32_e32 v1, v1, v2
	v_mov_b32_e32 v0, v61
	buffer_store_dword v0, off, s[48:51], 0 offset:76 ; 4-byte Folded Spill
	s_nop 0
	buffer_store_dword v1, off, s[48:51], 0 offset:80 ; 4-byte Folded Spill
.LBB214_67:                             ;   in Loop: Header=BB214_9 Depth=1
	s_or_b64 exec, exec, s[38:39]
.LBB214_68:                             ;   in Loop: Header=BB214_9 Depth=1
	s_or_b64 exec, exec, s[36:37]
.LBB214_69:                             ;   in Loop: Header=BB214_9 Depth=1
	s_or_b64 exec, exec, s[16:17]
	global_load_ushort v2, v[17:18], off offset:516
	s_waitcnt vmcnt(0)
	v_and_b32_e32 v1, 0xffff, v2
	v_cmp_ne_u16_sdwa s[6:7], v2, v61 src0_sel:BYTE_0 src1_sel:DWORD
	v_mov_b32_e32 v2, 0
	v_mov_b32_e32 v3, 0
	buffer_store_dword v2, off, s[48:51], 0 offset:92 ; 4-byte Folded Spill
	s_nop 0
	buffer_store_dword v3, off, s[48:51], 0 offset:96 ; 4-byte Folded Spill
	v_mov_b32_e32 v2, 0
	v_mov_b32_e32 v3, 0
	buffer_store_dword v2, off, s[48:51], 0 offset:84 ; 4-byte Folded Spill
	s_nop 0
	buffer_store_dword v3, off, s[48:51], 0 offset:88 ; 4-byte Folded Spill
	s_and_saveexec_b64 s[16:17], s[6:7]
	s_cbranch_execz .LBB214_75
; %bb.70:                               ;   in Loop: Header=BB214_9 Depth=1
	v_bfrev_b32_e32 v2, 1
	v_mov_b32_e32 v3, 0
	v_cmp_ne_u16_sdwa s[6:7], v1, s44 src0_sel:BYTE_0 src1_sel:DWORD
	buffer_store_dword v2, off, s[48:51], 0 offset:84 ; 4-byte Folded Spill
	s_nop 0
	buffer_store_dword v3, off, s[48:51], 0 offset:88 ; 4-byte Folded Spill
	s_and_saveexec_b64 s[36:37], s[6:7]
	s_cbranch_execz .LBB214_74
; %bb.71:                               ;   in Loop: Header=BB214_9 Depth=1
	v_and_b32_e32 v2, 0x7f, v1
	v_mov_b32_e32 v3, 0x7f800001
	v_mov_b32_e32 v4, 0
	v_cmp_ne_u32_e64 s[6:7], s45, v2
	buffer_store_dword v3, off, s[48:51], 0 offset:84 ; 4-byte Folded Spill
	s_nop 0
	buffer_store_dword v4, off, s[48:51], 0 offset:88 ; 4-byte Folded Spill
	s_and_saveexec_b64 s[38:39], s[6:7]
	s_cbranch_execz .LBB214_73
; %bb.72:                               ;   in Loop: Header=BB214_9 Depth=1
	v_and_b32_e32 v4, 7, v1
	v_lshrrev_b32_e32 v7, 3, v2
	v_cmp_gt_u32_e64 s[6:7], 8, v2
	v_ffbh_u32_e32 v2, v4
	v_min_u32_e32 v8, 32, v2
	v_subrev_u32_e32 v2, 28, v8
	v_lshlrev_b64 v[2:3], v2, v[1:2]
	v_sub_u32_e32 v3, 29, v8
	v_and_b32_e32 v2, 7, v2
	v_cndmask_b32_e64 v3, v7, v3, s[6:7]
	v_cndmask_b32_e64 v2, v4, v2, s[6:7]
	v_bfrev_b32_e32 v0, 60
	v_lshlrev_b32_e32 v2, 20, v2
	v_and_b32_sdwa v4, sext(v1), s46 dst_sel:DWORD dst_unused:UNUSED_PAD src0_sel:BYTE_0 src1_sel:DWORD
	v_lshl_add_u32 v3, v3, 23, v0
	v_or3_b32 v2, v4, v3, v2
	v_mov_b32_e32 v3, v61
	buffer_store_dword v2, off, s[48:51], 0 offset:84 ; 4-byte Folded Spill
	s_nop 0
	buffer_store_dword v3, off, s[48:51], 0 offset:88 ; 4-byte Folded Spill
.LBB214_73:                             ;   in Loop: Header=BB214_9 Depth=1
	s_or_b64 exec, exec, s[38:39]
.LBB214_74:                             ;   in Loop: Header=BB214_9 Depth=1
	s_or_b64 exec, exec, s[36:37]
.LBB214_75:                             ;   in Loop: Header=BB214_9 Depth=1
	s_or_b64 exec, exec, s[16:17]
	v_cmp_ne_u16_sdwa s[6:7], v1, v61 src0_sel:BYTE_1 src1_sel:DWORD
	s_and_saveexec_b64 s[16:17], s[6:7]
	s_cbranch_execz .LBB214_81
; %bb.76:                               ;   in Loop: Header=BB214_9 Depth=1
	v_cmp_ne_u16_sdwa s[6:7], v1, s44 src0_sel:BYTE_1 src1_sel:DWORD
	buffer_store_dword v61, off, s[48:51], 0 offset:92 ; 4-byte Folded Spill
	s_nop 0
	buffer_store_dword v62, off, s[48:51], 0 offset:96 ; 4-byte Folded Spill
	s_and_saveexec_b64 s[36:37], s[6:7]
	s_cbranch_execz .LBB214_80
; %bb.77:                               ;   in Loop: Header=BB214_9 Depth=1
	buffer_load_dword v3, off, s[48:51], 0  ; 4-byte Folded Reload
	buffer_load_dword v4, off, s[48:51], 0 offset:4 ; 4-byte Folded Reload
	v_and_b32_sdwa v2, v1, s45 dst_sel:DWORD dst_unused:UNUSED_PAD src0_sel:BYTE_1 src1_sel:DWORD
	v_cmp_ne_u32_e64 s[6:7], s45, v2
	s_waitcnt vmcnt(1)
	v_mov_b32_e32 v3, v61
	s_waitcnt vmcnt(0)
	v_mov_b32_e32 v5, v4
	buffer_store_dword v4, off, s[48:51], 0 ; 4-byte Folded Spill
	s_nop 0
	buffer_store_dword v5, off, s[48:51], 0 offset:4 ; 4-byte Folded Spill
	buffer_store_dword v3, off, s[48:51], 0 offset:92 ; 4-byte Folded Spill
	s_nop 0
	buffer_store_dword v4, off, s[48:51], 0 offset:96 ; 4-byte Folded Spill
	s_and_saveexec_b64 s[38:39], s[6:7]
	s_cbranch_execz .LBB214_79
; %bb.78:                               ;   in Loop: Header=BB214_9 Depth=1
	v_mov_b32_e32 v0, 7
	v_and_b32_sdwa v3, v1, v0 dst_sel:DWORD dst_unused:UNUSED_PAD src0_sel:BYTE_1 src1_sel:DWORD
	v_lshrrev_b32_e32 v9, 3, v2
	v_cmp_gt_u32_e64 s[6:7], 8, v2
	v_ffbh_u32_e32 v2, v3
	v_min_u32_e32 v2, 32, v2
	v_mov_b32_e32 v4, v61
	v_subrev_u32_e32 v7, 28, v2
	v_lshlrev_b64 v[7:8], v7, v[3:4]
	v_sub_u32_e32 v2, 29, v2
	v_and_b32_e32 v4, 7, v7
	v_cndmask_b32_e64 v2, v9, v2, s[6:7]
	v_bfrev_b32_e32 v0, 60
	v_cndmask_b32_e64 v3, v3, v4, s[6:7]
	v_lshlrev_b32_e32 v1, 16, v1
	v_lshl_add_u32 v2, v2, 23, v0
	v_and_or_b32 v1, v1, s46, v2
	v_lshlrev_b32_e32 v2, 20, v3
	v_or_b32_e32 v1, v1, v2
	v_mov_b32_e32 v0, v61
	buffer_store_dword v0, off, s[48:51], 0 offset:92 ; 4-byte Folded Spill
	s_nop 0
	buffer_store_dword v1, off, s[48:51], 0 offset:96 ; 4-byte Folded Spill
.LBB214_79:                             ;   in Loop: Header=BB214_9 Depth=1
	s_or_b64 exec, exec, s[38:39]
.LBB214_80:                             ;   in Loop: Header=BB214_9 Depth=1
	s_or_b64 exec, exec, s[36:37]
.LBB214_81:                             ;   in Loop: Header=BB214_9 Depth=1
	s_or_b64 exec, exec, s[16:17]
	global_load_ushort v2, v[17:18], off offset:520
	s_waitcnt vmcnt(0)
	v_and_b32_e32 v1, 0xffff, v2
	v_cmp_ne_u16_sdwa s[6:7], v2, v61 src0_sel:BYTE_0 src1_sel:DWORD
	v_mov_b32_e32 v2, 0
	v_mov_b32_e32 v3, 0
	buffer_store_dword v2, off, s[48:51], 0 offset:108 ; 4-byte Folded Spill
	s_nop 0
	buffer_store_dword v3, off, s[48:51], 0 offset:112 ; 4-byte Folded Spill
	v_mov_b32_e32 v2, 0
	v_mov_b32_e32 v3, 0
	buffer_store_dword v2, off, s[48:51], 0 offset:100 ; 4-byte Folded Spill
	s_nop 0
	buffer_store_dword v3, off, s[48:51], 0 offset:104 ; 4-byte Folded Spill
	s_and_saveexec_b64 s[16:17], s[6:7]
	s_cbranch_execz .LBB214_87
; %bb.82:                               ;   in Loop: Header=BB214_9 Depth=1
	v_bfrev_b32_e32 v2, 1
	v_mov_b32_e32 v3, 0
	v_cmp_ne_u16_sdwa s[6:7], v1, s44 src0_sel:BYTE_0 src1_sel:DWORD
	buffer_store_dword v2, off, s[48:51], 0 offset:100 ; 4-byte Folded Spill
	s_nop 0
	buffer_store_dword v3, off, s[48:51], 0 offset:104 ; 4-byte Folded Spill
	s_and_saveexec_b64 s[36:37], s[6:7]
	s_cbranch_execz .LBB214_86
; %bb.83:                               ;   in Loop: Header=BB214_9 Depth=1
	v_and_b32_e32 v2, 0x7f, v1
	v_mov_b32_e32 v3, 0x7f800001
	v_mov_b32_e32 v4, 0
	v_cmp_ne_u32_e64 s[6:7], s45, v2
	buffer_store_dword v3, off, s[48:51], 0 offset:100 ; 4-byte Folded Spill
	s_nop 0
	buffer_store_dword v4, off, s[48:51], 0 offset:104 ; 4-byte Folded Spill
	s_and_saveexec_b64 s[38:39], s[6:7]
	s_cbranch_execz .LBB214_85
; %bb.84:                               ;   in Loop: Header=BB214_9 Depth=1
	v_and_b32_e32 v4, 7, v1
	v_lshrrev_b32_e32 v7, 3, v2
	v_cmp_gt_u32_e64 s[6:7], 8, v2
	v_ffbh_u32_e32 v2, v4
	v_min_u32_e32 v8, 32, v2
	v_subrev_u32_e32 v2, 28, v8
	v_lshlrev_b64 v[2:3], v2, v[1:2]
	v_sub_u32_e32 v3, 29, v8
	v_and_b32_e32 v2, 7, v2
	v_cndmask_b32_e64 v3, v7, v3, s[6:7]
	v_cndmask_b32_e64 v2, v4, v2, s[6:7]
	v_bfrev_b32_e32 v0, 60
	v_lshlrev_b32_e32 v2, 20, v2
	v_and_b32_sdwa v4, sext(v1), s46 dst_sel:DWORD dst_unused:UNUSED_PAD src0_sel:BYTE_0 src1_sel:DWORD
	v_lshl_add_u32 v3, v3, 23, v0
	v_or3_b32 v2, v4, v3, v2
	v_mov_b32_e32 v3, v61
	buffer_store_dword v2, off, s[48:51], 0 offset:100 ; 4-byte Folded Spill
	s_nop 0
	buffer_store_dword v3, off, s[48:51], 0 offset:104 ; 4-byte Folded Spill
.LBB214_85:                             ;   in Loop: Header=BB214_9 Depth=1
	s_or_b64 exec, exec, s[38:39]
.LBB214_86:                             ;   in Loop: Header=BB214_9 Depth=1
	s_or_b64 exec, exec, s[36:37]
.LBB214_87:                             ;   in Loop: Header=BB214_9 Depth=1
	s_or_b64 exec, exec, s[16:17]
	v_cmp_ne_u16_sdwa s[6:7], v1, v61 src0_sel:BYTE_1 src1_sel:DWORD
	s_and_saveexec_b64 s[16:17], s[6:7]
	s_cbranch_execz .LBB214_93
; %bb.88:                               ;   in Loop: Header=BB214_9 Depth=1
	v_cmp_ne_u16_sdwa s[6:7], v1, s44 src0_sel:BYTE_1 src1_sel:DWORD
	buffer_store_dword v61, off, s[48:51], 0 offset:108 ; 4-byte Folded Spill
	s_nop 0
	buffer_store_dword v62, off, s[48:51], 0 offset:112 ; 4-byte Folded Spill
	s_and_saveexec_b64 s[36:37], s[6:7]
	s_cbranch_execz .LBB214_92
; %bb.89:                               ;   in Loop: Header=BB214_9 Depth=1
	buffer_load_dword v3, off, s[48:51], 0  ; 4-byte Folded Reload
	buffer_load_dword v4, off, s[48:51], 0 offset:4 ; 4-byte Folded Reload
	v_and_b32_sdwa v2, v1, s45 dst_sel:DWORD dst_unused:UNUSED_PAD src0_sel:BYTE_1 src1_sel:DWORD
	v_cmp_ne_u32_e64 s[6:7], s45, v2
	s_waitcnt vmcnt(1)
	v_mov_b32_e32 v3, v61
	s_waitcnt vmcnt(0)
	v_mov_b32_e32 v5, v4
	buffer_store_dword v4, off, s[48:51], 0 ; 4-byte Folded Spill
	s_nop 0
	buffer_store_dword v5, off, s[48:51], 0 offset:4 ; 4-byte Folded Spill
	buffer_store_dword v3, off, s[48:51], 0 offset:108 ; 4-byte Folded Spill
	s_nop 0
	buffer_store_dword v4, off, s[48:51], 0 offset:112 ; 4-byte Folded Spill
	s_and_saveexec_b64 s[38:39], s[6:7]
	s_cbranch_execz .LBB214_91
; %bb.90:                               ;   in Loop: Header=BB214_9 Depth=1
	v_mov_b32_e32 v0, 7
	v_and_b32_sdwa v3, v1, v0 dst_sel:DWORD dst_unused:UNUSED_PAD src0_sel:BYTE_1 src1_sel:DWORD
	v_lshrrev_b32_e32 v9, 3, v2
	v_cmp_gt_u32_e64 s[6:7], 8, v2
	v_ffbh_u32_e32 v2, v3
	v_min_u32_e32 v2, 32, v2
	v_mov_b32_e32 v4, v61
	v_subrev_u32_e32 v7, 28, v2
	v_lshlrev_b64 v[7:8], v7, v[3:4]
	v_sub_u32_e32 v2, 29, v2
	v_and_b32_e32 v4, 7, v7
	v_cndmask_b32_e64 v2, v9, v2, s[6:7]
	v_bfrev_b32_e32 v0, 60
	v_cndmask_b32_e64 v3, v3, v4, s[6:7]
	v_lshlrev_b32_e32 v1, 16, v1
	v_lshl_add_u32 v2, v2, 23, v0
	v_and_or_b32 v1, v1, s46, v2
	v_lshlrev_b32_e32 v2, 20, v3
	v_or_b32_e32 v1, v1, v2
	v_mov_b32_e32 v0, v61
	buffer_store_dword v0, off, s[48:51], 0 offset:108 ; 4-byte Folded Spill
	s_nop 0
	buffer_store_dword v1, off, s[48:51], 0 offset:112 ; 4-byte Folded Spill
.LBB214_91:                             ;   in Loop: Header=BB214_9 Depth=1
	s_or_b64 exec, exec, s[38:39]
.LBB214_92:                             ;   in Loop: Header=BB214_9 Depth=1
	s_or_b64 exec, exec, s[36:37]
.LBB214_93:                             ;   in Loop: Header=BB214_9 Depth=1
	s_or_b64 exec, exec, s[16:17]
	global_load_ushort v2, v[17:18], off offset:524
	s_waitcnt vmcnt(0)
	v_and_b32_e32 v1, 0xffff, v2
	v_cmp_ne_u16_sdwa s[6:7], v2, v61 src0_sel:BYTE_0 src1_sel:DWORD
	v_mov_b32_e32 v2, 0
	v_mov_b32_e32 v3, 0
	buffer_store_dword v2, off, s[48:51], 0 offset:124 ; 4-byte Folded Spill
	s_nop 0
	buffer_store_dword v3, off, s[48:51], 0 offset:128 ; 4-byte Folded Spill
	v_mov_b32_e32 v2, 0
	v_mov_b32_e32 v3, 0
	buffer_store_dword v2, off, s[48:51], 0 offset:116 ; 4-byte Folded Spill
	s_nop 0
	buffer_store_dword v3, off, s[48:51], 0 offset:120 ; 4-byte Folded Spill
	s_and_saveexec_b64 s[16:17], s[6:7]
	s_cbranch_execz .LBB214_99
; %bb.94:                               ;   in Loop: Header=BB214_9 Depth=1
	v_bfrev_b32_e32 v2, 1
	v_mov_b32_e32 v3, 0
	v_cmp_ne_u16_sdwa s[6:7], v1, s44 src0_sel:BYTE_0 src1_sel:DWORD
	buffer_store_dword v2, off, s[48:51], 0 offset:116 ; 4-byte Folded Spill
	s_nop 0
	buffer_store_dword v3, off, s[48:51], 0 offset:120 ; 4-byte Folded Spill
	s_and_saveexec_b64 s[36:37], s[6:7]
	s_cbranch_execz .LBB214_98
; %bb.95:                               ;   in Loop: Header=BB214_9 Depth=1
	v_and_b32_e32 v2, 0x7f, v1
	v_mov_b32_e32 v3, 0x7f800001
	v_mov_b32_e32 v4, 0
	v_cmp_ne_u32_e64 s[6:7], s45, v2
	buffer_store_dword v3, off, s[48:51], 0 offset:116 ; 4-byte Folded Spill
	s_nop 0
	buffer_store_dword v4, off, s[48:51], 0 offset:120 ; 4-byte Folded Spill
	s_and_saveexec_b64 s[38:39], s[6:7]
	s_cbranch_execz .LBB214_97
; %bb.96:                               ;   in Loop: Header=BB214_9 Depth=1
	v_and_b32_e32 v4, 7, v1
	v_lshrrev_b32_e32 v7, 3, v2
	v_cmp_gt_u32_e64 s[6:7], 8, v2
	v_ffbh_u32_e32 v2, v4
	v_min_u32_e32 v8, 32, v2
	v_subrev_u32_e32 v2, 28, v8
	v_lshlrev_b64 v[2:3], v2, v[1:2]
	v_sub_u32_e32 v3, 29, v8
	v_and_b32_e32 v2, 7, v2
	v_cndmask_b32_e64 v3, v7, v3, s[6:7]
	v_cndmask_b32_e64 v2, v4, v2, s[6:7]
	v_bfrev_b32_e32 v0, 60
	v_lshlrev_b32_e32 v2, 20, v2
	v_and_b32_sdwa v4, sext(v1), s46 dst_sel:DWORD dst_unused:UNUSED_PAD src0_sel:BYTE_0 src1_sel:DWORD
	v_lshl_add_u32 v3, v3, 23, v0
	v_or3_b32 v2, v4, v3, v2
	v_mov_b32_e32 v3, v61
	buffer_store_dword v2, off, s[48:51], 0 offset:116 ; 4-byte Folded Spill
	s_nop 0
	buffer_store_dword v3, off, s[48:51], 0 offset:120 ; 4-byte Folded Spill
.LBB214_97:                             ;   in Loop: Header=BB214_9 Depth=1
	s_or_b64 exec, exec, s[38:39]
.LBB214_98:                             ;   in Loop: Header=BB214_9 Depth=1
	s_or_b64 exec, exec, s[36:37]
.LBB214_99:                             ;   in Loop: Header=BB214_9 Depth=1
	s_or_b64 exec, exec, s[16:17]
	v_cmp_ne_u16_sdwa s[6:7], v1, v61 src0_sel:BYTE_1 src1_sel:DWORD
	s_and_saveexec_b64 s[16:17], s[6:7]
	s_cbranch_execz .LBB214_105
; %bb.100:                              ;   in Loop: Header=BB214_9 Depth=1
	v_cmp_ne_u16_sdwa s[6:7], v1, s44 src0_sel:BYTE_1 src1_sel:DWORD
	buffer_store_dword v61, off, s[48:51], 0 offset:124 ; 4-byte Folded Spill
	s_nop 0
	buffer_store_dword v62, off, s[48:51], 0 offset:128 ; 4-byte Folded Spill
	s_and_saveexec_b64 s[36:37], s[6:7]
	s_cbranch_execz .LBB214_104
; %bb.101:                              ;   in Loop: Header=BB214_9 Depth=1
	buffer_load_dword v3, off, s[48:51], 0  ; 4-byte Folded Reload
	buffer_load_dword v4, off, s[48:51], 0 offset:4 ; 4-byte Folded Reload
	v_and_b32_sdwa v2, v1, s45 dst_sel:DWORD dst_unused:UNUSED_PAD src0_sel:BYTE_1 src1_sel:DWORD
	v_cmp_ne_u32_e64 s[6:7], s45, v2
	s_waitcnt vmcnt(1)
	v_mov_b32_e32 v3, v61
	s_waitcnt vmcnt(0)
	v_mov_b32_e32 v5, v4
	buffer_store_dword v4, off, s[48:51], 0 ; 4-byte Folded Spill
	s_nop 0
	buffer_store_dword v5, off, s[48:51], 0 offset:4 ; 4-byte Folded Spill
	buffer_store_dword v3, off, s[48:51], 0 offset:124 ; 4-byte Folded Spill
	s_nop 0
	buffer_store_dword v4, off, s[48:51], 0 offset:128 ; 4-byte Folded Spill
	s_and_saveexec_b64 s[38:39], s[6:7]
	s_cbranch_execz .LBB214_103
; %bb.102:                              ;   in Loop: Header=BB214_9 Depth=1
	v_mov_b32_e32 v0, 7
	v_and_b32_sdwa v3, v1, v0 dst_sel:DWORD dst_unused:UNUSED_PAD src0_sel:BYTE_1 src1_sel:DWORD
	v_lshrrev_b32_e32 v9, 3, v2
	v_cmp_gt_u32_e64 s[6:7], 8, v2
	v_ffbh_u32_e32 v2, v3
	v_min_u32_e32 v2, 32, v2
	v_mov_b32_e32 v4, v61
	v_subrev_u32_e32 v7, 28, v2
	v_lshlrev_b64 v[7:8], v7, v[3:4]
	v_sub_u32_e32 v2, 29, v2
	v_and_b32_e32 v4, 7, v7
	v_cndmask_b32_e64 v2, v9, v2, s[6:7]
	v_bfrev_b32_e32 v0, 60
	v_cndmask_b32_e64 v3, v3, v4, s[6:7]
	v_lshlrev_b32_e32 v1, 16, v1
	v_lshl_add_u32 v2, v2, 23, v0
	v_and_or_b32 v1, v1, s46, v2
	v_lshlrev_b32_e32 v2, 20, v3
	v_or_b32_e32 v1, v1, v2
	v_mov_b32_e32 v0, v61
	buffer_store_dword v0, off, s[48:51], 0 offset:124 ; 4-byte Folded Spill
	s_nop 0
	buffer_store_dword v1, off, s[48:51], 0 offset:128 ; 4-byte Folded Spill
.LBB214_103:                            ;   in Loop: Header=BB214_9 Depth=1
	s_or_b64 exec, exec, s[38:39]
.LBB214_104:                            ;   in Loop: Header=BB214_9 Depth=1
	s_or_b64 exec, exec, s[36:37]
.LBB214_105:                            ;   in Loop: Header=BB214_9 Depth=1
	s_or_b64 exec, exec, s[16:17]
	global_load_ushort v2, v[17:18], off offset:1024
	s_waitcnt vmcnt(0)
	v_and_b32_e32 v1, 0xffff, v2
	v_cmp_ne_u16_sdwa s[6:7], v2, v61 src0_sel:BYTE_0 src1_sel:DWORD
	v_mov_b32_e32 v2, 0
	v_mov_b32_e32 v3, 0
	buffer_store_dword v2, off, s[48:51], 0 offset:140 ; 4-byte Folded Spill
	s_nop 0
	buffer_store_dword v3, off, s[48:51], 0 offset:144 ; 4-byte Folded Spill
	v_mov_b32_e32 v2, 0
	v_mov_b32_e32 v3, 0
	buffer_store_dword v2, off, s[48:51], 0 offset:132 ; 4-byte Folded Spill
	s_nop 0
	buffer_store_dword v3, off, s[48:51], 0 offset:136 ; 4-byte Folded Spill
	s_and_saveexec_b64 s[16:17], s[6:7]
	s_cbranch_execz .LBB214_111
; %bb.106:                              ;   in Loop: Header=BB214_9 Depth=1
	v_bfrev_b32_e32 v2, 1
	v_mov_b32_e32 v3, 0
	v_cmp_ne_u16_sdwa s[6:7], v1, s44 src0_sel:BYTE_0 src1_sel:DWORD
	buffer_store_dword v2, off, s[48:51], 0 offset:132 ; 4-byte Folded Spill
	s_nop 0
	buffer_store_dword v3, off, s[48:51], 0 offset:136 ; 4-byte Folded Spill
	s_and_saveexec_b64 s[36:37], s[6:7]
	s_cbranch_execz .LBB214_110
; %bb.107:                              ;   in Loop: Header=BB214_9 Depth=1
	v_and_b32_e32 v2, 0x7f, v1
	v_mov_b32_e32 v3, 0x7f800001
	v_mov_b32_e32 v4, 0
	v_cmp_ne_u32_e64 s[6:7], s45, v2
	buffer_store_dword v3, off, s[48:51], 0 offset:132 ; 4-byte Folded Spill
	s_nop 0
	buffer_store_dword v4, off, s[48:51], 0 offset:136 ; 4-byte Folded Spill
	s_and_saveexec_b64 s[38:39], s[6:7]
	s_cbranch_execz .LBB214_109
; %bb.108:                              ;   in Loop: Header=BB214_9 Depth=1
	v_and_b32_e32 v4, 7, v1
	v_lshrrev_b32_e32 v7, 3, v2
	v_cmp_gt_u32_e64 s[6:7], 8, v2
	v_ffbh_u32_e32 v2, v4
	v_min_u32_e32 v8, 32, v2
	v_subrev_u32_e32 v2, 28, v8
	v_lshlrev_b64 v[2:3], v2, v[1:2]
	v_sub_u32_e32 v3, 29, v8
	v_and_b32_e32 v2, 7, v2
	v_cndmask_b32_e64 v3, v7, v3, s[6:7]
	v_cndmask_b32_e64 v2, v4, v2, s[6:7]
	v_bfrev_b32_e32 v0, 60
	v_lshlrev_b32_e32 v2, 20, v2
	v_and_b32_sdwa v4, sext(v1), s46 dst_sel:DWORD dst_unused:UNUSED_PAD src0_sel:BYTE_0 src1_sel:DWORD
	v_lshl_add_u32 v3, v3, 23, v0
	v_or3_b32 v2, v4, v3, v2
	v_mov_b32_e32 v3, v61
	buffer_store_dword v2, off, s[48:51], 0 offset:132 ; 4-byte Folded Spill
	s_nop 0
	buffer_store_dword v3, off, s[48:51], 0 offset:136 ; 4-byte Folded Spill
.LBB214_109:                            ;   in Loop: Header=BB214_9 Depth=1
	s_or_b64 exec, exec, s[38:39]
.LBB214_110:                            ;   in Loop: Header=BB214_9 Depth=1
	s_or_b64 exec, exec, s[36:37]
.LBB214_111:                            ;   in Loop: Header=BB214_9 Depth=1
	s_or_b64 exec, exec, s[16:17]
	v_cmp_ne_u16_sdwa s[6:7], v1, v61 src0_sel:BYTE_1 src1_sel:DWORD
	s_and_saveexec_b64 s[16:17], s[6:7]
	s_cbranch_execz .LBB214_117
; %bb.112:                              ;   in Loop: Header=BB214_9 Depth=1
	v_cmp_ne_u16_sdwa s[6:7], v1, s44 src0_sel:BYTE_1 src1_sel:DWORD
	buffer_store_dword v61, off, s[48:51], 0 offset:140 ; 4-byte Folded Spill
	s_nop 0
	buffer_store_dword v62, off, s[48:51], 0 offset:144 ; 4-byte Folded Spill
	s_and_saveexec_b64 s[36:37], s[6:7]
	s_cbranch_execz .LBB214_116
; %bb.113:                              ;   in Loop: Header=BB214_9 Depth=1
	buffer_load_dword v3, off, s[48:51], 0  ; 4-byte Folded Reload
	buffer_load_dword v4, off, s[48:51], 0 offset:4 ; 4-byte Folded Reload
	v_and_b32_sdwa v2, v1, s45 dst_sel:DWORD dst_unused:UNUSED_PAD src0_sel:BYTE_1 src1_sel:DWORD
	v_cmp_ne_u32_e64 s[6:7], s45, v2
	s_waitcnt vmcnt(1)
	v_mov_b32_e32 v3, v61
	s_waitcnt vmcnt(0)
	v_mov_b32_e32 v5, v4
	buffer_store_dword v4, off, s[48:51], 0 ; 4-byte Folded Spill
	s_nop 0
	buffer_store_dword v5, off, s[48:51], 0 offset:4 ; 4-byte Folded Spill
	buffer_store_dword v3, off, s[48:51], 0 offset:140 ; 4-byte Folded Spill
	s_nop 0
	buffer_store_dword v4, off, s[48:51], 0 offset:144 ; 4-byte Folded Spill
	s_and_saveexec_b64 s[38:39], s[6:7]
	s_cbranch_execz .LBB214_115
; %bb.114:                              ;   in Loop: Header=BB214_9 Depth=1
	v_mov_b32_e32 v0, 7
	v_and_b32_sdwa v3, v1, v0 dst_sel:DWORD dst_unused:UNUSED_PAD src0_sel:BYTE_1 src1_sel:DWORD
	v_lshrrev_b32_e32 v9, 3, v2
	v_cmp_gt_u32_e64 s[6:7], 8, v2
	v_ffbh_u32_e32 v2, v3
	v_min_u32_e32 v2, 32, v2
	v_mov_b32_e32 v4, v61
	v_subrev_u32_e32 v7, 28, v2
	v_lshlrev_b64 v[7:8], v7, v[3:4]
	v_sub_u32_e32 v2, 29, v2
	v_and_b32_e32 v4, 7, v7
	v_cndmask_b32_e64 v2, v9, v2, s[6:7]
	v_bfrev_b32_e32 v0, 60
	v_cndmask_b32_e64 v3, v3, v4, s[6:7]
	v_lshlrev_b32_e32 v1, 16, v1
	v_lshl_add_u32 v2, v2, 23, v0
	v_and_or_b32 v1, v1, s46, v2
	v_lshlrev_b32_e32 v2, 20, v3
	v_or_b32_e32 v1, v1, v2
	v_mov_b32_e32 v0, v61
	buffer_store_dword v0, off, s[48:51], 0 offset:140 ; 4-byte Folded Spill
	s_nop 0
	buffer_store_dword v1, off, s[48:51], 0 offset:144 ; 4-byte Folded Spill
.LBB214_115:                            ;   in Loop: Header=BB214_9 Depth=1
	s_or_b64 exec, exec, s[38:39]
.LBB214_116:                            ;   in Loop: Header=BB214_9 Depth=1
	s_or_b64 exec, exec, s[36:37]
.LBB214_117:                            ;   in Loop: Header=BB214_9 Depth=1
	s_or_b64 exec, exec, s[16:17]
	global_load_ushort v2, v[17:18], off offset:1028
	s_waitcnt vmcnt(0)
	v_and_b32_e32 v1, 0xffff, v2
	v_cmp_ne_u16_sdwa s[6:7], v2, v61 src0_sel:BYTE_0 src1_sel:DWORD
	v_mov_b32_e32 v2, 0
	v_mov_b32_e32 v3, 0
	buffer_store_dword v2, off, s[48:51], 0 offset:156 ; 4-byte Folded Spill
	s_nop 0
	buffer_store_dword v3, off, s[48:51], 0 offset:160 ; 4-byte Folded Spill
	v_mov_b32_e32 v2, 0
	v_mov_b32_e32 v3, 0
	buffer_store_dword v2, off, s[48:51], 0 offset:148 ; 4-byte Folded Spill
	s_nop 0
	buffer_store_dword v3, off, s[48:51], 0 offset:152 ; 4-byte Folded Spill
	s_and_saveexec_b64 s[16:17], s[6:7]
	s_cbranch_execz .LBB214_123
; %bb.118:                              ;   in Loop: Header=BB214_9 Depth=1
	v_bfrev_b32_e32 v2, 1
	v_mov_b32_e32 v3, 0
	v_cmp_ne_u16_sdwa s[6:7], v1, s44 src0_sel:BYTE_0 src1_sel:DWORD
	buffer_store_dword v2, off, s[48:51], 0 offset:148 ; 4-byte Folded Spill
	s_nop 0
	buffer_store_dword v3, off, s[48:51], 0 offset:152 ; 4-byte Folded Spill
	s_and_saveexec_b64 s[36:37], s[6:7]
	s_cbranch_execz .LBB214_122
; %bb.119:                              ;   in Loop: Header=BB214_9 Depth=1
	v_and_b32_e32 v2, 0x7f, v1
	v_mov_b32_e32 v3, 0x7f800001
	v_mov_b32_e32 v4, 0
	v_cmp_ne_u32_e64 s[6:7], s45, v2
	buffer_store_dword v3, off, s[48:51], 0 offset:148 ; 4-byte Folded Spill
	s_nop 0
	buffer_store_dword v4, off, s[48:51], 0 offset:152 ; 4-byte Folded Spill
	s_and_saveexec_b64 s[38:39], s[6:7]
	s_cbranch_execz .LBB214_121
; %bb.120:                              ;   in Loop: Header=BB214_9 Depth=1
	v_and_b32_e32 v4, 7, v1
	v_lshrrev_b32_e32 v7, 3, v2
	v_cmp_gt_u32_e64 s[6:7], 8, v2
	v_ffbh_u32_e32 v2, v4
	v_min_u32_e32 v8, 32, v2
	v_subrev_u32_e32 v2, 28, v8
	v_lshlrev_b64 v[2:3], v2, v[1:2]
	v_sub_u32_e32 v3, 29, v8
	v_and_b32_e32 v2, 7, v2
	v_cndmask_b32_e64 v3, v7, v3, s[6:7]
	v_cndmask_b32_e64 v2, v4, v2, s[6:7]
	v_bfrev_b32_e32 v0, 60
	v_lshlrev_b32_e32 v2, 20, v2
	v_and_b32_sdwa v4, sext(v1), s46 dst_sel:DWORD dst_unused:UNUSED_PAD src0_sel:BYTE_0 src1_sel:DWORD
	v_lshl_add_u32 v3, v3, 23, v0
	v_or3_b32 v2, v4, v3, v2
	v_mov_b32_e32 v3, v61
	buffer_store_dword v2, off, s[48:51], 0 offset:148 ; 4-byte Folded Spill
	s_nop 0
	buffer_store_dword v3, off, s[48:51], 0 offset:152 ; 4-byte Folded Spill
.LBB214_121:                            ;   in Loop: Header=BB214_9 Depth=1
	s_or_b64 exec, exec, s[38:39]
.LBB214_122:                            ;   in Loop: Header=BB214_9 Depth=1
	s_or_b64 exec, exec, s[36:37]
.LBB214_123:                            ;   in Loop: Header=BB214_9 Depth=1
	s_or_b64 exec, exec, s[16:17]
	v_cmp_ne_u16_sdwa s[6:7], v1, v61 src0_sel:BYTE_1 src1_sel:DWORD
	s_and_saveexec_b64 s[16:17], s[6:7]
	s_cbranch_execz .LBB214_129
; %bb.124:                              ;   in Loop: Header=BB214_9 Depth=1
	v_cmp_ne_u16_sdwa s[6:7], v1, s44 src0_sel:BYTE_1 src1_sel:DWORD
	buffer_store_dword v61, off, s[48:51], 0 offset:156 ; 4-byte Folded Spill
	s_nop 0
	buffer_store_dword v62, off, s[48:51], 0 offset:160 ; 4-byte Folded Spill
	s_and_saveexec_b64 s[36:37], s[6:7]
	s_cbranch_execz .LBB214_128
; %bb.125:                              ;   in Loop: Header=BB214_9 Depth=1
	buffer_load_dword v3, off, s[48:51], 0  ; 4-byte Folded Reload
	buffer_load_dword v4, off, s[48:51], 0 offset:4 ; 4-byte Folded Reload
	v_and_b32_sdwa v2, v1, s45 dst_sel:DWORD dst_unused:UNUSED_PAD src0_sel:BYTE_1 src1_sel:DWORD
	v_cmp_ne_u32_e64 s[6:7], s45, v2
	s_waitcnt vmcnt(1)
	v_mov_b32_e32 v3, v61
	s_waitcnt vmcnt(0)
	v_mov_b32_e32 v5, v4
	buffer_store_dword v4, off, s[48:51], 0 ; 4-byte Folded Spill
	s_nop 0
	buffer_store_dword v5, off, s[48:51], 0 offset:4 ; 4-byte Folded Spill
	buffer_store_dword v3, off, s[48:51], 0 offset:156 ; 4-byte Folded Spill
	s_nop 0
	buffer_store_dword v4, off, s[48:51], 0 offset:160 ; 4-byte Folded Spill
	s_and_saveexec_b64 s[38:39], s[6:7]
	s_cbranch_execz .LBB214_127
; %bb.126:                              ;   in Loop: Header=BB214_9 Depth=1
	v_mov_b32_e32 v0, 7
	v_and_b32_sdwa v3, v1, v0 dst_sel:DWORD dst_unused:UNUSED_PAD src0_sel:BYTE_1 src1_sel:DWORD
	v_lshrrev_b32_e32 v9, 3, v2
	v_cmp_gt_u32_e64 s[6:7], 8, v2
	v_ffbh_u32_e32 v2, v3
	v_min_u32_e32 v2, 32, v2
	v_mov_b32_e32 v4, v61
	v_subrev_u32_e32 v7, 28, v2
	v_lshlrev_b64 v[7:8], v7, v[3:4]
	v_sub_u32_e32 v2, 29, v2
	v_and_b32_e32 v4, 7, v7
	v_cndmask_b32_e64 v2, v9, v2, s[6:7]
	v_bfrev_b32_e32 v0, 60
	v_cndmask_b32_e64 v3, v3, v4, s[6:7]
	v_lshlrev_b32_e32 v1, 16, v1
	v_lshl_add_u32 v2, v2, 23, v0
	v_and_or_b32 v1, v1, s46, v2
	v_lshlrev_b32_e32 v2, 20, v3
	v_or_b32_e32 v1, v1, v2
	v_mov_b32_e32 v0, v61
	buffer_store_dword v0, off, s[48:51], 0 offset:156 ; 4-byte Folded Spill
	s_nop 0
	buffer_store_dword v1, off, s[48:51], 0 offset:160 ; 4-byte Folded Spill
.LBB214_127:                            ;   in Loop: Header=BB214_9 Depth=1
	s_or_b64 exec, exec, s[38:39]
.LBB214_128:                            ;   in Loop: Header=BB214_9 Depth=1
	s_or_b64 exec, exec, s[36:37]
.LBB214_129:                            ;   in Loop: Header=BB214_9 Depth=1
	s_or_b64 exec, exec, s[16:17]
	global_load_ushort v2, v[17:18], off offset:1032
	s_waitcnt vmcnt(0)
	v_and_b32_e32 v1, 0xffff, v2
	v_cmp_ne_u16_sdwa s[6:7], v2, v61 src0_sel:BYTE_0 src1_sel:DWORD
	v_mov_b32_e32 v2, 0
	v_mov_b32_e32 v3, 0
	buffer_store_dword v2, off, s[48:51], 0 offset:172 ; 4-byte Folded Spill
	s_nop 0
	buffer_store_dword v3, off, s[48:51], 0 offset:176 ; 4-byte Folded Spill
	v_mov_b32_e32 v2, 0
	v_mov_b32_e32 v3, 0
	buffer_store_dword v2, off, s[48:51], 0 offset:164 ; 4-byte Folded Spill
	s_nop 0
	buffer_store_dword v3, off, s[48:51], 0 offset:168 ; 4-byte Folded Spill
	s_and_saveexec_b64 s[16:17], s[6:7]
	s_cbranch_execz .LBB214_135
; %bb.130:                              ;   in Loop: Header=BB214_9 Depth=1
	v_bfrev_b32_e32 v2, 1
	v_mov_b32_e32 v3, 0
	v_cmp_ne_u16_sdwa s[6:7], v1, s44 src0_sel:BYTE_0 src1_sel:DWORD
	buffer_store_dword v2, off, s[48:51], 0 offset:164 ; 4-byte Folded Spill
	s_nop 0
	buffer_store_dword v3, off, s[48:51], 0 offset:168 ; 4-byte Folded Spill
	s_and_saveexec_b64 s[36:37], s[6:7]
	s_cbranch_execz .LBB214_134
; %bb.131:                              ;   in Loop: Header=BB214_9 Depth=1
	v_and_b32_e32 v2, 0x7f, v1
	v_mov_b32_e32 v3, 0x7f800001
	v_mov_b32_e32 v4, 0
	v_cmp_ne_u32_e64 s[6:7], s45, v2
	buffer_store_dword v3, off, s[48:51], 0 offset:164 ; 4-byte Folded Spill
	s_nop 0
	buffer_store_dword v4, off, s[48:51], 0 offset:168 ; 4-byte Folded Spill
	s_and_saveexec_b64 s[38:39], s[6:7]
	s_cbranch_execz .LBB214_133
; %bb.132:                              ;   in Loop: Header=BB214_9 Depth=1
	v_and_b32_e32 v4, 7, v1
	v_lshrrev_b32_e32 v7, 3, v2
	v_cmp_gt_u32_e64 s[6:7], 8, v2
	v_ffbh_u32_e32 v2, v4
	v_min_u32_e32 v8, 32, v2
	v_subrev_u32_e32 v2, 28, v8
	v_lshlrev_b64 v[2:3], v2, v[1:2]
	v_sub_u32_e32 v3, 29, v8
	v_and_b32_e32 v2, 7, v2
	v_cndmask_b32_e64 v3, v7, v3, s[6:7]
	v_cndmask_b32_e64 v2, v4, v2, s[6:7]
	v_bfrev_b32_e32 v0, 60
	v_lshlrev_b32_e32 v2, 20, v2
	v_and_b32_sdwa v4, sext(v1), s46 dst_sel:DWORD dst_unused:UNUSED_PAD src0_sel:BYTE_0 src1_sel:DWORD
	v_lshl_add_u32 v3, v3, 23, v0
	v_or3_b32 v2, v4, v3, v2
	v_mov_b32_e32 v3, v61
	buffer_store_dword v2, off, s[48:51], 0 offset:164 ; 4-byte Folded Spill
	s_nop 0
	buffer_store_dword v3, off, s[48:51], 0 offset:168 ; 4-byte Folded Spill
.LBB214_133:                            ;   in Loop: Header=BB214_9 Depth=1
	s_or_b64 exec, exec, s[38:39]
.LBB214_134:                            ;   in Loop: Header=BB214_9 Depth=1
	s_or_b64 exec, exec, s[36:37]
.LBB214_135:                            ;   in Loop: Header=BB214_9 Depth=1
	s_or_b64 exec, exec, s[16:17]
	v_cmp_ne_u16_sdwa s[6:7], v1, v61 src0_sel:BYTE_1 src1_sel:DWORD
	s_and_saveexec_b64 s[16:17], s[6:7]
	s_cbranch_execz .LBB214_141
; %bb.136:                              ;   in Loop: Header=BB214_9 Depth=1
	v_cmp_ne_u16_sdwa s[6:7], v1, s44 src0_sel:BYTE_1 src1_sel:DWORD
	buffer_store_dword v61, off, s[48:51], 0 offset:172 ; 4-byte Folded Spill
	s_nop 0
	buffer_store_dword v62, off, s[48:51], 0 offset:176 ; 4-byte Folded Spill
	s_and_saveexec_b64 s[36:37], s[6:7]
	s_cbranch_execz .LBB214_140
; %bb.137:                              ;   in Loop: Header=BB214_9 Depth=1
	buffer_load_dword v3, off, s[48:51], 0  ; 4-byte Folded Reload
	buffer_load_dword v4, off, s[48:51], 0 offset:4 ; 4-byte Folded Reload
	v_and_b32_sdwa v2, v1, s45 dst_sel:DWORD dst_unused:UNUSED_PAD src0_sel:BYTE_1 src1_sel:DWORD
	v_cmp_ne_u32_e64 s[6:7], s45, v2
	s_waitcnt vmcnt(1)
	v_mov_b32_e32 v3, v61
	s_waitcnt vmcnt(0)
	v_mov_b32_e32 v5, v4
	buffer_store_dword v4, off, s[48:51], 0 ; 4-byte Folded Spill
	s_nop 0
	buffer_store_dword v5, off, s[48:51], 0 offset:4 ; 4-byte Folded Spill
	buffer_store_dword v3, off, s[48:51], 0 offset:172 ; 4-byte Folded Spill
	s_nop 0
	buffer_store_dword v4, off, s[48:51], 0 offset:176 ; 4-byte Folded Spill
	s_and_saveexec_b64 s[38:39], s[6:7]
	s_cbranch_execz .LBB214_139
; %bb.138:                              ;   in Loop: Header=BB214_9 Depth=1
	v_mov_b32_e32 v0, 7
	v_and_b32_sdwa v3, v1, v0 dst_sel:DWORD dst_unused:UNUSED_PAD src0_sel:BYTE_1 src1_sel:DWORD
	v_lshrrev_b32_e32 v9, 3, v2
	v_cmp_gt_u32_e64 s[6:7], 8, v2
	v_ffbh_u32_e32 v2, v3
	v_min_u32_e32 v2, 32, v2
	v_mov_b32_e32 v4, v61
	v_subrev_u32_e32 v7, 28, v2
	v_lshlrev_b64 v[7:8], v7, v[3:4]
	v_sub_u32_e32 v2, 29, v2
	v_and_b32_e32 v4, 7, v7
	v_cndmask_b32_e64 v2, v9, v2, s[6:7]
	v_bfrev_b32_e32 v0, 60
	v_cndmask_b32_e64 v3, v3, v4, s[6:7]
	v_lshlrev_b32_e32 v1, 16, v1
	v_lshl_add_u32 v2, v2, 23, v0
	v_and_or_b32 v1, v1, s46, v2
	v_lshlrev_b32_e32 v2, 20, v3
	v_or_b32_e32 v1, v1, v2
	v_mov_b32_e32 v0, v61
	buffer_store_dword v0, off, s[48:51], 0 offset:172 ; 4-byte Folded Spill
	s_nop 0
	buffer_store_dword v1, off, s[48:51], 0 offset:176 ; 4-byte Folded Spill
.LBB214_139:                            ;   in Loop: Header=BB214_9 Depth=1
	s_or_b64 exec, exec, s[38:39]
.LBB214_140:                            ;   in Loop: Header=BB214_9 Depth=1
	s_or_b64 exec, exec, s[36:37]
.LBB214_141:                            ;   in Loop: Header=BB214_9 Depth=1
	s_or_b64 exec, exec, s[16:17]
	global_load_ushort v2, v[17:18], off offset:1036
	s_waitcnt vmcnt(0)
	v_and_b32_e32 v1, 0xffff, v2
	v_cmp_ne_u16_sdwa s[6:7], v2, v61 src0_sel:BYTE_0 src1_sel:DWORD
	v_mov_b32_e32 v2, 0
	v_mov_b32_e32 v3, 0
	buffer_store_dword v2, off, s[48:51], 0 offset:188 ; 4-byte Folded Spill
	s_nop 0
	buffer_store_dword v3, off, s[48:51], 0 offset:192 ; 4-byte Folded Spill
	v_mov_b32_e32 v2, 0
	v_mov_b32_e32 v3, 0
	buffer_store_dword v2, off, s[48:51], 0 offset:180 ; 4-byte Folded Spill
	s_nop 0
	buffer_store_dword v3, off, s[48:51], 0 offset:184 ; 4-byte Folded Spill
	s_and_saveexec_b64 s[16:17], s[6:7]
	s_cbranch_execz .LBB214_147
; %bb.142:                              ;   in Loop: Header=BB214_9 Depth=1
	v_bfrev_b32_e32 v2, 1
	v_mov_b32_e32 v3, 0
	v_cmp_ne_u16_sdwa s[6:7], v1, s44 src0_sel:BYTE_0 src1_sel:DWORD
	buffer_store_dword v2, off, s[48:51], 0 offset:180 ; 4-byte Folded Spill
	s_nop 0
	buffer_store_dword v3, off, s[48:51], 0 offset:184 ; 4-byte Folded Spill
	s_and_saveexec_b64 s[36:37], s[6:7]
	s_cbranch_execz .LBB214_146
; %bb.143:                              ;   in Loop: Header=BB214_9 Depth=1
	v_and_b32_e32 v2, 0x7f, v1
	v_mov_b32_e32 v3, 0x7f800001
	v_mov_b32_e32 v4, 0
	v_cmp_ne_u32_e64 s[6:7], s45, v2
	buffer_store_dword v3, off, s[48:51], 0 offset:180 ; 4-byte Folded Spill
	s_nop 0
	buffer_store_dword v4, off, s[48:51], 0 offset:184 ; 4-byte Folded Spill
	s_and_saveexec_b64 s[38:39], s[6:7]
	s_cbranch_execz .LBB214_145
; %bb.144:                              ;   in Loop: Header=BB214_9 Depth=1
	v_and_b32_e32 v4, 7, v1
	v_lshrrev_b32_e32 v7, 3, v2
	v_cmp_gt_u32_e64 s[6:7], 8, v2
	v_ffbh_u32_e32 v2, v4
	v_min_u32_e32 v8, 32, v2
	v_subrev_u32_e32 v2, 28, v8
	v_lshlrev_b64 v[2:3], v2, v[1:2]
	v_sub_u32_e32 v3, 29, v8
	v_and_b32_e32 v2, 7, v2
	v_cndmask_b32_e64 v3, v7, v3, s[6:7]
	v_cndmask_b32_e64 v2, v4, v2, s[6:7]
	v_bfrev_b32_e32 v0, 60
	v_lshlrev_b32_e32 v2, 20, v2
	v_and_b32_sdwa v4, sext(v1), s46 dst_sel:DWORD dst_unused:UNUSED_PAD src0_sel:BYTE_0 src1_sel:DWORD
	v_lshl_add_u32 v3, v3, 23, v0
	v_or3_b32 v2, v4, v3, v2
	v_mov_b32_e32 v3, v61
	buffer_store_dword v2, off, s[48:51], 0 offset:180 ; 4-byte Folded Spill
	s_nop 0
	buffer_store_dword v3, off, s[48:51], 0 offset:184 ; 4-byte Folded Spill
.LBB214_145:                            ;   in Loop: Header=BB214_9 Depth=1
	s_or_b64 exec, exec, s[38:39]
.LBB214_146:                            ;   in Loop: Header=BB214_9 Depth=1
	s_or_b64 exec, exec, s[36:37]
.LBB214_147:                            ;   in Loop: Header=BB214_9 Depth=1
	s_or_b64 exec, exec, s[16:17]
	v_cmp_ne_u16_sdwa s[6:7], v1, v61 src0_sel:BYTE_1 src1_sel:DWORD
	s_and_saveexec_b64 s[16:17], s[6:7]
	s_cbranch_execz .LBB214_153
; %bb.148:                              ;   in Loop: Header=BB214_9 Depth=1
	v_cmp_ne_u16_sdwa s[6:7], v1, s44 src0_sel:BYTE_1 src1_sel:DWORD
	buffer_store_dword v61, off, s[48:51], 0 offset:188 ; 4-byte Folded Spill
	s_nop 0
	buffer_store_dword v62, off, s[48:51], 0 offset:192 ; 4-byte Folded Spill
	s_and_saveexec_b64 s[36:37], s[6:7]
	s_cbranch_execz .LBB214_152
; %bb.149:                              ;   in Loop: Header=BB214_9 Depth=1
	buffer_load_dword v3, off, s[48:51], 0  ; 4-byte Folded Reload
	buffer_load_dword v4, off, s[48:51], 0 offset:4 ; 4-byte Folded Reload
	v_and_b32_sdwa v2, v1, s45 dst_sel:DWORD dst_unused:UNUSED_PAD src0_sel:BYTE_1 src1_sel:DWORD
	v_cmp_ne_u32_e64 s[6:7], s45, v2
	s_waitcnt vmcnt(1)
	v_mov_b32_e32 v3, v61
	s_waitcnt vmcnt(0)
	v_mov_b32_e32 v5, v4
	buffer_store_dword v4, off, s[48:51], 0 ; 4-byte Folded Spill
	s_nop 0
	buffer_store_dword v5, off, s[48:51], 0 offset:4 ; 4-byte Folded Spill
	buffer_store_dword v3, off, s[48:51], 0 offset:188 ; 4-byte Folded Spill
	s_nop 0
	buffer_store_dword v4, off, s[48:51], 0 offset:192 ; 4-byte Folded Spill
	s_and_saveexec_b64 s[38:39], s[6:7]
	s_cbranch_execz .LBB214_151
; %bb.150:                              ;   in Loop: Header=BB214_9 Depth=1
	v_mov_b32_e32 v0, 7
	v_and_b32_sdwa v3, v1, v0 dst_sel:DWORD dst_unused:UNUSED_PAD src0_sel:BYTE_1 src1_sel:DWORD
	v_lshrrev_b32_e32 v9, 3, v2
	v_cmp_gt_u32_e64 s[6:7], 8, v2
	v_ffbh_u32_e32 v2, v3
	v_min_u32_e32 v2, 32, v2
	v_mov_b32_e32 v4, v61
	v_subrev_u32_e32 v7, 28, v2
	v_lshlrev_b64 v[7:8], v7, v[3:4]
	v_sub_u32_e32 v2, 29, v2
	v_and_b32_e32 v4, 7, v7
	v_cndmask_b32_e64 v2, v9, v2, s[6:7]
	v_bfrev_b32_e32 v0, 60
	v_cndmask_b32_e64 v3, v3, v4, s[6:7]
	v_lshlrev_b32_e32 v1, 16, v1
	v_lshl_add_u32 v2, v2, 23, v0
	v_and_or_b32 v1, v1, s46, v2
	v_lshlrev_b32_e32 v2, 20, v3
	v_or_b32_e32 v1, v1, v2
	v_mov_b32_e32 v0, v61
	buffer_store_dword v0, off, s[48:51], 0 offset:188 ; 4-byte Folded Spill
	s_nop 0
	buffer_store_dword v1, off, s[48:51], 0 offset:192 ; 4-byte Folded Spill
.LBB214_151:                            ;   in Loop: Header=BB214_9 Depth=1
	s_or_b64 exec, exec, s[38:39]
.LBB214_152:                            ;   in Loop: Header=BB214_9 Depth=1
	s_or_b64 exec, exec, s[36:37]
.LBB214_153:                            ;   in Loop: Header=BB214_9 Depth=1
	s_or_b64 exec, exec, s[16:17]
	global_load_ushort v2, v[17:18], off offset:1536
	s_waitcnt vmcnt(0)
	v_and_b32_e32 v1, 0xffff, v2
	v_cmp_ne_u16_sdwa s[6:7], v2, v61 src0_sel:BYTE_0 src1_sel:DWORD
	v_mov_b32_e32 v2, 0
	v_mov_b32_e32 v3, 0
	buffer_store_dword v2, off, s[48:51], 0 offset:204 ; 4-byte Folded Spill
	s_nop 0
	buffer_store_dword v3, off, s[48:51], 0 offset:208 ; 4-byte Folded Spill
	v_mov_b32_e32 v2, 0
	v_mov_b32_e32 v3, 0
	buffer_store_dword v2, off, s[48:51], 0 offset:196 ; 4-byte Folded Spill
	s_nop 0
	buffer_store_dword v3, off, s[48:51], 0 offset:200 ; 4-byte Folded Spill
	s_and_saveexec_b64 s[16:17], s[6:7]
	s_cbranch_execz .LBB214_159
; %bb.154:                              ;   in Loop: Header=BB214_9 Depth=1
	v_bfrev_b32_e32 v2, 1
	v_mov_b32_e32 v3, 0
	v_cmp_ne_u16_sdwa s[6:7], v1, s44 src0_sel:BYTE_0 src1_sel:DWORD
	buffer_store_dword v2, off, s[48:51], 0 offset:196 ; 4-byte Folded Spill
	s_nop 0
	buffer_store_dword v3, off, s[48:51], 0 offset:200 ; 4-byte Folded Spill
	s_and_saveexec_b64 s[36:37], s[6:7]
	s_cbranch_execz .LBB214_158
; %bb.155:                              ;   in Loop: Header=BB214_9 Depth=1
	v_and_b32_e32 v2, 0x7f, v1
	v_mov_b32_e32 v3, 0x7f800001
	v_mov_b32_e32 v4, 0
	v_cmp_ne_u32_e64 s[6:7], s45, v2
	buffer_store_dword v3, off, s[48:51], 0 offset:196 ; 4-byte Folded Spill
	s_nop 0
	buffer_store_dword v4, off, s[48:51], 0 offset:200 ; 4-byte Folded Spill
	s_and_saveexec_b64 s[38:39], s[6:7]
	s_cbranch_execz .LBB214_157
; %bb.156:                              ;   in Loop: Header=BB214_9 Depth=1
	v_and_b32_e32 v4, 7, v1
	v_lshrrev_b32_e32 v7, 3, v2
	v_cmp_gt_u32_e64 s[6:7], 8, v2
	v_ffbh_u32_e32 v2, v4
	v_min_u32_e32 v8, 32, v2
	v_subrev_u32_e32 v2, 28, v8
	v_lshlrev_b64 v[2:3], v2, v[1:2]
	v_sub_u32_e32 v3, 29, v8
	v_and_b32_e32 v2, 7, v2
	v_cndmask_b32_e64 v3, v7, v3, s[6:7]
	v_cndmask_b32_e64 v2, v4, v2, s[6:7]
	v_bfrev_b32_e32 v0, 60
	v_lshlrev_b32_e32 v2, 20, v2
	v_and_b32_sdwa v4, sext(v1), s46 dst_sel:DWORD dst_unused:UNUSED_PAD src0_sel:BYTE_0 src1_sel:DWORD
	v_lshl_add_u32 v3, v3, 23, v0
	v_or3_b32 v2, v4, v3, v2
	v_mov_b32_e32 v3, v61
	buffer_store_dword v2, off, s[48:51], 0 offset:196 ; 4-byte Folded Spill
	s_nop 0
	buffer_store_dword v3, off, s[48:51], 0 offset:200 ; 4-byte Folded Spill
.LBB214_157:                            ;   in Loop: Header=BB214_9 Depth=1
	s_or_b64 exec, exec, s[38:39]
.LBB214_158:                            ;   in Loop: Header=BB214_9 Depth=1
	s_or_b64 exec, exec, s[36:37]
.LBB214_159:                            ;   in Loop: Header=BB214_9 Depth=1
	s_or_b64 exec, exec, s[16:17]
	v_cmp_ne_u16_sdwa s[6:7], v1, v61 src0_sel:BYTE_1 src1_sel:DWORD
	s_and_saveexec_b64 s[16:17], s[6:7]
	s_cbranch_execz .LBB214_165
; %bb.160:                              ;   in Loop: Header=BB214_9 Depth=1
	v_cmp_ne_u16_sdwa s[6:7], v1, s44 src0_sel:BYTE_1 src1_sel:DWORD
	buffer_store_dword v61, off, s[48:51], 0 offset:204 ; 4-byte Folded Spill
	s_nop 0
	buffer_store_dword v62, off, s[48:51], 0 offset:208 ; 4-byte Folded Spill
	s_and_saveexec_b64 s[36:37], s[6:7]
	s_cbranch_execz .LBB214_164
; %bb.161:                              ;   in Loop: Header=BB214_9 Depth=1
	buffer_load_dword v3, off, s[48:51], 0  ; 4-byte Folded Reload
	buffer_load_dword v4, off, s[48:51], 0 offset:4 ; 4-byte Folded Reload
	v_and_b32_sdwa v2, v1, s45 dst_sel:DWORD dst_unused:UNUSED_PAD src0_sel:BYTE_1 src1_sel:DWORD
	v_cmp_ne_u32_e64 s[6:7], s45, v2
	s_waitcnt vmcnt(1)
	v_mov_b32_e32 v3, v61
	s_waitcnt vmcnt(0)
	v_mov_b32_e32 v5, v4
	buffer_store_dword v4, off, s[48:51], 0 ; 4-byte Folded Spill
	s_nop 0
	buffer_store_dword v5, off, s[48:51], 0 offset:4 ; 4-byte Folded Spill
	buffer_store_dword v3, off, s[48:51], 0 offset:204 ; 4-byte Folded Spill
	s_nop 0
	buffer_store_dword v4, off, s[48:51], 0 offset:208 ; 4-byte Folded Spill
	s_and_saveexec_b64 s[38:39], s[6:7]
	s_cbranch_execz .LBB214_163
; %bb.162:                              ;   in Loop: Header=BB214_9 Depth=1
	v_mov_b32_e32 v0, 7
	v_and_b32_sdwa v3, v1, v0 dst_sel:DWORD dst_unused:UNUSED_PAD src0_sel:BYTE_1 src1_sel:DWORD
	v_lshrrev_b32_e32 v9, 3, v2
	v_cmp_gt_u32_e64 s[6:7], 8, v2
	v_ffbh_u32_e32 v2, v3
	v_min_u32_e32 v2, 32, v2
	v_mov_b32_e32 v4, v61
	v_subrev_u32_e32 v7, 28, v2
	v_lshlrev_b64 v[7:8], v7, v[3:4]
	v_sub_u32_e32 v2, 29, v2
	v_and_b32_e32 v4, 7, v7
	v_cndmask_b32_e64 v2, v9, v2, s[6:7]
	v_bfrev_b32_e32 v0, 60
	v_cndmask_b32_e64 v3, v3, v4, s[6:7]
	v_lshlrev_b32_e32 v1, 16, v1
	v_lshl_add_u32 v2, v2, 23, v0
	v_and_or_b32 v1, v1, s46, v2
	v_lshlrev_b32_e32 v2, 20, v3
	v_or_b32_e32 v1, v1, v2
	v_mov_b32_e32 v0, v61
	buffer_store_dword v0, off, s[48:51], 0 offset:204 ; 4-byte Folded Spill
	s_nop 0
	buffer_store_dword v1, off, s[48:51], 0 offset:208 ; 4-byte Folded Spill
.LBB214_163:                            ;   in Loop: Header=BB214_9 Depth=1
	s_or_b64 exec, exec, s[38:39]
.LBB214_164:                            ;   in Loop: Header=BB214_9 Depth=1
	s_or_b64 exec, exec, s[36:37]
.LBB214_165:                            ;   in Loop: Header=BB214_9 Depth=1
	s_or_b64 exec, exec, s[16:17]
	global_load_ushort v2, v[17:18], off offset:1540
	s_waitcnt vmcnt(0)
	v_and_b32_e32 v1, 0xffff, v2
	v_cmp_ne_u16_sdwa s[6:7], v2, v61 src0_sel:BYTE_0 src1_sel:DWORD
	v_mov_b32_e32 v2, 0
	v_mov_b32_e32 v3, 0
	buffer_store_dword v2, off, s[48:51], 0 offset:220 ; 4-byte Folded Spill
	s_nop 0
	buffer_store_dword v3, off, s[48:51], 0 offset:224 ; 4-byte Folded Spill
	v_mov_b32_e32 v2, 0
	v_mov_b32_e32 v3, 0
	buffer_store_dword v2, off, s[48:51], 0 offset:212 ; 4-byte Folded Spill
	s_nop 0
	buffer_store_dword v3, off, s[48:51], 0 offset:216 ; 4-byte Folded Spill
	s_and_saveexec_b64 s[16:17], s[6:7]
	s_cbranch_execz .LBB214_171
; %bb.166:                              ;   in Loop: Header=BB214_9 Depth=1
	v_bfrev_b32_e32 v2, 1
	v_mov_b32_e32 v3, 0
	v_cmp_ne_u16_sdwa s[6:7], v1, s44 src0_sel:BYTE_0 src1_sel:DWORD
	buffer_store_dword v2, off, s[48:51], 0 offset:212 ; 4-byte Folded Spill
	s_nop 0
	buffer_store_dword v3, off, s[48:51], 0 offset:216 ; 4-byte Folded Spill
	s_and_saveexec_b64 s[36:37], s[6:7]
	s_cbranch_execz .LBB214_170
; %bb.167:                              ;   in Loop: Header=BB214_9 Depth=1
	v_and_b32_e32 v2, 0x7f, v1
	v_mov_b32_e32 v3, 0x7f800001
	v_mov_b32_e32 v4, 0
	v_cmp_ne_u32_e64 s[6:7], s45, v2
	buffer_store_dword v3, off, s[48:51], 0 offset:212 ; 4-byte Folded Spill
	s_nop 0
	buffer_store_dword v4, off, s[48:51], 0 offset:216 ; 4-byte Folded Spill
	s_and_saveexec_b64 s[38:39], s[6:7]
	s_cbranch_execz .LBB214_169
; %bb.168:                              ;   in Loop: Header=BB214_9 Depth=1
	v_and_b32_e32 v4, 7, v1
	v_lshrrev_b32_e32 v7, 3, v2
	v_cmp_gt_u32_e64 s[6:7], 8, v2
	v_ffbh_u32_e32 v2, v4
	v_min_u32_e32 v8, 32, v2
	v_subrev_u32_e32 v2, 28, v8
	v_lshlrev_b64 v[2:3], v2, v[1:2]
	v_sub_u32_e32 v3, 29, v8
	v_and_b32_e32 v2, 7, v2
	v_cndmask_b32_e64 v3, v7, v3, s[6:7]
	v_cndmask_b32_e64 v2, v4, v2, s[6:7]
	v_bfrev_b32_e32 v0, 60
	v_lshlrev_b32_e32 v2, 20, v2
	v_and_b32_sdwa v4, sext(v1), s46 dst_sel:DWORD dst_unused:UNUSED_PAD src0_sel:BYTE_0 src1_sel:DWORD
	v_lshl_add_u32 v3, v3, 23, v0
	v_or3_b32 v2, v4, v3, v2
	v_mov_b32_e32 v3, v61
	buffer_store_dword v2, off, s[48:51], 0 offset:212 ; 4-byte Folded Spill
	s_nop 0
	buffer_store_dword v3, off, s[48:51], 0 offset:216 ; 4-byte Folded Spill
.LBB214_169:                            ;   in Loop: Header=BB214_9 Depth=1
	s_or_b64 exec, exec, s[38:39]
.LBB214_170:                            ;   in Loop: Header=BB214_9 Depth=1
	s_or_b64 exec, exec, s[36:37]
.LBB214_171:                            ;   in Loop: Header=BB214_9 Depth=1
	s_or_b64 exec, exec, s[16:17]
	v_cmp_ne_u16_sdwa s[6:7], v1, v61 src0_sel:BYTE_1 src1_sel:DWORD
	s_and_saveexec_b64 s[16:17], s[6:7]
	s_cbranch_execz .LBB214_177
; %bb.172:                              ;   in Loop: Header=BB214_9 Depth=1
	v_cmp_ne_u16_sdwa s[6:7], v1, s44 src0_sel:BYTE_1 src1_sel:DWORD
	buffer_store_dword v61, off, s[48:51], 0 offset:220 ; 4-byte Folded Spill
	s_nop 0
	buffer_store_dword v62, off, s[48:51], 0 offset:224 ; 4-byte Folded Spill
	s_and_saveexec_b64 s[36:37], s[6:7]
	s_cbranch_execz .LBB214_176
; %bb.173:                              ;   in Loop: Header=BB214_9 Depth=1
	buffer_load_dword v3, off, s[48:51], 0  ; 4-byte Folded Reload
	buffer_load_dword v4, off, s[48:51], 0 offset:4 ; 4-byte Folded Reload
	v_and_b32_sdwa v2, v1, s45 dst_sel:DWORD dst_unused:UNUSED_PAD src0_sel:BYTE_1 src1_sel:DWORD
	v_cmp_ne_u32_e64 s[6:7], s45, v2
	s_waitcnt vmcnt(1)
	v_mov_b32_e32 v3, v61
	s_waitcnt vmcnt(0)
	v_mov_b32_e32 v5, v4
	buffer_store_dword v4, off, s[48:51], 0 ; 4-byte Folded Spill
	s_nop 0
	buffer_store_dword v5, off, s[48:51], 0 offset:4 ; 4-byte Folded Spill
	buffer_store_dword v3, off, s[48:51], 0 offset:220 ; 4-byte Folded Spill
	s_nop 0
	buffer_store_dword v4, off, s[48:51], 0 offset:224 ; 4-byte Folded Spill
	s_and_saveexec_b64 s[38:39], s[6:7]
	s_cbranch_execz .LBB214_175
; %bb.174:                              ;   in Loop: Header=BB214_9 Depth=1
	v_mov_b32_e32 v0, 7
	v_and_b32_sdwa v3, v1, v0 dst_sel:DWORD dst_unused:UNUSED_PAD src0_sel:BYTE_1 src1_sel:DWORD
	v_lshrrev_b32_e32 v9, 3, v2
	v_cmp_gt_u32_e64 s[6:7], 8, v2
	v_ffbh_u32_e32 v2, v3
	v_min_u32_e32 v2, 32, v2
	v_mov_b32_e32 v4, v61
	v_subrev_u32_e32 v7, 28, v2
	v_lshlrev_b64 v[7:8], v7, v[3:4]
	v_sub_u32_e32 v2, 29, v2
	v_and_b32_e32 v4, 7, v7
	v_cndmask_b32_e64 v2, v9, v2, s[6:7]
	v_bfrev_b32_e32 v0, 60
	v_cndmask_b32_e64 v3, v3, v4, s[6:7]
	v_lshlrev_b32_e32 v1, 16, v1
	v_lshl_add_u32 v2, v2, 23, v0
	v_and_or_b32 v1, v1, s46, v2
	v_lshlrev_b32_e32 v2, 20, v3
	v_or_b32_e32 v1, v1, v2
	v_mov_b32_e32 v0, v61
	buffer_store_dword v0, off, s[48:51], 0 offset:220 ; 4-byte Folded Spill
	s_nop 0
	buffer_store_dword v1, off, s[48:51], 0 offset:224 ; 4-byte Folded Spill
.LBB214_175:                            ;   in Loop: Header=BB214_9 Depth=1
	s_or_b64 exec, exec, s[38:39]
.LBB214_176:                            ;   in Loop: Header=BB214_9 Depth=1
	s_or_b64 exec, exec, s[36:37]
.LBB214_177:                            ;   in Loop: Header=BB214_9 Depth=1
	s_or_b64 exec, exec, s[16:17]
	global_load_ushort v2, v[17:18], off offset:1544
	s_waitcnt vmcnt(0)
	v_and_b32_e32 v1, 0xffff, v2
	v_cmp_ne_u16_sdwa s[6:7], v2, v61 src0_sel:BYTE_0 src1_sel:DWORD
	v_mov_b32_e32 v2, 0
	v_mov_b32_e32 v3, 0
	buffer_store_dword v2, off, s[48:51], 0 offset:236 ; 4-byte Folded Spill
	s_nop 0
	buffer_store_dword v3, off, s[48:51], 0 offset:240 ; 4-byte Folded Spill
	v_mov_b32_e32 v2, 0
	v_mov_b32_e32 v3, 0
	buffer_store_dword v2, off, s[48:51], 0 offset:228 ; 4-byte Folded Spill
	s_nop 0
	buffer_store_dword v3, off, s[48:51], 0 offset:232 ; 4-byte Folded Spill
	s_and_saveexec_b64 s[16:17], s[6:7]
	s_cbranch_execz .LBB214_183
; %bb.178:                              ;   in Loop: Header=BB214_9 Depth=1
	v_bfrev_b32_e32 v2, 1
	v_mov_b32_e32 v3, 0
	v_cmp_ne_u16_sdwa s[6:7], v1, s44 src0_sel:BYTE_0 src1_sel:DWORD
	buffer_store_dword v2, off, s[48:51], 0 offset:228 ; 4-byte Folded Spill
	s_nop 0
	buffer_store_dword v3, off, s[48:51], 0 offset:232 ; 4-byte Folded Spill
	s_and_saveexec_b64 s[36:37], s[6:7]
	s_cbranch_execz .LBB214_182
; %bb.179:                              ;   in Loop: Header=BB214_9 Depth=1
	v_and_b32_e32 v2, 0x7f, v1
	v_mov_b32_e32 v3, 0x7f800001
	v_mov_b32_e32 v4, 0
	v_cmp_ne_u32_e64 s[6:7], s45, v2
	buffer_store_dword v3, off, s[48:51], 0 offset:228 ; 4-byte Folded Spill
	s_nop 0
	buffer_store_dword v4, off, s[48:51], 0 offset:232 ; 4-byte Folded Spill
	s_and_saveexec_b64 s[38:39], s[6:7]
	s_cbranch_execz .LBB214_181
; %bb.180:                              ;   in Loop: Header=BB214_9 Depth=1
	v_and_b32_e32 v4, 7, v1
	v_lshrrev_b32_e32 v7, 3, v2
	v_cmp_gt_u32_e64 s[6:7], 8, v2
	v_ffbh_u32_e32 v2, v4
	v_min_u32_e32 v8, 32, v2
	v_subrev_u32_e32 v2, 28, v8
	v_lshlrev_b64 v[2:3], v2, v[1:2]
	v_sub_u32_e32 v3, 29, v8
	v_and_b32_e32 v2, 7, v2
	v_cndmask_b32_e64 v3, v7, v3, s[6:7]
	v_cndmask_b32_e64 v2, v4, v2, s[6:7]
	v_bfrev_b32_e32 v0, 60
	v_lshlrev_b32_e32 v2, 20, v2
	v_and_b32_sdwa v4, sext(v1), s46 dst_sel:DWORD dst_unused:UNUSED_PAD src0_sel:BYTE_0 src1_sel:DWORD
	v_lshl_add_u32 v3, v3, 23, v0
	v_or3_b32 v2, v4, v3, v2
	v_mov_b32_e32 v3, v61
	buffer_store_dword v2, off, s[48:51], 0 offset:228 ; 4-byte Folded Spill
	s_nop 0
	buffer_store_dword v3, off, s[48:51], 0 offset:232 ; 4-byte Folded Spill
.LBB214_181:                            ;   in Loop: Header=BB214_9 Depth=1
	s_or_b64 exec, exec, s[38:39]
.LBB214_182:                            ;   in Loop: Header=BB214_9 Depth=1
	s_or_b64 exec, exec, s[36:37]
.LBB214_183:                            ;   in Loop: Header=BB214_9 Depth=1
	s_or_b64 exec, exec, s[16:17]
	v_cmp_ne_u16_sdwa s[6:7], v1, v61 src0_sel:BYTE_1 src1_sel:DWORD
	s_and_saveexec_b64 s[16:17], s[6:7]
	s_cbranch_execz .LBB214_189
; %bb.184:                              ;   in Loop: Header=BB214_9 Depth=1
	v_cmp_ne_u16_sdwa s[6:7], v1, s44 src0_sel:BYTE_1 src1_sel:DWORD
	buffer_store_dword v61, off, s[48:51], 0 offset:236 ; 4-byte Folded Spill
	s_nop 0
	buffer_store_dword v62, off, s[48:51], 0 offset:240 ; 4-byte Folded Spill
	s_and_saveexec_b64 s[36:37], s[6:7]
	s_cbranch_execz .LBB214_188
; %bb.185:                              ;   in Loop: Header=BB214_9 Depth=1
	buffer_load_dword v3, off, s[48:51], 0  ; 4-byte Folded Reload
	buffer_load_dword v4, off, s[48:51], 0 offset:4 ; 4-byte Folded Reload
	v_and_b32_sdwa v2, v1, s45 dst_sel:DWORD dst_unused:UNUSED_PAD src0_sel:BYTE_1 src1_sel:DWORD
	v_cmp_ne_u32_e64 s[6:7], s45, v2
	s_waitcnt vmcnt(1)
	v_mov_b32_e32 v3, v61
	s_waitcnt vmcnt(0)
	v_mov_b32_e32 v5, v4
	buffer_store_dword v4, off, s[48:51], 0 ; 4-byte Folded Spill
	s_nop 0
	buffer_store_dword v5, off, s[48:51], 0 offset:4 ; 4-byte Folded Spill
	buffer_store_dword v3, off, s[48:51], 0 offset:236 ; 4-byte Folded Spill
	s_nop 0
	buffer_store_dword v4, off, s[48:51], 0 offset:240 ; 4-byte Folded Spill
	s_and_saveexec_b64 s[38:39], s[6:7]
	s_cbranch_execz .LBB214_187
; %bb.186:                              ;   in Loop: Header=BB214_9 Depth=1
	v_mov_b32_e32 v0, 7
	v_and_b32_sdwa v3, v1, v0 dst_sel:DWORD dst_unused:UNUSED_PAD src0_sel:BYTE_1 src1_sel:DWORD
	v_lshrrev_b32_e32 v9, 3, v2
	v_cmp_gt_u32_e64 s[6:7], 8, v2
	v_ffbh_u32_e32 v2, v3
	v_min_u32_e32 v2, 32, v2
	v_mov_b32_e32 v4, v61
	v_subrev_u32_e32 v7, 28, v2
	v_lshlrev_b64 v[7:8], v7, v[3:4]
	v_sub_u32_e32 v2, 29, v2
	v_and_b32_e32 v4, 7, v7
	v_cndmask_b32_e64 v2, v9, v2, s[6:7]
	v_bfrev_b32_e32 v0, 60
	v_cndmask_b32_e64 v3, v3, v4, s[6:7]
	v_lshlrev_b32_e32 v1, 16, v1
	v_lshl_add_u32 v2, v2, 23, v0
	v_and_or_b32 v1, v1, s46, v2
	v_lshlrev_b32_e32 v2, 20, v3
	v_or_b32_e32 v1, v1, v2
	v_mov_b32_e32 v0, v61
	buffer_store_dword v0, off, s[48:51], 0 offset:236 ; 4-byte Folded Spill
	s_nop 0
	buffer_store_dword v1, off, s[48:51], 0 offset:240 ; 4-byte Folded Spill
.LBB214_187:                            ;   in Loop: Header=BB214_9 Depth=1
	s_or_b64 exec, exec, s[38:39]
.LBB214_188:                            ;   in Loop: Header=BB214_9 Depth=1
	s_or_b64 exec, exec, s[36:37]
.LBB214_189:                            ;   in Loop: Header=BB214_9 Depth=1
	s_or_b64 exec, exec, s[16:17]
	global_load_ushort v2, v[17:18], off offset:1548
	s_waitcnt vmcnt(0)
	v_and_b32_e32 v1, 0xffff, v2
	v_cmp_ne_u16_sdwa s[6:7], v2, v61 src0_sel:BYTE_0 src1_sel:DWORD
	v_mov_b32_e32 v2, 0
	v_mov_b32_e32 v3, 0
	buffer_store_dword v2, off, s[48:51], 0 offset:252 ; 4-byte Folded Spill
	s_nop 0
	buffer_store_dword v3, off, s[48:51], 0 offset:256 ; 4-byte Folded Spill
	v_mov_b32_e32 v2, 0
	v_mov_b32_e32 v3, 0
	buffer_store_dword v2, off, s[48:51], 0 offset:244 ; 4-byte Folded Spill
	s_nop 0
	buffer_store_dword v3, off, s[48:51], 0 offset:248 ; 4-byte Folded Spill
	s_and_saveexec_b64 s[16:17], s[6:7]
	s_cbranch_execz .LBB214_195
; %bb.190:                              ;   in Loop: Header=BB214_9 Depth=1
	v_bfrev_b32_e32 v2, 1
	v_mov_b32_e32 v3, 0
	v_cmp_ne_u16_sdwa s[6:7], v1, s44 src0_sel:BYTE_0 src1_sel:DWORD
	buffer_store_dword v2, off, s[48:51], 0 offset:244 ; 4-byte Folded Spill
	s_nop 0
	buffer_store_dword v3, off, s[48:51], 0 offset:248 ; 4-byte Folded Spill
	s_and_saveexec_b64 s[36:37], s[6:7]
	s_cbranch_execz .LBB214_194
; %bb.191:                              ;   in Loop: Header=BB214_9 Depth=1
	v_and_b32_e32 v2, 0x7f, v1
	v_mov_b32_e32 v3, 0x7f800001
	v_mov_b32_e32 v4, 0
	v_cmp_ne_u32_e64 s[6:7], s45, v2
	buffer_store_dword v3, off, s[48:51], 0 offset:244 ; 4-byte Folded Spill
	s_nop 0
	buffer_store_dword v4, off, s[48:51], 0 offset:248 ; 4-byte Folded Spill
	s_and_saveexec_b64 s[38:39], s[6:7]
	s_cbranch_execz .LBB214_193
; %bb.192:                              ;   in Loop: Header=BB214_9 Depth=1
	v_and_b32_e32 v4, 7, v1
	v_lshrrev_b32_e32 v7, 3, v2
	v_cmp_gt_u32_e64 s[6:7], 8, v2
	v_ffbh_u32_e32 v2, v4
	v_min_u32_e32 v8, 32, v2
	v_subrev_u32_e32 v2, 28, v8
	v_lshlrev_b64 v[2:3], v2, v[1:2]
	v_sub_u32_e32 v3, 29, v8
	v_and_b32_e32 v2, 7, v2
	v_cndmask_b32_e64 v3, v7, v3, s[6:7]
	v_cndmask_b32_e64 v2, v4, v2, s[6:7]
	v_bfrev_b32_e32 v0, 60
	v_lshlrev_b32_e32 v2, 20, v2
	v_and_b32_sdwa v4, sext(v1), s46 dst_sel:DWORD dst_unused:UNUSED_PAD src0_sel:BYTE_0 src1_sel:DWORD
	v_lshl_add_u32 v3, v3, 23, v0
	v_or3_b32 v2, v4, v3, v2
	v_mov_b32_e32 v3, v61
	buffer_store_dword v2, off, s[48:51], 0 offset:244 ; 4-byte Folded Spill
	s_nop 0
	buffer_store_dword v3, off, s[48:51], 0 offset:248 ; 4-byte Folded Spill
.LBB214_193:                            ;   in Loop: Header=BB214_9 Depth=1
	s_or_b64 exec, exec, s[38:39]
.LBB214_194:                            ;   in Loop: Header=BB214_9 Depth=1
	s_or_b64 exec, exec, s[36:37]
.LBB214_195:                            ;   in Loop: Header=BB214_9 Depth=1
	s_or_b64 exec, exec, s[16:17]
	v_cmp_ne_u16_sdwa s[6:7], v1, v61 src0_sel:BYTE_1 src1_sel:DWORD
	s_and_saveexec_b64 s[16:17], s[6:7]
	s_cbranch_execz .LBB214_201
; %bb.196:                              ;   in Loop: Header=BB214_9 Depth=1
	v_cmp_ne_u16_sdwa s[6:7], v1, s44 src0_sel:BYTE_1 src1_sel:DWORD
	buffer_store_dword v61, off, s[48:51], 0 offset:252 ; 4-byte Folded Spill
	s_nop 0
	buffer_store_dword v62, off, s[48:51], 0 offset:256 ; 4-byte Folded Spill
	s_and_saveexec_b64 s[36:37], s[6:7]
	s_cbranch_execz .LBB214_200
; %bb.197:                              ;   in Loop: Header=BB214_9 Depth=1
	buffer_load_dword v3, off, s[48:51], 0  ; 4-byte Folded Reload
	buffer_load_dword v4, off, s[48:51], 0 offset:4 ; 4-byte Folded Reload
	v_and_b32_sdwa v2, v1, s45 dst_sel:DWORD dst_unused:UNUSED_PAD src0_sel:BYTE_1 src1_sel:DWORD
	v_cmp_ne_u32_e64 s[6:7], s45, v2
	s_waitcnt vmcnt(1)
	v_mov_b32_e32 v3, v61
	s_waitcnt vmcnt(0)
	v_mov_b32_e32 v5, v4
	buffer_store_dword v4, off, s[48:51], 0 ; 4-byte Folded Spill
	s_nop 0
	buffer_store_dword v5, off, s[48:51], 0 offset:4 ; 4-byte Folded Spill
	buffer_store_dword v3, off, s[48:51], 0 offset:252 ; 4-byte Folded Spill
	s_nop 0
	buffer_store_dword v4, off, s[48:51], 0 offset:256 ; 4-byte Folded Spill
	s_and_saveexec_b64 s[38:39], s[6:7]
	s_cbranch_execz .LBB214_199
; %bb.198:                              ;   in Loop: Header=BB214_9 Depth=1
	v_mov_b32_e32 v0, 7
	v_and_b32_sdwa v3, v1, v0 dst_sel:DWORD dst_unused:UNUSED_PAD src0_sel:BYTE_1 src1_sel:DWORD
	v_lshrrev_b32_e32 v9, 3, v2
	v_cmp_gt_u32_e64 s[6:7], 8, v2
	v_ffbh_u32_e32 v2, v3
	v_min_u32_e32 v2, 32, v2
	v_mov_b32_e32 v4, v61
	v_subrev_u32_e32 v7, 28, v2
	v_lshlrev_b64 v[7:8], v7, v[3:4]
	v_sub_u32_e32 v2, 29, v2
	v_and_b32_e32 v4, 7, v7
	v_cndmask_b32_e64 v2, v9, v2, s[6:7]
	v_bfrev_b32_e32 v0, 60
	v_cndmask_b32_e64 v3, v3, v4, s[6:7]
	v_lshlrev_b32_e32 v1, 16, v1
	v_lshl_add_u32 v2, v2, 23, v0
	v_and_or_b32 v1, v1, s46, v2
	v_lshlrev_b32_e32 v2, 20, v3
	v_or_b32_e32 v1, v1, v2
	v_mov_b32_e32 v0, v61
	buffer_store_dword v0, off, s[48:51], 0 offset:252 ; 4-byte Folded Spill
	s_nop 0
	buffer_store_dword v1, off, s[48:51], 0 offset:256 ; 4-byte Folded Spill
.LBB214_199:                            ;   in Loop: Header=BB214_9 Depth=1
	s_or_b64 exec, exec, s[38:39]
.LBB214_200:                            ;   in Loop: Header=BB214_9 Depth=1
	s_or_b64 exec, exec, s[36:37]
.LBB214_201:                            ;   in Loop: Header=BB214_9 Depth=1
	s_or_b64 exec, exec, s[16:17]
	global_load_ushort v2, v[17:18], off offset:2048
	s_waitcnt vmcnt(0)
	v_and_b32_e32 v1, 0xffff, v2
	v_cmp_ne_u16_sdwa s[6:7], v2, v61 src0_sel:BYTE_0 src1_sel:DWORD
	v_mov_b32_e32 v2, 0
	v_mov_b32_e32 v3, 0
	buffer_store_dword v2, off, s[48:51], 0 offset:268 ; 4-byte Folded Spill
	s_nop 0
	buffer_store_dword v3, off, s[48:51], 0 offset:272 ; 4-byte Folded Spill
	v_mov_b32_e32 v2, 0
	v_mov_b32_e32 v3, 0
	buffer_store_dword v2, off, s[48:51], 0 offset:260 ; 4-byte Folded Spill
	s_nop 0
	buffer_store_dword v3, off, s[48:51], 0 offset:264 ; 4-byte Folded Spill
	s_and_saveexec_b64 s[16:17], s[6:7]
	s_cbranch_execz .LBB214_207
; %bb.202:                              ;   in Loop: Header=BB214_9 Depth=1
	v_bfrev_b32_e32 v2, 1
	v_mov_b32_e32 v3, 0
	v_cmp_ne_u16_sdwa s[6:7], v1, s44 src0_sel:BYTE_0 src1_sel:DWORD
	buffer_store_dword v2, off, s[48:51], 0 offset:260 ; 4-byte Folded Spill
	s_nop 0
	buffer_store_dword v3, off, s[48:51], 0 offset:264 ; 4-byte Folded Spill
	s_and_saveexec_b64 s[36:37], s[6:7]
	s_cbranch_execz .LBB214_206
; %bb.203:                              ;   in Loop: Header=BB214_9 Depth=1
	v_and_b32_e32 v2, 0x7f, v1
	v_mov_b32_e32 v3, 0x7f800001
	v_mov_b32_e32 v4, 0
	v_cmp_ne_u32_e64 s[6:7], s45, v2
	buffer_store_dword v3, off, s[48:51], 0 offset:260 ; 4-byte Folded Spill
	s_nop 0
	buffer_store_dword v4, off, s[48:51], 0 offset:264 ; 4-byte Folded Spill
	s_and_saveexec_b64 s[38:39], s[6:7]
	s_cbranch_execz .LBB214_205
; %bb.204:                              ;   in Loop: Header=BB214_9 Depth=1
	v_and_b32_e32 v4, 7, v1
	v_lshrrev_b32_e32 v7, 3, v2
	v_cmp_gt_u32_e64 s[6:7], 8, v2
	v_ffbh_u32_e32 v2, v4
	v_min_u32_e32 v8, 32, v2
	v_subrev_u32_e32 v2, 28, v8
	v_lshlrev_b64 v[2:3], v2, v[1:2]
	v_sub_u32_e32 v3, 29, v8
	v_and_b32_e32 v2, 7, v2
	v_cndmask_b32_e64 v3, v7, v3, s[6:7]
	v_cndmask_b32_e64 v2, v4, v2, s[6:7]
	v_bfrev_b32_e32 v0, 60
	v_lshlrev_b32_e32 v2, 20, v2
	v_and_b32_sdwa v4, sext(v1), s46 dst_sel:DWORD dst_unused:UNUSED_PAD src0_sel:BYTE_0 src1_sel:DWORD
	v_lshl_add_u32 v3, v3, 23, v0
	v_or3_b32 v2, v4, v3, v2
	v_mov_b32_e32 v3, v61
	buffer_store_dword v2, off, s[48:51], 0 offset:260 ; 4-byte Folded Spill
	s_nop 0
	buffer_store_dword v3, off, s[48:51], 0 offset:264 ; 4-byte Folded Spill
.LBB214_205:                            ;   in Loop: Header=BB214_9 Depth=1
	s_or_b64 exec, exec, s[38:39]
.LBB214_206:                            ;   in Loop: Header=BB214_9 Depth=1
	s_or_b64 exec, exec, s[36:37]
.LBB214_207:                            ;   in Loop: Header=BB214_9 Depth=1
	s_or_b64 exec, exec, s[16:17]
	v_cmp_ne_u16_sdwa s[6:7], v1, v61 src0_sel:BYTE_1 src1_sel:DWORD
	s_and_saveexec_b64 s[16:17], s[6:7]
	s_cbranch_execz .LBB214_213
; %bb.208:                              ;   in Loop: Header=BB214_9 Depth=1
	v_cmp_ne_u16_sdwa s[6:7], v1, s44 src0_sel:BYTE_1 src1_sel:DWORD
	buffer_store_dword v61, off, s[48:51], 0 offset:268 ; 4-byte Folded Spill
	s_nop 0
	buffer_store_dword v62, off, s[48:51], 0 offset:272 ; 4-byte Folded Spill
	s_and_saveexec_b64 s[36:37], s[6:7]
	s_cbranch_execz .LBB214_212
; %bb.209:                              ;   in Loop: Header=BB214_9 Depth=1
	buffer_load_dword v3, off, s[48:51], 0  ; 4-byte Folded Reload
	buffer_load_dword v4, off, s[48:51], 0 offset:4 ; 4-byte Folded Reload
	v_and_b32_sdwa v2, v1, s45 dst_sel:DWORD dst_unused:UNUSED_PAD src0_sel:BYTE_1 src1_sel:DWORD
	v_cmp_ne_u32_e64 s[6:7], s45, v2
	s_waitcnt vmcnt(1)
	v_mov_b32_e32 v3, v61
	s_waitcnt vmcnt(0)
	v_mov_b32_e32 v5, v4
	buffer_store_dword v4, off, s[48:51], 0 ; 4-byte Folded Spill
	s_nop 0
	buffer_store_dword v5, off, s[48:51], 0 offset:4 ; 4-byte Folded Spill
	buffer_store_dword v3, off, s[48:51], 0 offset:268 ; 4-byte Folded Spill
	s_nop 0
	buffer_store_dword v4, off, s[48:51], 0 offset:272 ; 4-byte Folded Spill
	s_and_saveexec_b64 s[38:39], s[6:7]
	s_cbranch_execz .LBB214_211
; %bb.210:                              ;   in Loop: Header=BB214_9 Depth=1
	v_mov_b32_e32 v0, 7
	v_and_b32_sdwa v3, v1, v0 dst_sel:DWORD dst_unused:UNUSED_PAD src0_sel:BYTE_1 src1_sel:DWORD
	v_lshrrev_b32_e32 v9, 3, v2
	v_cmp_gt_u32_e64 s[6:7], 8, v2
	v_ffbh_u32_e32 v2, v3
	v_min_u32_e32 v2, 32, v2
	v_mov_b32_e32 v4, v61
	v_subrev_u32_e32 v7, 28, v2
	v_lshlrev_b64 v[7:8], v7, v[3:4]
	v_sub_u32_e32 v2, 29, v2
	v_and_b32_e32 v4, 7, v7
	v_cndmask_b32_e64 v2, v9, v2, s[6:7]
	v_bfrev_b32_e32 v0, 60
	v_cndmask_b32_e64 v3, v3, v4, s[6:7]
	v_lshlrev_b32_e32 v1, 16, v1
	v_lshl_add_u32 v2, v2, 23, v0
	v_and_or_b32 v1, v1, s46, v2
	v_lshlrev_b32_e32 v2, 20, v3
	v_or_b32_e32 v1, v1, v2
	v_mov_b32_e32 v0, v61
	buffer_store_dword v0, off, s[48:51], 0 offset:268 ; 4-byte Folded Spill
	s_nop 0
	buffer_store_dword v1, off, s[48:51], 0 offset:272 ; 4-byte Folded Spill
.LBB214_211:                            ;   in Loop: Header=BB214_9 Depth=1
	s_or_b64 exec, exec, s[38:39]
.LBB214_212:                            ;   in Loop: Header=BB214_9 Depth=1
	s_or_b64 exec, exec, s[36:37]
.LBB214_213:                            ;   in Loop: Header=BB214_9 Depth=1
	s_or_b64 exec, exec, s[16:17]
	global_load_ushort v2, v[17:18], off offset:2052
	s_waitcnt vmcnt(0)
	v_and_b32_e32 v1, 0xffff, v2
	v_cmp_ne_u16_sdwa s[6:7], v2, v61 src0_sel:BYTE_0 src1_sel:DWORD
	v_mov_b32_e32 v2, 0
	v_mov_b32_e32 v3, 0
	buffer_store_dword v2, off, s[48:51], 0 offset:284 ; 4-byte Folded Spill
	s_nop 0
	buffer_store_dword v3, off, s[48:51], 0 offset:288 ; 4-byte Folded Spill
	v_mov_b32_e32 v2, 0
	v_mov_b32_e32 v3, 0
	buffer_store_dword v2, off, s[48:51], 0 offset:276 ; 4-byte Folded Spill
	s_nop 0
	buffer_store_dword v3, off, s[48:51], 0 offset:280 ; 4-byte Folded Spill
	s_and_saveexec_b64 s[16:17], s[6:7]
	s_cbranch_execz .LBB214_219
; %bb.214:                              ;   in Loop: Header=BB214_9 Depth=1
	v_bfrev_b32_e32 v2, 1
	v_mov_b32_e32 v3, 0
	v_cmp_ne_u16_sdwa s[6:7], v1, s44 src0_sel:BYTE_0 src1_sel:DWORD
	buffer_store_dword v2, off, s[48:51], 0 offset:276 ; 4-byte Folded Spill
	s_nop 0
	buffer_store_dword v3, off, s[48:51], 0 offset:280 ; 4-byte Folded Spill
	s_and_saveexec_b64 s[36:37], s[6:7]
	s_cbranch_execz .LBB214_218
; %bb.215:                              ;   in Loop: Header=BB214_9 Depth=1
	v_and_b32_e32 v2, 0x7f, v1
	v_mov_b32_e32 v3, 0x7f800001
	v_mov_b32_e32 v4, 0
	v_cmp_ne_u32_e64 s[6:7], s45, v2
	buffer_store_dword v3, off, s[48:51], 0 offset:276 ; 4-byte Folded Spill
	s_nop 0
	buffer_store_dword v4, off, s[48:51], 0 offset:280 ; 4-byte Folded Spill
	s_and_saveexec_b64 s[38:39], s[6:7]
	s_cbranch_execz .LBB214_217
; %bb.216:                              ;   in Loop: Header=BB214_9 Depth=1
	v_and_b32_e32 v4, 7, v1
	v_lshrrev_b32_e32 v7, 3, v2
	v_cmp_gt_u32_e64 s[6:7], 8, v2
	v_ffbh_u32_e32 v2, v4
	v_min_u32_e32 v8, 32, v2
	v_subrev_u32_e32 v2, 28, v8
	v_lshlrev_b64 v[2:3], v2, v[1:2]
	v_sub_u32_e32 v3, 29, v8
	v_and_b32_e32 v2, 7, v2
	v_cndmask_b32_e64 v3, v7, v3, s[6:7]
	v_cndmask_b32_e64 v2, v4, v2, s[6:7]
	v_bfrev_b32_e32 v0, 60
	v_lshlrev_b32_e32 v2, 20, v2
	v_and_b32_sdwa v4, sext(v1), s46 dst_sel:DWORD dst_unused:UNUSED_PAD src0_sel:BYTE_0 src1_sel:DWORD
	v_lshl_add_u32 v3, v3, 23, v0
	v_or3_b32 v2, v4, v3, v2
	v_mov_b32_e32 v3, v61
	buffer_store_dword v2, off, s[48:51], 0 offset:276 ; 4-byte Folded Spill
	s_nop 0
	buffer_store_dword v3, off, s[48:51], 0 offset:280 ; 4-byte Folded Spill
.LBB214_217:                            ;   in Loop: Header=BB214_9 Depth=1
	s_or_b64 exec, exec, s[38:39]
.LBB214_218:                            ;   in Loop: Header=BB214_9 Depth=1
	s_or_b64 exec, exec, s[36:37]
.LBB214_219:                            ;   in Loop: Header=BB214_9 Depth=1
	s_or_b64 exec, exec, s[16:17]
	v_cmp_ne_u16_sdwa s[6:7], v1, v61 src0_sel:BYTE_1 src1_sel:DWORD
	s_and_saveexec_b64 s[16:17], s[6:7]
	s_cbranch_execz .LBB214_225
; %bb.220:                              ;   in Loop: Header=BB214_9 Depth=1
	v_cmp_ne_u16_sdwa s[6:7], v1, s44 src0_sel:BYTE_1 src1_sel:DWORD
	buffer_store_dword v61, off, s[48:51], 0 offset:284 ; 4-byte Folded Spill
	s_nop 0
	buffer_store_dword v62, off, s[48:51], 0 offset:288 ; 4-byte Folded Spill
	s_and_saveexec_b64 s[36:37], s[6:7]
	s_cbranch_execz .LBB214_224
; %bb.221:                              ;   in Loop: Header=BB214_9 Depth=1
	buffer_load_dword v3, off, s[48:51], 0  ; 4-byte Folded Reload
	buffer_load_dword v4, off, s[48:51], 0 offset:4 ; 4-byte Folded Reload
	v_and_b32_sdwa v2, v1, s45 dst_sel:DWORD dst_unused:UNUSED_PAD src0_sel:BYTE_1 src1_sel:DWORD
	v_cmp_ne_u32_e64 s[6:7], s45, v2
	s_waitcnt vmcnt(1)
	v_mov_b32_e32 v3, v61
	s_waitcnt vmcnt(0)
	v_mov_b32_e32 v5, v4
	buffer_store_dword v4, off, s[48:51], 0 ; 4-byte Folded Spill
	s_nop 0
	buffer_store_dword v5, off, s[48:51], 0 offset:4 ; 4-byte Folded Spill
	buffer_store_dword v3, off, s[48:51], 0 offset:284 ; 4-byte Folded Spill
	s_nop 0
	buffer_store_dword v4, off, s[48:51], 0 offset:288 ; 4-byte Folded Spill
	s_and_saveexec_b64 s[38:39], s[6:7]
	s_cbranch_execz .LBB214_223
; %bb.222:                              ;   in Loop: Header=BB214_9 Depth=1
	v_mov_b32_e32 v0, 7
	v_and_b32_sdwa v3, v1, v0 dst_sel:DWORD dst_unused:UNUSED_PAD src0_sel:BYTE_1 src1_sel:DWORD
	v_lshrrev_b32_e32 v9, 3, v2
	v_cmp_gt_u32_e64 s[6:7], 8, v2
	v_ffbh_u32_e32 v2, v3
	v_min_u32_e32 v2, 32, v2
	v_mov_b32_e32 v4, v61
	v_subrev_u32_e32 v7, 28, v2
	v_lshlrev_b64 v[7:8], v7, v[3:4]
	v_sub_u32_e32 v2, 29, v2
	v_and_b32_e32 v4, 7, v7
	v_cndmask_b32_e64 v2, v9, v2, s[6:7]
	v_bfrev_b32_e32 v0, 60
	v_cndmask_b32_e64 v3, v3, v4, s[6:7]
	v_lshlrev_b32_e32 v1, 16, v1
	v_lshl_add_u32 v2, v2, 23, v0
	v_and_or_b32 v1, v1, s46, v2
	v_lshlrev_b32_e32 v2, 20, v3
	v_or_b32_e32 v1, v1, v2
	v_mov_b32_e32 v0, v61
	buffer_store_dword v0, off, s[48:51], 0 offset:284 ; 4-byte Folded Spill
	s_nop 0
	buffer_store_dword v1, off, s[48:51], 0 offset:288 ; 4-byte Folded Spill
.LBB214_223:                            ;   in Loop: Header=BB214_9 Depth=1
	s_or_b64 exec, exec, s[38:39]
.LBB214_224:                            ;   in Loop: Header=BB214_9 Depth=1
	s_or_b64 exec, exec, s[36:37]
.LBB214_225:                            ;   in Loop: Header=BB214_9 Depth=1
	s_or_b64 exec, exec, s[16:17]
	global_load_ushort v2, v[17:18], off offset:2056
	s_waitcnt vmcnt(0)
	v_and_b32_e32 v1, 0xffff, v2
	v_cmp_ne_u16_sdwa s[6:7], v2, v61 src0_sel:BYTE_0 src1_sel:DWORD
	v_mov_b32_e32 v2, 0
	v_mov_b32_e32 v3, 0
	buffer_store_dword v2, off, s[48:51], 0 offset:300 ; 4-byte Folded Spill
	s_nop 0
	buffer_store_dword v3, off, s[48:51], 0 offset:304 ; 4-byte Folded Spill
	v_mov_b32_e32 v2, 0
	v_mov_b32_e32 v3, 0
	buffer_store_dword v2, off, s[48:51], 0 offset:292 ; 4-byte Folded Spill
	s_nop 0
	buffer_store_dword v3, off, s[48:51], 0 offset:296 ; 4-byte Folded Spill
	s_and_saveexec_b64 s[16:17], s[6:7]
	s_cbranch_execz .LBB214_231
; %bb.226:                              ;   in Loop: Header=BB214_9 Depth=1
	v_bfrev_b32_e32 v2, 1
	v_mov_b32_e32 v3, 0
	v_cmp_ne_u16_sdwa s[6:7], v1, s44 src0_sel:BYTE_0 src1_sel:DWORD
	buffer_store_dword v2, off, s[48:51], 0 offset:292 ; 4-byte Folded Spill
	s_nop 0
	buffer_store_dword v3, off, s[48:51], 0 offset:296 ; 4-byte Folded Spill
	s_and_saveexec_b64 s[36:37], s[6:7]
	s_cbranch_execz .LBB214_230
; %bb.227:                              ;   in Loop: Header=BB214_9 Depth=1
	v_and_b32_e32 v2, 0x7f, v1
	v_mov_b32_e32 v3, 0x7f800001
	v_mov_b32_e32 v4, 0
	v_cmp_ne_u32_e64 s[6:7], s45, v2
	buffer_store_dword v3, off, s[48:51], 0 offset:292 ; 4-byte Folded Spill
	s_nop 0
	buffer_store_dword v4, off, s[48:51], 0 offset:296 ; 4-byte Folded Spill
	s_and_saveexec_b64 s[38:39], s[6:7]
	s_cbranch_execz .LBB214_229
; %bb.228:                              ;   in Loop: Header=BB214_9 Depth=1
	v_and_b32_e32 v4, 7, v1
	v_lshrrev_b32_e32 v7, 3, v2
	v_cmp_gt_u32_e64 s[6:7], 8, v2
	v_ffbh_u32_e32 v2, v4
	v_min_u32_e32 v8, 32, v2
	v_subrev_u32_e32 v2, 28, v8
	v_lshlrev_b64 v[2:3], v2, v[1:2]
	v_sub_u32_e32 v3, 29, v8
	v_and_b32_e32 v2, 7, v2
	v_cndmask_b32_e64 v3, v7, v3, s[6:7]
	v_cndmask_b32_e64 v2, v4, v2, s[6:7]
	v_bfrev_b32_e32 v0, 60
	v_lshlrev_b32_e32 v2, 20, v2
	v_and_b32_sdwa v4, sext(v1), s46 dst_sel:DWORD dst_unused:UNUSED_PAD src0_sel:BYTE_0 src1_sel:DWORD
	v_lshl_add_u32 v3, v3, 23, v0
	v_or3_b32 v2, v4, v3, v2
	v_mov_b32_e32 v3, v61
	buffer_store_dword v2, off, s[48:51], 0 offset:292 ; 4-byte Folded Spill
	s_nop 0
	buffer_store_dword v3, off, s[48:51], 0 offset:296 ; 4-byte Folded Spill
.LBB214_229:                            ;   in Loop: Header=BB214_9 Depth=1
	s_or_b64 exec, exec, s[38:39]
.LBB214_230:                            ;   in Loop: Header=BB214_9 Depth=1
	s_or_b64 exec, exec, s[36:37]
.LBB214_231:                            ;   in Loop: Header=BB214_9 Depth=1
	s_or_b64 exec, exec, s[16:17]
	v_cmp_ne_u16_sdwa s[6:7], v1, v61 src0_sel:BYTE_1 src1_sel:DWORD
	s_and_saveexec_b64 s[16:17], s[6:7]
	s_cbranch_execz .LBB214_237
; %bb.232:                              ;   in Loop: Header=BB214_9 Depth=1
	v_cmp_ne_u16_sdwa s[6:7], v1, s44 src0_sel:BYTE_1 src1_sel:DWORD
	buffer_store_dword v61, off, s[48:51], 0 offset:300 ; 4-byte Folded Spill
	s_nop 0
	buffer_store_dword v62, off, s[48:51], 0 offset:304 ; 4-byte Folded Spill
	s_and_saveexec_b64 s[36:37], s[6:7]
	s_cbranch_execz .LBB214_236
; %bb.233:                              ;   in Loop: Header=BB214_9 Depth=1
	buffer_load_dword v3, off, s[48:51], 0  ; 4-byte Folded Reload
	buffer_load_dword v4, off, s[48:51], 0 offset:4 ; 4-byte Folded Reload
	v_and_b32_sdwa v2, v1, s45 dst_sel:DWORD dst_unused:UNUSED_PAD src0_sel:BYTE_1 src1_sel:DWORD
	v_cmp_ne_u32_e64 s[6:7], s45, v2
	s_waitcnt vmcnt(1)
	v_mov_b32_e32 v3, v61
	s_waitcnt vmcnt(0)
	v_mov_b32_e32 v5, v4
	buffer_store_dword v4, off, s[48:51], 0 ; 4-byte Folded Spill
	s_nop 0
	buffer_store_dword v5, off, s[48:51], 0 offset:4 ; 4-byte Folded Spill
	buffer_store_dword v3, off, s[48:51], 0 offset:300 ; 4-byte Folded Spill
	s_nop 0
	buffer_store_dword v4, off, s[48:51], 0 offset:304 ; 4-byte Folded Spill
	s_and_saveexec_b64 s[38:39], s[6:7]
	s_cbranch_execz .LBB214_235
; %bb.234:                              ;   in Loop: Header=BB214_9 Depth=1
	v_mov_b32_e32 v0, 7
	v_and_b32_sdwa v3, v1, v0 dst_sel:DWORD dst_unused:UNUSED_PAD src0_sel:BYTE_1 src1_sel:DWORD
	v_lshrrev_b32_e32 v9, 3, v2
	v_cmp_gt_u32_e64 s[6:7], 8, v2
	v_ffbh_u32_e32 v2, v3
	v_min_u32_e32 v2, 32, v2
	v_mov_b32_e32 v4, v61
	v_subrev_u32_e32 v7, 28, v2
	v_lshlrev_b64 v[7:8], v7, v[3:4]
	v_sub_u32_e32 v2, 29, v2
	v_and_b32_e32 v4, 7, v7
	v_cndmask_b32_e64 v2, v9, v2, s[6:7]
	v_bfrev_b32_e32 v0, 60
	v_cndmask_b32_e64 v3, v3, v4, s[6:7]
	v_lshlrev_b32_e32 v1, 16, v1
	v_lshl_add_u32 v2, v2, 23, v0
	v_and_or_b32 v1, v1, s46, v2
	v_lshlrev_b32_e32 v2, 20, v3
	v_or_b32_e32 v1, v1, v2
	v_mov_b32_e32 v0, v61
	buffer_store_dword v0, off, s[48:51], 0 offset:300 ; 4-byte Folded Spill
	s_nop 0
	buffer_store_dword v1, off, s[48:51], 0 offset:304 ; 4-byte Folded Spill
.LBB214_235:                            ;   in Loop: Header=BB214_9 Depth=1
	s_or_b64 exec, exec, s[38:39]
.LBB214_236:                            ;   in Loop: Header=BB214_9 Depth=1
	s_or_b64 exec, exec, s[36:37]
.LBB214_237:                            ;   in Loop: Header=BB214_9 Depth=1
	s_or_b64 exec, exec, s[16:17]
	global_load_ushort v2, v[17:18], off offset:2060
	s_waitcnt vmcnt(0)
	v_and_b32_e32 v1, 0xffff, v2
	v_cmp_ne_u16_sdwa s[6:7], v2, v61 src0_sel:BYTE_0 src1_sel:DWORD
	v_mov_b32_e32 v2, 0
	v_mov_b32_e32 v3, 0
	buffer_store_dword v2, off, s[48:51], 0 offset:316 ; 4-byte Folded Spill
	s_nop 0
	buffer_store_dword v3, off, s[48:51], 0 offset:320 ; 4-byte Folded Spill
	v_mov_b32_e32 v2, 0
	v_mov_b32_e32 v3, 0
	buffer_store_dword v2, off, s[48:51], 0 offset:308 ; 4-byte Folded Spill
	s_nop 0
	buffer_store_dword v3, off, s[48:51], 0 offset:312 ; 4-byte Folded Spill
	s_and_saveexec_b64 s[16:17], s[6:7]
	s_cbranch_execz .LBB214_243
; %bb.238:                              ;   in Loop: Header=BB214_9 Depth=1
	v_bfrev_b32_e32 v2, 1
	v_mov_b32_e32 v3, 0
	v_cmp_ne_u16_sdwa s[6:7], v1, s44 src0_sel:BYTE_0 src1_sel:DWORD
	buffer_store_dword v2, off, s[48:51], 0 offset:308 ; 4-byte Folded Spill
	s_nop 0
	buffer_store_dword v3, off, s[48:51], 0 offset:312 ; 4-byte Folded Spill
	s_and_saveexec_b64 s[36:37], s[6:7]
	s_cbranch_execz .LBB214_242
; %bb.239:                              ;   in Loop: Header=BB214_9 Depth=1
	v_and_b32_e32 v2, 0x7f, v1
	v_mov_b32_e32 v3, 0x7f800001
	v_mov_b32_e32 v4, 0
	v_cmp_ne_u32_e64 s[6:7], s45, v2
	buffer_store_dword v3, off, s[48:51], 0 offset:308 ; 4-byte Folded Spill
	s_nop 0
	buffer_store_dword v4, off, s[48:51], 0 offset:312 ; 4-byte Folded Spill
	s_and_saveexec_b64 s[38:39], s[6:7]
	s_cbranch_execz .LBB214_241
; %bb.240:                              ;   in Loop: Header=BB214_9 Depth=1
	v_and_b32_e32 v4, 7, v1
	v_lshrrev_b32_e32 v7, 3, v2
	v_cmp_gt_u32_e64 s[6:7], 8, v2
	v_ffbh_u32_e32 v2, v4
	v_min_u32_e32 v8, 32, v2
	v_subrev_u32_e32 v2, 28, v8
	v_lshlrev_b64 v[2:3], v2, v[1:2]
	v_sub_u32_e32 v3, 29, v8
	v_and_b32_e32 v2, 7, v2
	v_cndmask_b32_e64 v3, v7, v3, s[6:7]
	v_cndmask_b32_e64 v2, v4, v2, s[6:7]
	v_bfrev_b32_e32 v0, 60
	v_lshlrev_b32_e32 v2, 20, v2
	v_and_b32_sdwa v4, sext(v1), s46 dst_sel:DWORD dst_unused:UNUSED_PAD src0_sel:BYTE_0 src1_sel:DWORD
	v_lshl_add_u32 v3, v3, 23, v0
	v_or3_b32 v2, v4, v3, v2
	v_mov_b32_e32 v3, v61
	buffer_store_dword v2, off, s[48:51], 0 offset:308 ; 4-byte Folded Spill
	s_nop 0
	buffer_store_dword v3, off, s[48:51], 0 offset:312 ; 4-byte Folded Spill
.LBB214_241:                            ;   in Loop: Header=BB214_9 Depth=1
	s_or_b64 exec, exec, s[38:39]
.LBB214_242:                            ;   in Loop: Header=BB214_9 Depth=1
	s_or_b64 exec, exec, s[36:37]
.LBB214_243:                            ;   in Loop: Header=BB214_9 Depth=1
	s_or_b64 exec, exec, s[16:17]
	v_cmp_ne_u16_sdwa s[6:7], v1, v61 src0_sel:BYTE_1 src1_sel:DWORD
	s_and_saveexec_b64 s[16:17], s[6:7]
	s_cbranch_execz .LBB214_249
; %bb.244:                              ;   in Loop: Header=BB214_9 Depth=1
	v_cmp_ne_u16_sdwa s[6:7], v1, s44 src0_sel:BYTE_1 src1_sel:DWORD
	buffer_store_dword v61, off, s[48:51], 0 offset:316 ; 4-byte Folded Spill
	s_nop 0
	buffer_store_dword v62, off, s[48:51], 0 offset:320 ; 4-byte Folded Spill
	s_and_saveexec_b64 s[36:37], s[6:7]
	s_cbranch_execz .LBB214_248
; %bb.245:                              ;   in Loop: Header=BB214_9 Depth=1
	buffer_load_dword v35, off, s[48:51], 0 ; 4-byte Folded Reload
	buffer_load_dword v36, off, s[48:51], 0 offset:4 ; 4-byte Folded Reload
	v_and_b32_sdwa v2, v1, s45 dst_sel:DWORD dst_unused:UNUSED_PAD src0_sel:BYTE_1 src1_sel:DWORD
	v_cmp_ne_u32_e64 s[6:7], s45, v2
	s_waitcnt vmcnt(1)
	v_mov_b32_e32 v35, v61
	s_waitcnt vmcnt(0)
	v_mov_b32_e32 v3, v36
	buffer_store_dword v2, off, s[48:51], 0 ; 4-byte Folded Spill
	s_nop 0
	buffer_store_dword v3, off, s[48:51], 0 offset:4 ; 4-byte Folded Spill
	buffer_store_dword v35, off, s[48:51], 0 offset:316 ; 4-byte Folded Spill
	s_nop 0
	buffer_store_dword v36, off, s[48:51], 0 offset:320 ; 4-byte Folded Spill
	s_and_saveexec_b64 s[38:39], s[6:7]
	s_cbranch_execz .LBB214_247
; %bb.246:                              ;   in Loop: Header=BB214_9 Depth=1
	v_mov_b32_e32 v0, 7
	v_and_b32_sdwa v3, v1, v0 dst_sel:DWORD dst_unused:UNUSED_PAD src0_sel:BYTE_1 src1_sel:DWORD
	v_lshrrev_b32_e32 v9, 3, v2
	v_cmp_gt_u32_e64 s[6:7], 8, v2
	v_ffbh_u32_e32 v2, v3
	v_min_u32_e32 v2, 32, v2
	v_mov_b32_e32 v4, v61
	v_subrev_u32_e32 v7, 28, v2
	v_lshlrev_b64 v[7:8], v7, v[3:4]
	v_sub_u32_e32 v2, 29, v2
	v_and_b32_e32 v4, 7, v7
	v_cndmask_b32_e64 v2, v9, v2, s[6:7]
	v_bfrev_b32_e32 v0, 60
	v_cndmask_b32_e64 v3, v3, v4, s[6:7]
	v_lshlrev_b32_e32 v1, 16, v1
	v_lshl_add_u32 v2, v2, 23, v0
	v_and_or_b32 v1, v1, s46, v2
	v_lshlrev_b32_e32 v2, 20, v3
	v_or_b32_e32 v1, v1, v2
	v_mov_b32_e32 v0, v61
	buffer_store_dword v0, off, s[48:51], 0 offset:316 ; 4-byte Folded Spill
	s_nop 0
	buffer_store_dword v1, off, s[48:51], 0 offset:320 ; 4-byte Folded Spill
.LBB214_247:                            ;   in Loop: Header=BB214_9 Depth=1
	s_or_b64 exec, exec, s[38:39]
.LBB214_248:                            ;   in Loop: Header=BB214_9 Depth=1
	s_or_b64 exec, exec, s[36:37]
.LBB214_249:                            ;   in Loop: Header=BB214_9 Depth=1
	s_or_b64 exec, exec, s[16:17]
	global_load_ushort v2, v[17:18], off offset:2560
	v_mov_b32_e32 v39, 0
	v_mov_b32_e32 v25, 0
	;; [unrolled: 1-line block ×4, first 2 shown]
	s_waitcnt vmcnt(0)
	v_and_b32_e32 v1, 0xffff, v2
	v_cmp_ne_u16_sdwa s[6:7], v2, v61 src0_sel:BYTE_0 src1_sel:DWORD
	s_and_saveexec_b64 s[16:17], s[6:7]
	s_cbranch_execz .LBB214_255
; %bb.250:                              ;   in Loop: Header=BB214_9 Depth=1
	v_bfrev_b32_e32 v25, 1
	v_mov_b32_e32 v26, 0
	v_cmp_ne_u16_sdwa s[6:7], v1, s44 src0_sel:BYTE_0 src1_sel:DWORD
	s_and_saveexec_b64 s[36:37], s[6:7]
	s_cbranch_execz .LBB214_254
; %bb.251:                              ;   in Loop: Header=BB214_9 Depth=1
	v_and_b32_e32 v2, 0x7f, v1
	v_mov_b32_e32 v25, 0x7f800001
	v_mov_b32_e32 v26, 0
	v_cmp_ne_u32_e64 s[6:7], s45, v2
	s_and_saveexec_b64 s[38:39], s[6:7]
	s_cbranch_execz .LBB214_253
; %bb.252:                              ;   in Loop: Header=BB214_9 Depth=1
	v_and_b32_e32 v4, 7, v1
	v_lshrrev_b32_e32 v7, 3, v2
	v_cmp_gt_u32_e64 s[6:7], 8, v2
	v_ffbh_u32_e32 v2, v4
	v_min_u32_e32 v8, 32, v2
	v_subrev_u32_e32 v2, 28, v8
	v_lshlrev_b64 v[2:3], v2, v[1:2]
	v_sub_u32_e32 v3, 29, v8
	v_and_b32_e32 v2, 7, v2
	v_cndmask_b32_e64 v3, v7, v3, s[6:7]
	v_cndmask_b32_e64 v2, v4, v2, s[6:7]
	v_bfrev_b32_e32 v0, 60
	v_lshlrev_b32_e32 v2, 20, v2
	v_and_b32_sdwa v4, sext(v1), s46 dst_sel:DWORD dst_unused:UNUSED_PAD src0_sel:BYTE_0 src1_sel:DWORD
	v_lshl_add_u32 v3, v3, 23, v0
	v_or3_b32 v25, v4, v3, v2
	v_mov_b32_e32 v26, v61
.LBB214_253:                            ;   in Loop: Header=BB214_9 Depth=1
	s_or_b64 exec, exec, s[38:39]
.LBB214_254:                            ;   in Loop: Header=BB214_9 Depth=1
	s_or_b64 exec, exec, s[36:37]
.LBB214_255:                            ;   in Loop: Header=BB214_9 Depth=1
	s_or_b64 exec, exec, s[16:17]
	v_cmp_ne_u16_sdwa s[6:7], v1, v61 src0_sel:BYTE_1 src1_sel:DWORD
	s_and_saveexec_b64 s[16:17], s[6:7]
	s_cbranch_execz .LBB214_261
; %bb.256:                              ;   in Loop: Header=BB214_9 Depth=1
	v_mov_b32_e32 v39, v61
	v_cmp_ne_u16_sdwa s[6:7], v1, s44 src0_sel:BYTE_1 src1_sel:DWORD
	v_mov_b32_e32 v40, v62
	s_and_saveexec_b64 s[36:37], s[6:7]
	s_cbranch_execz .LBB214_260
; %bb.257:                              ;   in Loop: Header=BB214_9 Depth=1
	buffer_load_dword v39, off, s[48:51], 0 ; 4-byte Folded Reload
	buffer_load_dword v40, off, s[48:51], 0 offset:4 ; 4-byte Folded Reload
	v_and_b32_sdwa v2, v1, s45 dst_sel:DWORD dst_unused:UNUSED_PAD src0_sel:BYTE_1 src1_sel:DWORD
	v_cmp_ne_u32_e64 s[6:7], s45, v2
	s_waitcnt vmcnt(1)
	v_mov_b32_e32 v39, v61
	s_waitcnt vmcnt(0)
	v_mov_b32_e32 v3, v40
	buffer_store_dword v2, off, s[48:51], 0 ; 4-byte Folded Spill
	s_nop 0
	buffer_store_dword v3, off, s[48:51], 0 offset:4 ; 4-byte Folded Spill
	s_and_saveexec_b64 s[38:39], s[6:7]
	s_cbranch_execz .LBB214_259
; %bb.258:                              ;   in Loop: Header=BB214_9 Depth=1
	v_mov_b32_e32 v0, 7
	v_and_b32_sdwa v3, v1, v0 dst_sel:DWORD dst_unused:UNUSED_PAD src0_sel:BYTE_1 src1_sel:DWORD
	v_lshrrev_b32_e32 v9, 3, v2
	v_cmp_gt_u32_e64 s[6:7], 8, v2
	v_ffbh_u32_e32 v2, v3
	v_min_u32_e32 v2, 32, v2
	v_mov_b32_e32 v4, v61
	v_subrev_u32_e32 v7, 28, v2
	v_lshlrev_b64 v[7:8], v7, v[3:4]
	v_sub_u32_e32 v2, 29, v2
	v_and_b32_e32 v4, 7, v7
	v_cndmask_b32_e64 v2, v9, v2, s[6:7]
	v_bfrev_b32_e32 v0, 60
	v_cndmask_b32_e64 v3, v3, v4, s[6:7]
	v_lshlrev_b32_e32 v1, 16, v1
	v_lshl_add_u32 v2, v2, 23, v0
	v_and_or_b32 v1, v1, s46, v2
	v_lshlrev_b32_e32 v2, 20, v3
	v_or_b32_e32 v40, v1, v2
	v_mov_b32_e32 v39, v61
.LBB214_259:                            ;   in Loop: Header=BB214_9 Depth=1
	s_or_b64 exec, exec, s[38:39]
.LBB214_260:                            ;   in Loop: Header=BB214_9 Depth=1
	s_or_b64 exec, exec, s[36:37]
.LBB214_261:                            ;   in Loop: Header=BB214_9 Depth=1
	s_or_b64 exec, exec, s[16:17]
	global_load_ushort v2, v[17:18], off offset:2564
	v_mov_b32_e32 v43, 0
	v_mov_b32_e32 v41, 0
	v_mov_b32_e32 v44, 0
	v_mov_b32_e32 v42, 0
	s_waitcnt vmcnt(0)
	v_and_b32_e32 v1, 0xffff, v2
	v_cmp_ne_u16_sdwa s[6:7], v2, v61 src0_sel:BYTE_0 src1_sel:DWORD
	s_and_saveexec_b64 s[16:17], s[6:7]
	s_cbranch_execz .LBB214_267
; %bb.262:                              ;   in Loop: Header=BB214_9 Depth=1
	v_bfrev_b32_e32 v41, 1
	v_mov_b32_e32 v42, 0
	v_cmp_ne_u16_sdwa s[6:7], v1, s44 src0_sel:BYTE_0 src1_sel:DWORD
	s_and_saveexec_b64 s[36:37], s[6:7]
	s_cbranch_execz .LBB214_266
; %bb.263:                              ;   in Loop: Header=BB214_9 Depth=1
	v_and_b32_e32 v2, 0x7f, v1
	v_mov_b32_e32 v41, 0x7f800001
	v_mov_b32_e32 v42, 0
	v_cmp_ne_u32_e64 s[6:7], s45, v2
	s_and_saveexec_b64 s[38:39], s[6:7]
	s_cbranch_execz .LBB214_265
; %bb.264:                              ;   in Loop: Header=BB214_9 Depth=1
	v_and_b32_e32 v4, 7, v1
	v_lshrrev_b32_e32 v7, 3, v2
	v_cmp_gt_u32_e64 s[6:7], 8, v2
	v_ffbh_u32_e32 v2, v4
	v_min_u32_e32 v8, 32, v2
	v_subrev_u32_e32 v2, 28, v8
	v_lshlrev_b64 v[2:3], v2, v[1:2]
	v_sub_u32_e32 v3, 29, v8
	v_and_b32_e32 v2, 7, v2
	v_cndmask_b32_e64 v3, v7, v3, s[6:7]
	v_cndmask_b32_e64 v2, v4, v2, s[6:7]
	v_bfrev_b32_e32 v0, 60
	v_lshlrev_b32_e32 v2, 20, v2
	v_and_b32_sdwa v4, sext(v1), s46 dst_sel:DWORD dst_unused:UNUSED_PAD src0_sel:BYTE_0 src1_sel:DWORD
	v_lshl_add_u32 v3, v3, 23, v0
	v_or3_b32 v41, v4, v3, v2
	v_mov_b32_e32 v42, v61
.LBB214_265:                            ;   in Loop: Header=BB214_9 Depth=1
	s_or_b64 exec, exec, s[38:39]
.LBB214_266:                            ;   in Loop: Header=BB214_9 Depth=1
	s_or_b64 exec, exec, s[36:37]
.LBB214_267:                            ;   in Loop: Header=BB214_9 Depth=1
	s_or_b64 exec, exec, s[16:17]
	v_cmp_ne_u16_sdwa s[6:7], v1, v61 src0_sel:BYTE_1 src1_sel:DWORD
	s_and_saveexec_b64 s[16:17], s[6:7]
	s_cbranch_execz .LBB214_273
; %bb.268:                              ;   in Loop: Header=BB214_9 Depth=1
	v_mov_b32_e32 v43, v61
	v_cmp_ne_u16_sdwa s[6:7], v1, s44 src0_sel:BYTE_1 src1_sel:DWORD
	v_mov_b32_e32 v44, v62
	s_and_saveexec_b64 s[36:37], s[6:7]
	s_cbranch_execz .LBB214_272
; %bb.269:                              ;   in Loop: Header=BB214_9 Depth=1
	buffer_load_dword v43, off, s[48:51], 0 ; 4-byte Folded Reload
	buffer_load_dword v44, off, s[48:51], 0 offset:4 ; 4-byte Folded Reload
	v_and_b32_sdwa v2, v1, s45 dst_sel:DWORD dst_unused:UNUSED_PAD src0_sel:BYTE_1 src1_sel:DWORD
	v_cmp_ne_u32_e64 s[6:7], s45, v2
	s_waitcnt vmcnt(1)
	v_mov_b32_e32 v43, v61
	s_waitcnt vmcnt(0)
	v_mov_b32_e32 v3, v44
	buffer_store_dword v2, off, s[48:51], 0 ; 4-byte Folded Spill
	s_nop 0
	buffer_store_dword v3, off, s[48:51], 0 offset:4 ; 4-byte Folded Spill
	s_and_saveexec_b64 s[38:39], s[6:7]
	s_cbranch_execz .LBB214_271
; %bb.270:                              ;   in Loop: Header=BB214_9 Depth=1
	v_mov_b32_e32 v0, 7
	v_and_b32_sdwa v3, v1, v0 dst_sel:DWORD dst_unused:UNUSED_PAD src0_sel:BYTE_1 src1_sel:DWORD
	v_lshrrev_b32_e32 v9, 3, v2
	v_cmp_gt_u32_e64 s[6:7], 8, v2
	v_ffbh_u32_e32 v2, v3
	v_min_u32_e32 v2, 32, v2
	v_mov_b32_e32 v4, v61
	v_subrev_u32_e32 v7, 28, v2
	v_lshlrev_b64 v[7:8], v7, v[3:4]
	v_sub_u32_e32 v2, 29, v2
	v_and_b32_e32 v4, 7, v7
	v_cndmask_b32_e64 v2, v9, v2, s[6:7]
	v_bfrev_b32_e32 v0, 60
	v_cndmask_b32_e64 v3, v3, v4, s[6:7]
	v_lshlrev_b32_e32 v1, 16, v1
	v_lshl_add_u32 v2, v2, 23, v0
	v_and_or_b32 v1, v1, s46, v2
	v_lshlrev_b32_e32 v2, 20, v3
	v_or_b32_e32 v44, v1, v2
	v_mov_b32_e32 v43, v61
.LBB214_271:                            ;   in Loop: Header=BB214_9 Depth=1
	s_or_b64 exec, exec, s[38:39]
.LBB214_272:                            ;   in Loop: Header=BB214_9 Depth=1
	s_or_b64 exec, exec, s[36:37]
.LBB214_273:                            ;   in Loop: Header=BB214_9 Depth=1
	s_or_b64 exec, exec, s[16:17]
	global_load_ushort v2, v[17:18], off offset:2568
	v_mov_b32_e32 v47, 0
	v_mov_b32_e32 v45, 0
	;; [unrolled: 1-line block ×4, first 2 shown]
	s_waitcnt vmcnt(0)
	v_and_b32_e32 v1, 0xffff, v2
	v_cmp_ne_u16_sdwa s[6:7], v2, v61 src0_sel:BYTE_0 src1_sel:DWORD
	s_and_saveexec_b64 s[16:17], s[6:7]
	s_cbranch_execz .LBB214_279
; %bb.274:                              ;   in Loop: Header=BB214_9 Depth=1
	v_bfrev_b32_e32 v45, 1
	v_mov_b32_e32 v46, 0
	v_cmp_ne_u16_sdwa s[6:7], v1, s44 src0_sel:BYTE_0 src1_sel:DWORD
	s_and_saveexec_b64 s[36:37], s[6:7]
	s_cbranch_execz .LBB214_278
; %bb.275:                              ;   in Loop: Header=BB214_9 Depth=1
	v_and_b32_e32 v2, 0x7f, v1
	v_mov_b32_e32 v45, 0x7f800001
	v_mov_b32_e32 v46, 0
	v_cmp_ne_u32_e64 s[6:7], s45, v2
	s_and_saveexec_b64 s[38:39], s[6:7]
	s_cbranch_execz .LBB214_277
; %bb.276:                              ;   in Loop: Header=BB214_9 Depth=1
	v_and_b32_e32 v4, 7, v1
	v_lshrrev_b32_e32 v7, 3, v2
	v_cmp_gt_u32_e64 s[6:7], 8, v2
	v_ffbh_u32_e32 v2, v4
	v_min_u32_e32 v8, 32, v2
	v_subrev_u32_e32 v2, 28, v8
	v_lshlrev_b64 v[2:3], v2, v[1:2]
	v_sub_u32_e32 v3, 29, v8
	v_and_b32_e32 v2, 7, v2
	v_cndmask_b32_e64 v3, v7, v3, s[6:7]
	v_cndmask_b32_e64 v2, v4, v2, s[6:7]
	v_bfrev_b32_e32 v0, 60
	v_lshlrev_b32_e32 v2, 20, v2
	v_and_b32_sdwa v4, sext(v1), s46 dst_sel:DWORD dst_unused:UNUSED_PAD src0_sel:BYTE_0 src1_sel:DWORD
	v_lshl_add_u32 v3, v3, 23, v0
	v_or3_b32 v45, v4, v3, v2
	v_mov_b32_e32 v46, v61
.LBB214_277:                            ;   in Loop: Header=BB214_9 Depth=1
	s_or_b64 exec, exec, s[38:39]
.LBB214_278:                            ;   in Loop: Header=BB214_9 Depth=1
	s_or_b64 exec, exec, s[36:37]
.LBB214_279:                            ;   in Loop: Header=BB214_9 Depth=1
	s_or_b64 exec, exec, s[16:17]
	v_cmp_ne_u16_sdwa s[6:7], v1, v61 src0_sel:BYTE_1 src1_sel:DWORD
	s_and_saveexec_b64 s[16:17], s[6:7]
	s_cbranch_execz .LBB214_285
; %bb.280:                              ;   in Loop: Header=BB214_9 Depth=1
	v_mov_b32_e32 v47, v61
	v_cmp_ne_u16_sdwa s[6:7], v1, s44 src0_sel:BYTE_1 src1_sel:DWORD
	v_mov_b32_e32 v48, v62
	s_and_saveexec_b64 s[36:37], s[6:7]
	s_cbranch_execz .LBB214_284
; %bb.281:                              ;   in Loop: Header=BB214_9 Depth=1
	buffer_load_dword v47, off, s[48:51], 0 ; 4-byte Folded Reload
	buffer_load_dword v48, off, s[48:51], 0 offset:4 ; 4-byte Folded Reload
	v_and_b32_sdwa v2, v1, s45 dst_sel:DWORD dst_unused:UNUSED_PAD src0_sel:BYTE_1 src1_sel:DWORD
	v_cmp_ne_u32_e64 s[6:7], s45, v2
	s_waitcnt vmcnt(1)
	v_mov_b32_e32 v47, v61
	s_waitcnt vmcnt(0)
	v_mov_b32_e32 v3, v48
	buffer_store_dword v2, off, s[48:51], 0 ; 4-byte Folded Spill
	s_nop 0
	buffer_store_dword v3, off, s[48:51], 0 offset:4 ; 4-byte Folded Spill
	s_and_saveexec_b64 s[38:39], s[6:7]
	s_cbranch_execz .LBB214_283
; %bb.282:                              ;   in Loop: Header=BB214_9 Depth=1
	v_mov_b32_e32 v0, 7
	v_and_b32_sdwa v3, v1, v0 dst_sel:DWORD dst_unused:UNUSED_PAD src0_sel:BYTE_1 src1_sel:DWORD
	v_lshrrev_b32_e32 v9, 3, v2
	v_cmp_gt_u32_e64 s[6:7], 8, v2
	v_ffbh_u32_e32 v2, v3
	v_min_u32_e32 v2, 32, v2
	v_mov_b32_e32 v4, v61
	v_subrev_u32_e32 v7, 28, v2
	v_lshlrev_b64 v[7:8], v7, v[3:4]
	v_sub_u32_e32 v2, 29, v2
	v_and_b32_e32 v4, 7, v7
	v_cndmask_b32_e64 v2, v9, v2, s[6:7]
	v_bfrev_b32_e32 v0, 60
	v_cndmask_b32_e64 v3, v3, v4, s[6:7]
	v_lshlrev_b32_e32 v1, 16, v1
	v_lshl_add_u32 v2, v2, 23, v0
	v_and_or_b32 v1, v1, s46, v2
	v_lshlrev_b32_e32 v2, 20, v3
	v_or_b32_e32 v48, v1, v2
	v_mov_b32_e32 v47, v61
.LBB214_283:                            ;   in Loop: Header=BB214_9 Depth=1
	s_or_b64 exec, exec, s[38:39]
.LBB214_284:                            ;   in Loop: Header=BB214_9 Depth=1
	s_or_b64 exec, exec, s[36:37]
.LBB214_285:                            ;   in Loop: Header=BB214_9 Depth=1
	s_or_b64 exec, exec, s[16:17]
	global_load_ushort v2, v[17:18], off offset:2572
	v_mov_b32_e32 v51, 0
	v_mov_b32_e32 v49, 0
	;; [unrolled: 1-line block ×4, first 2 shown]
	s_waitcnt vmcnt(0)
	v_and_b32_e32 v1, 0xffff, v2
	v_cmp_ne_u16_sdwa s[6:7], v2, v61 src0_sel:BYTE_0 src1_sel:DWORD
	s_and_saveexec_b64 s[16:17], s[6:7]
	s_cbranch_execz .LBB214_291
; %bb.286:                              ;   in Loop: Header=BB214_9 Depth=1
	v_bfrev_b32_e32 v49, 1
	v_mov_b32_e32 v50, 0
	v_cmp_ne_u16_sdwa s[6:7], v1, s44 src0_sel:BYTE_0 src1_sel:DWORD
	s_and_saveexec_b64 s[36:37], s[6:7]
	s_cbranch_execz .LBB214_290
; %bb.287:                              ;   in Loop: Header=BB214_9 Depth=1
	v_and_b32_e32 v2, 0x7f, v1
	v_mov_b32_e32 v49, 0x7f800001
	v_mov_b32_e32 v50, 0
	v_cmp_ne_u32_e64 s[6:7], s45, v2
	s_and_saveexec_b64 s[38:39], s[6:7]
	s_cbranch_execz .LBB214_289
; %bb.288:                              ;   in Loop: Header=BB214_9 Depth=1
	v_and_b32_e32 v4, 7, v1
	v_lshrrev_b32_e32 v7, 3, v2
	v_cmp_gt_u32_e64 s[6:7], 8, v2
	v_ffbh_u32_e32 v2, v4
	v_min_u32_e32 v8, 32, v2
	v_subrev_u32_e32 v2, 28, v8
	v_lshlrev_b64 v[2:3], v2, v[1:2]
	v_sub_u32_e32 v3, 29, v8
	v_and_b32_e32 v2, 7, v2
	v_cndmask_b32_e64 v3, v7, v3, s[6:7]
	v_cndmask_b32_e64 v2, v4, v2, s[6:7]
	v_bfrev_b32_e32 v0, 60
	v_lshlrev_b32_e32 v2, 20, v2
	v_and_b32_sdwa v4, sext(v1), s46 dst_sel:DWORD dst_unused:UNUSED_PAD src0_sel:BYTE_0 src1_sel:DWORD
	v_lshl_add_u32 v3, v3, 23, v0
	v_or3_b32 v49, v4, v3, v2
	v_mov_b32_e32 v50, v61
.LBB214_289:                            ;   in Loop: Header=BB214_9 Depth=1
	s_or_b64 exec, exec, s[38:39]
.LBB214_290:                            ;   in Loop: Header=BB214_9 Depth=1
	s_or_b64 exec, exec, s[36:37]
.LBB214_291:                            ;   in Loop: Header=BB214_9 Depth=1
	s_or_b64 exec, exec, s[16:17]
	v_cmp_ne_u16_sdwa s[6:7], v1, v61 src0_sel:BYTE_1 src1_sel:DWORD
	s_and_saveexec_b64 s[16:17], s[6:7]
	s_cbranch_execz .LBB214_297
; %bb.292:                              ;   in Loop: Header=BB214_9 Depth=1
	v_mov_b32_e32 v51, v61
	v_cmp_ne_u16_sdwa s[6:7], v1, s44 src0_sel:BYTE_1 src1_sel:DWORD
	v_mov_b32_e32 v52, v62
	s_and_saveexec_b64 s[36:37], s[6:7]
	s_cbranch_execz .LBB214_296
; %bb.293:                              ;   in Loop: Header=BB214_9 Depth=1
	buffer_load_dword v51, off, s[48:51], 0 ; 4-byte Folded Reload
	buffer_load_dword v52, off, s[48:51], 0 offset:4 ; 4-byte Folded Reload
	v_and_b32_sdwa v2, v1, s45 dst_sel:DWORD dst_unused:UNUSED_PAD src0_sel:BYTE_1 src1_sel:DWORD
	v_cmp_ne_u32_e64 s[6:7], s45, v2
	s_waitcnt vmcnt(1)
	v_mov_b32_e32 v51, v61
	s_waitcnt vmcnt(0)
	v_mov_b32_e32 v3, v52
	buffer_store_dword v2, off, s[48:51], 0 ; 4-byte Folded Spill
	s_nop 0
	buffer_store_dword v3, off, s[48:51], 0 offset:4 ; 4-byte Folded Spill
	s_and_saveexec_b64 s[38:39], s[6:7]
	s_cbranch_execz .LBB214_295
; %bb.294:                              ;   in Loop: Header=BB214_9 Depth=1
	v_mov_b32_e32 v0, 7
	v_and_b32_sdwa v3, v1, v0 dst_sel:DWORD dst_unused:UNUSED_PAD src0_sel:BYTE_1 src1_sel:DWORD
	v_lshrrev_b32_e32 v9, 3, v2
	v_cmp_gt_u32_e64 s[6:7], 8, v2
	v_ffbh_u32_e32 v2, v3
	v_min_u32_e32 v2, 32, v2
	v_mov_b32_e32 v4, v61
	v_subrev_u32_e32 v7, 28, v2
	v_lshlrev_b64 v[7:8], v7, v[3:4]
	v_sub_u32_e32 v2, 29, v2
	v_and_b32_e32 v4, 7, v7
	v_cndmask_b32_e64 v2, v9, v2, s[6:7]
	v_bfrev_b32_e32 v0, 60
	v_cndmask_b32_e64 v3, v3, v4, s[6:7]
	v_lshlrev_b32_e32 v1, 16, v1
	v_lshl_add_u32 v2, v2, 23, v0
	v_and_or_b32 v1, v1, s46, v2
	v_lshlrev_b32_e32 v2, 20, v3
	v_or_b32_e32 v52, v1, v2
	v_mov_b32_e32 v51, v61
.LBB214_295:                            ;   in Loop: Header=BB214_9 Depth=1
	s_or_b64 exec, exec, s[38:39]
.LBB214_296:                            ;   in Loop: Header=BB214_9 Depth=1
	s_or_b64 exec, exec, s[36:37]
.LBB214_297:                            ;   in Loop: Header=BB214_9 Depth=1
	s_or_b64 exec, exec, s[16:17]
	global_load_ushort v2, v[17:18], off offset:3072
	v_mov_b32_e32 v55, 0
	v_mov_b32_e32 v53, 0
	;; [unrolled: 1-line block ×4, first 2 shown]
	s_waitcnt vmcnt(0)
	v_and_b32_e32 v1, 0xffff, v2
	v_cmp_ne_u16_sdwa s[6:7], v2, v61 src0_sel:BYTE_0 src1_sel:DWORD
	s_and_saveexec_b64 s[16:17], s[6:7]
	s_cbranch_execz .LBB214_303
; %bb.298:                              ;   in Loop: Header=BB214_9 Depth=1
	v_bfrev_b32_e32 v53, 1
	v_mov_b32_e32 v54, 0
	v_cmp_ne_u16_sdwa s[6:7], v1, s44 src0_sel:BYTE_0 src1_sel:DWORD
	s_and_saveexec_b64 s[36:37], s[6:7]
	s_cbranch_execz .LBB214_302
; %bb.299:                              ;   in Loop: Header=BB214_9 Depth=1
	v_and_b32_e32 v2, 0x7f, v1
	v_mov_b32_e32 v53, 0x7f800001
	v_mov_b32_e32 v54, 0
	v_cmp_ne_u32_e64 s[6:7], s45, v2
	s_and_saveexec_b64 s[38:39], s[6:7]
	s_cbranch_execz .LBB214_301
; %bb.300:                              ;   in Loop: Header=BB214_9 Depth=1
	v_and_b32_e32 v4, 7, v1
	v_lshrrev_b32_e32 v7, 3, v2
	v_cmp_gt_u32_e64 s[6:7], 8, v2
	v_ffbh_u32_e32 v2, v4
	v_min_u32_e32 v8, 32, v2
	v_subrev_u32_e32 v2, 28, v8
	v_lshlrev_b64 v[2:3], v2, v[1:2]
	v_sub_u32_e32 v3, 29, v8
	v_and_b32_e32 v2, 7, v2
	v_cndmask_b32_e64 v3, v7, v3, s[6:7]
	v_cndmask_b32_e64 v2, v4, v2, s[6:7]
	v_bfrev_b32_e32 v0, 60
	v_lshlrev_b32_e32 v2, 20, v2
	v_and_b32_sdwa v4, sext(v1), s46 dst_sel:DWORD dst_unused:UNUSED_PAD src0_sel:BYTE_0 src1_sel:DWORD
	v_lshl_add_u32 v3, v3, 23, v0
	v_or3_b32 v53, v4, v3, v2
	v_mov_b32_e32 v54, v61
.LBB214_301:                            ;   in Loop: Header=BB214_9 Depth=1
	s_or_b64 exec, exec, s[38:39]
.LBB214_302:                            ;   in Loop: Header=BB214_9 Depth=1
	s_or_b64 exec, exec, s[36:37]
.LBB214_303:                            ;   in Loop: Header=BB214_9 Depth=1
	s_or_b64 exec, exec, s[16:17]
	v_cmp_ne_u16_sdwa s[6:7], v1, v61 src0_sel:BYTE_1 src1_sel:DWORD
	s_and_saveexec_b64 s[16:17], s[6:7]
	s_cbranch_execz .LBB214_309
; %bb.304:                              ;   in Loop: Header=BB214_9 Depth=1
	v_mov_b32_e32 v55, v61
	v_cmp_ne_u16_sdwa s[6:7], v1, s44 src0_sel:BYTE_1 src1_sel:DWORD
	v_mov_b32_e32 v56, v62
	s_and_saveexec_b64 s[36:37], s[6:7]
	s_cbranch_execz .LBB214_308
; %bb.305:                              ;   in Loop: Header=BB214_9 Depth=1
	buffer_load_dword v55, off, s[48:51], 0 ; 4-byte Folded Reload
	buffer_load_dword v56, off, s[48:51], 0 offset:4 ; 4-byte Folded Reload
	v_and_b32_sdwa v2, v1, s45 dst_sel:DWORD dst_unused:UNUSED_PAD src0_sel:BYTE_1 src1_sel:DWORD
	v_cmp_ne_u32_e64 s[6:7], s45, v2
	s_waitcnt vmcnt(1)
	v_mov_b32_e32 v55, v61
	s_waitcnt vmcnt(0)
	v_mov_b32_e32 v3, v56
	buffer_store_dword v2, off, s[48:51], 0 ; 4-byte Folded Spill
	s_nop 0
	buffer_store_dword v3, off, s[48:51], 0 offset:4 ; 4-byte Folded Spill
	s_and_saveexec_b64 s[38:39], s[6:7]
	s_cbranch_execz .LBB214_307
; %bb.306:                              ;   in Loop: Header=BB214_9 Depth=1
	v_mov_b32_e32 v0, 7
	v_and_b32_sdwa v3, v1, v0 dst_sel:DWORD dst_unused:UNUSED_PAD src0_sel:BYTE_1 src1_sel:DWORD
	v_lshrrev_b32_e32 v9, 3, v2
	v_cmp_gt_u32_e64 s[6:7], 8, v2
	v_ffbh_u32_e32 v2, v3
	v_min_u32_e32 v2, 32, v2
	v_mov_b32_e32 v4, v61
	v_subrev_u32_e32 v7, 28, v2
	v_lshlrev_b64 v[7:8], v7, v[3:4]
	v_sub_u32_e32 v2, 29, v2
	v_and_b32_e32 v4, 7, v7
	v_cndmask_b32_e64 v2, v9, v2, s[6:7]
	v_bfrev_b32_e32 v0, 60
	v_cndmask_b32_e64 v3, v3, v4, s[6:7]
	v_lshlrev_b32_e32 v1, 16, v1
	v_lshl_add_u32 v2, v2, 23, v0
	v_and_or_b32 v1, v1, s46, v2
	v_lshlrev_b32_e32 v2, 20, v3
	v_or_b32_e32 v56, v1, v2
	v_mov_b32_e32 v55, v61
.LBB214_307:                            ;   in Loop: Header=BB214_9 Depth=1
	s_or_b64 exec, exec, s[38:39]
.LBB214_308:                            ;   in Loop: Header=BB214_9 Depth=1
	s_or_b64 exec, exec, s[36:37]
.LBB214_309:                            ;   in Loop: Header=BB214_9 Depth=1
	s_or_b64 exec, exec, s[16:17]
	global_load_ushort v2, v[17:18], off offset:3076
	v_mov_b32_e32 v59, 0
	v_mov_b32_e32 v57, 0
	;; [unrolled: 1-line block ×4, first 2 shown]
	s_waitcnt vmcnt(0)
	v_and_b32_e32 v1, 0xffff, v2
	v_cmp_ne_u16_sdwa s[6:7], v2, v61 src0_sel:BYTE_0 src1_sel:DWORD
	s_and_saveexec_b64 s[16:17], s[6:7]
	s_cbranch_execz .LBB214_315
; %bb.310:                              ;   in Loop: Header=BB214_9 Depth=1
	v_bfrev_b32_e32 v57, 1
	v_mov_b32_e32 v58, 0
	v_cmp_ne_u16_sdwa s[6:7], v1, s44 src0_sel:BYTE_0 src1_sel:DWORD
	s_and_saveexec_b64 s[36:37], s[6:7]
	s_cbranch_execz .LBB214_314
; %bb.311:                              ;   in Loop: Header=BB214_9 Depth=1
	v_and_b32_e32 v2, 0x7f, v1
	v_mov_b32_e32 v57, 0x7f800001
	v_mov_b32_e32 v58, 0
	v_cmp_ne_u32_e64 s[6:7], s45, v2
	s_and_saveexec_b64 s[38:39], s[6:7]
	s_cbranch_execz .LBB214_313
; %bb.312:                              ;   in Loop: Header=BB214_9 Depth=1
	v_and_b32_e32 v4, 7, v1
	v_lshrrev_b32_e32 v7, 3, v2
	v_cmp_gt_u32_e64 s[6:7], 8, v2
	v_ffbh_u32_e32 v2, v4
	v_min_u32_e32 v8, 32, v2
	v_subrev_u32_e32 v2, 28, v8
	v_lshlrev_b64 v[2:3], v2, v[1:2]
	v_sub_u32_e32 v3, 29, v8
	v_and_b32_e32 v2, 7, v2
	v_cndmask_b32_e64 v3, v7, v3, s[6:7]
	v_cndmask_b32_e64 v2, v4, v2, s[6:7]
	v_bfrev_b32_e32 v0, 60
	v_lshlrev_b32_e32 v2, 20, v2
	v_and_b32_sdwa v4, sext(v1), s46 dst_sel:DWORD dst_unused:UNUSED_PAD src0_sel:BYTE_0 src1_sel:DWORD
	v_lshl_add_u32 v3, v3, 23, v0
	v_or3_b32 v57, v4, v3, v2
	v_mov_b32_e32 v58, v61
.LBB214_313:                            ;   in Loop: Header=BB214_9 Depth=1
	s_or_b64 exec, exec, s[38:39]
.LBB214_314:                            ;   in Loop: Header=BB214_9 Depth=1
	s_or_b64 exec, exec, s[36:37]
.LBB214_315:                            ;   in Loop: Header=BB214_9 Depth=1
	s_or_b64 exec, exec, s[16:17]
	v_cmp_ne_u16_sdwa s[6:7], v1, v61 src0_sel:BYTE_1 src1_sel:DWORD
	s_and_saveexec_b64 s[16:17], s[6:7]
	s_cbranch_execz .LBB214_321
; %bb.316:                              ;   in Loop: Header=BB214_9 Depth=1
	v_mov_b32_e32 v59, v61
	v_cmp_ne_u16_sdwa s[6:7], v1, s44 src0_sel:BYTE_1 src1_sel:DWORD
	v_mov_b32_e32 v60, v62
	s_and_saveexec_b64 s[36:37], s[6:7]
	s_cbranch_execz .LBB214_320
; %bb.317:                              ;   in Loop: Header=BB214_9 Depth=1
	buffer_load_dword v59, off, s[48:51], 0 ; 4-byte Folded Reload
	buffer_load_dword v60, off, s[48:51], 0 offset:4 ; 4-byte Folded Reload
	v_and_b32_sdwa v2, v1, s45 dst_sel:DWORD dst_unused:UNUSED_PAD src0_sel:BYTE_1 src1_sel:DWORD
	v_cmp_ne_u32_e64 s[6:7], s45, v2
	s_waitcnt vmcnt(1)
	v_mov_b32_e32 v59, v61
	s_waitcnt vmcnt(0)
	v_mov_b32_e32 v3, v60
	buffer_store_dword v2, off, s[48:51], 0 ; 4-byte Folded Spill
	s_nop 0
	buffer_store_dword v3, off, s[48:51], 0 offset:4 ; 4-byte Folded Spill
	s_and_saveexec_b64 s[38:39], s[6:7]
	s_cbranch_execz .LBB214_319
; %bb.318:                              ;   in Loop: Header=BB214_9 Depth=1
	v_mov_b32_e32 v0, 7
	v_and_b32_sdwa v3, v1, v0 dst_sel:DWORD dst_unused:UNUSED_PAD src0_sel:BYTE_1 src1_sel:DWORD
	v_lshrrev_b32_e32 v9, 3, v2
	v_cmp_gt_u32_e64 s[6:7], 8, v2
	v_ffbh_u32_e32 v2, v3
	v_min_u32_e32 v2, 32, v2
	v_mov_b32_e32 v4, v61
	v_subrev_u32_e32 v7, 28, v2
	v_lshlrev_b64 v[7:8], v7, v[3:4]
	v_sub_u32_e32 v2, 29, v2
	v_and_b32_e32 v4, 7, v7
	v_cndmask_b32_e64 v2, v9, v2, s[6:7]
	v_bfrev_b32_e32 v0, 60
	v_cndmask_b32_e64 v3, v3, v4, s[6:7]
	v_lshlrev_b32_e32 v1, 16, v1
	v_lshl_add_u32 v2, v2, 23, v0
	v_and_or_b32 v1, v1, s46, v2
	v_lshlrev_b32_e32 v2, 20, v3
	v_or_b32_e32 v60, v1, v2
	v_mov_b32_e32 v59, v61
.LBB214_319:                            ;   in Loop: Header=BB214_9 Depth=1
	s_or_b64 exec, exec, s[38:39]
.LBB214_320:                            ;   in Loop: Header=BB214_9 Depth=1
	s_or_b64 exec, exec, s[36:37]
.LBB214_321:                            ;   in Loop: Header=BB214_9 Depth=1
	s_or_b64 exec, exec, s[16:17]
	global_load_ushort v1, v[17:18], off offset:3080
	v_mov_b32_e32 v7, 0
	v_mov_b32_e32 v33, 0
	v_mov_b32_e32 v8, 0
	v_mov_b32_e32 v34, 0
	s_waitcnt vmcnt(0)
	v_and_b32_e32 v3, 0xffff, v1
	v_cmp_ne_u16_sdwa s[6:7], v1, v61 src0_sel:BYTE_0 src1_sel:DWORD
	s_and_saveexec_b64 s[16:17], s[6:7]
	s_cbranch_execz .LBB214_327
; %bb.322:                              ;   in Loop: Header=BB214_9 Depth=1
	v_bfrev_b32_e32 v33, 1
	v_mov_b32_e32 v34, 0
	v_cmp_ne_u16_sdwa s[6:7], v3, s44 src0_sel:BYTE_0 src1_sel:DWORD
	s_and_saveexec_b64 s[36:37], s[6:7]
	s_cbranch_execz .LBB214_326
; %bb.323:                              ;   in Loop: Header=BB214_9 Depth=1
	v_and_b32_e32 v4, 0x7f, v3
	v_mov_b32_e32 v33, 0x7f800001
	v_mov_b32_e32 v34, 0
	v_cmp_ne_u32_e64 s[6:7], s45, v4
	s_and_saveexec_b64 s[38:39], s[6:7]
	s_cbranch_execz .LBB214_325
; %bb.324:                              ;   in Loop: Header=BB214_9 Depth=1
	v_and_b32_e32 v9, 7, v3
	v_ffbh_u32_e32 v1, v9
	v_lshrrev_b32_e32 v10, 3, v4
	v_cmp_gt_u32_e64 s[6:7], 8, v4
	v_min_u32_e32 v4, 32, v1
	v_subrev_u32_e32 v1, 28, v4
	v_lshlrev_b64 v[1:2], v1, v[3:4]
	v_sub_u32_e32 v2, 29, v4
	v_and_b32_e32 v1, 7, v1
	v_cndmask_b32_e64 v2, v10, v2, s[6:7]
	v_cndmask_b32_e64 v1, v9, v1, s[6:7]
	v_bfrev_b32_e32 v0, 60
	v_lshlrev_b32_e32 v1, 20, v1
	v_and_b32_sdwa v4, sext(v3), s46 dst_sel:DWORD dst_unused:UNUSED_PAD src0_sel:BYTE_0 src1_sel:DWORD
	v_lshl_add_u32 v2, v2, 23, v0
	v_or3_b32 v33, v4, v2, v1
	v_mov_b32_e32 v34, v61
.LBB214_325:                            ;   in Loop: Header=BB214_9 Depth=1
	s_or_b64 exec, exec, s[38:39]
.LBB214_326:                            ;   in Loop: Header=BB214_9 Depth=1
	s_or_b64 exec, exec, s[36:37]
.LBB214_327:                            ;   in Loop: Header=BB214_9 Depth=1
	s_or_b64 exec, exec, s[16:17]
	v_cmp_ne_u16_sdwa s[6:7], v3, v61 src0_sel:BYTE_1 src1_sel:DWORD
	s_and_saveexec_b64 s[16:17], s[6:7]
	s_cbranch_execz .LBB214_333
; %bb.328:                              ;   in Loop: Header=BB214_9 Depth=1
	v_mov_b32_e32 v7, v61
	v_cmp_ne_u16_sdwa s[6:7], v3, s44 src0_sel:BYTE_1 src1_sel:DWORD
	v_mov_b32_e32 v8, v62
	s_and_saveexec_b64 s[36:37], s[6:7]
	s_cbranch_execz .LBB214_332
; %bb.329:                              ;   in Loop: Header=BB214_9 Depth=1
	buffer_load_dword v7, off, s[48:51], 0  ; 4-byte Folded Reload
	buffer_load_dword v8, off, s[48:51], 0 offset:4 ; 4-byte Folded Reload
	v_and_b32_sdwa v4, v3, s45 dst_sel:DWORD dst_unused:UNUSED_PAD src0_sel:BYTE_1 src1_sel:DWORD
	v_cmp_ne_u32_e64 s[6:7], s45, v4
	s_waitcnt vmcnt(1)
	v_mov_b32_e32 v7, v61
	s_waitcnt vmcnt(0)
	v_mov_b32_e32 v1, v8
	buffer_store_dword v0, off, s[48:51], 0 ; 4-byte Folded Spill
	s_nop 0
	buffer_store_dword v1, off, s[48:51], 0 offset:4 ; 4-byte Folded Spill
	s_and_saveexec_b64 s[38:39], s[6:7]
	s_cbranch_execz .LBB214_331
; %bb.330:                              ;   in Loop: Header=BB214_9 Depth=1
	v_mov_b32_e32 v0, 7
	v_and_b32_sdwa v7, v3, v0 dst_sel:DWORD dst_unused:UNUSED_PAD src0_sel:BYTE_1 src1_sel:DWORD
	v_lshrrev_b32_e32 v10, 3, v4
	v_cmp_gt_u32_e64 s[6:7], 8, v4
	v_ffbh_u32_e32 v4, v7
	v_min_u32_e32 v4, 32, v4
	v_mov_b32_e32 v8, v61
	v_subrev_u32_e32 v9, 28, v4
	v_lshlrev_b64 v[8:9], v9, v[7:8]
	v_sub_u32_e32 v4, 29, v4
	v_and_b32_e32 v8, 7, v8
	v_cndmask_b32_e64 v4, v10, v4, s[6:7]
	v_bfrev_b32_e32 v0, 60
	v_cndmask_b32_e64 v7, v7, v8, s[6:7]
	v_lshlrev_b32_e32 v3, 16, v3
	v_lshl_add_u32 v4, v4, 23, v0
	v_and_or_b32 v3, v3, s46, v4
	v_lshlrev_b32_e32 v4, 20, v7
	v_or_b32_e32 v8, v3, v4
	v_mov_b32_e32 v7, v61
.LBB214_331:                            ;   in Loop: Header=BB214_9 Depth=1
	s_or_b64 exec, exec, s[38:39]
.LBB214_332:                            ;   in Loop: Header=BB214_9 Depth=1
	s_or_b64 exec, exec, s[36:37]
.LBB214_333:                            ;   in Loop: Header=BB214_9 Depth=1
	s_or_b64 exec, exec, s[16:17]
	global_load_ushort v3, v[17:18], off offset:3084
	v_mov_b32_e32 v35, 0
	v_mov_b32_e32 v5, 0
	;; [unrolled: 1-line block ×4, first 2 shown]
	s_waitcnt vmcnt(0)
	v_and_b32_e32 v11, 0xffff, v3
	v_cmp_ne_u16_sdwa s[6:7], v3, v61 src0_sel:BYTE_0 src1_sel:DWORD
	s_and_saveexec_b64 s[16:17], s[6:7]
	s_cbranch_execz .LBB214_339
; %bb.334:                              ;   in Loop: Header=BB214_9 Depth=1
	v_bfrev_b32_e32 v5, 1
	v_mov_b32_e32 v6, 0
	v_cmp_ne_u16_sdwa s[6:7], v11, s44 src0_sel:BYTE_0 src1_sel:DWORD
	s_and_saveexec_b64 s[36:37], s[6:7]
	s_cbranch_execz .LBB214_338
; %bb.335:                              ;   in Loop: Header=BB214_9 Depth=1
	v_and_b32_e32 v12, 0x7f, v11
	v_mov_b32_e32 v5, 0x7f800001
	v_mov_b32_e32 v6, 0
	v_cmp_ne_u32_e64 s[6:7], s45, v12
	s_and_saveexec_b64 s[38:39], s[6:7]
	s_cbranch_execz .LBB214_337
; %bb.336:                              ;   in Loop: Header=BB214_9 Depth=1
	v_and_b32_e32 v13, 7, v11
	v_ffbh_u32_e32 v3, v13
	v_lshrrev_b32_e32 v14, 3, v12
	v_cmp_gt_u32_e64 s[6:7], 8, v12
	v_min_u32_e32 v12, 32, v3
	v_subrev_u32_e32 v3, 28, v12
	v_lshlrev_b64 v[3:4], v3, v[11:12]
	v_sub_u32_e32 v4, 29, v12
	v_and_b32_e32 v3, 7, v3
	v_cndmask_b32_e64 v4, v14, v4, s[6:7]
	v_cndmask_b32_e64 v3, v13, v3, s[6:7]
	v_bfrev_b32_e32 v0, 60
	v_lshlrev_b32_e32 v3, 20, v3
	v_and_b32_sdwa v12, sext(v11), s46 dst_sel:DWORD dst_unused:UNUSED_PAD src0_sel:BYTE_0 src1_sel:DWORD
	v_lshl_add_u32 v4, v4, 23, v0
	v_or3_b32 v5, v12, v4, v3
	v_mov_b32_e32 v6, v61
.LBB214_337:                            ;   in Loop: Header=BB214_9 Depth=1
	s_or_b64 exec, exec, s[38:39]
.LBB214_338:                            ;   in Loop: Header=BB214_9 Depth=1
	s_or_b64 exec, exec, s[36:37]
.LBB214_339:                            ;   in Loop: Header=BB214_9 Depth=1
	s_or_b64 exec, exec, s[16:17]
	v_cmp_ne_u16_sdwa s[6:7], v11, v61 src0_sel:BYTE_1 src1_sel:DWORD
	s_and_saveexec_b64 s[16:17], s[6:7]
	s_cbranch_execz .LBB214_345
; %bb.340:                              ;   in Loop: Header=BB214_9 Depth=1
	v_mov_b32_e32 v35, v61
	v_cmp_ne_u16_sdwa s[6:7], v11, s44 src0_sel:BYTE_1 src1_sel:DWORD
	v_mov_b32_e32 v36, v62
	s_and_saveexec_b64 s[36:37], s[6:7]
	s_cbranch_execz .LBB214_344
; %bb.341:                              ;   in Loop: Header=BB214_9 Depth=1
	buffer_load_dword v35, off, s[48:51], 0 ; 4-byte Folded Reload
	buffer_load_dword v36, off, s[48:51], 0 offset:4 ; 4-byte Folded Reload
	v_and_b32_sdwa v12, v11, s45 dst_sel:DWORD dst_unused:UNUSED_PAD src0_sel:BYTE_1 src1_sel:DWORD
	v_cmp_ne_u32_e64 s[6:7], s45, v12
	s_waitcnt vmcnt(1)
	v_mov_b32_e32 v35, v61
	s_waitcnt vmcnt(0)
	v_mov_b32_e32 v1, v36
	buffer_store_dword v0, off, s[48:51], 0 ; 4-byte Folded Spill
	s_nop 0
	buffer_store_dword v1, off, s[48:51], 0 offset:4 ; 4-byte Folded Spill
	s_and_saveexec_b64 s[38:39], s[6:7]
	s_cbranch_execz .LBB214_343
; %bb.342:                              ;   in Loop: Header=BB214_9 Depth=1
	v_mov_b32_e32 v0, 7
	v_and_b32_sdwa v9, v11, v0 dst_sel:DWORD dst_unused:UNUSED_PAD src0_sel:BYTE_1 src1_sel:DWORD
	v_lshrrev_b32_e32 v14, 3, v12
	v_cmp_gt_u32_e64 s[6:7], 8, v12
	v_ffbh_u32_e32 v12, v9
	v_min_u32_e32 v15, 32, v12
	v_mov_b32_e32 v10, v61
	v_subrev_u32_e32 v12, 28, v15
	v_lshlrev_b64 v[12:13], v12, v[9:10]
	v_sub_u32_e32 v10, 29, v15
	v_and_b32_e32 v12, 7, v12
	v_cndmask_b32_e64 v10, v14, v10, s[6:7]
	v_bfrev_b32_e32 v0, 60
	v_cndmask_b32_e64 v9, v9, v12, s[6:7]
	v_lshlrev_b32_e32 v11, 16, v11
	v_lshl_add_u32 v10, v10, 23, v0
	v_and_or_b32 v10, v11, s46, v10
	v_lshlrev_b32_e32 v9, 20, v9
	v_or_b32_e32 v36, v10, v9
	v_mov_b32_e32 v35, v61
.LBB214_343:                            ;   in Loop: Header=BB214_9 Depth=1
	s_or_b64 exec, exec, s[38:39]
.LBB214_344:                            ;   in Loop: Header=BB214_9 Depth=1
	s_or_b64 exec, exec, s[36:37]
.LBB214_345:                            ;   in Loop: Header=BB214_9 Depth=1
	s_or_b64 exec, exec, s[16:17]
	global_load_ushort v11, v[17:18], off offset:3584
	v_mov_b32_e32 v13, 0
	v_mov_b32_e32 v37, 0
	;; [unrolled: 1-line block ×4, first 2 shown]
	s_waitcnt vmcnt(0)
	v_and_b32_e32 v15, 0xffff, v11
	v_cmp_ne_u16_sdwa s[6:7], v11, v61 src0_sel:BYTE_0 src1_sel:DWORD
	s_and_saveexec_b64 s[16:17], s[6:7]
	s_cbranch_execz .LBB214_351
; %bb.346:                              ;   in Loop: Header=BB214_9 Depth=1
	v_bfrev_b32_e32 v37, 1
	v_mov_b32_e32 v38, 0
	v_cmp_ne_u16_sdwa s[6:7], v15, s44 src0_sel:BYTE_0 src1_sel:DWORD
	s_and_saveexec_b64 s[36:37], s[6:7]
	s_cbranch_execz .LBB214_350
; %bb.347:                              ;   in Loop: Header=BB214_9 Depth=1
	v_and_b32_e32 v16, 0x7f, v15
	v_mov_b32_e32 v37, 0x7f800001
	v_mov_b32_e32 v38, 0
	v_cmp_ne_u32_e64 s[6:7], s45, v16
	s_and_saveexec_b64 s[38:39], s[6:7]
	s_cbranch_execz .LBB214_349
; %bb.348:                              ;   in Loop: Header=BB214_9 Depth=1
	v_and_b32_e32 v19, 7, v15
	v_ffbh_u32_e32 v11, v19
	v_lshrrev_b32_e32 v20, 3, v16
	v_cmp_gt_u32_e64 s[6:7], 8, v16
	v_min_u32_e32 v16, 32, v11
	v_subrev_u32_e32 v11, 28, v16
	v_lshlrev_b64 v[11:12], v11, v[15:16]
	v_sub_u32_e32 v12, 29, v16
	v_and_b32_e32 v11, 7, v11
	v_cndmask_b32_e64 v12, v20, v12, s[6:7]
	v_cndmask_b32_e64 v11, v19, v11, s[6:7]
	v_bfrev_b32_e32 v0, 60
	v_lshlrev_b32_e32 v11, 20, v11
	v_and_b32_sdwa v16, sext(v15), s46 dst_sel:DWORD dst_unused:UNUSED_PAD src0_sel:BYTE_0 src1_sel:DWORD
	v_lshl_add_u32 v12, v12, 23, v0
	v_or3_b32 v37, v16, v12, v11
	v_mov_b32_e32 v38, v61
.LBB214_349:                            ;   in Loop: Header=BB214_9 Depth=1
	s_or_b64 exec, exec, s[38:39]
.LBB214_350:                            ;   in Loop: Header=BB214_9 Depth=1
	s_or_b64 exec, exec, s[36:37]
.LBB214_351:                            ;   in Loop: Header=BB214_9 Depth=1
	s_or_b64 exec, exec, s[16:17]
	v_cmp_ne_u16_sdwa s[6:7], v15, v61 src0_sel:BYTE_1 src1_sel:DWORD
	s_and_saveexec_b64 s[16:17], s[6:7]
	s_cbranch_execz .LBB214_357
; %bb.352:                              ;   in Loop: Header=BB214_9 Depth=1
	v_mov_b32_e32 v13, v61
	v_cmp_ne_u16_sdwa s[6:7], v15, s44 src0_sel:BYTE_1 src1_sel:DWORD
	v_mov_b32_e32 v14, v62
	s_and_saveexec_b64 s[36:37], s[6:7]
	s_cbranch_execz .LBB214_356
; %bb.353:                              ;   in Loop: Header=BB214_9 Depth=1
	buffer_load_dword v13, off, s[48:51], 0 ; 4-byte Folded Reload
	buffer_load_dword v14, off, s[48:51], 0 offset:4 ; 4-byte Folded Reload
	v_and_b32_sdwa v16, v15, s45 dst_sel:DWORD dst_unused:UNUSED_PAD src0_sel:BYTE_1 src1_sel:DWORD
	v_cmp_ne_u32_e64 s[6:7], s45, v16
	s_waitcnt vmcnt(1)
	v_mov_b32_e32 v13, v61
	s_waitcnt vmcnt(0)
	v_mov_b32_e32 v1, v14
	buffer_store_dword v0, off, s[48:51], 0 ; 4-byte Folded Spill
	s_nop 0
	buffer_store_dword v1, off, s[48:51], 0 offset:4 ; 4-byte Folded Spill
	s_and_saveexec_b64 s[38:39], s[6:7]
	s_cbranch_execz .LBB214_355
; %bb.354:                              ;   in Loop: Header=BB214_9 Depth=1
	v_mov_b32_e32 v0, 7
	v_and_b32_sdwa v13, v15, v0 dst_sel:DWORD dst_unused:UNUSED_PAD src0_sel:BYTE_1 src1_sel:DWORD
	v_lshrrev_b32_e32 v21, 3, v16
	v_cmp_gt_u32_e64 s[6:7], 8, v16
	v_ffbh_u32_e32 v16, v13
	v_min_u32_e32 v16, 32, v16
	v_mov_b32_e32 v14, v61
	v_subrev_u32_e32 v19, 28, v16
	v_lshlrev_b64 v[19:20], v19, v[13:14]
	v_sub_u32_e32 v14, 29, v16
	v_and_b32_e32 v16, 7, v19
	v_cndmask_b32_e64 v14, v21, v14, s[6:7]
	v_bfrev_b32_e32 v0, 60
	v_cndmask_b32_e64 v13, v13, v16, s[6:7]
	v_lshlrev_b32_e32 v15, 16, v15
	v_lshl_add_u32 v14, v14, 23, v0
	v_and_or_b32 v14, v15, s46, v14
	v_lshlrev_b32_e32 v13, 20, v13
	v_or_b32_e32 v14, v14, v13
	v_mov_b32_e32 v13, v61
.LBB214_355:                            ;   in Loop: Header=BB214_9 Depth=1
	s_or_b64 exec, exec, s[38:39]
.LBB214_356:                            ;   in Loop: Header=BB214_9 Depth=1
	s_or_b64 exec, exec, s[36:37]
.LBB214_357:                            ;   in Loop: Header=BB214_9 Depth=1
	s_or_b64 exec, exec, s[16:17]
	global_load_ushort v15, v[17:18], off offset:3588
	v_mov_b32_e32 v19, 0
	v_mov_b32_e32 v20, 0
	s_waitcnt vmcnt(0)
	v_and_b32_e32 v21, 0xffff, v15
	v_cmp_ne_u16_sdwa s[6:7], v15, v61 src0_sel:BYTE_0 src1_sel:DWORD
	v_mov_b32_e32 v15, 0
	v_mov_b32_e32 v16, 0
	s_and_saveexec_b64 s[16:17], s[6:7]
	s_cbranch_execz .LBB214_363
; %bb.358:                              ;   in Loop: Header=BB214_9 Depth=1
	v_bfrev_b32_e32 v15, 1
	v_mov_b32_e32 v16, 0
	v_cmp_ne_u16_sdwa s[6:7], v21, s44 src0_sel:BYTE_0 src1_sel:DWORD
	s_and_saveexec_b64 s[36:37], s[6:7]
	s_cbranch_execz .LBB214_362
; %bb.359:                              ;   in Loop: Header=BB214_9 Depth=1
	v_and_b32_e32 v22, 0x7f, v21
	v_mov_b32_e32 v15, 0x7f800001
	v_mov_b32_e32 v16, 0
	v_cmp_ne_u32_e64 s[6:7], s45, v22
	s_and_saveexec_b64 s[38:39], s[6:7]
	s_cbranch_execz .LBB214_361
; %bb.360:                              ;   in Loop: Header=BB214_9 Depth=1
	v_and_b32_e32 v23, 7, v21
	v_ffbh_u32_e32 v15, v23
	v_lshrrev_b32_e32 v24, 3, v22
	v_cmp_gt_u32_e64 s[6:7], 8, v22
	v_min_u32_e32 v22, 32, v15
	v_subrev_u32_e32 v15, 28, v22
	v_lshlrev_b64 v[15:16], v15, v[21:22]
	v_sub_u32_e32 v16, 29, v22
	v_and_b32_e32 v15, 7, v15
	v_cndmask_b32_e64 v16, v24, v16, s[6:7]
	v_cndmask_b32_e64 v15, v23, v15, s[6:7]
	v_bfrev_b32_e32 v0, 60
	v_lshlrev_b32_e32 v15, 20, v15
	v_and_b32_sdwa v22, sext(v21), s46 dst_sel:DWORD dst_unused:UNUSED_PAD src0_sel:BYTE_0 src1_sel:DWORD
	v_lshl_add_u32 v16, v16, 23, v0
	v_or3_b32 v15, v22, v16, v15
	v_mov_b32_e32 v16, v61
.LBB214_361:                            ;   in Loop: Header=BB214_9 Depth=1
	s_or_b64 exec, exec, s[38:39]
.LBB214_362:                            ;   in Loop: Header=BB214_9 Depth=1
	s_or_b64 exec, exec, s[36:37]
.LBB214_363:                            ;   in Loop: Header=BB214_9 Depth=1
	s_or_b64 exec, exec, s[16:17]
	v_cmp_ne_u16_sdwa s[6:7], v21, v61 src0_sel:BYTE_1 src1_sel:DWORD
	s_and_saveexec_b64 s[16:17], s[6:7]
	s_cbranch_execz .LBB214_369
; %bb.364:                              ;   in Loop: Header=BB214_9 Depth=1
	v_mov_b32_e32 v19, v61
	v_cmp_ne_u16_sdwa s[6:7], v21, s44 src0_sel:BYTE_1 src1_sel:DWORD
	v_mov_b32_e32 v20, v62
	s_and_saveexec_b64 s[36:37], s[6:7]
	s_cbranch_execz .LBB214_368
; %bb.365:                              ;   in Loop: Header=BB214_9 Depth=1
	buffer_load_dword v19, off, s[48:51], 0 ; 4-byte Folded Reload
	buffer_load_dword v20, off, s[48:51], 0 offset:4 ; 4-byte Folded Reload
	v_and_b32_sdwa v22, v21, s45 dst_sel:DWORD dst_unused:UNUSED_PAD src0_sel:BYTE_1 src1_sel:DWORD
	v_cmp_ne_u32_e64 s[6:7], s45, v22
	s_waitcnt vmcnt(1)
	v_mov_b32_e32 v19, v61
	s_waitcnt vmcnt(0)
	v_mov_b32_e32 v1, v20
	buffer_store_dword v0, off, s[48:51], 0 ; 4-byte Folded Spill
	s_nop 0
	buffer_store_dword v1, off, s[48:51], 0 offset:4 ; 4-byte Folded Spill
	s_and_saveexec_b64 s[38:39], s[6:7]
	s_cbranch_execz .LBB214_367
; %bb.366:                              ;   in Loop: Header=BB214_9 Depth=1
	v_mov_b32_e32 v0, 7
	v_and_b32_sdwa v19, v21, v0 dst_sel:DWORD dst_unused:UNUSED_PAD src0_sel:BYTE_1 src1_sel:DWORD
	v_lshrrev_b32_e32 v24, 3, v22
	v_cmp_gt_u32_e64 s[6:7], 8, v22
	v_ffbh_u32_e32 v22, v19
	v_mov_b32_e32 v0, v25
	v_mov_b32_e32 v1, v26
	v_min_u32_e32 v25, 32, v22
	v_mov_b32_e32 v20, v61
	v_subrev_u32_e32 v22, 28, v25
	v_lshlrev_b64 v[22:23], v22, v[19:20]
	v_sub_u32_e32 v20, 29, v25
	v_mov_b32_e32 v26, v1
	v_mov_b32_e32 v25, v0
	v_and_b32_e32 v22, 7, v22
	v_cndmask_b32_e64 v20, v24, v20, s[6:7]
	v_bfrev_b32_e32 v0, 60
	v_cndmask_b32_e64 v19, v19, v22, s[6:7]
	v_lshlrev_b32_e32 v21, 16, v21
	v_lshl_add_u32 v20, v20, 23, v0
	v_and_or_b32 v20, v21, s46, v20
	v_lshlrev_b32_e32 v19, 20, v19
	v_or_b32_e32 v20, v20, v19
	v_mov_b32_e32 v19, v61
.LBB214_367:                            ;   in Loop: Header=BB214_9 Depth=1
	s_or_b64 exec, exec, s[38:39]
.LBB214_368:                            ;   in Loop: Header=BB214_9 Depth=1
	s_or_b64 exec, exec, s[36:37]
.LBB214_369:                            ;   in Loop: Header=BB214_9 Depth=1
	s_or_b64 exec, exec, s[16:17]
	global_load_ushort v21, v[17:18], off offset:3592
	v_mov_b32_e32 v23, 0
	v_mov_b32_e32 v24, 0
	s_waitcnt vmcnt(0)
	v_and_b32_e32 v27, 0xffff, v21
	v_cmp_ne_u16_sdwa s[6:7], v21, v61 src0_sel:BYTE_0 src1_sel:DWORD
	v_mov_b32_e32 v21, 0
	v_mov_b32_e32 v22, 0
	s_and_saveexec_b64 s[16:17], s[6:7]
	s_cbranch_execz .LBB214_375
; %bb.370:                              ;   in Loop: Header=BB214_9 Depth=1
	v_bfrev_b32_e32 v21, 1
	v_mov_b32_e32 v22, 0
	v_cmp_ne_u16_sdwa s[6:7], v27, s44 src0_sel:BYTE_0 src1_sel:DWORD
	s_and_saveexec_b64 s[36:37], s[6:7]
	s_cbranch_execz .LBB214_374
; %bb.371:                              ;   in Loop: Header=BB214_9 Depth=1
	v_mov_b32_e32 v1, v25
	v_mov_b32_e32 v2, v26
	v_and_b32_e32 v25, 0x7f, v27
	v_mov_b32_e32 v21, 0x7f800001
	v_mov_b32_e32 v22, 0
	v_cmp_ne_u32_e64 s[6:7], s45, v25
	s_and_saveexec_b64 s[38:39], s[6:7]
	s_cbranch_execz .LBB214_373
; %bb.372:                              ;   in Loop: Header=BB214_9 Depth=1
	v_and_b32_e32 v28, 7, v27
	v_ffbh_u32_e32 v21, v28
	v_lshrrev_b32_e32 v29, 3, v25
	v_cmp_gt_u32_e64 s[6:7], 8, v25
	v_min_u32_e32 v25, 32, v21
	v_subrev_u32_e32 v21, 28, v25
	v_lshlrev_b64 v[21:22], v21, v[27:28]
	v_sub_u32_e32 v22, 29, v25
	v_and_b32_e32 v21, 7, v21
	v_cndmask_b32_e64 v22, v29, v22, s[6:7]
	v_cndmask_b32_e64 v21, v28, v21, s[6:7]
	v_bfrev_b32_e32 v0, 60
	v_lshlrev_b32_e32 v21, 20, v21
	v_and_b32_sdwa v25, sext(v27), s46 dst_sel:DWORD dst_unused:UNUSED_PAD src0_sel:BYTE_0 src1_sel:DWORD
	v_lshl_add_u32 v22, v22, 23, v0
	v_or3_b32 v21, v25, v22, v21
	v_mov_b32_e32 v22, v61
.LBB214_373:                            ;   in Loop: Header=BB214_9 Depth=1
	s_or_b64 exec, exec, s[38:39]
	v_mov_b32_e32 v26, v2
	v_mov_b32_e32 v25, v1
.LBB214_374:                            ;   in Loop: Header=BB214_9 Depth=1
	s_or_b64 exec, exec, s[36:37]
.LBB214_375:                            ;   in Loop: Header=BB214_9 Depth=1
	s_or_b64 exec, exec, s[16:17]
	v_cmp_ne_u16_sdwa s[6:7], v27, v61 src0_sel:BYTE_1 src1_sel:DWORD
	s_and_saveexec_b64 s[16:17], s[6:7]
	s_cbranch_execz .LBB214_381
; %bb.376:                              ;   in Loop: Header=BB214_9 Depth=1
	v_mov_b32_e32 v23, v61
	v_cmp_ne_u16_sdwa s[6:7], v27, s44 src0_sel:BYTE_1 src1_sel:DWORD
	v_mov_b32_e32 v24, v62
	s_and_saveexec_b64 s[36:37], s[6:7]
	s_cbranch_execz .LBB214_380
; %bb.377:                              ;   in Loop: Header=BB214_9 Depth=1
	buffer_load_dword v23, off, s[48:51], 0 ; 4-byte Folded Reload
	buffer_load_dword v24, off, s[48:51], 0 offset:4 ; 4-byte Folded Reload
	v_and_b32_sdwa v28, v27, s45 dst_sel:DWORD dst_unused:UNUSED_PAD src0_sel:BYTE_1 src1_sel:DWORD
	v_cmp_ne_u32_e64 s[6:7], s45, v28
	s_waitcnt vmcnt(1)
	v_mov_b32_e32 v23, v61
	s_waitcnt vmcnt(0)
	v_mov_b32_e32 v1, v24
	buffer_store_dword v0, off, s[48:51], 0 ; 4-byte Folded Spill
	s_nop 0
	buffer_store_dword v1, off, s[48:51], 0 offset:4 ; 4-byte Folded Spill
	s_and_saveexec_b64 s[38:39], s[6:7]
	s_cbranch_execz .LBB214_379
; %bb.378:                              ;   in Loop: Header=BB214_9 Depth=1
	v_mov_b32_e32 v0, 7
	v_and_b32_sdwa v23, v27, v0 dst_sel:DWORD dst_unused:UNUSED_PAD src0_sel:BYTE_1 src1_sel:DWORD
	v_mov_b32_e32 v1, v25
	v_mov_b32_e32 v2, v26
	v_ffbh_u32_e32 v25, v23
	v_lshrrev_b32_e32 v29, 3, v28
	v_cmp_gt_u32_e64 s[6:7], 8, v28
	v_min_u32_e32 v28, 32, v25
	v_mov_b32_e32 v24, v61
	v_subrev_u32_e32 v25, 28, v28
	v_lshlrev_b64 v[24:25], v25, v[23:24]
	v_sub_u32_e32 v25, 29, v28
	v_and_b32_e32 v24, 7, v24
	v_cndmask_b32_e64 v25, v29, v25, s[6:7]
	v_bfrev_b32_e32 v0, 60
	v_cndmask_b32_e64 v23, v23, v24, s[6:7]
	v_lshlrev_b32_e32 v24, 16, v27
	v_lshl_add_u32 v25, v25, 23, v0
	v_and_or_b32 v24, v24, s46, v25
	v_mov_b32_e32 v26, v2
	v_lshlrev_b32_e32 v23, 20, v23
	v_mov_b32_e32 v25, v1
	v_or_b32_e32 v24, v24, v23
	v_mov_b32_e32 v23, v61
.LBB214_379:                            ;   in Loop: Header=BB214_9 Depth=1
	s_or_b64 exec, exec, s[38:39]
.LBB214_380:                            ;   in Loop: Header=BB214_9 Depth=1
	s_or_b64 exec, exec, s[36:37]
.LBB214_381:                            ;   in Loop: Header=BB214_9 Depth=1
	s_or_b64 exec, exec, s[16:17]
	global_load_ushort v17, v[17:18], off offset:3596
	v_mov_b32_e32 v3, 0
	v_mov_b32_e32 v1, 0
	;; [unrolled: 1-line block ×4, first 2 shown]
	s_waitcnt vmcnt(0)
	v_and_b32_e32 v29, 0xffff, v17
	v_cmp_ne_u16_sdwa s[6:7], v17, v61 src0_sel:BYTE_0 src1_sel:DWORD
	s_and_saveexec_b64 s[16:17], s[6:7]
	s_cbranch_execz .LBB214_387
; %bb.382:                              ;   in Loop: Header=BB214_9 Depth=1
	v_bfrev_b32_e32 v1, 1
	v_mov_b32_e32 v2, 0
	v_cmp_ne_u16_sdwa s[6:7], v29, s44 src0_sel:BYTE_0 src1_sel:DWORD
	s_and_saveexec_b64 s[36:37], s[6:7]
	s_cbranch_execz .LBB214_386
; %bb.383:                              ;   in Loop: Header=BB214_9 Depth=1
	v_mov_b32_e32 v9, v25
	v_mov_b32_e32 v10, v26
	v_and_b32_e32 v25, 0x7f, v29
	v_mov_b32_e32 v1, 0x7f800001
	v_mov_b32_e32 v2, 0
	v_cmp_ne_u32_e64 s[6:7], s45, v25
	s_and_saveexec_b64 s[38:39], s[6:7]
	s_cbranch_execz .LBB214_385
; %bb.384:                              ;   in Loop: Header=BB214_9 Depth=1
	v_mov_b32_e32 v0, v30
	v_mov_b32_e32 v1, v31
	v_and_b32_e32 v30, 7, v29
	v_ffbh_u32_e32 v17, v30
	v_lshrrev_b32_e32 v31, 3, v25
	v_cmp_gt_u32_e64 s[6:7], 8, v25
	v_min_u32_e32 v25, 32, v17
	v_subrev_u32_e32 v17, 28, v25
	v_lshlrev_b64 v[17:18], v17, v[29:30]
	v_sub_u32_e32 v18, 29, v25
	v_and_b32_e32 v17, 7, v17
	v_cndmask_b32_e64 v18, v31, v18, s[6:7]
	v_cndmask_b32_e64 v17, v30, v17, s[6:7]
	v_mov_b32_e32 v31, v1
	v_mov_b32_e32 v30, v0
	v_bfrev_b32_e32 v0, 60
	v_lshlrev_b32_e32 v17, 20, v17
	v_and_b32_sdwa v25, sext(v29), s46 dst_sel:DWORD dst_unused:UNUSED_PAD src0_sel:BYTE_0 src1_sel:DWORD
	v_lshl_add_u32 v18, v18, 23, v0
	v_or3_b32 v1, v25, v18, v17
	v_mov_b32_e32 v2, v61
.LBB214_385:                            ;   in Loop: Header=BB214_9 Depth=1
	s_or_b64 exec, exec, s[38:39]
	v_mov_b32_e32 v26, v10
	v_mov_b32_e32 v25, v9
.LBB214_386:                            ;   in Loop: Header=BB214_9 Depth=1
	s_or_b64 exec, exec, s[36:37]
.LBB214_387:                            ;   in Loop: Header=BB214_9 Depth=1
	s_or_b64 exec, exec, s[16:17]
	v_mov_b32_e32 v10, v30
	v_mov_b32_e32 v11, v31
	v_cmp_ne_u16_sdwa s[6:7], v29, v61 src0_sel:BYTE_1 src1_sel:DWORD
	s_and_saveexec_b64 s[16:17], s[6:7]
	s_cbranch_execz .LBB214_393
; %bb.388:                              ;   in Loop: Header=BB214_9 Depth=1
	v_mov_b32_e32 v3, v61
	v_cmp_ne_u16_sdwa s[6:7], v29, s44 src0_sel:BYTE_1 src1_sel:DWORD
	v_mov_b32_e32 v4, v62
	s_and_saveexec_b64 s[36:37], s[6:7]
	s_cbranch_execz .LBB214_392
; %bb.389:                              ;   in Loop: Header=BB214_9 Depth=1
	buffer_load_dword v3, off, s[48:51], 0  ; 4-byte Folded Reload
	buffer_load_dword v4, off, s[48:51], 0 offset:4 ; 4-byte Folded Reload
	v_and_b32_sdwa v63, v29, s45 dst_sel:DWORD dst_unused:UNUSED_PAD src0_sel:BYTE_1 src1_sel:DWORD
	v_cmp_ne_u32_e64 s[6:7], s45, v63
	s_waitcnt vmcnt(1)
	v_mov_b32_e32 v3, v61
	s_waitcnt vmcnt(0)
	v_mov_b32_e32 v17, v4
	buffer_store_dword v16, off, s[48:51], 0 ; 4-byte Folded Spill
	s_nop 0
	buffer_store_dword v17, off, s[48:51], 0 offset:4 ; 4-byte Folded Spill
	s_and_saveexec_b64 s[38:39], s[6:7]
	s_cbranch_execz .LBB214_391
; %bb.390:                              ;   in Loop: Header=BB214_9 Depth=1
	v_mov_b32_e32 v0, 7
	v_and_b32_sdwa v27, v29, v0 dst_sel:DWORD dst_unused:UNUSED_PAD src0_sel:BYTE_1 src1_sel:DWORD
	v_ffbh_u32_e32 v30, v27
	v_min_u32_e32 v32, 32, v30
	v_mov_b32_e32 v28, v61
	v_subrev_u32_e32 v30, 28, v32
	v_mov_b32_e32 v17, v25
	v_lshlrev_b64 v[30:31], v30, v[27:28]
	v_mov_b32_e32 v18, v26
	v_lshrrev_b32_e32 v25, 3, v63
	v_cmp_gt_u32_e64 s[6:7], 8, v63
	v_sub_u32_e32 v28, 29, v32
	v_and_b32_e32 v30, 7, v30
	v_cndmask_b32_e64 v25, v25, v28, s[6:7]
	v_bfrev_b32_e32 v0, 60
	v_cndmask_b32_e64 v27, v27, v30, s[6:7]
	v_lshlrev_b32_e32 v28, 16, v29
	v_lshl_add_u32 v25, v25, 23, v0
	v_and_or_b32 v25, v28, s46, v25
	v_lshlrev_b32_e32 v27, 20, v27
	v_or_b32_e32 v4, v25, v27
	v_mov_b32_e32 v26, v18
	v_mov_b32_e32 v25, v17
	;; [unrolled: 1-line block ×3, first 2 shown]
.LBB214_391:                            ;   in Loop: Header=BB214_9 Depth=1
	s_or_b64 exec, exec, s[38:39]
.LBB214_392:                            ;   in Loop: Header=BB214_9 Depth=1
	s_or_b64 exec, exec, s[36:37]
.LBB214_393:                            ;   in Loop: Header=BB214_9 Depth=1
	s_or_b64 exec, exec, s[16:17]
	v_or_b32_e32 v0, v24, v22
	buffer_store_dword v0, off, s[48:51], 0 offset:344 ; 4-byte Folded Spill
	v_or_b32_e32 v0, v23, v21
	buffer_store_dword v0, off, s[48:51], 0 offset:348 ; 4-byte Folded Spill
	;; [unrolled: 2-line block ×7, first 2 shown]
	v_or_b32_e32 v0, v59, v57
	v_or_b32_e32 v21, v36, v6
	buffer_store_dword v0, off, s[48:51], 0 offset:372 ; 4-byte Folded Spill
	v_or_b32_e32 v0, v56, v54
	v_mov_b32_e32 v5, v25
	buffer_store_dword v0, off, s[48:51], 0 offset:376 ; 4-byte Folded Spill
	v_mov_b32_e32 v6, v26
	v_or_b32_e32 v16, v8, v34
	v_or_b32_e32 v25, v40, v6
	;; [unrolled: 1-line block ×3, first 2 shown]
	buffer_load_dword v5, off, s[48:51], 0 offset:308 ; 4-byte Folded Reload
	buffer_load_dword v6, off, s[48:51], 0 offset:312 ; 4-byte Folded Reload
	;; [unrolled: 1-line block ×4, first 2 shown]
	v_or_b32_e32 v22, v13, v37
	v_or_b32_e32 v23, v44, v42
	;; [unrolled: 1-line block ×9, first 2 shown]
	s_waitcnt vmcnt(1)
	v_or_b32_e32 v33, v7, v5
	s_waitcnt vmcnt(0)
	v_or_b32_e32 v34, v8, v6
	buffer_load_dword v5, off, s[48:51], 0 offset:292 ; 4-byte Folded Reload
	buffer_load_dword v6, off, s[48:51], 0 offset:296 ; 4-byte Folded Reload
	buffer_load_dword v7, off, s[48:51], 0 offset:300 ; 4-byte Folded Reload
	buffer_load_dword v8, off, s[48:51], 0 offset:304 ; 4-byte Folded Reload
	s_waitcnt vmcnt(1)
	v_or_b32_e32 v31, v7, v5
	s_waitcnt vmcnt(0)
	v_or_b32_e32 v32, v8, v6
	buffer_load_dword v5, off, s[48:51], 0 offset:276 ; 4-byte Folded Reload
	buffer_load_dword v6, off, s[48:51], 0 offset:280 ; 4-byte Folded Reload
	buffer_load_dword v7, off, s[48:51], 0 offset:284 ; 4-byte Folded Reload
	buffer_load_dword v8, off, s[48:51], 0 offset:288 ; 4-byte Folded Reload
	;; [unrolled: 8-line block ×17, first 2 shown]
	v_or_b32_e32 v8, v3, v1
	s_waitcnt vmcnt(1)
	v_or_b32_e32 v26, v17, v5
	s_waitcnt vmcnt(0)
	v_or_b32_e32 v6, v18, v6
	buffer_load_dword v17, off, s[48:51], 0 offset:20 ; 4-byte Folded Reload
	buffer_load_dword v18, off, s[48:51], 0 offset:24 ; 4-byte Folded Reload
	;; [unrolled: 1-line block ×4, first 2 shown]
	s_waitcnt vmcnt(1)
	v_or_b32_e32 v27, v27, v17
	s_waitcnt vmcnt(0)
	v_or_b32_e32 v28, v28, v18
	buffer_load_dword v17, off, s[48:51], 0 offset:12 ; 4-byte Folded Reload
	buffer_load_dword v18, off, s[48:51], 0 offset:16 ; 4-byte Folded Reload
	v_mul_f32_e32 v27, s41, v27
	s_waitcnt vmcnt(1)
	v_or_b32_e32 v17, v17, v10
	v_or_b32_e32 v10, v4, v2
	buffer_load_dword v0, off, s[48:51], 0 offset:384 ; 4-byte Folded Reload
	buffer_load_dword v1, off, s[48:51], 0 offset:388 ; 4-byte Folded Reload
	;; [unrolled: 1-line block ×4, first 2 shown]
	v_mul_f32_e32 v4, s41, v17
	s_waitcnt vmcnt(4)
	v_or_b32_e32 v18, v18, v11
	s_waitcnt vmcnt(1)
	v_mul_f32_e32 v17, v2, v27
	v_fmac_f32_e32 v17, v0, v4
	v_mul_f32_e32 v0, s42, v28
	v_mul_f32_e32 v4, s42, v18
	s_waitcnt vmcnt(0)
	v_mul_f32_e32 v28, v3, v0
	v_fmac_f32_e32 v28, v1, v4
	buffer_load_dword v2, off, s[48:51], 0 offset:400 ; 4-byte Folded Reload
	buffer_load_dword v3, off, s[48:51], 0 offset:404 ; 4-byte Folded Reload
	;; [unrolled: 1-line block ×4, first 2 shown]
	v_mul_f32_e32 v1, s41, v26
	v_mul_f32_e32 v0, s42, v9
	s_waitcnt vmcnt(3)
	v_fmac_f32_e32 v17, v2, v1
	v_mul_f32_e32 v1, s42, v6
	s_waitcnt vmcnt(2)
	v_fmac_f32_e32 v28, v3, v1
	v_mul_f32_e32 v1, s41, v7
	s_waitcnt vmcnt(1)
	v_fmac_f32_e32 v17, v4, v1
	buffer_load_dword v1, off, s[48:51], 0 offset:416 ; 4-byte Folded Reload
	buffer_load_dword v2, off, s[48:51], 0 offset:420 ; 4-byte Folded Reload
	;; [unrolled: 1-line block ×4, first 2 shown]
	s_waitcnt vmcnt(4)
	v_fmac_f32_e32 v28, v5, v0
	v_mul_f32_e32 v0, s41, v63
	s_waitcnt vmcnt(3)
	v_fmac_f32_e32 v17, v1, v0
	v_mul_f32_e32 v0, s42, v60
	;; [unrolled: 3-line block ×4, first 2 shown]
	s_waitcnt vmcnt(0)
	v_fmac_f32_e32 v28, v4, v0
	buffer_load_dword v1, off, s[48:51], 0 offset:432 ; 4-byte Folded Reload
	buffer_load_dword v2, off, s[48:51], 0 offset:436 ; 4-byte Folded Reload
	buffer_load_dword v3, off, s[48:51], 0 offset:440 ; 4-byte Folded Reload
	buffer_load_dword v4, off, s[48:51], 0 offset:444 ; 4-byte Folded Reload
	v_mul_f32_e32 v0, s41, v57
	s_waitcnt vmcnt(3)
	v_fmac_f32_e32 v17, v1, v0
	v_mul_f32_e32 v0, s42, v56
	s_waitcnt vmcnt(2)
	v_fmac_f32_e32 v28, v2, v0
	v_mul_f32_e32 v0, s41, v55
	s_waitcnt vmcnt(1)
	v_fmac_f32_e32 v17, v3, v0
	v_mul_f32_e32 v0, s42, v54
	s_waitcnt vmcnt(0)
	v_fmac_f32_e32 v28, v4, v0
	buffer_load_dword v1, off, s[48:51], 0 offset:448 ; 4-byte Folded Reload
	buffer_load_dword v2, off, s[48:51], 0 offset:452 ; 4-byte Folded Reload
	buffer_load_dword v3, off, s[48:51], 0 offset:456 ; 4-byte Folded Reload
	buffer_load_dword v4, off, s[48:51], 0 offset:460 ; 4-byte Folded Reload
	v_mul_f32_e32 v0, s41, v53
	s_waitcnt vmcnt(3)
	v_fmac_f32_e32 v17, v1, v0
	v_mul_f32_e32 v0, s42, v52
	s_waitcnt vmcnt(2)
	v_fmac_f32_e32 v28, v2, v0
	v_mul_f32_e32 v0, s41, v51
	s_waitcnt vmcnt(1)
	v_fmac_f32_e32 v17, v3, v0
	v_mul_f32_e32 v0, s42, v50
	;; [unrolled: 16-line block ×9, first 2 shown]
	s_waitcnt vmcnt(0)
	v_fmac_f32_e32 v28, v4, v0
	buffer_load_dword v1, off, s[48:51], 0 offset:576 ; 4-byte Folded Reload
	buffer_load_dword v2, off, s[48:51], 0 offset:580 ; 4-byte Folded Reload
	;; [unrolled: 1-line block ×4, first 2 shown]
	v_mul_f32_e32 v0, s41, v12
	s_waitcnt vmcnt(3)
	v_fmac_f32_e32 v17, v1, v0
	buffer_load_dword v0, off, s[48:51], 0 offset:376 ; 4-byte Folded Reload
	s_waitcnt vmcnt(0)
	v_mul_f32_e32 v0, s42, v0
	v_fmac_f32_e32 v28, v2, v0
	buffer_load_dword v0, off, s[48:51], 0 offset:372 ; 4-byte Folded Reload
	s_waitcnt vmcnt(0)
	v_mul_f32_e32 v0, s41, v0
	v_fmac_f32_e32 v17, v3, v0
	v_mul_f32_e32 v0, s42, v15
	v_fmac_f32_e32 v28, v4, v0
	buffer_load_dword v0, off, s[48:51], 0 offset:368 ; 4-byte Folded Reload
	buffer_load_dword v1, off, s[48:51], 0 offset:596 ; 4-byte Folded Reload
	;; [unrolled: 1-line block ×5, first 2 shown]
	s_waitcnt vmcnt(4)
	v_mul_f32_e32 v0, s41, v0
	s_waitcnt vmcnt(3)
	v_fmac_f32_e32 v17, v1, v0
	v_mul_f32_e32 v0, s42, v16
	s_waitcnt vmcnt(2)
	v_fmac_f32_e32 v28, v2, v0
	buffer_load_dword v0, off, s[48:51], 0 offset:364 ; 4-byte Folded Reload
	s_waitcnt vmcnt(0)
	v_mul_f32_e32 v0, s41, v0
	v_fmac_f32_e32 v17, v3, v0
	v_mul_f32_e32 v0, s42, v21
	v_fmac_f32_e32 v28, v4, v0
	buffer_load_dword v1, off, s[48:51], 0 offset:612 ; 4-byte Folded Reload
	buffer_load_dword v2, off, s[48:51], 0 offset:616 ; 4-byte Folded Reload
	;; [unrolled: 1-line block ×4, first 2 shown]
	v_mul_f32_e32 v0, s41, v22
	s_waitcnt vmcnt(3)
	v_fmac_f32_e32 v17, v1, v0
	buffer_load_dword v0, off, s[48:51], 0 offset:360 ; 4-byte Folded Reload
	s_waitcnt vmcnt(0)
	v_mul_f32_e32 v0, s42, v0
	v_fmac_f32_e32 v28, v2, v0
	buffer_load_dword v0, off, s[48:51], 0 offset:356 ; 4-byte Folded Reload
	s_waitcnt vmcnt(0)
	v_mul_f32_e32 v0, s41, v0
	;; [unrolled: 4-line block ×3, first 2 shown]
	v_fmac_f32_e32 v28, v4, v0
	buffer_load_dword v0, off, s[48:51], 0 offset:348 ; 4-byte Folded Reload
	buffer_load_dword v1, off, s[48:51], 0 offset:628 ; 4-byte Folded Reload
	;; [unrolled: 1-line block ×5, first 2 shown]
	s_waitcnt vmcnt(4)
	v_mul_f32_e32 v0, s41, v0
	s_waitcnt vmcnt(3)
	v_fmac_f32_e32 v17, v1, v0
	buffer_load_dword v0, off, s[48:51], 0 offset:344 ; 4-byte Folded Reload
	s_waitcnt vmcnt(0)
	v_mul_f32_e32 v0, s42, v0
	v_fmac_f32_e32 v28, v2, v0
	v_mul_f32_e32 v0, s41, v8
	v_fmac_f32_e32 v17, v3, v0
	;; [unrolled: 2-line block ×3, first 2 shown]
	buffer_load_dword v0, off, s[48:51], 0 offset:592 ; 4-byte Folded Reload
	v_add_f32_e32 v1, v17, v28
	s_waitcnt vmcnt(0)
	ds_bpermute_b32 v2, v0, v1
	s_mov_b64 s[16:17], exec
	buffer_load_dword v5, off, s[48:51], 0 offset:340 ; 4-byte Folded Reload
	s_and_b64 s[6:7], s[16:17], vcc
	s_mov_b64 exec, s[6:7]
	s_cbranch_execz .LBB214_8
; %bb.394:                              ;   in Loop: Header=BB214_9 Depth=1
	buffer_load_dword v4, off, s[48:51], 0 offset:324 ; 4-byte Folded Reload
	buffer_load_dword v3, off, s[48:51], 0 offset:380 ; 4-byte Folded Reload
	s_waitcnt lgkmcnt(0)
	v_add_f32_e32 v1, v1, v2
	s_waitcnt vmcnt(1)
	v_add_u32_e32 v0, s43, v4
	v_cmp_gt_i32_e64 s[6:7], s33, v4
	buffer_load_dword v4, off, s[48:51], 0 offset:328 ; 4-byte Folded Reload
	v_cvt_f32_i32_e32 v0, v0
	s_waitcnt vmcnt(1)
	v_max_f32_e32 v2, v3, v3
	v_mul_f32_e32 v0, s10, v0
	v_cndmask_b32_e64 v0, 0, v0, s[4:5]
	v_fmac_f32_e32 v0, s11, v1
	v_cndmask_b32_e64 v1, 0, v0, s[6:7]
	v_max_f32_e32 v0, v2, v0
	v_cndmask_b32_e64 v3, v3, v0, s[6:7]
	buffer_store_dword v3, off, s[48:51], 0 offset:380 ; 4-byte Folded Spill
	s_waitcnt vmcnt(1)
	ds_write_b32 v4, v1
	s_branch .LBB214_8
.LBB214_395:
	s_or_b64 exec, exec, s[14:15]
	buffer_load_dword v6, off, s[48:51], 0 offset:652 ; 4-byte Folded Reload
	buffer_load_dword v10, off, s[48:51], 0 offset:656 ; 4-byte Folded Reload
	;; [unrolled: 1-line block ×6, first 2 shown]
	s_waitcnt lgkmcnt(0)
	buffer_load_dword v2, off, s[48:51], 0 offset:380 ; 4-byte Folded Reload
.LBB214_396:
	s_or_b64 exec, exec, s[34:35]
	s_waitcnt vmcnt(3)
	v_xor_b32_e32 v0, 32, v12
	s_waitcnt vmcnt(1)
	v_cmp_lt_i32_e32 vcc, v0, v8
	v_cndmask_b32_e32 v0, v12, v0, vcc
	v_lshlrev_b32_e32 v0, 2, v0
	s_waitcnt vmcnt(0)
	ds_bpermute_b32 v1, v0, v2
	v_xor_b32_e32 v3, 16, v12
	v_max_f32_e32 v2, v2, v2
	v_cmp_lt_i32_e32 vcc, v3, v8
	v_xor_b32_e32 v4, 8, v12
	s_waitcnt lgkmcnt(0)
	v_max_f32_e32 v1, v1, v1
	v_max_f32_e32 v2, v2, v1
	v_cndmask_b32_e32 v1, v12, v3, vcc
	v_lshlrev_b32_e32 v1, 2, v1
	ds_bpermute_b32 v3, v1, v2
	v_cmp_lt_i32_e32 vcc, v4, v8
	v_xor_b32_e32 v5, 4, v12
	v_and_b32_e32 v21, 63, v6
	s_waitcnt lgkmcnt(0)
	v_max_f32_e32 v3, v3, v3
	v_max_f32_e32 v3, v2, v3
	v_cndmask_b32_e32 v2, v12, v4, vcc
	v_lshlrev_b32_e32 v2, 2, v2
	ds_bpermute_b32 v4, v2, v3
	v_cmp_lt_i32_e32 vcc, v5, v8
	s_waitcnt lgkmcnt(0)
	v_max_f32_e32 v4, v4, v4
	v_max_f32_e32 v3, v3, v4
	v_cndmask_b32_e32 v4, v12, v5, vcc
	v_lshlrev_b32_e32 v17, 2, v4
	ds_bpermute_b32 v4, v17, v3
	v_xor_b32_e32 v5, 2, v12
	v_cmp_lt_i32_e32 vcc, v5, v8
	s_waitcnt lgkmcnt(0)
	v_max_f32_e32 v4, v4, v4
	v_max_f32_e32 v4, v3, v4
	v_cndmask_b32_e32 v3, v12, v5, vcc
	v_lshlrev_b32_e32 v20, 2, v3
	buffer_load_dword v3, off, s[48:51], 0 offset:8 ; 4-byte Folded Reload
	ds_bpermute_b32 v5, v20, v4
	v_cmp_eq_u32_e32 vcc, 0, v21
	s_waitcnt vmcnt(0)
	v_lshlrev_b32_e32 v3, 2, v3
	s_and_saveexec_b64 s[4:5], vcc
	s_cbranch_execz .LBB214_398
; %bb.397:
	s_waitcnt lgkmcnt(0)
	v_max_f32_e32 v5, v5, v5
	v_max_f32_e32 v4, v4, v4
	;; [unrolled: 1-line block ×3, first 2 shown]
	ds_write_b32 v3, v4 offset:512
.LBB214_398:
	s_or_b64 exec, exec, s[4:5]
	v_cmp_gt_u32_e64 s[4:5], 2, v21
	s_waitcnt lgkmcnt(0)
	v_mov_b32_e32 v5, 0xff7fffff
	v_lshlrev_b32_e32 v4, 2, v21
	s_barrier
	s_and_saveexec_b64 s[6:7], s[4:5]
; %bb.399:
	ds_read_b32 v5, v4 offset:512
; %bb.400:
	s_or_b64 exec, exec, s[6:7]
	v_xor_b32_e32 v6, 1, v12
	v_cmp_lt_i32_e64 s[6:7], v6, v8
	v_cndmask_b32_e64 v6, v12, v6, s[6:7]
	v_lshlrev_b32_e32 v22, 2, v6
	s_waitcnt lgkmcnt(0)
	ds_bpermute_b32 v6, v22, v5
	v_max_f32_e32 v5, v5, v5
	s_lshl_b32 s6, s23, 5
	s_min_i32 s34, s6, s33
	s_waitcnt lgkmcnt(0)
	v_max_f32_e32 v6, v6, v6
	v_max_f32_e32 v5, v5, v6
	v_lshlrev_b32_e32 v6, 2, v7
	ds_bpermute_b32 v6, v6, v5
	buffer_load_dword v5, off, s[48:51], 0 offset:652 ; 4-byte Folded Reload
	s_waitcnt vmcnt(0)
	v_cmp_gt_i32_e64 s[6:7], s34, v5
	v_mov_b32_e32 v5, 0
	s_and_saveexec_b64 s[14:15], s[6:7]
	s_cbranch_execz .LBB214_404
; %bb.401:
	buffer_load_dword v8, off, s[48:51], 0 offset:652 ; 4-byte Folded Reload
	v_mov_b32_e32 v5, 0x210
	s_mov_b64 s[16:17], 0
	s_waitcnt vmcnt(0)
	v_lshl_add_u32 v7, v8, 2, v5
	v_mov_b32_e32 v5, 0
.LBB214_402:                            ; =>This Inner Loop Header: Depth=1
	ds_read_b32 v9, v7
	v_add_u32_e32 v8, 0x80, v8
	v_cmp_le_i32_e64 s[10:11], s34, v8
	s_or_b64 s[16:17], s[10:11], s[16:17]
	s_waitcnt lgkmcnt(0)
	v_sub_f32_e32 v9, v9, v6
	v_mul_f32_e32 v9, 0x3fb8aa3b, v9
	v_exp_f32_e32 v9, v9
	ds_write_b32 v7, v9
	v_add_f32_e32 v5, v5, v9
	v_add_u32_e32 v7, 0x200, v7
	s_andn2_b64 exec, exec, s[16:17]
	s_cbranch_execnz .LBB214_402
; %bb.403:
	s_or_b64 exec, exec, s[16:17]
.LBB214_404:
	s_or_b64 exec, exec, s[14:15]
	ds_bpermute_b32 v0, v0, v5
	s_waitcnt lgkmcnt(0)
	v_add_f32_e32 v0, v5, v0
	ds_bpermute_b32 v1, v1, v0
	s_waitcnt lgkmcnt(0)
	v_add_f32_e32 v0, v0, v1
	ds_bpermute_b32 v1, v2, v0
	s_waitcnt lgkmcnt(0)
	v_add_f32_e32 v0, v0, v1
	ds_bpermute_b32 v1, v17, v0
	s_waitcnt lgkmcnt(0)
	v_add_f32_e32 v0, v0, v1
	ds_bpermute_b32 v1, v20, v0
	s_waitcnt lgkmcnt(0)
	v_add_f32_e32 v0, v0, v1
	ds_bpermute_b32 v1, v22, v0
	s_waitcnt lgkmcnt(0)
	v_add_f32_e32 v0, v0, v1
	s_mov_b64 s[10:11], exec
	buffer_load_dword v6, off, s[48:51], 0 offset:652 ; 4-byte Folded Reload
	s_and_b64 s[14:15], s[10:11], vcc
	s_mov_b64 exec, s[14:15]
; %bb.405:
	ds_write_b32 v3, v0 offset:520
; %bb.406:
	s_or_b64 exec, exec, s[10:11]
	s_waitcnt vmcnt(0) lgkmcnt(0)
	s_barrier
	s_and_saveexec_b64 s[10:11], s[4:5]
; %bb.407:
	ds_read_b32 v0, v4 offset:520
; %bb.408:
	s_or_b64 exec, exec, s[10:11]
	s_waitcnt lgkmcnt(0)
	ds_bpermute_b32 v1, v22, v0
	v_lshlrev_b32_e32 v2, 2, v12
	s_waitcnt lgkmcnt(0)
	v_add_f32_e32 v0, v0, v1
	v_and_b32_e32 v1, 0xffffff00, v2
	ds_bpermute_b32 v0, v1, v0
	s_and_saveexec_b64 s[4:5], s[6:7]
	s_cbranch_execz .LBB214_411
; %bb.409:
	s_waitcnt lgkmcnt(0)
	v_add_f32_e32 v1, 0x358637bd, v0
	v_div_scale_f32 v0, s[6:7], v1, v1, 1.0
	v_div_scale_f32 v2, vcc, 1.0, v1, 1.0
	s_mov_b64 s[6:7], 0
	v_rcp_f32_e32 v3, v0
	v_fma_f32 v4, -v0, v3, 1.0
	v_fmac_f32_e32 v3, v4, v3
	v_mul_f32_e32 v4, v2, v3
	v_fma_f32 v5, -v0, v4, v2
	v_fmac_f32_e32 v4, v5, v3
	v_fma_f32 v0, -v0, v4, v2
	v_div_fmas_f32 v2, v0, v3, v4
	v_mov_b32_e32 v0, 0x210
	v_lshl_add_u32 v0, v6, 2, v0
	v_div_fixup_f32 v1, v2, v1, 1.0
	v_mov_b32_e32 v2, v6
.LBB214_410:                            ; =>This Inner Loop Header: Depth=1
	ds_read_b32 v3, v0
	v_add_u32_e32 v2, 0x80, v2
	v_cmp_le_i32_e32 vcc, s34, v2
	s_or_b64 s[6:7], vcc, s[6:7]
	s_waitcnt lgkmcnt(0)
	v_mul_f32_e32 v3, v1, v3
	ds_write_b32 v0, v3
	v_add_u32_e32 v0, 0x200, v0
	s_andn2_b64 exec, exec, s[6:7]
	s_cbranch_execnz .LBB214_410
.LBB214_411:
	s_or_b64 exec, exec, s[4:5]
	s_waitcnt lgkmcnt(0)
	v_mov_b32_e32 v0, 0
	s_barrier
	buffer_store_dword v0, off, s[48:51], 0 offset:292 ; 4-byte Folded Spill
	v_mov_b32_e32 v0, 0
	v_mov_b32_e32 v35, 0
	v_and_b32_e32 v23, 7, v6
	v_mov_b32_e32 v37, 0
	v_mov_b32_e32 v34, 0
	;; [unrolled: 1-line block ×9, first 2 shown]
	buffer_store_dword v0, off, s[48:51], 0 offset:284 ; 4-byte Folded Spill
	v_mov_b32_e32 v38, 0
	v_mov_b32_e32 v0, 0
	;; [unrolled: 1-line block ×4, first 2 shown]
	buffer_store_dword v0, off, s[48:51], 0 offset:276 ; 4-byte Folded Spill
	s_and_saveexec_b64 s[4:5], s[2:3]
	s_cbranch_execz .LBB214_831
; %bb.412:
	buffer_store_dword v22, off, s[48:51], 0 offset:344 ; 4-byte Folded Spill
	buffer_store_dword v20, off, s[48:51], 0 offset:340 ; 4-byte Folded Spill
	buffer_store_dword v17, off, s[48:51], 0 offset:332 ; 4-byte Folded Spill
	buffer_store_dword v21, off, s[48:51], 0 offset:328 ; 4-byte Folded Spill
	buffer_load_dword v2, off, s[48:51], 0 offset:8 ; 4-byte Folded Reload
	s_ashr_i32 s3, s12, 31
	v_and_b32_e32 v0, 28, v10
	s_add_u32 s2, s30, s12
	s_load_dword s17, s[18:19], 0x0
	s_addc_u32 s3, s31, s3
	s_add_i32 s19, s23, -1
	s_lshl_b64 s[6:7], s[28:29], 2
	s_add_u32 s6, s26, s6
	s_addc_u32 s7, s27, s7
	v_mov_b32_e32 v5, 0
	buffer_store_dword v23, off, s[48:51], 0 offset:348 ; 4-byte Folded Spill
	s_mov_b32 s16, s13
	v_and_b32_e32 v39, 0xfc, v10
	s_waitcnt lgkmcnt(0)
	s_mov_b32 s18, s17
	v_or_b32_e32 v32, 0xf00, v10
	s_movk_i32 s26, 0x80
	s_movk_i32 s27, 0x7f
	s_brev_b32 s28, 1
	s_mov_b32 s29, 0xffffff
	v_bfrev_b32_e32 v6, 1
	v_mov_b32_e32 v12, 0x7f800001
	v_mov_b32_e32 v33, v5
	;; [unrolled: 1-line block ×14, first 2 shown]
	s_waitcnt vmcnt(1)
	v_lshlrev_b32_e32 v1, 5, v2
	v_or3_b32 v49, v1, v0, 3
	v_lshlrev_b32_e32 v0, 4, v23
	v_lshl_or_b32 v0, v2, 7, v0
	v_add_u32_e32 v30, 0x210, v0
	v_and_b32_e32 v0, 60, v11
	v_mov_b32_e32 v1, s7
	v_add_co_u32_e32 v7, vcc, s6, v0
	v_addc_co_u32_e32 v8, vcc, 0, v1, vcc
	v_mov_b32_e32 v0, s2
	v_mov_b32_e32 v1, s3
	buffer_store_dword v0, off, s[48:51], 0 offset:308 ; 4-byte Folded Spill
	s_nop 0
	buffer_store_dword v1, off, s[48:51], 0 offset:312 ; 4-byte Folded Spill
	s_mov_b64 s[6:7], 0
	v_mov_b32_e32 v0, v5
	buffer_store_dword v0, off, s[48:51], 0 offset:276 ; 4-byte Folded Spill
	buffer_store_dword v0, off, s[48:51], 0 offset:284 ; 4-byte Folded Spill
	;; [unrolled: 1-line block ×5, first 2 shown]
	s_branch .LBB214_414
.LBB214_413:                            ;   in Loop: Header=BB214_414 Depth=1
	s_or_b64 exec, exec, s[2:3]
	buffer_load_dword v9, off, s[48:51], 0 offset:276 ; 4-byte Folded Reload
	s_waitcnt lgkmcnt(0)
	v_mul_f32_e32 v0, v1, v0
	v_fmac_f32_e32 v0, v2, v50
	v_fmac_f32_e32 v0, v3, v23
	;; [unrolled: 1-line block ×3, first 2 shown]
	v_add_f32_e32 v36, v36, v0
	v_mul_f32_e32 v0, v1, v47
	v_fmac_f32_e32 v0, v2, v52
	v_fmac_f32_e32 v0, v3, v25
	;; [unrolled: 1-line block ×3, first 2 shown]
	v_add_u32_e32 v49, 64, v49
	v_add_u32_e32 v30, 0x100, v30
	s_waitcnt vmcnt(0)
	v_add_f32_e32 v9, v9, v0
	buffer_store_dword v9, off, s[48:51], 0 offset:276 ; 4-byte Folded Spill
	buffer_load_dword v9, off, s[48:51], 0 offset:284 ; 4-byte Folded Reload
	v_mul_f32_e32 v0, v1, v26
	v_fmac_f32_e32 v0, v2, v62
	v_fmac_f32_e32 v0, v3, v31
	;; [unrolled: 1-line block ×3, first 2 shown]
	v_add_f32_e32 v38, v38, v0
	v_mul_f32_e32 v0, v1, v61
	v_fmac_f32_e32 v0, v2, v57
	v_fmac_f32_e32 v0, v3, v59
	v_fmac_f32_e32 v0, v4, v58
	s_waitcnt vmcnt(0)
	v_add_f32_e32 v9, v9, v0
	buffer_store_dword v9, off, s[48:51], 0 offset:284 ; 4-byte Folded Spill
	buffer_load_dword v9, off, s[48:51], 0 offset:292 ; 4-byte Folded Reload
	v_mul_f32_e32 v0, v1, v60
	v_fmac_f32_e32 v0, v2, v54
	v_fmac_f32_e32 v0, v3, v56
	;; [unrolled: 1-line block ×3, first 2 shown]
	v_add_f32_e32 v40, v40, v0
	v_mul_f32_e32 v0, v1, v53
	v_fmac_f32_e32 v0, v2, v28
	v_fmac_f32_e32 v0, v3, v51
	v_fmac_f32_e32 v0, v4, v29
	s_waitcnt vmcnt(0)
	v_add_f32_e32 v9, v9, v0
	buffer_store_dword v9, off, s[48:51], 0 offset:292 ; 4-byte Folded Spill
	buffer_load_dword v9, off, s[48:51], 0 offset:260 ; 4-byte Folded Reload
	v_mul_f32_e32 v0, v1, v27
	s_waitcnt vmcnt(0)
	v_fmac_f32_e32 v0, v2, v9
	buffer_load_dword v9, off, s[48:51], 0 offset:268 ; 4-byte Folded Reload
	s_waitcnt vmcnt(0)
	v_fmac_f32_e32 v0, v3, v9
	v_fmac_f32_e32 v0, v4, v48
	v_add_f32_e32 v42, v42, v0
	buffer_load_dword v0, off, s[48:51], 0 offset:252 ; 4-byte Folded Reload
	buffer_load_dword v9, off, s[48:51], 0 offset:228 ; 4-byte Folded Reload
	s_waitcnt vmcnt(1)
	v_mul_f32_e32 v0, v1, v0
	s_waitcnt vmcnt(0)
	v_fmac_f32_e32 v0, v2, v9
	buffer_load_dword v9, off, s[48:51], 0 offset:244 ; 4-byte Folded Reload
	s_waitcnt vmcnt(0)
	v_fmac_f32_e32 v0, v3, v9
	buffer_load_dword v9, off, s[48:51], 0 offset:236 ; 4-byte Folded Reload
	s_waitcnt vmcnt(0)
	v_fmac_f32_e32 v0, v4, v9
	v_add_f32_e32 v41, v41, v0
	buffer_load_dword v0, off, s[48:51], 0 offset:220 ; 4-byte Folded Reload
	buffer_load_dword v9, off, s[48:51], 0 offset:196 ; 4-byte Folded Reload
	s_waitcnt vmcnt(1)
	v_mul_f32_e32 v0, v1, v0
	s_waitcnt vmcnt(0)
	v_fmac_f32_e32 v0, v2, v9
	buffer_load_dword v9, off, s[48:51], 0 offset:212 ; 4-byte Folded Reload
	s_waitcnt vmcnt(0)
	v_fmac_f32_e32 v0, v3, v9
	buffer_load_dword v9, off, s[48:51], 0 offset:204 ; 4-byte Folded Reload
	s_waitcnt vmcnt(0)
	;; [unrolled: 13-line block ×7, first 2 shown]
	v_fmac_f32_e32 v0, v4, v9
	v_add_f32_e32 v37, v37, v0
	buffer_load_dword v0, off, s[48:51], 0 offset:28 ; 4-byte Folded Reload
	buffer_load_dword v9, off, s[48:51], 0  ; 4-byte Folded Reload
	s_waitcnt vmcnt(1)
	v_mul_f32_e32 v0, v1, v0
	s_waitcnt vmcnt(0)
	v_fmac_f32_e32 v0, v2, v9
	buffer_load_dword v9, off, s[48:51], 0 offset:20 ; 4-byte Folded Reload
	s_waitcnt vmcnt(0)
	v_fmac_f32_e32 v0, v3, v9
	buffer_load_dword v9, off, s[48:51], 0 offset:12 ; 4-byte Folded Reload
	s_waitcnt vmcnt(0)
	v_fmac_f32_e32 v0, v4, v9
	v_add_f32_e32 v35, v35, v0
	v_mul_f32_e32 v0, v1, v15
	v_fmac_f32_e32 v0, v2, v11
	v_fmac_f32_e32 v0, v3, v14
	;; [unrolled: 1-line block ×3, first 2 shown]
	v_add_f32_e32 v33, v33, v0
	buffer_load_dword v0, off, s[48:51], 0 offset:8 ; 4-byte Folded Reload
	s_waitcnt vmcnt(0)
	v_add_u32_e32 v0, 2, v0
	v_cmp_le_i32_e32 vcc, s23, v0
	s_or_b64 s[6:7], vcc, s[6:7]
	v_add_co_u32_e32 v7, vcc, 8, v7
	v_addc_co_u32_e32 v8, vcc, 0, v8, vcc
	buffer_store_dword v0, off, s[48:51], 0 offset:8 ; 4-byte Folded Spill
	s_andn2_b64 exec, exec, s[6:7]
	s_cbranch_execz .LBB214_830
.LBB214_414:                            ; =>This Inner Loop Header: Depth=1
	global_load_dword v0, v[7:8], off
	buffer_load_dword v1, off, s[48:51], 0 offset:308 ; 4-byte Folded Reload
	buffer_load_dword v2, off, s[48:51], 0 offset:312 ; 4-byte Folded Reload
	v_mov_b32_e32 v20, 0
	v_mov_b32_e32 v18, 0
	;; [unrolled: 1-line block ×4, first 2 shown]
	s_waitcnt vmcnt(0)
	v_mad_i64_i32 v[0:1], s[2:3], v0, s16, v[1:2]
	v_add_co_u32_e32 v15, vcc, v0, v39
	buffer_store_dword v0, off, s[48:51], 0 offset:300 ; 4-byte Folded Spill
	s_nop 0
	buffer_store_dword v1, off, s[48:51], 0 offset:304 ; 4-byte Folded Spill
	v_addc_co_u32_e32 v16, vcc, 0, v1, vcc
	global_load_dword v17, v[15:16], off
	ds_read_b128 v[1:4], v30
	s_waitcnt vmcnt(0)
	v_cmp_ne_u16_sdwa s[10:11], v17, v5 src0_sel:BYTE_0 src1_sel:DWORD
	s_and_saveexec_b64 s[2:3], s[10:11]
	s_cbranch_execz .LBB214_420
; %bb.415:                              ;   in Loop: Header=BB214_414 Depth=1
	v_bfrev_b32_e32 v18, 1
	v_mov_b32_e32 v19, 0
	v_cmp_ne_u16_sdwa s[12:13], v17, s26 src0_sel:BYTE_0 src1_sel:DWORD
	s_and_saveexec_b64 s[10:11], s[12:13]
	s_cbranch_execz .LBB214_419
; %bb.416:                              ;   in Loop: Header=BB214_414 Depth=1
	v_and_b32_e32 v0, 0x7f, v17
	v_mov_b32_e32 v18, 0x7f800001
	v_mov_b32_e32 v19, 0
	v_cmp_ne_u32_e32 vcc, s27, v0
	s_and_saveexec_b64 s[12:13], vcc
	s_cbranch_execz .LBB214_418
; %bb.417:                              ;   in Loop: Header=BB214_414 Depth=1
	v_and_b32_e32 v11, 7, v17
	v_ffbh_u32_e32 v9, v11
	v_min_u32_e32 v14, 32, v9
	v_subrev_u32_e32 v9, 28, v14
	v_lshlrev_b64 v[9:10], v9, v[17:18]
	v_lshrrev_b32_e32 v13, 3, v0
	v_sub_u32_e32 v10, 29, v14
	v_and_b32_e32 v9, 7, v9
	v_cmp_gt_u32_e32 vcc, 8, v0
	v_cndmask_b32_e32 v0, v13, v10, vcc
	v_cndmask_b32_e32 v9, v11, v9, vcc
	v_bfrev_b32_e32 v11, 60
	v_lshlrev_b32_e32 v9, 20, v9
	v_and_b32_sdwa v10, sext(v17), s28 dst_sel:DWORD dst_unused:UNUSED_PAD src0_sel:BYTE_0 src1_sel:DWORD
	v_lshl_add_u32 v0, v0, 23, v11
	v_or3_b32 v18, v10, v0, v9
	v_mov_b32_e32 v19, v5
.LBB214_418:                            ;   in Loop: Header=BB214_414 Depth=1
	s_or_b64 exec, exec, s[12:13]
.LBB214_419:                            ;   in Loop: Header=BB214_414 Depth=1
	s_or_b64 exec, exec, s[10:11]
.LBB214_420:                            ;   in Loop: Header=BB214_414 Depth=1
	s_or_b64 exec, exec, s[2:3]
	v_cmp_ne_u16_sdwa s[10:11], v17, v5 src0_sel:BYTE_1 src1_sel:DWORD
	s_and_saveexec_b64 s[2:3], s[10:11]
	s_cbranch_execz .LBB214_426
; %bb.421:                              ;   in Loop: Header=BB214_414 Depth=1
	v_mov_b32_e32 v21, v6
	v_cmp_ne_u16_sdwa s[12:13], v17, s26 src0_sel:BYTE_1 src1_sel:DWORD
	v_mov_b32_e32 v20, v5
	s_and_saveexec_b64 s[10:11], s[12:13]
	s_cbranch_execz .LBB214_425
; %bb.422:                              ;   in Loop: Header=BB214_414 Depth=1
	v_and_b32_sdwa v0, v17, s27 dst_sel:DWORD dst_unused:UNUSED_PAD src0_sel:BYTE_1 src1_sel:DWORD
	v_mov_b32_e32 v11, v5
	v_mov_b32_e32 v21, v12
	v_cmp_ne_u32_e32 vcc, s27, v0
	v_mov_b32_e32 v20, v11
	s_and_saveexec_b64 s[12:13], vcc
	s_cbranch_execz .LBB214_424
; %bb.423:                              ;   in Loop: Header=BB214_414 Depth=1
	v_mov_b32_e32 v9, 7
	v_and_b32_sdwa v9, v17, v9 dst_sel:DWORD dst_unused:UNUSED_PAD src0_sel:BYTE_1 src1_sel:DWORD
	v_ffbh_u32_e32 v11, v9
	v_min_u32_e32 v14, 32, v11
	v_mov_b32_e32 v10, v5
	v_subrev_u32_e32 v11, 28, v14
	v_lshlrev_b64 v[10:11], v11, v[9:10]
	v_lshrrev_b32_e32 v13, 3, v0
	v_sub_u32_e32 v11, 29, v14
	v_cmp_gt_u32_e32 vcc, 8, v0
	v_and_b32_e32 v10, 7, v10
	v_cndmask_b32_e32 v0, v13, v11, vcc
	v_bfrev_b32_e32 v11, 60
	v_cndmask_b32_e32 v9, v9, v10, vcc
	v_lshlrev_b32_e32 v10, 16, v17
	v_lshl_add_u32 v0, v0, 23, v11
	v_and_or_b32 v0, v10, s28, v0
	v_lshlrev_b32_e32 v9, 20, v9
	v_or_b32_e32 v21, v0, v9
	v_mov_b32_e32 v20, v5
.LBB214_424:                            ;   in Loop: Header=BB214_414 Depth=1
	s_or_b64 exec, exec, s[12:13]
.LBB214_425:                            ;   in Loop: Header=BB214_414 Depth=1
	s_or_b64 exec, exec, s[10:11]
.LBB214_426:                            ;   in Loop: Header=BB214_414 Depth=1
	s_or_b64 exec, exec, s[2:3]
	v_lshrrev_b32_e32 v11, 16, v17
	v_mov_b32_e32 v24, 0
	v_mov_b32_e32 v22, 0
	;; [unrolled: 1-line block ×4, first 2 shown]
	v_cmp_ne_u16_sdwa s[10:11], v11, v5 src0_sel:BYTE_0 src1_sel:DWORD
	s_and_saveexec_b64 s[2:3], s[10:11]
	s_cbranch_execz .LBB214_432
; %bb.427:                              ;   in Loop: Header=BB214_414 Depth=1
	v_bfrev_b32_e32 v22, 1
	v_mov_b32_e32 v23, 0
	v_cmp_ne_u16_sdwa s[12:13], v11, s26 src0_sel:BYTE_0 src1_sel:DWORD
	s_and_saveexec_b64 s[10:11], s[12:13]
	s_cbranch_execz .LBB214_431
; %bb.428:                              ;   in Loop: Header=BB214_414 Depth=1
	v_bfe_u32 v0, v17, 16, 7
	v_mov_b32_e32 v22, 0x7f800001
	v_mov_b32_e32 v23, 0
	v_cmp_ne_u32_e32 vcc, s27, v0
	s_and_saveexec_b64 s[12:13], vcc
	s_cbranch_execz .LBB214_430
; %bb.429:                              ;   in Loop: Header=BB214_414 Depth=1
	v_and_b32_e32 v13, 7, v11
	v_ffbh_u32_e32 v9, v13
	v_min_u32_e32 v22, 32, v9
	v_subrev_u32_e32 v9, 28, v22
	v_lshlrev_b64 v[9:10], v9, v[11:12]
	v_lshrrev_b32_e32 v14, 3, v0
	v_sub_u32_e32 v10, 29, v22
	v_and_b32_e32 v9, 7, v9
	v_cmp_gt_u32_e32 vcc, 8, v0
	v_cndmask_b32_e32 v0, v14, v10, vcc
	v_cndmask_b32_e32 v9, v13, v9, vcc
	v_and_b32_sdwa v10, sext(v11), s28 dst_sel:DWORD dst_unused:UNUSED_PAD src0_sel:BYTE_0 src1_sel:DWORD
	v_bfrev_b32_e32 v11, 60
	v_lshlrev_b32_e32 v9, 20, v9
	v_lshl_add_u32 v0, v0, 23, v11
	v_or3_b32 v22, v10, v0, v9
	v_mov_b32_e32 v23, v5
.LBB214_430:                            ;   in Loop: Header=BB214_414 Depth=1
	s_or_b64 exec, exec, s[12:13]
.LBB214_431:                            ;   in Loop: Header=BB214_414 Depth=1
	s_or_b64 exec, exec, s[10:11]
.LBB214_432:                            ;   in Loop: Header=BB214_414 Depth=1
	s_or_b64 exec, exec, s[2:3]
	v_cmp_lt_u32_e32 vcc, s29, v17
	s_and_saveexec_b64 s[2:3], vcc
	s_cbranch_execz .LBB214_438
; %bb.433:                              ;   in Loop: Header=BB214_414 Depth=1
	v_mov_b32_e32 v25, v6
	v_cmp_ne_u32_sdwa s[12:13], v17, s26 src0_sel:BYTE_3 src1_sel:DWORD
	v_mov_b32_e32 v24, v5
	s_and_saveexec_b64 s[10:11], s[12:13]
	s_cbranch_execz .LBB214_437
; %bb.434:                              ;   in Loop: Header=BB214_414 Depth=1
	v_bfe_u32 v0, v17, 24, 7
	v_mov_b32_e32 v11, v5
	v_mov_b32_e32 v25, v12
	v_cmp_ne_u32_e32 vcc, s27, v0
	v_mov_b32_e32 v24, v11
	s_and_saveexec_b64 s[12:13], vcc
	s_cbranch_execz .LBB214_436
; %bb.435:                              ;   in Loop: Header=BB214_414 Depth=1
	v_mov_b32_e32 v9, 7
	v_and_b32_sdwa v9, v17, v9 dst_sel:DWORD dst_unused:UNUSED_PAD src0_sel:BYTE_3 src1_sel:DWORD
	v_ffbh_u32_e32 v11, v9
	v_min_u32_e32 v14, 32, v11
	v_mov_b32_e32 v10, v5
	v_subrev_u32_e32 v11, 28, v14
	v_lshlrev_b64 v[10:11], v11, v[9:10]
	v_lshrrev_b32_e32 v13, 3, v0
	v_sub_u32_e32 v11, 29, v14
	v_and_b32_e32 v10, 7, v10
	v_cmp_gt_u32_e32 vcc, 8, v0
	v_cndmask_b32_e32 v0, v13, v11, vcc
	v_cndmask_b32_e32 v9, v9, v10, vcc
	v_mov_b32_e32 v10, 24
	v_bfrev_b32_e32 v11, 60
	v_lshlrev_b32_sdwa v10, v10, v17 dst_sel:DWORD dst_unused:UNUSED_PAD src0_sel:DWORD src1_sel:BYTE_3
	v_lshl_add_u32 v0, v0, 23, v11
	v_and_or_b32 v0, v10, s28, v0
	v_lshlrev_b32_e32 v9, 20, v9
	v_or_b32_e32 v25, v0, v9
	v_mov_b32_e32 v24, v5
.LBB214_436:                            ;   in Loop: Header=BB214_414 Depth=1
	s_or_b64 exec, exec, s[12:13]
.LBB214_437:                            ;   in Loop: Header=BB214_414 Depth=1
	s_or_b64 exec, exec, s[10:11]
.LBB214_438:                            ;   in Loop: Header=BB214_414 Depth=1
	s_or_b64 exec, exec, s[2:3]
	buffer_load_dword v0, off, s[48:51], 0 offset:8 ; 4-byte Folded Reload
	v_or_b32_e32 v9, v20, v18
	v_add_u32_e32 v10, -3, v49
	s_waitcnt vmcnt(0)
	v_cmp_eq_u32_e32 vcc, s19, v0
	v_or_b32_e32 v0, v21, v19
	v_mul_f32_e32 v0, s18, v0
	buffer_store_dword v0, off, s[48:51], 0 ; 4-byte Folded Spill
	v_mul_f32_e32 v0, s17, v9
	buffer_store_dword v0, off, s[48:51], 0 offset:28 ; 4-byte Folded Spill
	v_or_b32_e32 v0, v25, v23
	v_or_b32_e32 v9, v24, v22
	v_mul_f32_e32 v9, s17, v9
	v_mul_f32_e32 v0, s18, v0
	buffer_store_dword v9, off, s[48:51], 0 offset:20 ; 4-byte Folded Spill
	buffer_store_dword v0, off, s[48:51], 0 offset:12 ; 4-byte Folded Spill
	s_and_saveexec_b64 s[10:11], vcc
	s_cbranch_execz .LBB214_440
; %bb.439:                              ;   in Loop: Header=BB214_414 Depth=1
	buffer_load_dword v0, off, s[48:51], 0 offset:28 ; 4-byte Folded Reload
	v_cmp_gt_i32_e64 s[2:3], s33, v10
	s_waitcnt vmcnt(0)
	v_cndmask_b32_e64 v0, 0, v0, s[2:3]
	buffer_store_dword v0, off, s[48:51], 0 offset:28 ; 4-byte Folded Spill
	v_add_u32_e32 v0, -2, v49
	v_cmp_gt_i32_e64 s[2:3], s33, v0
	buffer_load_dword v0, off, s[48:51], 0  ; 4-byte Folded Reload
	s_waitcnt vmcnt(0)
	v_cndmask_b32_e64 v0, 0, v0, s[2:3]
	buffer_store_dword v0, off, s[48:51], 0 ; 4-byte Folded Spill
	v_add_u32_e32 v0, -1, v49
	v_cmp_gt_i32_e64 s[2:3], s33, v0
	buffer_load_dword v0, off, s[48:51], 0 offset:20 ; 4-byte Folded Reload
	s_waitcnt vmcnt(0)
	v_cndmask_b32_e64 v0, 0, v0, s[2:3]
	buffer_store_dword v0, off, s[48:51], 0 offset:20 ; 4-byte Folded Spill
	buffer_load_dword v0, off, s[48:51], 0 offset:12 ; 4-byte Folded Reload
	v_cmp_gt_i32_e64 s[2:3], s33, v49
	s_waitcnt vmcnt(0)
	v_cndmask_b32_e64 v0, 0, v0, s[2:3]
	buffer_store_dword v0, off, s[48:51], 0 offset:12 ; 4-byte Folded Spill
.LBB214_440:                            ;   in Loop: Header=BB214_414 Depth=1
	s_or_b64 exec, exec, s[10:11]
	global_load_dword v17, v[15:16], off offset:256
	v_mov_b32_e32 v20, 0
	v_mov_b32_e32 v18, 0
	;; [unrolled: 1-line block ×4, first 2 shown]
	s_waitcnt vmcnt(0)
	v_cmp_ne_u16_sdwa s[2:3], v17, v5 src0_sel:BYTE_0 src1_sel:DWORD
	s_and_saveexec_b64 s[10:11], s[2:3]
	s_cbranch_execz .LBB214_446
; %bb.441:                              ;   in Loop: Header=BB214_414 Depth=1
	v_bfrev_b32_e32 v18, 1
	v_mov_b32_e32 v19, 0
	v_cmp_ne_u16_sdwa s[2:3], v17, s26 src0_sel:BYTE_0 src1_sel:DWORD
	s_and_saveexec_b64 s[12:13], s[2:3]
	s_cbranch_execz .LBB214_445
; %bb.442:                              ;   in Loop: Header=BB214_414 Depth=1
	v_and_b32_e32 v0, 0x7f, v17
	v_mov_b32_e32 v18, 0x7f800001
	v_mov_b32_e32 v19, 0
	v_cmp_ne_u32_e64 s[2:3], s27, v0
	s_and_saveexec_b64 s[14:15], s[2:3]
	s_cbranch_execz .LBB214_444
; %bb.443:                              ;   in Loop: Header=BB214_414 Depth=1
	v_and_b32_e32 v11, 7, v17
	v_ffbh_u32_e32 v9, v11
	v_min_u32_e32 v14, 32, v9
	v_subrev_u32_e32 v9, 28, v14
	v_lshlrev_b64 v[9:10], v9, v[17:18]
	v_lshrrev_b32_e32 v13, 3, v0
	v_sub_u32_e32 v10, 29, v14
	v_and_b32_e32 v9, 7, v9
	v_cmp_gt_u32_e64 s[2:3], 8, v0
	v_cndmask_b32_e64 v0, v13, v10, s[2:3]
	v_cndmask_b32_e64 v9, v11, v9, s[2:3]
	v_bfrev_b32_e32 v11, 60
	v_lshlrev_b32_e32 v9, 20, v9
	v_and_b32_sdwa v10, sext(v17), s28 dst_sel:DWORD dst_unused:UNUSED_PAD src0_sel:BYTE_0 src1_sel:DWORD
	v_lshl_add_u32 v0, v0, 23, v11
	v_or3_b32 v18, v10, v0, v9
	v_add_u32_e32 v10, -3, v49
	v_mov_b32_e32 v19, v5
.LBB214_444:                            ;   in Loop: Header=BB214_414 Depth=1
	s_or_b64 exec, exec, s[14:15]
.LBB214_445:                            ;   in Loop: Header=BB214_414 Depth=1
	s_or_b64 exec, exec, s[12:13]
.LBB214_446:                            ;   in Loop: Header=BB214_414 Depth=1
	s_or_b64 exec, exec, s[10:11]
	v_cmp_ne_u16_sdwa s[2:3], v17, v5 src0_sel:BYTE_1 src1_sel:DWORD
	s_and_saveexec_b64 s[10:11], s[2:3]
	s_cbranch_execz .LBB214_452
; %bb.447:                              ;   in Loop: Header=BB214_414 Depth=1
	v_mov_b32_e32 v21, v6
	v_cmp_ne_u16_sdwa s[2:3], v17, s26 src0_sel:BYTE_1 src1_sel:DWORD
	v_mov_b32_e32 v20, v5
	s_and_saveexec_b64 s[12:13], s[2:3]
	s_cbranch_execz .LBB214_451
; %bb.448:                              ;   in Loop: Header=BB214_414 Depth=1
	v_and_b32_sdwa v0, v17, s27 dst_sel:DWORD dst_unused:UNUSED_PAD src0_sel:BYTE_1 src1_sel:DWORD
	v_mov_b32_e32 v11, v5
	v_mov_b32_e32 v21, v12
	v_cmp_ne_u32_e64 s[2:3], s27, v0
	v_mov_b32_e32 v20, v11
	s_and_saveexec_b64 s[14:15], s[2:3]
	s_cbranch_execz .LBB214_450
; %bb.449:                              ;   in Loop: Header=BB214_414 Depth=1
	v_mov_b32_e32 v9, 7
	v_and_b32_sdwa v9, v17, v9 dst_sel:DWORD dst_unused:UNUSED_PAD src0_sel:BYTE_1 src1_sel:DWORD
	v_ffbh_u32_e32 v11, v9
	v_min_u32_e32 v14, 32, v11
	v_mov_b32_e32 v10, v5
	v_subrev_u32_e32 v11, 28, v14
	v_lshlrev_b64 v[10:11], v11, v[9:10]
	v_lshrrev_b32_e32 v13, 3, v0
	v_sub_u32_e32 v11, 29, v14
	v_cmp_gt_u32_e64 s[2:3], 8, v0
	v_and_b32_e32 v10, 7, v10
	v_cndmask_b32_e64 v0, v13, v11, s[2:3]
	v_bfrev_b32_e32 v11, 60
	v_cndmask_b32_e64 v9, v9, v10, s[2:3]
	v_lshlrev_b32_e32 v10, 16, v17
	v_lshl_add_u32 v0, v0, 23, v11
	v_and_or_b32 v0, v10, s28, v0
	v_lshlrev_b32_e32 v9, 20, v9
	v_add_u32_e32 v10, -3, v49
	v_or_b32_e32 v21, v0, v9
	v_mov_b32_e32 v20, v5
.LBB214_450:                            ;   in Loop: Header=BB214_414 Depth=1
	s_or_b64 exec, exec, s[14:15]
.LBB214_451:                            ;   in Loop: Header=BB214_414 Depth=1
	s_or_b64 exec, exec, s[12:13]
.LBB214_452:                            ;   in Loop: Header=BB214_414 Depth=1
	s_or_b64 exec, exec, s[10:11]
	v_lshrrev_b32_e32 v11, 16, v17
	v_mov_b32_e32 v24, 0
	v_mov_b32_e32 v22, 0
	;; [unrolled: 1-line block ×4, first 2 shown]
	v_cmp_ne_u16_sdwa s[2:3], v11, v5 src0_sel:BYTE_0 src1_sel:DWORD
	s_and_saveexec_b64 s[10:11], s[2:3]
	s_cbranch_execz .LBB214_458
; %bb.453:                              ;   in Loop: Header=BB214_414 Depth=1
	v_bfrev_b32_e32 v22, 1
	v_mov_b32_e32 v23, 0
	v_cmp_ne_u16_sdwa s[2:3], v11, s26 src0_sel:BYTE_0 src1_sel:DWORD
	s_and_saveexec_b64 s[12:13], s[2:3]
	s_cbranch_execz .LBB214_457
; %bb.454:                              ;   in Loop: Header=BB214_414 Depth=1
	v_bfe_u32 v0, v17, 16, 7
	v_mov_b32_e32 v22, 0x7f800001
	v_mov_b32_e32 v23, 0
	v_cmp_ne_u32_e64 s[2:3], s27, v0
	s_and_saveexec_b64 s[14:15], s[2:3]
	s_cbranch_execz .LBB214_456
; %bb.455:                              ;   in Loop: Header=BB214_414 Depth=1
	v_and_b32_e32 v13, 7, v11
	v_lshrrev_b32_e32 v14, 3, v0
	v_cmp_gt_u32_e64 s[2:3], 8, v0
	v_ffbh_u32_e32 v0, v13
	v_min_u32_e32 v0, 32, v0
	v_subrev_u32_e32 v9, 28, v0
	v_lshlrev_b64 v[9:10], v9, v[11:12]
	v_sub_u32_e32 v0, 29, v0
	v_and_b32_e32 v9, 7, v9
	v_cndmask_b32_e64 v0, v14, v0, s[2:3]
	v_cndmask_b32_e64 v9, v13, v9, s[2:3]
	v_and_b32_sdwa v10, sext(v11), s28 dst_sel:DWORD dst_unused:UNUSED_PAD src0_sel:BYTE_0 src1_sel:DWORD
	v_bfrev_b32_e32 v11, 60
	v_lshlrev_b32_e32 v9, 20, v9
	v_lshl_add_u32 v0, v0, 23, v11
	v_or3_b32 v22, v10, v0, v9
	v_add_u32_e32 v10, -3, v49
	v_mov_b32_e32 v23, v5
.LBB214_456:                            ;   in Loop: Header=BB214_414 Depth=1
	s_or_b64 exec, exec, s[14:15]
.LBB214_457:                            ;   in Loop: Header=BB214_414 Depth=1
	s_or_b64 exec, exec, s[12:13]
.LBB214_458:                            ;   in Loop: Header=BB214_414 Depth=1
	s_or_b64 exec, exec, s[10:11]
	v_cmp_lt_u32_e64 s[2:3], s29, v17
	s_and_saveexec_b64 s[10:11], s[2:3]
	s_cbranch_execz .LBB214_464
; %bb.459:                              ;   in Loop: Header=BB214_414 Depth=1
	v_mov_b32_e32 v25, v6
	v_cmp_ne_u32_sdwa s[2:3], v17, s26 src0_sel:BYTE_3 src1_sel:DWORD
	v_mov_b32_e32 v24, v5
	s_and_saveexec_b64 s[12:13], s[2:3]
	s_cbranch_execz .LBB214_463
; %bb.460:                              ;   in Loop: Header=BB214_414 Depth=1
	v_bfe_u32 v0, v17, 24, 7
	v_mov_b32_e32 v11, v5
	v_mov_b32_e32 v25, v12
	v_cmp_ne_u32_e64 s[2:3], s27, v0
	v_mov_b32_e32 v24, v11
	s_and_saveexec_b64 s[14:15], s[2:3]
	s_cbranch_execz .LBB214_462
; %bb.461:                              ;   in Loop: Header=BB214_414 Depth=1
	v_mov_b32_e32 v9, 7
	v_and_b32_sdwa v9, v17, v9 dst_sel:DWORD dst_unused:UNUSED_PAD src0_sel:BYTE_3 src1_sel:DWORD
	v_lshrrev_b32_e32 v13, 3, v0
	v_cmp_gt_u32_e64 s[2:3], 8, v0
	v_ffbh_u32_e32 v0, v9
	v_min_u32_e32 v0, 32, v0
	v_mov_b32_e32 v10, v5
	v_subrev_u32_e32 v11, 28, v0
	v_lshlrev_b64 v[10:11], v11, v[9:10]
	v_sub_u32_e32 v0, 29, v0
	v_and_b32_e32 v10, 7, v10
	v_cndmask_b32_e64 v0, v13, v0, s[2:3]
	v_cndmask_b32_e64 v9, v9, v10, s[2:3]
	v_mov_b32_e32 v10, 24
	v_bfrev_b32_e32 v11, 60
	v_lshlrev_b32_sdwa v10, v10, v17 dst_sel:DWORD dst_unused:UNUSED_PAD src0_sel:DWORD src1_sel:BYTE_3
	v_lshl_add_u32 v0, v0, 23, v11
	v_and_or_b32 v0, v10, s28, v0
	v_lshlrev_b32_e32 v9, 20, v9
	v_add_u32_e32 v10, -3, v49
	v_or_b32_e32 v25, v0, v9
	v_mov_b32_e32 v24, v5
.LBB214_462:                            ;   in Loop: Header=BB214_414 Depth=1
	s_or_b64 exec, exec, s[14:15]
.LBB214_463:                            ;   in Loop: Header=BB214_414 Depth=1
	s_or_b64 exec, exec, s[12:13]
.LBB214_464:                            ;   in Loop: Header=BB214_414 Depth=1
	s_or_b64 exec, exec, s[10:11]
	v_or_b32_e32 v0, v21, v19
	v_or_b32_e32 v9, v20, v18
	v_mul_f32_e32 v0, s18, v0
	buffer_store_dword v0, off, s[48:51], 0 offset:36 ; 4-byte Folded Spill
	v_mul_f32_e32 v0, s17, v9
	buffer_store_dword v0, off, s[48:51], 0 offset:60 ; 4-byte Folded Spill
	v_or_b32_e32 v0, v25, v23
	v_or_b32_e32 v9, v24, v22
	v_mul_f32_e32 v9, s17, v9
	v_mul_f32_e32 v0, s18, v0
	buffer_store_dword v9, off, s[48:51], 0 offset:52 ; 4-byte Folded Spill
	buffer_store_dword v0, off, s[48:51], 0 offset:44 ; 4-byte Folded Spill
	s_and_saveexec_b64 s[10:11], vcc
	s_cbranch_execz .LBB214_466
; %bb.465:                              ;   in Loop: Header=BB214_414 Depth=1
	buffer_load_dword v0, off, s[48:51], 0 offset:60 ; 4-byte Folded Reload
	v_cmp_gt_i32_e64 s[2:3], s33, v10
	s_waitcnt vmcnt(0)
	v_cndmask_b32_e64 v0, 0, v0, s[2:3]
	buffer_store_dword v0, off, s[48:51], 0 offset:60 ; 4-byte Folded Spill
	v_add_u32_e32 v0, -2, v49
	v_cmp_gt_i32_e64 s[2:3], s33, v0
	buffer_load_dword v0, off, s[48:51], 0 offset:36 ; 4-byte Folded Reload
	s_waitcnt vmcnt(0)
	v_cndmask_b32_e64 v0, 0, v0, s[2:3]
	buffer_store_dword v0, off, s[48:51], 0 offset:36 ; 4-byte Folded Spill
	v_add_u32_e32 v0, -1, v49
	v_cmp_gt_i32_e64 s[2:3], s33, v0
	buffer_load_dword v0, off, s[48:51], 0 offset:52 ; 4-byte Folded Reload
	s_waitcnt vmcnt(0)
	v_cndmask_b32_e64 v0, 0, v0, s[2:3]
	buffer_store_dword v0, off, s[48:51], 0 offset:52 ; 4-byte Folded Spill
	buffer_load_dword v0, off, s[48:51], 0 offset:44 ; 4-byte Folded Reload
	v_cmp_gt_i32_e64 s[2:3], s33, v49
	s_waitcnt vmcnt(0)
	v_cndmask_b32_e64 v0, 0, v0, s[2:3]
	buffer_store_dword v0, off, s[48:51], 0 offset:44 ; 4-byte Folded Spill
.LBB214_466:                            ;   in Loop: Header=BB214_414 Depth=1
	s_or_b64 exec, exec, s[10:11]
	global_load_dword v17, v[15:16], off offset:512
	v_mov_b32_e32 v20, 0
	v_mov_b32_e32 v18, 0
	;; [unrolled: 1-line block ×4, first 2 shown]
	s_waitcnt vmcnt(0)
	v_cmp_ne_u16_sdwa s[2:3], v17, v5 src0_sel:BYTE_0 src1_sel:DWORD
	s_and_saveexec_b64 s[10:11], s[2:3]
	s_cbranch_execz .LBB214_472
; %bb.467:                              ;   in Loop: Header=BB214_414 Depth=1
	v_bfrev_b32_e32 v18, 1
	v_mov_b32_e32 v19, 0
	v_cmp_ne_u16_sdwa s[2:3], v17, s26 src0_sel:BYTE_0 src1_sel:DWORD
	s_and_saveexec_b64 s[12:13], s[2:3]
	s_cbranch_execz .LBB214_471
; %bb.468:                              ;   in Loop: Header=BB214_414 Depth=1
	v_and_b32_e32 v0, 0x7f, v17
	v_mov_b32_e32 v18, 0x7f800001
	v_mov_b32_e32 v19, 0
	v_cmp_ne_u32_e64 s[2:3], s27, v0
	s_and_saveexec_b64 s[14:15], s[2:3]
	s_cbranch_execz .LBB214_470
; %bb.469:                              ;   in Loop: Header=BB214_414 Depth=1
	v_and_b32_e32 v11, 7, v17
	v_lshrrev_b32_e32 v13, 3, v0
	v_cmp_gt_u32_e64 s[2:3], 8, v0
	v_ffbh_u32_e32 v0, v11
	v_min_u32_e32 v0, 32, v0
	v_subrev_u32_e32 v9, 28, v0
	v_lshlrev_b64 v[9:10], v9, v[17:18]
	v_sub_u32_e32 v0, 29, v0
	v_and_b32_e32 v9, 7, v9
	v_cndmask_b32_e64 v0, v13, v0, s[2:3]
	v_cndmask_b32_e64 v9, v11, v9, s[2:3]
	v_bfrev_b32_e32 v11, 60
	v_lshlrev_b32_e32 v9, 20, v9
	v_and_b32_sdwa v10, sext(v17), s28 dst_sel:DWORD dst_unused:UNUSED_PAD src0_sel:BYTE_0 src1_sel:DWORD
	v_lshl_add_u32 v0, v0, 23, v11
	v_or3_b32 v18, v10, v0, v9
	v_add_u32_e32 v10, -3, v49
	v_mov_b32_e32 v19, v5
.LBB214_470:                            ;   in Loop: Header=BB214_414 Depth=1
	s_or_b64 exec, exec, s[14:15]
.LBB214_471:                            ;   in Loop: Header=BB214_414 Depth=1
	s_or_b64 exec, exec, s[12:13]
.LBB214_472:                            ;   in Loop: Header=BB214_414 Depth=1
	s_or_b64 exec, exec, s[10:11]
	v_cmp_ne_u16_sdwa s[2:3], v17, v5 src0_sel:BYTE_1 src1_sel:DWORD
	s_and_saveexec_b64 s[10:11], s[2:3]
	s_cbranch_execz .LBB214_478
; %bb.473:                              ;   in Loop: Header=BB214_414 Depth=1
	v_mov_b32_e32 v21, v6
	v_cmp_ne_u16_sdwa s[2:3], v17, s26 src0_sel:BYTE_1 src1_sel:DWORD
	v_mov_b32_e32 v20, v5
	s_and_saveexec_b64 s[12:13], s[2:3]
	s_cbranch_execz .LBB214_477
; %bb.474:                              ;   in Loop: Header=BB214_414 Depth=1
	v_and_b32_sdwa v0, v17, s27 dst_sel:DWORD dst_unused:UNUSED_PAD src0_sel:BYTE_1 src1_sel:DWORD
	v_mov_b32_e32 v11, v5
	v_mov_b32_e32 v21, v12
	v_cmp_ne_u32_e64 s[2:3], s27, v0
	v_mov_b32_e32 v20, v11
	s_and_saveexec_b64 s[14:15], s[2:3]
	s_cbranch_execz .LBB214_476
; %bb.475:                              ;   in Loop: Header=BB214_414 Depth=1
	v_mov_b32_e32 v9, 7
	v_and_b32_sdwa v9, v17, v9 dst_sel:DWORD dst_unused:UNUSED_PAD src0_sel:BYTE_1 src1_sel:DWORD
	v_lshrrev_b32_e32 v13, 3, v0
	v_cmp_gt_u32_e64 s[2:3], 8, v0
	v_ffbh_u32_e32 v0, v9
	v_min_u32_e32 v0, 32, v0
	v_mov_b32_e32 v10, v5
	v_subrev_u32_e32 v11, 28, v0
	v_lshlrev_b64 v[10:11], v11, v[9:10]
	v_sub_u32_e32 v0, 29, v0
	v_and_b32_e32 v10, 7, v10
	v_cndmask_b32_e64 v0, v13, v0, s[2:3]
	v_bfrev_b32_e32 v11, 60
	v_cndmask_b32_e64 v9, v9, v10, s[2:3]
	v_lshlrev_b32_e32 v10, 16, v17
	v_lshl_add_u32 v0, v0, 23, v11
	v_and_or_b32 v0, v10, s28, v0
	v_lshlrev_b32_e32 v9, 20, v9
	v_add_u32_e32 v10, -3, v49
	v_or_b32_e32 v21, v0, v9
	v_mov_b32_e32 v20, v5
.LBB214_476:                            ;   in Loop: Header=BB214_414 Depth=1
	s_or_b64 exec, exec, s[14:15]
.LBB214_477:                            ;   in Loop: Header=BB214_414 Depth=1
	s_or_b64 exec, exec, s[12:13]
.LBB214_478:                            ;   in Loop: Header=BB214_414 Depth=1
	s_or_b64 exec, exec, s[10:11]
	v_lshrrev_b32_e32 v11, 16, v17
	v_mov_b32_e32 v24, 0
	v_mov_b32_e32 v22, 0
	;; [unrolled: 1-line block ×4, first 2 shown]
	v_cmp_ne_u16_sdwa s[2:3], v11, v5 src0_sel:BYTE_0 src1_sel:DWORD
	s_and_saveexec_b64 s[10:11], s[2:3]
	s_cbranch_execz .LBB214_484
; %bb.479:                              ;   in Loop: Header=BB214_414 Depth=1
	v_bfrev_b32_e32 v22, 1
	v_mov_b32_e32 v23, 0
	v_cmp_ne_u16_sdwa s[2:3], v11, s26 src0_sel:BYTE_0 src1_sel:DWORD
	s_and_saveexec_b64 s[12:13], s[2:3]
	s_cbranch_execz .LBB214_483
; %bb.480:                              ;   in Loop: Header=BB214_414 Depth=1
	v_bfe_u32 v0, v17, 16, 7
	v_mov_b32_e32 v22, 0x7f800001
	v_mov_b32_e32 v23, 0
	v_cmp_ne_u32_e64 s[2:3], s27, v0
	s_and_saveexec_b64 s[14:15], s[2:3]
	s_cbranch_execz .LBB214_482
; %bb.481:                              ;   in Loop: Header=BB214_414 Depth=1
	v_and_b32_e32 v13, 7, v11
	v_lshrrev_b32_e32 v14, 3, v0
	v_cmp_gt_u32_e64 s[2:3], 8, v0
	v_ffbh_u32_e32 v0, v13
	v_min_u32_e32 v0, 32, v0
	v_subrev_u32_e32 v9, 28, v0
	v_lshlrev_b64 v[9:10], v9, v[11:12]
	v_sub_u32_e32 v0, 29, v0
	v_and_b32_e32 v9, 7, v9
	v_cndmask_b32_e64 v0, v14, v0, s[2:3]
	v_cndmask_b32_e64 v9, v13, v9, s[2:3]
	v_and_b32_sdwa v10, sext(v11), s28 dst_sel:DWORD dst_unused:UNUSED_PAD src0_sel:BYTE_0 src1_sel:DWORD
	v_bfrev_b32_e32 v11, 60
	v_lshlrev_b32_e32 v9, 20, v9
	v_lshl_add_u32 v0, v0, 23, v11
	v_or3_b32 v22, v10, v0, v9
	v_add_u32_e32 v10, -3, v49
	v_mov_b32_e32 v23, v5
.LBB214_482:                            ;   in Loop: Header=BB214_414 Depth=1
	s_or_b64 exec, exec, s[14:15]
.LBB214_483:                            ;   in Loop: Header=BB214_414 Depth=1
	s_or_b64 exec, exec, s[12:13]
.LBB214_484:                            ;   in Loop: Header=BB214_414 Depth=1
	s_or_b64 exec, exec, s[10:11]
	v_cmp_lt_u32_e64 s[2:3], s29, v17
	s_and_saveexec_b64 s[10:11], s[2:3]
	s_cbranch_execz .LBB214_490
; %bb.485:                              ;   in Loop: Header=BB214_414 Depth=1
	v_mov_b32_e32 v25, v6
	v_cmp_ne_u32_sdwa s[2:3], v17, s26 src0_sel:BYTE_3 src1_sel:DWORD
	v_mov_b32_e32 v24, v5
	s_and_saveexec_b64 s[12:13], s[2:3]
	s_cbranch_execz .LBB214_489
; %bb.486:                              ;   in Loop: Header=BB214_414 Depth=1
	v_bfe_u32 v0, v17, 24, 7
	v_mov_b32_e32 v11, v5
	v_mov_b32_e32 v25, v12
	v_cmp_ne_u32_e64 s[2:3], s27, v0
	v_mov_b32_e32 v24, v11
	s_and_saveexec_b64 s[14:15], s[2:3]
	s_cbranch_execz .LBB214_488
; %bb.487:                              ;   in Loop: Header=BB214_414 Depth=1
	v_mov_b32_e32 v9, 7
	v_and_b32_sdwa v9, v17, v9 dst_sel:DWORD dst_unused:UNUSED_PAD src0_sel:BYTE_3 src1_sel:DWORD
	v_lshrrev_b32_e32 v13, 3, v0
	v_cmp_gt_u32_e64 s[2:3], 8, v0
	v_ffbh_u32_e32 v0, v9
	v_min_u32_e32 v0, 32, v0
	v_mov_b32_e32 v10, v5
	v_subrev_u32_e32 v11, 28, v0
	v_lshlrev_b64 v[10:11], v11, v[9:10]
	v_sub_u32_e32 v0, 29, v0
	v_and_b32_e32 v10, 7, v10
	v_cndmask_b32_e64 v0, v13, v0, s[2:3]
	v_cndmask_b32_e64 v9, v9, v10, s[2:3]
	v_mov_b32_e32 v10, 24
	v_bfrev_b32_e32 v11, 60
	v_lshlrev_b32_sdwa v10, v10, v17 dst_sel:DWORD dst_unused:UNUSED_PAD src0_sel:DWORD src1_sel:BYTE_3
	v_lshl_add_u32 v0, v0, 23, v11
	v_and_or_b32 v0, v10, s28, v0
	v_lshlrev_b32_e32 v9, 20, v9
	v_add_u32_e32 v10, -3, v49
	v_or_b32_e32 v25, v0, v9
	v_mov_b32_e32 v24, v5
.LBB214_488:                            ;   in Loop: Header=BB214_414 Depth=1
	s_or_b64 exec, exec, s[14:15]
.LBB214_489:                            ;   in Loop: Header=BB214_414 Depth=1
	s_or_b64 exec, exec, s[12:13]
.LBB214_490:                            ;   in Loop: Header=BB214_414 Depth=1
	s_or_b64 exec, exec, s[10:11]
	v_or_b32_e32 v0, v21, v19
	v_or_b32_e32 v9, v20, v18
	v_mul_f32_e32 v0, s18, v0
	buffer_store_dword v0, off, s[48:51], 0 offset:68 ; 4-byte Folded Spill
	v_mul_f32_e32 v0, s17, v9
	buffer_store_dword v0, off, s[48:51], 0 offset:92 ; 4-byte Folded Spill
	v_or_b32_e32 v0, v25, v23
	v_or_b32_e32 v9, v24, v22
	v_mul_f32_e32 v9, s17, v9
	v_mul_f32_e32 v0, s18, v0
	buffer_store_dword v9, off, s[48:51], 0 offset:84 ; 4-byte Folded Spill
	buffer_store_dword v0, off, s[48:51], 0 offset:76 ; 4-byte Folded Spill
	s_and_saveexec_b64 s[10:11], vcc
	s_cbranch_execz .LBB214_492
; %bb.491:                              ;   in Loop: Header=BB214_414 Depth=1
	buffer_load_dword v0, off, s[48:51], 0 offset:92 ; 4-byte Folded Reload
	v_cmp_gt_i32_e64 s[2:3], s33, v10
	s_waitcnt vmcnt(0)
	v_cndmask_b32_e64 v0, 0, v0, s[2:3]
	buffer_store_dword v0, off, s[48:51], 0 offset:92 ; 4-byte Folded Spill
	v_add_u32_e32 v0, -2, v49
	v_cmp_gt_i32_e64 s[2:3], s33, v0
	buffer_load_dword v0, off, s[48:51], 0 offset:68 ; 4-byte Folded Reload
	s_waitcnt vmcnt(0)
	v_cndmask_b32_e64 v0, 0, v0, s[2:3]
	buffer_store_dword v0, off, s[48:51], 0 offset:68 ; 4-byte Folded Spill
	v_add_u32_e32 v0, -1, v49
	v_cmp_gt_i32_e64 s[2:3], s33, v0
	buffer_load_dword v0, off, s[48:51], 0 offset:84 ; 4-byte Folded Reload
	s_waitcnt vmcnt(0)
	v_cndmask_b32_e64 v0, 0, v0, s[2:3]
	buffer_store_dword v0, off, s[48:51], 0 offset:84 ; 4-byte Folded Spill
	buffer_load_dword v0, off, s[48:51], 0 offset:76 ; 4-byte Folded Reload
	v_cmp_gt_i32_e64 s[2:3], s33, v49
	s_waitcnt vmcnt(0)
	v_cndmask_b32_e64 v0, 0, v0, s[2:3]
	buffer_store_dword v0, off, s[48:51], 0 offset:76 ; 4-byte Folded Spill
.LBB214_492:                            ;   in Loop: Header=BB214_414 Depth=1
	s_or_b64 exec, exec, s[10:11]
	global_load_dword v17, v[15:16], off offset:768
	v_mov_b32_e32 v20, 0
	v_mov_b32_e32 v18, 0
	;; [unrolled: 1-line block ×4, first 2 shown]
	s_waitcnt vmcnt(0)
	v_cmp_ne_u16_sdwa s[2:3], v17, v5 src0_sel:BYTE_0 src1_sel:DWORD
	s_and_saveexec_b64 s[10:11], s[2:3]
	s_cbranch_execz .LBB214_498
; %bb.493:                              ;   in Loop: Header=BB214_414 Depth=1
	v_bfrev_b32_e32 v18, 1
	v_mov_b32_e32 v19, 0
	v_cmp_ne_u16_sdwa s[2:3], v17, s26 src0_sel:BYTE_0 src1_sel:DWORD
	s_and_saveexec_b64 s[12:13], s[2:3]
	s_cbranch_execz .LBB214_497
; %bb.494:                              ;   in Loop: Header=BB214_414 Depth=1
	v_and_b32_e32 v0, 0x7f, v17
	v_mov_b32_e32 v18, 0x7f800001
	v_mov_b32_e32 v19, 0
	v_cmp_ne_u32_e64 s[2:3], s27, v0
	s_and_saveexec_b64 s[14:15], s[2:3]
	s_cbranch_execz .LBB214_496
; %bb.495:                              ;   in Loop: Header=BB214_414 Depth=1
	v_and_b32_e32 v11, 7, v17
	v_lshrrev_b32_e32 v13, 3, v0
	v_cmp_gt_u32_e64 s[2:3], 8, v0
	v_ffbh_u32_e32 v0, v11
	v_min_u32_e32 v0, 32, v0
	v_subrev_u32_e32 v9, 28, v0
	v_lshlrev_b64 v[9:10], v9, v[17:18]
	v_sub_u32_e32 v0, 29, v0
	v_and_b32_e32 v9, 7, v9
	v_cndmask_b32_e64 v0, v13, v0, s[2:3]
	v_cndmask_b32_e64 v9, v11, v9, s[2:3]
	v_bfrev_b32_e32 v11, 60
	v_lshlrev_b32_e32 v9, 20, v9
	v_and_b32_sdwa v10, sext(v17), s28 dst_sel:DWORD dst_unused:UNUSED_PAD src0_sel:BYTE_0 src1_sel:DWORD
	v_lshl_add_u32 v0, v0, 23, v11
	v_or3_b32 v18, v10, v0, v9
	v_add_u32_e32 v10, -3, v49
	v_mov_b32_e32 v19, v5
.LBB214_496:                            ;   in Loop: Header=BB214_414 Depth=1
	s_or_b64 exec, exec, s[14:15]
.LBB214_497:                            ;   in Loop: Header=BB214_414 Depth=1
	s_or_b64 exec, exec, s[12:13]
.LBB214_498:                            ;   in Loop: Header=BB214_414 Depth=1
	s_or_b64 exec, exec, s[10:11]
	v_cmp_ne_u16_sdwa s[2:3], v17, v5 src0_sel:BYTE_1 src1_sel:DWORD
	s_and_saveexec_b64 s[10:11], s[2:3]
	s_cbranch_execz .LBB214_504
; %bb.499:                              ;   in Loop: Header=BB214_414 Depth=1
	v_mov_b32_e32 v21, v6
	v_cmp_ne_u16_sdwa s[2:3], v17, s26 src0_sel:BYTE_1 src1_sel:DWORD
	v_mov_b32_e32 v20, v5
	s_and_saveexec_b64 s[12:13], s[2:3]
	s_cbranch_execz .LBB214_503
; %bb.500:                              ;   in Loop: Header=BB214_414 Depth=1
	v_and_b32_sdwa v0, v17, s27 dst_sel:DWORD dst_unused:UNUSED_PAD src0_sel:BYTE_1 src1_sel:DWORD
	v_mov_b32_e32 v11, v5
	v_mov_b32_e32 v21, v12
	v_cmp_ne_u32_e64 s[2:3], s27, v0
	v_mov_b32_e32 v20, v11
	s_and_saveexec_b64 s[14:15], s[2:3]
	s_cbranch_execz .LBB214_502
; %bb.501:                              ;   in Loop: Header=BB214_414 Depth=1
	v_mov_b32_e32 v9, 7
	v_and_b32_sdwa v9, v17, v9 dst_sel:DWORD dst_unused:UNUSED_PAD src0_sel:BYTE_1 src1_sel:DWORD
	v_lshrrev_b32_e32 v13, 3, v0
	v_cmp_gt_u32_e64 s[2:3], 8, v0
	v_ffbh_u32_e32 v0, v9
	v_min_u32_e32 v0, 32, v0
	v_mov_b32_e32 v10, v5
	v_subrev_u32_e32 v11, 28, v0
	v_lshlrev_b64 v[10:11], v11, v[9:10]
	v_sub_u32_e32 v0, 29, v0
	v_and_b32_e32 v10, 7, v10
	v_cndmask_b32_e64 v0, v13, v0, s[2:3]
	v_bfrev_b32_e32 v11, 60
	v_cndmask_b32_e64 v9, v9, v10, s[2:3]
	v_lshlrev_b32_e32 v10, 16, v17
	v_lshl_add_u32 v0, v0, 23, v11
	v_and_or_b32 v0, v10, s28, v0
	v_lshlrev_b32_e32 v9, 20, v9
	v_add_u32_e32 v10, -3, v49
	v_or_b32_e32 v21, v0, v9
	v_mov_b32_e32 v20, v5
.LBB214_502:                            ;   in Loop: Header=BB214_414 Depth=1
	s_or_b64 exec, exec, s[14:15]
.LBB214_503:                            ;   in Loop: Header=BB214_414 Depth=1
	s_or_b64 exec, exec, s[12:13]
.LBB214_504:                            ;   in Loop: Header=BB214_414 Depth=1
	s_or_b64 exec, exec, s[10:11]
	v_lshrrev_b32_e32 v11, 16, v17
	v_mov_b32_e32 v24, 0
	v_mov_b32_e32 v22, 0
	;; [unrolled: 1-line block ×4, first 2 shown]
	v_cmp_ne_u16_sdwa s[2:3], v11, v5 src0_sel:BYTE_0 src1_sel:DWORD
	s_and_saveexec_b64 s[10:11], s[2:3]
	s_cbranch_execz .LBB214_510
; %bb.505:                              ;   in Loop: Header=BB214_414 Depth=1
	v_bfrev_b32_e32 v22, 1
	v_mov_b32_e32 v23, 0
	v_cmp_ne_u16_sdwa s[2:3], v11, s26 src0_sel:BYTE_0 src1_sel:DWORD
	s_and_saveexec_b64 s[12:13], s[2:3]
	s_cbranch_execz .LBB214_509
; %bb.506:                              ;   in Loop: Header=BB214_414 Depth=1
	v_bfe_u32 v0, v17, 16, 7
	v_mov_b32_e32 v22, 0x7f800001
	v_mov_b32_e32 v23, 0
	v_cmp_ne_u32_e64 s[2:3], s27, v0
	s_and_saveexec_b64 s[14:15], s[2:3]
	s_cbranch_execz .LBB214_508
; %bb.507:                              ;   in Loop: Header=BB214_414 Depth=1
	v_and_b32_e32 v13, 7, v11
	v_lshrrev_b32_e32 v14, 3, v0
	v_cmp_gt_u32_e64 s[2:3], 8, v0
	v_ffbh_u32_e32 v0, v13
	v_min_u32_e32 v0, 32, v0
	v_subrev_u32_e32 v9, 28, v0
	v_lshlrev_b64 v[9:10], v9, v[11:12]
	v_sub_u32_e32 v0, 29, v0
	v_and_b32_e32 v9, 7, v9
	v_cndmask_b32_e64 v0, v14, v0, s[2:3]
	v_cndmask_b32_e64 v9, v13, v9, s[2:3]
	v_and_b32_sdwa v10, sext(v11), s28 dst_sel:DWORD dst_unused:UNUSED_PAD src0_sel:BYTE_0 src1_sel:DWORD
	v_bfrev_b32_e32 v11, 60
	v_lshlrev_b32_e32 v9, 20, v9
	v_lshl_add_u32 v0, v0, 23, v11
	v_or3_b32 v22, v10, v0, v9
	v_add_u32_e32 v10, -3, v49
	v_mov_b32_e32 v23, v5
.LBB214_508:                            ;   in Loop: Header=BB214_414 Depth=1
	s_or_b64 exec, exec, s[14:15]
.LBB214_509:                            ;   in Loop: Header=BB214_414 Depth=1
	s_or_b64 exec, exec, s[12:13]
.LBB214_510:                            ;   in Loop: Header=BB214_414 Depth=1
	s_or_b64 exec, exec, s[10:11]
	v_cmp_lt_u32_e64 s[2:3], s29, v17
	s_and_saveexec_b64 s[10:11], s[2:3]
	s_cbranch_execz .LBB214_516
; %bb.511:                              ;   in Loop: Header=BB214_414 Depth=1
	v_mov_b32_e32 v25, v6
	v_cmp_ne_u32_sdwa s[2:3], v17, s26 src0_sel:BYTE_3 src1_sel:DWORD
	v_mov_b32_e32 v24, v5
	s_and_saveexec_b64 s[12:13], s[2:3]
	s_cbranch_execz .LBB214_515
; %bb.512:                              ;   in Loop: Header=BB214_414 Depth=1
	v_bfe_u32 v0, v17, 24, 7
	v_mov_b32_e32 v11, v5
	v_mov_b32_e32 v25, v12
	v_cmp_ne_u32_e64 s[2:3], s27, v0
	v_mov_b32_e32 v24, v11
	s_and_saveexec_b64 s[14:15], s[2:3]
	s_cbranch_execz .LBB214_514
; %bb.513:                              ;   in Loop: Header=BB214_414 Depth=1
	v_mov_b32_e32 v9, 7
	v_and_b32_sdwa v9, v17, v9 dst_sel:DWORD dst_unused:UNUSED_PAD src0_sel:BYTE_3 src1_sel:DWORD
	v_lshrrev_b32_e32 v13, 3, v0
	v_cmp_gt_u32_e64 s[2:3], 8, v0
	v_ffbh_u32_e32 v0, v9
	v_min_u32_e32 v0, 32, v0
	v_mov_b32_e32 v10, v5
	v_subrev_u32_e32 v11, 28, v0
	v_lshlrev_b64 v[10:11], v11, v[9:10]
	v_sub_u32_e32 v0, 29, v0
	v_and_b32_e32 v10, 7, v10
	v_cndmask_b32_e64 v0, v13, v0, s[2:3]
	v_cndmask_b32_e64 v9, v9, v10, s[2:3]
	v_mov_b32_e32 v10, 24
	v_bfrev_b32_e32 v11, 60
	v_lshlrev_b32_sdwa v10, v10, v17 dst_sel:DWORD dst_unused:UNUSED_PAD src0_sel:DWORD src1_sel:BYTE_3
	v_lshl_add_u32 v0, v0, 23, v11
	v_and_or_b32 v0, v10, s28, v0
	v_lshlrev_b32_e32 v9, 20, v9
	v_add_u32_e32 v10, -3, v49
	v_or_b32_e32 v25, v0, v9
	v_mov_b32_e32 v24, v5
.LBB214_514:                            ;   in Loop: Header=BB214_414 Depth=1
	s_or_b64 exec, exec, s[14:15]
.LBB214_515:                            ;   in Loop: Header=BB214_414 Depth=1
	s_or_b64 exec, exec, s[12:13]
.LBB214_516:                            ;   in Loop: Header=BB214_414 Depth=1
	s_or_b64 exec, exec, s[10:11]
	v_or_b32_e32 v0, v21, v19
	v_or_b32_e32 v9, v20, v18
	v_mul_f32_e32 v0, s18, v0
	buffer_store_dword v0, off, s[48:51], 0 offset:100 ; 4-byte Folded Spill
	v_mul_f32_e32 v0, s17, v9
	buffer_store_dword v0, off, s[48:51], 0 offset:124 ; 4-byte Folded Spill
	v_or_b32_e32 v0, v25, v23
	v_or_b32_e32 v9, v24, v22
	v_mul_f32_e32 v9, s17, v9
	v_mul_f32_e32 v0, s18, v0
	buffer_store_dword v9, off, s[48:51], 0 offset:116 ; 4-byte Folded Spill
	buffer_store_dword v0, off, s[48:51], 0 offset:108 ; 4-byte Folded Spill
	s_and_saveexec_b64 s[10:11], vcc
	s_cbranch_execz .LBB214_518
; %bb.517:                              ;   in Loop: Header=BB214_414 Depth=1
	buffer_load_dword v0, off, s[48:51], 0 offset:124 ; 4-byte Folded Reload
	v_cmp_gt_i32_e64 s[2:3], s33, v10
	s_waitcnt vmcnt(0)
	v_cndmask_b32_e64 v0, 0, v0, s[2:3]
	buffer_store_dword v0, off, s[48:51], 0 offset:124 ; 4-byte Folded Spill
	v_add_u32_e32 v0, -2, v49
	v_cmp_gt_i32_e64 s[2:3], s33, v0
	buffer_load_dword v0, off, s[48:51], 0 offset:100 ; 4-byte Folded Reload
	s_waitcnt vmcnt(0)
	v_cndmask_b32_e64 v0, 0, v0, s[2:3]
	buffer_store_dword v0, off, s[48:51], 0 offset:100 ; 4-byte Folded Spill
	v_add_u32_e32 v0, -1, v49
	v_cmp_gt_i32_e64 s[2:3], s33, v0
	buffer_load_dword v0, off, s[48:51], 0 offset:116 ; 4-byte Folded Reload
	s_waitcnt vmcnt(0)
	v_cndmask_b32_e64 v0, 0, v0, s[2:3]
	buffer_store_dword v0, off, s[48:51], 0 offset:116 ; 4-byte Folded Spill
	buffer_load_dword v0, off, s[48:51], 0 offset:108 ; 4-byte Folded Reload
	v_cmp_gt_i32_e64 s[2:3], s33, v49
	s_waitcnt vmcnt(0)
	v_cndmask_b32_e64 v0, 0, v0, s[2:3]
	buffer_store_dword v0, off, s[48:51], 0 offset:108 ; 4-byte Folded Spill
.LBB214_518:                            ;   in Loop: Header=BB214_414 Depth=1
	s_or_b64 exec, exec, s[10:11]
	global_load_dword v17, v[15:16], off offset:1024
	v_mov_b32_e32 v20, 0
	v_mov_b32_e32 v18, 0
	;; [unrolled: 1-line block ×4, first 2 shown]
	s_waitcnt vmcnt(0)
	v_cmp_ne_u16_sdwa s[2:3], v17, v5 src0_sel:BYTE_0 src1_sel:DWORD
	s_and_saveexec_b64 s[10:11], s[2:3]
	s_cbranch_execz .LBB214_524
; %bb.519:                              ;   in Loop: Header=BB214_414 Depth=1
	v_bfrev_b32_e32 v18, 1
	v_mov_b32_e32 v19, 0
	v_cmp_ne_u16_sdwa s[2:3], v17, s26 src0_sel:BYTE_0 src1_sel:DWORD
	s_and_saveexec_b64 s[12:13], s[2:3]
	s_cbranch_execz .LBB214_523
; %bb.520:                              ;   in Loop: Header=BB214_414 Depth=1
	v_and_b32_e32 v0, 0x7f, v17
	v_mov_b32_e32 v18, 0x7f800001
	v_mov_b32_e32 v19, 0
	v_cmp_ne_u32_e64 s[2:3], s27, v0
	s_and_saveexec_b64 s[14:15], s[2:3]
	s_cbranch_execz .LBB214_522
; %bb.521:                              ;   in Loop: Header=BB214_414 Depth=1
	v_and_b32_e32 v11, 7, v17
	v_lshrrev_b32_e32 v13, 3, v0
	v_cmp_gt_u32_e64 s[2:3], 8, v0
	v_ffbh_u32_e32 v0, v11
	v_min_u32_e32 v0, 32, v0
	v_subrev_u32_e32 v9, 28, v0
	v_lshlrev_b64 v[9:10], v9, v[17:18]
	v_sub_u32_e32 v0, 29, v0
	v_and_b32_e32 v9, 7, v9
	v_cndmask_b32_e64 v0, v13, v0, s[2:3]
	v_cndmask_b32_e64 v9, v11, v9, s[2:3]
	v_bfrev_b32_e32 v11, 60
	v_lshlrev_b32_e32 v9, 20, v9
	v_and_b32_sdwa v10, sext(v17), s28 dst_sel:DWORD dst_unused:UNUSED_PAD src0_sel:BYTE_0 src1_sel:DWORD
	v_lshl_add_u32 v0, v0, 23, v11
	v_or3_b32 v18, v10, v0, v9
	v_add_u32_e32 v10, -3, v49
	v_mov_b32_e32 v19, v5
.LBB214_522:                            ;   in Loop: Header=BB214_414 Depth=1
	s_or_b64 exec, exec, s[14:15]
.LBB214_523:                            ;   in Loop: Header=BB214_414 Depth=1
	s_or_b64 exec, exec, s[12:13]
.LBB214_524:                            ;   in Loop: Header=BB214_414 Depth=1
	s_or_b64 exec, exec, s[10:11]
	v_cmp_ne_u16_sdwa s[2:3], v17, v5 src0_sel:BYTE_1 src1_sel:DWORD
	s_and_saveexec_b64 s[10:11], s[2:3]
	s_cbranch_execz .LBB214_530
; %bb.525:                              ;   in Loop: Header=BB214_414 Depth=1
	v_mov_b32_e32 v21, v6
	v_cmp_ne_u16_sdwa s[2:3], v17, s26 src0_sel:BYTE_1 src1_sel:DWORD
	v_mov_b32_e32 v20, v5
	s_and_saveexec_b64 s[12:13], s[2:3]
	s_cbranch_execz .LBB214_529
; %bb.526:                              ;   in Loop: Header=BB214_414 Depth=1
	v_and_b32_sdwa v0, v17, s27 dst_sel:DWORD dst_unused:UNUSED_PAD src0_sel:BYTE_1 src1_sel:DWORD
	v_mov_b32_e32 v11, v5
	v_mov_b32_e32 v21, v12
	v_cmp_ne_u32_e64 s[2:3], s27, v0
	v_mov_b32_e32 v20, v11
	s_and_saveexec_b64 s[14:15], s[2:3]
	s_cbranch_execz .LBB214_528
; %bb.527:                              ;   in Loop: Header=BB214_414 Depth=1
	v_mov_b32_e32 v9, 7
	v_and_b32_sdwa v9, v17, v9 dst_sel:DWORD dst_unused:UNUSED_PAD src0_sel:BYTE_1 src1_sel:DWORD
	v_lshrrev_b32_e32 v13, 3, v0
	v_cmp_gt_u32_e64 s[2:3], 8, v0
	v_ffbh_u32_e32 v0, v9
	v_min_u32_e32 v0, 32, v0
	v_mov_b32_e32 v10, v5
	v_subrev_u32_e32 v11, 28, v0
	v_lshlrev_b64 v[10:11], v11, v[9:10]
	v_sub_u32_e32 v0, 29, v0
	v_and_b32_e32 v10, 7, v10
	v_cndmask_b32_e64 v0, v13, v0, s[2:3]
	v_bfrev_b32_e32 v11, 60
	v_cndmask_b32_e64 v9, v9, v10, s[2:3]
	v_lshlrev_b32_e32 v10, 16, v17
	v_lshl_add_u32 v0, v0, 23, v11
	v_and_or_b32 v0, v10, s28, v0
	v_lshlrev_b32_e32 v9, 20, v9
	v_add_u32_e32 v10, -3, v49
	v_or_b32_e32 v21, v0, v9
	v_mov_b32_e32 v20, v5
.LBB214_528:                            ;   in Loop: Header=BB214_414 Depth=1
	s_or_b64 exec, exec, s[14:15]
.LBB214_529:                            ;   in Loop: Header=BB214_414 Depth=1
	s_or_b64 exec, exec, s[12:13]
.LBB214_530:                            ;   in Loop: Header=BB214_414 Depth=1
	s_or_b64 exec, exec, s[10:11]
	v_lshrrev_b32_e32 v11, 16, v17
	v_mov_b32_e32 v24, 0
	v_mov_b32_e32 v22, 0
	;; [unrolled: 1-line block ×4, first 2 shown]
	v_cmp_ne_u16_sdwa s[2:3], v11, v5 src0_sel:BYTE_0 src1_sel:DWORD
	s_and_saveexec_b64 s[10:11], s[2:3]
	s_cbranch_execz .LBB214_536
; %bb.531:                              ;   in Loop: Header=BB214_414 Depth=1
	v_bfrev_b32_e32 v22, 1
	v_mov_b32_e32 v23, 0
	v_cmp_ne_u16_sdwa s[2:3], v11, s26 src0_sel:BYTE_0 src1_sel:DWORD
	s_and_saveexec_b64 s[12:13], s[2:3]
	s_cbranch_execz .LBB214_535
; %bb.532:                              ;   in Loop: Header=BB214_414 Depth=1
	v_bfe_u32 v0, v17, 16, 7
	v_mov_b32_e32 v22, 0x7f800001
	v_mov_b32_e32 v23, 0
	v_cmp_ne_u32_e64 s[2:3], s27, v0
	s_and_saveexec_b64 s[14:15], s[2:3]
	s_cbranch_execz .LBB214_534
; %bb.533:                              ;   in Loop: Header=BB214_414 Depth=1
	v_and_b32_e32 v13, 7, v11
	v_lshrrev_b32_e32 v14, 3, v0
	v_cmp_gt_u32_e64 s[2:3], 8, v0
	v_ffbh_u32_e32 v0, v13
	v_min_u32_e32 v0, 32, v0
	v_subrev_u32_e32 v9, 28, v0
	v_lshlrev_b64 v[9:10], v9, v[11:12]
	v_sub_u32_e32 v0, 29, v0
	v_and_b32_e32 v9, 7, v9
	v_cndmask_b32_e64 v0, v14, v0, s[2:3]
	v_cndmask_b32_e64 v9, v13, v9, s[2:3]
	v_and_b32_sdwa v10, sext(v11), s28 dst_sel:DWORD dst_unused:UNUSED_PAD src0_sel:BYTE_0 src1_sel:DWORD
	v_bfrev_b32_e32 v11, 60
	v_lshlrev_b32_e32 v9, 20, v9
	v_lshl_add_u32 v0, v0, 23, v11
	v_or3_b32 v22, v10, v0, v9
	v_add_u32_e32 v10, -3, v49
	v_mov_b32_e32 v23, v5
.LBB214_534:                            ;   in Loop: Header=BB214_414 Depth=1
	s_or_b64 exec, exec, s[14:15]
.LBB214_535:                            ;   in Loop: Header=BB214_414 Depth=1
	s_or_b64 exec, exec, s[12:13]
.LBB214_536:                            ;   in Loop: Header=BB214_414 Depth=1
	s_or_b64 exec, exec, s[10:11]
	v_cmp_lt_u32_e64 s[2:3], s29, v17
	s_and_saveexec_b64 s[10:11], s[2:3]
	s_cbranch_execz .LBB214_542
; %bb.537:                              ;   in Loop: Header=BB214_414 Depth=1
	v_mov_b32_e32 v25, v6
	v_cmp_ne_u32_sdwa s[2:3], v17, s26 src0_sel:BYTE_3 src1_sel:DWORD
	v_mov_b32_e32 v24, v5
	s_and_saveexec_b64 s[12:13], s[2:3]
	s_cbranch_execz .LBB214_541
; %bb.538:                              ;   in Loop: Header=BB214_414 Depth=1
	v_bfe_u32 v0, v17, 24, 7
	v_mov_b32_e32 v11, v5
	v_mov_b32_e32 v25, v12
	v_cmp_ne_u32_e64 s[2:3], s27, v0
	v_mov_b32_e32 v24, v11
	s_and_saveexec_b64 s[14:15], s[2:3]
	s_cbranch_execz .LBB214_540
; %bb.539:                              ;   in Loop: Header=BB214_414 Depth=1
	v_mov_b32_e32 v9, 7
	v_and_b32_sdwa v9, v17, v9 dst_sel:DWORD dst_unused:UNUSED_PAD src0_sel:BYTE_3 src1_sel:DWORD
	v_lshrrev_b32_e32 v13, 3, v0
	v_cmp_gt_u32_e64 s[2:3], 8, v0
	v_ffbh_u32_e32 v0, v9
	v_min_u32_e32 v0, 32, v0
	v_mov_b32_e32 v10, v5
	v_subrev_u32_e32 v11, 28, v0
	v_lshlrev_b64 v[10:11], v11, v[9:10]
	v_sub_u32_e32 v0, 29, v0
	v_and_b32_e32 v10, 7, v10
	v_cndmask_b32_e64 v0, v13, v0, s[2:3]
	v_cndmask_b32_e64 v9, v9, v10, s[2:3]
	v_mov_b32_e32 v10, 24
	v_bfrev_b32_e32 v11, 60
	v_lshlrev_b32_sdwa v10, v10, v17 dst_sel:DWORD dst_unused:UNUSED_PAD src0_sel:DWORD src1_sel:BYTE_3
	v_lshl_add_u32 v0, v0, 23, v11
	v_and_or_b32 v0, v10, s28, v0
	v_lshlrev_b32_e32 v9, 20, v9
	v_add_u32_e32 v10, -3, v49
	v_or_b32_e32 v25, v0, v9
	v_mov_b32_e32 v24, v5
.LBB214_540:                            ;   in Loop: Header=BB214_414 Depth=1
	s_or_b64 exec, exec, s[14:15]
.LBB214_541:                            ;   in Loop: Header=BB214_414 Depth=1
	s_or_b64 exec, exec, s[12:13]
.LBB214_542:                            ;   in Loop: Header=BB214_414 Depth=1
	s_or_b64 exec, exec, s[10:11]
	v_or_b32_e32 v0, v21, v19
	v_or_b32_e32 v9, v20, v18
	v_mul_f32_e32 v0, s18, v0
	buffer_store_dword v0, off, s[48:51], 0 offset:132 ; 4-byte Folded Spill
	v_mul_f32_e32 v0, s17, v9
	buffer_store_dword v0, off, s[48:51], 0 offset:156 ; 4-byte Folded Spill
	v_or_b32_e32 v0, v25, v23
	v_or_b32_e32 v9, v24, v22
	v_mul_f32_e32 v9, s17, v9
	v_mul_f32_e32 v0, s18, v0
	buffer_store_dword v9, off, s[48:51], 0 offset:148 ; 4-byte Folded Spill
	buffer_store_dword v0, off, s[48:51], 0 offset:140 ; 4-byte Folded Spill
	s_and_saveexec_b64 s[10:11], vcc
	s_cbranch_execz .LBB214_544
; %bb.543:                              ;   in Loop: Header=BB214_414 Depth=1
	buffer_load_dword v0, off, s[48:51], 0 offset:156 ; 4-byte Folded Reload
	v_cmp_gt_i32_e64 s[2:3], s33, v10
	s_waitcnt vmcnt(0)
	v_cndmask_b32_e64 v0, 0, v0, s[2:3]
	buffer_store_dword v0, off, s[48:51], 0 offset:156 ; 4-byte Folded Spill
	v_add_u32_e32 v0, -2, v49
	v_cmp_gt_i32_e64 s[2:3], s33, v0
	buffer_load_dword v0, off, s[48:51], 0 offset:132 ; 4-byte Folded Reload
	s_waitcnt vmcnt(0)
	v_cndmask_b32_e64 v0, 0, v0, s[2:3]
	buffer_store_dword v0, off, s[48:51], 0 offset:132 ; 4-byte Folded Spill
	v_add_u32_e32 v0, -1, v49
	v_cmp_gt_i32_e64 s[2:3], s33, v0
	buffer_load_dword v0, off, s[48:51], 0 offset:148 ; 4-byte Folded Reload
	s_waitcnt vmcnt(0)
	v_cndmask_b32_e64 v0, 0, v0, s[2:3]
	buffer_store_dword v0, off, s[48:51], 0 offset:148 ; 4-byte Folded Spill
	buffer_load_dword v0, off, s[48:51], 0 offset:140 ; 4-byte Folded Reload
	v_cmp_gt_i32_e64 s[2:3], s33, v49
	s_waitcnt vmcnt(0)
	v_cndmask_b32_e64 v0, 0, v0, s[2:3]
	buffer_store_dword v0, off, s[48:51], 0 offset:140 ; 4-byte Folded Spill
.LBB214_544:                            ;   in Loop: Header=BB214_414 Depth=1
	s_or_b64 exec, exec, s[10:11]
	global_load_dword v17, v[15:16], off offset:1280
	v_mov_b32_e32 v20, 0
	v_mov_b32_e32 v18, 0
	;; [unrolled: 1-line block ×4, first 2 shown]
	s_waitcnt vmcnt(0)
	v_cmp_ne_u16_sdwa s[2:3], v17, v5 src0_sel:BYTE_0 src1_sel:DWORD
	s_and_saveexec_b64 s[10:11], s[2:3]
	s_cbranch_execz .LBB214_550
; %bb.545:                              ;   in Loop: Header=BB214_414 Depth=1
	v_bfrev_b32_e32 v18, 1
	v_mov_b32_e32 v19, 0
	v_cmp_ne_u16_sdwa s[2:3], v17, s26 src0_sel:BYTE_0 src1_sel:DWORD
	s_and_saveexec_b64 s[12:13], s[2:3]
	s_cbranch_execz .LBB214_549
; %bb.546:                              ;   in Loop: Header=BB214_414 Depth=1
	v_and_b32_e32 v0, 0x7f, v17
	v_mov_b32_e32 v18, 0x7f800001
	v_mov_b32_e32 v19, 0
	v_cmp_ne_u32_e64 s[2:3], s27, v0
	s_and_saveexec_b64 s[14:15], s[2:3]
	s_cbranch_execz .LBB214_548
; %bb.547:                              ;   in Loop: Header=BB214_414 Depth=1
	v_and_b32_e32 v11, 7, v17
	v_lshrrev_b32_e32 v13, 3, v0
	v_cmp_gt_u32_e64 s[2:3], 8, v0
	v_ffbh_u32_e32 v0, v11
	v_min_u32_e32 v0, 32, v0
	v_subrev_u32_e32 v9, 28, v0
	v_lshlrev_b64 v[9:10], v9, v[17:18]
	v_sub_u32_e32 v0, 29, v0
	v_and_b32_e32 v9, 7, v9
	v_cndmask_b32_e64 v0, v13, v0, s[2:3]
	v_cndmask_b32_e64 v9, v11, v9, s[2:3]
	v_bfrev_b32_e32 v11, 60
	v_lshlrev_b32_e32 v9, 20, v9
	v_and_b32_sdwa v10, sext(v17), s28 dst_sel:DWORD dst_unused:UNUSED_PAD src0_sel:BYTE_0 src1_sel:DWORD
	v_lshl_add_u32 v0, v0, 23, v11
	v_or3_b32 v18, v10, v0, v9
	v_add_u32_e32 v10, -3, v49
	v_mov_b32_e32 v19, v5
.LBB214_548:                            ;   in Loop: Header=BB214_414 Depth=1
	s_or_b64 exec, exec, s[14:15]
.LBB214_549:                            ;   in Loop: Header=BB214_414 Depth=1
	s_or_b64 exec, exec, s[12:13]
.LBB214_550:                            ;   in Loop: Header=BB214_414 Depth=1
	s_or_b64 exec, exec, s[10:11]
	v_cmp_ne_u16_sdwa s[2:3], v17, v5 src0_sel:BYTE_1 src1_sel:DWORD
	s_and_saveexec_b64 s[10:11], s[2:3]
	s_cbranch_execz .LBB214_556
; %bb.551:                              ;   in Loop: Header=BB214_414 Depth=1
	v_mov_b32_e32 v21, v6
	v_cmp_ne_u16_sdwa s[2:3], v17, s26 src0_sel:BYTE_1 src1_sel:DWORD
	v_mov_b32_e32 v20, v5
	s_and_saveexec_b64 s[12:13], s[2:3]
	s_cbranch_execz .LBB214_555
; %bb.552:                              ;   in Loop: Header=BB214_414 Depth=1
	v_and_b32_sdwa v0, v17, s27 dst_sel:DWORD dst_unused:UNUSED_PAD src0_sel:BYTE_1 src1_sel:DWORD
	v_mov_b32_e32 v11, v5
	v_mov_b32_e32 v21, v12
	v_cmp_ne_u32_e64 s[2:3], s27, v0
	v_mov_b32_e32 v20, v11
	s_and_saveexec_b64 s[14:15], s[2:3]
	s_cbranch_execz .LBB214_554
; %bb.553:                              ;   in Loop: Header=BB214_414 Depth=1
	v_mov_b32_e32 v9, 7
	v_and_b32_sdwa v9, v17, v9 dst_sel:DWORD dst_unused:UNUSED_PAD src0_sel:BYTE_1 src1_sel:DWORD
	v_lshrrev_b32_e32 v13, 3, v0
	v_cmp_gt_u32_e64 s[2:3], 8, v0
	v_ffbh_u32_e32 v0, v9
	v_min_u32_e32 v0, 32, v0
	v_mov_b32_e32 v10, v5
	v_subrev_u32_e32 v11, 28, v0
	v_lshlrev_b64 v[10:11], v11, v[9:10]
	v_sub_u32_e32 v0, 29, v0
	v_and_b32_e32 v10, 7, v10
	v_cndmask_b32_e64 v0, v13, v0, s[2:3]
	v_bfrev_b32_e32 v11, 60
	v_cndmask_b32_e64 v9, v9, v10, s[2:3]
	v_lshlrev_b32_e32 v10, 16, v17
	v_lshl_add_u32 v0, v0, 23, v11
	v_and_or_b32 v0, v10, s28, v0
	v_lshlrev_b32_e32 v9, 20, v9
	v_add_u32_e32 v10, -3, v49
	v_or_b32_e32 v21, v0, v9
	v_mov_b32_e32 v20, v5
.LBB214_554:                            ;   in Loop: Header=BB214_414 Depth=1
	s_or_b64 exec, exec, s[14:15]
.LBB214_555:                            ;   in Loop: Header=BB214_414 Depth=1
	s_or_b64 exec, exec, s[12:13]
.LBB214_556:                            ;   in Loop: Header=BB214_414 Depth=1
	s_or_b64 exec, exec, s[10:11]
	v_lshrrev_b32_e32 v11, 16, v17
	v_mov_b32_e32 v24, 0
	v_mov_b32_e32 v22, 0
	;; [unrolled: 1-line block ×4, first 2 shown]
	v_cmp_ne_u16_sdwa s[2:3], v11, v5 src0_sel:BYTE_0 src1_sel:DWORD
	s_and_saveexec_b64 s[10:11], s[2:3]
	s_cbranch_execz .LBB214_562
; %bb.557:                              ;   in Loop: Header=BB214_414 Depth=1
	v_bfrev_b32_e32 v22, 1
	v_mov_b32_e32 v23, 0
	v_cmp_ne_u16_sdwa s[2:3], v11, s26 src0_sel:BYTE_0 src1_sel:DWORD
	s_and_saveexec_b64 s[12:13], s[2:3]
	s_cbranch_execz .LBB214_561
; %bb.558:                              ;   in Loop: Header=BB214_414 Depth=1
	v_bfe_u32 v0, v17, 16, 7
	v_mov_b32_e32 v22, 0x7f800001
	v_mov_b32_e32 v23, 0
	v_cmp_ne_u32_e64 s[2:3], s27, v0
	s_and_saveexec_b64 s[14:15], s[2:3]
	s_cbranch_execz .LBB214_560
; %bb.559:                              ;   in Loop: Header=BB214_414 Depth=1
	v_and_b32_e32 v13, 7, v11
	v_lshrrev_b32_e32 v14, 3, v0
	v_cmp_gt_u32_e64 s[2:3], 8, v0
	v_ffbh_u32_e32 v0, v13
	v_min_u32_e32 v0, 32, v0
	v_subrev_u32_e32 v9, 28, v0
	v_lshlrev_b64 v[9:10], v9, v[11:12]
	v_sub_u32_e32 v0, 29, v0
	v_and_b32_e32 v9, 7, v9
	v_cndmask_b32_e64 v0, v14, v0, s[2:3]
	v_cndmask_b32_e64 v9, v13, v9, s[2:3]
	v_and_b32_sdwa v10, sext(v11), s28 dst_sel:DWORD dst_unused:UNUSED_PAD src0_sel:BYTE_0 src1_sel:DWORD
	v_bfrev_b32_e32 v11, 60
	v_lshlrev_b32_e32 v9, 20, v9
	v_lshl_add_u32 v0, v0, 23, v11
	v_or3_b32 v22, v10, v0, v9
	v_add_u32_e32 v10, -3, v49
	v_mov_b32_e32 v23, v5
.LBB214_560:                            ;   in Loop: Header=BB214_414 Depth=1
	s_or_b64 exec, exec, s[14:15]
.LBB214_561:                            ;   in Loop: Header=BB214_414 Depth=1
	s_or_b64 exec, exec, s[12:13]
.LBB214_562:                            ;   in Loop: Header=BB214_414 Depth=1
	s_or_b64 exec, exec, s[10:11]
	v_cmp_lt_u32_e64 s[2:3], s29, v17
	s_and_saveexec_b64 s[10:11], s[2:3]
	s_cbranch_execz .LBB214_568
; %bb.563:                              ;   in Loop: Header=BB214_414 Depth=1
	v_mov_b32_e32 v25, v6
	v_cmp_ne_u32_sdwa s[2:3], v17, s26 src0_sel:BYTE_3 src1_sel:DWORD
	v_mov_b32_e32 v24, v5
	s_and_saveexec_b64 s[12:13], s[2:3]
	s_cbranch_execz .LBB214_567
; %bb.564:                              ;   in Loop: Header=BB214_414 Depth=1
	v_bfe_u32 v0, v17, 24, 7
	v_mov_b32_e32 v11, v5
	v_mov_b32_e32 v25, v12
	v_cmp_ne_u32_e64 s[2:3], s27, v0
	v_mov_b32_e32 v24, v11
	s_and_saveexec_b64 s[14:15], s[2:3]
	s_cbranch_execz .LBB214_566
; %bb.565:                              ;   in Loop: Header=BB214_414 Depth=1
	v_mov_b32_e32 v9, 7
	v_and_b32_sdwa v9, v17, v9 dst_sel:DWORD dst_unused:UNUSED_PAD src0_sel:BYTE_3 src1_sel:DWORD
	v_lshrrev_b32_e32 v13, 3, v0
	v_cmp_gt_u32_e64 s[2:3], 8, v0
	v_ffbh_u32_e32 v0, v9
	v_min_u32_e32 v0, 32, v0
	v_mov_b32_e32 v10, v5
	v_subrev_u32_e32 v11, 28, v0
	v_lshlrev_b64 v[10:11], v11, v[9:10]
	v_sub_u32_e32 v0, 29, v0
	v_and_b32_e32 v10, 7, v10
	v_cndmask_b32_e64 v0, v13, v0, s[2:3]
	v_cndmask_b32_e64 v9, v9, v10, s[2:3]
	v_mov_b32_e32 v10, 24
	v_bfrev_b32_e32 v11, 60
	v_lshlrev_b32_sdwa v10, v10, v17 dst_sel:DWORD dst_unused:UNUSED_PAD src0_sel:DWORD src1_sel:BYTE_3
	v_lshl_add_u32 v0, v0, 23, v11
	v_and_or_b32 v0, v10, s28, v0
	v_lshlrev_b32_e32 v9, 20, v9
	v_add_u32_e32 v10, -3, v49
	v_or_b32_e32 v25, v0, v9
	v_mov_b32_e32 v24, v5
.LBB214_566:                            ;   in Loop: Header=BB214_414 Depth=1
	s_or_b64 exec, exec, s[14:15]
.LBB214_567:                            ;   in Loop: Header=BB214_414 Depth=1
	s_or_b64 exec, exec, s[12:13]
.LBB214_568:                            ;   in Loop: Header=BB214_414 Depth=1
	s_or_b64 exec, exec, s[10:11]
	v_or_b32_e32 v0, v21, v19
	v_or_b32_e32 v9, v20, v18
	v_mul_f32_e32 v0, s18, v0
	buffer_store_dword v0, off, s[48:51], 0 offset:164 ; 4-byte Folded Spill
	v_mul_f32_e32 v0, s17, v9
	buffer_store_dword v0, off, s[48:51], 0 offset:188 ; 4-byte Folded Spill
	v_or_b32_e32 v0, v25, v23
	v_or_b32_e32 v9, v24, v22
	v_mul_f32_e32 v9, s17, v9
	v_mul_f32_e32 v0, s18, v0
	buffer_store_dword v9, off, s[48:51], 0 offset:180 ; 4-byte Folded Spill
	buffer_store_dword v0, off, s[48:51], 0 offset:172 ; 4-byte Folded Spill
	s_and_saveexec_b64 s[10:11], vcc
	s_cbranch_execz .LBB214_570
; %bb.569:                              ;   in Loop: Header=BB214_414 Depth=1
	buffer_load_dword v0, off, s[48:51], 0 offset:188 ; 4-byte Folded Reload
	v_cmp_gt_i32_e64 s[2:3], s33, v10
	s_waitcnt vmcnt(0)
	v_cndmask_b32_e64 v0, 0, v0, s[2:3]
	buffer_store_dword v0, off, s[48:51], 0 offset:188 ; 4-byte Folded Spill
	v_add_u32_e32 v0, -2, v49
	v_cmp_gt_i32_e64 s[2:3], s33, v0
	buffer_load_dword v0, off, s[48:51], 0 offset:164 ; 4-byte Folded Reload
	s_waitcnt vmcnt(0)
	v_cndmask_b32_e64 v0, 0, v0, s[2:3]
	buffer_store_dword v0, off, s[48:51], 0 offset:164 ; 4-byte Folded Spill
	v_add_u32_e32 v0, -1, v49
	v_cmp_gt_i32_e64 s[2:3], s33, v0
	buffer_load_dword v0, off, s[48:51], 0 offset:180 ; 4-byte Folded Reload
	s_waitcnt vmcnt(0)
	v_cndmask_b32_e64 v0, 0, v0, s[2:3]
	buffer_store_dword v0, off, s[48:51], 0 offset:180 ; 4-byte Folded Spill
	buffer_load_dword v0, off, s[48:51], 0 offset:172 ; 4-byte Folded Reload
	v_cmp_gt_i32_e64 s[2:3], s33, v49
	s_waitcnt vmcnt(0)
	v_cndmask_b32_e64 v0, 0, v0, s[2:3]
	buffer_store_dword v0, off, s[48:51], 0 offset:172 ; 4-byte Folded Spill
.LBB214_570:                            ;   in Loop: Header=BB214_414 Depth=1
	s_or_b64 exec, exec, s[10:11]
	global_load_dword v17, v[15:16], off offset:1536
	v_mov_b32_e32 v20, 0
	v_mov_b32_e32 v18, 0
	;; [unrolled: 1-line block ×4, first 2 shown]
	s_waitcnt vmcnt(0)
	v_cmp_ne_u16_sdwa s[2:3], v17, v5 src0_sel:BYTE_0 src1_sel:DWORD
	s_and_saveexec_b64 s[10:11], s[2:3]
	s_cbranch_execz .LBB214_576
; %bb.571:                              ;   in Loop: Header=BB214_414 Depth=1
	v_bfrev_b32_e32 v18, 1
	v_mov_b32_e32 v19, 0
	v_cmp_ne_u16_sdwa s[2:3], v17, s26 src0_sel:BYTE_0 src1_sel:DWORD
	s_and_saveexec_b64 s[12:13], s[2:3]
	s_cbranch_execz .LBB214_575
; %bb.572:                              ;   in Loop: Header=BB214_414 Depth=1
	v_and_b32_e32 v0, 0x7f, v17
	v_mov_b32_e32 v18, 0x7f800001
	v_mov_b32_e32 v19, 0
	v_cmp_ne_u32_e64 s[2:3], s27, v0
	s_and_saveexec_b64 s[14:15], s[2:3]
	s_cbranch_execz .LBB214_574
; %bb.573:                              ;   in Loop: Header=BB214_414 Depth=1
	v_and_b32_e32 v11, 7, v17
	v_lshrrev_b32_e32 v13, 3, v0
	v_cmp_gt_u32_e64 s[2:3], 8, v0
	v_ffbh_u32_e32 v0, v11
	v_min_u32_e32 v0, 32, v0
	v_subrev_u32_e32 v9, 28, v0
	v_lshlrev_b64 v[9:10], v9, v[17:18]
	v_sub_u32_e32 v0, 29, v0
	v_and_b32_e32 v9, 7, v9
	v_cndmask_b32_e64 v0, v13, v0, s[2:3]
	v_cndmask_b32_e64 v9, v11, v9, s[2:3]
	v_bfrev_b32_e32 v11, 60
	v_lshlrev_b32_e32 v9, 20, v9
	v_and_b32_sdwa v10, sext(v17), s28 dst_sel:DWORD dst_unused:UNUSED_PAD src0_sel:BYTE_0 src1_sel:DWORD
	v_lshl_add_u32 v0, v0, 23, v11
	v_or3_b32 v18, v10, v0, v9
	v_add_u32_e32 v10, -3, v49
	v_mov_b32_e32 v19, v5
.LBB214_574:                            ;   in Loop: Header=BB214_414 Depth=1
	s_or_b64 exec, exec, s[14:15]
.LBB214_575:                            ;   in Loop: Header=BB214_414 Depth=1
	s_or_b64 exec, exec, s[12:13]
.LBB214_576:                            ;   in Loop: Header=BB214_414 Depth=1
	s_or_b64 exec, exec, s[10:11]
	v_cmp_ne_u16_sdwa s[2:3], v17, v5 src0_sel:BYTE_1 src1_sel:DWORD
	s_and_saveexec_b64 s[10:11], s[2:3]
	s_cbranch_execz .LBB214_582
; %bb.577:                              ;   in Loop: Header=BB214_414 Depth=1
	v_mov_b32_e32 v21, v6
	v_cmp_ne_u16_sdwa s[2:3], v17, s26 src0_sel:BYTE_1 src1_sel:DWORD
	v_mov_b32_e32 v20, v5
	s_and_saveexec_b64 s[12:13], s[2:3]
	s_cbranch_execz .LBB214_581
; %bb.578:                              ;   in Loop: Header=BB214_414 Depth=1
	v_and_b32_sdwa v0, v17, s27 dst_sel:DWORD dst_unused:UNUSED_PAD src0_sel:BYTE_1 src1_sel:DWORD
	v_mov_b32_e32 v11, v5
	v_mov_b32_e32 v21, v12
	v_cmp_ne_u32_e64 s[2:3], s27, v0
	v_mov_b32_e32 v20, v11
	s_and_saveexec_b64 s[14:15], s[2:3]
	s_cbranch_execz .LBB214_580
; %bb.579:                              ;   in Loop: Header=BB214_414 Depth=1
	v_mov_b32_e32 v9, 7
	v_and_b32_sdwa v9, v17, v9 dst_sel:DWORD dst_unused:UNUSED_PAD src0_sel:BYTE_1 src1_sel:DWORD
	v_lshrrev_b32_e32 v13, 3, v0
	v_cmp_gt_u32_e64 s[2:3], 8, v0
	v_ffbh_u32_e32 v0, v9
	v_min_u32_e32 v0, 32, v0
	v_mov_b32_e32 v10, v5
	v_subrev_u32_e32 v11, 28, v0
	v_lshlrev_b64 v[10:11], v11, v[9:10]
	v_sub_u32_e32 v0, 29, v0
	v_and_b32_e32 v10, 7, v10
	v_cndmask_b32_e64 v0, v13, v0, s[2:3]
	v_bfrev_b32_e32 v11, 60
	v_cndmask_b32_e64 v9, v9, v10, s[2:3]
	v_lshlrev_b32_e32 v10, 16, v17
	v_lshl_add_u32 v0, v0, 23, v11
	v_and_or_b32 v0, v10, s28, v0
	v_lshlrev_b32_e32 v9, 20, v9
	v_add_u32_e32 v10, -3, v49
	v_or_b32_e32 v21, v0, v9
	v_mov_b32_e32 v20, v5
.LBB214_580:                            ;   in Loop: Header=BB214_414 Depth=1
	s_or_b64 exec, exec, s[14:15]
.LBB214_581:                            ;   in Loop: Header=BB214_414 Depth=1
	s_or_b64 exec, exec, s[12:13]
.LBB214_582:                            ;   in Loop: Header=BB214_414 Depth=1
	s_or_b64 exec, exec, s[10:11]
	v_lshrrev_b32_e32 v11, 16, v17
	v_mov_b32_e32 v24, 0
	v_mov_b32_e32 v22, 0
	;; [unrolled: 1-line block ×4, first 2 shown]
	v_cmp_ne_u16_sdwa s[2:3], v11, v5 src0_sel:BYTE_0 src1_sel:DWORD
	s_and_saveexec_b64 s[10:11], s[2:3]
	s_cbranch_execz .LBB214_588
; %bb.583:                              ;   in Loop: Header=BB214_414 Depth=1
	v_bfrev_b32_e32 v22, 1
	v_mov_b32_e32 v23, 0
	v_cmp_ne_u16_sdwa s[2:3], v11, s26 src0_sel:BYTE_0 src1_sel:DWORD
	s_and_saveexec_b64 s[12:13], s[2:3]
	s_cbranch_execz .LBB214_587
; %bb.584:                              ;   in Loop: Header=BB214_414 Depth=1
	v_bfe_u32 v0, v17, 16, 7
	v_mov_b32_e32 v22, 0x7f800001
	v_mov_b32_e32 v23, 0
	v_cmp_ne_u32_e64 s[2:3], s27, v0
	s_and_saveexec_b64 s[14:15], s[2:3]
	s_cbranch_execz .LBB214_586
; %bb.585:                              ;   in Loop: Header=BB214_414 Depth=1
	v_and_b32_e32 v13, 7, v11
	v_lshrrev_b32_e32 v14, 3, v0
	v_cmp_gt_u32_e64 s[2:3], 8, v0
	v_ffbh_u32_e32 v0, v13
	v_min_u32_e32 v0, 32, v0
	v_subrev_u32_e32 v9, 28, v0
	v_lshlrev_b64 v[9:10], v9, v[11:12]
	v_sub_u32_e32 v0, 29, v0
	v_and_b32_e32 v9, 7, v9
	v_cndmask_b32_e64 v0, v14, v0, s[2:3]
	v_cndmask_b32_e64 v9, v13, v9, s[2:3]
	v_and_b32_sdwa v10, sext(v11), s28 dst_sel:DWORD dst_unused:UNUSED_PAD src0_sel:BYTE_0 src1_sel:DWORD
	v_bfrev_b32_e32 v11, 60
	v_lshlrev_b32_e32 v9, 20, v9
	v_lshl_add_u32 v0, v0, 23, v11
	v_or3_b32 v22, v10, v0, v9
	v_add_u32_e32 v10, -3, v49
	v_mov_b32_e32 v23, v5
.LBB214_586:                            ;   in Loop: Header=BB214_414 Depth=1
	s_or_b64 exec, exec, s[14:15]
.LBB214_587:                            ;   in Loop: Header=BB214_414 Depth=1
	s_or_b64 exec, exec, s[12:13]
.LBB214_588:                            ;   in Loop: Header=BB214_414 Depth=1
	s_or_b64 exec, exec, s[10:11]
	v_cmp_lt_u32_e64 s[2:3], s29, v17
	s_and_saveexec_b64 s[10:11], s[2:3]
	s_cbranch_execz .LBB214_594
; %bb.589:                              ;   in Loop: Header=BB214_414 Depth=1
	v_mov_b32_e32 v25, v6
	v_cmp_ne_u32_sdwa s[2:3], v17, s26 src0_sel:BYTE_3 src1_sel:DWORD
	v_mov_b32_e32 v24, v5
	s_and_saveexec_b64 s[12:13], s[2:3]
	s_cbranch_execz .LBB214_593
; %bb.590:                              ;   in Loop: Header=BB214_414 Depth=1
	v_bfe_u32 v0, v17, 24, 7
	v_mov_b32_e32 v11, v5
	v_mov_b32_e32 v25, v12
	v_cmp_ne_u32_e64 s[2:3], s27, v0
	v_mov_b32_e32 v24, v11
	s_and_saveexec_b64 s[14:15], s[2:3]
	s_cbranch_execz .LBB214_592
; %bb.591:                              ;   in Loop: Header=BB214_414 Depth=1
	v_mov_b32_e32 v9, 7
	v_and_b32_sdwa v9, v17, v9 dst_sel:DWORD dst_unused:UNUSED_PAD src0_sel:BYTE_3 src1_sel:DWORD
	v_lshrrev_b32_e32 v13, 3, v0
	v_cmp_gt_u32_e64 s[2:3], 8, v0
	v_ffbh_u32_e32 v0, v9
	v_min_u32_e32 v0, 32, v0
	v_mov_b32_e32 v10, v5
	v_subrev_u32_e32 v11, 28, v0
	v_lshlrev_b64 v[10:11], v11, v[9:10]
	v_sub_u32_e32 v0, 29, v0
	v_and_b32_e32 v10, 7, v10
	v_cndmask_b32_e64 v0, v13, v0, s[2:3]
	v_cndmask_b32_e64 v9, v9, v10, s[2:3]
	v_mov_b32_e32 v10, 24
	v_bfrev_b32_e32 v11, 60
	v_lshlrev_b32_sdwa v10, v10, v17 dst_sel:DWORD dst_unused:UNUSED_PAD src0_sel:DWORD src1_sel:BYTE_3
	v_lshl_add_u32 v0, v0, 23, v11
	v_and_or_b32 v0, v10, s28, v0
	v_lshlrev_b32_e32 v9, 20, v9
	v_add_u32_e32 v10, -3, v49
	v_or_b32_e32 v25, v0, v9
	v_mov_b32_e32 v24, v5
.LBB214_592:                            ;   in Loop: Header=BB214_414 Depth=1
	s_or_b64 exec, exec, s[14:15]
.LBB214_593:                            ;   in Loop: Header=BB214_414 Depth=1
	s_or_b64 exec, exec, s[12:13]
.LBB214_594:                            ;   in Loop: Header=BB214_414 Depth=1
	s_or_b64 exec, exec, s[10:11]
	v_or_b32_e32 v0, v21, v19
	v_or_b32_e32 v9, v20, v18
	v_mul_f32_e32 v0, s18, v0
	buffer_store_dword v0, off, s[48:51], 0 offset:196 ; 4-byte Folded Spill
	v_mul_f32_e32 v0, s17, v9
	buffer_store_dword v0, off, s[48:51], 0 offset:220 ; 4-byte Folded Spill
	v_or_b32_e32 v0, v25, v23
	v_or_b32_e32 v9, v24, v22
	v_mul_f32_e32 v9, s17, v9
	v_mul_f32_e32 v0, s18, v0
	buffer_store_dword v9, off, s[48:51], 0 offset:212 ; 4-byte Folded Spill
	buffer_store_dword v0, off, s[48:51], 0 offset:204 ; 4-byte Folded Spill
	s_and_saveexec_b64 s[10:11], vcc
	s_cbranch_execz .LBB214_596
; %bb.595:                              ;   in Loop: Header=BB214_414 Depth=1
	buffer_load_dword v0, off, s[48:51], 0 offset:220 ; 4-byte Folded Reload
	v_cmp_gt_i32_e64 s[2:3], s33, v10
	s_waitcnt vmcnt(0)
	v_cndmask_b32_e64 v0, 0, v0, s[2:3]
	buffer_store_dword v0, off, s[48:51], 0 offset:220 ; 4-byte Folded Spill
	v_add_u32_e32 v0, -2, v49
	v_cmp_gt_i32_e64 s[2:3], s33, v0
	buffer_load_dword v0, off, s[48:51], 0 offset:196 ; 4-byte Folded Reload
	s_waitcnt vmcnt(0)
	v_cndmask_b32_e64 v0, 0, v0, s[2:3]
	buffer_store_dword v0, off, s[48:51], 0 offset:196 ; 4-byte Folded Spill
	v_add_u32_e32 v0, -1, v49
	v_cmp_gt_i32_e64 s[2:3], s33, v0
	buffer_load_dword v0, off, s[48:51], 0 offset:212 ; 4-byte Folded Reload
	s_waitcnt vmcnt(0)
	v_cndmask_b32_e64 v0, 0, v0, s[2:3]
	buffer_store_dword v0, off, s[48:51], 0 offset:212 ; 4-byte Folded Spill
	buffer_load_dword v0, off, s[48:51], 0 offset:204 ; 4-byte Folded Reload
	v_cmp_gt_i32_e64 s[2:3], s33, v49
	s_waitcnt vmcnt(0)
	v_cndmask_b32_e64 v0, 0, v0, s[2:3]
	buffer_store_dword v0, off, s[48:51], 0 offset:204 ; 4-byte Folded Spill
.LBB214_596:                            ;   in Loop: Header=BB214_414 Depth=1
	s_or_b64 exec, exec, s[10:11]
	global_load_dword v17, v[15:16], off offset:1792
	v_mov_b32_e32 v20, 0
	v_mov_b32_e32 v18, 0
	;; [unrolled: 1-line block ×4, first 2 shown]
	s_waitcnt vmcnt(0)
	v_cmp_ne_u16_sdwa s[2:3], v17, v5 src0_sel:BYTE_0 src1_sel:DWORD
	s_and_saveexec_b64 s[10:11], s[2:3]
	s_cbranch_execz .LBB214_602
; %bb.597:                              ;   in Loop: Header=BB214_414 Depth=1
	v_bfrev_b32_e32 v18, 1
	v_mov_b32_e32 v19, 0
	v_cmp_ne_u16_sdwa s[2:3], v17, s26 src0_sel:BYTE_0 src1_sel:DWORD
	s_and_saveexec_b64 s[12:13], s[2:3]
	s_cbranch_execz .LBB214_601
; %bb.598:                              ;   in Loop: Header=BB214_414 Depth=1
	v_and_b32_e32 v0, 0x7f, v17
	v_mov_b32_e32 v18, 0x7f800001
	v_mov_b32_e32 v19, 0
	v_cmp_ne_u32_e64 s[2:3], s27, v0
	s_and_saveexec_b64 s[14:15], s[2:3]
	s_cbranch_execz .LBB214_600
; %bb.599:                              ;   in Loop: Header=BB214_414 Depth=1
	v_and_b32_e32 v11, 7, v17
	v_lshrrev_b32_e32 v13, 3, v0
	v_cmp_gt_u32_e64 s[2:3], 8, v0
	v_ffbh_u32_e32 v0, v11
	v_min_u32_e32 v0, 32, v0
	v_subrev_u32_e32 v9, 28, v0
	v_lshlrev_b64 v[9:10], v9, v[17:18]
	v_sub_u32_e32 v0, 29, v0
	v_and_b32_e32 v9, 7, v9
	v_cndmask_b32_e64 v0, v13, v0, s[2:3]
	v_cndmask_b32_e64 v9, v11, v9, s[2:3]
	v_bfrev_b32_e32 v11, 60
	v_lshlrev_b32_e32 v9, 20, v9
	v_and_b32_sdwa v10, sext(v17), s28 dst_sel:DWORD dst_unused:UNUSED_PAD src0_sel:BYTE_0 src1_sel:DWORD
	v_lshl_add_u32 v0, v0, 23, v11
	v_or3_b32 v18, v10, v0, v9
	v_add_u32_e32 v10, -3, v49
	v_mov_b32_e32 v19, v5
.LBB214_600:                            ;   in Loop: Header=BB214_414 Depth=1
	s_or_b64 exec, exec, s[14:15]
.LBB214_601:                            ;   in Loop: Header=BB214_414 Depth=1
	s_or_b64 exec, exec, s[12:13]
.LBB214_602:                            ;   in Loop: Header=BB214_414 Depth=1
	s_or_b64 exec, exec, s[10:11]
	v_cmp_ne_u16_sdwa s[2:3], v17, v5 src0_sel:BYTE_1 src1_sel:DWORD
	s_and_saveexec_b64 s[10:11], s[2:3]
	s_cbranch_execz .LBB214_608
; %bb.603:                              ;   in Loop: Header=BB214_414 Depth=1
	v_mov_b32_e32 v21, v6
	v_cmp_ne_u16_sdwa s[2:3], v17, s26 src0_sel:BYTE_1 src1_sel:DWORD
	v_mov_b32_e32 v20, v5
	s_and_saveexec_b64 s[12:13], s[2:3]
	s_cbranch_execz .LBB214_607
; %bb.604:                              ;   in Loop: Header=BB214_414 Depth=1
	v_and_b32_sdwa v0, v17, s27 dst_sel:DWORD dst_unused:UNUSED_PAD src0_sel:BYTE_1 src1_sel:DWORD
	v_mov_b32_e32 v11, v5
	v_mov_b32_e32 v21, v12
	v_cmp_ne_u32_e64 s[2:3], s27, v0
	v_mov_b32_e32 v20, v11
	s_and_saveexec_b64 s[14:15], s[2:3]
	s_cbranch_execz .LBB214_606
; %bb.605:                              ;   in Loop: Header=BB214_414 Depth=1
	v_mov_b32_e32 v9, 7
	v_and_b32_sdwa v9, v17, v9 dst_sel:DWORD dst_unused:UNUSED_PAD src0_sel:BYTE_1 src1_sel:DWORD
	v_lshrrev_b32_e32 v13, 3, v0
	v_cmp_gt_u32_e64 s[2:3], 8, v0
	v_ffbh_u32_e32 v0, v9
	v_min_u32_e32 v0, 32, v0
	v_mov_b32_e32 v10, v5
	v_subrev_u32_e32 v11, 28, v0
	v_lshlrev_b64 v[10:11], v11, v[9:10]
	v_sub_u32_e32 v0, 29, v0
	v_and_b32_e32 v10, 7, v10
	v_cndmask_b32_e64 v0, v13, v0, s[2:3]
	v_bfrev_b32_e32 v11, 60
	v_cndmask_b32_e64 v9, v9, v10, s[2:3]
	v_lshlrev_b32_e32 v10, 16, v17
	v_lshl_add_u32 v0, v0, 23, v11
	v_and_or_b32 v0, v10, s28, v0
	v_lshlrev_b32_e32 v9, 20, v9
	v_add_u32_e32 v10, -3, v49
	v_or_b32_e32 v21, v0, v9
	v_mov_b32_e32 v20, v5
.LBB214_606:                            ;   in Loop: Header=BB214_414 Depth=1
	s_or_b64 exec, exec, s[14:15]
.LBB214_607:                            ;   in Loop: Header=BB214_414 Depth=1
	s_or_b64 exec, exec, s[12:13]
.LBB214_608:                            ;   in Loop: Header=BB214_414 Depth=1
	s_or_b64 exec, exec, s[10:11]
	v_lshrrev_b32_e32 v11, 16, v17
	v_mov_b32_e32 v24, 0
	v_mov_b32_e32 v22, 0
	;; [unrolled: 1-line block ×4, first 2 shown]
	v_cmp_ne_u16_sdwa s[2:3], v11, v5 src0_sel:BYTE_0 src1_sel:DWORD
	s_and_saveexec_b64 s[10:11], s[2:3]
	s_cbranch_execz .LBB214_614
; %bb.609:                              ;   in Loop: Header=BB214_414 Depth=1
	v_bfrev_b32_e32 v22, 1
	v_mov_b32_e32 v23, 0
	v_cmp_ne_u16_sdwa s[2:3], v11, s26 src0_sel:BYTE_0 src1_sel:DWORD
	s_and_saveexec_b64 s[12:13], s[2:3]
	s_cbranch_execz .LBB214_613
; %bb.610:                              ;   in Loop: Header=BB214_414 Depth=1
	v_bfe_u32 v0, v17, 16, 7
	v_mov_b32_e32 v22, 0x7f800001
	v_mov_b32_e32 v23, 0
	v_cmp_ne_u32_e64 s[2:3], s27, v0
	s_and_saveexec_b64 s[14:15], s[2:3]
	s_cbranch_execz .LBB214_612
; %bb.611:                              ;   in Loop: Header=BB214_414 Depth=1
	v_and_b32_e32 v13, 7, v11
	v_lshrrev_b32_e32 v14, 3, v0
	v_cmp_gt_u32_e64 s[2:3], 8, v0
	v_ffbh_u32_e32 v0, v13
	v_min_u32_e32 v0, 32, v0
	v_subrev_u32_e32 v9, 28, v0
	v_lshlrev_b64 v[9:10], v9, v[11:12]
	v_sub_u32_e32 v0, 29, v0
	v_and_b32_e32 v9, 7, v9
	v_cndmask_b32_e64 v0, v14, v0, s[2:3]
	v_cndmask_b32_e64 v9, v13, v9, s[2:3]
	v_and_b32_sdwa v10, sext(v11), s28 dst_sel:DWORD dst_unused:UNUSED_PAD src0_sel:BYTE_0 src1_sel:DWORD
	v_bfrev_b32_e32 v11, 60
	v_lshlrev_b32_e32 v9, 20, v9
	v_lshl_add_u32 v0, v0, 23, v11
	v_or3_b32 v22, v10, v0, v9
	v_add_u32_e32 v10, -3, v49
	v_mov_b32_e32 v23, v5
.LBB214_612:                            ;   in Loop: Header=BB214_414 Depth=1
	s_or_b64 exec, exec, s[14:15]
.LBB214_613:                            ;   in Loop: Header=BB214_414 Depth=1
	s_or_b64 exec, exec, s[12:13]
.LBB214_614:                            ;   in Loop: Header=BB214_414 Depth=1
	s_or_b64 exec, exec, s[10:11]
	v_cmp_lt_u32_e64 s[2:3], s29, v17
	s_and_saveexec_b64 s[10:11], s[2:3]
	s_cbranch_execz .LBB214_620
; %bb.615:                              ;   in Loop: Header=BB214_414 Depth=1
	v_mov_b32_e32 v25, v6
	v_cmp_ne_u32_sdwa s[2:3], v17, s26 src0_sel:BYTE_3 src1_sel:DWORD
	v_mov_b32_e32 v24, v5
	s_and_saveexec_b64 s[12:13], s[2:3]
	s_cbranch_execz .LBB214_619
; %bb.616:                              ;   in Loop: Header=BB214_414 Depth=1
	v_bfe_u32 v0, v17, 24, 7
	v_mov_b32_e32 v11, v5
	v_mov_b32_e32 v25, v12
	v_cmp_ne_u32_e64 s[2:3], s27, v0
	v_mov_b32_e32 v24, v11
	s_and_saveexec_b64 s[14:15], s[2:3]
	s_cbranch_execz .LBB214_618
; %bb.617:                              ;   in Loop: Header=BB214_414 Depth=1
	v_mov_b32_e32 v9, 7
	v_and_b32_sdwa v9, v17, v9 dst_sel:DWORD dst_unused:UNUSED_PAD src0_sel:BYTE_3 src1_sel:DWORD
	v_lshrrev_b32_e32 v13, 3, v0
	v_cmp_gt_u32_e64 s[2:3], 8, v0
	v_ffbh_u32_e32 v0, v9
	v_min_u32_e32 v0, 32, v0
	v_mov_b32_e32 v10, v5
	v_subrev_u32_e32 v11, 28, v0
	v_lshlrev_b64 v[10:11], v11, v[9:10]
	v_sub_u32_e32 v0, 29, v0
	v_and_b32_e32 v10, 7, v10
	v_cndmask_b32_e64 v0, v13, v0, s[2:3]
	v_cndmask_b32_e64 v9, v9, v10, s[2:3]
	v_mov_b32_e32 v10, 24
	v_bfrev_b32_e32 v11, 60
	v_lshlrev_b32_sdwa v10, v10, v17 dst_sel:DWORD dst_unused:UNUSED_PAD src0_sel:DWORD src1_sel:BYTE_3
	v_lshl_add_u32 v0, v0, 23, v11
	v_and_or_b32 v0, v10, s28, v0
	v_lshlrev_b32_e32 v9, 20, v9
	v_add_u32_e32 v10, -3, v49
	v_or_b32_e32 v25, v0, v9
	v_mov_b32_e32 v24, v5
.LBB214_618:                            ;   in Loop: Header=BB214_414 Depth=1
	s_or_b64 exec, exec, s[14:15]
.LBB214_619:                            ;   in Loop: Header=BB214_414 Depth=1
	s_or_b64 exec, exec, s[12:13]
.LBB214_620:                            ;   in Loop: Header=BB214_414 Depth=1
	s_or_b64 exec, exec, s[10:11]
	v_or_b32_e32 v0, v21, v19
	v_or_b32_e32 v9, v20, v18
	v_mul_f32_e32 v0, s18, v0
	buffer_store_dword v0, off, s[48:51], 0 offset:228 ; 4-byte Folded Spill
	v_mul_f32_e32 v0, s17, v9
	buffer_store_dword v0, off, s[48:51], 0 offset:252 ; 4-byte Folded Spill
	v_or_b32_e32 v0, v25, v23
	v_or_b32_e32 v9, v24, v22
	v_mul_f32_e32 v9, s17, v9
	v_mul_f32_e32 v0, s18, v0
	buffer_store_dword v9, off, s[48:51], 0 offset:244 ; 4-byte Folded Spill
	buffer_store_dword v0, off, s[48:51], 0 offset:236 ; 4-byte Folded Spill
	s_and_saveexec_b64 s[10:11], vcc
	s_cbranch_execz .LBB214_622
; %bb.621:                              ;   in Loop: Header=BB214_414 Depth=1
	buffer_load_dword v0, off, s[48:51], 0 offset:252 ; 4-byte Folded Reload
	v_cmp_gt_i32_e64 s[2:3], s33, v10
	s_waitcnt vmcnt(0)
	v_cndmask_b32_e64 v0, 0, v0, s[2:3]
	buffer_store_dword v0, off, s[48:51], 0 offset:252 ; 4-byte Folded Spill
	v_add_u32_e32 v0, -2, v49
	v_cmp_gt_i32_e64 s[2:3], s33, v0
	buffer_load_dword v0, off, s[48:51], 0 offset:228 ; 4-byte Folded Reload
	s_waitcnt vmcnt(0)
	v_cndmask_b32_e64 v0, 0, v0, s[2:3]
	buffer_store_dword v0, off, s[48:51], 0 offset:228 ; 4-byte Folded Spill
	v_add_u32_e32 v0, -1, v49
	v_cmp_gt_i32_e64 s[2:3], s33, v0
	buffer_load_dword v0, off, s[48:51], 0 offset:244 ; 4-byte Folded Reload
	s_waitcnt vmcnt(0)
	v_cndmask_b32_e64 v0, 0, v0, s[2:3]
	buffer_store_dword v0, off, s[48:51], 0 offset:244 ; 4-byte Folded Spill
	buffer_load_dword v0, off, s[48:51], 0 offset:236 ; 4-byte Folded Reload
	v_cmp_gt_i32_e64 s[2:3], s33, v49
	s_waitcnt vmcnt(0)
	v_cndmask_b32_e64 v0, 0, v0, s[2:3]
	buffer_store_dword v0, off, s[48:51], 0 offset:236 ; 4-byte Folded Spill
.LBB214_622:                            ;   in Loop: Header=BB214_414 Depth=1
	s_or_b64 exec, exec, s[10:11]
	global_load_dword v17, v[15:16], off offset:2048
	v_mov_b32_e32 v20, 0
	v_mov_b32_e32 v18, 0
	;; [unrolled: 1-line block ×4, first 2 shown]
	s_waitcnt vmcnt(0)
	v_cmp_ne_u16_sdwa s[2:3], v17, v5 src0_sel:BYTE_0 src1_sel:DWORD
	s_and_saveexec_b64 s[10:11], s[2:3]
	s_cbranch_execz .LBB214_628
; %bb.623:                              ;   in Loop: Header=BB214_414 Depth=1
	v_bfrev_b32_e32 v18, 1
	v_mov_b32_e32 v19, 0
	v_cmp_ne_u16_sdwa s[2:3], v17, s26 src0_sel:BYTE_0 src1_sel:DWORD
	s_and_saveexec_b64 s[12:13], s[2:3]
	s_cbranch_execz .LBB214_627
; %bb.624:                              ;   in Loop: Header=BB214_414 Depth=1
	v_and_b32_e32 v0, 0x7f, v17
	v_mov_b32_e32 v18, 0x7f800001
	v_mov_b32_e32 v19, 0
	v_cmp_ne_u32_e64 s[2:3], s27, v0
	s_and_saveexec_b64 s[14:15], s[2:3]
	s_cbranch_execz .LBB214_626
; %bb.625:                              ;   in Loop: Header=BB214_414 Depth=1
	v_and_b32_e32 v11, 7, v17
	v_lshrrev_b32_e32 v13, 3, v0
	v_cmp_gt_u32_e64 s[2:3], 8, v0
	v_ffbh_u32_e32 v0, v11
	v_min_u32_e32 v0, 32, v0
	v_subrev_u32_e32 v9, 28, v0
	v_lshlrev_b64 v[9:10], v9, v[17:18]
	v_sub_u32_e32 v0, 29, v0
	v_and_b32_e32 v9, 7, v9
	v_cndmask_b32_e64 v0, v13, v0, s[2:3]
	v_cndmask_b32_e64 v9, v11, v9, s[2:3]
	v_bfrev_b32_e32 v11, 60
	v_lshlrev_b32_e32 v9, 20, v9
	v_and_b32_sdwa v10, sext(v17), s28 dst_sel:DWORD dst_unused:UNUSED_PAD src0_sel:BYTE_0 src1_sel:DWORD
	v_lshl_add_u32 v0, v0, 23, v11
	v_or3_b32 v18, v10, v0, v9
	v_add_u32_e32 v10, -3, v49
	v_mov_b32_e32 v19, v5
.LBB214_626:                            ;   in Loop: Header=BB214_414 Depth=1
	s_or_b64 exec, exec, s[14:15]
.LBB214_627:                            ;   in Loop: Header=BB214_414 Depth=1
	s_or_b64 exec, exec, s[12:13]
.LBB214_628:                            ;   in Loop: Header=BB214_414 Depth=1
	s_or_b64 exec, exec, s[10:11]
	v_cmp_ne_u16_sdwa s[2:3], v17, v5 src0_sel:BYTE_1 src1_sel:DWORD
	s_and_saveexec_b64 s[10:11], s[2:3]
	s_cbranch_execz .LBB214_634
; %bb.629:                              ;   in Loop: Header=BB214_414 Depth=1
	v_mov_b32_e32 v21, v6
	v_cmp_ne_u16_sdwa s[2:3], v17, s26 src0_sel:BYTE_1 src1_sel:DWORD
	v_mov_b32_e32 v20, v5
	s_and_saveexec_b64 s[12:13], s[2:3]
	s_cbranch_execz .LBB214_633
; %bb.630:                              ;   in Loop: Header=BB214_414 Depth=1
	v_and_b32_sdwa v0, v17, s27 dst_sel:DWORD dst_unused:UNUSED_PAD src0_sel:BYTE_1 src1_sel:DWORD
	v_mov_b32_e32 v11, v5
	v_mov_b32_e32 v21, v12
	v_cmp_ne_u32_e64 s[2:3], s27, v0
	v_mov_b32_e32 v20, v11
	s_and_saveexec_b64 s[14:15], s[2:3]
	s_cbranch_execz .LBB214_632
; %bb.631:                              ;   in Loop: Header=BB214_414 Depth=1
	v_mov_b32_e32 v9, 7
	v_and_b32_sdwa v9, v17, v9 dst_sel:DWORD dst_unused:UNUSED_PAD src0_sel:BYTE_1 src1_sel:DWORD
	v_lshrrev_b32_e32 v13, 3, v0
	v_cmp_gt_u32_e64 s[2:3], 8, v0
	v_ffbh_u32_e32 v0, v9
	v_min_u32_e32 v0, 32, v0
	v_mov_b32_e32 v10, v5
	v_subrev_u32_e32 v11, 28, v0
	v_lshlrev_b64 v[10:11], v11, v[9:10]
	v_sub_u32_e32 v0, 29, v0
	v_and_b32_e32 v10, 7, v10
	v_cndmask_b32_e64 v0, v13, v0, s[2:3]
	v_bfrev_b32_e32 v11, 60
	v_cndmask_b32_e64 v9, v9, v10, s[2:3]
	v_lshlrev_b32_e32 v10, 16, v17
	v_lshl_add_u32 v0, v0, 23, v11
	v_and_or_b32 v0, v10, s28, v0
	v_lshlrev_b32_e32 v9, 20, v9
	v_add_u32_e32 v10, -3, v49
	v_or_b32_e32 v21, v0, v9
	v_mov_b32_e32 v20, v5
.LBB214_632:                            ;   in Loop: Header=BB214_414 Depth=1
	s_or_b64 exec, exec, s[14:15]
.LBB214_633:                            ;   in Loop: Header=BB214_414 Depth=1
	s_or_b64 exec, exec, s[12:13]
.LBB214_634:                            ;   in Loop: Header=BB214_414 Depth=1
	s_or_b64 exec, exec, s[10:11]
	v_lshrrev_b32_e32 v11, 16, v17
	v_mov_b32_e32 v24, 0
	v_mov_b32_e32 v22, 0
	;; [unrolled: 1-line block ×4, first 2 shown]
	v_cmp_ne_u16_sdwa s[2:3], v11, v5 src0_sel:BYTE_0 src1_sel:DWORD
	s_and_saveexec_b64 s[10:11], s[2:3]
	s_cbranch_execz .LBB214_640
; %bb.635:                              ;   in Loop: Header=BB214_414 Depth=1
	v_bfrev_b32_e32 v22, 1
	v_mov_b32_e32 v23, 0
	v_cmp_ne_u16_sdwa s[2:3], v11, s26 src0_sel:BYTE_0 src1_sel:DWORD
	s_and_saveexec_b64 s[12:13], s[2:3]
	s_cbranch_execz .LBB214_639
; %bb.636:                              ;   in Loop: Header=BB214_414 Depth=1
	v_bfe_u32 v0, v17, 16, 7
	v_mov_b32_e32 v22, 0x7f800001
	v_mov_b32_e32 v23, 0
	v_cmp_ne_u32_e64 s[2:3], s27, v0
	s_and_saveexec_b64 s[14:15], s[2:3]
	s_cbranch_execz .LBB214_638
; %bb.637:                              ;   in Loop: Header=BB214_414 Depth=1
	v_and_b32_e32 v13, 7, v11
	v_lshrrev_b32_e32 v14, 3, v0
	v_cmp_gt_u32_e64 s[2:3], 8, v0
	v_ffbh_u32_e32 v0, v13
	v_min_u32_e32 v0, 32, v0
	v_subrev_u32_e32 v9, 28, v0
	v_lshlrev_b64 v[9:10], v9, v[11:12]
	v_sub_u32_e32 v0, 29, v0
	v_and_b32_e32 v9, 7, v9
	v_cndmask_b32_e64 v0, v14, v0, s[2:3]
	v_cndmask_b32_e64 v9, v13, v9, s[2:3]
	v_and_b32_sdwa v10, sext(v11), s28 dst_sel:DWORD dst_unused:UNUSED_PAD src0_sel:BYTE_0 src1_sel:DWORD
	v_bfrev_b32_e32 v11, 60
	v_lshlrev_b32_e32 v9, 20, v9
	v_lshl_add_u32 v0, v0, 23, v11
	v_or3_b32 v22, v10, v0, v9
	v_add_u32_e32 v10, -3, v49
	v_mov_b32_e32 v23, v5
.LBB214_638:                            ;   in Loop: Header=BB214_414 Depth=1
	s_or_b64 exec, exec, s[14:15]
.LBB214_639:                            ;   in Loop: Header=BB214_414 Depth=1
	s_or_b64 exec, exec, s[12:13]
.LBB214_640:                            ;   in Loop: Header=BB214_414 Depth=1
	s_or_b64 exec, exec, s[10:11]
	v_cmp_lt_u32_e64 s[2:3], s29, v17
	s_and_saveexec_b64 s[10:11], s[2:3]
	s_cbranch_execz .LBB214_646
; %bb.641:                              ;   in Loop: Header=BB214_414 Depth=1
	v_mov_b32_e32 v25, v6
	v_cmp_ne_u32_sdwa s[2:3], v17, s26 src0_sel:BYTE_3 src1_sel:DWORD
	v_mov_b32_e32 v24, v5
	s_and_saveexec_b64 s[12:13], s[2:3]
	s_cbranch_execz .LBB214_645
; %bb.642:                              ;   in Loop: Header=BB214_414 Depth=1
	v_bfe_u32 v0, v17, 24, 7
	v_mov_b32_e32 v11, v5
	v_mov_b32_e32 v25, v12
	v_cmp_ne_u32_e64 s[2:3], s27, v0
	v_mov_b32_e32 v24, v11
	s_and_saveexec_b64 s[14:15], s[2:3]
	s_cbranch_execz .LBB214_644
; %bb.643:                              ;   in Loop: Header=BB214_414 Depth=1
	v_mov_b32_e32 v9, 7
	v_and_b32_sdwa v9, v17, v9 dst_sel:DWORD dst_unused:UNUSED_PAD src0_sel:BYTE_3 src1_sel:DWORD
	v_lshrrev_b32_e32 v13, 3, v0
	v_cmp_gt_u32_e64 s[2:3], 8, v0
	v_ffbh_u32_e32 v0, v9
	v_min_u32_e32 v0, 32, v0
	v_mov_b32_e32 v10, v5
	v_subrev_u32_e32 v11, 28, v0
	v_lshlrev_b64 v[10:11], v11, v[9:10]
	v_sub_u32_e32 v0, 29, v0
	v_and_b32_e32 v10, 7, v10
	v_cndmask_b32_e64 v0, v13, v0, s[2:3]
	v_cndmask_b32_e64 v9, v9, v10, s[2:3]
	v_mov_b32_e32 v10, 24
	v_bfrev_b32_e32 v11, 60
	v_lshlrev_b32_sdwa v10, v10, v17 dst_sel:DWORD dst_unused:UNUSED_PAD src0_sel:DWORD src1_sel:BYTE_3
	v_lshl_add_u32 v0, v0, 23, v11
	v_and_or_b32 v0, v10, s28, v0
	v_lshlrev_b32_e32 v9, 20, v9
	v_add_u32_e32 v10, -3, v49
	v_or_b32_e32 v25, v0, v9
	v_mov_b32_e32 v24, v5
.LBB214_644:                            ;   in Loop: Header=BB214_414 Depth=1
	s_or_b64 exec, exec, s[14:15]
.LBB214_645:                            ;   in Loop: Header=BB214_414 Depth=1
	s_or_b64 exec, exec, s[12:13]
.LBB214_646:                            ;   in Loop: Header=BB214_414 Depth=1
	s_or_b64 exec, exec, s[10:11]
	v_or_b32_e32 v0, v21, v19
	v_or_b32_e32 v9, v20, v18
	v_mul_f32_e32 v0, s18, v0
	buffer_store_dword v0, off, s[48:51], 0 offset:260 ; 4-byte Folded Spill
	v_mul_f32_e32 v27, s17, v9
	v_or_b32_e32 v0, v25, v23
	v_or_b32_e32 v9, v24, v22
	v_mul_f32_e32 v9, s17, v9
	v_mul_f32_e32 v48, s18, v0
	buffer_store_dword v9, off, s[48:51], 0 offset:268 ; 4-byte Folded Spill
	s_and_saveexec_b64 s[10:11], vcc
	s_cbranch_execz .LBB214_648
; %bb.647:                              ;   in Loop: Header=BB214_414 Depth=1
	v_cmp_gt_i32_e64 s[2:3], s33, v10
	v_add_u32_e32 v0, -2, v49
	v_cndmask_b32_e64 v27, 0, v27, s[2:3]
	v_cmp_gt_i32_e64 s[2:3], s33, v0
	buffer_load_dword v0, off, s[48:51], 0 offset:260 ; 4-byte Folded Reload
	s_waitcnt vmcnt(0)
	v_cndmask_b32_e64 v0, 0, v0, s[2:3]
	buffer_store_dword v0, off, s[48:51], 0 offset:260 ; 4-byte Folded Spill
	v_add_u32_e32 v0, -1, v49
	v_cmp_gt_i32_e64 s[2:3], s33, v0
	buffer_load_dword v0, off, s[48:51], 0 offset:268 ; 4-byte Folded Reload
	s_waitcnt vmcnt(0)
	v_cndmask_b32_e64 v0, 0, v0, s[2:3]
	v_cmp_gt_i32_e64 s[2:3], s33, v49
	v_cndmask_b32_e64 v48, 0, v48, s[2:3]
	buffer_store_dword v0, off, s[48:51], 0 offset:268 ; 4-byte Folded Spill
.LBB214_648:                            ;   in Loop: Header=BB214_414 Depth=1
	s_or_b64 exec, exec, s[10:11]
	global_load_dword v17, v[15:16], off offset:2304
	v_mov_b32_e32 v20, 0
	v_mov_b32_e32 v18, 0
	;; [unrolled: 1-line block ×4, first 2 shown]
	s_waitcnt vmcnt(0)
	v_cmp_ne_u16_sdwa s[2:3], v17, v5 src0_sel:BYTE_0 src1_sel:DWORD
	s_and_saveexec_b64 s[10:11], s[2:3]
	s_cbranch_execz .LBB214_654
; %bb.649:                              ;   in Loop: Header=BB214_414 Depth=1
	v_bfrev_b32_e32 v18, 1
	v_mov_b32_e32 v19, 0
	v_cmp_ne_u16_sdwa s[2:3], v17, s26 src0_sel:BYTE_0 src1_sel:DWORD
	s_and_saveexec_b64 s[12:13], s[2:3]
	s_cbranch_execz .LBB214_653
; %bb.650:                              ;   in Loop: Header=BB214_414 Depth=1
	v_and_b32_e32 v0, 0x7f, v17
	v_mov_b32_e32 v18, 0x7f800001
	v_mov_b32_e32 v19, 0
	v_cmp_ne_u32_e64 s[2:3], s27, v0
	s_and_saveexec_b64 s[14:15], s[2:3]
	s_cbranch_execz .LBB214_652
; %bb.651:                              ;   in Loop: Header=BB214_414 Depth=1
	v_and_b32_e32 v11, 7, v17
	v_lshrrev_b32_e32 v13, 3, v0
	v_cmp_gt_u32_e64 s[2:3], 8, v0
	v_ffbh_u32_e32 v0, v11
	v_min_u32_e32 v0, 32, v0
	v_subrev_u32_e32 v14, 28, v0
	v_lshlrev_b64 v[18:19], v14, v[17:18]
	v_sub_u32_e32 v0, 29, v0
	v_and_b32_e32 v14, 7, v18
	v_cndmask_b32_e64 v0, v13, v0, s[2:3]
	v_cndmask_b32_e64 v11, v11, v14, s[2:3]
	v_bfrev_b32_e32 v9, 60
	v_lshlrev_b32_e32 v11, 20, v11
	v_and_b32_sdwa v13, sext(v17), s28 dst_sel:DWORD dst_unused:UNUSED_PAD src0_sel:BYTE_0 src1_sel:DWORD
	v_lshl_add_u32 v0, v0, 23, v9
	v_or3_b32 v18, v13, v0, v11
	v_mov_b32_e32 v19, v5
.LBB214_652:                            ;   in Loop: Header=BB214_414 Depth=1
	s_or_b64 exec, exec, s[14:15]
.LBB214_653:                            ;   in Loop: Header=BB214_414 Depth=1
	s_or_b64 exec, exec, s[12:13]
.LBB214_654:                            ;   in Loop: Header=BB214_414 Depth=1
	s_or_b64 exec, exec, s[10:11]
	v_cmp_ne_u16_sdwa s[2:3], v17, v5 src0_sel:BYTE_1 src1_sel:DWORD
	s_and_saveexec_b64 s[10:11], s[2:3]
	s_cbranch_execz .LBB214_660
; %bb.655:                              ;   in Loop: Header=BB214_414 Depth=1
	v_mov_b32_e32 v21, v6
	v_cmp_ne_u16_sdwa s[2:3], v17, s26 src0_sel:BYTE_1 src1_sel:DWORD
	v_mov_b32_e32 v20, v5
	s_and_saveexec_b64 s[12:13], s[2:3]
	s_cbranch_execz .LBB214_659
; %bb.656:                              ;   in Loop: Header=BB214_414 Depth=1
	v_and_b32_sdwa v0, v17, s27 dst_sel:DWORD dst_unused:UNUSED_PAD src0_sel:BYTE_1 src1_sel:DWORD
	v_mov_b32_e32 v11, v5
	v_mov_b32_e32 v21, v12
	v_cmp_ne_u32_e64 s[2:3], s27, v0
	v_mov_b32_e32 v20, v11
	s_and_saveexec_b64 s[14:15], s[2:3]
	s_cbranch_execz .LBB214_658
; %bb.657:                              ;   in Loop: Header=BB214_414 Depth=1
	v_mov_b32_e32 v9, 7
	v_and_b32_sdwa v20, v17, v9 dst_sel:DWORD dst_unused:UNUSED_PAD src0_sel:BYTE_1 src1_sel:DWORD
	v_lshrrev_b32_e32 v11, 3, v0
	v_cmp_gt_u32_e64 s[2:3], 8, v0
	v_ffbh_u32_e32 v0, v20
	v_min_u32_e32 v0, 32, v0
	v_mov_b32_e32 v21, v5
	v_subrev_u32_e32 v13, 28, v0
	v_lshlrev_b64 v[21:22], v13, v[20:21]
	v_sub_u32_e32 v0, 29, v0
	v_and_b32_e32 v13, 7, v21
	v_cndmask_b32_e64 v0, v11, v0, s[2:3]
	v_bfrev_b32_e32 v9, 60
	v_cndmask_b32_e64 v11, v20, v13, s[2:3]
	v_lshlrev_b32_e32 v13, 16, v17
	v_lshl_add_u32 v0, v0, 23, v9
	v_and_or_b32 v0, v13, s28, v0
	v_lshlrev_b32_e32 v11, 20, v11
	v_or_b32_e32 v21, v0, v11
	v_mov_b32_e32 v20, v5
.LBB214_658:                            ;   in Loop: Header=BB214_414 Depth=1
	s_or_b64 exec, exec, s[14:15]
.LBB214_659:                            ;   in Loop: Header=BB214_414 Depth=1
	s_or_b64 exec, exec, s[12:13]
.LBB214_660:                            ;   in Loop: Header=BB214_414 Depth=1
	s_or_b64 exec, exec, s[10:11]
	v_lshrrev_b32_e32 v11, 16, v17
	v_mov_b32_e32 v24, 0
	v_mov_b32_e32 v22, 0
	;; [unrolled: 1-line block ×4, first 2 shown]
	v_cmp_ne_u16_sdwa s[2:3], v11, v5 src0_sel:BYTE_0 src1_sel:DWORD
	s_and_saveexec_b64 s[10:11], s[2:3]
	s_cbranch_execz .LBB214_666
; %bb.661:                              ;   in Loop: Header=BB214_414 Depth=1
	v_bfrev_b32_e32 v22, 1
	v_mov_b32_e32 v23, 0
	v_cmp_ne_u16_sdwa s[2:3], v11, s26 src0_sel:BYTE_0 src1_sel:DWORD
	s_and_saveexec_b64 s[12:13], s[2:3]
	s_cbranch_execz .LBB214_665
; %bb.662:                              ;   in Loop: Header=BB214_414 Depth=1
	v_bfe_u32 v0, v17, 16, 7
	v_mov_b32_e32 v22, 0x7f800001
	v_mov_b32_e32 v23, 0
	v_cmp_ne_u32_e64 s[2:3], s27, v0
	s_and_saveexec_b64 s[14:15], s[2:3]
	s_cbranch_execz .LBB214_664
; %bb.663:                              ;   in Loop: Header=BB214_414 Depth=1
	v_and_b32_e32 v13, 7, v11
	v_lshrrev_b32_e32 v14, 3, v0
	v_cmp_gt_u32_e64 s[2:3], 8, v0
	v_ffbh_u32_e32 v0, v13
	v_min_u32_e32 v0, 32, v0
	v_subrev_u32_e32 v22, 28, v0
	v_lshlrev_b64 v[22:23], v22, v[11:12]
	v_sub_u32_e32 v0, 29, v0
	v_and_b32_e32 v22, 7, v22
	v_cndmask_b32_e64 v0, v14, v0, s[2:3]
	v_cndmask_b32_e64 v13, v13, v22, s[2:3]
	v_bfrev_b32_e32 v9, 60
	v_lshlrev_b32_e32 v13, 20, v13
	v_and_b32_sdwa v11, sext(v11), s28 dst_sel:DWORD dst_unused:UNUSED_PAD src0_sel:BYTE_0 src1_sel:DWORD
	v_lshl_add_u32 v0, v0, 23, v9
	v_or3_b32 v22, v11, v0, v13
	v_mov_b32_e32 v23, v5
.LBB214_664:                            ;   in Loop: Header=BB214_414 Depth=1
	s_or_b64 exec, exec, s[14:15]
.LBB214_665:                            ;   in Loop: Header=BB214_414 Depth=1
	s_or_b64 exec, exec, s[12:13]
.LBB214_666:                            ;   in Loop: Header=BB214_414 Depth=1
	s_or_b64 exec, exec, s[10:11]
	v_cmp_lt_u32_e64 s[2:3], s29, v17
	s_and_saveexec_b64 s[10:11], s[2:3]
	s_cbranch_execz .LBB214_672
; %bb.667:                              ;   in Loop: Header=BB214_414 Depth=1
	v_mov_b32_e32 v25, v6
	v_cmp_ne_u32_sdwa s[2:3], v17, s26 src0_sel:BYTE_3 src1_sel:DWORD
	v_mov_b32_e32 v24, v5
	s_and_saveexec_b64 s[12:13], s[2:3]
	s_cbranch_execz .LBB214_671
; %bb.668:                              ;   in Loop: Header=BB214_414 Depth=1
	v_bfe_u32 v0, v17, 24, 7
	v_mov_b32_e32 v11, v5
	v_mov_b32_e32 v25, v12
	v_cmp_ne_u32_e64 s[2:3], s27, v0
	v_mov_b32_e32 v24, v11
	s_and_saveexec_b64 s[14:15], s[2:3]
	s_cbranch_execz .LBB214_670
; %bb.669:                              ;   in Loop: Header=BB214_414 Depth=1
	v_mov_b32_e32 v9, 7
	v_and_b32_sdwa v24, v17, v9 dst_sel:DWORD dst_unused:UNUSED_PAD src0_sel:BYTE_3 src1_sel:DWORD
	v_lshrrev_b32_e32 v11, 3, v0
	v_cmp_gt_u32_e64 s[2:3], 8, v0
	v_ffbh_u32_e32 v0, v24
	v_min_u32_e32 v0, 32, v0
	v_mov_b32_e32 v25, v5
	v_subrev_u32_e32 v13, 28, v0
	v_lshlrev_b64 v[25:26], v13, v[24:25]
	v_sub_u32_e32 v0, 29, v0
	v_and_b32_e32 v13, 7, v25
	v_mov_b32_e32 v9, 24
	v_cndmask_b32_e64 v0, v11, v0, s[2:3]
	v_cndmask_b32_e64 v11, v24, v13, s[2:3]
	v_lshlrev_b32_sdwa v13, v9, v17 dst_sel:DWORD dst_unused:UNUSED_PAD src0_sel:DWORD src1_sel:BYTE_3
	v_bfrev_b32_e32 v9, 60
	v_lshl_add_u32 v0, v0, 23, v9
	v_and_or_b32 v0, v13, s28, v0
	v_lshlrev_b32_e32 v11, 20, v11
	v_or_b32_e32 v25, v0, v11
	v_mov_b32_e32 v24, v5
.LBB214_670:                            ;   in Loop: Header=BB214_414 Depth=1
	s_or_b64 exec, exec, s[14:15]
.LBB214_671:                            ;   in Loop: Header=BB214_414 Depth=1
	s_or_b64 exec, exec, s[12:13]
.LBB214_672:                            ;   in Loop: Header=BB214_414 Depth=1
	s_or_b64 exec, exec, s[10:11]
	v_or_b32_e32 v0, v21, v19
	v_or_b32_e32 v11, v20, v18
	v_mul_f32_e32 v28, s18, v0
	v_mul_f32_e32 v53, s17, v11
	v_or_b32_e32 v0, v25, v23
	v_or_b32_e32 v11, v24, v22
	v_mul_f32_e32 v51, s17, v11
	v_mul_f32_e32 v29, s18, v0
	s_and_saveexec_b64 s[10:11], vcc
	s_cbranch_execz .LBB214_674
; %bb.673:                              ;   in Loop: Header=BB214_414 Depth=1
	v_cmp_gt_i32_e64 s[2:3], s33, v10
	v_add_u32_e32 v0, -2, v49
	v_cndmask_b32_e64 v53, 0, v53, s[2:3]
	v_cmp_gt_i32_e64 s[2:3], s33, v0
	v_add_u32_e32 v0, -1, v49
	v_cndmask_b32_e64 v28, 0, v28, s[2:3]
	v_cmp_gt_i32_e64 s[2:3], s33, v0
	v_cndmask_b32_e64 v51, 0, v51, s[2:3]
	v_cmp_gt_i32_e64 s[2:3], s33, v49
	v_cndmask_b32_e64 v29, 0, v29, s[2:3]
.LBB214_674:                            ;   in Loop: Header=BB214_414 Depth=1
	s_or_b64 exec, exec, s[10:11]
	global_load_dword v17, v[15:16], off offset:2560
	v_mov_b32_e32 v20, 0
	v_mov_b32_e32 v18, 0
	;; [unrolled: 1-line block ×4, first 2 shown]
	s_waitcnt vmcnt(0)
	v_cmp_ne_u16_sdwa s[2:3], v17, v5 src0_sel:BYTE_0 src1_sel:DWORD
	s_and_saveexec_b64 s[10:11], s[2:3]
	s_cbranch_execz .LBB214_680
; %bb.675:                              ;   in Loop: Header=BB214_414 Depth=1
	v_bfrev_b32_e32 v18, 1
	v_mov_b32_e32 v19, 0
	v_cmp_ne_u16_sdwa s[2:3], v17, s26 src0_sel:BYTE_0 src1_sel:DWORD
	s_and_saveexec_b64 s[12:13], s[2:3]
	s_cbranch_execz .LBB214_679
; %bb.676:                              ;   in Loop: Header=BB214_414 Depth=1
	v_and_b32_e32 v0, 0x7f, v17
	v_mov_b32_e32 v18, 0x7f800001
	v_mov_b32_e32 v19, 0
	v_cmp_ne_u32_e64 s[2:3], s27, v0
	s_and_saveexec_b64 s[14:15], s[2:3]
	s_cbranch_execz .LBB214_678
; %bb.677:                              ;   in Loop: Header=BB214_414 Depth=1
	v_and_b32_e32 v11, 7, v17
	v_lshrrev_b32_e32 v13, 3, v0
	v_cmp_gt_u32_e64 s[2:3], 8, v0
	v_ffbh_u32_e32 v0, v11
	v_min_u32_e32 v0, 32, v0
	v_subrev_u32_e32 v14, 28, v0
	v_lshlrev_b64 v[18:19], v14, v[17:18]
	v_sub_u32_e32 v0, 29, v0
	v_and_b32_e32 v14, 7, v18
	v_cndmask_b32_e64 v0, v13, v0, s[2:3]
	v_cndmask_b32_e64 v11, v11, v14, s[2:3]
	v_bfrev_b32_e32 v9, 60
	v_lshlrev_b32_e32 v11, 20, v11
	v_and_b32_sdwa v13, sext(v17), s28 dst_sel:DWORD dst_unused:UNUSED_PAD src0_sel:BYTE_0 src1_sel:DWORD
	v_lshl_add_u32 v0, v0, 23, v9
	v_or3_b32 v18, v13, v0, v11
	v_mov_b32_e32 v19, v5
.LBB214_678:                            ;   in Loop: Header=BB214_414 Depth=1
	s_or_b64 exec, exec, s[14:15]
.LBB214_679:                            ;   in Loop: Header=BB214_414 Depth=1
	s_or_b64 exec, exec, s[12:13]
.LBB214_680:                            ;   in Loop: Header=BB214_414 Depth=1
	s_or_b64 exec, exec, s[10:11]
	v_cmp_ne_u16_sdwa s[2:3], v17, v5 src0_sel:BYTE_1 src1_sel:DWORD
	s_and_saveexec_b64 s[10:11], s[2:3]
	s_cbranch_execz .LBB214_686
; %bb.681:                              ;   in Loop: Header=BB214_414 Depth=1
	v_mov_b32_e32 v21, v6
	v_cmp_ne_u16_sdwa s[2:3], v17, s26 src0_sel:BYTE_1 src1_sel:DWORD
	v_mov_b32_e32 v20, v5
	s_and_saveexec_b64 s[12:13], s[2:3]
	s_cbranch_execz .LBB214_685
; %bb.682:                              ;   in Loop: Header=BB214_414 Depth=1
	v_and_b32_sdwa v0, v17, s27 dst_sel:DWORD dst_unused:UNUSED_PAD src0_sel:BYTE_1 src1_sel:DWORD
	v_mov_b32_e32 v11, v5
	v_mov_b32_e32 v21, v12
	v_cmp_ne_u32_e64 s[2:3], s27, v0
	v_mov_b32_e32 v20, v11
	s_and_saveexec_b64 s[14:15], s[2:3]
	s_cbranch_execz .LBB214_684
; %bb.683:                              ;   in Loop: Header=BB214_414 Depth=1
	v_mov_b32_e32 v9, 7
	v_and_b32_sdwa v20, v17, v9 dst_sel:DWORD dst_unused:UNUSED_PAD src0_sel:BYTE_1 src1_sel:DWORD
	v_lshrrev_b32_e32 v11, 3, v0
	v_cmp_gt_u32_e64 s[2:3], 8, v0
	v_ffbh_u32_e32 v0, v20
	v_min_u32_e32 v0, 32, v0
	v_mov_b32_e32 v21, v5
	v_subrev_u32_e32 v13, 28, v0
	v_lshlrev_b64 v[21:22], v13, v[20:21]
	v_sub_u32_e32 v0, 29, v0
	v_and_b32_e32 v13, 7, v21
	v_cndmask_b32_e64 v0, v11, v0, s[2:3]
	v_bfrev_b32_e32 v9, 60
	v_cndmask_b32_e64 v11, v20, v13, s[2:3]
	v_lshlrev_b32_e32 v13, 16, v17
	v_lshl_add_u32 v0, v0, 23, v9
	v_and_or_b32 v0, v13, s28, v0
	v_lshlrev_b32_e32 v11, 20, v11
	v_or_b32_e32 v21, v0, v11
	v_mov_b32_e32 v20, v5
.LBB214_684:                            ;   in Loop: Header=BB214_414 Depth=1
	s_or_b64 exec, exec, s[14:15]
.LBB214_685:                            ;   in Loop: Header=BB214_414 Depth=1
	s_or_b64 exec, exec, s[12:13]
.LBB214_686:                            ;   in Loop: Header=BB214_414 Depth=1
	s_or_b64 exec, exec, s[10:11]
	v_lshrrev_b32_e32 v11, 16, v17
	v_mov_b32_e32 v24, 0
	v_mov_b32_e32 v22, 0
	;; [unrolled: 1-line block ×4, first 2 shown]
	v_cmp_ne_u16_sdwa s[2:3], v11, v5 src0_sel:BYTE_0 src1_sel:DWORD
	s_and_saveexec_b64 s[10:11], s[2:3]
	s_cbranch_execz .LBB214_692
; %bb.687:                              ;   in Loop: Header=BB214_414 Depth=1
	v_bfrev_b32_e32 v22, 1
	v_mov_b32_e32 v23, 0
	v_cmp_ne_u16_sdwa s[2:3], v11, s26 src0_sel:BYTE_0 src1_sel:DWORD
	s_and_saveexec_b64 s[12:13], s[2:3]
	s_cbranch_execz .LBB214_691
; %bb.688:                              ;   in Loop: Header=BB214_414 Depth=1
	v_bfe_u32 v0, v17, 16, 7
	v_mov_b32_e32 v22, 0x7f800001
	v_mov_b32_e32 v23, 0
	v_cmp_ne_u32_e64 s[2:3], s27, v0
	s_and_saveexec_b64 s[14:15], s[2:3]
	s_cbranch_execz .LBB214_690
; %bb.689:                              ;   in Loop: Header=BB214_414 Depth=1
	v_and_b32_e32 v13, 7, v11
	v_lshrrev_b32_e32 v14, 3, v0
	v_cmp_gt_u32_e64 s[2:3], 8, v0
	v_ffbh_u32_e32 v0, v13
	v_min_u32_e32 v0, 32, v0
	v_subrev_u32_e32 v22, 28, v0
	v_lshlrev_b64 v[22:23], v22, v[11:12]
	v_sub_u32_e32 v0, 29, v0
	v_and_b32_e32 v22, 7, v22
	v_cndmask_b32_e64 v0, v14, v0, s[2:3]
	v_cndmask_b32_e64 v13, v13, v22, s[2:3]
	v_bfrev_b32_e32 v9, 60
	v_lshlrev_b32_e32 v13, 20, v13
	v_and_b32_sdwa v11, sext(v11), s28 dst_sel:DWORD dst_unused:UNUSED_PAD src0_sel:BYTE_0 src1_sel:DWORD
	v_lshl_add_u32 v0, v0, 23, v9
	v_or3_b32 v22, v11, v0, v13
	v_mov_b32_e32 v23, v5
.LBB214_690:                            ;   in Loop: Header=BB214_414 Depth=1
	s_or_b64 exec, exec, s[14:15]
.LBB214_691:                            ;   in Loop: Header=BB214_414 Depth=1
	s_or_b64 exec, exec, s[12:13]
.LBB214_692:                            ;   in Loop: Header=BB214_414 Depth=1
	s_or_b64 exec, exec, s[10:11]
	v_cmp_lt_u32_e64 s[2:3], s29, v17
	s_and_saveexec_b64 s[10:11], s[2:3]
	s_cbranch_execz .LBB214_698
; %bb.693:                              ;   in Loop: Header=BB214_414 Depth=1
	v_mov_b32_e32 v25, v6
	v_cmp_ne_u32_sdwa s[2:3], v17, s26 src0_sel:BYTE_3 src1_sel:DWORD
	v_mov_b32_e32 v24, v5
	s_and_saveexec_b64 s[12:13], s[2:3]
	s_cbranch_execz .LBB214_697
; %bb.694:                              ;   in Loop: Header=BB214_414 Depth=1
	v_bfe_u32 v0, v17, 24, 7
	v_mov_b32_e32 v11, v5
	v_mov_b32_e32 v25, v12
	v_cmp_ne_u32_e64 s[2:3], s27, v0
	v_mov_b32_e32 v24, v11
	s_and_saveexec_b64 s[14:15], s[2:3]
	s_cbranch_execz .LBB214_696
; %bb.695:                              ;   in Loop: Header=BB214_414 Depth=1
	v_mov_b32_e32 v9, 7
	v_and_b32_sdwa v24, v17, v9 dst_sel:DWORD dst_unused:UNUSED_PAD src0_sel:BYTE_3 src1_sel:DWORD
	v_lshrrev_b32_e32 v11, 3, v0
	v_cmp_gt_u32_e64 s[2:3], 8, v0
	v_ffbh_u32_e32 v0, v24
	v_min_u32_e32 v0, 32, v0
	v_mov_b32_e32 v25, v5
	v_subrev_u32_e32 v13, 28, v0
	v_lshlrev_b64 v[25:26], v13, v[24:25]
	v_sub_u32_e32 v0, 29, v0
	v_and_b32_e32 v13, 7, v25
	v_mov_b32_e32 v9, 24
	v_cndmask_b32_e64 v0, v11, v0, s[2:3]
	v_cndmask_b32_e64 v11, v24, v13, s[2:3]
	v_lshlrev_b32_sdwa v13, v9, v17 dst_sel:DWORD dst_unused:UNUSED_PAD src0_sel:DWORD src1_sel:BYTE_3
	v_bfrev_b32_e32 v9, 60
	v_lshl_add_u32 v0, v0, 23, v9
	v_and_or_b32 v0, v13, s28, v0
	v_lshlrev_b32_e32 v11, 20, v11
	v_or_b32_e32 v25, v0, v11
	v_mov_b32_e32 v24, v5
.LBB214_696:                            ;   in Loop: Header=BB214_414 Depth=1
	s_or_b64 exec, exec, s[14:15]
.LBB214_697:                            ;   in Loop: Header=BB214_414 Depth=1
	s_or_b64 exec, exec, s[12:13]
.LBB214_698:                            ;   in Loop: Header=BB214_414 Depth=1
	s_or_b64 exec, exec, s[10:11]
	v_or_b32_e32 v0, v21, v19
	v_or_b32_e32 v11, v20, v18
	v_mul_f32_e32 v54, s18, v0
	v_mul_f32_e32 v60, s17, v11
	v_or_b32_e32 v0, v25, v23
	v_or_b32_e32 v11, v24, v22
	v_mul_f32_e32 v56, s17, v11
	v_mul_f32_e32 v55, s18, v0
	s_and_saveexec_b64 s[10:11], vcc
	s_cbranch_execz .LBB214_700
; %bb.699:                              ;   in Loop: Header=BB214_414 Depth=1
	v_cmp_gt_i32_e64 s[2:3], s33, v10
	v_add_u32_e32 v0, -2, v49
	v_cndmask_b32_e64 v60, 0, v60, s[2:3]
	v_cmp_gt_i32_e64 s[2:3], s33, v0
	v_add_u32_e32 v0, -1, v49
	v_cndmask_b32_e64 v54, 0, v54, s[2:3]
	v_cmp_gt_i32_e64 s[2:3], s33, v0
	v_cndmask_b32_e64 v56, 0, v56, s[2:3]
	v_cmp_gt_i32_e64 s[2:3], s33, v49
	v_cndmask_b32_e64 v55, 0, v55, s[2:3]
.LBB214_700:                            ;   in Loop: Header=BB214_414 Depth=1
	s_or_b64 exec, exec, s[10:11]
	global_load_dword v17, v[15:16], off offset:2816
	v_mov_b32_e32 v20, 0
	v_mov_b32_e32 v18, 0
	;; [unrolled: 1-line block ×4, first 2 shown]
	s_waitcnt vmcnt(0)
	v_cmp_ne_u16_sdwa s[2:3], v17, v5 src0_sel:BYTE_0 src1_sel:DWORD
	s_and_saveexec_b64 s[10:11], s[2:3]
	s_cbranch_execz .LBB214_706
; %bb.701:                              ;   in Loop: Header=BB214_414 Depth=1
	v_bfrev_b32_e32 v18, 1
	v_mov_b32_e32 v19, 0
	v_cmp_ne_u16_sdwa s[2:3], v17, s26 src0_sel:BYTE_0 src1_sel:DWORD
	s_and_saveexec_b64 s[12:13], s[2:3]
	s_cbranch_execz .LBB214_705
; %bb.702:                              ;   in Loop: Header=BB214_414 Depth=1
	v_and_b32_e32 v0, 0x7f, v17
	v_mov_b32_e32 v18, 0x7f800001
	v_mov_b32_e32 v19, 0
	v_cmp_ne_u32_e64 s[2:3], s27, v0
	s_and_saveexec_b64 s[14:15], s[2:3]
	s_cbranch_execz .LBB214_704
; %bb.703:                              ;   in Loop: Header=BB214_414 Depth=1
	v_and_b32_e32 v11, 7, v17
	v_lshrrev_b32_e32 v13, 3, v0
	v_cmp_gt_u32_e64 s[2:3], 8, v0
	v_ffbh_u32_e32 v0, v11
	v_min_u32_e32 v0, 32, v0
	v_subrev_u32_e32 v14, 28, v0
	v_lshlrev_b64 v[18:19], v14, v[17:18]
	v_sub_u32_e32 v0, 29, v0
	v_and_b32_e32 v14, 7, v18
	v_cndmask_b32_e64 v0, v13, v0, s[2:3]
	v_cndmask_b32_e64 v11, v11, v14, s[2:3]
	v_bfrev_b32_e32 v9, 60
	v_lshlrev_b32_e32 v11, 20, v11
	v_and_b32_sdwa v13, sext(v17), s28 dst_sel:DWORD dst_unused:UNUSED_PAD src0_sel:BYTE_0 src1_sel:DWORD
	v_lshl_add_u32 v0, v0, 23, v9
	v_or3_b32 v18, v13, v0, v11
	v_mov_b32_e32 v19, v5
.LBB214_704:                            ;   in Loop: Header=BB214_414 Depth=1
	s_or_b64 exec, exec, s[14:15]
.LBB214_705:                            ;   in Loop: Header=BB214_414 Depth=1
	s_or_b64 exec, exec, s[12:13]
.LBB214_706:                            ;   in Loop: Header=BB214_414 Depth=1
	s_or_b64 exec, exec, s[10:11]
	v_cmp_ne_u16_sdwa s[2:3], v17, v5 src0_sel:BYTE_1 src1_sel:DWORD
	s_and_saveexec_b64 s[10:11], s[2:3]
	s_cbranch_execz .LBB214_712
; %bb.707:                              ;   in Loop: Header=BB214_414 Depth=1
	v_mov_b32_e32 v21, v6
	v_cmp_ne_u16_sdwa s[2:3], v17, s26 src0_sel:BYTE_1 src1_sel:DWORD
	v_mov_b32_e32 v20, v5
	s_and_saveexec_b64 s[12:13], s[2:3]
	s_cbranch_execz .LBB214_711
; %bb.708:                              ;   in Loop: Header=BB214_414 Depth=1
	v_and_b32_sdwa v0, v17, s27 dst_sel:DWORD dst_unused:UNUSED_PAD src0_sel:BYTE_1 src1_sel:DWORD
	v_mov_b32_e32 v11, v5
	v_mov_b32_e32 v21, v12
	v_cmp_ne_u32_e64 s[2:3], s27, v0
	v_mov_b32_e32 v20, v11
	s_and_saveexec_b64 s[14:15], s[2:3]
	s_cbranch_execz .LBB214_710
; %bb.709:                              ;   in Loop: Header=BB214_414 Depth=1
	v_mov_b32_e32 v9, 7
	v_and_b32_sdwa v20, v17, v9 dst_sel:DWORD dst_unused:UNUSED_PAD src0_sel:BYTE_1 src1_sel:DWORD
	v_lshrrev_b32_e32 v11, 3, v0
	v_cmp_gt_u32_e64 s[2:3], 8, v0
	v_ffbh_u32_e32 v0, v20
	v_min_u32_e32 v0, 32, v0
	v_mov_b32_e32 v21, v5
	v_subrev_u32_e32 v13, 28, v0
	v_lshlrev_b64 v[21:22], v13, v[20:21]
	v_sub_u32_e32 v0, 29, v0
	v_and_b32_e32 v13, 7, v21
	v_cndmask_b32_e64 v0, v11, v0, s[2:3]
	v_bfrev_b32_e32 v9, 60
	v_cndmask_b32_e64 v11, v20, v13, s[2:3]
	v_lshlrev_b32_e32 v13, 16, v17
	v_lshl_add_u32 v0, v0, 23, v9
	v_and_or_b32 v0, v13, s28, v0
	v_lshlrev_b32_e32 v11, 20, v11
	v_or_b32_e32 v21, v0, v11
	v_mov_b32_e32 v20, v5
.LBB214_710:                            ;   in Loop: Header=BB214_414 Depth=1
	s_or_b64 exec, exec, s[14:15]
.LBB214_711:                            ;   in Loop: Header=BB214_414 Depth=1
	s_or_b64 exec, exec, s[12:13]
.LBB214_712:                            ;   in Loop: Header=BB214_414 Depth=1
	s_or_b64 exec, exec, s[10:11]
	v_lshrrev_b32_e32 v11, 16, v17
	v_mov_b32_e32 v24, 0
	v_mov_b32_e32 v22, 0
	;; [unrolled: 1-line block ×4, first 2 shown]
	v_cmp_ne_u16_sdwa s[2:3], v11, v5 src0_sel:BYTE_0 src1_sel:DWORD
	s_and_saveexec_b64 s[10:11], s[2:3]
	s_cbranch_execz .LBB214_718
; %bb.713:                              ;   in Loop: Header=BB214_414 Depth=1
	v_bfrev_b32_e32 v22, 1
	v_mov_b32_e32 v23, 0
	v_cmp_ne_u16_sdwa s[2:3], v11, s26 src0_sel:BYTE_0 src1_sel:DWORD
	s_and_saveexec_b64 s[12:13], s[2:3]
	s_cbranch_execz .LBB214_717
; %bb.714:                              ;   in Loop: Header=BB214_414 Depth=1
	v_bfe_u32 v0, v17, 16, 7
	v_mov_b32_e32 v22, 0x7f800001
	v_mov_b32_e32 v23, 0
	v_cmp_ne_u32_e64 s[2:3], s27, v0
	s_and_saveexec_b64 s[14:15], s[2:3]
	s_cbranch_execz .LBB214_716
; %bb.715:                              ;   in Loop: Header=BB214_414 Depth=1
	v_and_b32_e32 v13, 7, v11
	v_lshrrev_b32_e32 v14, 3, v0
	v_cmp_gt_u32_e64 s[2:3], 8, v0
	v_ffbh_u32_e32 v0, v13
	v_min_u32_e32 v0, 32, v0
	v_subrev_u32_e32 v22, 28, v0
	v_lshlrev_b64 v[22:23], v22, v[11:12]
	v_sub_u32_e32 v0, 29, v0
	v_and_b32_e32 v22, 7, v22
	v_cndmask_b32_e64 v0, v14, v0, s[2:3]
	v_cndmask_b32_e64 v13, v13, v22, s[2:3]
	v_bfrev_b32_e32 v9, 60
	v_lshlrev_b32_e32 v13, 20, v13
	v_and_b32_sdwa v11, sext(v11), s28 dst_sel:DWORD dst_unused:UNUSED_PAD src0_sel:BYTE_0 src1_sel:DWORD
	v_lshl_add_u32 v0, v0, 23, v9
	v_or3_b32 v22, v11, v0, v13
	v_mov_b32_e32 v23, v5
.LBB214_716:                            ;   in Loop: Header=BB214_414 Depth=1
	s_or_b64 exec, exec, s[14:15]
.LBB214_717:                            ;   in Loop: Header=BB214_414 Depth=1
	s_or_b64 exec, exec, s[12:13]
.LBB214_718:                            ;   in Loop: Header=BB214_414 Depth=1
	s_or_b64 exec, exec, s[10:11]
	v_cmp_lt_u32_e64 s[2:3], s29, v17
	s_and_saveexec_b64 s[10:11], s[2:3]
	s_cbranch_execz .LBB214_724
; %bb.719:                              ;   in Loop: Header=BB214_414 Depth=1
	v_mov_b32_e32 v25, v6
	v_cmp_ne_u32_sdwa s[2:3], v17, s26 src0_sel:BYTE_3 src1_sel:DWORD
	v_mov_b32_e32 v24, v5
	s_and_saveexec_b64 s[12:13], s[2:3]
	s_cbranch_execz .LBB214_723
; %bb.720:                              ;   in Loop: Header=BB214_414 Depth=1
	v_bfe_u32 v0, v17, 24, 7
	v_mov_b32_e32 v11, v5
	v_mov_b32_e32 v25, v12
	v_cmp_ne_u32_e64 s[2:3], s27, v0
	v_mov_b32_e32 v24, v11
	s_and_saveexec_b64 s[14:15], s[2:3]
	s_cbranch_execz .LBB214_722
; %bb.721:                              ;   in Loop: Header=BB214_414 Depth=1
	v_mov_b32_e32 v9, 7
	v_and_b32_sdwa v24, v17, v9 dst_sel:DWORD dst_unused:UNUSED_PAD src0_sel:BYTE_3 src1_sel:DWORD
	v_lshrrev_b32_e32 v11, 3, v0
	v_cmp_gt_u32_e64 s[2:3], 8, v0
	v_ffbh_u32_e32 v0, v24
	v_min_u32_e32 v0, 32, v0
	v_mov_b32_e32 v25, v5
	v_subrev_u32_e32 v13, 28, v0
	v_lshlrev_b64 v[25:26], v13, v[24:25]
	v_sub_u32_e32 v0, 29, v0
	v_and_b32_e32 v13, 7, v25
	v_mov_b32_e32 v9, 24
	v_cndmask_b32_e64 v0, v11, v0, s[2:3]
	v_cndmask_b32_e64 v11, v24, v13, s[2:3]
	v_lshlrev_b32_sdwa v13, v9, v17 dst_sel:DWORD dst_unused:UNUSED_PAD src0_sel:DWORD src1_sel:BYTE_3
	v_bfrev_b32_e32 v9, 60
	v_lshl_add_u32 v0, v0, 23, v9
	v_and_or_b32 v0, v13, s28, v0
	v_lshlrev_b32_e32 v11, 20, v11
	v_or_b32_e32 v25, v0, v11
	v_mov_b32_e32 v24, v5
.LBB214_722:                            ;   in Loop: Header=BB214_414 Depth=1
	s_or_b64 exec, exec, s[14:15]
.LBB214_723:                            ;   in Loop: Header=BB214_414 Depth=1
	s_or_b64 exec, exec, s[12:13]
.LBB214_724:                            ;   in Loop: Header=BB214_414 Depth=1
	s_or_b64 exec, exec, s[10:11]
	v_or_b32_e32 v0, v21, v19
	v_or_b32_e32 v11, v20, v18
	v_mul_f32_e32 v57, s18, v0
	v_mul_f32_e32 v61, s17, v11
	v_or_b32_e32 v0, v25, v23
	v_or_b32_e32 v11, v24, v22
	v_mul_f32_e32 v59, s17, v11
	v_mul_f32_e32 v58, s18, v0
	s_and_saveexec_b64 s[10:11], vcc
	s_cbranch_execz .LBB214_726
; %bb.725:                              ;   in Loop: Header=BB214_414 Depth=1
	v_cmp_gt_i32_e64 s[2:3], s33, v10
	v_add_u32_e32 v0, -2, v49
	v_cndmask_b32_e64 v61, 0, v61, s[2:3]
	v_cmp_gt_i32_e64 s[2:3], s33, v0
	v_add_u32_e32 v0, -1, v49
	v_cndmask_b32_e64 v57, 0, v57, s[2:3]
	v_cmp_gt_i32_e64 s[2:3], s33, v0
	v_cndmask_b32_e64 v59, 0, v59, s[2:3]
	v_cmp_gt_i32_e64 s[2:3], s33, v49
	v_cndmask_b32_e64 v58, 0, v58, s[2:3]
.LBB214_726:                            ;   in Loop: Header=BB214_414 Depth=1
	s_or_b64 exec, exec, s[10:11]
	global_load_dword v17, v[15:16], off offset:3072
	v_mov_b32_e32 v20, 0
	v_mov_b32_e32 v18, 0
	;; [unrolled: 1-line block ×4, first 2 shown]
	s_waitcnt vmcnt(0)
	v_cmp_ne_u16_sdwa s[2:3], v17, v5 src0_sel:BYTE_0 src1_sel:DWORD
	s_and_saveexec_b64 s[10:11], s[2:3]
	s_cbranch_execz .LBB214_732
; %bb.727:                              ;   in Loop: Header=BB214_414 Depth=1
	v_bfrev_b32_e32 v18, 1
	v_mov_b32_e32 v19, 0
	v_cmp_ne_u16_sdwa s[2:3], v17, s26 src0_sel:BYTE_0 src1_sel:DWORD
	s_and_saveexec_b64 s[12:13], s[2:3]
	s_cbranch_execz .LBB214_731
; %bb.728:                              ;   in Loop: Header=BB214_414 Depth=1
	v_and_b32_e32 v0, 0x7f, v17
	v_mov_b32_e32 v18, 0x7f800001
	v_mov_b32_e32 v19, 0
	v_cmp_ne_u32_e64 s[2:3], s27, v0
	s_and_saveexec_b64 s[14:15], s[2:3]
	s_cbranch_execz .LBB214_730
; %bb.729:                              ;   in Loop: Header=BB214_414 Depth=1
	v_and_b32_e32 v11, 7, v17
	v_lshrrev_b32_e32 v13, 3, v0
	v_cmp_gt_u32_e64 s[2:3], 8, v0
	v_ffbh_u32_e32 v0, v11
	v_min_u32_e32 v0, 32, v0
	v_subrev_u32_e32 v14, 28, v0
	v_lshlrev_b64 v[18:19], v14, v[17:18]
	v_sub_u32_e32 v0, 29, v0
	v_and_b32_e32 v14, 7, v18
	v_cndmask_b32_e64 v0, v13, v0, s[2:3]
	v_cndmask_b32_e64 v11, v11, v14, s[2:3]
	v_bfrev_b32_e32 v9, 60
	v_lshlrev_b32_e32 v11, 20, v11
	v_and_b32_sdwa v13, sext(v17), s28 dst_sel:DWORD dst_unused:UNUSED_PAD src0_sel:BYTE_0 src1_sel:DWORD
	v_lshl_add_u32 v0, v0, 23, v9
	v_or3_b32 v18, v13, v0, v11
	v_mov_b32_e32 v19, v5
.LBB214_730:                            ;   in Loop: Header=BB214_414 Depth=1
	s_or_b64 exec, exec, s[14:15]
.LBB214_731:                            ;   in Loop: Header=BB214_414 Depth=1
	s_or_b64 exec, exec, s[12:13]
.LBB214_732:                            ;   in Loop: Header=BB214_414 Depth=1
	s_or_b64 exec, exec, s[10:11]
	v_cmp_ne_u16_sdwa s[2:3], v17, v5 src0_sel:BYTE_1 src1_sel:DWORD
	s_and_saveexec_b64 s[10:11], s[2:3]
	s_cbranch_execz .LBB214_738
; %bb.733:                              ;   in Loop: Header=BB214_414 Depth=1
	v_mov_b32_e32 v21, v6
	v_cmp_ne_u16_sdwa s[2:3], v17, s26 src0_sel:BYTE_1 src1_sel:DWORD
	v_mov_b32_e32 v20, v5
	s_and_saveexec_b64 s[12:13], s[2:3]
	s_cbranch_execz .LBB214_737
; %bb.734:                              ;   in Loop: Header=BB214_414 Depth=1
	v_and_b32_sdwa v0, v17, s27 dst_sel:DWORD dst_unused:UNUSED_PAD src0_sel:BYTE_1 src1_sel:DWORD
	v_mov_b32_e32 v11, v5
	v_mov_b32_e32 v21, v12
	v_cmp_ne_u32_e64 s[2:3], s27, v0
	v_mov_b32_e32 v20, v11
	s_and_saveexec_b64 s[14:15], s[2:3]
	s_cbranch_execz .LBB214_736
; %bb.735:                              ;   in Loop: Header=BB214_414 Depth=1
	v_mov_b32_e32 v9, 7
	v_and_b32_sdwa v20, v17, v9 dst_sel:DWORD dst_unused:UNUSED_PAD src0_sel:BYTE_1 src1_sel:DWORD
	v_lshrrev_b32_e32 v11, 3, v0
	v_cmp_gt_u32_e64 s[2:3], 8, v0
	v_ffbh_u32_e32 v0, v20
	v_min_u32_e32 v0, 32, v0
	v_mov_b32_e32 v21, v5
	v_subrev_u32_e32 v13, 28, v0
	v_lshlrev_b64 v[21:22], v13, v[20:21]
	v_sub_u32_e32 v0, 29, v0
	v_and_b32_e32 v13, 7, v21
	v_cndmask_b32_e64 v0, v11, v0, s[2:3]
	v_bfrev_b32_e32 v9, 60
	v_cndmask_b32_e64 v11, v20, v13, s[2:3]
	v_lshlrev_b32_e32 v13, 16, v17
	v_lshl_add_u32 v0, v0, 23, v9
	v_and_or_b32 v0, v13, s28, v0
	v_lshlrev_b32_e32 v11, 20, v11
	v_or_b32_e32 v21, v0, v11
	v_mov_b32_e32 v20, v5
.LBB214_736:                            ;   in Loop: Header=BB214_414 Depth=1
	s_or_b64 exec, exec, s[14:15]
.LBB214_737:                            ;   in Loop: Header=BB214_414 Depth=1
	s_or_b64 exec, exec, s[12:13]
.LBB214_738:                            ;   in Loop: Header=BB214_414 Depth=1
	s_or_b64 exec, exec, s[10:11]
	v_lshrrev_b32_e32 v11, 16, v17
	v_mov_b32_e32 v24, 0
	v_mov_b32_e32 v22, 0
	v_mov_b32_e32 v25, 0
	v_mov_b32_e32 v23, 0
	v_cmp_ne_u16_sdwa s[2:3], v11, v5 src0_sel:BYTE_0 src1_sel:DWORD
	s_and_saveexec_b64 s[10:11], s[2:3]
	s_cbranch_execz .LBB214_744
; %bb.739:                              ;   in Loop: Header=BB214_414 Depth=1
	v_bfrev_b32_e32 v22, 1
	v_mov_b32_e32 v23, 0
	v_cmp_ne_u16_sdwa s[2:3], v11, s26 src0_sel:BYTE_0 src1_sel:DWORD
	s_and_saveexec_b64 s[12:13], s[2:3]
	s_cbranch_execz .LBB214_743
; %bb.740:                              ;   in Loop: Header=BB214_414 Depth=1
	v_bfe_u32 v0, v17, 16, 7
	v_mov_b32_e32 v22, 0x7f800001
	v_mov_b32_e32 v23, 0
	v_cmp_ne_u32_e64 s[2:3], s27, v0
	s_and_saveexec_b64 s[14:15], s[2:3]
	s_cbranch_execz .LBB214_742
; %bb.741:                              ;   in Loop: Header=BB214_414 Depth=1
	v_and_b32_e32 v13, 7, v11
	v_lshrrev_b32_e32 v14, 3, v0
	v_cmp_gt_u32_e64 s[2:3], 8, v0
	v_ffbh_u32_e32 v0, v13
	v_min_u32_e32 v0, 32, v0
	v_subrev_u32_e32 v22, 28, v0
	v_lshlrev_b64 v[22:23], v22, v[11:12]
	v_sub_u32_e32 v0, 29, v0
	v_and_b32_e32 v22, 7, v22
	v_cndmask_b32_e64 v0, v14, v0, s[2:3]
	v_cndmask_b32_e64 v13, v13, v22, s[2:3]
	v_bfrev_b32_e32 v9, 60
	v_lshlrev_b32_e32 v13, 20, v13
	v_and_b32_sdwa v11, sext(v11), s28 dst_sel:DWORD dst_unused:UNUSED_PAD src0_sel:BYTE_0 src1_sel:DWORD
	v_lshl_add_u32 v0, v0, 23, v9
	v_or3_b32 v22, v11, v0, v13
	v_mov_b32_e32 v23, v5
.LBB214_742:                            ;   in Loop: Header=BB214_414 Depth=1
	s_or_b64 exec, exec, s[14:15]
.LBB214_743:                            ;   in Loop: Header=BB214_414 Depth=1
	s_or_b64 exec, exec, s[12:13]
.LBB214_744:                            ;   in Loop: Header=BB214_414 Depth=1
	s_or_b64 exec, exec, s[10:11]
	v_cmp_lt_u32_e64 s[2:3], s29, v17
	s_and_saveexec_b64 s[10:11], s[2:3]
	s_cbranch_execz .LBB214_750
; %bb.745:                              ;   in Loop: Header=BB214_414 Depth=1
	v_mov_b32_e32 v25, v6
	v_cmp_ne_u32_sdwa s[2:3], v17, s26 src0_sel:BYTE_3 src1_sel:DWORD
	v_mov_b32_e32 v24, v5
	s_and_saveexec_b64 s[12:13], s[2:3]
	s_cbranch_execz .LBB214_749
; %bb.746:                              ;   in Loop: Header=BB214_414 Depth=1
	v_bfe_u32 v0, v17, 24, 7
	v_mov_b32_e32 v11, v5
	v_mov_b32_e32 v25, v12
	v_cmp_ne_u32_e64 s[2:3], s27, v0
	v_mov_b32_e32 v24, v11
	s_and_saveexec_b64 s[14:15], s[2:3]
	s_cbranch_execz .LBB214_748
; %bb.747:                              ;   in Loop: Header=BB214_414 Depth=1
	v_mov_b32_e32 v9, 7
	v_and_b32_sdwa v24, v17, v9 dst_sel:DWORD dst_unused:UNUSED_PAD src0_sel:BYTE_3 src1_sel:DWORD
	v_lshrrev_b32_e32 v11, 3, v0
	v_cmp_gt_u32_e64 s[2:3], 8, v0
	v_ffbh_u32_e32 v0, v24
	v_min_u32_e32 v0, 32, v0
	v_mov_b32_e32 v25, v5
	v_subrev_u32_e32 v13, 28, v0
	v_lshlrev_b64 v[25:26], v13, v[24:25]
	v_sub_u32_e32 v0, 29, v0
	v_and_b32_e32 v13, 7, v25
	v_mov_b32_e32 v9, 24
	v_cndmask_b32_e64 v0, v11, v0, s[2:3]
	v_cndmask_b32_e64 v11, v24, v13, s[2:3]
	v_lshlrev_b32_sdwa v13, v9, v17 dst_sel:DWORD dst_unused:UNUSED_PAD src0_sel:DWORD src1_sel:BYTE_3
	v_bfrev_b32_e32 v9, 60
	v_lshl_add_u32 v0, v0, 23, v9
	v_and_or_b32 v0, v13, s28, v0
	v_lshlrev_b32_e32 v11, 20, v11
	v_or_b32_e32 v25, v0, v11
	v_mov_b32_e32 v24, v5
.LBB214_748:                            ;   in Loop: Header=BB214_414 Depth=1
	s_or_b64 exec, exec, s[14:15]
.LBB214_749:                            ;   in Loop: Header=BB214_414 Depth=1
	s_or_b64 exec, exec, s[12:13]
.LBB214_750:                            ;   in Loop: Header=BB214_414 Depth=1
	s_or_b64 exec, exec, s[10:11]
	v_or_b32_e32 v0, v21, v19
	v_or_b32_e32 v11, v20, v18
	v_mul_f32_e32 v62, s18, v0
	v_mul_f32_e32 v26, s17, v11
	v_or_b32_e32 v0, v25, v23
	v_or_b32_e32 v11, v24, v22
	v_mul_f32_e32 v31, s17, v11
	v_mul_f32_e32 v63, s18, v0
	s_and_saveexec_b64 s[10:11], vcc
	s_cbranch_execz .LBB214_752
; %bb.751:                              ;   in Loop: Header=BB214_414 Depth=1
	v_cmp_gt_i32_e64 s[2:3], s33, v10
	v_add_u32_e32 v0, -2, v49
	v_cndmask_b32_e64 v26, 0, v26, s[2:3]
	v_cmp_gt_i32_e64 s[2:3], s33, v0
	v_add_u32_e32 v0, -1, v49
	v_cndmask_b32_e64 v62, 0, v62, s[2:3]
	v_cmp_gt_i32_e64 s[2:3], s33, v0
	v_cndmask_b32_e64 v31, 0, v31, s[2:3]
	v_cmp_gt_i32_e64 s[2:3], s33, v49
	v_cndmask_b32_e64 v63, 0, v63, s[2:3]
.LBB214_752:                            ;   in Loop: Header=BB214_414 Depth=1
	s_or_b64 exec, exec, s[10:11]
	global_load_dword v17, v[15:16], off offset:3328
	v_mov_b32_e32 v20, 0
	v_mov_b32_e32 v18, 0
	;; [unrolled: 1-line block ×4, first 2 shown]
	s_waitcnt vmcnt(0)
	v_cmp_ne_u16_sdwa s[2:3], v17, v5 src0_sel:BYTE_0 src1_sel:DWORD
	s_and_saveexec_b64 s[10:11], s[2:3]
	s_cbranch_execz .LBB214_758
; %bb.753:                              ;   in Loop: Header=BB214_414 Depth=1
	v_bfrev_b32_e32 v18, 1
	v_mov_b32_e32 v19, 0
	v_cmp_ne_u16_sdwa s[2:3], v17, s26 src0_sel:BYTE_0 src1_sel:DWORD
	s_and_saveexec_b64 s[12:13], s[2:3]
	s_cbranch_execz .LBB214_757
; %bb.754:                              ;   in Loop: Header=BB214_414 Depth=1
	v_and_b32_e32 v0, 0x7f, v17
	v_mov_b32_e32 v18, 0x7f800001
	v_mov_b32_e32 v19, 0
	v_cmp_ne_u32_e64 s[2:3], s27, v0
	s_and_saveexec_b64 s[14:15], s[2:3]
	s_cbranch_execz .LBB214_756
; %bb.755:                              ;   in Loop: Header=BB214_414 Depth=1
	v_and_b32_e32 v11, 7, v17
	v_lshrrev_b32_e32 v13, 3, v0
	v_cmp_gt_u32_e64 s[2:3], 8, v0
	v_ffbh_u32_e32 v0, v11
	v_min_u32_e32 v0, 32, v0
	v_subrev_u32_e32 v14, 28, v0
	v_lshlrev_b64 v[18:19], v14, v[17:18]
	v_sub_u32_e32 v0, 29, v0
	v_and_b32_e32 v14, 7, v18
	v_cndmask_b32_e64 v0, v13, v0, s[2:3]
	v_cndmask_b32_e64 v11, v11, v14, s[2:3]
	v_bfrev_b32_e32 v9, 60
	v_lshlrev_b32_e32 v11, 20, v11
	v_and_b32_sdwa v13, sext(v17), s28 dst_sel:DWORD dst_unused:UNUSED_PAD src0_sel:BYTE_0 src1_sel:DWORD
	v_lshl_add_u32 v0, v0, 23, v9
	v_or3_b32 v18, v13, v0, v11
	v_mov_b32_e32 v19, v5
.LBB214_756:                            ;   in Loop: Header=BB214_414 Depth=1
	s_or_b64 exec, exec, s[14:15]
.LBB214_757:                            ;   in Loop: Header=BB214_414 Depth=1
	s_or_b64 exec, exec, s[12:13]
.LBB214_758:                            ;   in Loop: Header=BB214_414 Depth=1
	s_or_b64 exec, exec, s[10:11]
	v_cmp_ne_u16_sdwa s[2:3], v17, v5 src0_sel:BYTE_1 src1_sel:DWORD
	s_and_saveexec_b64 s[10:11], s[2:3]
	s_cbranch_execz .LBB214_764
; %bb.759:                              ;   in Loop: Header=BB214_414 Depth=1
	v_mov_b32_e32 v21, v6
	v_cmp_ne_u16_sdwa s[2:3], v17, s26 src0_sel:BYTE_1 src1_sel:DWORD
	v_mov_b32_e32 v20, v5
	s_and_saveexec_b64 s[12:13], s[2:3]
	s_cbranch_execz .LBB214_763
; %bb.760:                              ;   in Loop: Header=BB214_414 Depth=1
	v_and_b32_sdwa v0, v17, s27 dst_sel:DWORD dst_unused:UNUSED_PAD src0_sel:BYTE_1 src1_sel:DWORD
	v_mov_b32_e32 v11, v5
	v_mov_b32_e32 v21, v12
	v_cmp_ne_u32_e64 s[2:3], s27, v0
	v_mov_b32_e32 v20, v11
	s_and_saveexec_b64 s[14:15], s[2:3]
	s_cbranch_execz .LBB214_762
; %bb.761:                              ;   in Loop: Header=BB214_414 Depth=1
	v_mov_b32_e32 v9, 7
	v_and_b32_sdwa v20, v17, v9 dst_sel:DWORD dst_unused:UNUSED_PAD src0_sel:BYTE_1 src1_sel:DWORD
	v_lshrrev_b32_e32 v11, 3, v0
	v_cmp_gt_u32_e64 s[2:3], 8, v0
	v_ffbh_u32_e32 v0, v20
	v_min_u32_e32 v0, 32, v0
	v_mov_b32_e32 v21, v5
	v_subrev_u32_e32 v13, 28, v0
	v_lshlrev_b64 v[21:22], v13, v[20:21]
	v_sub_u32_e32 v0, 29, v0
	v_and_b32_e32 v13, 7, v21
	v_cndmask_b32_e64 v0, v11, v0, s[2:3]
	v_bfrev_b32_e32 v9, 60
	v_cndmask_b32_e64 v11, v20, v13, s[2:3]
	v_lshlrev_b32_e32 v13, 16, v17
	v_lshl_add_u32 v0, v0, 23, v9
	v_and_or_b32 v0, v13, s28, v0
	v_lshlrev_b32_e32 v11, 20, v11
	v_or_b32_e32 v21, v0, v11
	v_mov_b32_e32 v20, v5
.LBB214_762:                            ;   in Loop: Header=BB214_414 Depth=1
	s_or_b64 exec, exec, s[14:15]
.LBB214_763:                            ;   in Loop: Header=BB214_414 Depth=1
	s_or_b64 exec, exec, s[12:13]
.LBB214_764:                            ;   in Loop: Header=BB214_414 Depth=1
	s_or_b64 exec, exec, s[10:11]
	v_lshrrev_b32_e32 v11, 16, v17
	v_mov_b32_e32 v24, 0
	v_mov_b32_e32 v22, 0
	;; [unrolled: 1-line block ×4, first 2 shown]
	v_cmp_ne_u16_sdwa s[2:3], v11, v5 src0_sel:BYTE_0 src1_sel:DWORD
	s_and_saveexec_b64 s[10:11], s[2:3]
	s_cbranch_execz .LBB214_770
; %bb.765:                              ;   in Loop: Header=BB214_414 Depth=1
	v_bfrev_b32_e32 v22, 1
	v_mov_b32_e32 v23, 0
	v_cmp_ne_u16_sdwa s[2:3], v11, s26 src0_sel:BYTE_0 src1_sel:DWORD
	s_and_saveexec_b64 s[12:13], s[2:3]
	s_cbranch_execz .LBB214_769
; %bb.766:                              ;   in Loop: Header=BB214_414 Depth=1
	v_bfe_u32 v0, v17, 16, 7
	v_mov_b32_e32 v22, 0x7f800001
	v_mov_b32_e32 v23, 0
	v_cmp_ne_u32_e64 s[2:3], s27, v0
	s_and_saveexec_b64 s[14:15], s[2:3]
	s_cbranch_execz .LBB214_768
; %bb.767:                              ;   in Loop: Header=BB214_414 Depth=1
	v_and_b32_e32 v13, 7, v11
	v_lshrrev_b32_e32 v14, 3, v0
	v_cmp_gt_u32_e64 s[2:3], 8, v0
	v_ffbh_u32_e32 v0, v13
	v_min_u32_e32 v0, 32, v0
	v_subrev_u32_e32 v22, 28, v0
	v_lshlrev_b64 v[22:23], v22, v[11:12]
	v_sub_u32_e32 v0, 29, v0
	v_and_b32_e32 v22, 7, v22
	v_cndmask_b32_e64 v0, v14, v0, s[2:3]
	v_cndmask_b32_e64 v13, v13, v22, s[2:3]
	v_bfrev_b32_e32 v9, 60
	v_lshlrev_b32_e32 v13, 20, v13
	v_and_b32_sdwa v11, sext(v11), s28 dst_sel:DWORD dst_unused:UNUSED_PAD src0_sel:BYTE_0 src1_sel:DWORD
	v_lshl_add_u32 v0, v0, 23, v9
	v_or3_b32 v22, v11, v0, v13
	v_mov_b32_e32 v23, v5
.LBB214_768:                            ;   in Loop: Header=BB214_414 Depth=1
	s_or_b64 exec, exec, s[14:15]
.LBB214_769:                            ;   in Loop: Header=BB214_414 Depth=1
	s_or_b64 exec, exec, s[12:13]
.LBB214_770:                            ;   in Loop: Header=BB214_414 Depth=1
	s_or_b64 exec, exec, s[10:11]
	v_cmp_lt_u32_e64 s[2:3], s29, v17
	s_and_saveexec_b64 s[10:11], s[2:3]
	s_cbranch_execz .LBB214_776
; %bb.771:                              ;   in Loop: Header=BB214_414 Depth=1
	v_mov_b32_e32 v25, v6
	v_cmp_ne_u32_sdwa s[2:3], v17, s26 src0_sel:BYTE_3 src1_sel:DWORD
	v_mov_b32_e32 v24, v5
	s_and_saveexec_b64 s[12:13], s[2:3]
	s_cbranch_execz .LBB214_775
; %bb.772:                              ;   in Loop: Header=BB214_414 Depth=1
	v_bfe_u32 v0, v17, 24, 7
	v_mov_b32_e32 v11, v5
	v_mov_b32_e32 v25, v12
	v_cmp_ne_u32_e64 s[2:3], s27, v0
	v_mov_b32_e32 v24, v11
	s_and_saveexec_b64 s[14:15], s[2:3]
	s_cbranch_execz .LBB214_774
; %bb.773:                              ;   in Loop: Header=BB214_414 Depth=1
	v_mov_b32_e32 v9, 7
	v_and_b32_sdwa v24, v17, v9 dst_sel:DWORD dst_unused:UNUSED_PAD src0_sel:BYTE_3 src1_sel:DWORD
	v_lshrrev_b32_e32 v11, 3, v0
	v_cmp_gt_u32_e64 s[2:3], 8, v0
	v_ffbh_u32_e32 v0, v24
	v_min_u32_e32 v0, 32, v0
	v_mov_b32_e32 v25, v5
	v_subrev_u32_e32 v13, 28, v0
	v_lshlrev_b64 v[13:14], v13, v[24:25]
	v_sub_u32_e32 v0, 29, v0
	v_and_b32_e32 v13, 7, v13
	v_mov_b32_e32 v9, 24
	v_cndmask_b32_e64 v0, v11, v0, s[2:3]
	v_cndmask_b32_e64 v11, v24, v13, s[2:3]
	v_lshlrev_b32_sdwa v13, v9, v17 dst_sel:DWORD dst_unused:UNUSED_PAD src0_sel:DWORD src1_sel:BYTE_3
	v_bfrev_b32_e32 v9, 60
	v_lshl_add_u32 v0, v0, 23, v9
	v_and_or_b32 v0, v13, s28, v0
	v_lshlrev_b32_e32 v11, 20, v11
	v_or_b32_e32 v25, v0, v11
	v_mov_b32_e32 v24, v5
.LBB214_774:                            ;   in Loop: Header=BB214_414 Depth=1
	s_or_b64 exec, exec, s[14:15]
.LBB214_775:                            ;   in Loop: Header=BB214_414 Depth=1
	s_or_b64 exec, exec, s[12:13]
.LBB214_776:                            ;   in Loop: Header=BB214_414 Depth=1
	s_or_b64 exec, exec, s[10:11]
	v_or_b32_e32 v0, v21, v19
	v_or_b32_e32 v11, v20, v18
	v_mul_f32_e32 v52, s18, v0
	v_mul_f32_e32 v47, s17, v11
	v_or_b32_e32 v0, v25, v23
	v_or_b32_e32 v11, v24, v22
	v_mul_f32_e32 v25, s17, v11
	v_mul_f32_e32 v24, s18, v0
	s_and_saveexec_b64 s[10:11], vcc
	s_cbranch_execz .LBB214_778
; %bb.777:                              ;   in Loop: Header=BB214_414 Depth=1
	v_cmp_gt_i32_e64 s[2:3], s33, v10
	v_add_u32_e32 v0, -2, v49
	v_cndmask_b32_e64 v47, 0, v47, s[2:3]
	v_cmp_gt_i32_e64 s[2:3], s33, v0
	v_add_u32_e32 v0, -1, v49
	v_cndmask_b32_e64 v52, 0, v52, s[2:3]
	v_cmp_gt_i32_e64 s[2:3], s33, v0
	v_cndmask_b32_e64 v25, 0, v25, s[2:3]
	v_cmp_gt_i32_e64 s[2:3], s33, v49
	v_cndmask_b32_e64 v24, 0, v24, s[2:3]
.LBB214_778:                            ;   in Loop: Header=BB214_414 Depth=1
	s_or_b64 exec, exec, s[10:11]
	global_load_dword v15, v[15:16], off offset:3584
	v_mov_b32_e32 v18, 0
	v_mov_b32_e32 v16, 0
	;; [unrolled: 1-line block ×4, first 2 shown]
	s_waitcnt vmcnt(0)
	v_cmp_ne_u16_sdwa s[2:3], v15, v5 src0_sel:BYTE_0 src1_sel:DWORD
	s_and_saveexec_b64 s[10:11], s[2:3]
	s_cbranch_execz .LBB214_784
; %bb.779:                              ;   in Loop: Header=BB214_414 Depth=1
	v_bfrev_b32_e32 v16, 1
	v_mov_b32_e32 v17, 0
	v_cmp_ne_u16_sdwa s[2:3], v15, s26 src0_sel:BYTE_0 src1_sel:DWORD
	s_and_saveexec_b64 s[12:13], s[2:3]
	s_cbranch_execz .LBB214_783
; %bb.780:                              ;   in Loop: Header=BB214_414 Depth=1
	v_and_b32_e32 v0, 0x7f, v15
	v_mov_b32_e32 v16, 0x7f800001
	v_mov_b32_e32 v17, 0
	v_cmp_ne_u32_e64 s[2:3], s27, v0
	s_and_saveexec_b64 s[14:15], s[2:3]
	s_cbranch_execz .LBB214_782
; %bb.781:                              ;   in Loop: Header=BB214_414 Depth=1
	v_and_b32_e32 v11, 7, v15
	v_lshrrev_b32_e32 v16, 3, v0
	v_cmp_gt_u32_e64 s[2:3], 8, v0
	v_ffbh_u32_e32 v0, v11
	v_min_u32_e32 v0, 32, v0
	v_subrev_u32_e32 v13, 28, v0
	v_lshlrev_b64 v[13:14], v13, v[15:16]
	v_sub_u32_e32 v0, 29, v0
	v_and_b32_e32 v13, 7, v13
	v_cndmask_b32_e64 v0, v16, v0, s[2:3]
	v_cndmask_b32_e64 v11, v11, v13, s[2:3]
	v_bfrev_b32_e32 v9, 60
	v_lshlrev_b32_e32 v11, 20, v11
	v_and_b32_sdwa v13, sext(v15), s28 dst_sel:DWORD dst_unused:UNUSED_PAD src0_sel:BYTE_0 src1_sel:DWORD
	v_lshl_add_u32 v0, v0, 23, v9
	v_or3_b32 v16, v13, v0, v11
	v_mov_b32_e32 v17, v5
.LBB214_782:                            ;   in Loop: Header=BB214_414 Depth=1
	s_or_b64 exec, exec, s[14:15]
.LBB214_783:                            ;   in Loop: Header=BB214_414 Depth=1
	s_or_b64 exec, exec, s[12:13]
.LBB214_784:                            ;   in Loop: Header=BB214_414 Depth=1
	s_or_b64 exec, exec, s[10:11]
	v_cmp_ne_u16_sdwa s[2:3], v15, v5 src0_sel:BYTE_1 src1_sel:DWORD
	s_and_saveexec_b64 s[10:11], s[2:3]
	s_cbranch_execz .LBB214_790
; %bb.785:                              ;   in Loop: Header=BB214_414 Depth=1
	v_mov_b32_e32 v19, v6
	v_cmp_ne_u16_sdwa s[2:3], v15, s26 src0_sel:BYTE_1 src1_sel:DWORD
	v_mov_b32_e32 v18, v5
	s_and_saveexec_b64 s[12:13], s[2:3]
	s_cbranch_execz .LBB214_789
; %bb.786:                              ;   in Loop: Header=BB214_414 Depth=1
	v_and_b32_sdwa v0, v15, s27 dst_sel:DWORD dst_unused:UNUSED_PAD src0_sel:BYTE_1 src1_sel:DWORD
	v_mov_b32_e32 v11, v5
	v_mov_b32_e32 v19, v12
	v_cmp_ne_u32_e64 s[2:3], s27, v0
	v_mov_b32_e32 v18, v11
	s_and_saveexec_b64 s[14:15], s[2:3]
	s_cbranch_execz .LBB214_788
; %bb.787:                              ;   in Loop: Header=BB214_414 Depth=1
	v_mov_b32_e32 v9, 7
	v_and_b32_sdwa v13, v15, v9 dst_sel:DWORD dst_unused:UNUSED_PAD src0_sel:BYTE_1 src1_sel:DWORD
	v_lshrrev_b32_e32 v11, 3, v0
	v_cmp_gt_u32_e64 s[2:3], 8, v0
	v_ffbh_u32_e32 v0, v13
	v_min_u32_e32 v0, 32, v0
	v_mov_b32_e32 v14, v5
	v_subrev_u32_e32 v18, 28, v0
	v_lshlrev_b64 v[18:19], v18, v[13:14]
	v_sub_u32_e32 v0, 29, v0
	v_and_b32_e32 v14, 7, v18
	v_cndmask_b32_e64 v0, v11, v0, s[2:3]
	v_bfrev_b32_e32 v9, 60
	v_cndmask_b32_e64 v11, v13, v14, s[2:3]
	v_lshlrev_b32_e32 v13, 16, v15
	v_lshl_add_u32 v0, v0, 23, v9
	v_and_or_b32 v0, v13, s28, v0
	v_lshlrev_b32_e32 v11, 20, v11
	v_or_b32_e32 v19, v0, v11
	v_mov_b32_e32 v18, v5
.LBB214_788:                            ;   in Loop: Header=BB214_414 Depth=1
	s_or_b64 exec, exec, s[14:15]
.LBB214_789:                            ;   in Loop: Header=BB214_414 Depth=1
	s_or_b64 exec, exec, s[12:13]
.LBB214_790:                            ;   in Loop: Header=BB214_414 Depth=1
	s_or_b64 exec, exec, s[10:11]
	v_lshrrev_b32_e32 v11, 16, v15
	v_mov_b32_e32 v22, 0
	v_mov_b32_e32 v20, 0
	;; [unrolled: 1-line block ×4, first 2 shown]
	v_cmp_ne_u16_sdwa s[2:3], v11, v5 src0_sel:BYTE_0 src1_sel:DWORD
	s_and_saveexec_b64 s[10:11], s[2:3]
	s_cbranch_execz .LBB214_796
; %bb.791:                              ;   in Loop: Header=BB214_414 Depth=1
	v_bfrev_b32_e32 v20, 1
	v_mov_b32_e32 v21, 0
	v_cmp_ne_u16_sdwa s[2:3], v11, s26 src0_sel:BYTE_0 src1_sel:DWORD
	s_and_saveexec_b64 s[12:13], s[2:3]
	s_cbranch_execz .LBB214_795
; %bb.792:                              ;   in Loop: Header=BB214_414 Depth=1
	v_bfe_u32 v0, v15, 16, 7
	v_mov_b32_e32 v20, 0x7f800001
	v_mov_b32_e32 v21, 0
	v_cmp_ne_u32_e64 s[2:3], s27, v0
	s_and_saveexec_b64 s[14:15], s[2:3]
	s_cbranch_execz .LBB214_794
; %bb.793:                              ;   in Loop: Header=BB214_414 Depth=1
	v_and_b32_e32 v20, 7, v11
	v_lshrrev_b32_e32 v21, 3, v0
	v_cmp_gt_u32_e64 s[2:3], 8, v0
	v_ffbh_u32_e32 v0, v20
	v_min_u32_e32 v0, 32, v0
	v_subrev_u32_e32 v13, 28, v0
	v_lshlrev_b64 v[13:14], v13, v[11:12]
	v_sub_u32_e32 v0, 29, v0
	v_and_b32_e32 v13, 7, v13
	v_cndmask_b32_e64 v0, v21, v0, s[2:3]
	v_cndmask_b32_e64 v13, v20, v13, s[2:3]
	v_bfrev_b32_e32 v9, 60
	v_lshlrev_b32_e32 v13, 20, v13
	v_and_b32_sdwa v11, sext(v11), s28 dst_sel:DWORD dst_unused:UNUSED_PAD src0_sel:BYTE_0 src1_sel:DWORD
	v_lshl_add_u32 v0, v0, 23, v9
	v_or3_b32 v20, v11, v0, v13
	v_mov_b32_e32 v21, v5
.LBB214_794:                            ;   in Loop: Header=BB214_414 Depth=1
	s_or_b64 exec, exec, s[14:15]
.LBB214_795:                            ;   in Loop: Header=BB214_414 Depth=1
	s_or_b64 exec, exec, s[12:13]
.LBB214_796:                            ;   in Loop: Header=BB214_414 Depth=1
	s_or_b64 exec, exec, s[10:11]
	v_cmp_lt_u32_e64 s[2:3], s29, v15
	s_and_saveexec_b64 s[10:11], s[2:3]
	s_cbranch_execz .LBB214_802
; %bb.797:                              ;   in Loop: Header=BB214_414 Depth=1
	v_mov_b32_e32 v23, v6
	v_cmp_ne_u32_sdwa s[2:3], v15, s26 src0_sel:BYTE_3 src1_sel:DWORD
	v_mov_b32_e32 v22, v5
	s_and_saveexec_b64 s[12:13], s[2:3]
	s_cbranch_execz .LBB214_801
; %bb.798:                              ;   in Loop: Header=BB214_414 Depth=1
	v_bfe_u32 v0, v15, 24, 7
	v_mov_b32_e32 v11, v5
	v_mov_b32_e32 v23, v12
	v_cmp_ne_u32_e64 s[2:3], s27, v0
	v_mov_b32_e32 v22, v11
	s_and_saveexec_b64 s[14:15], s[2:3]
	s_cbranch_execz .LBB214_800
; %bb.799:                              ;   in Loop: Header=BB214_414 Depth=1
	v_mov_b32_e32 v9, 7
	v_and_b32_sdwa v13, v15, v9 dst_sel:DWORD dst_unused:UNUSED_PAD src0_sel:BYTE_3 src1_sel:DWORD
	v_lshrrev_b32_e32 v11, 3, v0
	v_cmp_gt_u32_e64 s[2:3], 8, v0
	v_ffbh_u32_e32 v0, v13
	v_min_u32_e32 v0, 32, v0
	v_mov_b32_e32 v14, v5
	v_subrev_u32_e32 v22, 28, v0
	v_lshlrev_b64 v[22:23], v22, v[13:14]
	v_sub_u32_e32 v0, 29, v0
	v_and_b32_e32 v14, 7, v22
	v_mov_b32_e32 v9, 24
	v_cndmask_b32_e64 v0, v11, v0, s[2:3]
	v_cndmask_b32_e64 v11, v13, v14, s[2:3]
	v_lshlrev_b32_sdwa v13, v9, v15 dst_sel:DWORD dst_unused:UNUSED_PAD src0_sel:DWORD src1_sel:BYTE_3
	v_bfrev_b32_e32 v9, 60
	v_lshl_add_u32 v0, v0, 23, v9
	v_and_or_b32 v0, v13, s28, v0
	v_lshlrev_b32_e32 v11, 20, v11
	v_or_b32_e32 v23, v0, v11
	v_mov_b32_e32 v22, v5
.LBB214_800:                            ;   in Loop: Header=BB214_414 Depth=1
	s_or_b64 exec, exec, s[14:15]
.LBB214_801:                            ;   in Loop: Header=BB214_414 Depth=1
	s_or_b64 exec, exec, s[12:13]
.LBB214_802:                            ;   in Loop: Header=BB214_414 Depth=1
	s_or_b64 exec, exec, s[10:11]
	v_or_b32_e32 v0, v19, v17
	v_or_b32_e32 v11, v18, v16
	v_mul_f32_e32 v50, s18, v0
	v_mul_f32_e32 v0, s17, v11
	v_or_b32_e32 v11, v23, v21
	v_or_b32_e32 v13, v22, v20
	v_mul_f32_e32 v23, s17, v13
	v_mul_f32_e32 v22, s18, v11
	s_and_saveexec_b64 s[10:11], vcc
	s_cbranch_execz .LBB214_804
; %bb.803:                              ;   in Loop: Header=BB214_414 Depth=1
	v_cmp_gt_i32_e64 s[2:3], s33, v10
	v_add_u32_e32 v9, -2, v49
	v_cndmask_b32_e64 v0, 0, v0, s[2:3]
	v_cmp_gt_i32_e64 s[2:3], s33, v9
	v_add_u32_e32 v9, -1, v49
	v_cndmask_b32_e64 v50, 0, v50, s[2:3]
	v_cmp_gt_i32_e64 s[2:3], s33, v9
	v_cndmask_b32_e64 v23, 0, v23, s[2:3]
	v_cmp_gt_i32_e64 s[2:3], s33, v49
	v_cndmask_b32_e64 v22, 0, v22, s[2:3]
.LBB214_804:                            ;   in Loop: Header=BB214_414 Depth=1
	s_or_b64 exec, exec, s[10:11]
	buffer_load_dword v13, off, s[48:51], 0 offset:300 ; 4-byte Folded Reload
	buffer_load_dword v14, off, s[48:51], 0 offset:304 ; 4-byte Folded Reload
	v_mov_b32_e32 v16, 0
	v_mov_b32_e32 v17, 0
	s_waitcnt vmcnt(1)
	v_add_co_u32_e64 v13, s[2:3], v13, v32
	s_waitcnt vmcnt(0)
	v_addc_co_u32_e64 v14, s[2:3], 0, v14, s[2:3]
	global_load_dword v13, v[13:14], off
	v_mov_b32_e32 v14, 0
	v_mov_b32_e32 v15, 0
	s_waitcnt vmcnt(0)
	v_cmp_ne_u16_sdwa s[2:3], v13, v5 src0_sel:BYTE_0 src1_sel:DWORD
	s_and_saveexec_b64 s[10:11], s[2:3]
	s_cbranch_execz .LBB214_810
; %bb.805:                              ;   in Loop: Header=BB214_414 Depth=1
	v_bfrev_b32_e32 v14, 1
	v_mov_b32_e32 v15, 0
	v_cmp_ne_u16_sdwa s[2:3], v13, s26 src0_sel:BYTE_0 src1_sel:DWORD
	s_and_saveexec_b64 s[12:13], s[2:3]
	s_cbranch_execz .LBB214_809
; %bb.806:                              ;   in Loop: Header=BB214_414 Depth=1
	v_and_b32_e32 v11, 0x7f, v13
	v_mov_b32_e32 v14, 0x7f800001
	v_mov_b32_e32 v15, 0
	v_cmp_ne_u32_e64 s[2:3], s27, v11
	s_and_saveexec_b64 s[14:15], s[2:3]
	s_cbranch_execz .LBB214_808
; %bb.807:                              ;   in Loop: Header=BB214_414 Depth=1
	v_and_b32_e32 v18, 7, v13
	v_lshrrev_b32_e32 v19, 3, v11
	v_cmp_gt_u32_e64 s[2:3], 8, v11
	v_ffbh_u32_e32 v11, v18
	v_min_u32_e32 v11, 32, v11
	v_subrev_u32_e32 v14, 28, v11
	v_lshlrev_b64 v[14:15], v14, v[13:14]
	v_sub_u32_e32 v11, 29, v11
	v_and_b32_e32 v14, 7, v14
	v_cndmask_b32_e64 v11, v19, v11, s[2:3]
	v_cndmask_b32_e64 v14, v18, v14, s[2:3]
	v_bfrev_b32_e32 v9, 60
	v_lshlrev_b32_e32 v14, 20, v14
	v_and_b32_sdwa v15, sext(v13), s28 dst_sel:DWORD dst_unused:UNUSED_PAD src0_sel:BYTE_0 src1_sel:DWORD
	v_lshl_add_u32 v11, v11, 23, v9
	v_or3_b32 v14, v15, v11, v14
	v_mov_b32_e32 v15, v5
.LBB214_808:                            ;   in Loop: Header=BB214_414 Depth=1
	s_or_b64 exec, exec, s[14:15]
.LBB214_809:                            ;   in Loop: Header=BB214_414 Depth=1
	s_or_b64 exec, exec, s[12:13]
.LBB214_810:                            ;   in Loop: Header=BB214_414 Depth=1
	s_or_b64 exec, exec, s[10:11]
	v_cmp_ne_u16_sdwa s[2:3], v13, v5 src0_sel:BYTE_1 src1_sel:DWORD
	s_and_saveexec_b64 s[10:11], s[2:3]
	s_cbranch_execz .LBB214_816
; %bb.811:                              ;   in Loop: Header=BB214_414 Depth=1
	v_mov_b32_e32 v17, v6
	v_cmp_ne_u16_sdwa s[2:3], v13, s26 src0_sel:BYTE_1 src1_sel:DWORD
	v_mov_b32_e32 v16, v5
	s_and_saveexec_b64 s[12:13], s[2:3]
	s_cbranch_execz .LBB214_815
; %bb.812:                              ;   in Loop: Header=BB214_414 Depth=1
	v_and_b32_sdwa v18, v13, s27 dst_sel:DWORD dst_unused:UNUSED_PAD src0_sel:BYTE_1 src1_sel:DWORD
	v_mov_b32_e32 v11, v5
	v_mov_b32_e32 v17, v12
	v_cmp_ne_u32_e64 s[2:3], s27, v18
	v_mov_b32_e32 v16, v11
	s_and_saveexec_b64 s[14:15], s[2:3]
	s_cbranch_execz .LBB214_814
; %bb.813:                              ;   in Loop: Header=BB214_414 Depth=1
	v_mov_b32_e32 v9, 7
	v_and_b32_sdwa v16, v13, v9 dst_sel:DWORD dst_unused:UNUSED_PAD src0_sel:BYTE_1 src1_sel:DWORD
	v_lshrrev_b32_e32 v11, 3, v18
	v_cmp_gt_u32_e64 s[2:3], 8, v18
	v_ffbh_u32_e32 v18, v16
	v_min_u32_e32 v19, 32, v18
	v_mov_b32_e32 v17, v5
	v_subrev_u32_e32 v18, 28, v19
	v_lshlrev_b64 v[17:18], v18, v[16:17]
	v_sub_u32_e32 v18, 29, v19
	v_and_b32_e32 v17, 7, v17
	v_cndmask_b32_e64 v11, v11, v18, s[2:3]
	v_bfrev_b32_e32 v9, 60
	v_cndmask_b32_e64 v16, v16, v17, s[2:3]
	v_lshlrev_b32_e32 v17, 16, v13
	v_lshl_add_u32 v11, v11, 23, v9
	v_and_or_b32 v11, v17, s28, v11
	v_lshlrev_b32_e32 v16, 20, v16
	v_or_b32_e32 v17, v11, v16
	v_mov_b32_e32 v16, v5
.LBB214_814:                            ;   in Loop: Header=BB214_414 Depth=1
	s_or_b64 exec, exec, s[14:15]
.LBB214_815:                            ;   in Loop: Header=BB214_414 Depth=1
	s_or_b64 exec, exec, s[12:13]
.LBB214_816:                            ;   in Loop: Header=BB214_414 Depth=1
	s_or_b64 exec, exec, s[10:11]
	v_lshrrev_b32_e32 v11, 16, v13
	v_mov_b32_e32 v20, 0
	v_mov_b32_e32 v18, 0
	;; [unrolled: 1-line block ×4, first 2 shown]
	v_cmp_ne_u16_sdwa s[2:3], v11, v5 src0_sel:BYTE_0 src1_sel:DWORD
	s_and_saveexec_b64 s[10:11], s[2:3]
	s_cbranch_execz .LBB214_822
; %bb.817:                              ;   in Loop: Header=BB214_414 Depth=1
	v_bfrev_b32_e32 v18, 1
	v_mov_b32_e32 v19, 0
	v_cmp_ne_u16_sdwa s[2:3], v11, s26 src0_sel:BYTE_0 src1_sel:DWORD
	s_and_saveexec_b64 s[12:13], s[2:3]
	s_cbranch_execz .LBB214_821
; %bb.818:                              ;   in Loop: Header=BB214_414 Depth=1
	v_bfe_u32 v32, v13, 16, 7
	v_mov_b32_e32 v18, 0x7f800001
	v_mov_b32_e32 v19, 0
	v_cmp_ne_u32_e64 s[2:3], s27, v32
	s_and_saveexec_b64 s[14:15], s[2:3]
	s_cbranch_execz .LBB214_820
; %bb.819:                              ;   in Loop: Header=BB214_414 Depth=1
	v_mov_b32_e32 v39, v37
	v_mov_b32_e32 v37, v35
	v_and_b32_e32 v35, 7, v11
	v_ffbh_u32_e32 v18, v35
	v_mov_b32_e32 v10, v34
	v_lshrrev_b32_e32 v34, 3, v32
	v_cmp_gt_u32_e64 s[2:3], 8, v32
	v_min_u32_e32 v32, 32, v18
	v_subrev_u32_e32 v18, 28, v32
	v_lshlrev_b64 v[18:19], v18, v[11:12]
	v_mov_b32_e32 v9, v45
	v_and_b32_e32 v18, 7, v18
	v_cndmask_b32_e64 v18, v35, v18, s[2:3]
	v_mov_b32_e32 v35, v37
	v_mov_b32_e32 v37, v39
	buffer_load_dword v39, off, s[48:51], 0 offset:324 ; 4-byte Folded Reload
	v_sub_u32_e32 v19, 29, v32
	v_cndmask_b32_e64 v19, v34, v19, s[2:3]
	v_mov_b32_e32 v45, v9
	v_bfrev_b32_e32 v9, 60
	v_lshlrev_b32_e32 v18, 20, v18
	v_and_b32_sdwa v11, sext(v11), s28 dst_sel:DWORD dst_unused:UNUSED_PAD src0_sel:BYTE_0 src1_sel:DWORD
	v_lshl_add_u32 v19, v19, 23, v9
	v_mov_b32_e32 v34, v10
	v_add_u32_e32 v10, -3, v49
	v_or3_b32 v18, v11, v19, v18
	v_mov_b32_e32 v19, v5
.LBB214_820:                            ;   in Loop: Header=BB214_414 Depth=1
	s_or_b64 exec, exec, s[14:15]
	buffer_load_dword v32, off, s[48:51], 0 offset:316 ; 4-byte Folded Reload
.LBB214_821:                            ;   in Loop: Header=BB214_414 Depth=1
	s_or_b64 exec, exec, s[12:13]
.LBB214_822:                            ;   in Loop: Header=BB214_414 Depth=1
	s_or_b64 exec, exec, s[10:11]
	v_cmp_lt_u32_e64 s[2:3], s29, v13
	s_and_saveexec_b64 s[10:11], s[2:3]
	s_cbranch_execz .LBB214_828
; %bb.823:                              ;   in Loop: Header=BB214_414 Depth=1
	v_mov_b32_e32 v21, v6
	v_cmp_ne_u32_sdwa s[2:3], v13, s26 src0_sel:BYTE_3 src1_sel:DWORD
	v_mov_b32_e32 v20, v5
	s_and_saveexec_b64 s[12:13], s[2:3]
	s_cbranch_execz .LBB214_827
; %bb.824:                              ;   in Loop: Header=BB214_414 Depth=1
	s_waitcnt vmcnt(0)
	v_bfe_u32 v32, v13, 24, 7
	v_mov_b32_e32 v11, v5
	v_mov_b32_e32 v21, v12
	v_cmp_ne_u32_e64 s[2:3], s27, v32
	v_mov_b32_e32 v20, v11
	s_and_saveexec_b64 s[14:15], s[2:3]
	s_cbranch_execz .LBB214_826
; %bb.825:                              ;   in Loop: Header=BB214_414 Depth=1
	v_mov_b32_e32 v9, 7
	v_and_b32_sdwa v20, v13, v9 dst_sel:DWORD dst_unused:UNUSED_PAD src0_sel:BYTE_3 src1_sel:DWORD
	v_lshrrev_b32_e32 v11, 3, v32
	v_cmp_gt_u32_e64 s[2:3], 8, v32
	v_ffbh_u32_e32 v32, v20
	v_mov_b32_e32 v39, v37
	v_mov_b32_e32 v37, v35
	;; [unrolled: 1-line block ×3, first 2 shown]
	v_min_u32_e32 v34, 32, v32
	v_mov_b32_e32 v21, v5
	v_subrev_u32_e32 v32, 28, v34
	v_lshlrev_b64 v[9:10], v32, v[20:21]
	v_sub_u32_e32 v21, 29, v34
	v_mov_b32_e32 v34, v35
	v_mov_b32_e32 v35, v37
	;; [unrolled: 1-line block ×3, first 2 shown]
	buffer_load_dword v39, off, s[48:51], 0 offset:324 ; 4-byte Folded Reload
	v_and_b32_e32 v32, 7, v9
	v_mov_b32_e32 v9, 24
	v_cndmask_b32_e64 v11, v11, v21, s[2:3]
	v_lshlrev_b32_sdwa v13, v9, v13 dst_sel:DWORD dst_unused:UNUSED_PAD src0_sel:DWORD src1_sel:BYTE_3
	v_bfrev_b32_e32 v9, 60
	v_cndmask_b32_e64 v20, v20, v32, s[2:3]
	v_lshl_add_u32 v11, v11, 23, v9
	v_and_or_b32 v11, v13, s28, v11
	v_lshlrev_b32_e32 v13, 20, v20
	v_add_u32_e32 v10, -3, v49
	v_or_b32_e32 v21, v11, v13
	v_mov_b32_e32 v20, v5
.LBB214_826:                            ;   in Loop: Header=BB214_414 Depth=1
	s_or_b64 exec, exec, s[14:15]
	buffer_load_dword v32, off, s[48:51], 0 offset:316 ; 4-byte Folded Reload
.LBB214_827:                            ;   in Loop: Header=BB214_414 Depth=1
	s_or_b64 exec, exec, s[12:13]
.LBB214_828:                            ;   in Loop: Header=BB214_414 Depth=1
	s_or_b64 exec, exec, s[10:11]
	v_or_b32_e32 v13, v16, v14
	v_or_b32_e32 v11, v17, v15
	v_mul_f32_e32 v15, s17, v13
	v_or_b32_e32 v13, v21, v19
	v_or_b32_e32 v14, v20, v18
	v_mul_f32_e32 v11, s18, v11
	v_mul_f32_e32 v14, s17, v14
	;; [unrolled: 1-line block ×3, first 2 shown]
	s_and_saveexec_b64 s[2:3], vcc
	s_cbranch_execz .LBB214_413
; %bb.829:                              ;   in Loop: Header=BB214_414 Depth=1
	v_cmp_gt_i32_e32 vcc, s33, v10
	v_add_u32_e32 v9, -2, v49
	v_cndmask_b32_e32 v15, 0, v15, vcc
	v_cmp_gt_i32_e32 vcc, s33, v9
	v_add_u32_e32 v9, -1, v49
	v_cndmask_b32_e32 v11, 0, v11, vcc
	v_cmp_gt_i32_e32 vcc, s33, v9
	v_cndmask_b32_e32 v14, 0, v14, vcc
	v_cmp_gt_i32_e32 vcc, s33, v49
	v_cndmask_b32_e32 v13, 0, v13, vcc
	s_branch .LBB214_413
.LBB214_830:
	s_or_b64 exec, exec, s[6:7]
	buffer_load_dword v21, off, s[48:51], 0 offset:328 ; 4-byte Folded Reload
	buffer_load_dword v17, off, s[48:51], 0 offset:332 ; 4-byte Folded Reload
	;; [unrolled: 1-line block ×5, first 2 shown]
.LBB214_831:
	s_or_b64 exec, exec, s[4:5]
	buffer_load_dword v13, off, s[48:51], 0 offset:292 ; 4-byte Folded Reload
	buffer_load_dword v16, off, s[48:51], 0 offset:284 ; 4-byte Folded Reload
	;; [unrolled: 1-line block ×3, first 2 shown]
	s_waitcnt vmcnt(6)
	ds_bpermute_b32 v0, v17, v35
	ds_bpermute_b32 v1, v17, v37
	;; [unrolled: 1-line block ×5, first 2 shown]
	s_waitcnt lgkmcnt(4)
	v_add_f32_e32 v0, v35, v0
	s_waitcnt lgkmcnt(3)
	v_add_f32_e32 v1, v37, v1
	s_waitcnt vmcnt(5)
	ds_bpermute_b32 v4, v20, v0
	s_waitcnt lgkmcnt(3)
	v_add_f32_e32 v2, v34, v2
	ds_bpermute_b32 v5, v20, v1
	ds_bpermute_b32 v6, v20, v2
	s_waitcnt lgkmcnt(0)
	v_add_f32_e32 v0, v0, v4
	s_waitcnt vmcnt(4)
	ds_bpermute_b32 v4, v22, v0
	v_add_f32_e32 v5, v1, v5
	v_add_f32_e32 v6, v2, v6
	ds_bpermute_b32 v2, v22, v5
	ds_bpermute_b32 v8, v22, v6
	s_waitcnt lgkmcnt(2)
	v_add_f32_e32 v1, v0, v4
	v_add_f32_e32 v0, v45, v3
	ds_bpermute_b32 v4, v20, v0
	s_waitcnt lgkmcnt(2)
	v_add_f32_e32 v2, v5, v2
	v_add_f32_e32 v5, v46, v7
	ds_bpermute_b32 v7, v20, v5
	s_waitcnt lgkmcnt(2)
	v_add_f32_e32 v3, v6, v8
	s_waitcnt lgkmcnt(1)
	v_add_f32_e32 v0, v0, v4
	ds_bpermute_b32 v4, v17, v43
	ds_bpermute_b32 v6, v22, v0
	s_waitcnt lgkmcnt(2)
	v_add_f32_e32 v5, v5, v7
	ds_bpermute_b32 v7, v17, v44
	ds_bpermute_b32 v8, v22, v5
	s_waitcnt lgkmcnt(3)
	v_add_f32_e32 v9, v43, v4
	s_waitcnt lgkmcnt(2)
	v_add_f32_e32 v4, v0, v6
	ds_bpermute_b32 v10, v20, v9
	s_waitcnt lgkmcnt(2)
	v_add_f32_e32 v0, v44, v7
	ds_bpermute_b32 v6, v20, v0
	s_waitcnt lgkmcnt(2)
	v_add_f32_e32 v5, v5, v8
	ds_bpermute_b32 v8, v17, v41
	s_waitcnt lgkmcnt(2)
	v_add_f32_e32 v7, v9, v10
	ds_bpermute_b32 v9, v22, v7
	s_waitcnt lgkmcnt(2)
	v_add_f32_e32 v0, v0, v6
	ds_bpermute_b32 v10, v17, v42
	s_waitcnt lgkmcnt(2)
	v_add_f32_e32 v8, v41, v8
	ds_bpermute_b32 v11, v22, v0
	ds_bpermute_b32 v12, v20, v8
	s_waitcnt lgkmcnt(3)
	v_add_f32_e32 v6, v7, v9
	s_waitcnt lgkmcnt(2)
	v_add_f32_e32 v9, v42, v10
	ds_bpermute_b32 v10, v20, v9
	s_waitcnt lgkmcnt(2)
	v_add_f32_e32 v7, v0, v11
	s_waitcnt lgkmcnt(1)
	v_add_f32_e32 v0, v8, v12
	ds_bpermute_b32 v11, v22, v0
	s_waitcnt vmcnt(0) lgkmcnt(0)
	s_barrier
	v_add_f32_e32 v9, v9, v10
	ds_bpermute_b32 v10, v17, v40
	ds_bpermute_b32 v12, v22, v9
	s_waitcnt lgkmcnt(0)
	v_add_f32_e32 v9, v9, v12
	ds_bpermute_b32 v8, v17, v13
	ds_bpermute_b32 v12, v17, v16
	s_waitcnt lgkmcnt(1)
	v_add_f32_e32 v13, v13, v8
	ds_bpermute_b32 v14, v20, v13
	v_add_f32_e32 v8, v0, v11
	v_add_f32_e32 v0, v40, v10
	ds_bpermute_b32 v10, v20, v0
	s_waitcnt lgkmcnt(2)
	v_add_f32_e32 v12, v16, v12
	s_waitcnt lgkmcnt(1)
	v_add_f32_e32 v11, v13, v14
	ds_bpermute_b32 v13, v22, v11
	ds_bpermute_b32 v14, v17, v38
	s_waitcnt lgkmcnt(2)
	v_add_f32_e32 v0, v0, v10
	ds_bpermute_b32 v15, v22, v0
	ds_bpermute_b32 v16, v20, v12
	s_waitcnt lgkmcnt(3)
	v_add_f32_e32 v10, v11, v13
	s_waitcnt lgkmcnt(2)
	v_add_f32_e32 v13, v38, v14
	ds_bpermute_b32 v14, v20, v13
	s_waitcnt lgkmcnt(2)
	v_add_f32_e32 v11, v0, v15
	s_waitcnt lgkmcnt(1)
	v_add_f32_e32 v0, v12, v16
	ds_bpermute_b32 v12, v22, v0
	ds_bpermute_b32 v15, v17, v18
	s_waitcnt lgkmcnt(2)
	v_add_f32_e32 v13, v13, v14
	ds_bpermute_b32 v16, v22, v13
	ds_bpermute_b32 v14, v17, v36
	s_waitcnt lgkmcnt(3)
	v_add_f32_e32 v0, v0, v12
	ds_bpermute_b32 v17, v17, v33
	s_waitcnt lgkmcnt(3)
	v_add_f32_e32 v15, v18, v15
	s_waitcnt lgkmcnt(2)
	v_add_f32_e32 v12, v13, v16
	buffer_load_dword v16, off, s[48:51], 0 offset:652 ; 4-byte Folded Reload
	s_waitcnt lgkmcnt(1)
	v_add_f32_e32 v14, v36, v14
	s_waitcnt lgkmcnt(0)
	v_add_f32_e32 v17, v33, v17
	ds_bpermute_b32 v18, v20, v15
	ds_bpermute_b32 v19, v20, v14
	;; [unrolled: 1-line block ×3, first 2 shown]
	s_waitcnt lgkmcnt(2)
	v_add_f32_e32 v15, v15, v18
	ds_bpermute_b32 v18, v22, v15
	s_waitcnt lgkmcnt(1)
	v_add_f32_e32 v17, v17, v20
	v_add_f32_e32 v14, v14, v19
	ds_bpermute_b32 v20, v22, v17
	ds_bpermute_b32 v19, v22, v14
	s_waitcnt lgkmcnt(2)
	v_add_f32_e32 v13, v15, v18
	s_waitcnt lgkmcnt(1)
	v_add_f32_e32 v15, v17, v20
	;; [unrolled: 2-line block ×3, first 2 shown]
	s_waitcnt vmcnt(0)
	v_and_b32_e32 v17, 0x3c7, v16
	v_cmp_eq_u32_e32 vcc, 64, v17
	s_and_saveexec_b64 s[2:3], vcc
	s_cbranch_execz .LBB214_833
; %bb.832:
	v_lshrrev_b32_e32 v16, 1, v21
	v_add_u32_e32 v16, 0x210, v16
	ds_write2_b32 v16, v1, v2 offset1:8
	ds_write2_b32 v16, v3, v4 offset0:16 offset1:24
	ds_write2_b32 v16, v5, v6 offset0:32 offset1:40
	;; [unrolled: 1-line block ×7, first 2 shown]
.LBB214_833:
	s_or_b64 exec, exec, s[2:3]
	buffer_load_dword v16, off, s[48:51], 0 offset:652 ; 4-byte Folded Reload
	s_waitcnt vmcnt(0) lgkmcnt(0)
	s_barrier
	v_lshrrev_b32_e32 v16, 3, v16
	s_and_saveexec_b64 s[2:3], s[0:1]
	s_cbranch_execz .LBB214_852
; %bb.834:
	v_mov_b32_e32 v18, 0x210
	v_cmp_eq_u32_e32 vcc, 0, v23
	v_lshl_add_u32 v18, v16, 2, v18
	s_and_saveexec_b64 s[0:1], vcc
	s_cbranch_execnz .LBB214_855
; %bb.835:
	s_or_b64 exec, exec, s[0:1]
	s_and_saveexec_b64 s[0:1], vcc
	s_cbranch_execnz .LBB214_856
.LBB214_836:
	s_or_b64 exec, exec, s[0:1]
	s_and_saveexec_b64 s[0:1], vcc
	s_cbranch_execnz .LBB214_857
.LBB214_837:
	s_or_b64 exec, exec, s[0:1]
	s_and_saveexec_b64 s[0:1], vcc
	s_cbranch_execnz .LBB214_858
.LBB214_838:
	s_or_b64 exec, exec, s[0:1]
	s_and_saveexec_b64 s[0:1], vcc
	s_cbranch_execnz .LBB214_859
.LBB214_839:
	s_or_b64 exec, exec, s[0:1]
	s_and_saveexec_b64 s[0:1], vcc
	s_cbranch_execnz .LBB214_860
.LBB214_840:
	s_or_b64 exec, exec, s[0:1]
	s_and_saveexec_b64 s[0:1], vcc
	s_cbranch_execnz .LBB214_861
.LBB214_841:
	s_or_b64 exec, exec, s[0:1]
	s_and_saveexec_b64 s[0:1], vcc
	s_cbranch_execnz .LBB214_862
.LBB214_842:
	s_or_b64 exec, exec, s[0:1]
	s_and_saveexec_b64 s[0:1], vcc
	s_cbranch_execnz .LBB214_863
.LBB214_843:
	s_or_b64 exec, exec, s[0:1]
	s_and_saveexec_b64 s[0:1], vcc
	s_cbranch_execnz .LBB214_864
.LBB214_844:
	s_or_b64 exec, exec, s[0:1]
	s_and_saveexec_b64 s[0:1], vcc
	s_cbranch_execnz .LBB214_865
.LBB214_845:
	s_or_b64 exec, exec, s[0:1]
	s_and_saveexec_b64 s[0:1], vcc
	s_cbranch_execnz .LBB214_866
.LBB214_846:
	s_or_b64 exec, exec, s[0:1]
	s_and_saveexec_b64 s[0:1], vcc
	s_cbranch_execnz .LBB214_867
.LBB214_847:
	s_or_b64 exec, exec, s[0:1]
	s_and_saveexec_b64 s[0:1], vcc
	s_cbranch_execnz .LBB214_868
.LBB214_848:
	s_or_b64 exec, exec, s[0:1]
	s_and_saveexec_b64 s[0:1], vcc
	s_cbranch_execnz .LBB214_869
.LBB214_849:
	s_or_b64 exec, exec, s[0:1]
	s_and_saveexec_b64 s[0:1], vcc
	s_cbranch_execz .LBB214_851
.LBB214_850:
	ds_read_b32 v18, v18 offset:480
	s_waitcnt lgkmcnt(0)
	v_add_f32_e32 v15, v15, v18
.LBB214_851:
	s_or_b64 exec, exec, s[0:1]
.LBB214_852:
	s_or_b64 exec, exec, s[2:3]
	v_cmp_eq_u32_e32 vcc, 0, v17
	s_barrier
	s_and_saveexec_b64 s[0:1], vcc
	s_cbranch_execz .LBB214_854
; %bb.853:
	s_mul_i32 s0, s20, s21
	s_mul_i32 s0, s0, s9
	s_lshl_b32 s0, s0, 7
	s_ashr_i32 s1, s0, 31
	s_lshl_b64 s[0:1], s[0:1], 2
	s_add_u32 s2, s24, s0
	s_mul_i32 s0, s21, s22
	s_addc_u32 s3, s25, s1
	s_ashr_i32 s1, s0, 31
	s_lshl_b64 s[0:1], s[0:1], 2
	s_add_u32 s2, s2, s0
	s_addc_u32 s3, s3, s1
	s_lshl_b32 s0, s8, 7
	s_ashr_i32 s1, s0, 31
	s_lshl_b64 s[0:1], s[0:1], 2
	s_add_u32 s0, s2, s0
	s_addc_u32 s1, s3, s1
	v_lshlrev_b32_e32 v16, 2, v16
	global_store_dword v16, v1, s[0:1]
	global_store_dword v16, v2, s[0:1] offset:32
	global_store_dword v16, v3, s[0:1] offset:64
	;; [unrolled: 1-line block ×15, first 2 shown]
.LBB214_854:
	s_endpgm
.LBB214_855:
	ds_read_b32 v19, v18
	s_waitcnt lgkmcnt(0)
	v_add_f32_e32 v1, v1, v19
	s_or_b64 exec, exec, s[0:1]
	s_and_saveexec_b64 s[0:1], vcc
	s_cbranch_execz .LBB214_836
.LBB214_856:
	ds_read_b32 v19, v18 offset:32
	s_waitcnt lgkmcnt(0)
	v_add_f32_e32 v2, v2, v19
	s_or_b64 exec, exec, s[0:1]
	s_and_saveexec_b64 s[0:1], vcc
	s_cbranch_execz .LBB214_837
.LBB214_857:
	ds_read_b32 v19, v18 offset:64
	s_waitcnt lgkmcnt(0)
	v_add_f32_e32 v3, v3, v19
	s_or_b64 exec, exec, s[0:1]
	s_and_saveexec_b64 s[0:1], vcc
	s_cbranch_execz .LBB214_838
.LBB214_858:
	ds_read_b32 v19, v18 offset:96
	s_waitcnt lgkmcnt(0)
	v_add_f32_e32 v4, v4, v19
	s_or_b64 exec, exec, s[0:1]
	s_and_saveexec_b64 s[0:1], vcc
	s_cbranch_execz .LBB214_839
.LBB214_859:
	ds_read_b32 v19, v18 offset:128
	s_waitcnt lgkmcnt(0)
	v_add_f32_e32 v5, v5, v19
	s_or_b64 exec, exec, s[0:1]
	s_and_saveexec_b64 s[0:1], vcc
	s_cbranch_execz .LBB214_840
.LBB214_860:
	ds_read_b32 v19, v18 offset:160
	s_waitcnt lgkmcnt(0)
	v_add_f32_e32 v6, v6, v19
	s_or_b64 exec, exec, s[0:1]
	s_and_saveexec_b64 s[0:1], vcc
	s_cbranch_execz .LBB214_841
.LBB214_861:
	ds_read_b32 v19, v18 offset:192
	s_waitcnt lgkmcnt(0)
	v_add_f32_e32 v7, v7, v19
	s_or_b64 exec, exec, s[0:1]
	s_and_saveexec_b64 s[0:1], vcc
	s_cbranch_execz .LBB214_842
.LBB214_862:
	ds_read_b32 v19, v18 offset:224
	s_waitcnt lgkmcnt(0)
	v_add_f32_e32 v8, v8, v19
	s_or_b64 exec, exec, s[0:1]
	s_and_saveexec_b64 s[0:1], vcc
	s_cbranch_execz .LBB214_843
.LBB214_863:
	ds_read_b32 v19, v18 offset:256
	s_waitcnt lgkmcnt(0)
	v_add_f32_e32 v9, v9, v19
	s_or_b64 exec, exec, s[0:1]
	s_and_saveexec_b64 s[0:1], vcc
	s_cbranch_execz .LBB214_844
.LBB214_864:
	ds_read_b32 v19, v18 offset:288
	s_waitcnt lgkmcnt(0)
	v_add_f32_e32 v10, v10, v19
	s_or_b64 exec, exec, s[0:1]
	s_and_saveexec_b64 s[0:1], vcc
	s_cbranch_execz .LBB214_845
.LBB214_865:
	ds_read_b32 v19, v18 offset:320
	s_waitcnt lgkmcnt(0)
	v_add_f32_e32 v11, v11, v19
	s_or_b64 exec, exec, s[0:1]
	s_and_saveexec_b64 s[0:1], vcc
	s_cbranch_execz .LBB214_846
.LBB214_866:
	ds_read_b32 v19, v18 offset:352
	s_waitcnt lgkmcnt(0)
	v_add_f32_e32 v0, v0, v19
	s_or_b64 exec, exec, s[0:1]
	s_and_saveexec_b64 s[0:1], vcc
	s_cbranch_execz .LBB214_847
.LBB214_867:
	ds_read_b32 v19, v18 offset:384
	s_waitcnt lgkmcnt(0)
	v_add_f32_e32 v12, v12, v19
	s_or_b64 exec, exec, s[0:1]
	s_and_saveexec_b64 s[0:1], vcc
	s_cbranch_execz .LBB214_848
.LBB214_868:
	ds_read_b32 v19, v18 offset:416
	s_waitcnt lgkmcnt(0)
	v_add_f32_e32 v13, v13, v19
	s_or_b64 exec, exec, s[0:1]
	s_and_saveexec_b64 s[0:1], vcc
	s_cbranch_execz .LBB214_849
.LBB214_869:
	ds_read_b32 v19, v18 offset:448
	s_waitcnt lgkmcnt(0)
	v_add_f32_e32 v14, v14, v19
	s_or_b64 exec, exec, s[0:1]
	s_and_saveexec_b64 s[0:1], vcc
	s_cbranch_execnz .LBB214_850
	s_branch .LBB214_851
	.section	.rodata,"a",@progbits
	.p2align	6, 0x0
	.amdhsa_kernel _ZN4vllm25paged_attention_v1_kernelIfhLi128ELi32ELi128ELNS_18Fp8KVCacheDataTypeE1ELb0EEEvPT_PKS2_PKT0_S8_ifPKiSA_iPKfiiiSC_SC_iiiii
		.amdhsa_group_segment_fixed_size 528
		.amdhsa_private_segment_fixed_size 680
		.amdhsa_kernarg_size 384
		.amdhsa_user_sgpr_count 6
		.amdhsa_user_sgpr_private_segment_buffer 1
		.amdhsa_user_sgpr_dispatch_ptr 0
		.amdhsa_user_sgpr_queue_ptr 0
		.amdhsa_user_sgpr_kernarg_segment_ptr 1
		.amdhsa_user_sgpr_dispatch_id 0
		.amdhsa_user_sgpr_flat_scratch_init 0
		.amdhsa_user_sgpr_private_segment_size 0
		.amdhsa_uses_dynamic_stack 0
		.amdhsa_system_sgpr_private_segment_wavefront_offset 1
		.amdhsa_system_sgpr_workgroup_id_x 1
		.amdhsa_system_sgpr_workgroup_id_y 1
		.amdhsa_system_sgpr_workgroup_id_z 1
		.amdhsa_system_sgpr_workgroup_info 0
		.amdhsa_system_vgpr_workitem_id 0
		.amdhsa_next_free_vgpr 64
		.amdhsa_next_free_sgpr 52
		.amdhsa_reserve_vcc 1
		.amdhsa_reserve_flat_scratch 0
		.amdhsa_float_round_mode_32 0
		.amdhsa_float_round_mode_16_64 0
		.amdhsa_float_denorm_mode_32 3
		.amdhsa_float_denorm_mode_16_64 3
		.amdhsa_dx10_clamp 1
		.amdhsa_ieee_mode 1
		.amdhsa_fp16_overflow 0
		.amdhsa_exception_fp_ieee_invalid_op 0
		.amdhsa_exception_fp_denorm_src 0
		.amdhsa_exception_fp_ieee_div_zero 0
		.amdhsa_exception_fp_ieee_overflow 0
		.amdhsa_exception_fp_ieee_underflow 0
		.amdhsa_exception_fp_ieee_inexact 0
		.amdhsa_exception_int_div_zero 0
	.end_amdhsa_kernel
	.section	.text._ZN4vllm25paged_attention_v1_kernelIfhLi128ELi32ELi128ELNS_18Fp8KVCacheDataTypeE1ELb0EEEvPT_PKS2_PKT0_S8_ifPKiSA_iPKfiiiSC_SC_iiiii,"axG",@progbits,_ZN4vllm25paged_attention_v1_kernelIfhLi128ELi32ELi128ELNS_18Fp8KVCacheDataTypeE1ELb0EEEvPT_PKS2_PKT0_S8_ifPKiSA_iPKfiiiSC_SC_iiiii,comdat
.Lfunc_end214:
	.size	_ZN4vllm25paged_attention_v1_kernelIfhLi128ELi32ELi128ELNS_18Fp8KVCacheDataTypeE1ELb0EEEvPT_PKS2_PKT0_S8_ifPKiSA_iPKfiiiSC_SC_iiiii, .Lfunc_end214-_ZN4vllm25paged_attention_v1_kernelIfhLi128ELi32ELi128ELNS_18Fp8KVCacheDataTypeE1ELb0EEEvPT_PKS2_PKT0_S8_ifPKiSA_iPKfiiiSC_SC_iiiii
                                        ; -- End function
	.set _ZN4vllm25paged_attention_v1_kernelIfhLi128ELi32ELi128ELNS_18Fp8KVCacheDataTypeE1ELb0EEEvPT_PKS2_PKT0_S8_ifPKiSA_iPKfiiiSC_SC_iiiii.num_vgpr, 64
	.set _ZN4vllm25paged_attention_v1_kernelIfhLi128ELi32ELi128ELNS_18Fp8KVCacheDataTypeE1ELb0EEEvPT_PKS2_PKT0_S8_ifPKiSA_iPKfiiiSC_SC_iiiii.num_agpr, 0
	.set _ZN4vllm25paged_attention_v1_kernelIfhLi128ELi32ELi128ELNS_18Fp8KVCacheDataTypeE1ELb0EEEvPT_PKS2_PKT0_S8_ifPKiSA_iPKfiiiSC_SC_iiiii.numbered_sgpr, 52
	.set _ZN4vllm25paged_attention_v1_kernelIfhLi128ELi32ELi128ELNS_18Fp8KVCacheDataTypeE1ELb0EEEvPT_PKS2_PKT0_S8_ifPKiSA_iPKfiiiSC_SC_iiiii.num_named_barrier, 0
	.set _ZN4vllm25paged_attention_v1_kernelIfhLi128ELi32ELi128ELNS_18Fp8KVCacheDataTypeE1ELb0EEEvPT_PKS2_PKT0_S8_ifPKiSA_iPKfiiiSC_SC_iiiii.private_seg_size, 680
	.set _ZN4vllm25paged_attention_v1_kernelIfhLi128ELi32ELi128ELNS_18Fp8KVCacheDataTypeE1ELb0EEEvPT_PKS2_PKT0_S8_ifPKiSA_iPKfiiiSC_SC_iiiii.uses_vcc, 1
	.set _ZN4vllm25paged_attention_v1_kernelIfhLi128ELi32ELi128ELNS_18Fp8KVCacheDataTypeE1ELb0EEEvPT_PKS2_PKT0_S8_ifPKiSA_iPKfiiiSC_SC_iiiii.uses_flat_scratch, 0
	.set _ZN4vllm25paged_attention_v1_kernelIfhLi128ELi32ELi128ELNS_18Fp8KVCacheDataTypeE1ELb0EEEvPT_PKS2_PKT0_S8_ifPKiSA_iPKfiiiSC_SC_iiiii.has_dyn_sized_stack, 0
	.set _ZN4vllm25paged_attention_v1_kernelIfhLi128ELi32ELi128ELNS_18Fp8KVCacheDataTypeE1ELb0EEEvPT_PKS2_PKT0_S8_ifPKiSA_iPKfiiiSC_SC_iiiii.has_recursion, 0
	.set _ZN4vllm25paged_attention_v1_kernelIfhLi128ELi32ELi128ELNS_18Fp8KVCacheDataTypeE1ELb0EEEvPT_PKS2_PKT0_S8_ifPKiSA_iPKfiiiSC_SC_iiiii.has_indirect_call, 0
	.section	.AMDGPU.csdata,"",@progbits
; Kernel info:
; codeLenInByte = 42492
; TotalNumSgprs: 56
; NumVgprs: 64
; ScratchSize: 680
; MemoryBound: 0
; FloatMode: 240
; IeeeMode: 1
; LDSByteSize: 528 bytes/workgroup (compile time only)
; SGPRBlocks: 6
; VGPRBlocks: 15
; NumSGPRsForWavesPerEU: 56
; NumVGPRsForWavesPerEU: 64
; Occupancy: 4
; WaveLimiterHint : 1
; COMPUTE_PGM_RSRC2:SCRATCH_EN: 1
; COMPUTE_PGM_RSRC2:USER_SGPR: 6
; COMPUTE_PGM_RSRC2:TRAP_HANDLER: 0
; COMPUTE_PGM_RSRC2:TGID_X_EN: 1
; COMPUTE_PGM_RSRC2:TGID_Y_EN: 1
; COMPUTE_PGM_RSRC2:TGID_Z_EN: 1
; COMPUTE_PGM_RSRC2:TIDIG_COMP_CNT: 0
	.section	.text._ZN4vllm25paged_attention_v1_kernelIfhLi192ELi32ELi128ELNS_18Fp8KVCacheDataTypeE1ELb0EEEvPT_PKS2_PKT0_S8_ifPKiSA_iPKfiiiSC_SC_iiiii,"axG",@progbits,_ZN4vllm25paged_attention_v1_kernelIfhLi192ELi32ELi128ELNS_18Fp8KVCacheDataTypeE1ELb0EEEvPT_PKS2_PKT0_S8_ifPKiSA_iPKfiiiSC_SC_iiiii,comdat
	.protected	_ZN4vllm25paged_attention_v1_kernelIfhLi192ELi32ELi128ELNS_18Fp8KVCacheDataTypeE1ELb0EEEvPT_PKS2_PKT0_S8_ifPKiSA_iPKfiiiSC_SC_iiiii ; -- Begin function _ZN4vllm25paged_attention_v1_kernelIfhLi192ELi32ELi128ELNS_18Fp8KVCacheDataTypeE1ELb0EEEvPT_PKS2_PKT0_S8_ifPKiSA_iPKfiiiSC_SC_iiiii
	.globl	_ZN4vllm25paged_attention_v1_kernelIfhLi192ELi32ELi128ELNS_18Fp8KVCacheDataTypeE1ELb0EEEvPT_PKS2_PKT0_S8_ifPKiSA_iPKfiiiSC_SC_iiiii
	.p2align	8
	.type	_ZN4vllm25paged_attention_v1_kernelIfhLi192ELi32ELi128ELNS_18Fp8KVCacheDataTypeE1ELb0EEEvPT_PKS2_PKT0_S8_ifPKiSA_iPKfiiiSC_SC_iiiii,@function
_ZN4vllm25paged_attention_v1_kernelIfhLi192ELi32ELi128ELNS_18Fp8KVCacheDataTypeE1ELb0EEEvPT_PKS2_PKT0_S8_ifPKiSA_iPKfiiiSC_SC_iiiii: ; @_ZN4vllm25paged_attention_v1_kernelIfhLi192ELi32ELi128ELNS_18Fp8KVCacheDataTypeE1ELb0EEEvPT_PKS2_PKT0_S8_ifPKiSA_iPKfiiiSC_SC_iiiii
; %bb.0:
	s_mov_b64 s[50:51], s[2:3]
	s_mov_b64 s[48:49], s[0:1]
	s_add_u32 s48, s48, s9
	s_load_dword s9, s[4:5], 0x80
	s_load_dwordx2 s[0:1], s[4:5], 0x30
	s_load_dwordx2 s[30:31], s[4:5], 0x20
	s_addc_u32 s49, s49, 0
	s_mov_b32 s10, s7
	s_ashr_i32 s11, s7, 31
	s_lshl_b64 s[2:3], s[10:11], 2
	s_waitcnt lgkmcnt(0)
	s_add_u32 s0, s0, s2
	s_addc_u32 s1, s1, s3
	s_abs_i32 s2, s30
	v_cvt_f32_u32_e32 v1, s2
	s_sub_i32 s11, 0, s2
	s_abs_i32 s7, s9
	s_xor_b32 s3, s9, s30
	v_rcp_iflag_f32_e32 v1, v1
	s_ashr_i32 s3, s3, 31
	s_mov_b32 s33, 0
	v_mul_f32_e32 v1, 0x4f7ffffe, v1
	v_cvt_u32_f32_e32 v1, v1
	v_readfirstlane_b32 s12, v1
	s_mul_i32 s11, s11, s12
	s_mul_hi_u32 s11, s12, s11
	s_add_i32 s12, s12, s11
	s_mul_hi_u32 s11, s7, s12
	s_mul_i32 s12, s11, s2
	s_sub_i32 s7, s7, s12
	s_add_i32 s12, s11, 1
	s_sub_i32 s13, s7, s2
	s_cmp_ge_u32 s7, s2
	s_cselect_b32 s11, s12, s11
	s_cselect_b32 s7, s13, s7
	s_add_i32 s12, s11, 1
	s_cmp_ge_u32 s7, s2
	s_cselect_b32 s2, s12, s11
	s_xor_b32 s2, s2, s3
	s_sub_i32 s12, s2, s3
	s_abs_i32 s11, s12
	v_cvt_f32_u32_e32 v1, s11
	s_load_dwordx2 s[2:3], s[4:5], 0x40
	s_sub_i32 s7, 0, s11
	s_abs_i32 s16, s6
	v_rcp_iflag_f32_e32 v1, v1
	v_mul_f32_e32 v1, 0x4f7ffffe, v1
	v_cvt_u32_f32_e32 v1, v1
	v_readfirstlane_b32 s13, v1
	s_mul_i32 s7, s7, s13
	s_mul_hi_u32 s7, s13, s7
	s_add_i32 s13, s13, s7
	s_waitcnt lgkmcnt(0)
	s_cmp_eq_u64 s[2:3], 0
	s_mul_hi_u32 s17, s16, s13
	s_cbranch_scc1 .LBB215_2
; %bb.1:
	s_ashr_i32 s7, s6, 31
	s_lshl_b64 s[14:15], s[6:7], 2
	s_add_u32 s2, s2, s14
	s_addc_u32 s3, s3, s15
	s_load_dword s33, s[2:3], 0x0
.LBB215_2:
	s_load_dword s30, s[0:1], 0x0
	s_ashr_i32 s3, s12, 31
	s_load_dwordx4 s[12:15], s[4:5], 0x48
	s_ashr_i32 s2, s6, 31
	v_and_b32_e32 v4, 1, v0
	s_mul_i32 s20, s6, 0xc0
	s_movk_i32 s0, 0x60
	v_lshlrev_b32_e32 v10, 2, v0
	v_cmp_gt_u32_e32 vcc, s0, v0
	s_mov_b64 s[0:1], exec
	s_and_b64 s[6:7], s[0:1], vcc
	buffer_store_dword v0, off, s[48:51], 0 offset:1108 ; 4-byte Folded Spill
	s_mov_b64 exec, s[6:7]
	s_cbranch_execz .LBB215_4
; %bb.3:
	buffer_load_dword v0, off, s[48:51], 0 offset:1108 ; 4-byte Folded Reload
	s_load_dwordx2 s[6:7], s[4:5], 0x8
	s_waitcnt lgkmcnt(0)
	s_mul_i32 s18, s12, s10
	s_ashr_i32 s19, s18, 31
	s_lshl_b64 s[18:19], s[18:19], 2
	v_and_b32_e32 v3, 0xff8, v10
	s_add_u32 s12, s6, s18
	s_addc_u32 s15, s7, s19
	s_ashr_i32 s21, s20, 31
	s_lshl_b64 s[6:7], s[20:21], 2
	s_add_u32 s6, s12, s6
	s_addc_u32 s7, s15, s7
	s_waitcnt vmcnt(0)
	v_lshlrev_b32_e32 v1, 3, v0
	global_load_dwordx2 v[1:2], v1, s[6:7]
	s_movk_i32 s6, 0x180
	buffer_load_dword v0, off, s[48:51], 0 offset:1108 ; 4-byte Folded Reload
	v_mad_u32_u24 v3, v4, s6, v3
	s_waitcnt vmcnt(1)
	ds_write_b64 v3, v[1:2]
.LBB215_4:
	s_or_b64 exec, exec, s[0:1]
	s_waitcnt lgkmcnt(0)
	s_add_i32 s1, s30, 31
	s_ashr_i32 s6, s1, 31
	s_lshr_b32 s6, s6, 27
	s_add_i32 s1, s1, s6
	s_ashr_i32 s21, s1, 5
	s_xor_b32 s1, s2, s3
	s_mul_i32 s2, s17, s11
	s_sub_i32 s2, s16, s2
	s_add_i32 s3, s17, 1
	s_sub_i32 s6, s2, s11
	s_load_dwordx2 s[24:25], s[4:5], 0x28
	s_load_dword s0, s[4:5], 0x38
	s_cmp_ge_u32 s2, s11
	s_cselect_b32 s3, s3, s17
	s_cselect_b32 s2, s6, s2
	s_add_i32 s6, s3, 1
	s_cmp_ge_u32 s2, s11
	s_cselect_b32 s2, s6, s3
	s_waitcnt vmcnt(0)
	v_lshrrev_b32_e32 v1, 6, v0
	s_xor_b32 s2, s2, s1
	s_waitcnt lgkmcnt(0)
	s_mul_i32 s26, s0, s10
	s_sub_i32 s12, s2, s1
	s_ashr_i32 s27, s26, 31
	v_cmp_gt_i32_e64 s[0:1], s21, v1
	v_cmp_le_i32_e32 vcc, s21, v1
	v_mbcnt_lo_u32_b32 v2, -1, 0
	s_barrier
	buffer_store_dword v1, off, s[48:51], 0 offset:24 ; 4-byte Folded Spill
                                        ; implicit-def: $vgpr12
                                        ; implicit-def: $vgpr7
                                        ; implicit-def: $vgpr8
	s_and_saveexec_b64 s[2:3], vcc
	s_xor_b64 s[2:3], exec, s[2:3]
; %bb.5:
	v_mbcnt_hi_u32_b32 v12, -1, v2
	v_and_b32_e32 v7, 64, v12
	v_add_u32_e32 v8, 64, v7
                                        ; implicit-def: $vgpr4
                                        ; implicit-def: $vgpr2
; %bb.6:
	s_or_saveexec_b64 s[6:7], s[2:3]
	s_load_dwordx2 s[22:23], s[4:5], 0x0
	s_load_dwordx2 s[28:29], s[4:5], 0x18
	s_load_dword s11, s[4:5], 0x88
	s_load_dwordx4 s[16:19], s[4:5], 0x58
	v_mov_b32_e32 v3, 0xff7fffff
	s_mul_i32 s12, s12, s14
	v_lshrrev_b32_e32 v11, 4, v0
	s_xor_b64 exec, exec, s[6:7]
	s_cbranch_execz .LBB215_588
; %bb.7:
	s_load_dwordx2 s[2:3], s[4:5], 0x10
	s_ashr_i32 s4, s12, 31
	v_bfe_u32 v1, v0, 1, 5
	v_lshlrev_b32_e32 v3, 4, v1
	buffer_store_dword v10, off, s[48:51], 0 offset:1112 ; 4-byte Folded Spill
	s_waitcnt lgkmcnt(0)
	s_add_u32 s2, s2, s12
	s_addc_u32 s3, s3, s4
	v_add_co_u32_e32 v5, vcc, s2, v3
	v_mov_b32_e32 v3, s3
	v_addc_co_u32_e32 v6, vcc, 0, v3, vcc
	buffer_store_dword v5, off, s[48:51], 0 offset:712 ; 4-byte Folded Spill
	s_nop 0
	buffer_store_dword v6, off, s[48:51], 0 offset:716 ; 4-byte Folded Spill
	v_mul_u32_u24_e32 v3, 0x180, v4
	ds_read_b128 v[7:10], v3
	s_waitcnt lgkmcnt(0)
	buffer_store_dword v7, off, s[48:51], 0 offset:720 ; 4-byte Folded Spill
	s_nop 0
	buffer_store_dword v8, off, s[48:51], 0 offset:724 ; 4-byte Folded Spill
	buffer_store_dword v9, off, s[48:51], 0 offset:728 ; 4-byte Folded Spill
	buffer_store_dword v10, off, s[48:51], 0 offset:732 ; 4-byte Folded Spill
	ds_read_b128 v[7:10], v3 offset:16
	s_waitcnt lgkmcnt(0)
	buffer_store_dword v7, off, s[48:51], 0 offset:736 ; 4-byte Folded Spill
	s_nop 0
	buffer_store_dword v8, off, s[48:51], 0 offset:740 ; 4-byte Folded Spill
	buffer_store_dword v9, off, s[48:51], 0 offset:744 ; 4-byte Folded Spill
	buffer_store_dword v10, off, s[48:51], 0 offset:748 ; 4-byte Folded Spill
	ds_read_b128 v[7:10], v3 offset:32
	s_waitcnt lgkmcnt(0)
	buffer_store_dword v7, off, s[48:51], 0 offset:752 ; 4-byte Folded Spill
	s_nop 0
	buffer_store_dword v8, off, s[48:51], 0 offset:756 ; 4-byte Folded Spill
	buffer_store_dword v9, off, s[48:51], 0 offset:760 ; 4-byte Folded Spill
	buffer_store_dword v10, off, s[48:51], 0 offset:764 ; 4-byte Folded Spill
	ds_read_b128 v[7:10], v3 offset:48
	s_waitcnt lgkmcnt(0)
	buffer_store_dword v7, off, s[48:51], 0 offset:768 ; 4-byte Folded Spill
	s_nop 0
	buffer_store_dword v8, off, s[48:51], 0 offset:772 ; 4-byte Folded Spill
	buffer_store_dword v9, off, s[48:51], 0 offset:776 ; 4-byte Folded Spill
	buffer_store_dword v10, off, s[48:51], 0 offset:780 ; 4-byte Folded Spill
	ds_read_b128 v[7:10], v3 offset:64
	s_waitcnt lgkmcnt(0)
	buffer_store_dword v7, off, s[48:51], 0 offset:784 ; 4-byte Folded Spill
	s_nop 0
	buffer_store_dword v8, off, s[48:51], 0 offset:788 ; 4-byte Folded Spill
	buffer_store_dword v9, off, s[48:51], 0 offset:792 ; 4-byte Folded Spill
	buffer_store_dword v10, off, s[48:51], 0 offset:796 ; 4-byte Folded Spill
	ds_read_b128 v[7:10], v3 offset:80
	s_waitcnt lgkmcnt(0)
	buffer_store_dword v7, off, s[48:51], 0 offset:800 ; 4-byte Folded Spill
	s_nop 0
	buffer_store_dword v8, off, s[48:51], 0 offset:804 ; 4-byte Folded Spill
	buffer_store_dword v9, off, s[48:51], 0 offset:808 ; 4-byte Folded Spill
	buffer_store_dword v10, off, s[48:51], 0 offset:812 ; 4-byte Folded Spill
	ds_read_b128 v[7:10], v3 offset:96
	s_waitcnt lgkmcnt(0)
	buffer_store_dword v7, off, s[48:51], 0 offset:816 ; 4-byte Folded Spill
	s_nop 0
	buffer_store_dword v8, off, s[48:51], 0 offset:820 ; 4-byte Folded Spill
	buffer_store_dword v9, off, s[48:51], 0 offset:824 ; 4-byte Folded Spill
	buffer_store_dword v10, off, s[48:51], 0 offset:828 ; 4-byte Folded Spill
	ds_read_b128 v[7:10], v3 offset:112
	s_waitcnt lgkmcnt(0)
	buffer_store_dword v7, off, s[48:51], 0 offset:832 ; 4-byte Folded Spill
	s_nop 0
	buffer_store_dword v8, off, s[48:51], 0 offset:836 ; 4-byte Folded Spill
	buffer_store_dword v9, off, s[48:51], 0 offset:840 ; 4-byte Folded Spill
	buffer_store_dword v10, off, s[48:51], 0 offset:844 ; 4-byte Folded Spill
	ds_read_b128 v[7:10], v3 offset:128
	s_waitcnt lgkmcnt(0)
	buffer_store_dword v7, off, s[48:51], 0 offset:848 ; 4-byte Folded Spill
	s_nop 0
	buffer_store_dword v8, off, s[48:51], 0 offset:852 ; 4-byte Folded Spill
	buffer_store_dword v9, off, s[48:51], 0 offset:856 ; 4-byte Folded Spill
	buffer_store_dword v10, off, s[48:51], 0 offset:860 ; 4-byte Folded Spill
	ds_read_b128 v[7:10], v3 offset:144
	s_waitcnt lgkmcnt(0)
	buffer_store_dword v7, off, s[48:51], 0 offset:864 ; 4-byte Folded Spill
	s_nop 0
	buffer_store_dword v8, off, s[48:51], 0 offset:868 ; 4-byte Folded Spill
	buffer_store_dword v9, off, s[48:51], 0 offset:872 ; 4-byte Folded Spill
	buffer_store_dword v10, off, s[48:51], 0 offset:876 ; 4-byte Folded Spill
	ds_read_b128 v[7:10], v3 offset:160
	s_waitcnt lgkmcnt(0)
	buffer_store_dword v7, off, s[48:51], 0 offset:880 ; 4-byte Folded Spill
	s_nop 0
	buffer_store_dword v8, off, s[48:51], 0 offset:884 ; 4-byte Folded Spill
	buffer_store_dword v9, off, s[48:51], 0 offset:888 ; 4-byte Folded Spill
	buffer_store_dword v10, off, s[48:51], 0 offset:892 ; 4-byte Folded Spill
	ds_read_b128 v[7:10], v3 offset:176
	s_waitcnt lgkmcnt(0)
	buffer_store_dword v7, off, s[48:51], 0 offset:896 ; 4-byte Folded Spill
	s_nop 0
	buffer_store_dword v8, off, s[48:51], 0 offset:900 ; 4-byte Folded Spill
	buffer_store_dword v9, off, s[48:51], 0 offset:904 ; 4-byte Folded Spill
	buffer_store_dword v10, off, s[48:51], 0 offset:908 ; 4-byte Folded Spill
	ds_read_b128 v[7:10], v3 offset:192
	v_mbcnt_hi_u32_b32 v0, -1, v2
	v_and_b32_e32 v5, 64, v0
	s_waitcnt lgkmcnt(0)
	buffer_store_dword v7, off, s[48:51], 0 offset:912 ; 4-byte Folded Spill
	s_nop 0
	buffer_store_dword v8, off, s[48:51], 0 offset:916 ; 4-byte Folded Spill
	buffer_store_dword v9, off, s[48:51], 0 offset:920 ; 4-byte Folded Spill
	;; [unrolled: 1-line block ×3, first 2 shown]
	v_xor_b32_e32 v2, 1, v0
	buffer_store_dword v5, off, s[48:51], 0 offset:1124 ; 4-byte Folded Spill
	v_add_u32_e32 v5, 64, v5
	v_cmp_lt_i32_e32 vcc, v2, v5
	v_cndmask_b32_e32 v2, v0, v2, vcc
	v_lshlrev_b32_e32 v6, 1, v4
	buffer_store_dword v0, off, s[48:51], 0 offset:1120 ; 4-byte Folded Spill
	v_lshlrev_b32_e32 v0, 2, v2
	buffer_store_dword v0, off, s[48:51], 0 offset:928 ; 4-byte Folded Spill
	v_or_b32_e32 v0, 4, v6
	buffer_store_dword v0, off, s[48:51], 0 offset:12 ; 4-byte Folded Spill
	v_or_b32_e32 v0, 8, v6
	buffer_store_dword v5, off, s[48:51], 0 offset:1128 ; 4-byte Folded Spill
	buffer_store_dword v0, off, s[48:51], 0 offset:16 ; 4-byte Folded Spill
	;; [unrolled: 1-line block ×3, first 2 shown]
	v_cmp_eq_u32_e64 s[2:3], 0, v4
	v_or_b32_e32 v0, 12, v6
	ds_read_b128 v[4:7], v3 offset:208
	buffer_store_dword v0, off, s[48:51], 0 offset:20 ; 4-byte Folded Spill
	s_waitcnt lgkmcnt(0)
	buffer_store_dword v4, off, s[48:51], 0 offset:932 ; 4-byte Folded Spill
	s_nop 0
	buffer_store_dword v5, off, s[48:51], 0 offset:936 ; 4-byte Folded Spill
	buffer_store_dword v6, off, s[48:51], 0 offset:940 ; 4-byte Folded Spill
	buffer_store_dword v7, off, s[48:51], 0 offset:944 ; 4-byte Folded Spill
	ds_read_b128 v[4:7], v3 offset:224
	s_waitcnt lgkmcnt(0)
	buffer_store_dword v4, off, s[48:51], 0 offset:948 ; 4-byte Folded Spill
	s_nop 0
	buffer_store_dword v5, off, s[48:51], 0 offset:952 ; 4-byte Folded Spill
	buffer_store_dword v6, off, s[48:51], 0 offset:956 ; 4-byte Folded Spill
	buffer_store_dword v7, off, s[48:51], 0 offset:960 ; 4-byte Folded Spill
	ds_read_b128 v[4:7], v3 offset:240
	;; [unrolled: 7-line block ×10, first 2 shown]
	s_waitcnt lgkmcnt(0)
	buffer_store_dword v2, off, s[48:51], 0 offset:1092 ; 4-byte Folded Spill
	s_nop 0
	buffer_store_dword v3, off, s[48:51], 0 offset:1096 ; 4-byte Folded Spill
	buffer_store_dword v4, off, s[48:51], 0 offset:1100 ; 4-byte Folded Spill
	;; [unrolled: 1-line block ×3, first 2 shown]
	buffer_load_dword v2, off, s[48:51], 0 offset:24 ; 4-byte Folded Reload
	s_sub_i32 s41, 1, s30
	s_lshl_b64 s[14:15], s[26:27], 2
	s_add_u32 s14, s24, s14
	s_load_dword s39, s[16:17], 0x0
	s_addc_u32 s15, s25, s15
	s_mov_b32 s38, s13
	v_mov_b32_e32 v61, 0
	v_cmp_neq_f32_e64 s[4:5], s33, 0
	s_waitcnt lgkmcnt(0)
	s_mov_b32 s40, s39
	s_movk_i32 s42, 0x80
	s_movk_i32 s43, 0x7f
	s_brev_b32 s44, 1
	v_bfrev_b32_e32 v62, 1
	s_waitcnt vmcnt(0)
	v_lshl_or_b32 v0, v2, 5, v1
	buffer_store_dword v0, off, s[48:51], 0 offset:596 ; 4-byte Folded Spill
	v_lshlrev_b32_e32 v0, 2, v1
	v_lshl_or_b32 v0, v2, 7, v0
	v_add_u32_e32 v0, 0x310, v0
	buffer_store_dword v0, off, s[48:51], 0 offset:600 ; 4-byte Folded Spill
	buffer_store_dword v11, off, s[48:51], 0 offset:1116 ; 4-byte Folded Spill
	v_and_b32_e32 v0, 60, v11
	v_add_co_u32_e32 v3, vcc, s14, v0
	v_mov_b32_e32 v0, s15
	v_addc_co_u32_e32 v4, vcc, 0, v0, vcc
	v_mov_b32_e32 v0, 0xff7fffff
	buffer_store_dword v0, off, s[48:51], 0 offset:708 ; 4-byte Folded Spill
	v_mov_b32_e32 v0, v3
	v_mov_b32_e32 v1, v4
	;; [unrolled: 1-line block ×3, first 2 shown]
	buffer_store_dword v2, off, s[48:51], 0 ; 4-byte Folded Spill
	s_nop 0
	buffer_store_dword v3, off, s[48:51], 0 offset:4 ; 4-byte Folded Spill
	s_mov_b64 s[14:15], 0
	v_mov_b32_e32 v5, v2
	s_branch .LBB215_9
.LBB215_8:                              ;   in Loop: Header=BB215_9 Depth=1
	s_or_b64 exec, exec, s[16:17]
	buffer_load_dword v0, off, s[48:51], 0 offset:596 ; 4-byte Folded Reload
	s_waitcnt vmcnt(1)
	v_add_u32_e32 v5, 2, v5
	v_cmp_le_i32_e32 vcc, s21, v5
	s_or_b64 s[14:15], vcc, s[14:15]
	s_waitcnt vmcnt(0)
	v_add_u32_e32 v0, 64, v0
	buffer_store_dword v0, off, s[48:51], 0 offset:596 ; 4-byte Folded Spill
	buffer_load_dword v0, off, s[48:51], 0 offset:600 ; 4-byte Folded Reload
	s_waitcnt vmcnt(0)
	v_add_u32_e32 v0, 0x100, v0
	buffer_store_dword v0, off, s[48:51], 0 offset:600 ; 4-byte Folded Spill
	buffer_load_dword v0, off, s[48:51], 0 offset:608 ; 4-byte Folded Reload
	s_waitcnt lgkmcnt(0)
	buffer_load_dword v1, off, s[48:51], 0 offset:612 ; 4-byte Folded Reload
	s_waitcnt vmcnt(1)
	v_add_co_u32_e32 v0, vcc, 8, v0
	s_waitcnt vmcnt(0)
	v_addc_co_u32_e32 v1, vcc, 0, v1, vcc
	s_andn2_b64 exec, exec, s[14:15]
	s_cbranch_execz .LBB215_587
.LBB215_9:                              ; =>This Inner Loop Header: Depth=1
	buffer_store_dword v5, off, s[48:51], 0 offset:616 ; 4-byte Folded Spill
	buffer_store_dword v0, off, s[48:51], 0 offset:608 ; 4-byte Folded Spill
	s_nop 0
	buffer_store_dword v1, off, s[48:51], 0 offset:612 ; 4-byte Folded Spill
	v_mov_b32_e32 v7, 0
	v_mov_b32_e32 v41, 0
	;; [unrolled: 1-line block ×4, first 2 shown]
	global_load_dword v0, v[0:1], off
	s_nop 0
	buffer_load_dword v1, off, s[48:51], 0 offset:712 ; 4-byte Folded Reload
	buffer_load_dword v2, off, s[48:51], 0 offset:716 ; 4-byte Folded Reload
	s_waitcnt vmcnt(0)
	v_mad_i64_i32 v[1:2], s[16:17], v0, s38, v[1:2]
	buffer_load_dword v0, off, s[48:51], 0 offset:8 ; 4-byte Folded Reload
	s_waitcnt vmcnt(0)
	v_add_co_u32_e32 v5, vcc, v1, v0
	v_addc_co_u32_e32 v6, vcc, 0, v2, vcc
	global_load_ushort v0, v[5:6], off
	s_nop 0
	buffer_store_dword v7, off, s[48:51], 0 offset:28 ; 4-byte Folded Spill
	s_nop 0
	buffer_store_dword v8, off, s[48:51], 0 offset:32 ; 4-byte Folded Spill
	s_waitcnt vmcnt(2)
	v_and_b32_e32 v3, 0xffff, v0
	v_cmp_ne_u16_sdwa s[34:35], v0, v61 src0_sel:BYTE_0 src1_sel:DWORD
	s_and_saveexec_b64 s[16:17], s[34:35]
	s_cbranch_execz .LBB215_15
; %bb.10:                               ;   in Loop: Header=BB215_9 Depth=1
	v_bfrev_b32_e32 v41, 1
	v_mov_b32_e32 v42, 0
	v_cmp_ne_u16_sdwa s[36:37], v3, s42 src0_sel:BYTE_0 src1_sel:DWORD
	s_and_saveexec_b64 s[34:35], s[36:37]
	s_cbranch_execz .LBB215_14
; %bb.11:                               ;   in Loop: Header=BB215_9 Depth=1
	v_and_b32_e32 v0, 0x7f, v3
	v_mov_b32_e32 v41, 0x7f800001
	v_mov_b32_e32 v42, 0
	v_cmp_ne_u32_e32 vcc, s43, v0
	s_and_saveexec_b64 s[36:37], vcc
	s_cbranch_execz .LBB215_13
; %bb.12:                               ;   in Loop: Header=BB215_9 Depth=1
	v_and_b32_e32 v4, 7, v3
	v_lshrrev_b32_e32 v9, 3, v0
	v_cmp_gt_u32_e32 vcc, 8, v0
	v_ffbh_u32_e32 v0, v4
	v_min_u32_e32 v0, 32, v0
	v_subrev_u32_e32 v7, 28, v0
	v_lshlrev_b64 v[7:8], v7, v[3:4]
	v_sub_u32_e32 v0, 29, v0
	v_and_b32_e32 v7, 7, v7
	v_cndmask_b32_e32 v0, v9, v0, vcc
	v_cndmask_b32_e32 v4, v4, v7, vcc
	v_bfrev_b32_e32 v8, 60
	v_lshlrev_b32_e32 v4, 20, v4
	v_and_b32_sdwa v7, sext(v3), s44 dst_sel:DWORD dst_unused:UNUSED_PAD src0_sel:BYTE_0 src1_sel:DWORD
	v_lshl_add_u32 v0, v0, 23, v8
	v_or3_b32 v41, v7, v0, v4
	v_mov_b32_e32 v42, v61
.LBB215_13:                             ;   in Loop: Header=BB215_9 Depth=1
	s_or_b64 exec, exec, s[36:37]
.LBB215_14:                             ;   in Loop: Header=BB215_9 Depth=1
	s_or_b64 exec, exec, s[34:35]
.LBB215_15:                             ;   in Loop: Header=BB215_9 Depth=1
	s_or_b64 exec, exec, s[16:17]
	v_cmp_ne_u16_sdwa s[34:35], v3, v61 src0_sel:BYTE_1 src1_sel:DWORD
	s_and_saveexec_b64 s[16:17], s[34:35]
	s_cbranch_execz .LBB215_21
; %bb.16:                               ;   in Loop: Header=BB215_9 Depth=1
	v_cmp_ne_u16_sdwa s[36:37], v3, s42 src0_sel:BYTE_1 src1_sel:DWORD
	buffer_store_dword v61, off, s[48:51], 0 offset:28 ; 4-byte Folded Spill
	s_nop 0
	buffer_store_dword v62, off, s[48:51], 0 offset:32 ; 4-byte Folded Spill
	s_and_saveexec_b64 s[34:35], s[36:37]
	s_cbranch_execz .LBB215_20
; %bb.17:                               ;   in Loop: Header=BB215_9 Depth=1
	buffer_load_dword v7, off, s[48:51], 0  ; 4-byte Folded Reload
	buffer_load_dword v8, off, s[48:51], 0 offset:4 ; 4-byte Folded Reload
	v_and_b32_sdwa v0, v3, s43 dst_sel:DWORD dst_unused:UNUSED_PAD src0_sel:BYTE_1 src1_sel:DWORD
	v_cmp_ne_u32_e32 vcc, s43, v0
	s_waitcnt vmcnt(1)
	v_mov_b32_e32 v7, v61
	s_waitcnt vmcnt(0)
	v_mov_b32_e32 v4, v8
	buffer_store_dword v3, off, s[48:51], 0 ; 4-byte Folded Spill
	s_nop 0
	buffer_store_dword v4, off, s[48:51], 0 offset:4 ; 4-byte Folded Spill
	buffer_store_dword v7, off, s[48:51], 0 offset:28 ; 4-byte Folded Spill
	s_nop 0
	buffer_store_dword v8, off, s[48:51], 0 offset:32 ; 4-byte Folded Spill
	s_and_saveexec_b64 s[36:37], vcc
	s_cbranch_execz .LBB215_19
; %bb.18:                               ;   in Loop: Header=BB215_9 Depth=1
	v_mov_b32_e32 v4, 7
	v_and_b32_sdwa v7, v3, v4 dst_sel:DWORD dst_unused:UNUSED_PAD src0_sel:BYTE_1 src1_sel:DWORD
	v_lshrrev_b32_e32 v4, 3, v0
	v_cmp_gt_u32_e32 vcc, 8, v0
	v_ffbh_u32_e32 v0, v7
	v_min_u32_e32 v0, 32, v0
	v_mov_b32_e32 v8, v61
	v_subrev_u32_e32 v9, 28, v0
	v_lshlrev_b64 v[8:9], v9, v[7:8]
	v_sub_u32_e32 v0, 29, v0
	v_and_b32_e32 v8, 7, v8
	v_cndmask_b32_e32 v0, v4, v0, vcc
	v_cndmask_b32_e32 v4, v7, v8, vcc
	v_bfrev_b32_e32 v7, 60
	v_lshlrev_b32_e32 v3, 16, v3
	v_lshl_add_u32 v0, v0, 23, v7
	v_and_or_b32 v0, v3, s44, v0
	v_lshlrev_b32_e32 v3, 20, v4
	v_or_b32_e32 v4, v0, v3
	v_mov_b32_e32 v3, v61
	buffer_store_dword v3, off, s[48:51], 0 offset:28 ; 4-byte Folded Spill
	s_nop 0
	buffer_store_dword v4, off, s[48:51], 0 offset:32 ; 4-byte Folded Spill
.LBB215_19:                             ;   in Loop: Header=BB215_9 Depth=1
	s_or_b64 exec, exec, s[36:37]
.LBB215_20:                             ;   in Loop: Header=BB215_9 Depth=1
	s_or_b64 exec, exec, s[34:35]
.LBB215_21:                             ;   in Loop: Header=BB215_9 Depth=1
	s_or_b64 exec, exec, s[16:17]
	global_load_ushort v0, v[5:6], off offset:4
	v_mov_b32_e32 v7, 0
	v_mov_b32_e32 v8, 0
	buffer_store_dword v7, off, s[48:51], 0 offset:44 ; 4-byte Folded Spill
	s_nop 0
	buffer_store_dword v8, off, s[48:51], 0 offset:48 ; 4-byte Folded Spill
	v_mov_b32_e32 v7, 0
	v_mov_b32_e32 v8, 0
	buffer_store_dword v7, off, s[48:51], 0 offset:36 ; 4-byte Folded Spill
	s_nop 0
	buffer_store_dword v8, off, s[48:51], 0 offset:40 ; 4-byte Folded Spill
	s_waitcnt vmcnt(4)
	v_and_b32_e32 v3, 0xffff, v0
	v_cmp_ne_u16_sdwa s[34:35], v0, v61 src0_sel:BYTE_0 src1_sel:DWORD
	s_and_saveexec_b64 s[16:17], s[34:35]
	s_cbranch_execz .LBB215_27
; %bb.22:                               ;   in Loop: Header=BB215_9 Depth=1
	v_bfrev_b32_e32 v7, 1
	v_mov_b32_e32 v8, 0
	v_cmp_ne_u16_sdwa s[36:37], v3, s42 src0_sel:BYTE_0 src1_sel:DWORD
	buffer_store_dword v7, off, s[48:51], 0 offset:36 ; 4-byte Folded Spill
	s_nop 0
	buffer_store_dword v8, off, s[48:51], 0 offset:40 ; 4-byte Folded Spill
	s_and_saveexec_b64 s[34:35], s[36:37]
	s_cbranch_execz .LBB215_26
; %bb.23:                               ;   in Loop: Header=BB215_9 Depth=1
	v_and_b32_e32 v0, 0x7f, v3
	v_mov_b32_e32 v7, 0x7f800001
	v_mov_b32_e32 v8, 0
	v_cmp_ne_u32_e32 vcc, s43, v0
	buffer_store_dword v7, off, s[48:51], 0 offset:36 ; 4-byte Folded Spill
	s_nop 0
	buffer_store_dword v8, off, s[48:51], 0 offset:40 ; 4-byte Folded Spill
	s_and_saveexec_b64 s[36:37], vcc
	s_cbranch_execz .LBB215_25
; %bb.24:                               ;   in Loop: Header=BB215_9 Depth=1
	v_and_b32_e32 v4, 7, v3
	v_lshrrev_b32_e32 v9, 3, v0
	v_cmp_gt_u32_e32 vcc, 8, v0
	v_ffbh_u32_e32 v0, v4
	v_min_u32_e32 v0, 32, v0
	v_subrev_u32_e32 v7, 28, v0
	v_lshlrev_b64 v[7:8], v7, v[3:4]
	v_sub_u32_e32 v0, 29, v0
	v_and_b32_e32 v7, 7, v7
	v_cndmask_b32_e32 v0, v9, v0, vcc
	v_cndmask_b32_e32 v4, v4, v7, vcc
	v_bfrev_b32_e32 v8, 60
	v_lshlrev_b32_e32 v4, 20, v4
	v_and_b32_sdwa v7, sext(v3), s44 dst_sel:DWORD dst_unused:UNUSED_PAD src0_sel:BYTE_0 src1_sel:DWORD
	v_lshl_add_u32 v0, v0, 23, v8
	v_or3_b32 v7, v7, v0, v4
	v_mov_b32_e32 v8, v61
	buffer_store_dword v7, off, s[48:51], 0 offset:36 ; 4-byte Folded Spill
	s_nop 0
	buffer_store_dword v8, off, s[48:51], 0 offset:40 ; 4-byte Folded Spill
.LBB215_25:                             ;   in Loop: Header=BB215_9 Depth=1
	s_or_b64 exec, exec, s[36:37]
.LBB215_26:                             ;   in Loop: Header=BB215_9 Depth=1
	s_or_b64 exec, exec, s[34:35]
.LBB215_27:                             ;   in Loop: Header=BB215_9 Depth=1
	s_or_b64 exec, exec, s[16:17]
	v_cmp_ne_u16_sdwa s[34:35], v3, v61 src0_sel:BYTE_1 src1_sel:DWORD
	s_and_saveexec_b64 s[16:17], s[34:35]
	s_cbranch_execz .LBB215_33
; %bb.28:                               ;   in Loop: Header=BB215_9 Depth=1
	v_cmp_ne_u16_sdwa s[36:37], v3, s42 src0_sel:BYTE_1 src1_sel:DWORD
	buffer_store_dword v61, off, s[48:51], 0 offset:44 ; 4-byte Folded Spill
	s_nop 0
	buffer_store_dword v62, off, s[48:51], 0 offset:48 ; 4-byte Folded Spill
	s_and_saveexec_b64 s[34:35], s[36:37]
	s_cbranch_execz .LBB215_32
; %bb.29:                               ;   in Loop: Header=BB215_9 Depth=1
	buffer_load_dword v7, off, s[48:51], 0  ; 4-byte Folded Reload
	buffer_load_dword v8, off, s[48:51], 0 offset:4 ; 4-byte Folded Reload
	v_and_b32_sdwa v0, v3, s43 dst_sel:DWORD dst_unused:UNUSED_PAD src0_sel:BYTE_1 src1_sel:DWORD
	v_cmp_ne_u32_e32 vcc, s43, v0
	s_waitcnt vmcnt(1)
	v_mov_b32_e32 v7, v61
	s_waitcnt vmcnt(0)
	v_mov_b32_e32 v4, v8
	buffer_store_dword v3, off, s[48:51], 0 ; 4-byte Folded Spill
	s_nop 0
	buffer_store_dword v4, off, s[48:51], 0 offset:4 ; 4-byte Folded Spill
	buffer_store_dword v7, off, s[48:51], 0 offset:44 ; 4-byte Folded Spill
	s_nop 0
	buffer_store_dword v8, off, s[48:51], 0 offset:48 ; 4-byte Folded Spill
	s_and_saveexec_b64 s[36:37], vcc
	s_cbranch_execz .LBB215_31
; %bb.30:                               ;   in Loop: Header=BB215_9 Depth=1
	v_mov_b32_e32 v4, 7
	v_and_b32_sdwa v7, v3, v4 dst_sel:DWORD dst_unused:UNUSED_PAD src0_sel:BYTE_1 src1_sel:DWORD
	v_lshrrev_b32_e32 v4, 3, v0
	v_cmp_gt_u32_e32 vcc, 8, v0
	v_ffbh_u32_e32 v0, v7
	v_min_u32_e32 v0, 32, v0
	v_mov_b32_e32 v8, v61
	v_subrev_u32_e32 v9, 28, v0
	v_lshlrev_b64 v[8:9], v9, v[7:8]
	v_sub_u32_e32 v0, 29, v0
	v_and_b32_e32 v8, 7, v8
	v_cndmask_b32_e32 v0, v4, v0, vcc
	v_cndmask_b32_e32 v4, v7, v8, vcc
	v_bfrev_b32_e32 v7, 60
	v_lshlrev_b32_e32 v3, 16, v3
	v_lshl_add_u32 v0, v0, 23, v7
	v_and_or_b32 v0, v3, s44, v0
	v_lshlrev_b32_e32 v3, 20, v4
	v_or_b32_e32 v4, v0, v3
	v_mov_b32_e32 v3, v61
	buffer_store_dword v3, off, s[48:51], 0 offset:44 ; 4-byte Folded Spill
	s_nop 0
	buffer_store_dword v4, off, s[48:51], 0 offset:48 ; 4-byte Folded Spill
.LBB215_31:                             ;   in Loop: Header=BB215_9 Depth=1
	s_or_b64 exec, exec, s[36:37]
.LBB215_32:                             ;   in Loop: Header=BB215_9 Depth=1
	s_or_b64 exec, exec, s[34:35]
.LBB215_33:                             ;   in Loop: Header=BB215_9 Depth=1
	s_or_b64 exec, exec, s[16:17]
	global_load_ushort v0, v[5:6], off offset:8
	v_mov_b32_e32 v7, 0
	v_mov_b32_e32 v8, 0
	buffer_store_dword v7, off, s[48:51], 0 offset:60 ; 4-byte Folded Spill
	s_nop 0
	buffer_store_dword v8, off, s[48:51], 0 offset:64 ; 4-byte Folded Spill
	v_mov_b32_e32 v7, 0
	v_mov_b32_e32 v8, 0
	buffer_store_dword v7, off, s[48:51], 0 offset:52 ; 4-byte Folded Spill
	s_nop 0
	buffer_store_dword v8, off, s[48:51], 0 offset:56 ; 4-byte Folded Spill
	s_waitcnt vmcnt(4)
	v_and_b32_e32 v3, 0xffff, v0
	v_cmp_ne_u16_sdwa s[34:35], v0, v61 src0_sel:BYTE_0 src1_sel:DWORD
	s_and_saveexec_b64 s[16:17], s[34:35]
	s_cbranch_execz .LBB215_39
; %bb.34:                               ;   in Loop: Header=BB215_9 Depth=1
	v_bfrev_b32_e32 v7, 1
	v_mov_b32_e32 v8, 0
	v_cmp_ne_u16_sdwa s[36:37], v3, s42 src0_sel:BYTE_0 src1_sel:DWORD
	buffer_store_dword v7, off, s[48:51], 0 offset:52 ; 4-byte Folded Spill
	s_nop 0
	buffer_store_dword v8, off, s[48:51], 0 offset:56 ; 4-byte Folded Spill
	s_and_saveexec_b64 s[34:35], s[36:37]
	s_cbranch_execz .LBB215_38
; %bb.35:                               ;   in Loop: Header=BB215_9 Depth=1
	v_and_b32_e32 v0, 0x7f, v3
	v_mov_b32_e32 v7, 0x7f800001
	v_mov_b32_e32 v8, 0
	v_cmp_ne_u32_e32 vcc, s43, v0
	buffer_store_dword v7, off, s[48:51], 0 offset:52 ; 4-byte Folded Spill
	s_nop 0
	buffer_store_dword v8, off, s[48:51], 0 offset:56 ; 4-byte Folded Spill
	s_and_saveexec_b64 s[36:37], vcc
	s_cbranch_execz .LBB215_37
; %bb.36:                               ;   in Loop: Header=BB215_9 Depth=1
	v_and_b32_e32 v4, 7, v3
	v_lshrrev_b32_e32 v9, 3, v0
	v_cmp_gt_u32_e32 vcc, 8, v0
	v_ffbh_u32_e32 v0, v4
	v_min_u32_e32 v0, 32, v0
	v_subrev_u32_e32 v7, 28, v0
	v_lshlrev_b64 v[7:8], v7, v[3:4]
	v_sub_u32_e32 v0, 29, v0
	v_and_b32_e32 v7, 7, v7
	v_cndmask_b32_e32 v0, v9, v0, vcc
	v_cndmask_b32_e32 v4, v4, v7, vcc
	v_bfrev_b32_e32 v8, 60
	v_lshlrev_b32_e32 v4, 20, v4
	v_and_b32_sdwa v7, sext(v3), s44 dst_sel:DWORD dst_unused:UNUSED_PAD src0_sel:BYTE_0 src1_sel:DWORD
	v_lshl_add_u32 v0, v0, 23, v8
	v_or3_b32 v7, v7, v0, v4
	v_mov_b32_e32 v8, v61
	buffer_store_dword v7, off, s[48:51], 0 offset:52 ; 4-byte Folded Spill
	s_nop 0
	buffer_store_dword v8, off, s[48:51], 0 offset:56 ; 4-byte Folded Spill
.LBB215_37:                             ;   in Loop: Header=BB215_9 Depth=1
	s_or_b64 exec, exec, s[36:37]
.LBB215_38:                             ;   in Loop: Header=BB215_9 Depth=1
	s_or_b64 exec, exec, s[34:35]
.LBB215_39:                             ;   in Loop: Header=BB215_9 Depth=1
	s_or_b64 exec, exec, s[16:17]
	v_cmp_ne_u16_sdwa s[34:35], v3, v61 src0_sel:BYTE_1 src1_sel:DWORD
	s_and_saveexec_b64 s[16:17], s[34:35]
	s_cbranch_execz .LBB215_45
; %bb.40:                               ;   in Loop: Header=BB215_9 Depth=1
	v_cmp_ne_u16_sdwa s[36:37], v3, s42 src0_sel:BYTE_1 src1_sel:DWORD
	buffer_store_dword v61, off, s[48:51], 0 offset:60 ; 4-byte Folded Spill
	s_nop 0
	buffer_store_dword v62, off, s[48:51], 0 offset:64 ; 4-byte Folded Spill
	s_and_saveexec_b64 s[34:35], s[36:37]
	s_cbranch_execz .LBB215_44
; %bb.41:                               ;   in Loop: Header=BB215_9 Depth=1
	buffer_load_dword v7, off, s[48:51], 0  ; 4-byte Folded Reload
	buffer_load_dword v8, off, s[48:51], 0 offset:4 ; 4-byte Folded Reload
	v_and_b32_sdwa v0, v3, s43 dst_sel:DWORD dst_unused:UNUSED_PAD src0_sel:BYTE_1 src1_sel:DWORD
	v_cmp_ne_u32_e32 vcc, s43, v0
	s_waitcnt vmcnt(1)
	v_mov_b32_e32 v7, v61
	s_waitcnt vmcnt(0)
	v_mov_b32_e32 v4, v8
	buffer_store_dword v3, off, s[48:51], 0 ; 4-byte Folded Spill
	s_nop 0
	buffer_store_dword v4, off, s[48:51], 0 offset:4 ; 4-byte Folded Spill
	buffer_store_dword v7, off, s[48:51], 0 offset:60 ; 4-byte Folded Spill
	s_nop 0
	buffer_store_dword v8, off, s[48:51], 0 offset:64 ; 4-byte Folded Spill
	s_and_saveexec_b64 s[36:37], vcc
	s_cbranch_execz .LBB215_43
; %bb.42:                               ;   in Loop: Header=BB215_9 Depth=1
	v_mov_b32_e32 v4, 7
	v_and_b32_sdwa v7, v3, v4 dst_sel:DWORD dst_unused:UNUSED_PAD src0_sel:BYTE_1 src1_sel:DWORD
	v_lshrrev_b32_e32 v4, 3, v0
	v_cmp_gt_u32_e32 vcc, 8, v0
	v_ffbh_u32_e32 v0, v7
	v_min_u32_e32 v0, 32, v0
	v_mov_b32_e32 v8, v61
	v_subrev_u32_e32 v9, 28, v0
	v_lshlrev_b64 v[8:9], v9, v[7:8]
	v_sub_u32_e32 v0, 29, v0
	v_and_b32_e32 v8, 7, v8
	v_cndmask_b32_e32 v0, v4, v0, vcc
	v_cndmask_b32_e32 v4, v7, v8, vcc
	v_bfrev_b32_e32 v7, 60
	v_lshlrev_b32_e32 v3, 16, v3
	v_lshl_add_u32 v0, v0, 23, v7
	v_and_or_b32 v0, v3, s44, v0
	v_lshlrev_b32_e32 v3, 20, v4
	v_or_b32_e32 v4, v0, v3
	v_mov_b32_e32 v3, v61
	buffer_store_dword v3, off, s[48:51], 0 offset:60 ; 4-byte Folded Spill
	s_nop 0
	buffer_store_dword v4, off, s[48:51], 0 offset:64 ; 4-byte Folded Spill
.LBB215_43:                             ;   in Loop: Header=BB215_9 Depth=1
	s_or_b64 exec, exec, s[36:37]
.LBB215_44:                             ;   in Loop: Header=BB215_9 Depth=1
	s_or_b64 exec, exec, s[34:35]
.LBB215_45:                             ;   in Loop: Header=BB215_9 Depth=1
	s_or_b64 exec, exec, s[16:17]
	global_load_ushort v0, v[5:6], off offset:12
	v_mov_b32_e32 v7, 0
	v_mov_b32_e32 v8, 0
	buffer_store_dword v7, off, s[48:51], 0 offset:76 ; 4-byte Folded Spill
	s_nop 0
	buffer_store_dword v8, off, s[48:51], 0 offset:80 ; 4-byte Folded Spill
	v_mov_b32_e32 v7, 0
	v_mov_b32_e32 v8, 0
	buffer_store_dword v7, off, s[48:51], 0 offset:68 ; 4-byte Folded Spill
	s_nop 0
	buffer_store_dword v8, off, s[48:51], 0 offset:72 ; 4-byte Folded Spill
	s_waitcnt vmcnt(4)
	v_and_b32_e32 v3, 0xffff, v0
	v_cmp_ne_u16_sdwa s[34:35], v0, v61 src0_sel:BYTE_0 src1_sel:DWORD
	s_and_saveexec_b64 s[16:17], s[34:35]
	s_cbranch_execz .LBB215_51
; %bb.46:                               ;   in Loop: Header=BB215_9 Depth=1
	v_bfrev_b32_e32 v7, 1
	v_mov_b32_e32 v8, 0
	v_cmp_ne_u16_sdwa s[36:37], v3, s42 src0_sel:BYTE_0 src1_sel:DWORD
	buffer_store_dword v7, off, s[48:51], 0 offset:68 ; 4-byte Folded Spill
	s_nop 0
	buffer_store_dword v8, off, s[48:51], 0 offset:72 ; 4-byte Folded Spill
	s_and_saveexec_b64 s[34:35], s[36:37]
	s_cbranch_execz .LBB215_50
; %bb.47:                               ;   in Loop: Header=BB215_9 Depth=1
	v_and_b32_e32 v0, 0x7f, v3
	v_mov_b32_e32 v7, 0x7f800001
	v_mov_b32_e32 v8, 0
	v_cmp_ne_u32_e32 vcc, s43, v0
	buffer_store_dword v7, off, s[48:51], 0 offset:68 ; 4-byte Folded Spill
	s_nop 0
	buffer_store_dword v8, off, s[48:51], 0 offset:72 ; 4-byte Folded Spill
	s_and_saveexec_b64 s[36:37], vcc
	s_cbranch_execz .LBB215_49
; %bb.48:                               ;   in Loop: Header=BB215_9 Depth=1
	v_and_b32_e32 v4, 7, v3
	v_lshrrev_b32_e32 v9, 3, v0
	v_cmp_gt_u32_e32 vcc, 8, v0
	v_ffbh_u32_e32 v0, v4
	v_min_u32_e32 v0, 32, v0
	v_subrev_u32_e32 v7, 28, v0
	v_lshlrev_b64 v[7:8], v7, v[3:4]
	v_sub_u32_e32 v0, 29, v0
	v_and_b32_e32 v7, 7, v7
	v_cndmask_b32_e32 v0, v9, v0, vcc
	v_cndmask_b32_e32 v4, v4, v7, vcc
	v_bfrev_b32_e32 v8, 60
	v_lshlrev_b32_e32 v4, 20, v4
	v_and_b32_sdwa v7, sext(v3), s44 dst_sel:DWORD dst_unused:UNUSED_PAD src0_sel:BYTE_0 src1_sel:DWORD
	v_lshl_add_u32 v0, v0, 23, v8
	v_or3_b32 v7, v7, v0, v4
	v_mov_b32_e32 v8, v61
	buffer_store_dword v7, off, s[48:51], 0 offset:68 ; 4-byte Folded Spill
	s_nop 0
	buffer_store_dword v8, off, s[48:51], 0 offset:72 ; 4-byte Folded Spill
.LBB215_49:                             ;   in Loop: Header=BB215_9 Depth=1
	s_or_b64 exec, exec, s[36:37]
.LBB215_50:                             ;   in Loop: Header=BB215_9 Depth=1
	s_or_b64 exec, exec, s[34:35]
.LBB215_51:                             ;   in Loop: Header=BB215_9 Depth=1
	s_or_b64 exec, exec, s[16:17]
	v_cmp_ne_u16_sdwa s[34:35], v3, v61 src0_sel:BYTE_1 src1_sel:DWORD
	s_and_saveexec_b64 s[16:17], s[34:35]
	s_cbranch_execz .LBB215_57
; %bb.52:                               ;   in Loop: Header=BB215_9 Depth=1
	v_cmp_ne_u16_sdwa s[36:37], v3, s42 src0_sel:BYTE_1 src1_sel:DWORD
	buffer_store_dword v61, off, s[48:51], 0 offset:76 ; 4-byte Folded Spill
	s_nop 0
	buffer_store_dword v62, off, s[48:51], 0 offset:80 ; 4-byte Folded Spill
	s_and_saveexec_b64 s[34:35], s[36:37]
	s_cbranch_execz .LBB215_56
; %bb.53:                               ;   in Loop: Header=BB215_9 Depth=1
	buffer_load_dword v7, off, s[48:51], 0  ; 4-byte Folded Reload
	buffer_load_dword v8, off, s[48:51], 0 offset:4 ; 4-byte Folded Reload
	v_and_b32_sdwa v0, v3, s43 dst_sel:DWORD dst_unused:UNUSED_PAD src0_sel:BYTE_1 src1_sel:DWORD
	v_cmp_ne_u32_e32 vcc, s43, v0
	s_waitcnt vmcnt(1)
	v_mov_b32_e32 v7, v61
	s_waitcnt vmcnt(0)
	v_mov_b32_e32 v4, v8
	buffer_store_dword v3, off, s[48:51], 0 ; 4-byte Folded Spill
	s_nop 0
	buffer_store_dword v4, off, s[48:51], 0 offset:4 ; 4-byte Folded Spill
	buffer_store_dword v7, off, s[48:51], 0 offset:76 ; 4-byte Folded Spill
	s_nop 0
	buffer_store_dword v8, off, s[48:51], 0 offset:80 ; 4-byte Folded Spill
	s_and_saveexec_b64 s[36:37], vcc
	s_cbranch_execz .LBB215_55
; %bb.54:                               ;   in Loop: Header=BB215_9 Depth=1
	v_mov_b32_e32 v4, 7
	v_and_b32_sdwa v7, v3, v4 dst_sel:DWORD dst_unused:UNUSED_PAD src0_sel:BYTE_1 src1_sel:DWORD
	v_lshrrev_b32_e32 v4, 3, v0
	v_cmp_gt_u32_e32 vcc, 8, v0
	v_ffbh_u32_e32 v0, v7
	v_min_u32_e32 v0, 32, v0
	v_mov_b32_e32 v8, v61
	v_subrev_u32_e32 v9, 28, v0
	v_lshlrev_b64 v[8:9], v9, v[7:8]
	v_sub_u32_e32 v0, 29, v0
	v_and_b32_e32 v8, 7, v8
	v_cndmask_b32_e32 v0, v4, v0, vcc
	v_cndmask_b32_e32 v4, v7, v8, vcc
	v_bfrev_b32_e32 v7, 60
	v_lshlrev_b32_e32 v3, 16, v3
	v_lshl_add_u32 v0, v0, 23, v7
	v_and_or_b32 v0, v3, s44, v0
	v_lshlrev_b32_e32 v3, 20, v4
	v_or_b32_e32 v4, v0, v3
	v_mov_b32_e32 v3, v61
	buffer_store_dword v3, off, s[48:51], 0 offset:76 ; 4-byte Folded Spill
	s_nop 0
	buffer_store_dword v4, off, s[48:51], 0 offset:80 ; 4-byte Folded Spill
.LBB215_55:                             ;   in Loop: Header=BB215_9 Depth=1
	s_or_b64 exec, exec, s[36:37]
.LBB215_56:                             ;   in Loop: Header=BB215_9 Depth=1
	s_or_b64 exec, exec, s[34:35]
.LBB215_57:                             ;   in Loop: Header=BB215_9 Depth=1
	s_or_b64 exec, exec, s[16:17]
	global_load_ushort v0, v[5:6], off offset:512
	v_mov_b32_e32 v7, 0
	v_mov_b32_e32 v8, 0
	buffer_store_dword v7, off, s[48:51], 0 offset:92 ; 4-byte Folded Spill
	s_nop 0
	buffer_store_dword v8, off, s[48:51], 0 offset:96 ; 4-byte Folded Spill
	v_mov_b32_e32 v7, 0
	v_mov_b32_e32 v8, 0
	buffer_store_dword v7, off, s[48:51], 0 offset:84 ; 4-byte Folded Spill
	s_nop 0
	buffer_store_dword v8, off, s[48:51], 0 offset:88 ; 4-byte Folded Spill
	s_waitcnt vmcnt(4)
	v_and_b32_e32 v3, 0xffff, v0
	v_cmp_ne_u16_sdwa s[34:35], v0, v61 src0_sel:BYTE_0 src1_sel:DWORD
	s_and_saveexec_b64 s[16:17], s[34:35]
	s_cbranch_execz .LBB215_63
; %bb.58:                               ;   in Loop: Header=BB215_9 Depth=1
	v_bfrev_b32_e32 v7, 1
	v_mov_b32_e32 v8, 0
	v_cmp_ne_u16_sdwa s[36:37], v3, s42 src0_sel:BYTE_0 src1_sel:DWORD
	buffer_store_dword v7, off, s[48:51], 0 offset:84 ; 4-byte Folded Spill
	s_nop 0
	buffer_store_dword v8, off, s[48:51], 0 offset:88 ; 4-byte Folded Spill
	s_and_saveexec_b64 s[34:35], s[36:37]
	s_cbranch_execz .LBB215_62
; %bb.59:                               ;   in Loop: Header=BB215_9 Depth=1
	v_and_b32_e32 v0, 0x7f, v3
	v_mov_b32_e32 v7, 0x7f800001
	v_mov_b32_e32 v8, 0
	v_cmp_ne_u32_e32 vcc, s43, v0
	buffer_store_dword v7, off, s[48:51], 0 offset:84 ; 4-byte Folded Spill
	s_nop 0
	buffer_store_dword v8, off, s[48:51], 0 offset:88 ; 4-byte Folded Spill
	s_and_saveexec_b64 s[36:37], vcc
	s_cbranch_execz .LBB215_61
; %bb.60:                               ;   in Loop: Header=BB215_9 Depth=1
	v_and_b32_e32 v4, 7, v3
	v_lshrrev_b32_e32 v9, 3, v0
	v_cmp_gt_u32_e32 vcc, 8, v0
	v_ffbh_u32_e32 v0, v4
	v_min_u32_e32 v0, 32, v0
	v_subrev_u32_e32 v7, 28, v0
	v_lshlrev_b64 v[7:8], v7, v[3:4]
	v_sub_u32_e32 v0, 29, v0
	v_and_b32_e32 v7, 7, v7
	v_cndmask_b32_e32 v0, v9, v0, vcc
	v_cndmask_b32_e32 v4, v4, v7, vcc
	v_bfrev_b32_e32 v8, 60
	v_lshlrev_b32_e32 v4, 20, v4
	v_and_b32_sdwa v7, sext(v3), s44 dst_sel:DWORD dst_unused:UNUSED_PAD src0_sel:BYTE_0 src1_sel:DWORD
	v_lshl_add_u32 v0, v0, 23, v8
	v_or3_b32 v7, v7, v0, v4
	v_mov_b32_e32 v8, v61
	buffer_store_dword v7, off, s[48:51], 0 offset:84 ; 4-byte Folded Spill
	s_nop 0
	buffer_store_dword v8, off, s[48:51], 0 offset:88 ; 4-byte Folded Spill
.LBB215_61:                             ;   in Loop: Header=BB215_9 Depth=1
	s_or_b64 exec, exec, s[36:37]
.LBB215_62:                             ;   in Loop: Header=BB215_9 Depth=1
	s_or_b64 exec, exec, s[34:35]
.LBB215_63:                             ;   in Loop: Header=BB215_9 Depth=1
	s_or_b64 exec, exec, s[16:17]
	v_cmp_ne_u16_sdwa s[34:35], v3, v61 src0_sel:BYTE_1 src1_sel:DWORD
	s_and_saveexec_b64 s[16:17], s[34:35]
	s_cbranch_execz .LBB215_69
; %bb.64:                               ;   in Loop: Header=BB215_9 Depth=1
	v_cmp_ne_u16_sdwa s[36:37], v3, s42 src0_sel:BYTE_1 src1_sel:DWORD
	buffer_store_dword v61, off, s[48:51], 0 offset:92 ; 4-byte Folded Spill
	s_nop 0
	buffer_store_dword v62, off, s[48:51], 0 offset:96 ; 4-byte Folded Spill
	s_and_saveexec_b64 s[34:35], s[36:37]
	s_cbranch_execz .LBB215_68
; %bb.65:                               ;   in Loop: Header=BB215_9 Depth=1
	buffer_load_dword v7, off, s[48:51], 0  ; 4-byte Folded Reload
	buffer_load_dword v8, off, s[48:51], 0 offset:4 ; 4-byte Folded Reload
	v_and_b32_sdwa v0, v3, s43 dst_sel:DWORD dst_unused:UNUSED_PAD src0_sel:BYTE_1 src1_sel:DWORD
	v_cmp_ne_u32_e32 vcc, s43, v0
	s_waitcnt vmcnt(1)
	v_mov_b32_e32 v7, v61
	s_waitcnt vmcnt(0)
	v_mov_b32_e32 v4, v8
	buffer_store_dword v3, off, s[48:51], 0 ; 4-byte Folded Spill
	s_nop 0
	buffer_store_dword v4, off, s[48:51], 0 offset:4 ; 4-byte Folded Spill
	buffer_store_dword v7, off, s[48:51], 0 offset:92 ; 4-byte Folded Spill
	s_nop 0
	buffer_store_dword v8, off, s[48:51], 0 offset:96 ; 4-byte Folded Spill
	s_and_saveexec_b64 s[36:37], vcc
	s_cbranch_execz .LBB215_67
; %bb.66:                               ;   in Loop: Header=BB215_9 Depth=1
	v_mov_b32_e32 v4, 7
	v_and_b32_sdwa v7, v3, v4 dst_sel:DWORD dst_unused:UNUSED_PAD src0_sel:BYTE_1 src1_sel:DWORD
	v_lshrrev_b32_e32 v4, 3, v0
	v_cmp_gt_u32_e32 vcc, 8, v0
	v_ffbh_u32_e32 v0, v7
	v_min_u32_e32 v0, 32, v0
	v_mov_b32_e32 v8, v61
	v_subrev_u32_e32 v9, 28, v0
	v_lshlrev_b64 v[8:9], v9, v[7:8]
	v_sub_u32_e32 v0, 29, v0
	v_and_b32_e32 v8, 7, v8
	v_cndmask_b32_e32 v0, v4, v0, vcc
	v_cndmask_b32_e32 v4, v7, v8, vcc
	v_bfrev_b32_e32 v7, 60
	v_lshlrev_b32_e32 v3, 16, v3
	v_lshl_add_u32 v0, v0, 23, v7
	v_and_or_b32 v0, v3, s44, v0
	v_lshlrev_b32_e32 v3, 20, v4
	v_or_b32_e32 v4, v0, v3
	v_mov_b32_e32 v3, v61
	buffer_store_dword v3, off, s[48:51], 0 offset:92 ; 4-byte Folded Spill
	s_nop 0
	buffer_store_dword v4, off, s[48:51], 0 offset:96 ; 4-byte Folded Spill
.LBB215_67:                             ;   in Loop: Header=BB215_9 Depth=1
	s_or_b64 exec, exec, s[36:37]
.LBB215_68:                             ;   in Loop: Header=BB215_9 Depth=1
	s_or_b64 exec, exec, s[34:35]
.LBB215_69:                             ;   in Loop: Header=BB215_9 Depth=1
	s_or_b64 exec, exec, s[16:17]
	global_load_ushort v0, v[5:6], off offset:516
	v_mov_b32_e32 v7, 0
	v_mov_b32_e32 v8, 0
	buffer_store_dword v7, off, s[48:51], 0 offset:108 ; 4-byte Folded Spill
	s_nop 0
	buffer_store_dword v8, off, s[48:51], 0 offset:112 ; 4-byte Folded Spill
	v_mov_b32_e32 v7, 0
	v_mov_b32_e32 v8, 0
	buffer_store_dword v7, off, s[48:51], 0 offset:100 ; 4-byte Folded Spill
	s_nop 0
	buffer_store_dword v8, off, s[48:51], 0 offset:104 ; 4-byte Folded Spill
	s_waitcnt vmcnt(4)
	v_and_b32_e32 v3, 0xffff, v0
	v_cmp_ne_u16_sdwa s[34:35], v0, v61 src0_sel:BYTE_0 src1_sel:DWORD
	s_and_saveexec_b64 s[16:17], s[34:35]
	s_cbranch_execz .LBB215_75
; %bb.70:                               ;   in Loop: Header=BB215_9 Depth=1
	v_bfrev_b32_e32 v7, 1
	v_mov_b32_e32 v8, 0
	v_cmp_ne_u16_sdwa s[36:37], v3, s42 src0_sel:BYTE_0 src1_sel:DWORD
	buffer_store_dword v7, off, s[48:51], 0 offset:100 ; 4-byte Folded Spill
	s_nop 0
	buffer_store_dword v8, off, s[48:51], 0 offset:104 ; 4-byte Folded Spill
	s_and_saveexec_b64 s[34:35], s[36:37]
	s_cbranch_execz .LBB215_74
; %bb.71:                               ;   in Loop: Header=BB215_9 Depth=1
	v_and_b32_e32 v0, 0x7f, v3
	v_mov_b32_e32 v7, 0x7f800001
	v_mov_b32_e32 v8, 0
	v_cmp_ne_u32_e32 vcc, s43, v0
	buffer_store_dword v7, off, s[48:51], 0 offset:100 ; 4-byte Folded Spill
	s_nop 0
	buffer_store_dword v8, off, s[48:51], 0 offset:104 ; 4-byte Folded Spill
	s_and_saveexec_b64 s[36:37], vcc
	s_cbranch_execz .LBB215_73
; %bb.72:                               ;   in Loop: Header=BB215_9 Depth=1
	v_and_b32_e32 v4, 7, v3
	v_lshrrev_b32_e32 v9, 3, v0
	v_cmp_gt_u32_e32 vcc, 8, v0
	v_ffbh_u32_e32 v0, v4
	v_min_u32_e32 v0, 32, v0
	v_subrev_u32_e32 v7, 28, v0
	v_lshlrev_b64 v[7:8], v7, v[3:4]
	v_sub_u32_e32 v0, 29, v0
	v_and_b32_e32 v7, 7, v7
	v_cndmask_b32_e32 v0, v9, v0, vcc
	v_cndmask_b32_e32 v4, v4, v7, vcc
	v_bfrev_b32_e32 v8, 60
	v_lshlrev_b32_e32 v4, 20, v4
	v_and_b32_sdwa v7, sext(v3), s44 dst_sel:DWORD dst_unused:UNUSED_PAD src0_sel:BYTE_0 src1_sel:DWORD
	v_lshl_add_u32 v0, v0, 23, v8
	v_or3_b32 v7, v7, v0, v4
	v_mov_b32_e32 v8, v61
	buffer_store_dword v7, off, s[48:51], 0 offset:100 ; 4-byte Folded Spill
	s_nop 0
	buffer_store_dword v8, off, s[48:51], 0 offset:104 ; 4-byte Folded Spill
.LBB215_73:                             ;   in Loop: Header=BB215_9 Depth=1
	s_or_b64 exec, exec, s[36:37]
.LBB215_74:                             ;   in Loop: Header=BB215_9 Depth=1
	s_or_b64 exec, exec, s[34:35]
.LBB215_75:                             ;   in Loop: Header=BB215_9 Depth=1
	s_or_b64 exec, exec, s[16:17]
	v_cmp_ne_u16_sdwa s[34:35], v3, v61 src0_sel:BYTE_1 src1_sel:DWORD
	s_and_saveexec_b64 s[16:17], s[34:35]
	s_cbranch_execz .LBB215_81
; %bb.76:                               ;   in Loop: Header=BB215_9 Depth=1
	v_cmp_ne_u16_sdwa s[36:37], v3, s42 src0_sel:BYTE_1 src1_sel:DWORD
	buffer_store_dword v61, off, s[48:51], 0 offset:108 ; 4-byte Folded Spill
	s_nop 0
	buffer_store_dword v62, off, s[48:51], 0 offset:112 ; 4-byte Folded Spill
	s_and_saveexec_b64 s[34:35], s[36:37]
	s_cbranch_execz .LBB215_80
; %bb.77:                               ;   in Loop: Header=BB215_9 Depth=1
	buffer_load_dword v7, off, s[48:51], 0  ; 4-byte Folded Reload
	buffer_load_dword v8, off, s[48:51], 0 offset:4 ; 4-byte Folded Reload
	v_and_b32_sdwa v0, v3, s43 dst_sel:DWORD dst_unused:UNUSED_PAD src0_sel:BYTE_1 src1_sel:DWORD
	v_cmp_ne_u32_e32 vcc, s43, v0
	s_waitcnt vmcnt(1)
	v_mov_b32_e32 v7, v61
	s_waitcnt vmcnt(0)
	v_mov_b32_e32 v4, v8
	buffer_store_dword v3, off, s[48:51], 0 ; 4-byte Folded Spill
	s_nop 0
	buffer_store_dword v4, off, s[48:51], 0 offset:4 ; 4-byte Folded Spill
	buffer_store_dword v7, off, s[48:51], 0 offset:108 ; 4-byte Folded Spill
	s_nop 0
	buffer_store_dword v8, off, s[48:51], 0 offset:112 ; 4-byte Folded Spill
	s_and_saveexec_b64 s[36:37], vcc
	s_cbranch_execz .LBB215_79
; %bb.78:                               ;   in Loop: Header=BB215_9 Depth=1
	v_mov_b32_e32 v4, 7
	v_and_b32_sdwa v7, v3, v4 dst_sel:DWORD dst_unused:UNUSED_PAD src0_sel:BYTE_1 src1_sel:DWORD
	v_lshrrev_b32_e32 v4, 3, v0
	v_cmp_gt_u32_e32 vcc, 8, v0
	v_ffbh_u32_e32 v0, v7
	v_min_u32_e32 v0, 32, v0
	v_mov_b32_e32 v8, v61
	v_subrev_u32_e32 v9, 28, v0
	v_lshlrev_b64 v[8:9], v9, v[7:8]
	v_sub_u32_e32 v0, 29, v0
	v_and_b32_e32 v8, 7, v8
	v_cndmask_b32_e32 v0, v4, v0, vcc
	v_cndmask_b32_e32 v4, v7, v8, vcc
	v_bfrev_b32_e32 v7, 60
	v_lshlrev_b32_e32 v3, 16, v3
	v_lshl_add_u32 v0, v0, 23, v7
	v_and_or_b32 v0, v3, s44, v0
	v_lshlrev_b32_e32 v3, 20, v4
	v_or_b32_e32 v4, v0, v3
	v_mov_b32_e32 v3, v61
	buffer_store_dword v3, off, s[48:51], 0 offset:108 ; 4-byte Folded Spill
	s_nop 0
	buffer_store_dword v4, off, s[48:51], 0 offset:112 ; 4-byte Folded Spill
.LBB215_79:                             ;   in Loop: Header=BB215_9 Depth=1
	s_or_b64 exec, exec, s[36:37]
.LBB215_80:                             ;   in Loop: Header=BB215_9 Depth=1
	s_or_b64 exec, exec, s[34:35]
.LBB215_81:                             ;   in Loop: Header=BB215_9 Depth=1
	s_or_b64 exec, exec, s[16:17]
	global_load_ushort v0, v[5:6], off offset:520
	v_mov_b32_e32 v7, 0
	v_mov_b32_e32 v8, 0
	buffer_store_dword v7, off, s[48:51], 0 offset:124 ; 4-byte Folded Spill
	s_nop 0
	buffer_store_dword v8, off, s[48:51], 0 offset:128 ; 4-byte Folded Spill
	v_mov_b32_e32 v7, 0
	v_mov_b32_e32 v8, 0
	buffer_store_dword v7, off, s[48:51], 0 offset:116 ; 4-byte Folded Spill
	s_nop 0
	buffer_store_dword v8, off, s[48:51], 0 offset:120 ; 4-byte Folded Spill
	s_waitcnt vmcnt(4)
	v_and_b32_e32 v3, 0xffff, v0
	v_cmp_ne_u16_sdwa s[34:35], v0, v61 src0_sel:BYTE_0 src1_sel:DWORD
	s_and_saveexec_b64 s[16:17], s[34:35]
	s_cbranch_execz .LBB215_87
; %bb.82:                               ;   in Loop: Header=BB215_9 Depth=1
	v_bfrev_b32_e32 v7, 1
	v_mov_b32_e32 v8, 0
	v_cmp_ne_u16_sdwa s[36:37], v3, s42 src0_sel:BYTE_0 src1_sel:DWORD
	buffer_store_dword v7, off, s[48:51], 0 offset:116 ; 4-byte Folded Spill
	s_nop 0
	buffer_store_dword v8, off, s[48:51], 0 offset:120 ; 4-byte Folded Spill
	s_and_saveexec_b64 s[34:35], s[36:37]
	s_cbranch_execz .LBB215_86
; %bb.83:                               ;   in Loop: Header=BB215_9 Depth=1
	v_and_b32_e32 v0, 0x7f, v3
	v_mov_b32_e32 v7, 0x7f800001
	v_mov_b32_e32 v8, 0
	v_cmp_ne_u32_e32 vcc, s43, v0
	buffer_store_dword v7, off, s[48:51], 0 offset:116 ; 4-byte Folded Spill
	s_nop 0
	buffer_store_dword v8, off, s[48:51], 0 offset:120 ; 4-byte Folded Spill
	s_and_saveexec_b64 s[36:37], vcc
	s_cbranch_execz .LBB215_85
; %bb.84:                               ;   in Loop: Header=BB215_9 Depth=1
	v_and_b32_e32 v4, 7, v3
	v_lshrrev_b32_e32 v9, 3, v0
	v_cmp_gt_u32_e32 vcc, 8, v0
	v_ffbh_u32_e32 v0, v4
	v_min_u32_e32 v0, 32, v0
	v_subrev_u32_e32 v7, 28, v0
	v_lshlrev_b64 v[7:8], v7, v[3:4]
	v_sub_u32_e32 v0, 29, v0
	v_and_b32_e32 v7, 7, v7
	v_cndmask_b32_e32 v0, v9, v0, vcc
	v_cndmask_b32_e32 v4, v4, v7, vcc
	v_bfrev_b32_e32 v8, 60
	v_lshlrev_b32_e32 v4, 20, v4
	v_and_b32_sdwa v7, sext(v3), s44 dst_sel:DWORD dst_unused:UNUSED_PAD src0_sel:BYTE_0 src1_sel:DWORD
	v_lshl_add_u32 v0, v0, 23, v8
	v_or3_b32 v7, v7, v0, v4
	v_mov_b32_e32 v8, v61
	buffer_store_dword v7, off, s[48:51], 0 offset:116 ; 4-byte Folded Spill
	s_nop 0
	buffer_store_dword v8, off, s[48:51], 0 offset:120 ; 4-byte Folded Spill
.LBB215_85:                             ;   in Loop: Header=BB215_9 Depth=1
	s_or_b64 exec, exec, s[36:37]
.LBB215_86:                             ;   in Loop: Header=BB215_9 Depth=1
	s_or_b64 exec, exec, s[34:35]
.LBB215_87:                             ;   in Loop: Header=BB215_9 Depth=1
	s_or_b64 exec, exec, s[16:17]
	v_cmp_ne_u16_sdwa s[34:35], v3, v61 src0_sel:BYTE_1 src1_sel:DWORD
	s_and_saveexec_b64 s[16:17], s[34:35]
	s_cbranch_execz .LBB215_93
; %bb.88:                               ;   in Loop: Header=BB215_9 Depth=1
	v_cmp_ne_u16_sdwa s[36:37], v3, s42 src0_sel:BYTE_1 src1_sel:DWORD
	buffer_store_dword v61, off, s[48:51], 0 offset:124 ; 4-byte Folded Spill
	s_nop 0
	buffer_store_dword v62, off, s[48:51], 0 offset:128 ; 4-byte Folded Spill
	s_and_saveexec_b64 s[34:35], s[36:37]
	s_cbranch_execz .LBB215_92
; %bb.89:                               ;   in Loop: Header=BB215_9 Depth=1
	buffer_load_dword v7, off, s[48:51], 0  ; 4-byte Folded Reload
	buffer_load_dword v8, off, s[48:51], 0 offset:4 ; 4-byte Folded Reload
	v_and_b32_sdwa v0, v3, s43 dst_sel:DWORD dst_unused:UNUSED_PAD src0_sel:BYTE_1 src1_sel:DWORD
	v_cmp_ne_u32_e32 vcc, s43, v0
	s_waitcnt vmcnt(1)
	v_mov_b32_e32 v7, v61
	s_waitcnt vmcnt(0)
	v_mov_b32_e32 v4, v8
	buffer_store_dword v3, off, s[48:51], 0 ; 4-byte Folded Spill
	s_nop 0
	buffer_store_dword v4, off, s[48:51], 0 offset:4 ; 4-byte Folded Spill
	buffer_store_dword v7, off, s[48:51], 0 offset:124 ; 4-byte Folded Spill
	s_nop 0
	buffer_store_dword v8, off, s[48:51], 0 offset:128 ; 4-byte Folded Spill
	s_and_saveexec_b64 s[36:37], vcc
	s_cbranch_execz .LBB215_91
; %bb.90:                               ;   in Loop: Header=BB215_9 Depth=1
	v_mov_b32_e32 v4, 7
	v_and_b32_sdwa v7, v3, v4 dst_sel:DWORD dst_unused:UNUSED_PAD src0_sel:BYTE_1 src1_sel:DWORD
	v_lshrrev_b32_e32 v4, 3, v0
	v_cmp_gt_u32_e32 vcc, 8, v0
	v_ffbh_u32_e32 v0, v7
	v_min_u32_e32 v0, 32, v0
	v_mov_b32_e32 v8, v61
	v_subrev_u32_e32 v9, 28, v0
	v_lshlrev_b64 v[8:9], v9, v[7:8]
	v_sub_u32_e32 v0, 29, v0
	v_and_b32_e32 v8, 7, v8
	v_cndmask_b32_e32 v0, v4, v0, vcc
	v_cndmask_b32_e32 v4, v7, v8, vcc
	v_bfrev_b32_e32 v7, 60
	v_lshlrev_b32_e32 v3, 16, v3
	v_lshl_add_u32 v0, v0, 23, v7
	v_and_or_b32 v0, v3, s44, v0
	v_lshlrev_b32_e32 v3, 20, v4
	v_or_b32_e32 v4, v0, v3
	v_mov_b32_e32 v3, v61
	buffer_store_dword v3, off, s[48:51], 0 offset:124 ; 4-byte Folded Spill
	s_nop 0
	buffer_store_dword v4, off, s[48:51], 0 offset:128 ; 4-byte Folded Spill
.LBB215_91:                             ;   in Loop: Header=BB215_9 Depth=1
	s_or_b64 exec, exec, s[36:37]
.LBB215_92:                             ;   in Loop: Header=BB215_9 Depth=1
	s_or_b64 exec, exec, s[34:35]
.LBB215_93:                             ;   in Loop: Header=BB215_9 Depth=1
	s_or_b64 exec, exec, s[16:17]
	global_load_ushort v0, v[5:6], off offset:524
	v_mov_b32_e32 v7, 0
	v_mov_b32_e32 v8, 0
	buffer_store_dword v7, off, s[48:51], 0 offset:140 ; 4-byte Folded Spill
	s_nop 0
	buffer_store_dword v8, off, s[48:51], 0 offset:144 ; 4-byte Folded Spill
	v_mov_b32_e32 v7, 0
	v_mov_b32_e32 v8, 0
	buffer_store_dword v7, off, s[48:51], 0 offset:132 ; 4-byte Folded Spill
	s_nop 0
	buffer_store_dword v8, off, s[48:51], 0 offset:136 ; 4-byte Folded Spill
	s_waitcnt vmcnt(4)
	v_and_b32_e32 v3, 0xffff, v0
	v_cmp_ne_u16_sdwa s[34:35], v0, v61 src0_sel:BYTE_0 src1_sel:DWORD
	s_and_saveexec_b64 s[16:17], s[34:35]
	s_cbranch_execz .LBB215_99
; %bb.94:                               ;   in Loop: Header=BB215_9 Depth=1
	v_bfrev_b32_e32 v7, 1
	v_mov_b32_e32 v8, 0
	v_cmp_ne_u16_sdwa s[36:37], v3, s42 src0_sel:BYTE_0 src1_sel:DWORD
	buffer_store_dword v7, off, s[48:51], 0 offset:132 ; 4-byte Folded Spill
	s_nop 0
	buffer_store_dword v8, off, s[48:51], 0 offset:136 ; 4-byte Folded Spill
	s_and_saveexec_b64 s[34:35], s[36:37]
	s_cbranch_execz .LBB215_98
; %bb.95:                               ;   in Loop: Header=BB215_9 Depth=1
	v_and_b32_e32 v0, 0x7f, v3
	v_mov_b32_e32 v7, 0x7f800001
	v_mov_b32_e32 v8, 0
	v_cmp_ne_u32_e32 vcc, s43, v0
	buffer_store_dword v7, off, s[48:51], 0 offset:132 ; 4-byte Folded Spill
	s_nop 0
	buffer_store_dword v8, off, s[48:51], 0 offset:136 ; 4-byte Folded Spill
	s_and_saveexec_b64 s[36:37], vcc
	s_cbranch_execz .LBB215_97
; %bb.96:                               ;   in Loop: Header=BB215_9 Depth=1
	v_and_b32_e32 v4, 7, v3
	v_lshrrev_b32_e32 v9, 3, v0
	v_cmp_gt_u32_e32 vcc, 8, v0
	v_ffbh_u32_e32 v0, v4
	v_min_u32_e32 v0, 32, v0
	v_subrev_u32_e32 v7, 28, v0
	v_lshlrev_b64 v[7:8], v7, v[3:4]
	v_sub_u32_e32 v0, 29, v0
	v_and_b32_e32 v7, 7, v7
	v_cndmask_b32_e32 v0, v9, v0, vcc
	v_cndmask_b32_e32 v4, v4, v7, vcc
	v_bfrev_b32_e32 v8, 60
	v_lshlrev_b32_e32 v4, 20, v4
	v_and_b32_sdwa v7, sext(v3), s44 dst_sel:DWORD dst_unused:UNUSED_PAD src0_sel:BYTE_0 src1_sel:DWORD
	v_lshl_add_u32 v0, v0, 23, v8
	v_or3_b32 v7, v7, v0, v4
	v_mov_b32_e32 v8, v61
	buffer_store_dword v7, off, s[48:51], 0 offset:132 ; 4-byte Folded Spill
	s_nop 0
	buffer_store_dword v8, off, s[48:51], 0 offset:136 ; 4-byte Folded Spill
.LBB215_97:                             ;   in Loop: Header=BB215_9 Depth=1
	s_or_b64 exec, exec, s[36:37]
.LBB215_98:                             ;   in Loop: Header=BB215_9 Depth=1
	s_or_b64 exec, exec, s[34:35]
.LBB215_99:                             ;   in Loop: Header=BB215_9 Depth=1
	s_or_b64 exec, exec, s[16:17]
	v_cmp_ne_u16_sdwa s[34:35], v3, v61 src0_sel:BYTE_1 src1_sel:DWORD
	s_and_saveexec_b64 s[16:17], s[34:35]
	s_cbranch_execz .LBB215_105
; %bb.100:                              ;   in Loop: Header=BB215_9 Depth=1
	v_cmp_ne_u16_sdwa s[36:37], v3, s42 src0_sel:BYTE_1 src1_sel:DWORD
	buffer_store_dword v61, off, s[48:51], 0 offset:140 ; 4-byte Folded Spill
	s_nop 0
	buffer_store_dword v62, off, s[48:51], 0 offset:144 ; 4-byte Folded Spill
	s_and_saveexec_b64 s[34:35], s[36:37]
	s_cbranch_execz .LBB215_104
; %bb.101:                              ;   in Loop: Header=BB215_9 Depth=1
	buffer_load_dword v7, off, s[48:51], 0  ; 4-byte Folded Reload
	buffer_load_dword v8, off, s[48:51], 0 offset:4 ; 4-byte Folded Reload
	v_and_b32_sdwa v0, v3, s43 dst_sel:DWORD dst_unused:UNUSED_PAD src0_sel:BYTE_1 src1_sel:DWORD
	v_cmp_ne_u32_e32 vcc, s43, v0
	s_waitcnt vmcnt(1)
	v_mov_b32_e32 v7, v61
	s_waitcnt vmcnt(0)
	v_mov_b32_e32 v4, v8
	buffer_store_dword v3, off, s[48:51], 0 ; 4-byte Folded Spill
	s_nop 0
	buffer_store_dword v4, off, s[48:51], 0 offset:4 ; 4-byte Folded Spill
	buffer_store_dword v7, off, s[48:51], 0 offset:140 ; 4-byte Folded Spill
	s_nop 0
	buffer_store_dword v8, off, s[48:51], 0 offset:144 ; 4-byte Folded Spill
	s_and_saveexec_b64 s[36:37], vcc
	s_cbranch_execz .LBB215_103
; %bb.102:                              ;   in Loop: Header=BB215_9 Depth=1
	v_mov_b32_e32 v4, 7
	v_and_b32_sdwa v7, v3, v4 dst_sel:DWORD dst_unused:UNUSED_PAD src0_sel:BYTE_1 src1_sel:DWORD
	v_lshrrev_b32_e32 v4, 3, v0
	v_cmp_gt_u32_e32 vcc, 8, v0
	v_ffbh_u32_e32 v0, v7
	v_min_u32_e32 v0, 32, v0
	v_mov_b32_e32 v8, v61
	v_subrev_u32_e32 v9, 28, v0
	v_lshlrev_b64 v[8:9], v9, v[7:8]
	v_sub_u32_e32 v0, 29, v0
	v_and_b32_e32 v8, 7, v8
	v_cndmask_b32_e32 v0, v4, v0, vcc
	v_cndmask_b32_e32 v4, v7, v8, vcc
	v_bfrev_b32_e32 v7, 60
	v_lshlrev_b32_e32 v3, 16, v3
	v_lshl_add_u32 v0, v0, 23, v7
	v_and_or_b32 v0, v3, s44, v0
	v_lshlrev_b32_e32 v3, 20, v4
	v_or_b32_e32 v4, v0, v3
	v_mov_b32_e32 v3, v61
	buffer_store_dword v3, off, s[48:51], 0 offset:140 ; 4-byte Folded Spill
	s_nop 0
	buffer_store_dword v4, off, s[48:51], 0 offset:144 ; 4-byte Folded Spill
.LBB215_103:                            ;   in Loop: Header=BB215_9 Depth=1
	s_or_b64 exec, exec, s[36:37]
.LBB215_104:                            ;   in Loop: Header=BB215_9 Depth=1
	s_or_b64 exec, exec, s[34:35]
.LBB215_105:                            ;   in Loop: Header=BB215_9 Depth=1
	s_or_b64 exec, exec, s[16:17]
	global_load_ushort v0, v[5:6], off offset:1024
	v_mov_b32_e32 v7, 0
	v_mov_b32_e32 v8, 0
	buffer_store_dword v7, off, s[48:51], 0 offset:156 ; 4-byte Folded Spill
	s_nop 0
	buffer_store_dword v8, off, s[48:51], 0 offset:160 ; 4-byte Folded Spill
	v_mov_b32_e32 v7, 0
	v_mov_b32_e32 v8, 0
	buffer_store_dword v7, off, s[48:51], 0 offset:148 ; 4-byte Folded Spill
	s_nop 0
	buffer_store_dword v8, off, s[48:51], 0 offset:152 ; 4-byte Folded Spill
	s_waitcnt vmcnt(4)
	v_and_b32_e32 v3, 0xffff, v0
	v_cmp_ne_u16_sdwa s[34:35], v0, v61 src0_sel:BYTE_0 src1_sel:DWORD
	s_and_saveexec_b64 s[16:17], s[34:35]
	s_cbranch_execz .LBB215_111
; %bb.106:                              ;   in Loop: Header=BB215_9 Depth=1
	v_bfrev_b32_e32 v7, 1
	v_mov_b32_e32 v8, 0
	v_cmp_ne_u16_sdwa s[36:37], v3, s42 src0_sel:BYTE_0 src1_sel:DWORD
	buffer_store_dword v7, off, s[48:51], 0 offset:148 ; 4-byte Folded Spill
	s_nop 0
	buffer_store_dword v8, off, s[48:51], 0 offset:152 ; 4-byte Folded Spill
	s_and_saveexec_b64 s[34:35], s[36:37]
	s_cbranch_execz .LBB215_110
; %bb.107:                              ;   in Loop: Header=BB215_9 Depth=1
	v_and_b32_e32 v0, 0x7f, v3
	v_mov_b32_e32 v7, 0x7f800001
	v_mov_b32_e32 v8, 0
	v_cmp_ne_u32_e32 vcc, s43, v0
	buffer_store_dword v7, off, s[48:51], 0 offset:148 ; 4-byte Folded Spill
	s_nop 0
	buffer_store_dword v8, off, s[48:51], 0 offset:152 ; 4-byte Folded Spill
	s_and_saveexec_b64 s[36:37], vcc
	s_cbranch_execz .LBB215_109
; %bb.108:                              ;   in Loop: Header=BB215_9 Depth=1
	v_and_b32_e32 v4, 7, v3
	v_lshrrev_b32_e32 v9, 3, v0
	v_cmp_gt_u32_e32 vcc, 8, v0
	v_ffbh_u32_e32 v0, v4
	v_min_u32_e32 v0, 32, v0
	v_subrev_u32_e32 v7, 28, v0
	v_lshlrev_b64 v[7:8], v7, v[3:4]
	v_sub_u32_e32 v0, 29, v0
	v_and_b32_e32 v7, 7, v7
	v_cndmask_b32_e32 v0, v9, v0, vcc
	v_cndmask_b32_e32 v4, v4, v7, vcc
	v_bfrev_b32_e32 v8, 60
	v_lshlrev_b32_e32 v4, 20, v4
	v_and_b32_sdwa v7, sext(v3), s44 dst_sel:DWORD dst_unused:UNUSED_PAD src0_sel:BYTE_0 src1_sel:DWORD
	v_lshl_add_u32 v0, v0, 23, v8
	v_or3_b32 v7, v7, v0, v4
	v_mov_b32_e32 v8, v61
	buffer_store_dword v7, off, s[48:51], 0 offset:148 ; 4-byte Folded Spill
	s_nop 0
	buffer_store_dword v8, off, s[48:51], 0 offset:152 ; 4-byte Folded Spill
.LBB215_109:                            ;   in Loop: Header=BB215_9 Depth=1
	s_or_b64 exec, exec, s[36:37]
.LBB215_110:                            ;   in Loop: Header=BB215_9 Depth=1
	s_or_b64 exec, exec, s[34:35]
.LBB215_111:                            ;   in Loop: Header=BB215_9 Depth=1
	s_or_b64 exec, exec, s[16:17]
	v_cmp_ne_u16_sdwa s[34:35], v3, v61 src0_sel:BYTE_1 src1_sel:DWORD
	s_and_saveexec_b64 s[16:17], s[34:35]
	s_cbranch_execz .LBB215_117
; %bb.112:                              ;   in Loop: Header=BB215_9 Depth=1
	v_cmp_ne_u16_sdwa s[36:37], v3, s42 src0_sel:BYTE_1 src1_sel:DWORD
	buffer_store_dword v61, off, s[48:51], 0 offset:156 ; 4-byte Folded Spill
	s_nop 0
	buffer_store_dword v62, off, s[48:51], 0 offset:160 ; 4-byte Folded Spill
	s_and_saveexec_b64 s[34:35], s[36:37]
	s_cbranch_execz .LBB215_116
; %bb.113:                              ;   in Loop: Header=BB215_9 Depth=1
	buffer_load_dword v7, off, s[48:51], 0  ; 4-byte Folded Reload
	buffer_load_dword v8, off, s[48:51], 0 offset:4 ; 4-byte Folded Reload
	v_and_b32_sdwa v0, v3, s43 dst_sel:DWORD dst_unused:UNUSED_PAD src0_sel:BYTE_1 src1_sel:DWORD
	v_cmp_ne_u32_e32 vcc, s43, v0
	s_waitcnt vmcnt(1)
	v_mov_b32_e32 v7, v61
	s_waitcnt vmcnt(0)
	v_mov_b32_e32 v4, v8
	buffer_store_dword v3, off, s[48:51], 0 ; 4-byte Folded Spill
	s_nop 0
	buffer_store_dword v4, off, s[48:51], 0 offset:4 ; 4-byte Folded Spill
	buffer_store_dword v7, off, s[48:51], 0 offset:156 ; 4-byte Folded Spill
	s_nop 0
	buffer_store_dword v8, off, s[48:51], 0 offset:160 ; 4-byte Folded Spill
	s_and_saveexec_b64 s[36:37], vcc
	s_cbranch_execz .LBB215_115
; %bb.114:                              ;   in Loop: Header=BB215_9 Depth=1
	v_mov_b32_e32 v4, 7
	v_and_b32_sdwa v7, v3, v4 dst_sel:DWORD dst_unused:UNUSED_PAD src0_sel:BYTE_1 src1_sel:DWORD
	v_lshrrev_b32_e32 v4, 3, v0
	v_cmp_gt_u32_e32 vcc, 8, v0
	v_ffbh_u32_e32 v0, v7
	v_min_u32_e32 v0, 32, v0
	v_mov_b32_e32 v8, v61
	v_subrev_u32_e32 v9, 28, v0
	v_lshlrev_b64 v[8:9], v9, v[7:8]
	v_sub_u32_e32 v0, 29, v0
	v_and_b32_e32 v8, 7, v8
	v_cndmask_b32_e32 v0, v4, v0, vcc
	v_cndmask_b32_e32 v4, v7, v8, vcc
	v_bfrev_b32_e32 v7, 60
	v_lshlrev_b32_e32 v3, 16, v3
	v_lshl_add_u32 v0, v0, 23, v7
	v_and_or_b32 v0, v3, s44, v0
	v_lshlrev_b32_e32 v3, 20, v4
	v_or_b32_e32 v4, v0, v3
	v_mov_b32_e32 v3, v61
	buffer_store_dword v3, off, s[48:51], 0 offset:156 ; 4-byte Folded Spill
	s_nop 0
	buffer_store_dword v4, off, s[48:51], 0 offset:160 ; 4-byte Folded Spill
.LBB215_115:                            ;   in Loop: Header=BB215_9 Depth=1
	s_or_b64 exec, exec, s[36:37]
.LBB215_116:                            ;   in Loop: Header=BB215_9 Depth=1
	s_or_b64 exec, exec, s[34:35]
.LBB215_117:                            ;   in Loop: Header=BB215_9 Depth=1
	s_or_b64 exec, exec, s[16:17]
	global_load_ushort v0, v[5:6], off offset:1028
	v_mov_b32_e32 v7, 0
	v_mov_b32_e32 v8, 0
	buffer_store_dword v7, off, s[48:51], 0 offset:172 ; 4-byte Folded Spill
	s_nop 0
	buffer_store_dword v8, off, s[48:51], 0 offset:176 ; 4-byte Folded Spill
	v_mov_b32_e32 v7, 0
	v_mov_b32_e32 v8, 0
	buffer_store_dword v7, off, s[48:51], 0 offset:164 ; 4-byte Folded Spill
	s_nop 0
	buffer_store_dword v8, off, s[48:51], 0 offset:168 ; 4-byte Folded Spill
	s_waitcnt vmcnt(4)
	v_and_b32_e32 v3, 0xffff, v0
	v_cmp_ne_u16_sdwa s[34:35], v0, v61 src0_sel:BYTE_0 src1_sel:DWORD
	s_and_saveexec_b64 s[16:17], s[34:35]
	s_cbranch_execz .LBB215_123
; %bb.118:                              ;   in Loop: Header=BB215_9 Depth=1
	v_bfrev_b32_e32 v7, 1
	v_mov_b32_e32 v8, 0
	v_cmp_ne_u16_sdwa s[36:37], v3, s42 src0_sel:BYTE_0 src1_sel:DWORD
	buffer_store_dword v7, off, s[48:51], 0 offset:164 ; 4-byte Folded Spill
	s_nop 0
	buffer_store_dword v8, off, s[48:51], 0 offset:168 ; 4-byte Folded Spill
	s_and_saveexec_b64 s[34:35], s[36:37]
	s_cbranch_execz .LBB215_122
; %bb.119:                              ;   in Loop: Header=BB215_9 Depth=1
	v_and_b32_e32 v0, 0x7f, v3
	v_mov_b32_e32 v7, 0x7f800001
	v_mov_b32_e32 v8, 0
	v_cmp_ne_u32_e32 vcc, s43, v0
	buffer_store_dword v7, off, s[48:51], 0 offset:164 ; 4-byte Folded Spill
	s_nop 0
	buffer_store_dword v8, off, s[48:51], 0 offset:168 ; 4-byte Folded Spill
	s_and_saveexec_b64 s[36:37], vcc
	s_cbranch_execz .LBB215_121
; %bb.120:                              ;   in Loop: Header=BB215_9 Depth=1
	v_and_b32_e32 v4, 7, v3
	v_lshrrev_b32_e32 v9, 3, v0
	v_cmp_gt_u32_e32 vcc, 8, v0
	v_ffbh_u32_e32 v0, v4
	v_min_u32_e32 v0, 32, v0
	v_subrev_u32_e32 v7, 28, v0
	v_lshlrev_b64 v[7:8], v7, v[3:4]
	v_sub_u32_e32 v0, 29, v0
	v_and_b32_e32 v7, 7, v7
	v_cndmask_b32_e32 v0, v9, v0, vcc
	v_cndmask_b32_e32 v4, v4, v7, vcc
	v_bfrev_b32_e32 v8, 60
	v_lshlrev_b32_e32 v4, 20, v4
	v_and_b32_sdwa v7, sext(v3), s44 dst_sel:DWORD dst_unused:UNUSED_PAD src0_sel:BYTE_0 src1_sel:DWORD
	v_lshl_add_u32 v0, v0, 23, v8
	v_or3_b32 v7, v7, v0, v4
	v_mov_b32_e32 v8, v61
	buffer_store_dword v7, off, s[48:51], 0 offset:164 ; 4-byte Folded Spill
	s_nop 0
	buffer_store_dword v8, off, s[48:51], 0 offset:168 ; 4-byte Folded Spill
.LBB215_121:                            ;   in Loop: Header=BB215_9 Depth=1
	s_or_b64 exec, exec, s[36:37]
.LBB215_122:                            ;   in Loop: Header=BB215_9 Depth=1
	s_or_b64 exec, exec, s[34:35]
.LBB215_123:                            ;   in Loop: Header=BB215_9 Depth=1
	s_or_b64 exec, exec, s[16:17]
	v_cmp_ne_u16_sdwa s[34:35], v3, v61 src0_sel:BYTE_1 src1_sel:DWORD
	s_and_saveexec_b64 s[16:17], s[34:35]
	s_cbranch_execz .LBB215_129
; %bb.124:                              ;   in Loop: Header=BB215_9 Depth=1
	v_cmp_ne_u16_sdwa s[36:37], v3, s42 src0_sel:BYTE_1 src1_sel:DWORD
	buffer_store_dword v61, off, s[48:51], 0 offset:172 ; 4-byte Folded Spill
	s_nop 0
	buffer_store_dword v62, off, s[48:51], 0 offset:176 ; 4-byte Folded Spill
	s_and_saveexec_b64 s[34:35], s[36:37]
	s_cbranch_execz .LBB215_128
; %bb.125:                              ;   in Loop: Header=BB215_9 Depth=1
	buffer_load_dword v7, off, s[48:51], 0  ; 4-byte Folded Reload
	buffer_load_dword v8, off, s[48:51], 0 offset:4 ; 4-byte Folded Reload
	v_and_b32_sdwa v0, v3, s43 dst_sel:DWORD dst_unused:UNUSED_PAD src0_sel:BYTE_1 src1_sel:DWORD
	v_cmp_ne_u32_e32 vcc, s43, v0
	s_waitcnt vmcnt(1)
	v_mov_b32_e32 v7, v61
	s_waitcnt vmcnt(0)
	v_mov_b32_e32 v4, v8
	buffer_store_dword v3, off, s[48:51], 0 ; 4-byte Folded Spill
	s_nop 0
	buffer_store_dword v4, off, s[48:51], 0 offset:4 ; 4-byte Folded Spill
	buffer_store_dword v7, off, s[48:51], 0 offset:172 ; 4-byte Folded Spill
	s_nop 0
	buffer_store_dword v8, off, s[48:51], 0 offset:176 ; 4-byte Folded Spill
	s_and_saveexec_b64 s[36:37], vcc
	s_cbranch_execz .LBB215_127
; %bb.126:                              ;   in Loop: Header=BB215_9 Depth=1
	v_mov_b32_e32 v4, 7
	v_and_b32_sdwa v7, v3, v4 dst_sel:DWORD dst_unused:UNUSED_PAD src0_sel:BYTE_1 src1_sel:DWORD
	v_lshrrev_b32_e32 v4, 3, v0
	v_cmp_gt_u32_e32 vcc, 8, v0
	v_ffbh_u32_e32 v0, v7
	v_min_u32_e32 v0, 32, v0
	v_mov_b32_e32 v8, v61
	v_subrev_u32_e32 v9, 28, v0
	v_lshlrev_b64 v[8:9], v9, v[7:8]
	v_sub_u32_e32 v0, 29, v0
	v_and_b32_e32 v8, 7, v8
	v_cndmask_b32_e32 v0, v4, v0, vcc
	v_cndmask_b32_e32 v4, v7, v8, vcc
	v_bfrev_b32_e32 v7, 60
	v_lshlrev_b32_e32 v3, 16, v3
	v_lshl_add_u32 v0, v0, 23, v7
	v_and_or_b32 v0, v3, s44, v0
	v_lshlrev_b32_e32 v3, 20, v4
	v_or_b32_e32 v4, v0, v3
	v_mov_b32_e32 v3, v61
	buffer_store_dword v3, off, s[48:51], 0 offset:172 ; 4-byte Folded Spill
	s_nop 0
	buffer_store_dword v4, off, s[48:51], 0 offset:176 ; 4-byte Folded Spill
.LBB215_127:                            ;   in Loop: Header=BB215_9 Depth=1
	s_or_b64 exec, exec, s[36:37]
.LBB215_128:                            ;   in Loop: Header=BB215_9 Depth=1
	s_or_b64 exec, exec, s[34:35]
.LBB215_129:                            ;   in Loop: Header=BB215_9 Depth=1
	s_or_b64 exec, exec, s[16:17]
	global_load_ushort v0, v[5:6], off offset:1032
	v_mov_b32_e32 v7, 0
	v_mov_b32_e32 v8, 0
	buffer_store_dword v7, off, s[48:51], 0 offset:188 ; 4-byte Folded Spill
	s_nop 0
	buffer_store_dword v8, off, s[48:51], 0 offset:192 ; 4-byte Folded Spill
	v_mov_b32_e32 v7, 0
	v_mov_b32_e32 v8, 0
	buffer_store_dword v7, off, s[48:51], 0 offset:180 ; 4-byte Folded Spill
	s_nop 0
	buffer_store_dword v8, off, s[48:51], 0 offset:184 ; 4-byte Folded Spill
	s_waitcnt vmcnt(4)
	v_and_b32_e32 v3, 0xffff, v0
	v_cmp_ne_u16_sdwa s[34:35], v0, v61 src0_sel:BYTE_0 src1_sel:DWORD
	s_and_saveexec_b64 s[16:17], s[34:35]
	s_cbranch_execz .LBB215_135
; %bb.130:                              ;   in Loop: Header=BB215_9 Depth=1
	v_bfrev_b32_e32 v7, 1
	v_mov_b32_e32 v8, 0
	v_cmp_ne_u16_sdwa s[36:37], v3, s42 src0_sel:BYTE_0 src1_sel:DWORD
	buffer_store_dword v7, off, s[48:51], 0 offset:180 ; 4-byte Folded Spill
	s_nop 0
	buffer_store_dword v8, off, s[48:51], 0 offset:184 ; 4-byte Folded Spill
	s_and_saveexec_b64 s[34:35], s[36:37]
	s_cbranch_execz .LBB215_134
; %bb.131:                              ;   in Loop: Header=BB215_9 Depth=1
	v_and_b32_e32 v0, 0x7f, v3
	v_mov_b32_e32 v7, 0x7f800001
	v_mov_b32_e32 v8, 0
	v_cmp_ne_u32_e32 vcc, s43, v0
	buffer_store_dword v7, off, s[48:51], 0 offset:180 ; 4-byte Folded Spill
	s_nop 0
	buffer_store_dword v8, off, s[48:51], 0 offset:184 ; 4-byte Folded Spill
	s_and_saveexec_b64 s[36:37], vcc
	s_cbranch_execz .LBB215_133
; %bb.132:                              ;   in Loop: Header=BB215_9 Depth=1
	v_and_b32_e32 v4, 7, v3
	v_lshrrev_b32_e32 v9, 3, v0
	v_cmp_gt_u32_e32 vcc, 8, v0
	v_ffbh_u32_e32 v0, v4
	v_min_u32_e32 v0, 32, v0
	v_subrev_u32_e32 v7, 28, v0
	v_lshlrev_b64 v[7:8], v7, v[3:4]
	v_sub_u32_e32 v0, 29, v0
	v_and_b32_e32 v7, 7, v7
	v_cndmask_b32_e32 v0, v9, v0, vcc
	v_cndmask_b32_e32 v4, v4, v7, vcc
	v_bfrev_b32_e32 v8, 60
	v_lshlrev_b32_e32 v4, 20, v4
	v_and_b32_sdwa v7, sext(v3), s44 dst_sel:DWORD dst_unused:UNUSED_PAD src0_sel:BYTE_0 src1_sel:DWORD
	v_lshl_add_u32 v0, v0, 23, v8
	v_or3_b32 v7, v7, v0, v4
	v_mov_b32_e32 v8, v61
	buffer_store_dword v7, off, s[48:51], 0 offset:180 ; 4-byte Folded Spill
	s_nop 0
	buffer_store_dword v8, off, s[48:51], 0 offset:184 ; 4-byte Folded Spill
.LBB215_133:                            ;   in Loop: Header=BB215_9 Depth=1
	s_or_b64 exec, exec, s[36:37]
.LBB215_134:                            ;   in Loop: Header=BB215_9 Depth=1
	s_or_b64 exec, exec, s[34:35]
.LBB215_135:                            ;   in Loop: Header=BB215_9 Depth=1
	s_or_b64 exec, exec, s[16:17]
	v_cmp_ne_u16_sdwa s[34:35], v3, v61 src0_sel:BYTE_1 src1_sel:DWORD
	s_and_saveexec_b64 s[16:17], s[34:35]
	s_cbranch_execz .LBB215_141
; %bb.136:                              ;   in Loop: Header=BB215_9 Depth=1
	v_cmp_ne_u16_sdwa s[36:37], v3, s42 src0_sel:BYTE_1 src1_sel:DWORD
	buffer_store_dword v61, off, s[48:51], 0 offset:188 ; 4-byte Folded Spill
	s_nop 0
	buffer_store_dword v62, off, s[48:51], 0 offset:192 ; 4-byte Folded Spill
	s_and_saveexec_b64 s[34:35], s[36:37]
	s_cbranch_execz .LBB215_140
; %bb.137:                              ;   in Loop: Header=BB215_9 Depth=1
	buffer_load_dword v7, off, s[48:51], 0  ; 4-byte Folded Reload
	buffer_load_dword v8, off, s[48:51], 0 offset:4 ; 4-byte Folded Reload
	v_and_b32_sdwa v0, v3, s43 dst_sel:DWORD dst_unused:UNUSED_PAD src0_sel:BYTE_1 src1_sel:DWORD
	v_cmp_ne_u32_e32 vcc, s43, v0
	s_waitcnt vmcnt(1)
	v_mov_b32_e32 v7, v61
	s_waitcnt vmcnt(0)
	v_mov_b32_e32 v4, v8
	buffer_store_dword v3, off, s[48:51], 0 ; 4-byte Folded Spill
	s_nop 0
	buffer_store_dword v4, off, s[48:51], 0 offset:4 ; 4-byte Folded Spill
	buffer_store_dword v7, off, s[48:51], 0 offset:188 ; 4-byte Folded Spill
	s_nop 0
	buffer_store_dword v8, off, s[48:51], 0 offset:192 ; 4-byte Folded Spill
	s_and_saveexec_b64 s[36:37], vcc
	s_cbranch_execz .LBB215_139
; %bb.138:                              ;   in Loop: Header=BB215_9 Depth=1
	v_mov_b32_e32 v4, 7
	v_and_b32_sdwa v7, v3, v4 dst_sel:DWORD dst_unused:UNUSED_PAD src0_sel:BYTE_1 src1_sel:DWORD
	v_lshrrev_b32_e32 v4, 3, v0
	v_cmp_gt_u32_e32 vcc, 8, v0
	v_ffbh_u32_e32 v0, v7
	v_min_u32_e32 v0, 32, v0
	v_mov_b32_e32 v8, v61
	v_subrev_u32_e32 v9, 28, v0
	v_lshlrev_b64 v[8:9], v9, v[7:8]
	v_sub_u32_e32 v0, 29, v0
	v_and_b32_e32 v8, 7, v8
	v_cndmask_b32_e32 v0, v4, v0, vcc
	v_cndmask_b32_e32 v4, v7, v8, vcc
	v_bfrev_b32_e32 v7, 60
	v_lshlrev_b32_e32 v3, 16, v3
	v_lshl_add_u32 v0, v0, 23, v7
	v_and_or_b32 v0, v3, s44, v0
	v_lshlrev_b32_e32 v3, 20, v4
	v_or_b32_e32 v4, v0, v3
	v_mov_b32_e32 v3, v61
	buffer_store_dword v3, off, s[48:51], 0 offset:188 ; 4-byte Folded Spill
	s_nop 0
	buffer_store_dword v4, off, s[48:51], 0 offset:192 ; 4-byte Folded Spill
.LBB215_139:                            ;   in Loop: Header=BB215_9 Depth=1
	s_or_b64 exec, exec, s[36:37]
.LBB215_140:                            ;   in Loop: Header=BB215_9 Depth=1
	s_or_b64 exec, exec, s[34:35]
.LBB215_141:                            ;   in Loop: Header=BB215_9 Depth=1
	s_or_b64 exec, exec, s[16:17]
	global_load_ushort v0, v[5:6], off offset:1036
	v_mov_b32_e32 v7, 0
	v_mov_b32_e32 v8, 0
	buffer_store_dword v7, off, s[48:51], 0 offset:204 ; 4-byte Folded Spill
	s_nop 0
	buffer_store_dword v8, off, s[48:51], 0 offset:208 ; 4-byte Folded Spill
	v_mov_b32_e32 v7, 0
	v_mov_b32_e32 v8, 0
	buffer_store_dword v7, off, s[48:51], 0 offset:196 ; 4-byte Folded Spill
	s_nop 0
	buffer_store_dword v8, off, s[48:51], 0 offset:200 ; 4-byte Folded Spill
	s_waitcnt vmcnt(4)
	v_and_b32_e32 v3, 0xffff, v0
	v_cmp_ne_u16_sdwa s[34:35], v0, v61 src0_sel:BYTE_0 src1_sel:DWORD
	s_and_saveexec_b64 s[16:17], s[34:35]
	s_cbranch_execz .LBB215_147
; %bb.142:                              ;   in Loop: Header=BB215_9 Depth=1
	v_bfrev_b32_e32 v7, 1
	v_mov_b32_e32 v8, 0
	v_cmp_ne_u16_sdwa s[36:37], v3, s42 src0_sel:BYTE_0 src1_sel:DWORD
	buffer_store_dword v7, off, s[48:51], 0 offset:196 ; 4-byte Folded Spill
	s_nop 0
	buffer_store_dword v8, off, s[48:51], 0 offset:200 ; 4-byte Folded Spill
	s_and_saveexec_b64 s[34:35], s[36:37]
	s_cbranch_execz .LBB215_146
; %bb.143:                              ;   in Loop: Header=BB215_9 Depth=1
	v_and_b32_e32 v0, 0x7f, v3
	v_mov_b32_e32 v7, 0x7f800001
	v_mov_b32_e32 v8, 0
	v_cmp_ne_u32_e32 vcc, s43, v0
	buffer_store_dword v7, off, s[48:51], 0 offset:196 ; 4-byte Folded Spill
	s_nop 0
	buffer_store_dword v8, off, s[48:51], 0 offset:200 ; 4-byte Folded Spill
	s_and_saveexec_b64 s[36:37], vcc
	s_cbranch_execz .LBB215_145
; %bb.144:                              ;   in Loop: Header=BB215_9 Depth=1
	v_and_b32_e32 v4, 7, v3
	v_lshrrev_b32_e32 v9, 3, v0
	v_cmp_gt_u32_e32 vcc, 8, v0
	v_ffbh_u32_e32 v0, v4
	v_min_u32_e32 v0, 32, v0
	v_subrev_u32_e32 v7, 28, v0
	v_lshlrev_b64 v[7:8], v7, v[3:4]
	v_sub_u32_e32 v0, 29, v0
	v_and_b32_e32 v7, 7, v7
	v_cndmask_b32_e32 v0, v9, v0, vcc
	v_cndmask_b32_e32 v4, v4, v7, vcc
	v_bfrev_b32_e32 v8, 60
	v_lshlrev_b32_e32 v4, 20, v4
	v_and_b32_sdwa v7, sext(v3), s44 dst_sel:DWORD dst_unused:UNUSED_PAD src0_sel:BYTE_0 src1_sel:DWORD
	v_lshl_add_u32 v0, v0, 23, v8
	v_or3_b32 v7, v7, v0, v4
	v_mov_b32_e32 v8, v61
	buffer_store_dword v7, off, s[48:51], 0 offset:196 ; 4-byte Folded Spill
	s_nop 0
	buffer_store_dword v8, off, s[48:51], 0 offset:200 ; 4-byte Folded Spill
.LBB215_145:                            ;   in Loop: Header=BB215_9 Depth=1
	s_or_b64 exec, exec, s[36:37]
.LBB215_146:                            ;   in Loop: Header=BB215_9 Depth=1
	s_or_b64 exec, exec, s[34:35]
.LBB215_147:                            ;   in Loop: Header=BB215_9 Depth=1
	s_or_b64 exec, exec, s[16:17]
	v_cmp_ne_u16_sdwa s[34:35], v3, v61 src0_sel:BYTE_1 src1_sel:DWORD
	s_and_saveexec_b64 s[16:17], s[34:35]
	s_cbranch_execz .LBB215_153
; %bb.148:                              ;   in Loop: Header=BB215_9 Depth=1
	v_cmp_ne_u16_sdwa s[36:37], v3, s42 src0_sel:BYTE_1 src1_sel:DWORD
	buffer_store_dword v61, off, s[48:51], 0 offset:204 ; 4-byte Folded Spill
	s_nop 0
	buffer_store_dword v62, off, s[48:51], 0 offset:208 ; 4-byte Folded Spill
	s_and_saveexec_b64 s[34:35], s[36:37]
	s_cbranch_execz .LBB215_152
; %bb.149:                              ;   in Loop: Header=BB215_9 Depth=1
	buffer_load_dword v7, off, s[48:51], 0  ; 4-byte Folded Reload
	buffer_load_dword v8, off, s[48:51], 0 offset:4 ; 4-byte Folded Reload
	v_and_b32_sdwa v0, v3, s43 dst_sel:DWORD dst_unused:UNUSED_PAD src0_sel:BYTE_1 src1_sel:DWORD
	v_cmp_ne_u32_e32 vcc, s43, v0
	s_waitcnt vmcnt(1)
	v_mov_b32_e32 v7, v61
	s_waitcnt vmcnt(0)
	v_mov_b32_e32 v4, v8
	buffer_store_dword v3, off, s[48:51], 0 ; 4-byte Folded Spill
	s_nop 0
	buffer_store_dword v4, off, s[48:51], 0 offset:4 ; 4-byte Folded Spill
	buffer_store_dword v7, off, s[48:51], 0 offset:204 ; 4-byte Folded Spill
	s_nop 0
	buffer_store_dword v8, off, s[48:51], 0 offset:208 ; 4-byte Folded Spill
	s_and_saveexec_b64 s[36:37], vcc
	s_cbranch_execz .LBB215_151
; %bb.150:                              ;   in Loop: Header=BB215_9 Depth=1
	v_mov_b32_e32 v4, 7
	v_and_b32_sdwa v7, v3, v4 dst_sel:DWORD dst_unused:UNUSED_PAD src0_sel:BYTE_1 src1_sel:DWORD
	v_lshrrev_b32_e32 v4, 3, v0
	v_cmp_gt_u32_e32 vcc, 8, v0
	v_ffbh_u32_e32 v0, v7
	v_min_u32_e32 v0, 32, v0
	v_mov_b32_e32 v8, v61
	v_subrev_u32_e32 v9, 28, v0
	v_lshlrev_b64 v[8:9], v9, v[7:8]
	v_sub_u32_e32 v0, 29, v0
	v_and_b32_e32 v8, 7, v8
	v_cndmask_b32_e32 v0, v4, v0, vcc
	v_cndmask_b32_e32 v4, v7, v8, vcc
	v_bfrev_b32_e32 v7, 60
	v_lshlrev_b32_e32 v3, 16, v3
	v_lshl_add_u32 v0, v0, 23, v7
	v_and_or_b32 v0, v3, s44, v0
	v_lshlrev_b32_e32 v3, 20, v4
	v_or_b32_e32 v4, v0, v3
	v_mov_b32_e32 v3, v61
	buffer_store_dword v3, off, s[48:51], 0 offset:204 ; 4-byte Folded Spill
	s_nop 0
	buffer_store_dword v4, off, s[48:51], 0 offset:208 ; 4-byte Folded Spill
.LBB215_151:                            ;   in Loop: Header=BB215_9 Depth=1
	s_or_b64 exec, exec, s[36:37]
.LBB215_152:                            ;   in Loop: Header=BB215_9 Depth=1
	s_or_b64 exec, exec, s[34:35]
.LBB215_153:                            ;   in Loop: Header=BB215_9 Depth=1
	s_or_b64 exec, exec, s[16:17]
	global_load_ushort v0, v[5:6], off offset:1536
	v_mov_b32_e32 v7, 0
	v_mov_b32_e32 v8, 0
	buffer_store_dword v7, off, s[48:51], 0 offset:220 ; 4-byte Folded Spill
	s_nop 0
	buffer_store_dword v8, off, s[48:51], 0 offset:224 ; 4-byte Folded Spill
	v_mov_b32_e32 v7, 0
	v_mov_b32_e32 v8, 0
	buffer_store_dword v7, off, s[48:51], 0 offset:212 ; 4-byte Folded Spill
	s_nop 0
	buffer_store_dword v8, off, s[48:51], 0 offset:216 ; 4-byte Folded Spill
	s_waitcnt vmcnt(4)
	v_and_b32_e32 v3, 0xffff, v0
	v_cmp_ne_u16_sdwa s[34:35], v0, v61 src0_sel:BYTE_0 src1_sel:DWORD
	s_and_saveexec_b64 s[16:17], s[34:35]
	s_cbranch_execz .LBB215_159
; %bb.154:                              ;   in Loop: Header=BB215_9 Depth=1
	v_bfrev_b32_e32 v7, 1
	v_mov_b32_e32 v8, 0
	v_cmp_ne_u16_sdwa s[36:37], v3, s42 src0_sel:BYTE_0 src1_sel:DWORD
	buffer_store_dword v7, off, s[48:51], 0 offset:212 ; 4-byte Folded Spill
	s_nop 0
	buffer_store_dword v8, off, s[48:51], 0 offset:216 ; 4-byte Folded Spill
	s_and_saveexec_b64 s[34:35], s[36:37]
	s_cbranch_execz .LBB215_158
; %bb.155:                              ;   in Loop: Header=BB215_9 Depth=1
	v_and_b32_e32 v0, 0x7f, v3
	v_mov_b32_e32 v7, 0x7f800001
	v_mov_b32_e32 v8, 0
	v_cmp_ne_u32_e32 vcc, s43, v0
	buffer_store_dword v7, off, s[48:51], 0 offset:212 ; 4-byte Folded Spill
	s_nop 0
	buffer_store_dword v8, off, s[48:51], 0 offset:216 ; 4-byte Folded Spill
	s_and_saveexec_b64 s[36:37], vcc
	s_cbranch_execz .LBB215_157
; %bb.156:                              ;   in Loop: Header=BB215_9 Depth=1
	v_and_b32_e32 v4, 7, v3
	v_lshrrev_b32_e32 v9, 3, v0
	v_cmp_gt_u32_e32 vcc, 8, v0
	v_ffbh_u32_e32 v0, v4
	v_min_u32_e32 v0, 32, v0
	v_subrev_u32_e32 v7, 28, v0
	v_lshlrev_b64 v[7:8], v7, v[3:4]
	v_sub_u32_e32 v0, 29, v0
	v_and_b32_e32 v7, 7, v7
	v_cndmask_b32_e32 v0, v9, v0, vcc
	v_cndmask_b32_e32 v4, v4, v7, vcc
	v_bfrev_b32_e32 v8, 60
	v_lshlrev_b32_e32 v4, 20, v4
	v_and_b32_sdwa v7, sext(v3), s44 dst_sel:DWORD dst_unused:UNUSED_PAD src0_sel:BYTE_0 src1_sel:DWORD
	v_lshl_add_u32 v0, v0, 23, v8
	v_or3_b32 v7, v7, v0, v4
	v_mov_b32_e32 v8, v61
	buffer_store_dword v7, off, s[48:51], 0 offset:212 ; 4-byte Folded Spill
	s_nop 0
	buffer_store_dword v8, off, s[48:51], 0 offset:216 ; 4-byte Folded Spill
.LBB215_157:                            ;   in Loop: Header=BB215_9 Depth=1
	s_or_b64 exec, exec, s[36:37]
.LBB215_158:                            ;   in Loop: Header=BB215_9 Depth=1
	s_or_b64 exec, exec, s[34:35]
.LBB215_159:                            ;   in Loop: Header=BB215_9 Depth=1
	s_or_b64 exec, exec, s[16:17]
	v_cmp_ne_u16_sdwa s[34:35], v3, v61 src0_sel:BYTE_1 src1_sel:DWORD
	s_and_saveexec_b64 s[16:17], s[34:35]
	s_cbranch_execz .LBB215_165
; %bb.160:                              ;   in Loop: Header=BB215_9 Depth=1
	v_cmp_ne_u16_sdwa s[36:37], v3, s42 src0_sel:BYTE_1 src1_sel:DWORD
	buffer_store_dword v61, off, s[48:51], 0 offset:220 ; 4-byte Folded Spill
	s_nop 0
	buffer_store_dword v62, off, s[48:51], 0 offset:224 ; 4-byte Folded Spill
	s_and_saveexec_b64 s[34:35], s[36:37]
	s_cbranch_execz .LBB215_164
; %bb.161:                              ;   in Loop: Header=BB215_9 Depth=1
	buffer_load_dword v7, off, s[48:51], 0  ; 4-byte Folded Reload
	buffer_load_dword v8, off, s[48:51], 0 offset:4 ; 4-byte Folded Reload
	v_and_b32_sdwa v0, v3, s43 dst_sel:DWORD dst_unused:UNUSED_PAD src0_sel:BYTE_1 src1_sel:DWORD
	v_cmp_ne_u32_e32 vcc, s43, v0
	s_waitcnt vmcnt(1)
	v_mov_b32_e32 v7, v61
	s_waitcnt vmcnt(0)
	v_mov_b32_e32 v4, v8
	buffer_store_dword v3, off, s[48:51], 0 ; 4-byte Folded Spill
	s_nop 0
	buffer_store_dword v4, off, s[48:51], 0 offset:4 ; 4-byte Folded Spill
	buffer_store_dword v7, off, s[48:51], 0 offset:220 ; 4-byte Folded Spill
	s_nop 0
	buffer_store_dword v8, off, s[48:51], 0 offset:224 ; 4-byte Folded Spill
	s_and_saveexec_b64 s[36:37], vcc
	s_cbranch_execz .LBB215_163
; %bb.162:                              ;   in Loop: Header=BB215_9 Depth=1
	v_mov_b32_e32 v4, 7
	v_and_b32_sdwa v7, v3, v4 dst_sel:DWORD dst_unused:UNUSED_PAD src0_sel:BYTE_1 src1_sel:DWORD
	v_lshrrev_b32_e32 v4, 3, v0
	v_cmp_gt_u32_e32 vcc, 8, v0
	v_ffbh_u32_e32 v0, v7
	v_min_u32_e32 v0, 32, v0
	v_mov_b32_e32 v8, v61
	v_subrev_u32_e32 v9, 28, v0
	v_lshlrev_b64 v[8:9], v9, v[7:8]
	v_sub_u32_e32 v0, 29, v0
	v_and_b32_e32 v8, 7, v8
	v_cndmask_b32_e32 v0, v4, v0, vcc
	v_cndmask_b32_e32 v4, v7, v8, vcc
	v_bfrev_b32_e32 v7, 60
	v_lshlrev_b32_e32 v3, 16, v3
	v_lshl_add_u32 v0, v0, 23, v7
	v_and_or_b32 v0, v3, s44, v0
	v_lshlrev_b32_e32 v3, 20, v4
	v_or_b32_e32 v4, v0, v3
	v_mov_b32_e32 v3, v61
	buffer_store_dword v3, off, s[48:51], 0 offset:220 ; 4-byte Folded Spill
	s_nop 0
	buffer_store_dword v4, off, s[48:51], 0 offset:224 ; 4-byte Folded Spill
.LBB215_163:                            ;   in Loop: Header=BB215_9 Depth=1
	s_or_b64 exec, exec, s[36:37]
.LBB215_164:                            ;   in Loop: Header=BB215_9 Depth=1
	s_or_b64 exec, exec, s[34:35]
.LBB215_165:                            ;   in Loop: Header=BB215_9 Depth=1
	s_or_b64 exec, exec, s[16:17]
	global_load_ushort v0, v[5:6], off offset:1540
	v_mov_b32_e32 v7, 0
	v_mov_b32_e32 v8, 0
	buffer_store_dword v7, off, s[48:51], 0 offset:236 ; 4-byte Folded Spill
	s_nop 0
	buffer_store_dword v8, off, s[48:51], 0 offset:240 ; 4-byte Folded Spill
	v_mov_b32_e32 v7, 0
	v_mov_b32_e32 v8, 0
	buffer_store_dword v7, off, s[48:51], 0 offset:228 ; 4-byte Folded Spill
	s_nop 0
	buffer_store_dword v8, off, s[48:51], 0 offset:232 ; 4-byte Folded Spill
	s_waitcnt vmcnt(4)
	v_and_b32_e32 v3, 0xffff, v0
	v_cmp_ne_u16_sdwa s[34:35], v0, v61 src0_sel:BYTE_0 src1_sel:DWORD
	s_and_saveexec_b64 s[16:17], s[34:35]
	s_cbranch_execz .LBB215_171
; %bb.166:                              ;   in Loop: Header=BB215_9 Depth=1
	v_bfrev_b32_e32 v7, 1
	v_mov_b32_e32 v8, 0
	v_cmp_ne_u16_sdwa s[36:37], v3, s42 src0_sel:BYTE_0 src1_sel:DWORD
	buffer_store_dword v7, off, s[48:51], 0 offset:228 ; 4-byte Folded Spill
	s_nop 0
	buffer_store_dword v8, off, s[48:51], 0 offset:232 ; 4-byte Folded Spill
	s_and_saveexec_b64 s[34:35], s[36:37]
	s_cbranch_execz .LBB215_170
; %bb.167:                              ;   in Loop: Header=BB215_9 Depth=1
	v_and_b32_e32 v0, 0x7f, v3
	v_mov_b32_e32 v7, 0x7f800001
	v_mov_b32_e32 v8, 0
	v_cmp_ne_u32_e32 vcc, s43, v0
	buffer_store_dword v7, off, s[48:51], 0 offset:228 ; 4-byte Folded Spill
	s_nop 0
	buffer_store_dword v8, off, s[48:51], 0 offset:232 ; 4-byte Folded Spill
	s_and_saveexec_b64 s[36:37], vcc
	s_cbranch_execz .LBB215_169
; %bb.168:                              ;   in Loop: Header=BB215_9 Depth=1
	v_and_b32_e32 v4, 7, v3
	v_lshrrev_b32_e32 v9, 3, v0
	v_cmp_gt_u32_e32 vcc, 8, v0
	v_ffbh_u32_e32 v0, v4
	v_min_u32_e32 v0, 32, v0
	v_subrev_u32_e32 v7, 28, v0
	v_lshlrev_b64 v[7:8], v7, v[3:4]
	v_sub_u32_e32 v0, 29, v0
	v_and_b32_e32 v7, 7, v7
	v_cndmask_b32_e32 v0, v9, v0, vcc
	v_cndmask_b32_e32 v4, v4, v7, vcc
	v_bfrev_b32_e32 v8, 60
	v_lshlrev_b32_e32 v4, 20, v4
	v_and_b32_sdwa v7, sext(v3), s44 dst_sel:DWORD dst_unused:UNUSED_PAD src0_sel:BYTE_0 src1_sel:DWORD
	v_lshl_add_u32 v0, v0, 23, v8
	v_or3_b32 v7, v7, v0, v4
	v_mov_b32_e32 v8, v61
	buffer_store_dword v7, off, s[48:51], 0 offset:228 ; 4-byte Folded Spill
	s_nop 0
	buffer_store_dword v8, off, s[48:51], 0 offset:232 ; 4-byte Folded Spill
.LBB215_169:                            ;   in Loop: Header=BB215_9 Depth=1
	s_or_b64 exec, exec, s[36:37]
.LBB215_170:                            ;   in Loop: Header=BB215_9 Depth=1
	s_or_b64 exec, exec, s[34:35]
.LBB215_171:                            ;   in Loop: Header=BB215_9 Depth=1
	s_or_b64 exec, exec, s[16:17]
	v_cmp_ne_u16_sdwa s[34:35], v3, v61 src0_sel:BYTE_1 src1_sel:DWORD
	s_and_saveexec_b64 s[16:17], s[34:35]
	s_cbranch_execz .LBB215_177
; %bb.172:                              ;   in Loop: Header=BB215_9 Depth=1
	v_cmp_ne_u16_sdwa s[36:37], v3, s42 src0_sel:BYTE_1 src1_sel:DWORD
	buffer_store_dword v61, off, s[48:51], 0 offset:236 ; 4-byte Folded Spill
	s_nop 0
	buffer_store_dword v62, off, s[48:51], 0 offset:240 ; 4-byte Folded Spill
	s_and_saveexec_b64 s[34:35], s[36:37]
	s_cbranch_execz .LBB215_176
; %bb.173:                              ;   in Loop: Header=BB215_9 Depth=1
	buffer_load_dword v7, off, s[48:51], 0  ; 4-byte Folded Reload
	buffer_load_dword v8, off, s[48:51], 0 offset:4 ; 4-byte Folded Reload
	v_and_b32_sdwa v0, v3, s43 dst_sel:DWORD dst_unused:UNUSED_PAD src0_sel:BYTE_1 src1_sel:DWORD
	v_cmp_ne_u32_e32 vcc, s43, v0
	s_waitcnt vmcnt(1)
	v_mov_b32_e32 v7, v61
	s_waitcnt vmcnt(0)
	v_mov_b32_e32 v4, v8
	buffer_store_dword v3, off, s[48:51], 0 ; 4-byte Folded Spill
	s_nop 0
	buffer_store_dword v4, off, s[48:51], 0 offset:4 ; 4-byte Folded Spill
	buffer_store_dword v7, off, s[48:51], 0 offset:236 ; 4-byte Folded Spill
	s_nop 0
	buffer_store_dword v8, off, s[48:51], 0 offset:240 ; 4-byte Folded Spill
	s_and_saveexec_b64 s[36:37], vcc
	s_cbranch_execz .LBB215_175
; %bb.174:                              ;   in Loop: Header=BB215_9 Depth=1
	v_mov_b32_e32 v4, 7
	v_and_b32_sdwa v7, v3, v4 dst_sel:DWORD dst_unused:UNUSED_PAD src0_sel:BYTE_1 src1_sel:DWORD
	v_lshrrev_b32_e32 v4, 3, v0
	v_cmp_gt_u32_e32 vcc, 8, v0
	v_ffbh_u32_e32 v0, v7
	v_min_u32_e32 v0, 32, v0
	v_mov_b32_e32 v8, v61
	v_subrev_u32_e32 v9, 28, v0
	v_lshlrev_b64 v[8:9], v9, v[7:8]
	v_sub_u32_e32 v0, 29, v0
	v_and_b32_e32 v8, 7, v8
	v_cndmask_b32_e32 v0, v4, v0, vcc
	v_cndmask_b32_e32 v4, v7, v8, vcc
	v_bfrev_b32_e32 v7, 60
	v_lshlrev_b32_e32 v3, 16, v3
	v_lshl_add_u32 v0, v0, 23, v7
	v_and_or_b32 v0, v3, s44, v0
	v_lshlrev_b32_e32 v3, 20, v4
	v_or_b32_e32 v4, v0, v3
	v_mov_b32_e32 v3, v61
	buffer_store_dword v3, off, s[48:51], 0 offset:236 ; 4-byte Folded Spill
	s_nop 0
	buffer_store_dword v4, off, s[48:51], 0 offset:240 ; 4-byte Folded Spill
.LBB215_175:                            ;   in Loop: Header=BB215_9 Depth=1
	s_or_b64 exec, exec, s[36:37]
.LBB215_176:                            ;   in Loop: Header=BB215_9 Depth=1
	s_or_b64 exec, exec, s[34:35]
.LBB215_177:                            ;   in Loop: Header=BB215_9 Depth=1
	s_or_b64 exec, exec, s[16:17]
	global_load_ushort v0, v[5:6], off offset:1544
	v_mov_b32_e32 v7, 0
	v_mov_b32_e32 v8, 0
	buffer_store_dword v7, off, s[48:51], 0 offset:252 ; 4-byte Folded Spill
	s_nop 0
	buffer_store_dword v8, off, s[48:51], 0 offset:256 ; 4-byte Folded Spill
	v_mov_b32_e32 v7, 0
	v_mov_b32_e32 v8, 0
	buffer_store_dword v7, off, s[48:51], 0 offset:244 ; 4-byte Folded Spill
	s_nop 0
	buffer_store_dword v8, off, s[48:51], 0 offset:248 ; 4-byte Folded Spill
	s_waitcnt vmcnt(4)
	v_and_b32_e32 v3, 0xffff, v0
	v_cmp_ne_u16_sdwa s[34:35], v0, v61 src0_sel:BYTE_0 src1_sel:DWORD
	s_and_saveexec_b64 s[16:17], s[34:35]
	s_cbranch_execz .LBB215_183
; %bb.178:                              ;   in Loop: Header=BB215_9 Depth=1
	v_bfrev_b32_e32 v7, 1
	v_mov_b32_e32 v8, 0
	v_cmp_ne_u16_sdwa s[36:37], v3, s42 src0_sel:BYTE_0 src1_sel:DWORD
	buffer_store_dword v7, off, s[48:51], 0 offset:244 ; 4-byte Folded Spill
	s_nop 0
	buffer_store_dword v8, off, s[48:51], 0 offset:248 ; 4-byte Folded Spill
	s_and_saveexec_b64 s[34:35], s[36:37]
	s_cbranch_execz .LBB215_182
; %bb.179:                              ;   in Loop: Header=BB215_9 Depth=1
	v_and_b32_e32 v0, 0x7f, v3
	v_mov_b32_e32 v7, 0x7f800001
	v_mov_b32_e32 v8, 0
	v_cmp_ne_u32_e32 vcc, s43, v0
	buffer_store_dword v7, off, s[48:51], 0 offset:244 ; 4-byte Folded Spill
	s_nop 0
	buffer_store_dword v8, off, s[48:51], 0 offset:248 ; 4-byte Folded Spill
	s_and_saveexec_b64 s[36:37], vcc
	s_cbranch_execz .LBB215_181
; %bb.180:                              ;   in Loop: Header=BB215_9 Depth=1
	v_and_b32_e32 v4, 7, v3
	v_lshrrev_b32_e32 v9, 3, v0
	v_cmp_gt_u32_e32 vcc, 8, v0
	v_ffbh_u32_e32 v0, v4
	v_min_u32_e32 v0, 32, v0
	v_subrev_u32_e32 v7, 28, v0
	v_lshlrev_b64 v[7:8], v7, v[3:4]
	v_sub_u32_e32 v0, 29, v0
	v_and_b32_e32 v7, 7, v7
	v_cndmask_b32_e32 v0, v9, v0, vcc
	v_cndmask_b32_e32 v4, v4, v7, vcc
	v_bfrev_b32_e32 v8, 60
	v_lshlrev_b32_e32 v4, 20, v4
	v_and_b32_sdwa v7, sext(v3), s44 dst_sel:DWORD dst_unused:UNUSED_PAD src0_sel:BYTE_0 src1_sel:DWORD
	v_lshl_add_u32 v0, v0, 23, v8
	v_or3_b32 v7, v7, v0, v4
	v_mov_b32_e32 v8, v61
	buffer_store_dword v7, off, s[48:51], 0 offset:244 ; 4-byte Folded Spill
	s_nop 0
	buffer_store_dword v8, off, s[48:51], 0 offset:248 ; 4-byte Folded Spill
.LBB215_181:                            ;   in Loop: Header=BB215_9 Depth=1
	s_or_b64 exec, exec, s[36:37]
.LBB215_182:                            ;   in Loop: Header=BB215_9 Depth=1
	s_or_b64 exec, exec, s[34:35]
.LBB215_183:                            ;   in Loop: Header=BB215_9 Depth=1
	s_or_b64 exec, exec, s[16:17]
	v_cmp_ne_u16_sdwa s[34:35], v3, v61 src0_sel:BYTE_1 src1_sel:DWORD
	s_and_saveexec_b64 s[16:17], s[34:35]
	s_cbranch_execz .LBB215_189
; %bb.184:                              ;   in Loop: Header=BB215_9 Depth=1
	v_cmp_ne_u16_sdwa s[36:37], v3, s42 src0_sel:BYTE_1 src1_sel:DWORD
	buffer_store_dword v61, off, s[48:51], 0 offset:252 ; 4-byte Folded Spill
	s_nop 0
	buffer_store_dword v62, off, s[48:51], 0 offset:256 ; 4-byte Folded Spill
	s_and_saveexec_b64 s[34:35], s[36:37]
	s_cbranch_execz .LBB215_188
; %bb.185:                              ;   in Loop: Header=BB215_9 Depth=1
	buffer_load_dword v7, off, s[48:51], 0  ; 4-byte Folded Reload
	buffer_load_dword v8, off, s[48:51], 0 offset:4 ; 4-byte Folded Reload
	v_and_b32_sdwa v0, v3, s43 dst_sel:DWORD dst_unused:UNUSED_PAD src0_sel:BYTE_1 src1_sel:DWORD
	v_cmp_ne_u32_e32 vcc, s43, v0
	s_waitcnt vmcnt(1)
	v_mov_b32_e32 v7, v61
	s_waitcnt vmcnt(0)
	v_mov_b32_e32 v4, v8
	buffer_store_dword v3, off, s[48:51], 0 ; 4-byte Folded Spill
	s_nop 0
	buffer_store_dword v4, off, s[48:51], 0 offset:4 ; 4-byte Folded Spill
	buffer_store_dword v7, off, s[48:51], 0 offset:252 ; 4-byte Folded Spill
	s_nop 0
	buffer_store_dword v8, off, s[48:51], 0 offset:256 ; 4-byte Folded Spill
	s_and_saveexec_b64 s[36:37], vcc
	s_cbranch_execz .LBB215_187
; %bb.186:                              ;   in Loop: Header=BB215_9 Depth=1
	v_mov_b32_e32 v4, 7
	v_and_b32_sdwa v7, v3, v4 dst_sel:DWORD dst_unused:UNUSED_PAD src0_sel:BYTE_1 src1_sel:DWORD
	v_lshrrev_b32_e32 v4, 3, v0
	v_cmp_gt_u32_e32 vcc, 8, v0
	v_ffbh_u32_e32 v0, v7
	v_min_u32_e32 v0, 32, v0
	v_mov_b32_e32 v8, v61
	v_subrev_u32_e32 v9, 28, v0
	v_lshlrev_b64 v[8:9], v9, v[7:8]
	v_sub_u32_e32 v0, 29, v0
	v_and_b32_e32 v8, 7, v8
	v_cndmask_b32_e32 v0, v4, v0, vcc
	v_cndmask_b32_e32 v4, v7, v8, vcc
	v_bfrev_b32_e32 v7, 60
	v_lshlrev_b32_e32 v3, 16, v3
	v_lshl_add_u32 v0, v0, 23, v7
	v_and_or_b32 v0, v3, s44, v0
	v_lshlrev_b32_e32 v3, 20, v4
	v_or_b32_e32 v4, v0, v3
	v_mov_b32_e32 v3, v61
	buffer_store_dword v3, off, s[48:51], 0 offset:252 ; 4-byte Folded Spill
	s_nop 0
	buffer_store_dword v4, off, s[48:51], 0 offset:256 ; 4-byte Folded Spill
.LBB215_187:                            ;   in Loop: Header=BB215_9 Depth=1
	s_or_b64 exec, exec, s[36:37]
.LBB215_188:                            ;   in Loop: Header=BB215_9 Depth=1
	s_or_b64 exec, exec, s[34:35]
.LBB215_189:                            ;   in Loop: Header=BB215_9 Depth=1
	s_or_b64 exec, exec, s[16:17]
	global_load_ushort v0, v[5:6], off offset:1548
	v_mov_b32_e32 v7, 0
	v_mov_b32_e32 v8, 0
	buffer_store_dword v7, off, s[48:51], 0 offset:268 ; 4-byte Folded Spill
	s_nop 0
	buffer_store_dword v8, off, s[48:51], 0 offset:272 ; 4-byte Folded Spill
	v_mov_b32_e32 v7, 0
	v_mov_b32_e32 v8, 0
	buffer_store_dword v7, off, s[48:51], 0 offset:260 ; 4-byte Folded Spill
	s_nop 0
	buffer_store_dword v8, off, s[48:51], 0 offset:264 ; 4-byte Folded Spill
	s_waitcnt vmcnt(4)
	v_and_b32_e32 v3, 0xffff, v0
	v_cmp_ne_u16_sdwa s[34:35], v0, v61 src0_sel:BYTE_0 src1_sel:DWORD
	s_and_saveexec_b64 s[16:17], s[34:35]
	s_cbranch_execz .LBB215_195
; %bb.190:                              ;   in Loop: Header=BB215_9 Depth=1
	v_bfrev_b32_e32 v7, 1
	v_mov_b32_e32 v8, 0
	v_cmp_ne_u16_sdwa s[36:37], v3, s42 src0_sel:BYTE_0 src1_sel:DWORD
	buffer_store_dword v7, off, s[48:51], 0 offset:260 ; 4-byte Folded Spill
	s_nop 0
	buffer_store_dword v8, off, s[48:51], 0 offset:264 ; 4-byte Folded Spill
	s_and_saveexec_b64 s[34:35], s[36:37]
	s_cbranch_execz .LBB215_194
; %bb.191:                              ;   in Loop: Header=BB215_9 Depth=1
	v_and_b32_e32 v0, 0x7f, v3
	v_mov_b32_e32 v7, 0x7f800001
	v_mov_b32_e32 v8, 0
	v_cmp_ne_u32_e32 vcc, s43, v0
	buffer_store_dword v7, off, s[48:51], 0 offset:260 ; 4-byte Folded Spill
	s_nop 0
	buffer_store_dword v8, off, s[48:51], 0 offset:264 ; 4-byte Folded Spill
	s_and_saveexec_b64 s[36:37], vcc
	s_cbranch_execz .LBB215_193
; %bb.192:                              ;   in Loop: Header=BB215_9 Depth=1
	v_and_b32_e32 v4, 7, v3
	v_lshrrev_b32_e32 v9, 3, v0
	v_cmp_gt_u32_e32 vcc, 8, v0
	v_ffbh_u32_e32 v0, v4
	v_min_u32_e32 v0, 32, v0
	v_subrev_u32_e32 v7, 28, v0
	v_lshlrev_b64 v[7:8], v7, v[3:4]
	v_sub_u32_e32 v0, 29, v0
	v_and_b32_e32 v7, 7, v7
	v_cndmask_b32_e32 v0, v9, v0, vcc
	v_cndmask_b32_e32 v4, v4, v7, vcc
	v_bfrev_b32_e32 v8, 60
	v_lshlrev_b32_e32 v4, 20, v4
	v_and_b32_sdwa v7, sext(v3), s44 dst_sel:DWORD dst_unused:UNUSED_PAD src0_sel:BYTE_0 src1_sel:DWORD
	v_lshl_add_u32 v0, v0, 23, v8
	v_or3_b32 v7, v7, v0, v4
	v_mov_b32_e32 v8, v61
	buffer_store_dword v7, off, s[48:51], 0 offset:260 ; 4-byte Folded Spill
	s_nop 0
	buffer_store_dword v8, off, s[48:51], 0 offset:264 ; 4-byte Folded Spill
.LBB215_193:                            ;   in Loop: Header=BB215_9 Depth=1
	s_or_b64 exec, exec, s[36:37]
.LBB215_194:                            ;   in Loop: Header=BB215_9 Depth=1
	s_or_b64 exec, exec, s[34:35]
.LBB215_195:                            ;   in Loop: Header=BB215_9 Depth=1
	s_or_b64 exec, exec, s[16:17]
	v_cmp_ne_u16_sdwa s[34:35], v3, v61 src0_sel:BYTE_1 src1_sel:DWORD
	s_and_saveexec_b64 s[16:17], s[34:35]
	s_cbranch_execz .LBB215_201
; %bb.196:                              ;   in Loop: Header=BB215_9 Depth=1
	v_cmp_ne_u16_sdwa s[36:37], v3, s42 src0_sel:BYTE_1 src1_sel:DWORD
	buffer_store_dword v61, off, s[48:51], 0 offset:268 ; 4-byte Folded Spill
	s_nop 0
	buffer_store_dword v62, off, s[48:51], 0 offset:272 ; 4-byte Folded Spill
	s_and_saveexec_b64 s[34:35], s[36:37]
	s_cbranch_execz .LBB215_200
; %bb.197:                              ;   in Loop: Header=BB215_9 Depth=1
	buffer_load_dword v7, off, s[48:51], 0  ; 4-byte Folded Reload
	buffer_load_dword v8, off, s[48:51], 0 offset:4 ; 4-byte Folded Reload
	v_and_b32_sdwa v0, v3, s43 dst_sel:DWORD dst_unused:UNUSED_PAD src0_sel:BYTE_1 src1_sel:DWORD
	v_cmp_ne_u32_e32 vcc, s43, v0
	s_waitcnt vmcnt(1)
	v_mov_b32_e32 v7, v61
	s_waitcnt vmcnt(0)
	v_mov_b32_e32 v4, v8
	buffer_store_dword v3, off, s[48:51], 0 ; 4-byte Folded Spill
	s_nop 0
	buffer_store_dword v4, off, s[48:51], 0 offset:4 ; 4-byte Folded Spill
	buffer_store_dword v7, off, s[48:51], 0 offset:268 ; 4-byte Folded Spill
	s_nop 0
	buffer_store_dword v8, off, s[48:51], 0 offset:272 ; 4-byte Folded Spill
	s_and_saveexec_b64 s[36:37], vcc
	s_cbranch_execz .LBB215_199
; %bb.198:                              ;   in Loop: Header=BB215_9 Depth=1
	v_mov_b32_e32 v4, 7
	v_and_b32_sdwa v7, v3, v4 dst_sel:DWORD dst_unused:UNUSED_PAD src0_sel:BYTE_1 src1_sel:DWORD
	v_lshrrev_b32_e32 v4, 3, v0
	v_cmp_gt_u32_e32 vcc, 8, v0
	v_ffbh_u32_e32 v0, v7
	v_min_u32_e32 v0, 32, v0
	v_mov_b32_e32 v8, v61
	v_subrev_u32_e32 v9, 28, v0
	v_lshlrev_b64 v[8:9], v9, v[7:8]
	v_sub_u32_e32 v0, 29, v0
	v_and_b32_e32 v8, 7, v8
	v_cndmask_b32_e32 v0, v4, v0, vcc
	v_cndmask_b32_e32 v4, v7, v8, vcc
	v_bfrev_b32_e32 v7, 60
	v_lshlrev_b32_e32 v3, 16, v3
	v_lshl_add_u32 v0, v0, 23, v7
	v_and_or_b32 v0, v3, s44, v0
	v_lshlrev_b32_e32 v3, 20, v4
	v_or_b32_e32 v4, v0, v3
	v_mov_b32_e32 v3, v61
	buffer_store_dword v3, off, s[48:51], 0 offset:268 ; 4-byte Folded Spill
	s_nop 0
	buffer_store_dword v4, off, s[48:51], 0 offset:272 ; 4-byte Folded Spill
.LBB215_199:                            ;   in Loop: Header=BB215_9 Depth=1
	s_or_b64 exec, exec, s[36:37]
.LBB215_200:                            ;   in Loop: Header=BB215_9 Depth=1
	s_or_b64 exec, exec, s[34:35]
.LBB215_201:                            ;   in Loop: Header=BB215_9 Depth=1
	s_or_b64 exec, exec, s[16:17]
	global_load_ushort v0, v[5:6], off offset:2048
	v_mov_b32_e32 v7, 0
	v_mov_b32_e32 v10, 0
	;; [unrolled: 1-line block ×4, first 2 shown]
	buffer_store_dword v7, off, s[48:51], 0 offset:276 ; 4-byte Folded Spill
	s_nop 0
	buffer_store_dword v8, off, s[48:51], 0 offset:280 ; 4-byte Folded Spill
	s_waitcnt vmcnt(2)
	v_and_b32_e32 v3, 0xffff, v0
	v_cmp_ne_u16_sdwa s[34:35], v0, v61 src0_sel:BYTE_0 src1_sel:DWORD
	s_and_saveexec_b64 s[16:17], s[34:35]
	s_cbranch_execz .LBB215_207
; %bb.202:                              ;   in Loop: Header=BB215_9 Depth=1
	v_bfrev_b32_e32 v10, 1
	v_mov_b32_e32 v11, 0
	v_cmp_ne_u16_sdwa s[36:37], v3, s42 src0_sel:BYTE_0 src1_sel:DWORD
	s_and_saveexec_b64 s[34:35], s[36:37]
	s_cbranch_execz .LBB215_206
; %bb.203:                              ;   in Loop: Header=BB215_9 Depth=1
	v_and_b32_e32 v0, 0x7f, v3
	v_mov_b32_e32 v10, 0x7f800001
	v_mov_b32_e32 v11, 0
	v_cmp_ne_u32_e32 vcc, s43, v0
	s_and_saveexec_b64 s[36:37], vcc
	s_cbranch_execz .LBB215_205
; %bb.204:                              ;   in Loop: Header=BB215_9 Depth=1
	v_and_b32_e32 v4, 7, v3
	v_lshrrev_b32_e32 v9, 3, v0
	v_cmp_gt_u32_e32 vcc, 8, v0
	v_ffbh_u32_e32 v0, v4
	v_min_u32_e32 v0, 32, v0
	v_subrev_u32_e32 v7, 28, v0
	v_lshlrev_b64 v[7:8], v7, v[3:4]
	v_sub_u32_e32 v0, 29, v0
	v_and_b32_e32 v7, 7, v7
	v_cndmask_b32_e32 v0, v9, v0, vcc
	v_cndmask_b32_e32 v4, v4, v7, vcc
	v_bfrev_b32_e32 v8, 60
	v_lshlrev_b32_e32 v4, 20, v4
	v_and_b32_sdwa v7, sext(v3), s44 dst_sel:DWORD dst_unused:UNUSED_PAD src0_sel:BYTE_0 src1_sel:DWORD
	v_lshl_add_u32 v0, v0, 23, v8
	v_or3_b32 v10, v7, v0, v4
	v_mov_b32_e32 v11, v61
.LBB215_205:                            ;   in Loop: Header=BB215_9 Depth=1
	s_or_b64 exec, exec, s[36:37]
.LBB215_206:                            ;   in Loop: Header=BB215_9 Depth=1
	s_or_b64 exec, exec, s[34:35]
.LBB215_207:                            ;   in Loop: Header=BB215_9 Depth=1
	s_or_b64 exec, exec, s[16:17]
	v_cmp_ne_u16_sdwa s[34:35], v3, v61 src0_sel:BYTE_1 src1_sel:DWORD
	s_and_saveexec_b64 s[16:17], s[34:35]
	s_cbranch_execz .LBB215_213
; %bb.208:                              ;   in Loop: Header=BB215_9 Depth=1
	v_cmp_ne_u16_sdwa s[36:37], v3, s42 src0_sel:BYTE_1 src1_sel:DWORD
	buffer_store_dword v61, off, s[48:51], 0 offset:276 ; 4-byte Folded Spill
	s_nop 0
	buffer_store_dword v62, off, s[48:51], 0 offset:280 ; 4-byte Folded Spill
	s_and_saveexec_b64 s[34:35], s[36:37]
	s_cbranch_execz .LBB215_212
; %bb.209:                              ;   in Loop: Header=BB215_9 Depth=1
	buffer_load_dword v7, off, s[48:51], 0  ; 4-byte Folded Reload
	buffer_load_dword v8, off, s[48:51], 0 offset:4 ; 4-byte Folded Reload
	v_and_b32_sdwa v0, v3, s43 dst_sel:DWORD dst_unused:UNUSED_PAD src0_sel:BYTE_1 src1_sel:DWORD
	v_cmp_ne_u32_e32 vcc, s43, v0
	s_waitcnt vmcnt(1)
	v_mov_b32_e32 v7, v61
	s_waitcnt vmcnt(0)
	v_mov_b32_e32 v4, v8
	buffer_store_dword v3, off, s[48:51], 0 ; 4-byte Folded Spill
	s_nop 0
	buffer_store_dword v4, off, s[48:51], 0 offset:4 ; 4-byte Folded Spill
	buffer_store_dword v7, off, s[48:51], 0 offset:276 ; 4-byte Folded Spill
	s_nop 0
	buffer_store_dword v8, off, s[48:51], 0 offset:280 ; 4-byte Folded Spill
	s_and_saveexec_b64 s[36:37], vcc
	s_cbranch_execz .LBB215_211
; %bb.210:                              ;   in Loop: Header=BB215_9 Depth=1
	v_mov_b32_e32 v4, 7
	v_and_b32_sdwa v7, v3, v4 dst_sel:DWORD dst_unused:UNUSED_PAD src0_sel:BYTE_1 src1_sel:DWORD
	v_lshrrev_b32_e32 v4, 3, v0
	v_cmp_gt_u32_e32 vcc, 8, v0
	v_ffbh_u32_e32 v0, v7
	v_min_u32_e32 v0, 32, v0
	v_mov_b32_e32 v8, v61
	v_subrev_u32_e32 v9, 28, v0
	v_lshlrev_b64 v[8:9], v9, v[7:8]
	v_sub_u32_e32 v0, 29, v0
	v_and_b32_e32 v8, 7, v8
	v_cndmask_b32_e32 v0, v4, v0, vcc
	v_cndmask_b32_e32 v4, v7, v8, vcc
	v_bfrev_b32_e32 v7, 60
	v_lshlrev_b32_e32 v3, 16, v3
	v_lshl_add_u32 v0, v0, 23, v7
	v_and_or_b32 v0, v3, s44, v0
	v_lshlrev_b32_e32 v3, 20, v4
	v_or_b32_e32 v4, v0, v3
	v_mov_b32_e32 v3, v61
	buffer_store_dword v3, off, s[48:51], 0 offset:276 ; 4-byte Folded Spill
	s_nop 0
	buffer_store_dword v4, off, s[48:51], 0 offset:280 ; 4-byte Folded Spill
.LBB215_211:                            ;   in Loop: Header=BB215_9 Depth=1
	s_or_b64 exec, exec, s[36:37]
.LBB215_212:                            ;   in Loop: Header=BB215_9 Depth=1
	s_or_b64 exec, exec, s[34:35]
.LBB215_213:                            ;   in Loop: Header=BB215_9 Depth=1
	s_or_b64 exec, exec, s[16:17]
	global_load_ushort v0, v[5:6], off offset:2052
	v_mov_b32_e32 v7, 0
	v_mov_b32_e32 v8, 0
	buffer_store_dword v7, off, s[48:51], 0 offset:292 ; 4-byte Folded Spill
	s_nop 0
	buffer_store_dword v8, off, s[48:51], 0 offset:296 ; 4-byte Folded Spill
	v_mov_b32_e32 v7, 0
	v_mov_b32_e32 v8, 0
	buffer_store_dword v7, off, s[48:51], 0 offset:284 ; 4-byte Folded Spill
	s_nop 0
	buffer_store_dword v8, off, s[48:51], 0 offset:288 ; 4-byte Folded Spill
	s_waitcnt vmcnt(4)
	v_and_b32_e32 v3, 0xffff, v0
	v_cmp_ne_u16_sdwa s[34:35], v0, v61 src0_sel:BYTE_0 src1_sel:DWORD
	s_and_saveexec_b64 s[16:17], s[34:35]
	s_cbranch_execz .LBB215_219
; %bb.214:                              ;   in Loop: Header=BB215_9 Depth=1
	v_bfrev_b32_e32 v7, 1
	v_mov_b32_e32 v8, 0
	v_cmp_ne_u16_sdwa s[36:37], v3, s42 src0_sel:BYTE_0 src1_sel:DWORD
	buffer_store_dword v7, off, s[48:51], 0 offset:284 ; 4-byte Folded Spill
	s_nop 0
	buffer_store_dword v8, off, s[48:51], 0 offset:288 ; 4-byte Folded Spill
	s_and_saveexec_b64 s[34:35], s[36:37]
	s_cbranch_execz .LBB215_218
; %bb.215:                              ;   in Loop: Header=BB215_9 Depth=1
	v_and_b32_e32 v0, 0x7f, v3
	v_mov_b32_e32 v7, 0x7f800001
	v_mov_b32_e32 v8, 0
	v_cmp_ne_u32_e32 vcc, s43, v0
	buffer_store_dword v7, off, s[48:51], 0 offset:284 ; 4-byte Folded Spill
	s_nop 0
	buffer_store_dword v8, off, s[48:51], 0 offset:288 ; 4-byte Folded Spill
	s_and_saveexec_b64 s[36:37], vcc
	s_cbranch_execz .LBB215_217
; %bb.216:                              ;   in Loop: Header=BB215_9 Depth=1
	v_and_b32_e32 v4, 7, v3
	v_lshrrev_b32_e32 v9, 3, v0
	v_cmp_gt_u32_e32 vcc, 8, v0
	v_ffbh_u32_e32 v0, v4
	v_min_u32_e32 v0, 32, v0
	v_subrev_u32_e32 v7, 28, v0
	v_lshlrev_b64 v[7:8], v7, v[3:4]
	v_sub_u32_e32 v0, 29, v0
	v_and_b32_e32 v7, 7, v7
	v_cndmask_b32_e32 v0, v9, v0, vcc
	v_cndmask_b32_e32 v4, v4, v7, vcc
	v_bfrev_b32_e32 v8, 60
	v_lshlrev_b32_e32 v4, 20, v4
	v_and_b32_sdwa v7, sext(v3), s44 dst_sel:DWORD dst_unused:UNUSED_PAD src0_sel:BYTE_0 src1_sel:DWORD
	v_lshl_add_u32 v0, v0, 23, v8
	v_or3_b32 v7, v7, v0, v4
	v_mov_b32_e32 v8, v61
	buffer_store_dword v7, off, s[48:51], 0 offset:284 ; 4-byte Folded Spill
	s_nop 0
	buffer_store_dword v8, off, s[48:51], 0 offset:288 ; 4-byte Folded Spill
.LBB215_217:                            ;   in Loop: Header=BB215_9 Depth=1
	s_or_b64 exec, exec, s[36:37]
.LBB215_218:                            ;   in Loop: Header=BB215_9 Depth=1
	s_or_b64 exec, exec, s[34:35]
.LBB215_219:                            ;   in Loop: Header=BB215_9 Depth=1
	s_or_b64 exec, exec, s[16:17]
	v_cmp_ne_u16_sdwa s[34:35], v3, v61 src0_sel:BYTE_1 src1_sel:DWORD
	s_and_saveexec_b64 s[16:17], s[34:35]
	s_cbranch_execz .LBB215_225
; %bb.220:                              ;   in Loop: Header=BB215_9 Depth=1
	v_cmp_ne_u16_sdwa s[36:37], v3, s42 src0_sel:BYTE_1 src1_sel:DWORD
	buffer_store_dword v61, off, s[48:51], 0 offset:292 ; 4-byte Folded Spill
	s_nop 0
	buffer_store_dword v62, off, s[48:51], 0 offset:296 ; 4-byte Folded Spill
	s_and_saveexec_b64 s[34:35], s[36:37]
	s_cbranch_execz .LBB215_224
; %bb.221:                              ;   in Loop: Header=BB215_9 Depth=1
	buffer_load_dword v7, off, s[48:51], 0  ; 4-byte Folded Reload
	buffer_load_dword v8, off, s[48:51], 0 offset:4 ; 4-byte Folded Reload
	v_and_b32_sdwa v0, v3, s43 dst_sel:DWORD dst_unused:UNUSED_PAD src0_sel:BYTE_1 src1_sel:DWORD
	v_cmp_ne_u32_e32 vcc, s43, v0
	s_waitcnt vmcnt(1)
	v_mov_b32_e32 v7, v61
	s_waitcnt vmcnt(0)
	v_mov_b32_e32 v4, v8
	buffer_store_dword v3, off, s[48:51], 0 ; 4-byte Folded Spill
	s_nop 0
	buffer_store_dword v4, off, s[48:51], 0 offset:4 ; 4-byte Folded Spill
	buffer_store_dword v7, off, s[48:51], 0 offset:292 ; 4-byte Folded Spill
	s_nop 0
	buffer_store_dword v8, off, s[48:51], 0 offset:296 ; 4-byte Folded Spill
	s_and_saveexec_b64 s[36:37], vcc
	s_cbranch_execz .LBB215_223
; %bb.222:                              ;   in Loop: Header=BB215_9 Depth=1
	v_mov_b32_e32 v4, 7
	v_and_b32_sdwa v7, v3, v4 dst_sel:DWORD dst_unused:UNUSED_PAD src0_sel:BYTE_1 src1_sel:DWORD
	v_lshrrev_b32_e32 v4, 3, v0
	v_cmp_gt_u32_e32 vcc, 8, v0
	v_ffbh_u32_e32 v0, v7
	v_min_u32_e32 v0, 32, v0
	v_mov_b32_e32 v8, v61
	v_subrev_u32_e32 v9, 28, v0
	v_lshlrev_b64 v[8:9], v9, v[7:8]
	v_sub_u32_e32 v0, 29, v0
	v_and_b32_e32 v8, 7, v8
	v_cndmask_b32_e32 v0, v4, v0, vcc
	v_cndmask_b32_e32 v4, v7, v8, vcc
	v_bfrev_b32_e32 v7, 60
	v_lshlrev_b32_e32 v3, 16, v3
	v_lshl_add_u32 v0, v0, 23, v7
	v_and_or_b32 v0, v3, s44, v0
	v_lshlrev_b32_e32 v3, 20, v4
	v_or_b32_e32 v4, v0, v3
	v_mov_b32_e32 v3, v61
	buffer_store_dword v3, off, s[48:51], 0 offset:292 ; 4-byte Folded Spill
	s_nop 0
	buffer_store_dword v4, off, s[48:51], 0 offset:296 ; 4-byte Folded Spill
.LBB215_223:                            ;   in Loop: Header=BB215_9 Depth=1
	s_or_b64 exec, exec, s[36:37]
.LBB215_224:                            ;   in Loop: Header=BB215_9 Depth=1
	s_or_b64 exec, exec, s[34:35]
.LBB215_225:                            ;   in Loop: Header=BB215_9 Depth=1
	s_or_b64 exec, exec, s[16:17]
	global_load_ushort v0, v[5:6], off offset:2056
	v_mov_b32_e32 v7, 0
	v_mov_b32_e32 v8, 0
	buffer_store_dword v7, off, s[48:51], 0 offset:308 ; 4-byte Folded Spill
	s_nop 0
	buffer_store_dword v8, off, s[48:51], 0 offset:312 ; 4-byte Folded Spill
	v_mov_b32_e32 v7, 0
	v_mov_b32_e32 v8, 0
	buffer_store_dword v7, off, s[48:51], 0 offset:300 ; 4-byte Folded Spill
	s_nop 0
	buffer_store_dword v8, off, s[48:51], 0 offset:304 ; 4-byte Folded Spill
	s_waitcnt vmcnt(4)
	v_and_b32_e32 v3, 0xffff, v0
	v_cmp_ne_u16_sdwa s[34:35], v0, v61 src0_sel:BYTE_0 src1_sel:DWORD
	s_and_saveexec_b64 s[16:17], s[34:35]
	s_cbranch_execz .LBB215_231
; %bb.226:                              ;   in Loop: Header=BB215_9 Depth=1
	v_bfrev_b32_e32 v7, 1
	v_mov_b32_e32 v8, 0
	v_cmp_ne_u16_sdwa s[36:37], v3, s42 src0_sel:BYTE_0 src1_sel:DWORD
	buffer_store_dword v7, off, s[48:51], 0 offset:300 ; 4-byte Folded Spill
	s_nop 0
	buffer_store_dword v8, off, s[48:51], 0 offset:304 ; 4-byte Folded Spill
	s_and_saveexec_b64 s[34:35], s[36:37]
	s_cbranch_execz .LBB215_230
; %bb.227:                              ;   in Loop: Header=BB215_9 Depth=1
	v_and_b32_e32 v0, 0x7f, v3
	v_mov_b32_e32 v7, 0x7f800001
	v_mov_b32_e32 v8, 0
	v_cmp_ne_u32_e32 vcc, s43, v0
	buffer_store_dword v7, off, s[48:51], 0 offset:300 ; 4-byte Folded Spill
	s_nop 0
	buffer_store_dword v8, off, s[48:51], 0 offset:304 ; 4-byte Folded Spill
	s_and_saveexec_b64 s[36:37], vcc
	s_cbranch_execz .LBB215_229
; %bb.228:                              ;   in Loop: Header=BB215_9 Depth=1
	v_and_b32_e32 v4, 7, v3
	v_lshrrev_b32_e32 v9, 3, v0
	v_cmp_gt_u32_e32 vcc, 8, v0
	v_ffbh_u32_e32 v0, v4
	v_min_u32_e32 v0, 32, v0
	v_subrev_u32_e32 v7, 28, v0
	v_lshlrev_b64 v[7:8], v7, v[3:4]
	v_sub_u32_e32 v0, 29, v0
	v_and_b32_e32 v7, 7, v7
	v_cndmask_b32_e32 v0, v9, v0, vcc
	v_cndmask_b32_e32 v4, v4, v7, vcc
	v_bfrev_b32_e32 v8, 60
	v_lshlrev_b32_e32 v4, 20, v4
	v_and_b32_sdwa v7, sext(v3), s44 dst_sel:DWORD dst_unused:UNUSED_PAD src0_sel:BYTE_0 src1_sel:DWORD
	v_lshl_add_u32 v0, v0, 23, v8
	v_or3_b32 v7, v7, v0, v4
	v_mov_b32_e32 v8, v61
	buffer_store_dword v7, off, s[48:51], 0 offset:300 ; 4-byte Folded Spill
	s_nop 0
	buffer_store_dword v8, off, s[48:51], 0 offset:304 ; 4-byte Folded Spill
.LBB215_229:                            ;   in Loop: Header=BB215_9 Depth=1
	s_or_b64 exec, exec, s[36:37]
.LBB215_230:                            ;   in Loop: Header=BB215_9 Depth=1
	s_or_b64 exec, exec, s[34:35]
.LBB215_231:                            ;   in Loop: Header=BB215_9 Depth=1
	s_or_b64 exec, exec, s[16:17]
	v_cmp_ne_u16_sdwa s[34:35], v3, v61 src0_sel:BYTE_1 src1_sel:DWORD
	s_and_saveexec_b64 s[16:17], s[34:35]
	s_cbranch_execz .LBB215_237
; %bb.232:                              ;   in Loop: Header=BB215_9 Depth=1
	v_cmp_ne_u16_sdwa s[36:37], v3, s42 src0_sel:BYTE_1 src1_sel:DWORD
	buffer_store_dword v61, off, s[48:51], 0 offset:308 ; 4-byte Folded Spill
	s_nop 0
	buffer_store_dword v62, off, s[48:51], 0 offset:312 ; 4-byte Folded Spill
	s_and_saveexec_b64 s[34:35], s[36:37]
	s_cbranch_execz .LBB215_236
; %bb.233:                              ;   in Loop: Header=BB215_9 Depth=1
	buffer_load_dword v7, off, s[48:51], 0  ; 4-byte Folded Reload
	buffer_load_dword v8, off, s[48:51], 0 offset:4 ; 4-byte Folded Reload
	v_and_b32_sdwa v0, v3, s43 dst_sel:DWORD dst_unused:UNUSED_PAD src0_sel:BYTE_1 src1_sel:DWORD
	v_cmp_ne_u32_e32 vcc, s43, v0
	s_waitcnt vmcnt(1)
	v_mov_b32_e32 v7, v61
	s_waitcnt vmcnt(0)
	v_mov_b32_e32 v4, v8
	buffer_store_dword v3, off, s[48:51], 0 ; 4-byte Folded Spill
	s_nop 0
	buffer_store_dword v4, off, s[48:51], 0 offset:4 ; 4-byte Folded Spill
	buffer_store_dword v7, off, s[48:51], 0 offset:308 ; 4-byte Folded Spill
	s_nop 0
	buffer_store_dword v8, off, s[48:51], 0 offset:312 ; 4-byte Folded Spill
	s_and_saveexec_b64 s[36:37], vcc
	s_cbranch_execz .LBB215_235
; %bb.234:                              ;   in Loop: Header=BB215_9 Depth=1
	v_mov_b32_e32 v4, 7
	v_and_b32_sdwa v7, v3, v4 dst_sel:DWORD dst_unused:UNUSED_PAD src0_sel:BYTE_1 src1_sel:DWORD
	v_lshrrev_b32_e32 v4, 3, v0
	v_cmp_gt_u32_e32 vcc, 8, v0
	v_ffbh_u32_e32 v0, v7
	v_min_u32_e32 v0, 32, v0
	v_mov_b32_e32 v8, v61
	v_subrev_u32_e32 v9, 28, v0
	v_lshlrev_b64 v[8:9], v9, v[7:8]
	v_sub_u32_e32 v0, 29, v0
	v_and_b32_e32 v8, 7, v8
	v_cndmask_b32_e32 v0, v4, v0, vcc
	v_cndmask_b32_e32 v4, v7, v8, vcc
	v_bfrev_b32_e32 v7, 60
	v_lshlrev_b32_e32 v3, 16, v3
	v_lshl_add_u32 v0, v0, 23, v7
	v_and_or_b32 v0, v3, s44, v0
	v_lshlrev_b32_e32 v3, 20, v4
	v_or_b32_e32 v4, v0, v3
	v_mov_b32_e32 v3, v61
	buffer_store_dword v3, off, s[48:51], 0 offset:308 ; 4-byte Folded Spill
	s_nop 0
	buffer_store_dword v4, off, s[48:51], 0 offset:312 ; 4-byte Folded Spill
.LBB215_235:                            ;   in Loop: Header=BB215_9 Depth=1
	s_or_b64 exec, exec, s[36:37]
.LBB215_236:                            ;   in Loop: Header=BB215_9 Depth=1
	s_or_b64 exec, exec, s[34:35]
.LBB215_237:                            ;   in Loop: Header=BB215_9 Depth=1
	s_or_b64 exec, exec, s[16:17]
	global_load_ushort v0, v[5:6], off offset:2060
	v_mov_b32_e32 v7, 0
	v_mov_b32_e32 v8, 0
	buffer_store_dword v7, off, s[48:51], 0 offset:324 ; 4-byte Folded Spill
	s_nop 0
	buffer_store_dword v8, off, s[48:51], 0 offset:328 ; 4-byte Folded Spill
	v_mov_b32_e32 v7, 0
	v_mov_b32_e32 v8, 0
	buffer_store_dword v7, off, s[48:51], 0 offset:316 ; 4-byte Folded Spill
	s_nop 0
	buffer_store_dword v8, off, s[48:51], 0 offset:320 ; 4-byte Folded Spill
	s_waitcnt vmcnt(4)
	v_and_b32_e32 v3, 0xffff, v0
	v_cmp_ne_u16_sdwa s[34:35], v0, v61 src0_sel:BYTE_0 src1_sel:DWORD
	s_and_saveexec_b64 s[16:17], s[34:35]
	s_cbranch_execz .LBB215_243
; %bb.238:                              ;   in Loop: Header=BB215_9 Depth=1
	v_bfrev_b32_e32 v7, 1
	v_mov_b32_e32 v8, 0
	v_cmp_ne_u16_sdwa s[36:37], v3, s42 src0_sel:BYTE_0 src1_sel:DWORD
	buffer_store_dword v7, off, s[48:51], 0 offset:316 ; 4-byte Folded Spill
	s_nop 0
	buffer_store_dword v8, off, s[48:51], 0 offset:320 ; 4-byte Folded Spill
	s_and_saveexec_b64 s[34:35], s[36:37]
	s_cbranch_execz .LBB215_242
; %bb.239:                              ;   in Loop: Header=BB215_9 Depth=1
	v_and_b32_e32 v0, 0x7f, v3
	v_mov_b32_e32 v7, 0x7f800001
	v_mov_b32_e32 v8, 0
	v_cmp_ne_u32_e32 vcc, s43, v0
	buffer_store_dword v7, off, s[48:51], 0 offset:316 ; 4-byte Folded Spill
	s_nop 0
	buffer_store_dword v8, off, s[48:51], 0 offset:320 ; 4-byte Folded Spill
	s_and_saveexec_b64 s[36:37], vcc
	s_cbranch_execz .LBB215_241
; %bb.240:                              ;   in Loop: Header=BB215_9 Depth=1
	v_and_b32_e32 v4, 7, v3
	v_lshrrev_b32_e32 v9, 3, v0
	v_cmp_gt_u32_e32 vcc, 8, v0
	v_ffbh_u32_e32 v0, v4
	v_min_u32_e32 v0, 32, v0
	v_subrev_u32_e32 v7, 28, v0
	v_lshlrev_b64 v[7:8], v7, v[3:4]
	v_sub_u32_e32 v0, 29, v0
	v_and_b32_e32 v7, 7, v7
	v_cndmask_b32_e32 v0, v9, v0, vcc
	v_cndmask_b32_e32 v4, v4, v7, vcc
	v_bfrev_b32_e32 v8, 60
	v_lshlrev_b32_e32 v4, 20, v4
	v_and_b32_sdwa v7, sext(v3), s44 dst_sel:DWORD dst_unused:UNUSED_PAD src0_sel:BYTE_0 src1_sel:DWORD
	v_lshl_add_u32 v0, v0, 23, v8
	v_or3_b32 v7, v7, v0, v4
	v_mov_b32_e32 v8, v61
	buffer_store_dword v7, off, s[48:51], 0 offset:316 ; 4-byte Folded Spill
	s_nop 0
	buffer_store_dword v8, off, s[48:51], 0 offset:320 ; 4-byte Folded Spill
.LBB215_241:                            ;   in Loop: Header=BB215_9 Depth=1
	s_or_b64 exec, exec, s[36:37]
.LBB215_242:                            ;   in Loop: Header=BB215_9 Depth=1
	s_or_b64 exec, exec, s[34:35]
.LBB215_243:                            ;   in Loop: Header=BB215_9 Depth=1
	s_or_b64 exec, exec, s[16:17]
	v_cmp_ne_u16_sdwa s[34:35], v3, v61 src0_sel:BYTE_1 src1_sel:DWORD
	s_and_saveexec_b64 s[16:17], s[34:35]
	s_cbranch_execz .LBB215_249
; %bb.244:                              ;   in Loop: Header=BB215_9 Depth=1
	v_cmp_ne_u16_sdwa s[36:37], v3, s42 src0_sel:BYTE_1 src1_sel:DWORD
	buffer_store_dword v61, off, s[48:51], 0 offset:324 ; 4-byte Folded Spill
	s_nop 0
	buffer_store_dword v62, off, s[48:51], 0 offset:328 ; 4-byte Folded Spill
	s_and_saveexec_b64 s[34:35], s[36:37]
	s_cbranch_execz .LBB215_248
; %bb.245:                              ;   in Loop: Header=BB215_9 Depth=1
	buffer_load_dword v7, off, s[48:51], 0  ; 4-byte Folded Reload
	buffer_load_dword v8, off, s[48:51], 0 offset:4 ; 4-byte Folded Reload
	v_and_b32_sdwa v0, v3, s43 dst_sel:DWORD dst_unused:UNUSED_PAD src0_sel:BYTE_1 src1_sel:DWORD
	v_cmp_ne_u32_e32 vcc, s43, v0
	s_waitcnt vmcnt(1)
	v_mov_b32_e32 v7, v61
	s_waitcnt vmcnt(0)
	v_mov_b32_e32 v4, v8
	buffer_store_dword v3, off, s[48:51], 0 ; 4-byte Folded Spill
	s_nop 0
	buffer_store_dword v4, off, s[48:51], 0 offset:4 ; 4-byte Folded Spill
	buffer_store_dword v7, off, s[48:51], 0 offset:324 ; 4-byte Folded Spill
	s_nop 0
	buffer_store_dword v8, off, s[48:51], 0 offset:328 ; 4-byte Folded Spill
	s_and_saveexec_b64 s[36:37], vcc
	s_cbranch_execz .LBB215_247
; %bb.246:                              ;   in Loop: Header=BB215_9 Depth=1
	v_mov_b32_e32 v4, 7
	v_and_b32_sdwa v7, v3, v4 dst_sel:DWORD dst_unused:UNUSED_PAD src0_sel:BYTE_1 src1_sel:DWORD
	v_lshrrev_b32_e32 v4, 3, v0
	v_cmp_gt_u32_e32 vcc, 8, v0
	v_ffbh_u32_e32 v0, v7
	v_min_u32_e32 v0, 32, v0
	v_mov_b32_e32 v8, v61
	v_subrev_u32_e32 v9, 28, v0
	v_lshlrev_b64 v[8:9], v9, v[7:8]
	v_sub_u32_e32 v0, 29, v0
	v_and_b32_e32 v8, 7, v8
	v_cndmask_b32_e32 v0, v4, v0, vcc
	v_cndmask_b32_e32 v4, v7, v8, vcc
	v_bfrev_b32_e32 v7, 60
	v_lshlrev_b32_e32 v3, 16, v3
	v_lshl_add_u32 v0, v0, 23, v7
	v_and_or_b32 v0, v3, s44, v0
	v_lshlrev_b32_e32 v3, 20, v4
	v_or_b32_e32 v4, v0, v3
	v_mov_b32_e32 v3, v61
	buffer_store_dword v3, off, s[48:51], 0 offset:324 ; 4-byte Folded Spill
	s_nop 0
	buffer_store_dword v4, off, s[48:51], 0 offset:328 ; 4-byte Folded Spill
.LBB215_247:                            ;   in Loop: Header=BB215_9 Depth=1
	s_or_b64 exec, exec, s[36:37]
.LBB215_248:                            ;   in Loop: Header=BB215_9 Depth=1
	s_or_b64 exec, exec, s[34:35]
.LBB215_249:                            ;   in Loop: Header=BB215_9 Depth=1
	s_or_b64 exec, exec, s[16:17]
	global_load_ushort v0, v[5:6], off offset:2560
	v_mov_b32_e32 v7, 0
	v_mov_b32_e32 v8, 0
	buffer_store_dword v7, off, s[48:51], 0 offset:340 ; 4-byte Folded Spill
	s_nop 0
	buffer_store_dword v8, off, s[48:51], 0 offset:344 ; 4-byte Folded Spill
	v_mov_b32_e32 v7, 0
	v_mov_b32_e32 v8, 0
	buffer_store_dword v7, off, s[48:51], 0 offset:332 ; 4-byte Folded Spill
	s_nop 0
	buffer_store_dword v8, off, s[48:51], 0 offset:336 ; 4-byte Folded Spill
	s_waitcnt vmcnt(4)
	v_and_b32_e32 v3, 0xffff, v0
	v_cmp_ne_u16_sdwa s[34:35], v0, v61 src0_sel:BYTE_0 src1_sel:DWORD
	s_and_saveexec_b64 s[16:17], s[34:35]
	s_cbranch_execz .LBB215_255
; %bb.250:                              ;   in Loop: Header=BB215_9 Depth=1
	v_bfrev_b32_e32 v7, 1
	v_mov_b32_e32 v8, 0
	v_cmp_ne_u16_sdwa s[36:37], v3, s42 src0_sel:BYTE_0 src1_sel:DWORD
	buffer_store_dword v7, off, s[48:51], 0 offset:332 ; 4-byte Folded Spill
	s_nop 0
	buffer_store_dword v8, off, s[48:51], 0 offset:336 ; 4-byte Folded Spill
	s_and_saveexec_b64 s[34:35], s[36:37]
	s_cbranch_execz .LBB215_254
; %bb.251:                              ;   in Loop: Header=BB215_9 Depth=1
	v_and_b32_e32 v0, 0x7f, v3
	v_mov_b32_e32 v7, 0x7f800001
	v_mov_b32_e32 v8, 0
	v_cmp_ne_u32_e32 vcc, s43, v0
	buffer_store_dword v7, off, s[48:51], 0 offset:332 ; 4-byte Folded Spill
	s_nop 0
	buffer_store_dword v8, off, s[48:51], 0 offset:336 ; 4-byte Folded Spill
	s_and_saveexec_b64 s[36:37], vcc
	s_cbranch_execz .LBB215_253
; %bb.252:                              ;   in Loop: Header=BB215_9 Depth=1
	v_and_b32_e32 v4, 7, v3
	v_lshrrev_b32_e32 v9, 3, v0
	v_cmp_gt_u32_e32 vcc, 8, v0
	v_ffbh_u32_e32 v0, v4
	v_min_u32_e32 v0, 32, v0
	v_subrev_u32_e32 v7, 28, v0
	v_lshlrev_b64 v[7:8], v7, v[3:4]
	v_sub_u32_e32 v0, 29, v0
	v_and_b32_e32 v7, 7, v7
	v_cndmask_b32_e32 v0, v9, v0, vcc
	v_cndmask_b32_e32 v4, v4, v7, vcc
	v_bfrev_b32_e32 v8, 60
	v_lshlrev_b32_e32 v4, 20, v4
	v_and_b32_sdwa v7, sext(v3), s44 dst_sel:DWORD dst_unused:UNUSED_PAD src0_sel:BYTE_0 src1_sel:DWORD
	v_lshl_add_u32 v0, v0, 23, v8
	v_or3_b32 v7, v7, v0, v4
	v_mov_b32_e32 v8, v61
	buffer_store_dword v7, off, s[48:51], 0 offset:332 ; 4-byte Folded Spill
	s_nop 0
	buffer_store_dword v8, off, s[48:51], 0 offset:336 ; 4-byte Folded Spill
.LBB215_253:                            ;   in Loop: Header=BB215_9 Depth=1
	s_or_b64 exec, exec, s[36:37]
.LBB215_254:                            ;   in Loop: Header=BB215_9 Depth=1
	s_or_b64 exec, exec, s[34:35]
.LBB215_255:                            ;   in Loop: Header=BB215_9 Depth=1
	s_or_b64 exec, exec, s[16:17]
	v_cmp_ne_u16_sdwa s[34:35], v3, v61 src0_sel:BYTE_1 src1_sel:DWORD
	s_and_saveexec_b64 s[16:17], s[34:35]
	s_cbranch_execz .LBB215_261
; %bb.256:                              ;   in Loop: Header=BB215_9 Depth=1
	v_cmp_ne_u16_sdwa s[36:37], v3, s42 src0_sel:BYTE_1 src1_sel:DWORD
	buffer_store_dword v61, off, s[48:51], 0 offset:340 ; 4-byte Folded Spill
	s_nop 0
	buffer_store_dword v62, off, s[48:51], 0 offset:344 ; 4-byte Folded Spill
	s_and_saveexec_b64 s[34:35], s[36:37]
	s_cbranch_execz .LBB215_260
; %bb.257:                              ;   in Loop: Header=BB215_9 Depth=1
	buffer_load_dword v7, off, s[48:51], 0  ; 4-byte Folded Reload
	buffer_load_dword v8, off, s[48:51], 0 offset:4 ; 4-byte Folded Reload
	v_and_b32_sdwa v0, v3, s43 dst_sel:DWORD dst_unused:UNUSED_PAD src0_sel:BYTE_1 src1_sel:DWORD
	v_cmp_ne_u32_e32 vcc, s43, v0
	s_waitcnt vmcnt(1)
	v_mov_b32_e32 v7, v61
	s_waitcnt vmcnt(0)
	v_mov_b32_e32 v4, v8
	buffer_store_dword v3, off, s[48:51], 0 ; 4-byte Folded Spill
	s_nop 0
	buffer_store_dword v4, off, s[48:51], 0 offset:4 ; 4-byte Folded Spill
	buffer_store_dword v7, off, s[48:51], 0 offset:340 ; 4-byte Folded Spill
	s_nop 0
	buffer_store_dword v8, off, s[48:51], 0 offset:344 ; 4-byte Folded Spill
	s_and_saveexec_b64 s[36:37], vcc
	s_cbranch_execz .LBB215_259
; %bb.258:                              ;   in Loop: Header=BB215_9 Depth=1
	v_mov_b32_e32 v4, 7
	v_and_b32_sdwa v7, v3, v4 dst_sel:DWORD dst_unused:UNUSED_PAD src0_sel:BYTE_1 src1_sel:DWORD
	v_lshrrev_b32_e32 v4, 3, v0
	v_cmp_gt_u32_e32 vcc, 8, v0
	v_ffbh_u32_e32 v0, v7
	v_min_u32_e32 v0, 32, v0
	v_mov_b32_e32 v8, v61
	v_subrev_u32_e32 v9, 28, v0
	v_lshlrev_b64 v[8:9], v9, v[7:8]
	v_sub_u32_e32 v0, 29, v0
	v_and_b32_e32 v8, 7, v8
	v_cndmask_b32_e32 v0, v4, v0, vcc
	v_cndmask_b32_e32 v4, v7, v8, vcc
	v_bfrev_b32_e32 v7, 60
	v_lshlrev_b32_e32 v3, 16, v3
	v_lshl_add_u32 v0, v0, 23, v7
	v_and_or_b32 v0, v3, s44, v0
	v_lshlrev_b32_e32 v3, 20, v4
	v_or_b32_e32 v4, v0, v3
	v_mov_b32_e32 v3, v61
	buffer_store_dword v3, off, s[48:51], 0 offset:340 ; 4-byte Folded Spill
	s_nop 0
	buffer_store_dword v4, off, s[48:51], 0 offset:344 ; 4-byte Folded Spill
.LBB215_259:                            ;   in Loop: Header=BB215_9 Depth=1
	s_or_b64 exec, exec, s[36:37]
.LBB215_260:                            ;   in Loop: Header=BB215_9 Depth=1
	s_or_b64 exec, exec, s[34:35]
.LBB215_261:                            ;   in Loop: Header=BB215_9 Depth=1
	s_or_b64 exec, exec, s[16:17]
	global_load_ushort v0, v[5:6], off offset:2564
	v_mov_b32_e32 v7, 0
	v_mov_b32_e32 v8, 0
	buffer_store_dword v7, off, s[48:51], 0 offset:356 ; 4-byte Folded Spill
	s_nop 0
	buffer_store_dword v8, off, s[48:51], 0 offset:360 ; 4-byte Folded Spill
	v_mov_b32_e32 v7, 0
	v_mov_b32_e32 v8, 0
	buffer_store_dword v7, off, s[48:51], 0 offset:348 ; 4-byte Folded Spill
	s_nop 0
	buffer_store_dword v8, off, s[48:51], 0 offset:352 ; 4-byte Folded Spill
	s_waitcnt vmcnt(4)
	v_and_b32_e32 v3, 0xffff, v0
	v_cmp_ne_u16_sdwa s[34:35], v0, v61 src0_sel:BYTE_0 src1_sel:DWORD
	s_and_saveexec_b64 s[16:17], s[34:35]
	s_cbranch_execz .LBB215_267
; %bb.262:                              ;   in Loop: Header=BB215_9 Depth=1
	v_bfrev_b32_e32 v7, 1
	v_mov_b32_e32 v8, 0
	v_cmp_ne_u16_sdwa s[36:37], v3, s42 src0_sel:BYTE_0 src1_sel:DWORD
	buffer_store_dword v7, off, s[48:51], 0 offset:348 ; 4-byte Folded Spill
	s_nop 0
	buffer_store_dword v8, off, s[48:51], 0 offset:352 ; 4-byte Folded Spill
	s_and_saveexec_b64 s[34:35], s[36:37]
	s_cbranch_execz .LBB215_266
; %bb.263:                              ;   in Loop: Header=BB215_9 Depth=1
	v_and_b32_e32 v0, 0x7f, v3
	v_mov_b32_e32 v7, 0x7f800001
	v_mov_b32_e32 v8, 0
	v_cmp_ne_u32_e32 vcc, s43, v0
	buffer_store_dword v7, off, s[48:51], 0 offset:348 ; 4-byte Folded Spill
	s_nop 0
	buffer_store_dword v8, off, s[48:51], 0 offset:352 ; 4-byte Folded Spill
	s_and_saveexec_b64 s[36:37], vcc
	s_cbranch_execz .LBB215_265
; %bb.264:                              ;   in Loop: Header=BB215_9 Depth=1
	v_and_b32_e32 v4, 7, v3
	v_lshrrev_b32_e32 v9, 3, v0
	v_cmp_gt_u32_e32 vcc, 8, v0
	v_ffbh_u32_e32 v0, v4
	v_min_u32_e32 v0, 32, v0
	v_subrev_u32_e32 v7, 28, v0
	v_lshlrev_b64 v[7:8], v7, v[3:4]
	v_sub_u32_e32 v0, 29, v0
	v_and_b32_e32 v7, 7, v7
	v_cndmask_b32_e32 v0, v9, v0, vcc
	v_cndmask_b32_e32 v4, v4, v7, vcc
	v_bfrev_b32_e32 v8, 60
	v_lshlrev_b32_e32 v4, 20, v4
	v_and_b32_sdwa v7, sext(v3), s44 dst_sel:DWORD dst_unused:UNUSED_PAD src0_sel:BYTE_0 src1_sel:DWORD
	v_lshl_add_u32 v0, v0, 23, v8
	v_or3_b32 v7, v7, v0, v4
	v_mov_b32_e32 v8, v61
	buffer_store_dword v7, off, s[48:51], 0 offset:348 ; 4-byte Folded Spill
	s_nop 0
	buffer_store_dword v8, off, s[48:51], 0 offset:352 ; 4-byte Folded Spill
.LBB215_265:                            ;   in Loop: Header=BB215_9 Depth=1
	s_or_b64 exec, exec, s[36:37]
.LBB215_266:                            ;   in Loop: Header=BB215_9 Depth=1
	s_or_b64 exec, exec, s[34:35]
.LBB215_267:                            ;   in Loop: Header=BB215_9 Depth=1
	s_or_b64 exec, exec, s[16:17]
	v_cmp_ne_u16_sdwa s[34:35], v3, v61 src0_sel:BYTE_1 src1_sel:DWORD
	s_and_saveexec_b64 s[16:17], s[34:35]
	s_cbranch_execz .LBB215_273
; %bb.268:                              ;   in Loop: Header=BB215_9 Depth=1
	v_cmp_ne_u16_sdwa s[36:37], v3, s42 src0_sel:BYTE_1 src1_sel:DWORD
	buffer_store_dword v61, off, s[48:51], 0 offset:356 ; 4-byte Folded Spill
	s_nop 0
	buffer_store_dword v62, off, s[48:51], 0 offset:360 ; 4-byte Folded Spill
	s_and_saveexec_b64 s[34:35], s[36:37]
	s_cbranch_execz .LBB215_272
; %bb.269:                              ;   in Loop: Header=BB215_9 Depth=1
	buffer_load_dword v7, off, s[48:51], 0  ; 4-byte Folded Reload
	buffer_load_dword v8, off, s[48:51], 0 offset:4 ; 4-byte Folded Reload
	v_and_b32_sdwa v0, v3, s43 dst_sel:DWORD dst_unused:UNUSED_PAD src0_sel:BYTE_1 src1_sel:DWORD
	v_cmp_ne_u32_e32 vcc, s43, v0
	s_waitcnt vmcnt(1)
	v_mov_b32_e32 v7, v61
	s_waitcnt vmcnt(0)
	v_mov_b32_e32 v4, v8
	buffer_store_dword v3, off, s[48:51], 0 ; 4-byte Folded Spill
	s_nop 0
	buffer_store_dword v4, off, s[48:51], 0 offset:4 ; 4-byte Folded Spill
	buffer_store_dword v7, off, s[48:51], 0 offset:356 ; 4-byte Folded Spill
	s_nop 0
	buffer_store_dword v8, off, s[48:51], 0 offset:360 ; 4-byte Folded Spill
	s_and_saveexec_b64 s[36:37], vcc
	s_cbranch_execz .LBB215_271
; %bb.270:                              ;   in Loop: Header=BB215_9 Depth=1
	v_mov_b32_e32 v4, 7
	v_and_b32_sdwa v7, v3, v4 dst_sel:DWORD dst_unused:UNUSED_PAD src0_sel:BYTE_1 src1_sel:DWORD
	v_lshrrev_b32_e32 v4, 3, v0
	v_cmp_gt_u32_e32 vcc, 8, v0
	v_ffbh_u32_e32 v0, v7
	v_min_u32_e32 v0, 32, v0
	v_mov_b32_e32 v8, v61
	v_subrev_u32_e32 v9, 28, v0
	v_lshlrev_b64 v[8:9], v9, v[7:8]
	v_sub_u32_e32 v0, 29, v0
	v_and_b32_e32 v8, 7, v8
	v_cndmask_b32_e32 v0, v4, v0, vcc
	v_cndmask_b32_e32 v4, v7, v8, vcc
	v_bfrev_b32_e32 v7, 60
	v_lshlrev_b32_e32 v3, 16, v3
	v_lshl_add_u32 v0, v0, 23, v7
	v_and_or_b32 v0, v3, s44, v0
	v_lshlrev_b32_e32 v3, 20, v4
	v_or_b32_e32 v4, v0, v3
	v_mov_b32_e32 v3, v61
	buffer_store_dword v3, off, s[48:51], 0 offset:356 ; 4-byte Folded Spill
	s_nop 0
	buffer_store_dword v4, off, s[48:51], 0 offset:360 ; 4-byte Folded Spill
.LBB215_271:                            ;   in Loop: Header=BB215_9 Depth=1
	s_or_b64 exec, exec, s[36:37]
.LBB215_272:                            ;   in Loop: Header=BB215_9 Depth=1
	s_or_b64 exec, exec, s[34:35]
.LBB215_273:                            ;   in Loop: Header=BB215_9 Depth=1
	s_or_b64 exec, exec, s[16:17]
	global_load_ushort v0, v[5:6], off offset:2568
	v_mov_b32_e32 v7, 0
	v_mov_b32_e32 v8, 0
	buffer_store_dword v7, off, s[48:51], 0 offset:372 ; 4-byte Folded Spill
	s_nop 0
	buffer_store_dword v8, off, s[48:51], 0 offset:376 ; 4-byte Folded Spill
	v_mov_b32_e32 v7, 0
	v_mov_b32_e32 v8, 0
	buffer_store_dword v7, off, s[48:51], 0 offset:364 ; 4-byte Folded Spill
	s_nop 0
	buffer_store_dword v8, off, s[48:51], 0 offset:368 ; 4-byte Folded Spill
	s_waitcnt vmcnt(4)
	v_and_b32_e32 v3, 0xffff, v0
	v_cmp_ne_u16_sdwa s[34:35], v0, v61 src0_sel:BYTE_0 src1_sel:DWORD
	s_and_saveexec_b64 s[16:17], s[34:35]
	s_cbranch_execz .LBB215_279
; %bb.274:                              ;   in Loop: Header=BB215_9 Depth=1
	v_bfrev_b32_e32 v7, 1
	v_mov_b32_e32 v8, 0
	v_cmp_ne_u16_sdwa s[36:37], v3, s42 src0_sel:BYTE_0 src1_sel:DWORD
	buffer_store_dword v7, off, s[48:51], 0 offset:364 ; 4-byte Folded Spill
	s_nop 0
	buffer_store_dword v8, off, s[48:51], 0 offset:368 ; 4-byte Folded Spill
	s_and_saveexec_b64 s[34:35], s[36:37]
	s_cbranch_execz .LBB215_278
; %bb.275:                              ;   in Loop: Header=BB215_9 Depth=1
	v_and_b32_e32 v0, 0x7f, v3
	v_mov_b32_e32 v7, 0x7f800001
	v_mov_b32_e32 v8, 0
	v_cmp_ne_u32_e32 vcc, s43, v0
	buffer_store_dword v7, off, s[48:51], 0 offset:364 ; 4-byte Folded Spill
	s_nop 0
	buffer_store_dword v8, off, s[48:51], 0 offset:368 ; 4-byte Folded Spill
	s_and_saveexec_b64 s[36:37], vcc
	s_cbranch_execz .LBB215_277
; %bb.276:                              ;   in Loop: Header=BB215_9 Depth=1
	v_and_b32_e32 v4, 7, v3
	v_lshrrev_b32_e32 v9, 3, v0
	v_cmp_gt_u32_e32 vcc, 8, v0
	v_ffbh_u32_e32 v0, v4
	v_min_u32_e32 v0, 32, v0
	v_subrev_u32_e32 v7, 28, v0
	v_lshlrev_b64 v[7:8], v7, v[3:4]
	v_sub_u32_e32 v0, 29, v0
	v_and_b32_e32 v7, 7, v7
	v_cndmask_b32_e32 v0, v9, v0, vcc
	v_cndmask_b32_e32 v4, v4, v7, vcc
	v_bfrev_b32_e32 v8, 60
	v_lshlrev_b32_e32 v4, 20, v4
	v_and_b32_sdwa v7, sext(v3), s44 dst_sel:DWORD dst_unused:UNUSED_PAD src0_sel:BYTE_0 src1_sel:DWORD
	v_lshl_add_u32 v0, v0, 23, v8
	v_or3_b32 v7, v7, v0, v4
	v_mov_b32_e32 v8, v61
	buffer_store_dword v7, off, s[48:51], 0 offset:364 ; 4-byte Folded Spill
	s_nop 0
	buffer_store_dword v8, off, s[48:51], 0 offset:368 ; 4-byte Folded Spill
.LBB215_277:                            ;   in Loop: Header=BB215_9 Depth=1
	s_or_b64 exec, exec, s[36:37]
.LBB215_278:                            ;   in Loop: Header=BB215_9 Depth=1
	s_or_b64 exec, exec, s[34:35]
.LBB215_279:                            ;   in Loop: Header=BB215_9 Depth=1
	s_or_b64 exec, exec, s[16:17]
	v_cmp_ne_u16_sdwa s[34:35], v3, v61 src0_sel:BYTE_1 src1_sel:DWORD
	s_and_saveexec_b64 s[16:17], s[34:35]
	s_cbranch_execz .LBB215_285
; %bb.280:                              ;   in Loop: Header=BB215_9 Depth=1
	v_cmp_ne_u16_sdwa s[36:37], v3, s42 src0_sel:BYTE_1 src1_sel:DWORD
	buffer_store_dword v61, off, s[48:51], 0 offset:372 ; 4-byte Folded Spill
	s_nop 0
	buffer_store_dword v62, off, s[48:51], 0 offset:376 ; 4-byte Folded Spill
	s_and_saveexec_b64 s[34:35], s[36:37]
	s_cbranch_execz .LBB215_284
; %bb.281:                              ;   in Loop: Header=BB215_9 Depth=1
	buffer_load_dword v7, off, s[48:51], 0  ; 4-byte Folded Reload
	buffer_load_dword v8, off, s[48:51], 0 offset:4 ; 4-byte Folded Reload
	v_and_b32_sdwa v0, v3, s43 dst_sel:DWORD dst_unused:UNUSED_PAD src0_sel:BYTE_1 src1_sel:DWORD
	v_cmp_ne_u32_e32 vcc, s43, v0
	s_waitcnt vmcnt(1)
	v_mov_b32_e32 v7, v61
	s_waitcnt vmcnt(0)
	v_mov_b32_e32 v4, v8
	buffer_store_dword v3, off, s[48:51], 0 ; 4-byte Folded Spill
	s_nop 0
	buffer_store_dword v4, off, s[48:51], 0 offset:4 ; 4-byte Folded Spill
	buffer_store_dword v7, off, s[48:51], 0 offset:372 ; 4-byte Folded Spill
	s_nop 0
	buffer_store_dword v8, off, s[48:51], 0 offset:376 ; 4-byte Folded Spill
	s_and_saveexec_b64 s[36:37], vcc
	s_cbranch_execz .LBB215_283
; %bb.282:                              ;   in Loop: Header=BB215_9 Depth=1
	v_mov_b32_e32 v4, 7
	v_and_b32_sdwa v7, v3, v4 dst_sel:DWORD dst_unused:UNUSED_PAD src0_sel:BYTE_1 src1_sel:DWORD
	v_lshrrev_b32_e32 v4, 3, v0
	v_cmp_gt_u32_e32 vcc, 8, v0
	v_ffbh_u32_e32 v0, v7
	v_min_u32_e32 v0, 32, v0
	v_mov_b32_e32 v8, v61
	v_subrev_u32_e32 v9, 28, v0
	v_lshlrev_b64 v[8:9], v9, v[7:8]
	v_sub_u32_e32 v0, 29, v0
	v_and_b32_e32 v8, 7, v8
	v_cndmask_b32_e32 v0, v4, v0, vcc
	v_cndmask_b32_e32 v4, v7, v8, vcc
	v_bfrev_b32_e32 v7, 60
	v_lshlrev_b32_e32 v3, 16, v3
	v_lshl_add_u32 v0, v0, 23, v7
	v_and_or_b32 v0, v3, s44, v0
	v_lshlrev_b32_e32 v3, 20, v4
	v_or_b32_e32 v4, v0, v3
	v_mov_b32_e32 v3, v61
	buffer_store_dword v3, off, s[48:51], 0 offset:372 ; 4-byte Folded Spill
	s_nop 0
	buffer_store_dword v4, off, s[48:51], 0 offset:376 ; 4-byte Folded Spill
.LBB215_283:                            ;   in Loop: Header=BB215_9 Depth=1
	s_or_b64 exec, exec, s[36:37]
.LBB215_284:                            ;   in Loop: Header=BB215_9 Depth=1
	s_or_b64 exec, exec, s[34:35]
.LBB215_285:                            ;   in Loop: Header=BB215_9 Depth=1
	s_or_b64 exec, exec, s[16:17]
	global_load_ushort v0, v[5:6], off offset:2572
	v_mov_b32_e32 v7, 0
	v_mov_b32_e32 v8, 0
	buffer_store_dword v7, off, s[48:51], 0 offset:388 ; 4-byte Folded Spill
	s_nop 0
	buffer_store_dword v8, off, s[48:51], 0 offset:392 ; 4-byte Folded Spill
	v_mov_b32_e32 v7, 0
	v_mov_b32_e32 v8, 0
	buffer_store_dword v7, off, s[48:51], 0 offset:380 ; 4-byte Folded Spill
	s_nop 0
	buffer_store_dword v8, off, s[48:51], 0 offset:384 ; 4-byte Folded Spill
	s_waitcnt vmcnt(4)
	v_and_b32_e32 v3, 0xffff, v0
	v_cmp_ne_u16_sdwa s[34:35], v0, v61 src0_sel:BYTE_0 src1_sel:DWORD
	s_and_saveexec_b64 s[16:17], s[34:35]
	s_cbranch_execz .LBB215_291
; %bb.286:                              ;   in Loop: Header=BB215_9 Depth=1
	v_bfrev_b32_e32 v7, 1
	v_mov_b32_e32 v8, 0
	v_cmp_ne_u16_sdwa s[36:37], v3, s42 src0_sel:BYTE_0 src1_sel:DWORD
	buffer_store_dword v7, off, s[48:51], 0 offset:380 ; 4-byte Folded Spill
	s_nop 0
	buffer_store_dword v8, off, s[48:51], 0 offset:384 ; 4-byte Folded Spill
	s_and_saveexec_b64 s[34:35], s[36:37]
	s_cbranch_execz .LBB215_290
; %bb.287:                              ;   in Loop: Header=BB215_9 Depth=1
	v_and_b32_e32 v0, 0x7f, v3
	v_mov_b32_e32 v7, 0x7f800001
	v_mov_b32_e32 v8, 0
	v_cmp_ne_u32_e32 vcc, s43, v0
	buffer_store_dword v7, off, s[48:51], 0 offset:380 ; 4-byte Folded Spill
	s_nop 0
	buffer_store_dword v8, off, s[48:51], 0 offset:384 ; 4-byte Folded Spill
	s_and_saveexec_b64 s[36:37], vcc
	s_cbranch_execz .LBB215_289
; %bb.288:                              ;   in Loop: Header=BB215_9 Depth=1
	v_and_b32_e32 v4, 7, v3
	v_lshrrev_b32_e32 v9, 3, v0
	v_cmp_gt_u32_e32 vcc, 8, v0
	v_ffbh_u32_e32 v0, v4
	v_min_u32_e32 v0, 32, v0
	v_subrev_u32_e32 v7, 28, v0
	v_lshlrev_b64 v[7:8], v7, v[3:4]
	v_sub_u32_e32 v0, 29, v0
	v_and_b32_e32 v7, 7, v7
	v_cndmask_b32_e32 v0, v9, v0, vcc
	v_cndmask_b32_e32 v4, v4, v7, vcc
	v_bfrev_b32_e32 v8, 60
	v_lshlrev_b32_e32 v4, 20, v4
	v_and_b32_sdwa v7, sext(v3), s44 dst_sel:DWORD dst_unused:UNUSED_PAD src0_sel:BYTE_0 src1_sel:DWORD
	v_lshl_add_u32 v0, v0, 23, v8
	v_or3_b32 v7, v7, v0, v4
	v_mov_b32_e32 v8, v61
	buffer_store_dword v7, off, s[48:51], 0 offset:380 ; 4-byte Folded Spill
	s_nop 0
	buffer_store_dword v8, off, s[48:51], 0 offset:384 ; 4-byte Folded Spill
.LBB215_289:                            ;   in Loop: Header=BB215_9 Depth=1
	s_or_b64 exec, exec, s[36:37]
.LBB215_290:                            ;   in Loop: Header=BB215_9 Depth=1
	s_or_b64 exec, exec, s[34:35]
.LBB215_291:                            ;   in Loop: Header=BB215_9 Depth=1
	s_or_b64 exec, exec, s[16:17]
	v_cmp_ne_u16_sdwa s[34:35], v3, v61 src0_sel:BYTE_1 src1_sel:DWORD
	s_and_saveexec_b64 s[16:17], s[34:35]
	s_cbranch_execz .LBB215_297
; %bb.292:                              ;   in Loop: Header=BB215_9 Depth=1
	v_cmp_ne_u16_sdwa s[36:37], v3, s42 src0_sel:BYTE_1 src1_sel:DWORD
	buffer_store_dword v61, off, s[48:51], 0 offset:388 ; 4-byte Folded Spill
	s_nop 0
	buffer_store_dword v62, off, s[48:51], 0 offset:392 ; 4-byte Folded Spill
	s_and_saveexec_b64 s[34:35], s[36:37]
	s_cbranch_execz .LBB215_296
; %bb.293:                              ;   in Loop: Header=BB215_9 Depth=1
	buffer_load_dword v7, off, s[48:51], 0  ; 4-byte Folded Reload
	buffer_load_dword v8, off, s[48:51], 0 offset:4 ; 4-byte Folded Reload
	v_and_b32_sdwa v0, v3, s43 dst_sel:DWORD dst_unused:UNUSED_PAD src0_sel:BYTE_1 src1_sel:DWORD
	v_cmp_ne_u32_e32 vcc, s43, v0
	s_waitcnt vmcnt(1)
	v_mov_b32_e32 v7, v61
	s_waitcnt vmcnt(0)
	v_mov_b32_e32 v4, v8
	buffer_store_dword v3, off, s[48:51], 0 ; 4-byte Folded Spill
	s_nop 0
	buffer_store_dword v4, off, s[48:51], 0 offset:4 ; 4-byte Folded Spill
	buffer_store_dword v7, off, s[48:51], 0 offset:388 ; 4-byte Folded Spill
	s_nop 0
	buffer_store_dword v8, off, s[48:51], 0 offset:392 ; 4-byte Folded Spill
	s_and_saveexec_b64 s[36:37], vcc
	s_cbranch_execz .LBB215_295
; %bb.294:                              ;   in Loop: Header=BB215_9 Depth=1
	v_mov_b32_e32 v4, 7
	v_and_b32_sdwa v7, v3, v4 dst_sel:DWORD dst_unused:UNUSED_PAD src0_sel:BYTE_1 src1_sel:DWORD
	v_lshrrev_b32_e32 v4, 3, v0
	v_cmp_gt_u32_e32 vcc, 8, v0
	v_ffbh_u32_e32 v0, v7
	v_min_u32_e32 v0, 32, v0
	v_mov_b32_e32 v8, v61
	v_subrev_u32_e32 v9, 28, v0
	v_lshlrev_b64 v[8:9], v9, v[7:8]
	v_sub_u32_e32 v0, 29, v0
	v_and_b32_e32 v8, 7, v8
	v_cndmask_b32_e32 v0, v4, v0, vcc
	v_cndmask_b32_e32 v4, v7, v8, vcc
	v_bfrev_b32_e32 v7, 60
	v_lshlrev_b32_e32 v3, 16, v3
	v_lshl_add_u32 v0, v0, 23, v7
	v_and_or_b32 v0, v3, s44, v0
	v_lshlrev_b32_e32 v3, 20, v4
	v_or_b32_e32 v4, v0, v3
	v_mov_b32_e32 v3, v61
	buffer_store_dword v3, off, s[48:51], 0 offset:388 ; 4-byte Folded Spill
	s_nop 0
	buffer_store_dword v4, off, s[48:51], 0 offset:392 ; 4-byte Folded Spill
.LBB215_295:                            ;   in Loop: Header=BB215_9 Depth=1
	s_or_b64 exec, exec, s[36:37]
.LBB215_296:                            ;   in Loop: Header=BB215_9 Depth=1
	s_or_b64 exec, exec, s[34:35]
.LBB215_297:                            ;   in Loop: Header=BB215_9 Depth=1
	s_or_b64 exec, exec, s[16:17]
	global_load_ushort v0, v[5:6], off offset:3072
	v_mov_b32_e32 v7, 0
	v_mov_b32_e32 v8, 0
	buffer_store_dword v7, off, s[48:51], 0 offset:404 ; 4-byte Folded Spill
	s_nop 0
	buffer_store_dword v8, off, s[48:51], 0 offset:408 ; 4-byte Folded Spill
	v_mov_b32_e32 v7, 0
	v_mov_b32_e32 v8, 0
	buffer_store_dword v7, off, s[48:51], 0 offset:396 ; 4-byte Folded Spill
	s_nop 0
	buffer_store_dword v8, off, s[48:51], 0 offset:400 ; 4-byte Folded Spill
	s_waitcnt vmcnt(4)
	v_and_b32_e32 v3, 0xffff, v0
	v_cmp_ne_u16_sdwa s[34:35], v0, v61 src0_sel:BYTE_0 src1_sel:DWORD
	s_and_saveexec_b64 s[16:17], s[34:35]
	s_cbranch_execz .LBB215_303
; %bb.298:                              ;   in Loop: Header=BB215_9 Depth=1
	v_bfrev_b32_e32 v7, 1
	v_mov_b32_e32 v8, 0
	v_cmp_ne_u16_sdwa s[36:37], v3, s42 src0_sel:BYTE_0 src1_sel:DWORD
	buffer_store_dword v7, off, s[48:51], 0 offset:396 ; 4-byte Folded Spill
	s_nop 0
	buffer_store_dword v8, off, s[48:51], 0 offset:400 ; 4-byte Folded Spill
	s_and_saveexec_b64 s[34:35], s[36:37]
	s_cbranch_execz .LBB215_302
; %bb.299:                              ;   in Loop: Header=BB215_9 Depth=1
	v_and_b32_e32 v0, 0x7f, v3
	v_mov_b32_e32 v7, 0x7f800001
	v_mov_b32_e32 v8, 0
	v_cmp_ne_u32_e32 vcc, s43, v0
	buffer_store_dword v7, off, s[48:51], 0 offset:396 ; 4-byte Folded Spill
	s_nop 0
	buffer_store_dword v8, off, s[48:51], 0 offset:400 ; 4-byte Folded Spill
	s_and_saveexec_b64 s[36:37], vcc
	s_cbranch_execz .LBB215_301
; %bb.300:                              ;   in Loop: Header=BB215_9 Depth=1
	v_and_b32_e32 v4, 7, v3
	v_lshrrev_b32_e32 v9, 3, v0
	v_cmp_gt_u32_e32 vcc, 8, v0
	v_ffbh_u32_e32 v0, v4
	v_min_u32_e32 v0, 32, v0
	v_subrev_u32_e32 v7, 28, v0
	v_lshlrev_b64 v[7:8], v7, v[3:4]
	v_sub_u32_e32 v0, 29, v0
	v_and_b32_e32 v7, 7, v7
	v_cndmask_b32_e32 v0, v9, v0, vcc
	v_cndmask_b32_e32 v4, v4, v7, vcc
	v_bfrev_b32_e32 v8, 60
	v_lshlrev_b32_e32 v4, 20, v4
	v_and_b32_sdwa v7, sext(v3), s44 dst_sel:DWORD dst_unused:UNUSED_PAD src0_sel:BYTE_0 src1_sel:DWORD
	v_lshl_add_u32 v0, v0, 23, v8
	v_or3_b32 v7, v7, v0, v4
	v_mov_b32_e32 v8, v61
	buffer_store_dword v7, off, s[48:51], 0 offset:396 ; 4-byte Folded Spill
	s_nop 0
	buffer_store_dword v8, off, s[48:51], 0 offset:400 ; 4-byte Folded Spill
.LBB215_301:                            ;   in Loop: Header=BB215_9 Depth=1
	s_or_b64 exec, exec, s[36:37]
.LBB215_302:                            ;   in Loop: Header=BB215_9 Depth=1
	s_or_b64 exec, exec, s[34:35]
.LBB215_303:                            ;   in Loop: Header=BB215_9 Depth=1
	s_or_b64 exec, exec, s[16:17]
	v_cmp_ne_u16_sdwa s[34:35], v3, v61 src0_sel:BYTE_1 src1_sel:DWORD
	s_and_saveexec_b64 s[16:17], s[34:35]
	s_cbranch_execz .LBB215_309
; %bb.304:                              ;   in Loop: Header=BB215_9 Depth=1
	v_cmp_ne_u16_sdwa s[36:37], v3, s42 src0_sel:BYTE_1 src1_sel:DWORD
	buffer_store_dword v61, off, s[48:51], 0 offset:404 ; 4-byte Folded Spill
	s_nop 0
	buffer_store_dword v62, off, s[48:51], 0 offset:408 ; 4-byte Folded Spill
	s_and_saveexec_b64 s[34:35], s[36:37]
	s_cbranch_execz .LBB215_308
; %bb.305:                              ;   in Loop: Header=BB215_9 Depth=1
	buffer_load_dword v7, off, s[48:51], 0  ; 4-byte Folded Reload
	buffer_load_dword v8, off, s[48:51], 0 offset:4 ; 4-byte Folded Reload
	v_and_b32_sdwa v0, v3, s43 dst_sel:DWORD dst_unused:UNUSED_PAD src0_sel:BYTE_1 src1_sel:DWORD
	v_cmp_ne_u32_e32 vcc, s43, v0
	s_waitcnt vmcnt(1)
	v_mov_b32_e32 v7, v61
	s_waitcnt vmcnt(0)
	v_mov_b32_e32 v4, v8
	buffer_store_dword v3, off, s[48:51], 0 ; 4-byte Folded Spill
	s_nop 0
	buffer_store_dword v4, off, s[48:51], 0 offset:4 ; 4-byte Folded Spill
	buffer_store_dword v7, off, s[48:51], 0 offset:404 ; 4-byte Folded Spill
	s_nop 0
	buffer_store_dword v8, off, s[48:51], 0 offset:408 ; 4-byte Folded Spill
	s_and_saveexec_b64 s[36:37], vcc
	s_cbranch_execz .LBB215_307
; %bb.306:                              ;   in Loop: Header=BB215_9 Depth=1
	v_mov_b32_e32 v4, 7
	v_and_b32_sdwa v7, v3, v4 dst_sel:DWORD dst_unused:UNUSED_PAD src0_sel:BYTE_1 src1_sel:DWORD
	v_lshrrev_b32_e32 v4, 3, v0
	v_cmp_gt_u32_e32 vcc, 8, v0
	v_ffbh_u32_e32 v0, v7
	v_min_u32_e32 v0, 32, v0
	v_mov_b32_e32 v8, v61
	v_subrev_u32_e32 v9, 28, v0
	v_lshlrev_b64 v[8:9], v9, v[7:8]
	v_sub_u32_e32 v0, 29, v0
	v_and_b32_e32 v8, 7, v8
	v_cndmask_b32_e32 v0, v4, v0, vcc
	v_cndmask_b32_e32 v4, v7, v8, vcc
	v_bfrev_b32_e32 v7, 60
	v_lshlrev_b32_e32 v3, 16, v3
	v_lshl_add_u32 v0, v0, 23, v7
	v_and_or_b32 v0, v3, s44, v0
	v_lshlrev_b32_e32 v3, 20, v4
	v_or_b32_e32 v4, v0, v3
	v_mov_b32_e32 v3, v61
	buffer_store_dword v3, off, s[48:51], 0 offset:404 ; 4-byte Folded Spill
	s_nop 0
	buffer_store_dword v4, off, s[48:51], 0 offset:408 ; 4-byte Folded Spill
.LBB215_307:                            ;   in Loop: Header=BB215_9 Depth=1
	s_or_b64 exec, exec, s[36:37]
.LBB215_308:                            ;   in Loop: Header=BB215_9 Depth=1
	s_or_b64 exec, exec, s[34:35]
.LBB215_309:                            ;   in Loop: Header=BB215_9 Depth=1
	s_or_b64 exec, exec, s[16:17]
	global_load_ushort v0, v[5:6], off offset:3076
	v_mov_b32_e32 v7, 0
	v_mov_b32_e32 v8, 0
	buffer_store_dword v7, off, s[48:51], 0 offset:420 ; 4-byte Folded Spill
	s_nop 0
	buffer_store_dword v8, off, s[48:51], 0 offset:424 ; 4-byte Folded Spill
	v_mov_b32_e32 v7, 0
	v_mov_b32_e32 v8, 0
	buffer_store_dword v7, off, s[48:51], 0 offset:412 ; 4-byte Folded Spill
	s_nop 0
	buffer_store_dword v8, off, s[48:51], 0 offset:416 ; 4-byte Folded Spill
	s_waitcnt vmcnt(4)
	v_and_b32_e32 v3, 0xffff, v0
	v_cmp_ne_u16_sdwa s[34:35], v0, v61 src0_sel:BYTE_0 src1_sel:DWORD
	s_and_saveexec_b64 s[16:17], s[34:35]
	s_cbranch_execz .LBB215_315
; %bb.310:                              ;   in Loop: Header=BB215_9 Depth=1
	v_bfrev_b32_e32 v7, 1
	v_mov_b32_e32 v8, 0
	v_cmp_ne_u16_sdwa s[36:37], v3, s42 src0_sel:BYTE_0 src1_sel:DWORD
	buffer_store_dword v7, off, s[48:51], 0 offset:412 ; 4-byte Folded Spill
	s_nop 0
	buffer_store_dword v8, off, s[48:51], 0 offset:416 ; 4-byte Folded Spill
	s_and_saveexec_b64 s[34:35], s[36:37]
	s_cbranch_execz .LBB215_314
; %bb.311:                              ;   in Loop: Header=BB215_9 Depth=1
	v_and_b32_e32 v0, 0x7f, v3
	v_mov_b32_e32 v7, 0x7f800001
	v_mov_b32_e32 v8, 0
	v_cmp_ne_u32_e32 vcc, s43, v0
	buffer_store_dword v7, off, s[48:51], 0 offset:412 ; 4-byte Folded Spill
	s_nop 0
	buffer_store_dword v8, off, s[48:51], 0 offset:416 ; 4-byte Folded Spill
	s_and_saveexec_b64 s[36:37], vcc
	s_cbranch_execz .LBB215_313
; %bb.312:                              ;   in Loop: Header=BB215_9 Depth=1
	v_and_b32_e32 v4, 7, v3
	v_lshrrev_b32_e32 v9, 3, v0
	v_cmp_gt_u32_e32 vcc, 8, v0
	v_ffbh_u32_e32 v0, v4
	v_min_u32_e32 v0, 32, v0
	v_subrev_u32_e32 v7, 28, v0
	v_lshlrev_b64 v[7:8], v7, v[3:4]
	v_sub_u32_e32 v0, 29, v0
	v_and_b32_e32 v7, 7, v7
	v_cndmask_b32_e32 v0, v9, v0, vcc
	v_cndmask_b32_e32 v4, v4, v7, vcc
	v_bfrev_b32_e32 v8, 60
	v_lshlrev_b32_e32 v4, 20, v4
	v_and_b32_sdwa v7, sext(v3), s44 dst_sel:DWORD dst_unused:UNUSED_PAD src0_sel:BYTE_0 src1_sel:DWORD
	v_lshl_add_u32 v0, v0, 23, v8
	v_or3_b32 v7, v7, v0, v4
	v_mov_b32_e32 v8, v61
	buffer_store_dword v7, off, s[48:51], 0 offset:412 ; 4-byte Folded Spill
	s_nop 0
	buffer_store_dword v8, off, s[48:51], 0 offset:416 ; 4-byte Folded Spill
.LBB215_313:                            ;   in Loop: Header=BB215_9 Depth=1
	s_or_b64 exec, exec, s[36:37]
.LBB215_314:                            ;   in Loop: Header=BB215_9 Depth=1
	s_or_b64 exec, exec, s[34:35]
.LBB215_315:                            ;   in Loop: Header=BB215_9 Depth=1
	s_or_b64 exec, exec, s[16:17]
	v_cmp_ne_u16_sdwa s[34:35], v3, v61 src0_sel:BYTE_1 src1_sel:DWORD
	s_and_saveexec_b64 s[16:17], s[34:35]
	s_cbranch_execz .LBB215_321
; %bb.316:                              ;   in Loop: Header=BB215_9 Depth=1
	v_cmp_ne_u16_sdwa s[36:37], v3, s42 src0_sel:BYTE_1 src1_sel:DWORD
	buffer_store_dword v61, off, s[48:51], 0 offset:420 ; 4-byte Folded Spill
	s_nop 0
	buffer_store_dword v62, off, s[48:51], 0 offset:424 ; 4-byte Folded Spill
	s_and_saveexec_b64 s[34:35], s[36:37]
	s_cbranch_execz .LBB215_320
; %bb.317:                              ;   in Loop: Header=BB215_9 Depth=1
	buffer_load_dword v7, off, s[48:51], 0  ; 4-byte Folded Reload
	buffer_load_dword v8, off, s[48:51], 0 offset:4 ; 4-byte Folded Reload
	v_and_b32_sdwa v0, v3, s43 dst_sel:DWORD dst_unused:UNUSED_PAD src0_sel:BYTE_1 src1_sel:DWORD
	v_cmp_ne_u32_e32 vcc, s43, v0
	s_waitcnt vmcnt(1)
	v_mov_b32_e32 v7, v61
	s_waitcnt vmcnt(0)
	v_mov_b32_e32 v4, v8
	buffer_store_dword v3, off, s[48:51], 0 ; 4-byte Folded Spill
	s_nop 0
	buffer_store_dword v4, off, s[48:51], 0 offset:4 ; 4-byte Folded Spill
	buffer_store_dword v7, off, s[48:51], 0 offset:420 ; 4-byte Folded Spill
	s_nop 0
	buffer_store_dword v8, off, s[48:51], 0 offset:424 ; 4-byte Folded Spill
	s_and_saveexec_b64 s[36:37], vcc
	s_cbranch_execz .LBB215_319
; %bb.318:                              ;   in Loop: Header=BB215_9 Depth=1
	v_mov_b32_e32 v4, 7
	v_and_b32_sdwa v7, v3, v4 dst_sel:DWORD dst_unused:UNUSED_PAD src0_sel:BYTE_1 src1_sel:DWORD
	v_lshrrev_b32_e32 v4, 3, v0
	v_cmp_gt_u32_e32 vcc, 8, v0
	v_ffbh_u32_e32 v0, v7
	v_min_u32_e32 v0, 32, v0
	v_mov_b32_e32 v8, v61
	v_subrev_u32_e32 v9, 28, v0
	v_lshlrev_b64 v[8:9], v9, v[7:8]
	v_sub_u32_e32 v0, 29, v0
	v_and_b32_e32 v8, 7, v8
	v_cndmask_b32_e32 v0, v4, v0, vcc
	v_cndmask_b32_e32 v4, v7, v8, vcc
	v_bfrev_b32_e32 v7, 60
	v_lshlrev_b32_e32 v3, 16, v3
	v_lshl_add_u32 v0, v0, 23, v7
	v_and_or_b32 v0, v3, s44, v0
	v_lshlrev_b32_e32 v3, 20, v4
	v_or_b32_e32 v4, v0, v3
	v_mov_b32_e32 v3, v61
	buffer_store_dword v3, off, s[48:51], 0 offset:420 ; 4-byte Folded Spill
	s_nop 0
	buffer_store_dword v4, off, s[48:51], 0 offset:424 ; 4-byte Folded Spill
.LBB215_319:                            ;   in Loop: Header=BB215_9 Depth=1
	s_or_b64 exec, exec, s[36:37]
.LBB215_320:                            ;   in Loop: Header=BB215_9 Depth=1
	s_or_b64 exec, exec, s[34:35]
.LBB215_321:                            ;   in Loop: Header=BB215_9 Depth=1
	s_or_b64 exec, exec, s[16:17]
	global_load_ushort v0, v[5:6], off offset:3080
	v_mov_b32_e32 v7, 0
	v_mov_b32_e32 v8, 0
	buffer_store_dword v7, off, s[48:51], 0 offset:436 ; 4-byte Folded Spill
	s_nop 0
	buffer_store_dword v8, off, s[48:51], 0 offset:440 ; 4-byte Folded Spill
	v_mov_b32_e32 v7, 0
	v_mov_b32_e32 v8, 0
	buffer_store_dword v7, off, s[48:51], 0 offset:428 ; 4-byte Folded Spill
	s_nop 0
	buffer_store_dword v8, off, s[48:51], 0 offset:432 ; 4-byte Folded Spill
	s_waitcnt vmcnt(4)
	v_and_b32_e32 v3, 0xffff, v0
	v_cmp_ne_u16_sdwa s[34:35], v0, v61 src0_sel:BYTE_0 src1_sel:DWORD
	s_and_saveexec_b64 s[16:17], s[34:35]
	s_cbranch_execz .LBB215_327
; %bb.322:                              ;   in Loop: Header=BB215_9 Depth=1
	v_bfrev_b32_e32 v7, 1
	v_mov_b32_e32 v8, 0
	v_cmp_ne_u16_sdwa s[36:37], v3, s42 src0_sel:BYTE_0 src1_sel:DWORD
	buffer_store_dword v7, off, s[48:51], 0 offset:428 ; 4-byte Folded Spill
	s_nop 0
	buffer_store_dword v8, off, s[48:51], 0 offset:432 ; 4-byte Folded Spill
	s_and_saveexec_b64 s[34:35], s[36:37]
	s_cbranch_execz .LBB215_326
; %bb.323:                              ;   in Loop: Header=BB215_9 Depth=1
	v_and_b32_e32 v0, 0x7f, v3
	v_mov_b32_e32 v7, 0x7f800001
	v_mov_b32_e32 v8, 0
	v_cmp_ne_u32_e32 vcc, s43, v0
	buffer_store_dword v7, off, s[48:51], 0 offset:428 ; 4-byte Folded Spill
	s_nop 0
	buffer_store_dword v8, off, s[48:51], 0 offset:432 ; 4-byte Folded Spill
	s_and_saveexec_b64 s[36:37], vcc
	s_cbranch_execz .LBB215_325
; %bb.324:                              ;   in Loop: Header=BB215_9 Depth=1
	v_and_b32_e32 v4, 7, v3
	v_lshrrev_b32_e32 v9, 3, v0
	v_cmp_gt_u32_e32 vcc, 8, v0
	v_ffbh_u32_e32 v0, v4
	v_min_u32_e32 v0, 32, v0
	v_subrev_u32_e32 v7, 28, v0
	v_lshlrev_b64 v[7:8], v7, v[3:4]
	v_sub_u32_e32 v0, 29, v0
	v_and_b32_e32 v7, 7, v7
	v_cndmask_b32_e32 v0, v9, v0, vcc
	v_cndmask_b32_e32 v4, v4, v7, vcc
	v_bfrev_b32_e32 v8, 60
	v_lshlrev_b32_e32 v4, 20, v4
	v_and_b32_sdwa v7, sext(v3), s44 dst_sel:DWORD dst_unused:UNUSED_PAD src0_sel:BYTE_0 src1_sel:DWORD
	v_lshl_add_u32 v0, v0, 23, v8
	v_or3_b32 v7, v7, v0, v4
	v_mov_b32_e32 v8, v61
	buffer_store_dword v7, off, s[48:51], 0 offset:428 ; 4-byte Folded Spill
	s_nop 0
	buffer_store_dword v8, off, s[48:51], 0 offset:432 ; 4-byte Folded Spill
.LBB215_325:                            ;   in Loop: Header=BB215_9 Depth=1
	s_or_b64 exec, exec, s[36:37]
.LBB215_326:                            ;   in Loop: Header=BB215_9 Depth=1
	s_or_b64 exec, exec, s[34:35]
.LBB215_327:                            ;   in Loop: Header=BB215_9 Depth=1
	s_or_b64 exec, exec, s[16:17]
	v_cmp_ne_u16_sdwa s[34:35], v3, v61 src0_sel:BYTE_1 src1_sel:DWORD
	s_and_saveexec_b64 s[16:17], s[34:35]
	s_cbranch_execz .LBB215_333
; %bb.328:                              ;   in Loop: Header=BB215_9 Depth=1
	v_cmp_ne_u16_sdwa s[36:37], v3, s42 src0_sel:BYTE_1 src1_sel:DWORD
	buffer_store_dword v61, off, s[48:51], 0 offset:436 ; 4-byte Folded Spill
	s_nop 0
	buffer_store_dword v62, off, s[48:51], 0 offset:440 ; 4-byte Folded Spill
	s_and_saveexec_b64 s[34:35], s[36:37]
	s_cbranch_execz .LBB215_332
; %bb.329:                              ;   in Loop: Header=BB215_9 Depth=1
	buffer_load_dword v7, off, s[48:51], 0  ; 4-byte Folded Reload
	buffer_load_dword v8, off, s[48:51], 0 offset:4 ; 4-byte Folded Reload
	v_and_b32_sdwa v0, v3, s43 dst_sel:DWORD dst_unused:UNUSED_PAD src0_sel:BYTE_1 src1_sel:DWORD
	v_cmp_ne_u32_e32 vcc, s43, v0
	s_waitcnt vmcnt(1)
	v_mov_b32_e32 v7, v61
	s_waitcnt vmcnt(0)
	v_mov_b32_e32 v4, v8
	buffer_store_dword v3, off, s[48:51], 0 ; 4-byte Folded Spill
	s_nop 0
	buffer_store_dword v4, off, s[48:51], 0 offset:4 ; 4-byte Folded Spill
	buffer_store_dword v7, off, s[48:51], 0 offset:436 ; 4-byte Folded Spill
	s_nop 0
	buffer_store_dword v8, off, s[48:51], 0 offset:440 ; 4-byte Folded Spill
	s_and_saveexec_b64 s[36:37], vcc
	s_cbranch_execz .LBB215_331
; %bb.330:                              ;   in Loop: Header=BB215_9 Depth=1
	v_mov_b32_e32 v4, 7
	v_and_b32_sdwa v7, v3, v4 dst_sel:DWORD dst_unused:UNUSED_PAD src0_sel:BYTE_1 src1_sel:DWORD
	v_lshrrev_b32_e32 v4, 3, v0
	v_cmp_gt_u32_e32 vcc, 8, v0
	v_ffbh_u32_e32 v0, v7
	v_min_u32_e32 v0, 32, v0
	v_mov_b32_e32 v8, v61
	v_subrev_u32_e32 v9, 28, v0
	v_lshlrev_b64 v[8:9], v9, v[7:8]
	v_sub_u32_e32 v0, 29, v0
	v_and_b32_e32 v8, 7, v8
	v_cndmask_b32_e32 v0, v4, v0, vcc
	v_cndmask_b32_e32 v4, v7, v8, vcc
	v_bfrev_b32_e32 v7, 60
	v_lshlrev_b32_e32 v3, 16, v3
	v_lshl_add_u32 v0, v0, 23, v7
	v_and_or_b32 v0, v3, s44, v0
	v_lshlrev_b32_e32 v3, 20, v4
	v_or_b32_e32 v4, v0, v3
	v_mov_b32_e32 v3, v61
	buffer_store_dword v3, off, s[48:51], 0 offset:436 ; 4-byte Folded Spill
	s_nop 0
	buffer_store_dword v4, off, s[48:51], 0 offset:440 ; 4-byte Folded Spill
.LBB215_331:                            ;   in Loop: Header=BB215_9 Depth=1
	s_or_b64 exec, exec, s[36:37]
.LBB215_332:                            ;   in Loop: Header=BB215_9 Depth=1
	s_or_b64 exec, exec, s[34:35]
.LBB215_333:                            ;   in Loop: Header=BB215_9 Depth=1
	s_or_b64 exec, exec, s[16:17]
	global_load_ushort v0, v[5:6], off offset:3084
	v_mov_b32_e32 v7, 0
	v_mov_b32_e32 v8, 0
	buffer_store_dword v7, off, s[48:51], 0 offset:452 ; 4-byte Folded Spill
	s_nop 0
	buffer_store_dword v8, off, s[48:51], 0 offset:456 ; 4-byte Folded Spill
	v_mov_b32_e32 v7, 0
	v_mov_b32_e32 v8, 0
	buffer_store_dword v7, off, s[48:51], 0 offset:444 ; 4-byte Folded Spill
	s_nop 0
	buffer_store_dword v8, off, s[48:51], 0 offset:448 ; 4-byte Folded Spill
	s_waitcnt vmcnt(4)
	v_and_b32_e32 v3, 0xffff, v0
	v_cmp_ne_u16_sdwa s[34:35], v0, v61 src0_sel:BYTE_0 src1_sel:DWORD
	s_and_saveexec_b64 s[16:17], s[34:35]
	s_cbranch_execz .LBB215_339
; %bb.334:                              ;   in Loop: Header=BB215_9 Depth=1
	v_bfrev_b32_e32 v7, 1
	v_mov_b32_e32 v8, 0
	v_cmp_ne_u16_sdwa s[36:37], v3, s42 src0_sel:BYTE_0 src1_sel:DWORD
	buffer_store_dword v7, off, s[48:51], 0 offset:444 ; 4-byte Folded Spill
	s_nop 0
	buffer_store_dword v8, off, s[48:51], 0 offset:448 ; 4-byte Folded Spill
	s_and_saveexec_b64 s[34:35], s[36:37]
	s_cbranch_execz .LBB215_338
; %bb.335:                              ;   in Loop: Header=BB215_9 Depth=1
	v_and_b32_e32 v0, 0x7f, v3
	v_mov_b32_e32 v7, 0x7f800001
	v_mov_b32_e32 v8, 0
	v_cmp_ne_u32_e32 vcc, s43, v0
	buffer_store_dword v7, off, s[48:51], 0 offset:444 ; 4-byte Folded Spill
	s_nop 0
	buffer_store_dword v8, off, s[48:51], 0 offset:448 ; 4-byte Folded Spill
	s_and_saveexec_b64 s[36:37], vcc
	s_cbranch_execz .LBB215_337
; %bb.336:                              ;   in Loop: Header=BB215_9 Depth=1
	v_and_b32_e32 v4, 7, v3
	v_lshrrev_b32_e32 v9, 3, v0
	v_cmp_gt_u32_e32 vcc, 8, v0
	v_ffbh_u32_e32 v0, v4
	v_min_u32_e32 v0, 32, v0
	v_subrev_u32_e32 v7, 28, v0
	v_lshlrev_b64 v[7:8], v7, v[3:4]
	v_sub_u32_e32 v0, 29, v0
	v_and_b32_e32 v7, 7, v7
	v_cndmask_b32_e32 v0, v9, v0, vcc
	v_cndmask_b32_e32 v4, v4, v7, vcc
	v_bfrev_b32_e32 v8, 60
	v_lshlrev_b32_e32 v4, 20, v4
	v_and_b32_sdwa v7, sext(v3), s44 dst_sel:DWORD dst_unused:UNUSED_PAD src0_sel:BYTE_0 src1_sel:DWORD
	v_lshl_add_u32 v0, v0, 23, v8
	v_or3_b32 v7, v7, v0, v4
	v_mov_b32_e32 v8, v61
	buffer_store_dword v7, off, s[48:51], 0 offset:444 ; 4-byte Folded Spill
	s_nop 0
	buffer_store_dword v8, off, s[48:51], 0 offset:448 ; 4-byte Folded Spill
.LBB215_337:                            ;   in Loop: Header=BB215_9 Depth=1
	s_or_b64 exec, exec, s[36:37]
.LBB215_338:                            ;   in Loop: Header=BB215_9 Depth=1
	s_or_b64 exec, exec, s[34:35]
.LBB215_339:                            ;   in Loop: Header=BB215_9 Depth=1
	s_or_b64 exec, exec, s[16:17]
	v_cmp_ne_u16_sdwa s[34:35], v3, v61 src0_sel:BYTE_1 src1_sel:DWORD
	s_and_saveexec_b64 s[16:17], s[34:35]
	s_cbranch_execz .LBB215_345
; %bb.340:                              ;   in Loop: Header=BB215_9 Depth=1
	v_cmp_ne_u16_sdwa s[36:37], v3, s42 src0_sel:BYTE_1 src1_sel:DWORD
	buffer_store_dword v61, off, s[48:51], 0 offset:452 ; 4-byte Folded Spill
	s_nop 0
	buffer_store_dword v62, off, s[48:51], 0 offset:456 ; 4-byte Folded Spill
	s_and_saveexec_b64 s[34:35], s[36:37]
	s_cbranch_execz .LBB215_344
; %bb.341:                              ;   in Loop: Header=BB215_9 Depth=1
	buffer_load_dword v7, off, s[48:51], 0  ; 4-byte Folded Reload
	buffer_load_dword v8, off, s[48:51], 0 offset:4 ; 4-byte Folded Reload
	v_and_b32_sdwa v0, v3, s43 dst_sel:DWORD dst_unused:UNUSED_PAD src0_sel:BYTE_1 src1_sel:DWORD
	v_cmp_ne_u32_e32 vcc, s43, v0
	s_waitcnt vmcnt(1)
	v_mov_b32_e32 v7, v61
	s_waitcnt vmcnt(0)
	v_mov_b32_e32 v4, v8
	buffer_store_dword v3, off, s[48:51], 0 ; 4-byte Folded Spill
	s_nop 0
	buffer_store_dword v4, off, s[48:51], 0 offset:4 ; 4-byte Folded Spill
	buffer_store_dword v7, off, s[48:51], 0 offset:452 ; 4-byte Folded Spill
	s_nop 0
	buffer_store_dword v8, off, s[48:51], 0 offset:456 ; 4-byte Folded Spill
	s_and_saveexec_b64 s[36:37], vcc
	s_cbranch_execz .LBB215_343
; %bb.342:                              ;   in Loop: Header=BB215_9 Depth=1
	v_mov_b32_e32 v4, 7
	v_and_b32_sdwa v7, v3, v4 dst_sel:DWORD dst_unused:UNUSED_PAD src0_sel:BYTE_1 src1_sel:DWORD
	v_lshrrev_b32_e32 v4, 3, v0
	v_cmp_gt_u32_e32 vcc, 8, v0
	v_ffbh_u32_e32 v0, v7
	v_min_u32_e32 v0, 32, v0
	v_mov_b32_e32 v8, v61
	v_subrev_u32_e32 v9, 28, v0
	v_lshlrev_b64 v[8:9], v9, v[7:8]
	v_sub_u32_e32 v0, 29, v0
	v_and_b32_e32 v8, 7, v8
	v_cndmask_b32_e32 v0, v4, v0, vcc
	v_cndmask_b32_e32 v4, v7, v8, vcc
	v_bfrev_b32_e32 v7, 60
	v_lshlrev_b32_e32 v3, 16, v3
	v_lshl_add_u32 v0, v0, 23, v7
	v_and_or_b32 v0, v3, s44, v0
	v_lshlrev_b32_e32 v3, 20, v4
	v_or_b32_e32 v4, v0, v3
	v_mov_b32_e32 v3, v61
	buffer_store_dword v3, off, s[48:51], 0 offset:452 ; 4-byte Folded Spill
	s_nop 0
	buffer_store_dword v4, off, s[48:51], 0 offset:456 ; 4-byte Folded Spill
.LBB215_343:                            ;   in Loop: Header=BB215_9 Depth=1
	s_or_b64 exec, exec, s[36:37]
.LBB215_344:                            ;   in Loop: Header=BB215_9 Depth=1
	s_or_b64 exec, exec, s[34:35]
.LBB215_345:                            ;   in Loop: Header=BB215_9 Depth=1
	s_or_b64 exec, exec, s[16:17]
	global_load_ushort v0, v[5:6], off offset:3584
	v_mov_b32_e32 v7, 0
	v_mov_b32_e32 v8, 0
	buffer_store_dword v7, off, s[48:51], 0 offset:468 ; 4-byte Folded Spill
	s_nop 0
	buffer_store_dword v8, off, s[48:51], 0 offset:472 ; 4-byte Folded Spill
	v_mov_b32_e32 v7, 0
	v_mov_b32_e32 v8, 0
	buffer_store_dword v7, off, s[48:51], 0 offset:460 ; 4-byte Folded Spill
	s_nop 0
	buffer_store_dword v8, off, s[48:51], 0 offset:464 ; 4-byte Folded Spill
	s_waitcnt vmcnt(4)
	v_and_b32_e32 v3, 0xffff, v0
	v_cmp_ne_u16_sdwa s[34:35], v0, v61 src0_sel:BYTE_0 src1_sel:DWORD
	s_and_saveexec_b64 s[16:17], s[34:35]
	s_cbranch_execz .LBB215_351
; %bb.346:                              ;   in Loop: Header=BB215_9 Depth=1
	v_bfrev_b32_e32 v7, 1
	v_mov_b32_e32 v8, 0
	v_cmp_ne_u16_sdwa s[36:37], v3, s42 src0_sel:BYTE_0 src1_sel:DWORD
	buffer_store_dword v7, off, s[48:51], 0 offset:460 ; 4-byte Folded Spill
	s_nop 0
	buffer_store_dword v8, off, s[48:51], 0 offset:464 ; 4-byte Folded Spill
	s_and_saveexec_b64 s[34:35], s[36:37]
	s_cbranch_execz .LBB215_350
; %bb.347:                              ;   in Loop: Header=BB215_9 Depth=1
	v_and_b32_e32 v0, 0x7f, v3
	v_mov_b32_e32 v7, 0x7f800001
	v_mov_b32_e32 v8, 0
	v_cmp_ne_u32_e32 vcc, s43, v0
	buffer_store_dword v7, off, s[48:51], 0 offset:460 ; 4-byte Folded Spill
	s_nop 0
	buffer_store_dword v8, off, s[48:51], 0 offset:464 ; 4-byte Folded Spill
	s_and_saveexec_b64 s[36:37], vcc
	s_cbranch_execz .LBB215_349
; %bb.348:                              ;   in Loop: Header=BB215_9 Depth=1
	v_and_b32_e32 v4, 7, v3
	v_lshrrev_b32_e32 v9, 3, v0
	v_cmp_gt_u32_e32 vcc, 8, v0
	v_ffbh_u32_e32 v0, v4
	v_min_u32_e32 v0, 32, v0
	v_subrev_u32_e32 v7, 28, v0
	v_lshlrev_b64 v[7:8], v7, v[3:4]
	v_sub_u32_e32 v0, 29, v0
	v_and_b32_e32 v7, 7, v7
	v_cndmask_b32_e32 v0, v9, v0, vcc
	v_cndmask_b32_e32 v4, v4, v7, vcc
	v_bfrev_b32_e32 v8, 60
	v_lshlrev_b32_e32 v4, 20, v4
	v_and_b32_sdwa v7, sext(v3), s44 dst_sel:DWORD dst_unused:UNUSED_PAD src0_sel:BYTE_0 src1_sel:DWORD
	v_lshl_add_u32 v0, v0, 23, v8
	v_or3_b32 v7, v7, v0, v4
	v_mov_b32_e32 v8, v61
	buffer_store_dword v7, off, s[48:51], 0 offset:460 ; 4-byte Folded Spill
	s_nop 0
	buffer_store_dword v8, off, s[48:51], 0 offset:464 ; 4-byte Folded Spill
.LBB215_349:                            ;   in Loop: Header=BB215_9 Depth=1
	s_or_b64 exec, exec, s[36:37]
.LBB215_350:                            ;   in Loop: Header=BB215_9 Depth=1
	s_or_b64 exec, exec, s[34:35]
.LBB215_351:                            ;   in Loop: Header=BB215_9 Depth=1
	s_or_b64 exec, exec, s[16:17]
	v_cmp_ne_u16_sdwa s[34:35], v3, v61 src0_sel:BYTE_1 src1_sel:DWORD
	s_and_saveexec_b64 s[16:17], s[34:35]
	s_cbranch_execz .LBB215_357
; %bb.352:                              ;   in Loop: Header=BB215_9 Depth=1
	v_cmp_ne_u16_sdwa s[36:37], v3, s42 src0_sel:BYTE_1 src1_sel:DWORD
	buffer_store_dword v61, off, s[48:51], 0 offset:468 ; 4-byte Folded Spill
	s_nop 0
	buffer_store_dword v62, off, s[48:51], 0 offset:472 ; 4-byte Folded Spill
	s_and_saveexec_b64 s[34:35], s[36:37]
	s_cbranch_execz .LBB215_356
; %bb.353:                              ;   in Loop: Header=BB215_9 Depth=1
	buffer_load_dword v7, off, s[48:51], 0  ; 4-byte Folded Reload
	buffer_load_dword v8, off, s[48:51], 0 offset:4 ; 4-byte Folded Reload
	v_and_b32_sdwa v0, v3, s43 dst_sel:DWORD dst_unused:UNUSED_PAD src0_sel:BYTE_1 src1_sel:DWORD
	v_cmp_ne_u32_e32 vcc, s43, v0
	s_waitcnt vmcnt(1)
	v_mov_b32_e32 v7, v61
	s_waitcnt vmcnt(0)
	v_mov_b32_e32 v4, v8
	buffer_store_dword v3, off, s[48:51], 0 ; 4-byte Folded Spill
	s_nop 0
	buffer_store_dword v4, off, s[48:51], 0 offset:4 ; 4-byte Folded Spill
	buffer_store_dword v7, off, s[48:51], 0 offset:468 ; 4-byte Folded Spill
	s_nop 0
	buffer_store_dword v8, off, s[48:51], 0 offset:472 ; 4-byte Folded Spill
	s_and_saveexec_b64 s[36:37], vcc
	s_cbranch_execz .LBB215_355
; %bb.354:                              ;   in Loop: Header=BB215_9 Depth=1
	v_mov_b32_e32 v4, 7
	v_and_b32_sdwa v7, v3, v4 dst_sel:DWORD dst_unused:UNUSED_PAD src0_sel:BYTE_1 src1_sel:DWORD
	v_lshrrev_b32_e32 v4, 3, v0
	v_cmp_gt_u32_e32 vcc, 8, v0
	v_ffbh_u32_e32 v0, v7
	v_min_u32_e32 v0, 32, v0
	v_mov_b32_e32 v8, v61
	v_subrev_u32_e32 v9, 28, v0
	v_lshlrev_b64 v[8:9], v9, v[7:8]
	v_sub_u32_e32 v0, 29, v0
	v_and_b32_e32 v8, 7, v8
	v_cndmask_b32_e32 v0, v4, v0, vcc
	v_cndmask_b32_e32 v4, v7, v8, vcc
	v_bfrev_b32_e32 v7, 60
	v_lshlrev_b32_e32 v3, 16, v3
	v_lshl_add_u32 v0, v0, 23, v7
	v_and_or_b32 v0, v3, s44, v0
	v_lshlrev_b32_e32 v3, 20, v4
	v_or_b32_e32 v4, v0, v3
	v_mov_b32_e32 v3, v61
	buffer_store_dword v3, off, s[48:51], 0 offset:468 ; 4-byte Folded Spill
	s_nop 0
	buffer_store_dword v4, off, s[48:51], 0 offset:472 ; 4-byte Folded Spill
.LBB215_355:                            ;   in Loop: Header=BB215_9 Depth=1
	s_or_b64 exec, exec, s[36:37]
.LBB215_356:                            ;   in Loop: Header=BB215_9 Depth=1
	s_or_b64 exec, exec, s[34:35]
.LBB215_357:                            ;   in Loop: Header=BB215_9 Depth=1
	s_or_b64 exec, exec, s[16:17]
	global_load_ushort v0, v[5:6], off offset:3588
	v_mov_b32_e32 v7, 0
	v_mov_b32_e32 v8, 0
	buffer_store_dword v7, off, s[48:51], 0 offset:484 ; 4-byte Folded Spill
	s_nop 0
	buffer_store_dword v8, off, s[48:51], 0 offset:488 ; 4-byte Folded Spill
	v_mov_b32_e32 v7, 0
	v_mov_b32_e32 v8, 0
	buffer_store_dword v7, off, s[48:51], 0 offset:476 ; 4-byte Folded Spill
	s_nop 0
	buffer_store_dword v8, off, s[48:51], 0 offset:480 ; 4-byte Folded Spill
	s_waitcnt vmcnt(4)
	v_and_b32_e32 v3, 0xffff, v0
	v_cmp_ne_u16_sdwa s[34:35], v0, v61 src0_sel:BYTE_0 src1_sel:DWORD
	s_and_saveexec_b64 s[16:17], s[34:35]
	s_cbranch_execz .LBB215_363
; %bb.358:                              ;   in Loop: Header=BB215_9 Depth=1
	v_bfrev_b32_e32 v7, 1
	v_mov_b32_e32 v8, 0
	v_cmp_ne_u16_sdwa s[36:37], v3, s42 src0_sel:BYTE_0 src1_sel:DWORD
	buffer_store_dword v7, off, s[48:51], 0 offset:476 ; 4-byte Folded Spill
	s_nop 0
	buffer_store_dword v8, off, s[48:51], 0 offset:480 ; 4-byte Folded Spill
	s_and_saveexec_b64 s[34:35], s[36:37]
	s_cbranch_execz .LBB215_362
; %bb.359:                              ;   in Loop: Header=BB215_9 Depth=1
	v_and_b32_e32 v0, 0x7f, v3
	v_mov_b32_e32 v7, 0x7f800001
	v_mov_b32_e32 v8, 0
	v_cmp_ne_u32_e32 vcc, s43, v0
	buffer_store_dword v7, off, s[48:51], 0 offset:476 ; 4-byte Folded Spill
	s_nop 0
	buffer_store_dword v8, off, s[48:51], 0 offset:480 ; 4-byte Folded Spill
	s_and_saveexec_b64 s[36:37], vcc
	s_cbranch_execz .LBB215_361
; %bb.360:                              ;   in Loop: Header=BB215_9 Depth=1
	v_and_b32_e32 v4, 7, v3
	v_lshrrev_b32_e32 v9, 3, v0
	v_cmp_gt_u32_e32 vcc, 8, v0
	v_ffbh_u32_e32 v0, v4
	v_min_u32_e32 v0, 32, v0
	v_subrev_u32_e32 v7, 28, v0
	v_lshlrev_b64 v[7:8], v7, v[3:4]
	v_sub_u32_e32 v0, 29, v0
	v_and_b32_e32 v7, 7, v7
	v_cndmask_b32_e32 v0, v9, v0, vcc
	v_cndmask_b32_e32 v4, v4, v7, vcc
	v_bfrev_b32_e32 v8, 60
	v_lshlrev_b32_e32 v4, 20, v4
	v_and_b32_sdwa v7, sext(v3), s44 dst_sel:DWORD dst_unused:UNUSED_PAD src0_sel:BYTE_0 src1_sel:DWORD
	v_lshl_add_u32 v0, v0, 23, v8
	v_or3_b32 v7, v7, v0, v4
	v_mov_b32_e32 v8, v61
	buffer_store_dword v7, off, s[48:51], 0 offset:476 ; 4-byte Folded Spill
	s_nop 0
	buffer_store_dword v8, off, s[48:51], 0 offset:480 ; 4-byte Folded Spill
.LBB215_361:                            ;   in Loop: Header=BB215_9 Depth=1
	s_or_b64 exec, exec, s[36:37]
.LBB215_362:                            ;   in Loop: Header=BB215_9 Depth=1
	s_or_b64 exec, exec, s[34:35]
.LBB215_363:                            ;   in Loop: Header=BB215_9 Depth=1
	s_or_b64 exec, exec, s[16:17]
	v_cmp_ne_u16_sdwa s[34:35], v3, v61 src0_sel:BYTE_1 src1_sel:DWORD
	s_and_saveexec_b64 s[16:17], s[34:35]
	s_cbranch_execz .LBB215_369
; %bb.364:                              ;   in Loop: Header=BB215_9 Depth=1
	v_cmp_ne_u16_sdwa s[36:37], v3, s42 src0_sel:BYTE_1 src1_sel:DWORD
	buffer_store_dword v61, off, s[48:51], 0 offset:484 ; 4-byte Folded Spill
	s_nop 0
	buffer_store_dword v62, off, s[48:51], 0 offset:488 ; 4-byte Folded Spill
	s_and_saveexec_b64 s[34:35], s[36:37]
	s_cbranch_execz .LBB215_368
; %bb.365:                              ;   in Loop: Header=BB215_9 Depth=1
	buffer_load_dword v7, off, s[48:51], 0  ; 4-byte Folded Reload
	buffer_load_dword v8, off, s[48:51], 0 offset:4 ; 4-byte Folded Reload
	v_and_b32_sdwa v0, v3, s43 dst_sel:DWORD dst_unused:UNUSED_PAD src0_sel:BYTE_1 src1_sel:DWORD
	v_cmp_ne_u32_e32 vcc, s43, v0
	s_waitcnt vmcnt(1)
	v_mov_b32_e32 v7, v61
	s_waitcnt vmcnt(0)
	v_mov_b32_e32 v4, v8
	buffer_store_dword v3, off, s[48:51], 0 ; 4-byte Folded Spill
	s_nop 0
	buffer_store_dword v4, off, s[48:51], 0 offset:4 ; 4-byte Folded Spill
	buffer_store_dword v7, off, s[48:51], 0 offset:484 ; 4-byte Folded Spill
	s_nop 0
	buffer_store_dword v8, off, s[48:51], 0 offset:488 ; 4-byte Folded Spill
	s_and_saveexec_b64 s[36:37], vcc
	s_cbranch_execz .LBB215_367
; %bb.366:                              ;   in Loop: Header=BB215_9 Depth=1
	v_mov_b32_e32 v4, 7
	v_and_b32_sdwa v7, v3, v4 dst_sel:DWORD dst_unused:UNUSED_PAD src0_sel:BYTE_1 src1_sel:DWORD
	v_lshrrev_b32_e32 v4, 3, v0
	v_cmp_gt_u32_e32 vcc, 8, v0
	v_ffbh_u32_e32 v0, v7
	v_min_u32_e32 v0, 32, v0
	v_mov_b32_e32 v8, v61
	v_subrev_u32_e32 v9, 28, v0
	v_lshlrev_b64 v[8:9], v9, v[7:8]
	v_sub_u32_e32 v0, 29, v0
	v_and_b32_e32 v8, 7, v8
	v_cndmask_b32_e32 v0, v4, v0, vcc
	v_cndmask_b32_e32 v4, v7, v8, vcc
	v_bfrev_b32_e32 v7, 60
	v_lshlrev_b32_e32 v3, 16, v3
	v_lshl_add_u32 v0, v0, 23, v7
	v_and_or_b32 v0, v3, s44, v0
	v_lshlrev_b32_e32 v3, 20, v4
	v_or_b32_e32 v4, v0, v3
	v_mov_b32_e32 v3, v61
	buffer_store_dword v3, off, s[48:51], 0 offset:484 ; 4-byte Folded Spill
	s_nop 0
	buffer_store_dword v4, off, s[48:51], 0 offset:488 ; 4-byte Folded Spill
.LBB215_367:                            ;   in Loop: Header=BB215_9 Depth=1
	s_or_b64 exec, exec, s[36:37]
.LBB215_368:                            ;   in Loop: Header=BB215_9 Depth=1
	s_or_b64 exec, exec, s[34:35]
.LBB215_369:                            ;   in Loop: Header=BB215_9 Depth=1
	s_or_b64 exec, exec, s[16:17]
	global_load_ushort v0, v[5:6], off offset:3592
	v_mov_b32_e32 v7, 0
	v_mov_b32_e32 v8, 0
	buffer_store_dword v7, off, s[48:51], 0 offset:500 ; 4-byte Folded Spill
	s_nop 0
	buffer_store_dword v8, off, s[48:51], 0 offset:504 ; 4-byte Folded Spill
	v_mov_b32_e32 v7, 0
	v_mov_b32_e32 v8, 0
	buffer_store_dword v7, off, s[48:51], 0 offset:492 ; 4-byte Folded Spill
	s_nop 0
	buffer_store_dword v8, off, s[48:51], 0 offset:496 ; 4-byte Folded Spill
	s_waitcnt vmcnt(4)
	v_and_b32_e32 v3, 0xffff, v0
	v_cmp_ne_u16_sdwa s[34:35], v0, v61 src0_sel:BYTE_0 src1_sel:DWORD
	s_and_saveexec_b64 s[16:17], s[34:35]
	s_cbranch_execz .LBB215_375
; %bb.370:                              ;   in Loop: Header=BB215_9 Depth=1
	v_bfrev_b32_e32 v7, 1
	v_mov_b32_e32 v8, 0
	v_cmp_ne_u16_sdwa s[36:37], v3, s42 src0_sel:BYTE_0 src1_sel:DWORD
	buffer_store_dword v7, off, s[48:51], 0 offset:492 ; 4-byte Folded Spill
	s_nop 0
	buffer_store_dword v8, off, s[48:51], 0 offset:496 ; 4-byte Folded Spill
	s_and_saveexec_b64 s[34:35], s[36:37]
	s_cbranch_execz .LBB215_374
; %bb.371:                              ;   in Loop: Header=BB215_9 Depth=1
	v_and_b32_e32 v0, 0x7f, v3
	v_mov_b32_e32 v7, 0x7f800001
	v_mov_b32_e32 v8, 0
	v_cmp_ne_u32_e32 vcc, s43, v0
	buffer_store_dword v7, off, s[48:51], 0 offset:492 ; 4-byte Folded Spill
	s_nop 0
	buffer_store_dword v8, off, s[48:51], 0 offset:496 ; 4-byte Folded Spill
	s_and_saveexec_b64 s[36:37], vcc
	s_cbranch_execz .LBB215_373
; %bb.372:                              ;   in Loop: Header=BB215_9 Depth=1
	v_and_b32_e32 v4, 7, v3
	v_lshrrev_b32_e32 v9, 3, v0
	v_cmp_gt_u32_e32 vcc, 8, v0
	v_ffbh_u32_e32 v0, v4
	v_min_u32_e32 v0, 32, v0
	v_subrev_u32_e32 v7, 28, v0
	v_lshlrev_b64 v[7:8], v7, v[3:4]
	v_sub_u32_e32 v0, 29, v0
	v_and_b32_e32 v7, 7, v7
	v_cndmask_b32_e32 v0, v9, v0, vcc
	v_cndmask_b32_e32 v4, v4, v7, vcc
	v_bfrev_b32_e32 v8, 60
	v_lshlrev_b32_e32 v4, 20, v4
	v_and_b32_sdwa v7, sext(v3), s44 dst_sel:DWORD dst_unused:UNUSED_PAD src0_sel:BYTE_0 src1_sel:DWORD
	v_lshl_add_u32 v0, v0, 23, v8
	v_or3_b32 v7, v7, v0, v4
	v_mov_b32_e32 v8, v61
	buffer_store_dword v7, off, s[48:51], 0 offset:492 ; 4-byte Folded Spill
	s_nop 0
	buffer_store_dword v8, off, s[48:51], 0 offset:496 ; 4-byte Folded Spill
.LBB215_373:                            ;   in Loop: Header=BB215_9 Depth=1
	s_or_b64 exec, exec, s[36:37]
.LBB215_374:                            ;   in Loop: Header=BB215_9 Depth=1
	s_or_b64 exec, exec, s[34:35]
.LBB215_375:                            ;   in Loop: Header=BB215_9 Depth=1
	s_or_b64 exec, exec, s[16:17]
	v_cmp_ne_u16_sdwa s[34:35], v3, v61 src0_sel:BYTE_1 src1_sel:DWORD
	s_and_saveexec_b64 s[16:17], s[34:35]
	s_cbranch_execz .LBB215_381
; %bb.376:                              ;   in Loop: Header=BB215_9 Depth=1
	v_cmp_ne_u16_sdwa s[36:37], v3, s42 src0_sel:BYTE_1 src1_sel:DWORD
	buffer_store_dword v61, off, s[48:51], 0 offset:500 ; 4-byte Folded Spill
	s_nop 0
	buffer_store_dword v62, off, s[48:51], 0 offset:504 ; 4-byte Folded Spill
	s_and_saveexec_b64 s[34:35], s[36:37]
	s_cbranch_execz .LBB215_380
; %bb.377:                              ;   in Loop: Header=BB215_9 Depth=1
	buffer_load_dword v7, off, s[48:51], 0  ; 4-byte Folded Reload
	buffer_load_dword v8, off, s[48:51], 0 offset:4 ; 4-byte Folded Reload
	v_and_b32_sdwa v0, v3, s43 dst_sel:DWORD dst_unused:UNUSED_PAD src0_sel:BYTE_1 src1_sel:DWORD
	v_cmp_ne_u32_e32 vcc, s43, v0
	s_waitcnt vmcnt(1)
	v_mov_b32_e32 v7, v61
	s_waitcnt vmcnt(0)
	v_mov_b32_e32 v4, v8
	buffer_store_dword v3, off, s[48:51], 0 ; 4-byte Folded Spill
	s_nop 0
	buffer_store_dword v4, off, s[48:51], 0 offset:4 ; 4-byte Folded Spill
	buffer_store_dword v7, off, s[48:51], 0 offset:500 ; 4-byte Folded Spill
	s_nop 0
	buffer_store_dword v8, off, s[48:51], 0 offset:504 ; 4-byte Folded Spill
	s_and_saveexec_b64 s[36:37], vcc
	s_cbranch_execz .LBB215_379
; %bb.378:                              ;   in Loop: Header=BB215_9 Depth=1
	v_mov_b32_e32 v4, 7
	v_and_b32_sdwa v7, v3, v4 dst_sel:DWORD dst_unused:UNUSED_PAD src0_sel:BYTE_1 src1_sel:DWORD
	v_lshrrev_b32_e32 v4, 3, v0
	v_cmp_gt_u32_e32 vcc, 8, v0
	v_ffbh_u32_e32 v0, v7
	v_min_u32_e32 v0, 32, v0
	v_mov_b32_e32 v8, v61
	v_subrev_u32_e32 v9, 28, v0
	v_lshlrev_b64 v[8:9], v9, v[7:8]
	v_sub_u32_e32 v0, 29, v0
	v_and_b32_e32 v8, 7, v8
	v_cndmask_b32_e32 v0, v4, v0, vcc
	v_cndmask_b32_e32 v4, v7, v8, vcc
	v_bfrev_b32_e32 v7, 60
	v_lshlrev_b32_e32 v3, 16, v3
	v_lshl_add_u32 v0, v0, 23, v7
	v_and_or_b32 v0, v3, s44, v0
	v_lshlrev_b32_e32 v3, 20, v4
	v_or_b32_e32 v4, v0, v3
	v_mov_b32_e32 v3, v61
	buffer_store_dword v3, off, s[48:51], 0 offset:500 ; 4-byte Folded Spill
	s_nop 0
	buffer_store_dword v4, off, s[48:51], 0 offset:504 ; 4-byte Folded Spill
.LBB215_379:                            ;   in Loop: Header=BB215_9 Depth=1
	s_or_b64 exec, exec, s[36:37]
.LBB215_380:                            ;   in Loop: Header=BB215_9 Depth=1
	s_or_b64 exec, exec, s[34:35]
.LBB215_381:                            ;   in Loop: Header=BB215_9 Depth=1
	s_or_b64 exec, exec, s[16:17]
	global_load_ushort v0, v[5:6], off offset:3596
	v_mov_b32_e32 v4, 0
	v_mov_b32_e32 v5, 0
	buffer_store_dword v4, off, s[48:51], 0 offset:516 ; 4-byte Folded Spill
	s_nop 0
	buffer_store_dword v5, off, s[48:51], 0 offset:520 ; 4-byte Folded Spill
	v_mov_b32_e32 v4, 0
	v_mov_b32_e32 v5, 0
	buffer_store_dword v4, off, s[48:51], 0 offset:508 ; 4-byte Folded Spill
	s_nop 0
	buffer_store_dword v5, off, s[48:51], 0 offset:512 ; 4-byte Folded Spill
	s_waitcnt vmcnt(4)
	v_and_b32_e32 v3, 0xffff, v0
	v_cmp_ne_u16_sdwa s[34:35], v0, v61 src0_sel:BYTE_0 src1_sel:DWORD
	s_and_saveexec_b64 s[16:17], s[34:35]
	s_cbranch_execz .LBB215_387
; %bb.382:                              ;   in Loop: Header=BB215_9 Depth=1
	v_bfrev_b32_e32 v4, 1
	v_mov_b32_e32 v5, 0
	v_cmp_ne_u16_sdwa s[36:37], v3, s42 src0_sel:BYTE_0 src1_sel:DWORD
	buffer_store_dword v4, off, s[48:51], 0 offset:508 ; 4-byte Folded Spill
	s_nop 0
	buffer_store_dword v5, off, s[48:51], 0 offset:512 ; 4-byte Folded Spill
	s_and_saveexec_b64 s[34:35], s[36:37]
	s_cbranch_execz .LBB215_386
; %bb.383:                              ;   in Loop: Header=BB215_9 Depth=1
	v_and_b32_e32 v0, 0x7f, v3
	v_mov_b32_e32 v4, 0x7f800001
	v_mov_b32_e32 v5, 0
	v_cmp_ne_u32_e32 vcc, s43, v0
	buffer_store_dword v4, off, s[48:51], 0 offset:508 ; 4-byte Folded Spill
	s_nop 0
	buffer_store_dword v5, off, s[48:51], 0 offset:512 ; 4-byte Folded Spill
	s_and_saveexec_b64 s[36:37], vcc
	s_cbranch_execz .LBB215_385
; %bb.384:                              ;   in Loop: Header=BB215_9 Depth=1
	v_and_b32_e32 v6, 7, v3
	v_lshrrev_b32_e32 v7, 3, v0
	v_cmp_gt_u32_e32 vcc, 8, v0
	v_ffbh_u32_e32 v0, v6
	v_min_u32_e32 v0, 32, v0
	v_subrev_u32_e32 v4, 28, v0
	v_lshlrev_b64 v[4:5], v4, v[3:4]
	v_sub_u32_e32 v0, 29, v0
	v_and_b32_e32 v4, 7, v4
	v_cndmask_b32_e32 v0, v7, v0, vcc
	v_cndmask_b32_e32 v4, v6, v4, vcc
	v_bfrev_b32_e32 v6, 60
	v_lshlrev_b32_e32 v4, 20, v4
	v_and_b32_sdwa v5, sext(v3), s44 dst_sel:DWORD dst_unused:UNUSED_PAD src0_sel:BYTE_0 src1_sel:DWORD
	v_lshl_add_u32 v0, v0, 23, v6
	v_or3_b32 v4, v5, v0, v4
	v_mov_b32_e32 v5, v61
	buffer_store_dword v4, off, s[48:51], 0 offset:508 ; 4-byte Folded Spill
	s_nop 0
	buffer_store_dword v5, off, s[48:51], 0 offset:512 ; 4-byte Folded Spill
.LBB215_385:                            ;   in Loop: Header=BB215_9 Depth=1
	s_or_b64 exec, exec, s[36:37]
.LBB215_386:                            ;   in Loop: Header=BB215_9 Depth=1
	s_or_b64 exec, exec, s[34:35]
.LBB215_387:                            ;   in Loop: Header=BB215_9 Depth=1
	s_or_b64 exec, exec, s[16:17]
	v_cmp_ne_u16_sdwa s[34:35], v3, v61 src0_sel:BYTE_1 src1_sel:DWORD
	s_and_saveexec_b64 s[16:17], s[34:35]
	s_cbranch_execz .LBB215_393
; %bb.388:                              ;   in Loop: Header=BB215_9 Depth=1
	v_cmp_ne_u16_sdwa s[36:37], v3, s42 src0_sel:BYTE_1 src1_sel:DWORD
	buffer_store_dword v61, off, s[48:51], 0 offset:516 ; 4-byte Folded Spill
	s_nop 0
	buffer_store_dword v62, off, s[48:51], 0 offset:520 ; 4-byte Folded Spill
	s_and_saveexec_b64 s[34:35], s[36:37]
	s_cbranch_execz .LBB215_392
; %bb.389:                              ;   in Loop: Header=BB215_9 Depth=1
	buffer_load_dword v4, off, s[48:51], 0  ; 4-byte Folded Reload
	buffer_load_dword v5, off, s[48:51], 0 offset:4 ; 4-byte Folded Reload
	v_and_b32_sdwa v0, v3, s43 dst_sel:DWORD dst_unused:UNUSED_PAD src0_sel:BYTE_1 src1_sel:DWORD
	v_cmp_ne_u32_e32 vcc, s43, v0
	s_waitcnt vmcnt(1)
	v_mov_b32_e32 v4, v61
	s_waitcnt vmcnt(0)
	v_mov_b32_e32 v6, v5
	buffer_store_dword v5, off, s[48:51], 0 ; 4-byte Folded Spill
	s_nop 0
	buffer_store_dword v6, off, s[48:51], 0 offset:4 ; 4-byte Folded Spill
	buffer_store_dword v4, off, s[48:51], 0 offset:516 ; 4-byte Folded Spill
	s_nop 0
	buffer_store_dword v5, off, s[48:51], 0 offset:520 ; 4-byte Folded Spill
	s_and_saveexec_b64 s[36:37], vcc
	s_cbranch_execz .LBB215_391
; %bb.390:                              ;   in Loop: Header=BB215_9 Depth=1
	v_mov_b32_e32 v4, 7
	v_and_b32_sdwa v4, v3, v4 dst_sel:DWORD dst_unused:UNUSED_PAD src0_sel:BYTE_1 src1_sel:DWORD
	v_lshrrev_b32_e32 v7, 3, v0
	v_cmp_gt_u32_e32 vcc, 8, v0
	v_ffbh_u32_e32 v0, v4
	v_min_u32_e32 v0, 32, v0
	v_mov_b32_e32 v5, v61
	v_subrev_u32_e32 v6, 28, v0
	v_lshlrev_b64 v[5:6], v6, v[4:5]
	v_sub_u32_e32 v0, 29, v0
	v_and_b32_e32 v5, 7, v5
	v_cndmask_b32_e32 v0, v7, v0, vcc
	v_cndmask_b32_e32 v4, v4, v5, vcc
	v_bfrev_b32_e32 v5, 60
	v_lshlrev_b32_e32 v3, 16, v3
	v_lshl_add_u32 v0, v0, 23, v5
	v_and_or_b32 v0, v3, s44, v0
	v_lshlrev_b32_e32 v3, 20, v4
	v_or_b32_e32 v4, v0, v3
	v_mov_b32_e32 v3, v61
	buffer_store_dword v3, off, s[48:51], 0 offset:516 ; 4-byte Folded Spill
	s_nop 0
	buffer_store_dword v4, off, s[48:51], 0 offset:520 ; 4-byte Folded Spill
.LBB215_391:                            ;   in Loop: Header=BB215_9 Depth=1
	s_or_b64 exec, exec, s[36:37]
.LBB215_392:                            ;   in Loop: Header=BB215_9 Depth=1
	s_or_b64 exec, exec, s[34:35]
.LBB215_393:                            ;   in Loop: Header=BB215_9 Depth=1
	s_or_b64 exec, exec, s[16:17]
	buffer_load_dword v0, off, s[48:51], 0 offset:8 ; 4-byte Folded Reload
	v_add_co_u32_e32 v4, vcc, 0x1000, v1
	v_addc_co_u32_e32 v5, vcc, 0, v2, vcc
	s_waitcnt vmcnt(0)
	v_add_co_u32_e32 v6, vcc, v4, v0
	v_addc_co_u32_e32 v7, vcc, 0, v5, vcc
	global_load_ushort v0, v[6:7], off
	v_mov_b32_e32 v6, 0
	v_mov_b32_e32 v7, 0
	buffer_store_dword v6, off, s[48:51], 0 offset:532 ; 4-byte Folded Spill
	s_nop 0
	buffer_store_dword v7, off, s[48:51], 0 offset:536 ; 4-byte Folded Spill
	v_mov_b32_e32 v6, 0
	v_mov_b32_e32 v7, 0
	buffer_store_dword v6, off, s[48:51], 0 offset:524 ; 4-byte Folded Spill
	s_nop 0
	buffer_store_dword v7, off, s[48:51], 0 offset:528 ; 4-byte Folded Spill
	s_waitcnt vmcnt(4)
	v_and_b32_e32 v3, 0xffff, v0
	v_cmp_ne_u16_sdwa s[34:35], v0, v61 src0_sel:BYTE_0 src1_sel:DWORD
	s_and_saveexec_b64 s[16:17], s[34:35]
	s_cbranch_execz .LBB215_399
; %bb.394:                              ;   in Loop: Header=BB215_9 Depth=1
	v_bfrev_b32_e32 v6, 1
	v_mov_b32_e32 v7, 0
	v_cmp_ne_u16_sdwa s[36:37], v3, s42 src0_sel:BYTE_0 src1_sel:DWORD
	buffer_store_dword v6, off, s[48:51], 0 offset:524 ; 4-byte Folded Spill
	s_nop 0
	buffer_store_dword v7, off, s[48:51], 0 offset:528 ; 4-byte Folded Spill
	s_and_saveexec_b64 s[34:35], s[36:37]
	s_cbranch_execz .LBB215_398
; %bb.395:                              ;   in Loop: Header=BB215_9 Depth=1
	v_and_b32_e32 v0, 0x7f, v3
	v_mov_b32_e32 v6, 0x7f800001
	v_mov_b32_e32 v7, 0
	v_cmp_ne_u32_e32 vcc, s43, v0
	buffer_store_dword v6, off, s[48:51], 0 offset:524 ; 4-byte Folded Spill
	s_nop 0
	buffer_store_dword v7, off, s[48:51], 0 offset:528 ; 4-byte Folded Spill
	s_and_saveexec_b64 s[36:37], vcc
	s_cbranch_execz .LBB215_397
; %bb.396:                              ;   in Loop: Header=BB215_9 Depth=1
	v_and_b32_e32 v8, 7, v3
	v_lshrrev_b32_e32 v9, 3, v0
	v_cmp_gt_u32_e32 vcc, 8, v0
	v_ffbh_u32_e32 v0, v8
	v_min_u32_e32 v0, 32, v0
	v_subrev_u32_e32 v6, 28, v0
	v_lshlrev_b64 v[6:7], v6, v[3:4]
	v_sub_u32_e32 v0, 29, v0
	v_and_b32_e32 v6, 7, v6
	v_cndmask_b32_e32 v0, v9, v0, vcc
	v_cndmask_b32_e32 v6, v8, v6, vcc
	v_bfrev_b32_e32 v8, 60
	v_lshlrev_b32_e32 v6, 20, v6
	v_and_b32_sdwa v7, sext(v3), s44 dst_sel:DWORD dst_unused:UNUSED_PAD src0_sel:BYTE_0 src1_sel:DWORD
	v_lshl_add_u32 v0, v0, 23, v8
	v_or3_b32 v6, v7, v0, v6
	v_mov_b32_e32 v7, v61
	buffer_store_dword v6, off, s[48:51], 0 offset:524 ; 4-byte Folded Spill
	s_nop 0
	buffer_store_dword v7, off, s[48:51], 0 offset:528 ; 4-byte Folded Spill
.LBB215_397:                            ;   in Loop: Header=BB215_9 Depth=1
	s_or_b64 exec, exec, s[36:37]
.LBB215_398:                            ;   in Loop: Header=BB215_9 Depth=1
	s_or_b64 exec, exec, s[34:35]
.LBB215_399:                            ;   in Loop: Header=BB215_9 Depth=1
	s_or_b64 exec, exec, s[16:17]
	v_cmp_ne_u16_sdwa s[34:35], v3, v61 src0_sel:BYTE_1 src1_sel:DWORD
	s_and_saveexec_b64 s[16:17], s[34:35]
	s_cbranch_execz .LBB215_405
; %bb.400:                              ;   in Loop: Header=BB215_9 Depth=1
	v_cmp_ne_u16_sdwa s[36:37], v3, s42 src0_sel:BYTE_1 src1_sel:DWORD
	buffer_store_dword v61, off, s[48:51], 0 offset:532 ; 4-byte Folded Spill
	s_nop 0
	buffer_store_dword v62, off, s[48:51], 0 offset:536 ; 4-byte Folded Spill
	s_and_saveexec_b64 s[34:35], s[36:37]
	s_cbranch_execz .LBB215_404
; %bb.401:                              ;   in Loop: Header=BB215_9 Depth=1
	buffer_load_dword v6, off, s[48:51], 0  ; 4-byte Folded Reload
	buffer_load_dword v7, off, s[48:51], 0 offset:4 ; 4-byte Folded Reload
	v_and_b32_sdwa v0, v3, s43 dst_sel:DWORD dst_unused:UNUSED_PAD src0_sel:BYTE_1 src1_sel:DWORD
	v_cmp_ne_u32_e32 vcc, s43, v0
	s_waitcnt vmcnt(1)
	v_mov_b32_e32 v6, v61
	s_waitcnt vmcnt(0)
	v_mov_b32_e32 v8, v7
	buffer_store_dword v7, off, s[48:51], 0 ; 4-byte Folded Spill
	s_nop 0
	buffer_store_dword v8, off, s[48:51], 0 offset:4 ; 4-byte Folded Spill
	buffer_store_dword v6, off, s[48:51], 0 offset:532 ; 4-byte Folded Spill
	s_nop 0
	buffer_store_dword v7, off, s[48:51], 0 offset:536 ; 4-byte Folded Spill
	s_and_saveexec_b64 s[36:37], vcc
	s_cbranch_execz .LBB215_403
; %bb.402:                              ;   in Loop: Header=BB215_9 Depth=1
	v_mov_b32_e32 v6, 7
	v_and_b32_sdwa v6, v3, v6 dst_sel:DWORD dst_unused:UNUSED_PAD src0_sel:BYTE_1 src1_sel:DWORD
	v_lshrrev_b32_e32 v9, 3, v0
	v_cmp_gt_u32_e32 vcc, 8, v0
	v_ffbh_u32_e32 v0, v6
	v_min_u32_e32 v0, 32, v0
	v_mov_b32_e32 v7, v61
	v_subrev_u32_e32 v8, 28, v0
	v_lshlrev_b64 v[7:8], v8, v[6:7]
	v_sub_u32_e32 v0, 29, v0
	v_and_b32_e32 v7, 7, v7
	v_cndmask_b32_e32 v0, v9, v0, vcc
	v_cndmask_b32_e32 v6, v6, v7, vcc
	v_bfrev_b32_e32 v7, 60
	v_lshlrev_b32_e32 v3, 16, v3
	v_lshl_add_u32 v0, v0, 23, v7
	v_and_or_b32 v0, v3, s44, v0
	v_lshlrev_b32_e32 v3, 20, v6
	v_or_b32_e32 v7, v0, v3
	v_mov_b32_e32 v6, v61
	buffer_store_dword v6, off, s[48:51], 0 offset:532 ; 4-byte Folded Spill
	s_nop 0
	buffer_store_dword v7, off, s[48:51], 0 offset:536 ; 4-byte Folded Spill
.LBB215_403:                            ;   in Loop: Header=BB215_9 Depth=1
	s_or_b64 exec, exec, s[36:37]
.LBB215_404:                            ;   in Loop: Header=BB215_9 Depth=1
	s_or_b64 exec, exec, s[34:35]
.LBB215_405:                            ;   in Loop: Header=BB215_9 Depth=1
	s_or_b64 exec, exec, s[16:17]
	buffer_load_dword v0, off, s[48:51], 0 offset:12 ; 4-byte Folded Reload
	s_waitcnt vmcnt(0)
	v_add_co_u32_e32 v6, vcc, v4, v0
	v_addc_co_u32_e32 v7, vcc, 0, v5, vcc
	global_load_ushort v0, v[6:7], off
	v_mov_b32_e32 v6, 0
	v_mov_b32_e32 v7, 0
	buffer_store_dword v6, off, s[48:51], 0 offset:548 ; 4-byte Folded Spill
	s_nop 0
	buffer_store_dword v7, off, s[48:51], 0 offset:552 ; 4-byte Folded Spill
	v_mov_b32_e32 v6, 0
	v_mov_b32_e32 v7, 0
	buffer_store_dword v6, off, s[48:51], 0 offset:540 ; 4-byte Folded Spill
	s_nop 0
	buffer_store_dword v7, off, s[48:51], 0 offset:544 ; 4-byte Folded Spill
	s_waitcnt vmcnt(4)
	v_and_b32_e32 v3, 0xffff, v0
	v_cmp_ne_u16_sdwa s[34:35], v0, v61 src0_sel:BYTE_0 src1_sel:DWORD
	s_and_saveexec_b64 s[16:17], s[34:35]
	s_cbranch_execz .LBB215_411
; %bb.406:                              ;   in Loop: Header=BB215_9 Depth=1
	v_bfrev_b32_e32 v6, 1
	v_mov_b32_e32 v7, 0
	v_cmp_ne_u16_sdwa s[36:37], v3, s42 src0_sel:BYTE_0 src1_sel:DWORD
	buffer_store_dword v6, off, s[48:51], 0 offset:540 ; 4-byte Folded Spill
	s_nop 0
	buffer_store_dword v7, off, s[48:51], 0 offset:544 ; 4-byte Folded Spill
	s_and_saveexec_b64 s[34:35], s[36:37]
	s_cbranch_execz .LBB215_410
; %bb.407:                              ;   in Loop: Header=BB215_9 Depth=1
	v_and_b32_e32 v0, 0x7f, v3
	v_mov_b32_e32 v6, 0x7f800001
	v_mov_b32_e32 v7, 0
	v_cmp_ne_u32_e32 vcc, s43, v0
	buffer_store_dword v6, off, s[48:51], 0 offset:540 ; 4-byte Folded Spill
	s_nop 0
	buffer_store_dword v7, off, s[48:51], 0 offset:544 ; 4-byte Folded Spill
	s_and_saveexec_b64 s[36:37], vcc
	s_cbranch_execz .LBB215_409
; %bb.408:                              ;   in Loop: Header=BB215_9 Depth=1
	v_and_b32_e32 v8, 7, v3
	v_lshrrev_b32_e32 v9, 3, v0
	v_cmp_gt_u32_e32 vcc, 8, v0
	v_ffbh_u32_e32 v0, v8
	v_min_u32_e32 v0, 32, v0
	v_subrev_u32_e32 v6, 28, v0
	v_lshlrev_b64 v[6:7], v6, v[3:4]
	v_sub_u32_e32 v0, 29, v0
	v_and_b32_e32 v6, 7, v6
	v_cndmask_b32_e32 v0, v9, v0, vcc
	v_cndmask_b32_e32 v6, v8, v6, vcc
	v_bfrev_b32_e32 v8, 60
	v_lshlrev_b32_e32 v6, 20, v6
	v_and_b32_sdwa v7, sext(v3), s44 dst_sel:DWORD dst_unused:UNUSED_PAD src0_sel:BYTE_0 src1_sel:DWORD
	v_lshl_add_u32 v0, v0, 23, v8
	v_or3_b32 v6, v7, v0, v6
	v_mov_b32_e32 v7, v61
	buffer_store_dword v6, off, s[48:51], 0 offset:540 ; 4-byte Folded Spill
	s_nop 0
	buffer_store_dword v7, off, s[48:51], 0 offset:544 ; 4-byte Folded Spill
.LBB215_409:                            ;   in Loop: Header=BB215_9 Depth=1
	s_or_b64 exec, exec, s[36:37]
.LBB215_410:                            ;   in Loop: Header=BB215_9 Depth=1
	s_or_b64 exec, exec, s[34:35]
.LBB215_411:                            ;   in Loop: Header=BB215_9 Depth=1
	s_or_b64 exec, exec, s[16:17]
	v_cmp_ne_u16_sdwa s[34:35], v3, v61 src0_sel:BYTE_1 src1_sel:DWORD
	s_and_saveexec_b64 s[16:17], s[34:35]
	s_cbranch_execz .LBB215_417
; %bb.412:                              ;   in Loop: Header=BB215_9 Depth=1
	v_cmp_ne_u16_sdwa s[36:37], v3, s42 src0_sel:BYTE_1 src1_sel:DWORD
	buffer_store_dword v61, off, s[48:51], 0 offset:548 ; 4-byte Folded Spill
	s_nop 0
	buffer_store_dword v62, off, s[48:51], 0 offset:552 ; 4-byte Folded Spill
	s_and_saveexec_b64 s[34:35], s[36:37]
	s_cbranch_execz .LBB215_416
; %bb.413:                              ;   in Loop: Header=BB215_9 Depth=1
	buffer_load_dword v6, off, s[48:51], 0  ; 4-byte Folded Reload
	buffer_load_dword v7, off, s[48:51], 0 offset:4 ; 4-byte Folded Reload
	v_and_b32_sdwa v0, v3, s43 dst_sel:DWORD dst_unused:UNUSED_PAD src0_sel:BYTE_1 src1_sel:DWORD
	v_cmp_ne_u32_e32 vcc, s43, v0
	s_waitcnt vmcnt(1)
	v_mov_b32_e32 v6, v61
	s_waitcnt vmcnt(0)
	v_mov_b32_e32 v8, v7
	buffer_store_dword v7, off, s[48:51], 0 ; 4-byte Folded Spill
	s_nop 0
	buffer_store_dword v8, off, s[48:51], 0 offset:4 ; 4-byte Folded Spill
	buffer_store_dword v6, off, s[48:51], 0 offset:548 ; 4-byte Folded Spill
	s_nop 0
	buffer_store_dword v7, off, s[48:51], 0 offset:552 ; 4-byte Folded Spill
	s_and_saveexec_b64 s[36:37], vcc
	s_cbranch_execz .LBB215_415
; %bb.414:                              ;   in Loop: Header=BB215_9 Depth=1
	v_mov_b32_e32 v6, 7
	v_and_b32_sdwa v6, v3, v6 dst_sel:DWORD dst_unused:UNUSED_PAD src0_sel:BYTE_1 src1_sel:DWORD
	v_lshrrev_b32_e32 v9, 3, v0
	v_cmp_gt_u32_e32 vcc, 8, v0
	v_ffbh_u32_e32 v0, v6
	v_min_u32_e32 v0, 32, v0
	v_mov_b32_e32 v7, v61
	v_subrev_u32_e32 v8, 28, v0
	v_lshlrev_b64 v[7:8], v8, v[6:7]
	v_sub_u32_e32 v0, 29, v0
	v_and_b32_e32 v7, 7, v7
	v_cndmask_b32_e32 v0, v9, v0, vcc
	v_cndmask_b32_e32 v6, v6, v7, vcc
	v_bfrev_b32_e32 v7, 60
	v_lshlrev_b32_e32 v3, 16, v3
	v_lshl_add_u32 v0, v0, 23, v7
	v_and_or_b32 v0, v3, s44, v0
	v_lshlrev_b32_e32 v3, 20, v6
	v_or_b32_e32 v7, v0, v3
	v_mov_b32_e32 v6, v61
	buffer_store_dword v6, off, s[48:51], 0 offset:548 ; 4-byte Folded Spill
	s_nop 0
	buffer_store_dword v7, off, s[48:51], 0 offset:552 ; 4-byte Folded Spill
.LBB215_415:                            ;   in Loop: Header=BB215_9 Depth=1
	s_or_b64 exec, exec, s[36:37]
.LBB215_416:                            ;   in Loop: Header=BB215_9 Depth=1
	s_or_b64 exec, exec, s[34:35]
.LBB215_417:                            ;   in Loop: Header=BB215_9 Depth=1
	s_or_b64 exec, exec, s[16:17]
	buffer_load_dword v0, off, s[48:51], 0 offset:16 ; 4-byte Folded Reload
	s_waitcnt vmcnt(0)
	v_add_co_u32_e32 v6, vcc, v4, v0
	v_addc_co_u32_e32 v7, vcc, 0, v5, vcc
	global_load_ushort v0, v[6:7], off
	v_mov_b32_e32 v6, 0
	v_mov_b32_e32 v7, 0
	buffer_store_dword v6, off, s[48:51], 0 offset:564 ; 4-byte Folded Spill
	s_nop 0
	buffer_store_dword v7, off, s[48:51], 0 offset:568 ; 4-byte Folded Spill
	v_mov_b32_e32 v6, 0
	v_mov_b32_e32 v7, 0
	buffer_store_dword v6, off, s[48:51], 0 offset:556 ; 4-byte Folded Spill
	s_nop 0
	buffer_store_dword v7, off, s[48:51], 0 offset:560 ; 4-byte Folded Spill
	s_waitcnt vmcnt(4)
	v_and_b32_e32 v3, 0xffff, v0
	v_cmp_ne_u16_sdwa s[34:35], v0, v61 src0_sel:BYTE_0 src1_sel:DWORD
	s_and_saveexec_b64 s[16:17], s[34:35]
	s_cbranch_execz .LBB215_423
; %bb.418:                              ;   in Loop: Header=BB215_9 Depth=1
	v_bfrev_b32_e32 v6, 1
	v_mov_b32_e32 v7, 0
	v_cmp_ne_u16_sdwa s[36:37], v3, s42 src0_sel:BYTE_0 src1_sel:DWORD
	buffer_store_dword v6, off, s[48:51], 0 offset:556 ; 4-byte Folded Spill
	s_nop 0
	buffer_store_dword v7, off, s[48:51], 0 offset:560 ; 4-byte Folded Spill
	s_and_saveexec_b64 s[34:35], s[36:37]
	s_cbranch_execz .LBB215_422
; %bb.419:                              ;   in Loop: Header=BB215_9 Depth=1
	v_and_b32_e32 v0, 0x7f, v3
	v_mov_b32_e32 v6, 0x7f800001
	v_mov_b32_e32 v7, 0
	v_cmp_ne_u32_e32 vcc, s43, v0
	buffer_store_dword v6, off, s[48:51], 0 offset:556 ; 4-byte Folded Spill
	s_nop 0
	buffer_store_dword v7, off, s[48:51], 0 offset:560 ; 4-byte Folded Spill
	s_and_saveexec_b64 s[36:37], vcc
	s_cbranch_execz .LBB215_421
; %bb.420:                              ;   in Loop: Header=BB215_9 Depth=1
	v_and_b32_e32 v8, 7, v3
	v_lshrrev_b32_e32 v9, 3, v0
	v_cmp_gt_u32_e32 vcc, 8, v0
	v_ffbh_u32_e32 v0, v8
	v_min_u32_e32 v0, 32, v0
	v_subrev_u32_e32 v6, 28, v0
	v_lshlrev_b64 v[6:7], v6, v[3:4]
	v_sub_u32_e32 v0, 29, v0
	v_and_b32_e32 v6, 7, v6
	v_cndmask_b32_e32 v0, v9, v0, vcc
	v_cndmask_b32_e32 v6, v8, v6, vcc
	v_bfrev_b32_e32 v8, 60
	v_lshlrev_b32_e32 v6, 20, v6
	v_and_b32_sdwa v7, sext(v3), s44 dst_sel:DWORD dst_unused:UNUSED_PAD src0_sel:BYTE_0 src1_sel:DWORD
	v_lshl_add_u32 v0, v0, 23, v8
	v_or3_b32 v6, v7, v0, v6
	v_mov_b32_e32 v7, v61
	buffer_store_dword v6, off, s[48:51], 0 offset:556 ; 4-byte Folded Spill
	s_nop 0
	buffer_store_dword v7, off, s[48:51], 0 offset:560 ; 4-byte Folded Spill
.LBB215_421:                            ;   in Loop: Header=BB215_9 Depth=1
	s_or_b64 exec, exec, s[36:37]
.LBB215_422:                            ;   in Loop: Header=BB215_9 Depth=1
	s_or_b64 exec, exec, s[34:35]
.LBB215_423:                            ;   in Loop: Header=BB215_9 Depth=1
	s_or_b64 exec, exec, s[16:17]
	v_cmp_ne_u16_sdwa s[34:35], v3, v61 src0_sel:BYTE_1 src1_sel:DWORD
	s_and_saveexec_b64 s[16:17], s[34:35]
	s_cbranch_execz .LBB215_429
; %bb.424:                              ;   in Loop: Header=BB215_9 Depth=1
	v_cmp_ne_u16_sdwa s[36:37], v3, s42 src0_sel:BYTE_1 src1_sel:DWORD
	buffer_store_dword v61, off, s[48:51], 0 offset:564 ; 4-byte Folded Spill
	s_nop 0
	buffer_store_dword v62, off, s[48:51], 0 offset:568 ; 4-byte Folded Spill
	s_and_saveexec_b64 s[34:35], s[36:37]
	s_cbranch_execz .LBB215_428
; %bb.425:                              ;   in Loop: Header=BB215_9 Depth=1
	buffer_load_dword v6, off, s[48:51], 0  ; 4-byte Folded Reload
	buffer_load_dword v7, off, s[48:51], 0 offset:4 ; 4-byte Folded Reload
	v_and_b32_sdwa v0, v3, s43 dst_sel:DWORD dst_unused:UNUSED_PAD src0_sel:BYTE_1 src1_sel:DWORD
	v_cmp_ne_u32_e32 vcc, s43, v0
	s_waitcnt vmcnt(1)
	v_mov_b32_e32 v6, v61
	s_waitcnt vmcnt(0)
	v_mov_b32_e32 v8, v7
	buffer_store_dword v7, off, s[48:51], 0 ; 4-byte Folded Spill
	s_nop 0
	buffer_store_dword v8, off, s[48:51], 0 offset:4 ; 4-byte Folded Spill
	buffer_store_dword v6, off, s[48:51], 0 offset:564 ; 4-byte Folded Spill
	s_nop 0
	buffer_store_dword v7, off, s[48:51], 0 offset:568 ; 4-byte Folded Spill
	s_and_saveexec_b64 s[36:37], vcc
	s_cbranch_execz .LBB215_427
; %bb.426:                              ;   in Loop: Header=BB215_9 Depth=1
	v_mov_b32_e32 v6, 7
	v_and_b32_sdwa v6, v3, v6 dst_sel:DWORD dst_unused:UNUSED_PAD src0_sel:BYTE_1 src1_sel:DWORD
	v_lshrrev_b32_e32 v9, 3, v0
	v_cmp_gt_u32_e32 vcc, 8, v0
	v_ffbh_u32_e32 v0, v6
	v_min_u32_e32 v0, 32, v0
	v_mov_b32_e32 v7, v61
	v_subrev_u32_e32 v8, 28, v0
	v_lshlrev_b64 v[7:8], v8, v[6:7]
	v_sub_u32_e32 v0, 29, v0
	v_and_b32_e32 v7, 7, v7
	v_cndmask_b32_e32 v0, v9, v0, vcc
	v_cndmask_b32_e32 v6, v6, v7, vcc
	v_bfrev_b32_e32 v7, 60
	v_lshlrev_b32_e32 v3, 16, v3
	v_lshl_add_u32 v0, v0, 23, v7
	v_and_or_b32 v0, v3, s44, v0
	v_lshlrev_b32_e32 v3, 20, v6
	v_or_b32_e32 v7, v0, v3
	v_mov_b32_e32 v6, v61
	buffer_store_dword v6, off, s[48:51], 0 offset:564 ; 4-byte Folded Spill
	s_nop 0
	buffer_store_dword v7, off, s[48:51], 0 offset:568 ; 4-byte Folded Spill
.LBB215_427:                            ;   in Loop: Header=BB215_9 Depth=1
	s_or_b64 exec, exec, s[36:37]
.LBB215_428:                            ;   in Loop: Header=BB215_9 Depth=1
	s_or_b64 exec, exec, s[34:35]
.LBB215_429:                            ;   in Loop: Header=BB215_9 Depth=1
	s_or_b64 exec, exec, s[16:17]
	buffer_load_dword v0, off, s[48:51], 0 offset:20 ; 4-byte Folded Reload
	s_waitcnt vmcnt(0)
	v_add_co_u32_e32 v3, vcc, v4, v0
	v_addc_co_u32_e32 v4, vcc, 0, v5, vcc
	global_load_ushort v0, v[3:4], off
	v_mov_b32_e32 v4, 0
	v_mov_b32_e32 v5, 0
	buffer_store_dword v4, off, s[48:51], 0 offset:580 ; 4-byte Folded Spill
	s_nop 0
	buffer_store_dword v5, off, s[48:51], 0 offset:584 ; 4-byte Folded Spill
	v_mov_b32_e32 v4, 0
	v_mov_b32_e32 v5, 0
	buffer_store_dword v4, off, s[48:51], 0 offset:572 ; 4-byte Folded Spill
	s_nop 0
	buffer_store_dword v5, off, s[48:51], 0 offset:576 ; 4-byte Folded Spill
	s_waitcnt vmcnt(4)
	v_and_b32_e32 v3, 0xffff, v0
	v_cmp_ne_u16_sdwa s[34:35], v0, v61 src0_sel:BYTE_0 src1_sel:DWORD
	s_and_saveexec_b64 s[16:17], s[34:35]
	s_cbranch_execz .LBB215_435
; %bb.430:                              ;   in Loop: Header=BB215_9 Depth=1
	v_bfrev_b32_e32 v4, 1
	v_mov_b32_e32 v5, 0
	v_cmp_ne_u16_sdwa s[36:37], v3, s42 src0_sel:BYTE_0 src1_sel:DWORD
	buffer_store_dword v4, off, s[48:51], 0 offset:572 ; 4-byte Folded Spill
	s_nop 0
	buffer_store_dword v5, off, s[48:51], 0 offset:576 ; 4-byte Folded Spill
	s_and_saveexec_b64 s[34:35], s[36:37]
	s_cbranch_execz .LBB215_434
; %bb.431:                              ;   in Loop: Header=BB215_9 Depth=1
	v_and_b32_e32 v0, 0x7f, v3
	v_mov_b32_e32 v4, 0x7f800001
	v_mov_b32_e32 v5, 0
	v_cmp_ne_u32_e32 vcc, s43, v0
	buffer_store_dword v4, off, s[48:51], 0 offset:572 ; 4-byte Folded Spill
	s_nop 0
	buffer_store_dword v5, off, s[48:51], 0 offset:576 ; 4-byte Folded Spill
	s_and_saveexec_b64 s[36:37], vcc
	s_cbranch_execz .LBB215_433
; %bb.432:                              ;   in Loop: Header=BB215_9 Depth=1
	v_and_b32_e32 v6, 7, v3
	v_lshrrev_b32_e32 v7, 3, v0
	v_cmp_gt_u32_e32 vcc, 8, v0
	v_ffbh_u32_e32 v0, v6
	v_min_u32_e32 v0, 32, v0
	v_subrev_u32_e32 v4, 28, v0
	v_lshlrev_b64 v[4:5], v4, v[3:4]
	v_sub_u32_e32 v0, 29, v0
	v_and_b32_e32 v4, 7, v4
	v_cndmask_b32_e32 v0, v7, v0, vcc
	v_cndmask_b32_e32 v4, v6, v4, vcc
	v_bfrev_b32_e32 v6, 60
	v_lshlrev_b32_e32 v4, 20, v4
	v_and_b32_sdwa v5, sext(v3), s44 dst_sel:DWORD dst_unused:UNUSED_PAD src0_sel:BYTE_0 src1_sel:DWORD
	v_lshl_add_u32 v0, v0, 23, v6
	v_or3_b32 v4, v5, v0, v4
	v_mov_b32_e32 v5, v61
	buffer_store_dword v4, off, s[48:51], 0 offset:572 ; 4-byte Folded Spill
	s_nop 0
	buffer_store_dword v5, off, s[48:51], 0 offset:576 ; 4-byte Folded Spill
.LBB215_433:                            ;   in Loop: Header=BB215_9 Depth=1
	s_or_b64 exec, exec, s[36:37]
.LBB215_434:                            ;   in Loop: Header=BB215_9 Depth=1
	s_or_b64 exec, exec, s[34:35]
.LBB215_435:                            ;   in Loop: Header=BB215_9 Depth=1
	s_or_b64 exec, exec, s[16:17]
	v_cmp_ne_u16_sdwa s[34:35], v3, v61 src0_sel:BYTE_1 src1_sel:DWORD
	s_and_saveexec_b64 s[16:17], s[34:35]
	s_cbranch_execz .LBB215_441
; %bb.436:                              ;   in Loop: Header=BB215_9 Depth=1
	v_cmp_ne_u16_sdwa s[36:37], v3, s42 src0_sel:BYTE_1 src1_sel:DWORD
	buffer_store_dword v61, off, s[48:51], 0 offset:580 ; 4-byte Folded Spill
	s_nop 0
	buffer_store_dword v62, off, s[48:51], 0 offset:584 ; 4-byte Folded Spill
	s_and_saveexec_b64 s[34:35], s[36:37]
	s_cbranch_execz .LBB215_440
; %bb.437:                              ;   in Loop: Header=BB215_9 Depth=1
	buffer_load_dword v39, off, s[48:51], 0 ; 4-byte Folded Reload
	buffer_load_dword v40, off, s[48:51], 0 offset:4 ; 4-byte Folded Reload
	v_and_b32_sdwa v0, v3, s43 dst_sel:DWORD dst_unused:UNUSED_PAD src0_sel:BYTE_1 src1_sel:DWORD
	v_cmp_ne_u32_e32 vcc, s43, v0
	s_waitcnt vmcnt(1)
	v_mov_b32_e32 v39, v61
	s_waitcnt vmcnt(0)
	v_mov_b32_e32 v4, v40
	buffer_store_dword v3, off, s[48:51], 0 ; 4-byte Folded Spill
	s_nop 0
	buffer_store_dword v4, off, s[48:51], 0 offset:4 ; 4-byte Folded Spill
	buffer_store_dword v39, off, s[48:51], 0 offset:580 ; 4-byte Folded Spill
	s_nop 0
	buffer_store_dword v40, off, s[48:51], 0 offset:584 ; 4-byte Folded Spill
	s_and_saveexec_b64 s[36:37], vcc
	s_cbranch_execz .LBB215_439
; %bb.438:                              ;   in Loop: Header=BB215_9 Depth=1
	v_mov_b32_e32 v4, 7
	v_and_b32_sdwa v4, v3, v4 dst_sel:DWORD dst_unused:UNUSED_PAD src0_sel:BYTE_1 src1_sel:DWORD
	v_lshrrev_b32_e32 v7, 3, v0
	v_cmp_gt_u32_e32 vcc, 8, v0
	v_ffbh_u32_e32 v0, v4
	v_min_u32_e32 v0, 32, v0
	v_mov_b32_e32 v5, v61
	v_subrev_u32_e32 v6, 28, v0
	v_lshlrev_b64 v[5:6], v6, v[4:5]
	v_sub_u32_e32 v0, 29, v0
	v_and_b32_e32 v5, 7, v5
	v_cndmask_b32_e32 v0, v7, v0, vcc
	v_cndmask_b32_e32 v4, v4, v5, vcc
	v_bfrev_b32_e32 v5, 60
	v_lshlrev_b32_e32 v3, 16, v3
	v_lshl_add_u32 v0, v0, 23, v5
	v_and_or_b32 v0, v3, s44, v0
	v_lshlrev_b32_e32 v3, 20, v4
	v_or_b32_e32 v4, v0, v3
	v_mov_b32_e32 v3, v61
	buffer_store_dword v3, off, s[48:51], 0 offset:580 ; 4-byte Folded Spill
	s_nop 0
	buffer_store_dword v4, off, s[48:51], 0 offset:584 ; 4-byte Folded Spill
.LBB215_439:                            ;   in Loop: Header=BB215_9 Depth=1
	s_or_b64 exec, exec, s[36:37]
.LBB215_440:                            ;   in Loop: Header=BB215_9 Depth=1
	s_or_b64 exec, exec, s[34:35]
.LBB215_441:                            ;   in Loop: Header=BB215_9 Depth=1
	s_or_b64 exec, exec, s[16:17]
	buffer_load_dword v0, off, s[48:51], 0 offset:8 ; 4-byte Folded Reload
	v_add_co_u32_e32 v4, vcc, 0x1200, v1
	v_addc_co_u32_e32 v5, vcc, 0, v2, vcc
	v_mov_b32_e32 v19, 0
	v_mov_b32_e32 v20, 0
	s_waitcnt vmcnt(0)
	v_add_co_u32_e32 v6, vcc, v4, v0
	v_addc_co_u32_e32 v7, vcc, 0, v5, vcc
	global_load_ushort v0, v[6:7], off
	v_mov_b32_e32 v6, 0
	v_mov_b32_e32 v7, 0
	buffer_store_dword v6, off, s[48:51], 0 offset:588 ; 4-byte Folded Spill
	s_nop 0
	buffer_store_dword v7, off, s[48:51], 0 offset:592 ; 4-byte Folded Spill
	s_waitcnt vmcnt(2)
	v_and_b32_e32 v3, 0xffff, v0
	v_cmp_ne_u16_sdwa s[34:35], v0, v61 src0_sel:BYTE_0 src1_sel:DWORD
	s_and_saveexec_b64 s[16:17], s[34:35]
	s_cbranch_execz .LBB215_447
; %bb.442:                              ;   in Loop: Header=BB215_9 Depth=1
	v_bfrev_b32_e32 v6, 1
	v_mov_b32_e32 v7, 0
	v_cmp_ne_u16_sdwa s[36:37], v3, s42 src0_sel:BYTE_0 src1_sel:DWORD
	buffer_store_dword v6, off, s[48:51], 0 offset:588 ; 4-byte Folded Spill
	s_nop 0
	buffer_store_dword v7, off, s[48:51], 0 offset:592 ; 4-byte Folded Spill
	s_and_saveexec_b64 s[34:35], s[36:37]
	s_cbranch_execz .LBB215_446
; %bb.443:                              ;   in Loop: Header=BB215_9 Depth=1
	v_and_b32_e32 v0, 0x7f, v3
	v_mov_b32_e32 v6, 0x7f800001
	v_mov_b32_e32 v7, 0
	v_cmp_ne_u32_e32 vcc, s43, v0
	buffer_store_dword v6, off, s[48:51], 0 offset:588 ; 4-byte Folded Spill
	s_nop 0
	buffer_store_dword v7, off, s[48:51], 0 offset:592 ; 4-byte Folded Spill
	s_and_saveexec_b64 s[36:37], vcc
	s_cbranch_execz .LBB215_445
; %bb.444:                              ;   in Loop: Header=BB215_9 Depth=1
	v_and_b32_e32 v8, 7, v3
	v_lshrrev_b32_e32 v9, 3, v0
	v_cmp_gt_u32_e32 vcc, 8, v0
	v_ffbh_u32_e32 v0, v8
	v_min_u32_e32 v0, 32, v0
	v_subrev_u32_e32 v6, 28, v0
	v_lshlrev_b64 v[6:7], v6, v[3:4]
	v_sub_u32_e32 v0, 29, v0
	v_and_b32_e32 v6, 7, v6
	v_cndmask_b32_e32 v0, v9, v0, vcc
	v_cndmask_b32_e32 v6, v8, v6, vcc
	v_bfrev_b32_e32 v8, 60
	v_lshlrev_b32_e32 v6, 20, v6
	v_and_b32_sdwa v7, sext(v3), s44 dst_sel:DWORD dst_unused:UNUSED_PAD src0_sel:BYTE_0 src1_sel:DWORD
	v_lshl_add_u32 v0, v0, 23, v8
	v_or3_b32 v6, v7, v0, v6
	v_mov_b32_e32 v7, v61
	buffer_store_dword v6, off, s[48:51], 0 offset:588 ; 4-byte Folded Spill
	s_nop 0
	buffer_store_dword v7, off, s[48:51], 0 offset:592 ; 4-byte Folded Spill
.LBB215_445:                            ;   in Loop: Header=BB215_9 Depth=1
	s_or_b64 exec, exec, s[36:37]
.LBB215_446:                            ;   in Loop: Header=BB215_9 Depth=1
	s_or_b64 exec, exec, s[34:35]
.LBB215_447:                            ;   in Loop: Header=BB215_9 Depth=1
	s_or_b64 exec, exec, s[16:17]
	v_cmp_ne_u16_sdwa s[34:35], v3, v61 src0_sel:BYTE_1 src1_sel:DWORD
	s_and_saveexec_b64 s[16:17], s[34:35]
	s_cbranch_execz .LBB215_453
; %bb.448:                              ;   in Loop: Header=BB215_9 Depth=1
	v_mov_b32_e32 v19, v61
	v_cmp_ne_u16_sdwa s[36:37], v3, s42 src0_sel:BYTE_1 src1_sel:DWORD
	v_mov_b32_e32 v20, v62
	s_and_saveexec_b64 s[34:35], s[36:37]
	s_cbranch_execz .LBB215_452
; %bb.449:                              ;   in Loop: Header=BB215_9 Depth=1
	buffer_load_dword v19, off, s[48:51], 0 ; 4-byte Folded Reload
	buffer_load_dword v20, off, s[48:51], 0 offset:4 ; 4-byte Folded Reload
	v_and_b32_sdwa v0, v3, s43 dst_sel:DWORD dst_unused:UNUSED_PAD src0_sel:BYTE_1 src1_sel:DWORD
	v_cmp_ne_u32_e32 vcc, s43, v0
	s_waitcnt vmcnt(1)
	v_mov_b32_e32 v19, v61
	s_waitcnt vmcnt(0)
	v_mov_b32_e32 v6, v20
	buffer_store_dword v5, off, s[48:51], 0 ; 4-byte Folded Spill
	s_nop 0
	buffer_store_dword v6, off, s[48:51], 0 offset:4 ; 4-byte Folded Spill
	s_and_saveexec_b64 s[36:37], vcc
	s_cbranch_execz .LBB215_451
; %bb.450:                              ;   in Loop: Header=BB215_9 Depth=1
	v_mov_b32_e32 v6, 7
	v_and_b32_sdwa v6, v3, v6 dst_sel:DWORD dst_unused:UNUSED_PAD src0_sel:BYTE_1 src1_sel:DWORD
	v_lshrrev_b32_e32 v9, 3, v0
	v_cmp_gt_u32_e32 vcc, 8, v0
	v_ffbh_u32_e32 v0, v6
	v_min_u32_e32 v0, 32, v0
	v_mov_b32_e32 v7, v61
	v_subrev_u32_e32 v8, 28, v0
	v_lshlrev_b64 v[7:8], v8, v[6:7]
	v_sub_u32_e32 v0, 29, v0
	v_and_b32_e32 v7, 7, v7
	v_cndmask_b32_e32 v0, v9, v0, vcc
	v_cndmask_b32_e32 v6, v6, v7, vcc
	v_bfrev_b32_e32 v7, 60
	v_lshlrev_b32_e32 v3, 16, v3
	v_lshl_add_u32 v0, v0, 23, v7
	v_and_or_b32 v0, v3, s44, v0
	v_lshlrev_b32_e32 v3, 20, v6
	v_or_b32_e32 v20, v0, v3
	v_mov_b32_e32 v19, v61
.LBB215_451:                            ;   in Loop: Header=BB215_9 Depth=1
	s_or_b64 exec, exec, s[36:37]
.LBB215_452:                            ;   in Loop: Header=BB215_9 Depth=1
	s_or_b64 exec, exec, s[34:35]
.LBB215_453:                            ;   in Loop: Header=BB215_9 Depth=1
	s_or_b64 exec, exec, s[16:17]
	buffer_load_dword v0, off, s[48:51], 0 offset:12 ; 4-byte Folded Reload
	v_mov_b32_e32 v23, 0
	v_mov_b32_e32 v29, 0
	;; [unrolled: 1-line block ×4, first 2 shown]
	s_waitcnt vmcnt(0)
	v_add_co_u32_e32 v6, vcc, v4, v0
	v_addc_co_u32_e32 v7, vcc, 0, v5, vcc
	global_load_ushort v0, v[6:7], off
	s_waitcnt vmcnt(0)
	v_and_b32_e32 v3, 0xffff, v0
	v_cmp_ne_u16_sdwa s[34:35], v0, v61 src0_sel:BYTE_0 src1_sel:DWORD
	s_and_saveexec_b64 s[16:17], s[34:35]
	s_cbranch_execz .LBB215_459
; %bb.454:                              ;   in Loop: Header=BB215_9 Depth=1
	v_bfrev_b32_e32 v29, 1
	v_mov_b32_e32 v30, 0
	v_cmp_ne_u16_sdwa s[36:37], v3, s42 src0_sel:BYTE_0 src1_sel:DWORD
	s_and_saveexec_b64 s[34:35], s[36:37]
	s_cbranch_execz .LBB215_458
; %bb.455:                              ;   in Loop: Header=BB215_9 Depth=1
	v_and_b32_e32 v0, 0x7f, v3
	v_mov_b32_e32 v29, 0x7f800001
	v_mov_b32_e32 v30, 0
	v_cmp_ne_u32_e32 vcc, s43, v0
	s_and_saveexec_b64 s[36:37], vcc
	s_cbranch_execz .LBB215_457
; %bb.456:                              ;   in Loop: Header=BB215_9 Depth=1
	v_and_b32_e32 v8, 7, v3
	v_lshrrev_b32_e32 v9, 3, v0
	v_cmp_gt_u32_e32 vcc, 8, v0
	v_ffbh_u32_e32 v0, v8
	v_min_u32_e32 v0, 32, v0
	v_subrev_u32_e32 v6, 28, v0
	v_lshlrev_b64 v[6:7], v6, v[3:4]
	v_sub_u32_e32 v0, 29, v0
	v_and_b32_e32 v6, 7, v6
	v_cndmask_b32_e32 v0, v9, v0, vcc
	v_cndmask_b32_e32 v6, v8, v6, vcc
	v_bfrev_b32_e32 v8, 60
	v_lshlrev_b32_e32 v6, 20, v6
	v_and_b32_sdwa v7, sext(v3), s44 dst_sel:DWORD dst_unused:UNUSED_PAD src0_sel:BYTE_0 src1_sel:DWORD
	v_lshl_add_u32 v0, v0, 23, v8
	v_or3_b32 v29, v7, v0, v6
	v_mov_b32_e32 v30, v61
.LBB215_457:                            ;   in Loop: Header=BB215_9 Depth=1
	s_or_b64 exec, exec, s[36:37]
.LBB215_458:                            ;   in Loop: Header=BB215_9 Depth=1
	s_or_b64 exec, exec, s[34:35]
.LBB215_459:                            ;   in Loop: Header=BB215_9 Depth=1
	s_or_b64 exec, exec, s[16:17]
	v_cmp_ne_u16_sdwa s[34:35], v3, v61 src0_sel:BYTE_1 src1_sel:DWORD
	s_and_saveexec_b64 s[16:17], s[34:35]
	s_cbranch_execz .LBB215_465
; %bb.460:                              ;   in Loop: Header=BB215_9 Depth=1
	v_mov_b32_e32 v23, v61
	v_cmp_ne_u16_sdwa s[36:37], v3, s42 src0_sel:BYTE_1 src1_sel:DWORD
	v_mov_b32_e32 v24, v62
	s_and_saveexec_b64 s[34:35], s[36:37]
	s_cbranch_execz .LBB215_464
; %bb.461:                              ;   in Loop: Header=BB215_9 Depth=1
	buffer_load_dword v23, off, s[48:51], 0 ; 4-byte Folded Reload
	buffer_load_dword v24, off, s[48:51], 0 offset:4 ; 4-byte Folded Reload
	v_and_b32_sdwa v0, v3, s43 dst_sel:DWORD dst_unused:UNUSED_PAD src0_sel:BYTE_1 src1_sel:DWORD
	v_cmp_ne_u32_e32 vcc, s43, v0
	s_waitcnt vmcnt(1)
	v_mov_b32_e32 v23, v61
	s_waitcnt vmcnt(0)
	v_mov_b32_e32 v6, v24
	buffer_store_dword v5, off, s[48:51], 0 ; 4-byte Folded Spill
	s_nop 0
	buffer_store_dword v6, off, s[48:51], 0 offset:4 ; 4-byte Folded Spill
	s_and_saveexec_b64 s[36:37], vcc
	s_cbranch_execz .LBB215_463
; %bb.462:                              ;   in Loop: Header=BB215_9 Depth=1
	v_mov_b32_e32 v6, 7
	v_and_b32_sdwa v6, v3, v6 dst_sel:DWORD dst_unused:UNUSED_PAD src0_sel:BYTE_1 src1_sel:DWORD
	v_lshrrev_b32_e32 v9, 3, v0
	v_cmp_gt_u32_e32 vcc, 8, v0
	v_ffbh_u32_e32 v0, v6
	v_min_u32_e32 v0, 32, v0
	v_mov_b32_e32 v7, v61
	v_subrev_u32_e32 v8, 28, v0
	v_lshlrev_b64 v[7:8], v8, v[6:7]
	v_sub_u32_e32 v0, 29, v0
	v_and_b32_e32 v7, 7, v7
	v_cndmask_b32_e32 v0, v9, v0, vcc
	v_cndmask_b32_e32 v6, v6, v7, vcc
	v_bfrev_b32_e32 v7, 60
	v_lshlrev_b32_e32 v3, 16, v3
	v_lshl_add_u32 v0, v0, 23, v7
	v_and_or_b32 v0, v3, s44, v0
	v_lshlrev_b32_e32 v3, 20, v6
	v_or_b32_e32 v24, v0, v3
	v_mov_b32_e32 v23, v61
.LBB215_463:                            ;   in Loop: Header=BB215_9 Depth=1
	s_or_b64 exec, exec, s[36:37]
.LBB215_464:                            ;   in Loop: Header=BB215_9 Depth=1
	s_or_b64 exec, exec, s[34:35]
.LBB215_465:                            ;   in Loop: Header=BB215_9 Depth=1
	s_or_b64 exec, exec, s[16:17]
	buffer_load_dword v0, off, s[48:51], 0 offset:16 ; 4-byte Folded Reload
	v_mov_b32_e32 v27, 0
	v_mov_b32_e32 v33, 0
	;; [unrolled: 1-line block ×4, first 2 shown]
	s_waitcnt vmcnt(0)
	v_add_co_u32_e32 v6, vcc, v4, v0
	v_addc_co_u32_e32 v7, vcc, 0, v5, vcc
	global_load_ushort v0, v[6:7], off
	s_waitcnt vmcnt(0)
	v_and_b32_e32 v3, 0xffff, v0
	v_cmp_ne_u16_sdwa s[34:35], v0, v61 src0_sel:BYTE_0 src1_sel:DWORD
	s_and_saveexec_b64 s[16:17], s[34:35]
	s_cbranch_execz .LBB215_471
; %bb.466:                              ;   in Loop: Header=BB215_9 Depth=1
	v_bfrev_b32_e32 v33, 1
	v_mov_b32_e32 v34, 0
	v_cmp_ne_u16_sdwa s[36:37], v3, s42 src0_sel:BYTE_0 src1_sel:DWORD
	s_and_saveexec_b64 s[34:35], s[36:37]
	s_cbranch_execz .LBB215_470
; %bb.467:                              ;   in Loop: Header=BB215_9 Depth=1
	v_and_b32_e32 v0, 0x7f, v3
	v_mov_b32_e32 v33, 0x7f800001
	v_mov_b32_e32 v34, 0
	v_cmp_ne_u32_e32 vcc, s43, v0
	s_and_saveexec_b64 s[36:37], vcc
	s_cbranch_execz .LBB215_469
; %bb.468:                              ;   in Loop: Header=BB215_9 Depth=1
	v_and_b32_e32 v8, 7, v3
	v_lshrrev_b32_e32 v9, 3, v0
	v_cmp_gt_u32_e32 vcc, 8, v0
	v_ffbh_u32_e32 v0, v8
	v_min_u32_e32 v0, 32, v0
	v_subrev_u32_e32 v6, 28, v0
	v_lshlrev_b64 v[6:7], v6, v[3:4]
	v_sub_u32_e32 v0, 29, v0
	v_and_b32_e32 v6, 7, v6
	v_cndmask_b32_e32 v0, v9, v0, vcc
	v_cndmask_b32_e32 v6, v8, v6, vcc
	v_bfrev_b32_e32 v8, 60
	v_lshlrev_b32_e32 v6, 20, v6
	v_and_b32_sdwa v7, sext(v3), s44 dst_sel:DWORD dst_unused:UNUSED_PAD src0_sel:BYTE_0 src1_sel:DWORD
	v_lshl_add_u32 v0, v0, 23, v8
	v_or3_b32 v33, v7, v0, v6
	v_mov_b32_e32 v34, v61
.LBB215_469:                            ;   in Loop: Header=BB215_9 Depth=1
	s_or_b64 exec, exec, s[36:37]
.LBB215_470:                            ;   in Loop: Header=BB215_9 Depth=1
	s_or_b64 exec, exec, s[34:35]
.LBB215_471:                            ;   in Loop: Header=BB215_9 Depth=1
	s_or_b64 exec, exec, s[16:17]
	v_cmp_ne_u16_sdwa s[34:35], v3, v61 src0_sel:BYTE_1 src1_sel:DWORD
	s_and_saveexec_b64 s[16:17], s[34:35]
	s_cbranch_execz .LBB215_477
; %bb.472:                              ;   in Loop: Header=BB215_9 Depth=1
	v_mov_b32_e32 v27, v61
	v_cmp_ne_u16_sdwa s[36:37], v3, s42 src0_sel:BYTE_1 src1_sel:DWORD
	v_mov_b32_e32 v28, v62
	s_and_saveexec_b64 s[34:35], s[36:37]
	s_cbranch_execz .LBB215_476
; %bb.473:                              ;   in Loop: Header=BB215_9 Depth=1
	buffer_load_dword v27, off, s[48:51], 0 ; 4-byte Folded Reload
	buffer_load_dword v28, off, s[48:51], 0 offset:4 ; 4-byte Folded Reload
	v_and_b32_sdwa v0, v3, s43 dst_sel:DWORD dst_unused:UNUSED_PAD src0_sel:BYTE_1 src1_sel:DWORD
	v_cmp_ne_u32_e32 vcc, s43, v0
	s_waitcnt vmcnt(1)
	v_mov_b32_e32 v27, v61
	s_waitcnt vmcnt(0)
	v_mov_b32_e32 v6, v28
	buffer_store_dword v5, off, s[48:51], 0 ; 4-byte Folded Spill
	s_nop 0
	buffer_store_dword v6, off, s[48:51], 0 offset:4 ; 4-byte Folded Spill
	s_and_saveexec_b64 s[36:37], vcc
	s_cbranch_execz .LBB215_475
; %bb.474:                              ;   in Loop: Header=BB215_9 Depth=1
	v_mov_b32_e32 v6, 7
	v_and_b32_sdwa v6, v3, v6 dst_sel:DWORD dst_unused:UNUSED_PAD src0_sel:BYTE_1 src1_sel:DWORD
	v_lshrrev_b32_e32 v9, 3, v0
	v_cmp_gt_u32_e32 vcc, 8, v0
	v_ffbh_u32_e32 v0, v6
	v_min_u32_e32 v0, 32, v0
	v_mov_b32_e32 v7, v61
	v_subrev_u32_e32 v8, 28, v0
	v_lshlrev_b64 v[7:8], v8, v[6:7]
	v_sub_u32_e32 v0, 29, v0
	v_and_b32_e32 v7, 7, v7
	v_cndmask_b32_e32 v0, v9, v0, vcc
	v_cndmask_b32_e32 v6, v6, v7, vcc
	v_bfrev_b32_e32 v7, 60
	v_lshlrev_b32_e32 v3, 16, v3
	v_lshl_add_u32 v0, v0, 23, v7
	v_and_or_b32 v0, v3, s44, v0
	v_lshlrev_b32_e32 v3, 20, v6
	v_or_b32_e32 v28, v0, v3
	v_mov_b32_e32 v27, v61
.LBB215_475:                            ;   in Loop: Header=BB215_9 Depth=1
	s_or_b64 exec, exec, s[36:37]
.LBB215_476:                            ;   in Loop: Header=BB215_9 Depth=1
	s_or_b64 exec, exec, s[34:35]
.LBB215_477:                            ;   in Loop: Header=BB215_9 Depth=1
	s_or_b64 exec, exec, s[16:17]
	buffer_load_dword v0, off, s[48:51], 0 offset:20 ; 4-byte Folded Reload
	v_mov_b32_e32 v31, 0
	v_mov_b32_e32 v15, 0
	;; [unrolled: 1-line block ×4, first 2 shown]
	s_waitcnt vmcnt(0)
	v_add_co_u32_e32 v3, vcc, v4, v0
	v_addc_co_u32_e32 v4, vcc, 0, v5, vcc
	global_load_ushort v0, v[3:4], off
	s_waitcnt vmcnt(0)
	v_and_b32_e32 v3, 0xffff, v0
	v_cmp_ne_u16_sdwa s[34:35], v0, v61 src0_sel:BYTE_0 src1_sel:DWORD
	s_and_saveexec_b64 s[16:17], s[34:35]
	s_cbranch_execz .LBB215_483
; %bb.478:                              ;   in Loop: Header=BB215_9 Depth=1
	v_bfrev_b32_e32 v15, 1
	v_mov_b32_e32 v16, 0
	v_cmp_ne_u16_sdwa s[36:37], v3, s42 src0_sel:BYTE_0 src1_sel:DWORD
	s_and_saveexec_b64 s[34:35], s[36:37]
	s_cbranch_execz .LBB215_482
; %bb.479:                              ;   in Loop: Header=BB215_9 Depth=1
	v_and_b32_e32 v0, 0x7f, v3
	v_mov_b32_e32 v15, 0x7f800001
	v_mov_b32_e32 v16, 0
	v_cmp_ne_u32_e32 vcc, s43, v0
	s_and_saveexec_b64 s[36:37], vcc
	s_cbranch_execz .LBB215_481
; %bb.480:                              ;   in Loop: Header=BB215_9 Depth=1
	v_and_b32_e32 v6, 7, v3
	v_lshrrev_b32_e32 v7, 3, v0
	v_cmp_gt_u32_e32 vcc, 8, v0
	v_ffbh_u32_e32 v0, v6
	v_min_u32_e32 v0, 32, v0
	v_subrev_u32_e32 v4, 28, v0
	v_lshlrev_b64 v[4:5], v4, v[3:4]
	v_sub_u32_e32 v0, 29, v0
	v_and_b32_e32 v4, 7, v4
	v_cndmask_b32_e32 v0, v7, v0, vcc
	v_cndmask_b32_e32 v4, v6, v4, vcc
	v_bfrev_b32_e32 v6, 60
	v_lshlrev_b32_e32 v4, 20, v4
	v_and_b32_sdwa v5, sext(v3), s44 dst_sel:DWORD dst_unused:UNUSED_PAD src0_sel:BYTE_0 src1_sel:DWORD
	v_lshl_add_u32 v0, v0, 23, v6
	v_or3_b32 v15, v5, v0, v4
	v_mov_b32_e32 v16, v61
.LBB215_481:                            ;   in Loop: Header=BB215_9 Depth=1
	s_or_b64 exec, exec, s[36:37]
.LBB215_482:                            ;   in Loop: Header=BB215_9 Depth=1
	s_or_b64 exec, exec, s[34:35]
.LBB215_483:                            ;   in Loop: Header=BB215_9 Depth=1
	s_or_b64 exec, exec, s[16:17]
	v_cmp_ne_u16_sdwa s[34:35], v3, v61 src0_sel:BYTE_1 src1_sel:DWORD
	s_and_saveexec_b64 s[16:17], s[34:35]
	s_cbranch_execz .LBB215_489
; %bb.484:                              ;   in Loop: Header=BB215_9 Depth=1
	v_mov_b32_e32 v31, v61
	v_cmp_ne_u16_sdwa s[36:37], v3, s42 src0_sel:BYTE_1 src1_sel:DWORD
	v_mov_b32_e32 v32, v62
	s_and_saveexec_b64 s[34:35], s[36:37]
	s_cbranch_execz .LBB215_488
; %bb.485:                              ;   in Loop: Header=BB215_9 Depth=1
	buffer_load_dword v31, off, s[48:51], 0 ; 4-byte Folded Reload
	buffer_load_dword v32, off, s[48:51], 0 offset:4 ; 4-byte Folded Reload
	v_and_b32_sdwa v0, v3, s43 dst_sel:DWORD dst_unused:UNUSED_PAD src0_sel:BYTE_1 src1_sel:DWORD
	v_cmp_ne_u32_e32 vcc, s43, v0
	s_waitcnt vmcnt(1)
	v_mov_b32_e32 v31, v61
	s_waitcnt vmcnt(0)
	v_mov_b32_e32 v4, v32
	buffer_store_dword v3, off, s[48:51], 0 ; 4-byte Folded Spill
	s_nop 0
	buffer_store_dword v4, off, s[48:51], 0 offset:4 ; 4-byte Folded Spill
	s_and_saveexec_b64 s[36:37], vcc
	s_cbranch_execz .LBB215_487
; %bb.486:                              ;   in Loop: Header=BB215_9 Depth=1
	v_mov_b32_e32 v4, 7
	v_and_b32_sdwa v4, v3, v4 dst_sel:DWORD dst_unused:UNUSED_PAD src0_sel:BYTE_1 src1_sel:DWORD
	v_lshrrev_b32_e32 v7, 3, v0
	v_cmp_gt_u32_e32 vcc, 8, v0
	v_ffbh_u32_e32 v0, v4
	v_min_u32_e32 v0, 32, v0
	v_mov_b32_e32 v5, v61
	v_subrev_u32_e32 v6, 28, v0
	v_lshlrev_b64 v[5:6], v6, v[4:5]
	v_sub_u32_e32 v0, 29, v0
	v_and_b32_e32 v5, 7, v5
	v_cndmask_b32_e32 v0, v7, v0, vcc
	v_cndmask_b32_e32 v4, v4, v5, vcc
	v_bfrev_b32_e32 v5, 60
	v_lshlrev_b32_e32 v3, 16, v3
	v_lshl_add_u32 v0, v0, 23, v5
	v_and_or_b32 v0, v3, s44, v0
	v_lshlrev_b32_e32 v3, 20, v4
	v_or_b32_e32 v32, v0, v3
	v_mov_b32_e32 v31, v61
.LBB215_487:                            ;   in Loop: Header=BB215_9 Depth=1
	s_or_b64 exec, exec, s[36:37]
.LBB215_488:                            ;   in Loop: Header=BB215_9 Depth=1
	s_or_b64 exec, exec, s[34:35]
.LBB215_489:                            ;   in Loop: Header=BB215_9 Depth=1
	s_or_b64 exec, exec, s[16:17]
	buffer_load_dword v0, off, s[48:51], 0 offset:8 ; 4-byte Folded Reload
	v_add_co_u32_e32 v4, vcc, 0x1400, v1
	v_addc_co_u32_e32 v5, vcc, 0, v2, vcc
	v_mov_b32_e32 v35, 0
	v_mov_b32_e32 v12, 0
	v_mov_b32_e32 v36, 0
	v_mov_b32_e32 v13, 0
	s_waitcnt vmcnt(0)
	v_add_co_u32_e32 v6, vcc, v4, v0
	v_addc_co_u32_e32 v7, vcc, 0, v5, vcc
	global_load_ushort v0, v[6:7], off
	s_waitcnt vmcnt(0)
	v_and_b32_e32 v3, 0xffff, v0
	v_cmp_ne_u16_sdwa s[34:35], v0, v61 src0_sel:BYTE_0 src1_sel:DWORD
	s_and_saveexec_b64 s[16:17], s[34:35]
	s_cbranch_execz .LBB215_495
; %bb.490:                              ;   in Loop: Header=BB215_9 Depth=1
	v_bfrev_b32_e32 v12, 1
	v_mov_b32_e32 v13, 0
	v_cmp_ne_u16_sdwa s[36:37], v3, s42 src0_sel:BYTE_0 src1_sel:DWORD
	s_and_saveexec_b64 s[34:35], s[36:37]
	s_cbranch_execz .LBB215_494
; %bb.491:                              ;   in Loop: Header=BB215_9 Depth=1
	v_and_b32_e32 v0, 0x7f, v3
	v_mov_b32_e32 v12, 0x7f800001
	v_mov_b32_e32 v13, 0
	v_cmp_ne_u32_e32 vcc, s43, v0
	s_and_saveexec_b64 s[36:37], vcc
	s_cbranch_execz .LBB215_493
; %bb.492:                              ;   in Loop: Header=BB215_9 Depth=1
	v_and_b32_e32 v8, 7, v3
	v_lshrrev_b32_e32 v9, 3, v0
	v_cmp_gt_u32_e32 vcc, 8, v0
	v_ffbh_u32_e32 v0, v8
	v_min_u32_e32 v0, 32, v0
	v_subrev_u32_e32 v6, 28, v0
	v_lshlrev_b64 v[6:7], v6, v[3:4]
	v_sub_u32_e32 v0, 29, v0
	v_and_b32_e32 v6, 7, v6
	v_cndmask_b32_e32 v0, v9, v0, vcc
	v_cndmask_b32_e32 v6, v8, v6, vcc
	v_bfrev_b32_e32 v8, 60
	v_lshlrev_b32_e32 v6, 20, v6
	v_and_b32_sdwa v7, sext(v3), s44 dst_sel:DWORD dst_unused:UNUSED_PAD src0_sel:BYTE_0 src1_sel:DWORD
	v_lshl_add_u32 v0, v0, 23, v8
	v_or3_b32 v12, v7, v0, v6
	v_mov_b32_e32 v13, v61
.LBB215_493:                            ;   in Loop: Header=BB215_9 Depth=1
	s_or_b64 exec, exec, s[36:37]
.LBB215_494:                            ;   in Loop: Header=BB215_9 Depth=1
	s_or_b64 exec, exec, s[34:35]
.LBB215_495:                            ;   in Loop: Header=BB215_9 Depth=1
	s_or_b64 exec, exec, s[16:17]
	v_cmp_ne_u16_sdwa s[34:35], v3, v61 src0_sel:BYTE_1 src1_sel:DWORD
	s_and_saveexec_b64 s[16:17], s[34:35]
	s_cbranch_execz .LBB215_501
; %bb.496:                              ;   in Loop: Header=BB215_9 Depth=1
	v_mov_b32_e32 v35, v61
	v_cmp_ne_u16_sdwa s[36:37], v3, s42 src0_sel:BYTE_1 src1_sel:DWORD
	v_mov_b32_e32 v36, v62
	s_and_saveexec_b64 s[34:35], s[36:37]
	s_cbranch_execz .LBB215_500
; %bb.497:                              ;   in Loop: Header=BB215_9 Depth=1
	buffer_load_dword v35, off, s[48:51], 0 ; 4-byte Folded Reload
	buffer_load_dword v36, off, s[48:51], 0 offset:4 ; 4-byte Folded Reload
	v_and_b32_sdwa v0, v3, s43 dst_sel:DWORD dst_unused:UNUSED_PAD src0_sel:BYTE_1 src1_sel:DWORD
	v_cmp_ne_u32_e32 vcc, s43, v0
	s_waitcnt vmcnt(1)
	v_mov_b32_e32 v35, v61
	s_waitcnt vmcnt(0)
	v_mov_b32_e32 v6, v36
	buffer_store_dword v5, off, s[48:51], 0 ; 4-byte Folded Spill
	s_nop 0
	buffer_store_dword v6, off, s[48:51], 0 offset:4 ; 4-byte Folded Spill
	s_and_saveexec_b64 s[36:37], vcc
	s_cbranch_execz .LBB215_499
; %bb.498:                              ;   in Loop: Header=BB215_9 Depth=1
	v_mov_b32_e32 v6, 7
	v_and_b32_sdwa v6, v3, v6 dst_sel:DWORD dst_unused:UNUSED_PAD src0_sel:BYTE_1 src1_sel:DWORD
	v_lshrrev_b32_e32 v9, 3, v0
	v_cmp_gt_u32_e32 vcc, 8, v0
	v_ffbh_u32_e32 v0, v6
	v_min_u32_e32 v0, 32, v0
	v_mov_b32_e32 v7, v61
	v_subrev_u32_e32 v8, 28, v0
	v_lshlrev_b64 v[7:8], v8, v[6:7]
	v_sub_u32_e32 v0, 29, v0
	v_and_b32_e32 v7, 7, v7
	v_cndmask_b32_e32 v0, v9, v0, vcc
	v_cndmask_b32_e32 v6, v6, v7, vcc
	v_bfrev_b32_e32 v7, 60
	v_lshlrev_b32_e32 v3, 16, v3
	v_lshl_add_u32 v0, v0, 23, v7
	v_and_or_b32 v0, v3, s44, v0
	v_lshlrev_b32_e32 v3, 20, v6
	v_or_b32_e32 v36, v0, v3
	v_mov_b32_e32 v35, v61
.LBB215_499:                            ;   in Loop: Header=BB215_9 Depth=1
	s_or_b64 exec, exec, s[36:37]
.LBB215_500:                            ;   in Loop: Header=BB215_9 Depth=1
	s_or_b64 exec, exec, s[34:35]
.LBB215_501:                            ;   in Loop: Header=BB215_9 Depth=1
	s_or_b64 exec, exec, s[16:17]
	buffer_load_dword v0, off, s[48:51], 0 offset:12 ; 4-byte Folded Reload
	v_mov_b32_e32 v39, 0
	v_mov_b32_e32 v21, 0
	;; [unrolled: 1-line block ×4, first 2 shown]
	s_waitcnt vmcnt(0)
	v_add_co_u32_e32 v6, vcc, v4, v0
	v_addc_co_u32_e32 v7, vcc, 0, v5, vcc
	global_load_ushort v0, v[6:7], off
	s_waitcnt vmcnt(0)
	v_and_b32_e32 v3, 0xffff, v0
	v_cmp_ne_u16_sdwa s[34:35], v0, v61 src0_sel:BYTE_0 src1_sel:DWORD
	s_and_saveexec_b64 s[16:17], s[34:35]
	s_cbranch_execz .LBB215_507
; %bb.502:                              ;   in Loop: Header=BB215_9 Depth=1
	v_bfrev_b32_e32 v21, 1
	v_mov_b32_e32 v22, 0
	v_cmp_ne_u16_sdwa s[36:37], v3, s42 src0_sel:BYTE_0 src1_sel:DWORD
	s_and_saveexec_b64 s[34:35], s[36:37]
	s_cbranch_execz .LBB215_506
; %bb.503:                              ;   in Loop: Header=BB215_9 Depth=1
	v_and_b32_e32 v0, 0x7f, v3
	v_mov_b32_e32 v21, 0x7f800001
	v_mov_b32_e32 v22, 0
	v_cmp_ne_u32_e32 vcc, s43, v0
	s_and_saveexec_b64 s[36:37], vcc
	s_cbranch_execz .LBB215_505
; %bb.504:                              ;   in Loop: Header=BB215_9 Depth=1
	v_and_b32_e32 v8, 7, v3
	v_lshrrev_b32_e32 v9, 3, v0
	v_cmp_gt_u32_e32 vcc, 8, v0
	v_ffbh_u32_e32 v0, v8
	v_min_u32_e32 v0, 32, v0
	v_subrev_u32_e32 v6, 28, v0
	v_lshlrev_b64 v[6:7], v6, v[3:4]
	v_sub_u32_e32 v0, 29, v0
	v_and_b32_e32 v6, 7, v6
	v_cndmask_b32_e32 v0, v9, v0, vcc
	v_cndmask_b32_e32 v6, v8, v6, vcc
	v_bfrev_b32_e32 v8, 60
	v_lshlrev_b32_e32 v6, 20, v6
	v_and_b32_sdwa v7, sext(v3), s44 dst_sel:DWORD dst_unused:UNUSED_PAD src0_sel:BYTE_0 src1_sel:DWORD
	v_lshl_add_u32 v0, v0, 23, v8
	v_or3_b32 v21, v7, v0, v6
	v_mov_b32_e32 v22, v61
.LBB215_505:                            ;   in Loop: Header=BB215_9 Depth=1
	s_or_b64 exec, exec, s[36:37]
.LBB215_506:                            ;   in Loop: Header=BB215_9 Depth=1
	s_or_b64 exec, exec, s[34:35]
.LBB215_507:                            ;   in Loop: Header=BB215_9 Depth=1
	s_or_b64 exec, exec, s[16:17]
	v_cmp_ne_u16_sdwa s[34:35], v3, v61 src0_sel:BYTE_1 src1_sel:DWORD
	s_and_saveexec_b64 s[16:17], s[34:35]
	s_cbranch_execz .LBB215_513
; %bb.508:                              ;   in Loop: Header=BB215_9 Depth=1
	v_mov_b32_e32 v39, v61
	v_cmp_ne_u16_sdwa s[36:37], v3, s42 src0_sel:BYTE_1 src1_sel:DWORD
	v_mov_b32_e32 v40, v62
	s_and_saveexec_b64 s[34:35], s[36:37]
	s_cbranch_execz .LBB215_512
; %bb.509:                              ;   in Loop: Header=BB215_9 Depth=1
	buffer_load_dword v39, off, s[48:51], 0 ; 4-byte Folded Reload
	buffer_load_dword v40, off, s[48:51], 0 offset:4 ; 4-byte Folded Reload
	v_and_b32_sdwa v0, v3, s43 dst_sel:DWORD dst_unused:UNUSED_PAD src0_sel:BYTE_1 src1_sel:DWORD
	v_cmp_ne_u32_e32 vcc, s43, v0
	s_waitcnt vmcnt(1)
	v_mov_b32_e32 v39, v61
	s_waitcnt vmcnt(0)
	v_mov_b32_e32 v6, v40
	buffer_store_dword v5, off, s[48:51], 0 ; 4-byte Folded Spill
	s_nop 0
	buffer_store_dword v6, off, s[48:51], 0 offset:4 ; 4-byte Folded Spill
	s_and_saveexec_b64 s[36:37], vcc
	s_cbranch_execz .LBB215_511
; %bb.510:                              ;   in Loop: Header=BB215_9 Depth=1
	v_mov_b32_e32 v6, 7
	v_and_b32_sdwa v6, v3, v6 dst_sel:DWORD dst_unused:UNUSED_PAD src0_sel:BYTE_1 src1_sel:DWORD
	v_lshrrev_b32_e32 v9, 3, v0
	v_cmp_gt_u32_e32 vcc, 8, v0
	v_ffbh_u32_e32 v0, v6
	v_min_u32_e32 v0, 32, v0
	v_mov_b32_e32 v7, v61
	v_subrev_u32_e32 v8, 28, v0
	v_lshlrev_b64 v[7:8], v8, v[6:7]
	v_sub_u32_e32 v0, 29, v0
	v_and_b32_e32 v7, 7, v7
	v_cndmask_b32_e32 v0, v9, v0, vcc
	v_cndmask_b32_e32 v6, v6, v7, vcc
	v_bfrev_b32_e32 v7, 60
	v_lshlrev_b32_e32 v3, 16, v3
	v_lshl_add_u32 v0, v0, 23, v7
	v_and_or_b32 v0, v3, s44, v0
	v_lshlrev_b32_e32 v3, 20, v6
	v_or_b32_e32 v40, v0, v3
	v_mov_b32_e32 v39, v61
.LBB215_511:                            ;   in Loop: Header=BB215_9 Depth=1
	s_or_b64 exec, exec, s[36:37]
.LBB215_512:                            ;   in Loop: Header=BB215_9 Depth=1
	s_or_b64 exec, exec, s[34:35]
.LBB215_513:                            ;   in Loop: Header=BB215_9 Depth=1
	s_or_b64 exec, exec, s[16:17]
	buffer_load_dword v0, off, s[48:51], 0 offset:16 ; 4-byte Folded Reload
	v_mov_b32_e32 v25, 0
	v_mov_b32_e32 v47, 0
	;; [unrolled: 1-line block ×4, first 2 shown]
	s_waitcnt vmcnt(0)
	v_add_co_u32_e32 v6, vcc, v4, v0
	v_addc_co_u32_e32 v7, vcc, 0, v5, vcc
	global_load_ushort v0, v[6:7], off
	s_waitcnt vmcnt(0)
	v_and_b32_e32 v3, 0xffff, v0
	v_cmp_ne_u16_sdwa s[34:35], v0, v61 src0_sel:BYTE_0 src1_sel:DWORD
	s_and_saveexec_b64 s[16:17], s[34:35]
	s_cbranch_execz .LBB215_519
; %bb.514:                              ;   in Loop: Header=BB215_9 Depth=1
	v_bfrev_b32_e32 v47, 1
	v_mov_b32_e32 v48, 0
	v_cmp_ne_u16_sdwa s[36:37], v3, s42 src0_sel:BYTE_0 src1_sel:DWORD
	s_and_saveexec_b64 s[34:35], s[36:37]
	s_cbranch_execz .LBB215_518
; %bb.515:                              ;   in Loop: Header=BB215_9 Depth=1
	v_and_b32_e32 v0, 0x7f, v3
	v_mov_b32_e32 v47, 0x7f800001
	v_mov_b32_e32 v48, 0
	v_cmp_ne_u32_e32 vcc, s43, v0
	s_and_saveexec_b64 s[36:37], vcc
	s_cbranch_execz .LBB215_517
; %bb.516:                              ;   in Loop: Header=BB215_9 Depth=1
	v_and_b32_e32 v8, 7, v3
	v_lshrrev_b32_e32 v9, 3, v0
	v_cmp_gt_u32_e32 vcc, 8, v0
	v_ffbh_u32_e32 v0, v8
	v_min_u32_e32 v0, 32, v0
	v_subrev_u32_e32 v6, 28, v0
	v_lshlrev_b64 v[6:7], v6, v[3:4]
	v_sub_u32_e32 v0, 29, v0
	v_and_b32_e32 v6, 7, v6
	v_cndmask_b32_e32 v0, v9, v0, vcc
	v_cndmask_b32_e32 v6, v8, v6, vcc
	v_bfrev_b32_e32 v8, 60
	v_lshlrev_b32_e32 v6, 20, v6
	v_and_b32_sdwa v7, sext(v3), s44 dst_sel:DWORD dst_unused:UNUSED_PAD src0_sel:BYTE_0 src1_sel:DWORD
	v_lshl_add_u32 v0, v0, 23, v8
	v_or3_b32 v47, v7, v0, v6
	v_mov_b32_e32 v48, v61
.LBB215_517:                            ;   in Loop: Header=BB215_9 Depth=1
	s_or_b64 exec, exec, s[36:37]
.LBB215_518:                            ;   in Loop: Header=BB215_9 Depth=1
	s_or_b64 exec, exec, s[34:35]
.LBB215_519:                            ;   in Loop: Header=BB215_9 Depth=1
	s_or_b64 exec, exec, s[16:17]
	v_cmp_ne_u16_sdwa s[34:35], v3, v61 src0_sel:BYTE_1 src1_sel:DWORD
	s_and_saveexec_b64 s[16:17], s[34:35]
	s_cbranch_execz .LBB215_525
; %bb.520:                              ;   in Loop: Header=BB215_9 Depth=1
	v_mov_b32_e32 v25, v61
	v_cmp_ne_u16_sdwa s[36:37], v3, s42 src0_sel:BYTE_1 src1_sel:DWORD
	v_mov_b32_e32 v26, v62
	s_and_saveexec_b64 s[34:35], s[36:37]
	s_cbranch_execz .LBB215_524
; %bb.521:                              ;   in Loop: Header=BB215_9 Depth=1
	buffer_load_dword v25, off, s[48:51], 0 ; 4-byte Folded Reload
	buffer_load_dword v26, off, s[48:51], 0 offset:4 ; 4-byte Folded Reload
	v_and_b32_sdwa v0, v3, s43 dst_sel:DWORD dst_unused:UNUSED_PAD src0_sel:BYTE_1 src1_sel:DWORD
	v_cmp_ne_u32_e32 vcc, s43, v0
	s_waitcnt vmcnt(1)
	v_mov_b32_e32 v25, v61
	s_waitcnt vmcnt(0)
	v_mov_b32_e32 v6, v26
	buffer_store_dword v5, off, s[48:51], 0 ; 4-byte Folded Spill
	s_nop 0
	buffer_store_dword v6, off, s[48:51], 0 offset:4 ; 4-byte Folded Spill
	s_and_saveexec_b64 s[36:37], vcc
	s_cbranch_execz .LBB215_523
; %bb.522:                              ;   in Loop: Header=BB215_9 Depth=1
	v_mov_b32_e32 v6, 7
	v_and_b32_sdwa v6, v3, v6 dst_sel:DWORD dst_unused:UNUSED_PAD src0_sel:BYTE_1 src1_sel:DWORD
	v_lshrrev_b32_e32 v9, 3, v0
	v_cmp_gt_u32_e32 vcc, 8, v0
	v_ffbh_u32_e32 v0, v6
	v_min_u32_e32 v0, 32, v0
	v_mov_b32_e32 v7, v61
	v_subrev_u32_e32 v8, 28, v0
	v_lshlrev_b64 v[7:8], v8, v[6:7]
	v_sub_u32_e32 v0, 29, v0
	v_and_b32_e32 v7, 7, v7
	v_cndmask_b32_e32 v0, v9, v0, vcc
	v_cndmask_b32_e32 v6, v6, v7, vcc
	v_bfrev_b32_e32 v7, 60
	v_lshlrev_b32_e32 v3, 16, v3
	v_lshl_add_u32 v0, v0, 23, v7
	v_and_or_b32 v0, v3, s44, v0
	v_lshlrev_b32_e32 v3, 20, v6
	v_or_b32_e32 v26, v0, v3
	v_mov_b32_e32 v25, v61
.LBB215_523:                            ;   in Loop: Header=BB215_9 Depth=1
	s_or_b64 exec, exec, s[36:37]
.LBB215_524:                            ;   in Loop: Header=BB215_9 Depth=1
	s_or_b64 exec, exec, s[34:35]
.LBB215_525:                            ;   in Loop: Header=BB215_9 Depth=1
	s_or_b64 exec, exec, s[16:17]
	buffer_load_dword v0, off, s[48:51], 0 offset:20 ; 4-byte Folded Reload
	v_mov_b32_e32 v17, 0
	v_mov_b32_e32 v53, 0
	;; [unrolled: 1-line block ×4, first 2 shown]
	s_waitcnt vmcnt(0)
	v_add_co_u32_e32 v3, vcc, v4, v0
	v_addc_co_u32_e32 v4, vcc, 0, v5, vcc
	global_load_ushort v0, v[3:4], off
	s_waitcnt vmcnt(0)
	v_and_b32_e32 v3, 0xffff, v0
	v_cmp_ne_u16_sdwa s[34:35], v0, v61 src0_sel:BYTE_0 src1_sel:DWORD
	s_and_saveexec_b64 s[16:17], s[34:35]
	s_cbranch_execz .LBB215_531
; %bb.526:                              ;   in Loop: Header=BB215_9 Depth=1
	v_bfrev_b32_e32 v53, 1
	v_mov_b32_e32 v54, 0
	v_cmp_ne_u16_sdwa s[36:37], v3, s42 src0_sel:BYTE_0 src1_sel:DWORD
	s_and_saveexec_b64 s[34:35], s[36:37]
	s_cbranch_execz .LBB215_530
; %bb.527:                              ;   in Loop: Header=BB215_9 Depth=1
	v_and_b32_e32 v0, 0x7f, v3
	v_mov_b32_e32 v53, 0x7f800001
	v_mov_b32_e32 v54, 0
	v_cmp_ne_u32_e32 vcc, s43, v0
	s_and_saveexec_b64 s[36:37], vcc
	s_cbranch_execz .LBB215_529
; %bb.528:                              ;   in Loop: Header=BB215_9 Depth=1
	v_and_b32_e32 v6, 7, v3
	v_lshrrev_b32_e32 v7, 3, v0
	v_cmp_gt_u32_e32 vcc, 8, v0
	v_ffbh_u32_e32 v0, v6
	v_min_u32_e32 v0, 32, v0
	v_subrev_u32_e32 v4, 28, v0
	v_lshlrev_b64 v[4:5], v4, v[3:4]
	v_sub_u32_e32 v0, 29, v0
	v_and_b32_e32 v4, 7, v4
	v_cndmask_b32_e32 v0, v7, v0, vcc
	v_cndmask_b32_e32 v4, v6, v4, vcc
	v_bfrev_b32_e32 v6, 60
	v_lshlrev_b32_e32 v4, 20, v4
	v_and_b32_sdwa v5, sext(v3), s44 dst_sel:DWORD dst_unused:UNUSED_PAD src0_sel:BYTE_0 src1_sel:DWORD
	v_lshl_add_u32 v0, v0, 23, v6
	v_or3_b32 v53, v5, v0, v4
	v_mov_b32_e32 v54, v61
.LBB215_529:                            ;   in Loop: Header=BB215_9 Depth=1
	s_or_b64 exec, exec, s[36:37]
.LBB215_530:                            ;   in Loop: Header=BB215_9 Depth=1
	s_or_b64 exec, exec, s[34:35]
.LBB215_531:                            ;   in Loop: Header=BB215_9 Depth=1
	s_or_b64 exec, exec, s[16:17]
	v_cmp_ne_u16_sdwa s[34:35], v3, v61 src0_sel:BYTE_1 src1_sel:DWORD
	s_and_saveexec_b64 s[16:17], s[34:35]
	s_cbranch_execz .LBB215_537
; %bb.532:                              ;   in Loop: Header=BB215_9 Depth=1
	v_mov_b32_e32 v17, v61
	v_cmp_ne_u16_sdwa s[36:37], v3, s42 src0_sel:BYTE_1 src1_sel:DWORD
	v_mov_b32_e32 v18, v62
	s_and_saveexec_b64 s[34:35], s[36:37]
	s_cbranch_execz .LBB215_536
; %bb.533:                              ;   in Loop: Header=BB215_9 Depth=1
	buffer_load_dword v17, off, s[48:51], 0 ; 4-byte Folded Reload
	buffer_load_dword v18, off, s[48:51], 0 offset:4 ; 4-byte Folded Reload
	v_and_b32_sdwa v0, v3, s43 dst_sel:DWORD dst_unused:UNUSED_PAD src0_sel:BYTE_1 src1_sel:DWORD
	v_cmp_ne_u32_e32 vcc, s43, v0
	s_waitcnt vmcnt(1)
	v_mov_b32_e32 v17, v61
	s_waitcnt vmcnt(0)
	v_mov_b32_e32 v4, v18
	buffer_store_dword v3, off, s[48:51], 0 ; 4-byte Folded Spill
	s_nop 0
	buffer_store_dword v4, off, s[48:51], 0 offset:4 ; 4-byte Folded Spill
	s_and_saveexec_b64 s[36:37], vcc
	s_cbranch_execz .LBB215_535
; %bb.534:                              ;   in Loop: Header=BB215_9 Depth=1
	v_mov_b32_e32 v4, 7
	v_and_b32_sdwa v4, v3, v4 dst_sel:DWORD dst_unused:UNUSED_PAD src0_sel:BYTE_1 src1_sel:DWORD
	v_lshrrev_b32_e32 v7, 3, v0
	v_cmp_gt_u32_e32 vcc, 8, v0
	v_ffbh_u32_e32 v0, v4
	v_min_u32_e32 v0, 32, v0
	v_mov_b32_e32 v5, v61
	v_subrev_u32_e32 v6, 28, v0
	v_lshlrev_b64 v[5:6], v6, v[4:5]
	v_sub_u32_e32 v0, 29, v0
	v_and_b32_e32 v5, 7, v5
	v_cndmask_b32_e32 v0, v7, v0, vcc
	v_cndmask_b32_e32 v4, v4, v5, vcc
	v_bfrev_b32_e32 v5, 60
	v_lshlrev_b32_e32 v3, 16, v3
	v_lshl_add_u32 v0, v0, 23, v5
	v_and_or_b32 v0, v3, s44, v0
	v_lshlrev_b32_e32 v3, 20, v4
	v_or_b32_e32 v18, v0, v3
	v_mov_b32_e32 v17, v61
.LBB215_535:                            ;   in Loop: Header=BB215_9 Depth=1
	s_or_b64 exec, exec, s[36:37]
.LBB215_536:                            ;   in Loop: Header=BB215_9 Depth=1
	s_or_b64 exec, exec, s[34:35]
.LBB215_537:                            ;   in Loop: Header=BB215_9 Depth=1
	s_or_b64 exec, exec, s[16:17]
	buffer_load_dword v0, off, s[48:51], 0 offset:8 ; 4-byte Folded Reload
	v_add_co_u32_e32 v4, vcc, 0x1600, v1
	v_addc_co_u32_e32 v9, vcc, 0, v2, vcc
	v_mov_b32_e32 v57, 0
	v_mov_b32_e32 v58, 0
	s_waitcnt vmcnt(0)
	v_add_co_u32_e32 v0, vcc, v4, v0
	v_addc_co_u32_e32 v1, vcc, 0, v9, vcc
	global_load_ushort v0, v[0:1], off
	v_mov_b32_e32 v1, 0
	v_mov_b32_e32 v2, 0
	s_waitcnt vmcnt(0)
	v_and_b32_e32 v3, 0xffff, v0
	v_cmp_ne_u16_sdwa s[34:35], v0, v61 src0_sel:BYTE_0 src1_sel:DWORD
	s_and_saveexec_b64 s[16:17], s[34:35]
	s_cbranch_execz .LBB215_543
; %bb.538:                              ;   in Loop: Header=BB215_9 Depth=1
	v_bfrev_b32_e32 v1, 1
	v_mov_b32_e32 v2, 0
	v_cmp_ne_u16_sdwa s[36:37], v3, s42 src0_sel:BYTE_0 src1_sel:DWORD
	s_and_saveexec_b64 s[34:35], s[36:37]
	s_cbranch_execz .LBB215_542
; %bb.539:                              ;   in Loop: Header=BB215_9 Depth=1
	v_and_b32_e32 v0, 0x7f, v3
	v_mov_b32_e32 v1, 0x7f800001
	v_mov_b32_e32 v2, 0
	v_cmp_ne_u32_e32 vcc, s43, v0
	s_and_saveexec_b64 s[36:37], vcc
	s_cbranch_execz .LBB215_541
; %bb.540:                              ;   in Loop: Header=BB215_9 Depth=1
	v_and_b32_e32 v2, 7, v3
	v_lshrrev_b32_e32 v5, 3, v0
	v_cmp_gt_u32_e32 vcc, 8, v0
	v_ffbh_u32_e32 v0, v2
	v_min_u32_e32 v6, 32, v0
	v_subrev_u32_e32 v0, 28, v6
	v_lshlrev_b64 v[0:1], v0, v[3:4]
	v_sub_u32_e32 v1, 29, v6
	v_and_b32_e32 v0, 7, v0
	v_cndmask_b32_e32 v1, v5, v1, vcc
	v_cndmask_b32_e32 v0, v2, v0, vcc
	v_bfrev_b32_e32 v5, 60
	v_lshlrev_b32_e32 v0, 20, v0
	v_and_b32_sdwa v2, sext(v3), s44 dst_sel:DWORD dst_unused:UNUSED_PAD src0_sel:BYTE_0 src1_sel:DWORD
	v_lshl_add_u32 v1, v1, 23, v5
	v_or3_b32 v1, v2, v1, v0
	v_mov_b32_e32 v2, v61
.LBB215_541:                            ;   in Loop: Header=BB215_9 Depth=1
	s_or_b64 exec, exec, s[36:37]
.LBB215_542:                            ;   in Loop: Header=BB215_9 Depth=1
	s_or_b64 exec, exec, s[34:35]
.LBB215_543:                            ;   in Loop: Header=BB215_9 Depth=1
	s_or_b64 exec, exec, s[16:17]
	v_cmp_ne_u16_sdwa s[34:35], v3, v61 src0_sel:BYTE_1 src1_sel:DWORD
	s_and_saveexec_b64 s[16:17], s[34:35]
	s_cbranch_execz .LBB215_549
; %bb.544:                              ;   in Loop: Header=BB215_9 Depth=1
	v_mov_b32_e32 v57, v61
	v_cmp_ne_u16_sdwa s[36:37], v3, s42 src0_sel:BYTE_1 src1_sel:DWORD
	v_mov_b32_e32 v58, v62
	s_and_saveexec_b64 s[34:35], s[36:37]
	s_cbranch_execz .LBB215_548
; %bb.545:                              ;   in Loop: Header=BB215_9 Depth=1
	buffer_load_dword v57, off, s[48:51], 0 ; 4-byte Folded Reload
	buffer_load_dword v58, off, s[48:51], 0 offset:4 ; 4-byte Folded Reload
	v_and_b32_sdwa v0, v3, s43 dst_sel:DWORD dst_unused:UNUSED_PAD src0_sel:BYTE_1 src1_sel:DWORD
	v_cmp_ne_u32_e32 vcc, s43, v0
	s_waitcnt vmcnt(1)
	v_mov_b32_e32 v57, v61
	s_waitcnt vmcnt(0)
	v_mov_b32_e32 v5, v58
	buffer_store_dword v4, off, s[48:51], 0 ; 4-byte Folded Spill
	s_nop 0
	buffer_store_dword v5, off, s[48:51], 0 offset:4 ; 4-byte Folded Spill
	s_and_saveexec_b64 s[36:37], vcc
	s_cbranch_execz .LBB215_547
; %bb.546:                              ;   in Loop: Header=BB215_9 Depth=1
	v_mov_b32_e32 v5, 7
	v_and_b32_sdwa v5, v3, v5 dst_sel:DWORD dst_unused:UNUSED_PAD src0_sel:BYTE_1 src1_sel:DWORD
	v_lshrrev_b32_e32 v8, 3, v0
	v_cmp_gt_u32_e32 vcc, 8, v0
	v_ffbh_u32_e32 v0, v5
	v_min_u32_e32 v0, 32, v0
	v_mov_b32_e32 v6, v61
	v_subrev_u32_e32 v7, 28, v0
	v_lshlrev_b64 v[6:7], v7, v[5:6]
	v_sub_u32_e32 v0, 29, v0
	v_and_b32_e32 v6, 7, v6
	v_cndmask_b32_e32 v0, v8, v0, vcc
	v_cndmask_b32_e32 v5, v5, v6, vcc
	v_bfrev_b32_e32 v6, 60
	v_lshlrev_b32_e32 v3, 16, v3
	v_lshl_add_u32 v0, v0, 23, v6
	v_and_or_b32 v0, v3, s44, v0
	v_lshlrev_b32_e32 v3, 20, v5
	v_or_b32_e32 v58, v0, v3
	v_mov_b32_e32 v57, v61
.LBB215_547:                            ;   in Loop: Header=BB215_9 Depth=1
	s_or_b64 exec, exec, s[36:37]
.LBB215_548:                            ;   in Loop: Header=BB215_9 Depth=1
	s_or_b64 exec, exec, s[34:35]
.LBB215_549:                            ;   in Loop: Header=BB215_9 Depth=1
	s_or_b64 exec, exec, s[16:17]
	buffer_load_dword v0, off, s[48:51], 0 offset:12 ; 4-byte Folded Reload
	v_mov_b32_e32 v55, 0
	v_mov_b32_e32 v56, 0
	s_waitcnt vmcnt(0)
	v_add_co_u32_e32 v5, vcc, v4, v0
	v_addc_co_u32_e32 v6, vcc, 0, v9, vcc
	global_load_ushort v0, v[5:6], off
	v_mov_b32_e32 v5, 0
	v_mov_b32_e32 v6, 0
	s_waitcnt vmcnt(0)
	v_and_b32_e32 v3, 0xffff, v0
	v_cmp_ne_u16_sdwa s[34:35], v0, v61 src0_sel:BYTE_0 src1_sel:DWORD
	s_and_saveexec_b64 s[16:17], s[34:35]
	s_cbranch_execz .LBB215_555
; %bb.550:                              ;   in Loop: Header=BB215_9 Depth=1
	v_bfrev_b32_e32 v5, 1
	v_mov_b32_e32 v6, 0
	v_cmp_ne_u16_sdwa s[36:37], v3, s42 src0_sel:BYTE_0 src1_sel:DWORD
	s_and_saveexec_b64 s[34:35], s[36:37]
	s_cbranch_execz .LBB215_554
; %bb.551:                              ;   in Loop: Header=BB215_9 Depth=1
	v_and_b32_e32 v0, 0x7f, v3
	v_mov_b32_e32 v5, 0x7f800001
	v_mov_b32_e32 v6, 0
	v_cmp_ne_u32_e32 vcc, s43, v0
	s_and_saveexec_b64 s[36:37], vcc
	s_cbranch_execz .LBB215_553
; %bb.552:                              ;   in Loop: Header=BB215_9 Depth=1
	v_and_b32_e32 v7, 7, v3
	v_lshrrev_b32_e32 v8, 3, v0
	v_cmp_gt_u32_e32 vcc, 8, v0
	v_ffbh_u32_e32 v0, v7
	v_min_u32_e32 v0, 32, v0
	v_subrev_u32_e32 v5, 28, v0
	v_lshlrev_b64 v[5:6], v5, v[3:4]
	v_sub_u32_e32 v0, 29, v0
	v_and_b32_e32 v5, 7, v5
	v_cndmask_b32_e32 v0, v8, v0, vcc
	v_cndmask_b32_e32 v5, v7, v5, vcc
	v_bfrev_b32_e32 v7, 60
	v_lshlrev_b32_e32 v5, 20, v5
	v_and_b32_sdwa v6, sext(v3), s44 dst_sel:DWORD dst_unused:UNUSED_PAD src0_sel:BYTE_0 src1_sel:DWORD
	v_lshl_add_u32 v0, v0, 23, v7
	v_or3_b32 v5, v6, v0, v5
	v_mov_b32_e32 v6, v61
.LBB215_553:                            ;   in Loop: Header=BB215_9 Depth=1
	s_or_b64 exec, exec, s[36:37]
.LBB215_554:                            ;   in Loop: Header=BB215_9 Depth=1
	s_or_b64 exec, exec, s[34:35]
.LBB215_555:                            ;   in Loop: Header=BB215_9 Depth=1
	s_or_b64 exec, exec, s[16:17]
	v_cmp_ne_u16_sdwa s[34:35], v3, v61 src0_sel:BYTE_1 src1_sel:DWORD
	s_and_saveexec_b64 s[16:17], s[34:35]
	s_cbranch_execz .LBB215_561
; %bb.556:                              ;   in Loop: Header=BB215_9 Depth=1
	v_mov_b32_e32 v55, v61
	v_cmp_ne_u16_sdwa s[36:37], v3, s42 src0_sel:BYTE_1 src1_sel:DWORD
	v_mov_b32_e32 v56, v62
	s_and_saveexec_b64 s[34:35], s[36:37]
	s_cbranch_execz .LBB215_560
; %bb.557:                              ;   in Loop: Header=BB215_9 Depth=1
	buffer_load_dword v55, off, s[48:51], 0 ; 4-byte Folded Reload
	buffer_load_dword v56, off, s[48:51], 0 offset:4 ; 4-byte Folded Reload
	v_and_b32_sdwa v0, v3, s43 dst_sel:DWORD dst_unused:UNUSED_PAD src0_sel:BYTE_1 src1_sel:DWORD
	v_cmp_ne_u32_e32 vcc, s43, v0
	s_waitcnt vmcnt(1)
	v_mov_b32_e32 v55, v61
	s_waitcnt vmcnt(0)
	v_mov_b32_e32 v7, v56
	buffer_store_dword v6, off, s[48:51], 0 ; 4-byte Folded Spill
	s_nop 0
	buffer_store_dword v7, off, s[48:51], 0 offset:4 ; 4-byte Folded Spill
	s_and_saveexec_b64 s[36:37], vcc
	s_cbranch_execz .LBB215_559
; %bb.558:                              ;   in Loop: Header=BB215_9 Depth=1
	v_mov_b32_e32 v7, 7
	v_and_b32_sdwa v7, v3, v7 dst_sel:DWORD dst_unused:UNUSED_PAD src0_sel:BYTE_1 src1_sel:DWORD
	v_lshrrev_b32_e32 v14, 3, v0
	v_cmp_gt_u32_e32 vcc, 8, v0
	v_ffbh_u32_e32 v0, v7
	v_min_u32_e32 v0, 32, v0
	v_mov_b32_e32 v38, v11
	v_mov_b32_e32 v8, v61
	;; [unrolled: 1-line block ×3, first 2 shown]
	v_subrev_u32_e32 v10, 28, v0
	v_lshlrev_b64 v[10:11], v10, v[7:8]
	v_sub_u32_e32 v0, 29, v0
	v_and_b32_e32 v8, 7, v10
	v_cndmask_b32_e32 v0, v14, v0, vcc
	v_cndmask_b32_e32 v7, v7, v8, vcc
	v_bfrev_b32_e32 v8, 60
	v_lshlrev_b32_e32 v3, 16, v3
	v_lshl_add_u32 v0, v0, 23, v8
	v_mov_b32_e32 v10, v37
	v_and_or_b32 v0, v3, s44, v0
	v_lshlrev_b32_e32 v3, 20, v7
	v_mov_b32_e32 v11, v38
	v_or_b32_e32 v56, v0, v3
	v_mov_b32_e32 v55, v61
.LBB215_559:                            ;   in Loop: Header=BB215_9 Depth=1
	s_or_b64 exec, exec, s[36:37]
.LBB215_560:                            ;   in Loop: Header=BB215_9 Depth=1
	s_or_b64 exec, exec, s[34:35]
.LBB215_561:                            ;   in Loop: Header=BB215_9 Depth=1
	s_or_b64 exec, exec, s[16:17]
	buffer_load_dword v0, off, s[48:51], 0 offset:16 ; 4-byte Folded Reload
	v_mov_b32_e32 v37, 0
	v_mov_b32_e32 v38, 0
	s_waitcnt vmcnt(0)
	v_add_co_u32_e32 v7, vcc, v4, v0
	v_addc_co_u32_e32 v8, vcc, 0, v9, vcc
	global_load_ushort v0, v[7:8], off
	v_mov_b32_e32 v7, 0
	v_mov_b32_e32 v8, 0
	s_waitcnt vmcnt(0)
	v_and_b32_e32 v3, 0xffff, v0
	v_cmp_ne_u16_sdwa s[34:35], v0, v61 src0_sel:BYTE_0 src1_sel:DWORD
	s_and_saveexec_b64 s[16:17], s[34:35]
	s_cbranch_execz .LBB215_567
; %bb.562:                              ;   in Loop: Header=BB215_9 Depth=1
	v_bfrev_b32_e32 v37, 1
	v_mov_b32_e32 v38, 0
	v_cmp_ne_u16_sdwa s[36:37], v3, s42 src0_sel:BYTE_0 src1_sel:DWORD
	s_and_saveexec_b64 s[34:35], s[36:37]
	s_cbranch_execz .LBB215_566
; %bb.563:                              ;   in Loop: Header=BB215_9 Depth=1
	v_and_b32_e32 v0, 0x7f, v3
	v_mov_b32_e32 v37, 0x7f800001
	v_mov_b32_e32 v38, 0
	v_cmp_ne_u32_e32 vcc, s43, v0
	s_and_saveexec_b64 s[36:37], vcc
	s_cbranch_execz .LBB215_565
; %bb.564:                              ;   in Loop: Header=BB215_9 Depth=1
	v_and_b32_e32 v14, 7, v3
	v_lshrrev_b32_e32 v37, 3, v0
	v_cmp_gt_u32_e32 vcc, 8, v0
	v_ffbh_u32_e32 v0, v14
	v_min_u32_e32 v0, 32, v0
	v_mov_b32_e32 v44, v11
	v_mov_b32_e32 v43, v10
	v_subrev_u32_e32 v10, 28, v0
	v_lshlrev_b64 v[10:11], v10, v[3:4]
	v_sub_u32_e32 v0, 29, v0
	v_and_b32_e32 v10, 7, v10
	v_cndmask_b32_e32 v0, v37, v0, vcc
	v_cndmask_b32_e32 v10, v14, v10, vcc
	v_bfrev_b32_e32 v14, 60
	v_lshlrev_b32_e32 v10, 20, v10
	v_and_b32_sdwa v11, sext(v3), s44 dst_sel:DWORD dst_unused:UNUSED_PAD src0_sel:BYTE_0 src1_sel:DWORD
	v_lshl_add_u32 v0, v0, 23, v14
	v_or3_b32 v37, v11, v0, v10
	v_mov_b32_e32 v10, v43
	v_mov_b32_e32 v11, v44
	;; [unrolled: 1-line block ×3, first 2 shown]
.LBB215_565:                            ;   in Loop: Header=BB215_9 Depth=1
	s_or_b64 exec, exec, s[36:37]
.LBB215_566:                            ;   in Loop: Header=BB215_9 Depth=1
	s_or_b64 exec, exec, s[34:35]
.LBB215_567:                            ;   in Loop: Header=BB215_9 Depth=1
	s_or_b64 exec, exec, s[16:17]
	v_cmp_ne_u16_sdwa s[34:35], v3, v61 src0_sel:BYTE_1 src1_sel:DWORD
	s_and_saveexec_b64 s[16:17], s[34:35]
	s_cbranch_execz .LBB215_573
; %bb.568:                              ;   in Loop: Header=BB215_9 Depth=1
	v_mov_b32_e32 v7, v61
	v_cmp_ne_u16_sdwa s[36:37], v3, s42 src0_sel:BYTE_1 src1_sel:DWORD
	v_mov_b32_e32 v8, v62
	s_and_saveexec_b64 s[34:35], s[36:37]
	s_cbranch_execz .LBB215_572
; %bb.569:                              ;   in Loop: Header=BB215_9 Depth=1
	buffer_load_dword v7, off, s[48:51], 0  ; 4-byte Folded Reload
	buffer_load_dword v8, off, s[48:51], 0 offset:4 ; 4-byte Folded Reload
	v_mov_b32_e32 v44, v11
	v_and_b32_sdwa v0, v3, s43 dst_sel:DWORD dst_unused:UNUSED_PAD src0_sel:BYTE_1 src1_sel:DWORD
	v_mov_b32_e32 v43, v10
	v_cmp_ne_u32_e32 vcc, s43, v0
	s_waitcnt vmcnt(1)
	v_mov_b32_e32 v7, v61
	s_waitcnt vmcnt(0)
	v_mov_b32_e32 v10, v8
	buffer_store_dword v9, off, s[48:51], 0 ; 4-byte Folded Spill
	s_nop 0
	buffer_store_dword v10, off, s[48:51], 0 offset:4 ; 4-byte Folded Spill
	s_and_saveexec_b64 s[36:37], vcc
	s_cbranch_execz .LBB215_571
; %bb.570:                              ;   in Loop: Header=BB215_9 Depth=1
	v_mov_b32_e32 v7, 7
	v_and_b32_sdwa v7, v3, v7 dst_sel:DWORD dst_unused:UNUSED_PAD src0_sel:BYTE_1 src1_sel:DWORD
	v_lshrrev_b32_e32 v14, 3, v0
	v_cmp_gt_u32_e32 vcc, 8, v0
	v_ffbh_u32_e32 v0, v7
	v_min_u32_e32 v0, 32, v0
	v_mov_b32_e32 v8, v61
	v_subrev_u32_e32 v10, 28, v0
	v_lshlrev_b64 v[10:11], v10, v[7:8]
	v_sub_u32_e32 v0, 29, v0
	v_and_b32_e32 v8, 7, v10
	v_cndmask_b32_e32 v0, v14, v0, vcc
	v_cndmask_b32_e32 v7, v7, v8, vcc
	v_bfrev_b32_e32 v8, 60
	v_lshlrev_b32_e32 v3, 16, v3
	v_lshl_add_u32 v0, v0, 23, v8
	v_and_or_b32 v0, v3, s44, v0
	v_lshlrev_b32_e32 v3, 20, v7
	v_or_b32_e32 v8, v0, v3
	v_mov_b32_e32 v7, v61
.LBB215_571:                            ;   in Loop: Header=BB215_9 Depth=1
	s_or_b64 exec, exec, s[36:37]
	v_mov_b32_e32 v10, v43
	v_mov_b32_e32 v11, v44
.LBB215_572:                            ;   in Loop: Header=BB215_9 Depth=1
	s_or_b64 exec, exec, s[34:35]
.LBB215_573:                            ;   in Loop: Header=BB215_9 Depth=1
	s_or_b64 exec, exec, s[16:17]
	buffer_load_dword v0, off, s[48:51], 0 offset:20 ; 4-byte Folded Reload
	v_mov_b32_e32 v59, 0
	v_mov_b32_e32 v50, 0
	;; [unrolled: 1-line block ×4, first 2 shown]
	s_waitcnt vmcnt(0)
	v_add_co_u32_e32 v3, vcc, v4, v0
	v_addc_co_u32_e32 v4, vcc, 0, v9, vcc
	global_load_ushort v0, v[3:4], off
	s_waitcnt vmcnt(0)
	v_and_b32_e32 v9, 0xffff, v0
	v_cmp_ne_u16_sdwa s[34:35], v0, v61 src0_sel:BYTE_0 src1_sel:DWORD
	s_and_saveexec_b64 s[16:17], s[34:35]
	s_cbranch_execz .LBB215_579
; %bb.574:                              ;   in Loop: Header=BB215_9 Depth=1
	v_bfrev_b32_e32 v50, 1
	v_mov_b32_e32 v51, 0
	v_cmp_ne_u16_sdwa s[36:37], v9, s42 src0_sel:BYTE_0 src1_sel:DWORD
	s_and_saveexec_b64 s[34:35], s[36:37]
	s_cbranch_execz .LBB215_578
; %bb.575:                              ;   in Loop: Header=BB215_9 Depth=1
	v_and_b32_e32 v0, 0x7f, v9
	v_mov_b32_e32 v50, 0x7f800001
	v_mov_b32_e32 v51, 0
	v_cmp_ne_u32_e32 vcc, s43, v0
	s_and_saveexec_b64 s[36:37], vcc
	s_cbranch_execz .LBB215_577
; %bb.576:                              ;   in Loop: Header=BB215_9 Depth=1
	v_mov_b32_e32 v44, v11
	v_mov_b32_e32 v43, v10
	v_and_b32_e32 v10, 7, v9
	v_lshrrev_b32_e32 v11, 3, v0
	v_cmp_gt_u32_e32 vcc, 8, v0
	v_ffbh_u32_e32 v0, v10
	v_min_u32_e32 v0, 32, v0
	v_subrev_u32_e32 v3, 28, v0
	v_lshlrev_b64 v[3:4], v3, v[9:10]
	v_sub_u32_e32 v0, 29, v0
	v_and_b32_e32 v3, 7, v3
	v_cndmask_b32_e32 v0, v11, v0, vcc
	v_cndmask_b32_e32 v3, v10, v3, vcc
	v_bfrev_b32_e32 v10, 60
	v_lshlrev_b32_e32 v3, 20, v3
	v_and_b32_sdwa v4, sext(v9), s44 dst_sel:DWORD dst_unused:UNUSED_PAD src0_sel:BYTE_0 src1_sel:DWORD
	v_lshl_add_u32 v0, v0, 23, v10
	v_mov_b32_e32 v10, v43
	v_mov_b32_e32 v11, v44
	v_or3_b32 v50, v4, v0, v3
	v_mov_b32_e32 v51, v61
.LBB215_577:                            ;   in Loop: Header=BB215_9 Depth=1
	s_or_b64 exec, exec, s[36:37]
.LBB215_578:                            ;   in Loop: Header=BB215_9 Depth=1
	s_or_b64 exec, exec, s[34:35]
.LBB215_579:                            ;   in Loop: Header=BB215_9 Depth=1
	s_or_b64 exec, exec, s[16:17]
	v_mov_b32_e32 v45, v42
	v_mov_b32_e32 v44, v41
	v_cmp_ne_u16_sdwa s[34:35], v9, v61 src0_sel:BYTE_1 src1_sel:DWORD
	s_and_saveexec_b64 s[16:17], s[34:35]
	s_cbranch_execz .LBB215_585
; %bb.580:                              ;   in Loop: Header=BB215_9 Depth=1
	v_mov_b32_e32 v59, v61
	v_cmp_ne_u16_sdwa s[36:37], v9, s42 src0_sel:BYTE_1 src1_sel:DWORD
	v_mov_b32_e32 v60, v62
	s_and_saveexec_b64 s[34:35], s[36:37]
	s_cbranch_execz .LBB215_584
; %bb.581:                              ;   in Loop: Header=BB215_9 Depth=1
	buffer_load_dword v59, off, s[48:51], 0 ; 4-byte Folded Reload
	buffer_load_dword v60, off, s[48:51], 0 offset:4 ; 4-byte Folded Reload
	v_and_b32_sdwa v0, v9, s43 dst_sel:DWORD dst_unused:UNUSED_PAD src0_sel:BYTE_1 src1_sel:DWORD
	v_cmp_ne_u32_e32 vcc, s43, v0
	s_waitcnt vmcnt(1)
	v_mov_b32_e32 v59, v61
	s_waitcnt vmcnt(0)
	v_mov_b32_e32 v3, v60
	buffer_store_dword v2, off, s[48:51], 0 ; 4-byte Folded Spill
	s_nop 0
	buffer_store_dword v3, off, s[48:51], 0 offset:4 ; 4-byte Folded Spill
	s_and_saveexec_b64 s[36:37], vcc
	s_cbranch_execz .LBB215_583
; %bb.582:                              ;   in Loop: Header=BB215_9 Depth=1
	v_mov_b32_e32 v3, 7
	v_mov_b32_e32 v60, v11
	;; [unrolled: 1-line block ×3, first 2 shown]
	v_and_b32_sdwa v10, v9, v3 dst_sel:DWORD dst_unused:UNUSED_PAD src0_sel:BYTE_1 src1_sel:DWORD
	v_lshrrev_b32_e32 v14, 3, v0
	v_cmp_gt_u32_e32 vcc, 8, v0
	v_ffbh_u32_e32 v0, v10
	v_min_u32_e32 v0, 32, v0
	v_mov_b32_e32 v11, v61
	v_subrev_u32_e32 v41, 28, v0
	v_lshlrev_b64 v[41:42], v41, v[10:11]
	v_sub_u32_e32 v0, 29, v0
	v_and_b32_e32 v11, 7, v41
	v_cndmask_b32_e32 v0, v14, v0, vcc
	v_bfrev_b32_e32 v3, 60
	v_cndmask_b32_e32 v10, v10, v11, vcc
	v_lshlrev_b32_e32 v9, 16, v9
	v_lshl_add_u32 v0, v0, 23, v3
	v_and_or_b32 v0, v9, s44, v0
	v_lshlrev_b32_e32 v9, 20, v10
	v_mov_b32_e32 v10, v59
	v_mov_b32_e32 v11, v60
	v_or_b32_e32 v60, v0, v9
	v_mov_b32_e32 v59, v61
.LBB215_583:                            ;   in Loop: Header=BB215_9 Depth=1
	s_or_b64 exec, exec, s[36:37]
.LBB215_584:                            ;   in Loop: Header=BB215_9 Depth=1
	s_or_b64 exec, exec, s[34:35]
.LBB215_585:                            ;   in Loop: Header=BB215_9 Depth=1
	s_or_b64 exec, exec, s[16:17]
	v_or_b32_e32 v0, v8, v38
	buffer_store_dword v0, off, s[48:51], 0 offset:620 ; 4-byte Folded Spill
	v_or_b32_e32 v0, v7, v37
	buffer_store_dword v0, off, s[48:51], 0 offset:624 ; 4-byte Folded Spill
	v_or_b32_e32 v0, v56, v6
	buffer_store_dword v0, off, s[48:51], 0 offset:628 ; 4-byte Folded Spill
	v_or_b32_e32 v0, v55, v5
	buffer_store_dword v0, off, s[48:51], 0 offset:632 ; 4-byte Folded Spill
	v_or_b32_e32 v0, v58, v2
	buffer_store_dword v0, off, s[48:51], 0 offset:636 ; 4-byte Folded Spill
	v_or_b32_e32 v0, v57, v1
	buffer_store_dword v0, off, s[48:51], 0 offset:640 ; 4-byte Folded Spill
	v_or_b32_e32 v0, v18, v54
	buffer_store_dword v0, off, s[48:51], 0 offset:644 ; 4-byte Folded Spill
	v_or_b32_e32 v0, v17, v53
	buffer_store_dword v0, off, s[48:51], 0 offset:648 ; 4-byte Folded Spill
	v_or_b32_e32 v0, v26, v48
	buffer_store_dword v0, off, s[48:51], 0 offset:652 ; 4-byte Folded Spill
	v_or_b32_e32 v0, v25, v47
	buffer_store_dword v0, off, s[48:51], 0 offset:656 ; 4-byte Folded Spill
	v_or_b32_e32 v0, v40, v22
	buffer_store_dword v0, off, s[48:51], 0 offset:660 ; 4-byte Folded Spill
	v_or_b32_e32 v0, v39, v21
	buffer_store_dword v0, off, s[48:51], 0 offset:664 ; 4-byte Folded Spill
	v_or_b32_e32 v0, v36, v13
	buffer_store_dword v0, off, s[48:51], 0 offset:668 ; 4-byte Folded Spill
	v_or_b32_e32 v0, v35, v12
	buffer_store_dword v0, off, s[48:51], 0 offset:672 ; 4-byte Folded Spill
	v_or_b32_e32 v0, v32, v16
	buffer_store_dword v0, off, s[48:51], 0 offset:676 ; 4-byte Folded Spill
	v_or_b32_e32 v0, v31, v15
	buffer_store_dword v0, off, s[48:51], 0 offset:680 ; 4-byte Folded Spill
	v_or_b32_e32 v0, v28, v34
	buffer_store_dword v0, off, s[48:51], 0 offset:684 ; 4-byte Folded Spill
	v_or_b32_e32 v0, v27, v33
	buffer_store_dword v0, off, s[48:51], 0 offset:688 ; 4-byte Folded Spill
	v_or_b32_e32 v0, v24, v30
	buffer_store_dword v0, off, s[48:51], 0 offset:692 ; 4-byte Folded Spill
	v_or_b32_e32 v0, v23, v29
	buffer_store_dword v0, off, s[48:51], 0 offset:696 ; 4-byte Folded Spill
	buffer_load_dword v0, off, s[48:51], 0 offset:588 ; 4-byte Folded Reload
	s_nop 0
	buffer_load_dword v1, off, s[48:51], 0 offset:592 ; 4-byte Folded Reload
	v_or_b32_e32 v59, v59, v50
	v_or_b32_e32 v60, v60, v51
	s_waitcnt vmcnt(1)
	v_or_b32_e32 v0, v19, v0
	s_waitcnt vmcnt(0)
	v_or_b32_e32 v1, v20, v1
	buffer_store_dword v1, off, s[48:51], 0 offset:700 ; 4-byte Folded Spill
	buffer_store_dword v0, off, s[48:51], 0 offset:588 ; 4-byte Folded Spill
	buffer_load_dword v0, off, s[48:51], 0 offset:572 ; 4-byte Folded Reload
	s_nop 0
	buffer_load_dword v1, off, s[48:51], 0 offset:576 ; 4-byte Folded Reload
	buffer_load_dword v2, off, s[48:51], 0 offset:580 ; 4-byte Folded Reload
	buffer_load_dword v3, off, s[48:51], 0 offset:584 ; 4-byte Folded Reload
	s_waitcnt vmcnt(1)
	v_or_b32_e32 v0, v2, v0
	s_waitcnt vmcnt(0)
	v_or_b32_e32 v1, v3, v1
	buffer_store_dword v1, off, s[48:51], 0 offset:704 ; 4-byte Folded Spill
	buffer_store_dword v0, off, s[48:51], 0 offset:572 ; 4-byte Folded Spill
	buffer_load_dword v0, off, s[48:51], 0 offset:556 ; 4-byte Folded Reload
	s_nop 0
	buffer_load_dword v1, off, s[48:51], 0 offset:560 ; 4-byte Folded Reload
	buffer_load_dword v2, off, s[48:51], 0 offset:564 ; 4-byte Folded Reload
	buffer_load_dword v3, off, s[48:51], 0 offset:568 ; 4-byte Folded Reload
	;; [unrolled: 11-line block ×8, first 2 shown]
	s_waitcnt vmcnt(1)
	v_or_b32_e32 v41, v2, v0
	s_waitcnt vmcnt(0)
	v_or_b32_e32 v1, v3, v1
	buffer_store_dword v1, off, s[48:51], 0 offset:484 ; 4-byte Folded Spill
	buffer_load_dword v0, off, s[48:51], 0 offset:444 ; 4-byte Folded Reload
	s_nop 0
	buffer_load_dword v1, off, s[48:51], 0 offset:448 ; 4-byte Folded Reload
	buffer_load_dword v2, off, s[48:51], 0 offset:452 ; 4-byte Folded Reload
	;; [unrolled: 1-line block ×3, first 2 shown]
	s_waitcnt vmcnt(1)
	v_or_b32_e32 v37, v2, v0
	s_waitcnt vmcnt(0)
	v_or_b32_e32 v38, v3, v1
	buffer_load_dword v0, off, s[48:51], 0 offset:428 ; 4-byte Folded Reload
	buffer_load_dword v1, off, s[48:51], 0 offset:432 ; 4-byte Folded Reload
	;; [unrolled: 1-line block ×4, first 2 shown]
	s_waitcnt vmcnt(1)
	v_or_b32_e32 v0, v2, v0
	buffer_store_dword v0, off, s[48:51], 0 offset:428 ; 4-byte Folded Spill
	s_waitcnt vmcnt(1)
	v_or_b32_e32 v32, v3, v1
	buffer_load_dword v0, off, s[48:51], 0 offset:412 ; 4-byte Folded Reload
	buffer_load_dword v1, off, s[48:51], 0 offset:416 ; 4-byte Folded Reload
	;; [unrolled: 1-line block ×4, first 2 shown]
	s_waitcnt vmcnt(1)
	v_or_b32_e32 v47, v2, v0
	s_waitcnt vmcnt(0)
	v_or_b32_e32 v1, v3, v1
	buffer_store_dword v1, off, s[48:51], 0 offset:436 ; 4-byte Folded Spill
	buffer_load_dword v0, off, s[48:51], 0 offset:396 ; 4-byte Folded Reload
	s_nop 0
	buffer_load_dword v1, off, s[48:51], 0 offset:400 ; 4-byte Folded Reload
	buffer_load_dword v2, off, s[48:51], 0 offset:404 ; 4-byte Folded Reload
	buffer_load_dword v3, off, s[48:51], 0 offset:408 ; 4-byte Folded Reload
	s_waitcnt vmcnt(1)
	v_or_b32_e32 v52, v2, v0
	s_waitcnt vmcnt(0)
	v_or_b32_e32 v1, v3, v1
	buffer_store_dword v1, off, s[48:51], 0 offset:412 ; 4-byte Folded Spill
	buffer_load_dword v0, off, s[48:51], 0 offset:380 ; 4-byte Folded Reload
	s_nop 0
	buffer_load_dword v1, off, s[48:51], 0 offset:384 ; 4-byte Folded Reload
	buffer_load_dword v2, off, s[48:51], 0 offset:388 ; 4-byte Folded Reload
	buffer_load_dword v3, off, s[48:51], 0 offset:392 ; 4-byte Folded Reload
	s_waitcnt vmcnt(1)
	v_or_b32_e32 v54, v2, v0
	s_waitcnt vmcnt(0)
	v_or_b32_e32 v53, v3, v1
	buffer_load_dword v0, off, s[48:51], 0 offset:364 ; 4-byte Folded Reload
	buffer_load_dword v1, off, s[48:51], 0 offset:368 ; 4-byte Folded Reload
	buffer_load_dword v2, off, s[48:51], 0 offset:372 ; 4-byte Folded Reload
	buffer_load_dword v3, off, s[48:51], 0 offset:376 ; 4-byte Folded Reload
	s_waitcnt vmcnt(1)
	v_or_b32_e32 v56, v2, v0
	s_waitcnt vmcnt(0)
	v_or_b32_e32 v55, v3, v1
	buffer_load_dword v0, off, s[48:51], 0 offset:348 ; 4-byte Folded Reload
	buffer_load_dword v1, off, s[48:51], 0 offset:352 ; 4-byte Folded Reload
	buffer_load_dword v2, off, s[48:51], 0 offset:356 ; 4-byte Folded Reload
	buffer_load_dword v3, off, s[48:51], 0 offset:360 ; 4-byte Folded Reload
	s_waitcnt vmcnt(1)
	v_or_b32_e32 v58, v2, v0
	s_waitcnt vmcnt(0)
	v_or_b32_e32 v57, v3, v1
	buffer_load_dword v0, off, s[48:51], 0 offset:332 ; 4-byte Folded Reload
	buffer_load_dword v1, off, s[48:51], 0 offset:336 ; 4-byte Folded Reload
	buffer_load_dword v2, off, s[48:51], 0 offset:340 ; 4-byte Folded Reload
	buffer_load_dword v3, off, s[48:51], 0 offset:344 ; 4-byte Folded Reload
	s_waitcnt vmcnt(1)
	v_or_b32_e32 v16, v2, v0
	s_waitcnt vmcnt(0)
	v_or_b32_e32 v63, v3, v1
	buffer_load_dword v0, off, s[48:51], 0 offset:316 ; 4-byte Folded Reload
	buffer_load_dword v1, off, s[48:51], 0 offset:320 ; 4-byte Folded Reload
	buffer_load_dword v2, off, s[48:51], 0 offset:324 ; 4-byte Folded Reload
	buffer_load_dword v3, off, s[48:51], 0 offset:328 ; 4-byte Folded Reload
	s_waitcnt vmcnt(1)
	v_or_b32_e32 v14, v2, v0
	s_waitcnt vmcnt(0)
	v_or_b32_e32 v15, v3, v1
	buffer_load_dword v0, off, s[48:51], 0 offset:300 ; 4-byte Folded Reload
	buffer_load_dword v1, off, s[48:51], 0 offset:304 ; 4-byte Folded Reload
	buffer_load_dword v2, off, s[48:51], 0 offset:308 ; 4-byte Folded Reload
	buffer_load_dword v3, off, s[48:51], 0 offset:312 ; 4-byte Folded Reload
	s_waitcnt vmcnt(1)
	v_or_b32_e32 v49, v2, v0
	s_waitcnt vmcnt(0)
	v_or_b32_e32 v48, v3, v1
	buffer_load_dword v0, off, s[48:51], 0 offset:284 ; 4-byte Folded Reload
	buffer_load_dword v1, off, s[48:51], 0 offset:288 ; 4-byte Folded Reload
	buffer_load_dword v2, off, s[48:51], 0 offset:292 ; 4-byte Folded Reload
	buffer_load_dword v3, off, s[48:51], 0 offset:296 ; 4-byte Folded Reload
	s_waitcnt vmcnt(1)
	v_or_b32_e32 v12, v2, v0
	s_waitcnt vmcnt(0)
	v_or_b32_e32 v13, v3, v1
	buffer_load_dword v0, off, s[48:51], 0 offset:276 ; 4-byte Folded Reload
	buffer_load_dword v1, off, s[48:51], 0 offset:280 ; 4-byte Folded Reload
	s_waitcnt vmcnt(1)
	v_or_b32_e32 v10, v0, v10
	s_waitcnt vmcnt(0)
	v_or_b32_e32 v11, v1, v11
	buffer_load_dword v0, off, s[48:51], 0 offset:260 ; 4-byte Folded Reload
	buffer_load_dword v1, off, s[48:51], 0 offset:264 ; 4-byte Folded Reload
	buffer_load_dword v2, off, s[48:51], 0 offset:268 ; 4-byte Folded Reload
	buffer_load_dword v3, off, s[48:51], 0 offset:272 ; 4-byte Folded Reload
	s_waitcnt vmcnt(1)
	v_or_b32_e32 v8, v2, v0
	s_waitcnt vmcnt(0)
	v_or_b32_e32 v9, v3, v1
	buffer_load_dword v0, off, s[48:51], 0 offset:244 ; 4-byte Folded Reload
	buffer_load_dword v1, off, s[48:51], 0 offset:248 ; 4-byte Folded Reload
	buffer_load_dword v2, off, s[48:51], 0 offset:252 ; 4-byte Folded Reload
	;; [unrolled: 8-line block ×3, first 2 shown]
	buffer_load_dword v4, off, s[48:51], 0 offset:240 ; 4-byte Folded Reload
	s_waitcnt vmcnt(0)
	v_or_b32_e32 v2, v4, v1
	v_or_b32_e32 v1, v3, v0
	buffer_load_dword v3, off, s[48:51], 0 offset:212 ; 4-byte Folded Reload
	buffer_load_dword v4, off, s[48:51], 0 offset:216 ; 4-byte Folded Reload
	;; [unrolled: 1-line block ×4, first 2 shown]
	s_waitcnt vmcnt(1)
	v_or_b32_e32 v46, v5, v3
	s_waitcnt vmcnt(0)
	v_or_b32_e32 v0, v6, v4
	buffer_load_dword v3, off, s[48:51], 0 offset:196 ; 4-byte Folded Reload
	buffer_load_dword v4, off, s[48:51], 0 offset:200 ; 4-byte Folded Reload
	;; [unrolled: 1-line block ×4, first 2 shown]
	v_mul_f32_e32 v0, s40, v0
	s_waitcnt vmcnt(1)
	v_or_b32_e32 v34, v5, v3
	s_waitcnt vmcnt(0)
	v_or_b32_e32 v33, v6, v4
	buffer_load_dword v3, off, s[48:51], 0 offset:180 ; 4-byte Folded Reload
	buffer_load_dword v4, off, s[48:51], 0 offset:184 ; 4-byte Folded Reload
	buffer_load_dword v5, off, s[48:51], 0 offset:188 ; 4-byte Folded Reload
	buffer_load_dword v6, off, s[48:51], 0 offset:192 ; 4-byte Folded Reload
	s_waitcnt vmcnt(1)
	v_or_b32_e32 v30, v5, v3
	s_waitcnt vmcnt(0)
	v_or_b32_e32 v29, v6, v4
	buffer_load_dword v3, off, s[48:51], 0 offset:164 ; 4-byte Folded Reload
	buffer_load_dword v4, off, s[48:51], 0 offset:168 ; 4-byte Folded Reload
	buffer_load_dword v5, off, s[48:51], 0 offset:172 ; 4-byte Folded Reload
	buffer_load_dword v6, off, s[48:51], 0 offset:176 ; 4-byte Folded Reload
	;; [unrolled: 8-line block ×5, first 2 shown]
	v_mul_f32_e32 v18, s39, v18
	v_mul_f32_e32 v17, s40, v17
	s_waitcnt vmcnt(1)
	v_or_b32_e32 v40, v5, v3
	s_waitcnt vmcnt(0)
	v_or_b32_e32 v39, v6, v4
	buffer_load_dword v3, off, s[48:51], 0 offset:100 ; 4-byte Folded Reload
	buffer_load_dword v4, off, s[48:51], 0 offset:104 ; 4-byte Folded Reload
	;; [unrolled: 1-line block ×4, first 2 shown]
	s_waitcnt vmcnt(1)
	v_or_b32_e32 v20, v5, v3
	s_waitcnt vmcnt(0)
	v_or_b32_e32 v19, v6, v4
	buffer_load_dword v3, off, s[48:51], 0 offset:84 ; 4-byte Folded Reload
	buffer_load_dword v4, off, s[48:51], 0 offset:88 ; 4-byte Folded Reload
	buffer_load_dword v5, off, s[48:51], 0 offset:92 ; 4-byte Folded Reload
	buffer_load_dword v6, off, s[48:51], 0 offset:96 ; 4-byte Folded Reload
	v_mul_f32_e32 v20, s39, v20
	v_mul_f32_e32 v19, s40, v19
	s_waitcnt vmcnt(1)
	v_or_b32_e32 v24, v5, v3
	s_waitcnt vmcnt(0)
	v_or_b32_e32 v23, v6, v4
	buffer_load_dword v3, off, s[48:51], 0 offset:68 ; 4-byte Folded Reload
	buffer_load_dword v4, off, s[48:51], 0 offset:72 ; 4-byte Folded Reload
	buffer_load_dword v5, off, s[48:51], 0 offset:76 ; 4-byte Folded Reload
	buffer_load_dword v6, off, s[48:51], 0 offset:80 ; 4-byte Folded Reload
	v_mul_f32_e32 v24, s39, v24
	v_mul_f32_e32 v23, s40, v23
	;; [unrolled: 10-line block ×4, first 2 shown]
	s_waitcnt vmcnt(1)
	v_or_b32_e32 v3, v5, v3
	s_waitcnt vmcnt(0)
	v_or_b32_e32 v36, v6, v4
	buffer_load_dword v6, off, s[48:51], 0 offset:28 ; 4-byte Folded Reload
	buffer_load_dword v7, off, s[48:51], 0 offset:32 ; 4-byte Folded Reload
	v_mov_b32_e32 v4, v44
	v_mov_b32_e32 v5, v45
	v_mul_f32_e32 v3, s39, v3
	v_mul_f32_e32 v36, s40, v36
	s_waitcnt vmcnt(1)
	v_or_b32_e32 v45, v6, v4
	s_waitcnt vmcnt(0)
	v_or_b32_e32 v44, v7, v5
	buffer_load_dword v4, off, s[48:51], 0 offset:720 ; 4-byte Folded Reload
	buffer_load_dword v5, off, s[48:51], 0 offset:724 ; 4-byte Folded Reload
	;; [unrolled: 1-line block ×4, first 2 shown]
	v_mul_f32_e32 v45, s39, v45
	v_mul_f32_e32 v44, s40, v44
	s_waitcnt vmcnt(1)
	v_mul_f32_e32 v3, v6, v3
	v_fmac_f32_e32 v3, v4, v45
	s_waitcnt vmcnt(0)
	v_mul_f32_e32 v45, v7, v36
	v_fmac_f32_e32 v45, v5, v44
	buffer_load_dword v4, off, s[48:51], 0 offset:736 ; 4-byte Folded Reload
	buffer_load_dword v5, off, s[48:51], 0 offset:740 ; 4-byte Folded Reload
	;; [unrolled: 1-line block ×4, first 2 shown]
	s_waitcnt vmcnt(3)
	v_fmac_f32_e32 v3, v4, v35
	s_waitcnt vmcnt(2)
	v_fmac_f32_e32 v45, v5, v31
	;; [unrolled: 2-line block ×4, first 2 shown]
	buffer_load_dword v4, off, s[48:51], 0 offset:752 ; 4-byte Folded Reload
	buffer_load_dword v5, off, s[48:51], 0 offset:756 ; 4-byte Folded Reload
	;; [unrolled: 1-line block ×4, first 2 shown]
	s_waitcnt vmcnt(3)
	v_fmac_f32_e32 v3, v4, v24
	s_waitcnt vmcnt(2)
	v_fmac_f32_e32 v45, v5, v23
	;; [unrolled: 2-line block ×4, first 2 shown]
	buffer_load_dword v4, off, s[48:51], 0 offset:768 ; 4-byte Folded Reload
	buffer_load_dword v5, off, s[48:51], 0 offset:772 ; 4-byte Folded Reload
	;; [unrolled: 1-line block ×4, first 2 shown]
	v_mul_f32_e32 v19, s39, v40
	s_waitcnt vmcnt(3)
	v_fmac_f32_e32 v3, v4, v19
	v_mul_f32_e32 v19, s40, v39
	s_waitcnt vmcnt(2)
	v_fmac_f32_e32 v45, v5, v19
	s_waitcnt vmcnt(1)
	v_fmac_f32_e32 v3, v6, v18
	;; [unrolled: 2-line block ×3, first 2 shown]
	buffer_load_dword v4, off, s[48:51], 0 offset:784 ; 4-byte Folded Reload
	buffer_load_dword v5, off, s[48:51], 0 offset:788 ; 4-byte Folded Reload
	buffer_load_dword v6, off, s[48:51], 0 offset:792 ; 4-byte Folded Reload
	buffer_load_dword v7, off, s[48:51], 0 offset:796 ; 4-byte Folded Reload
	v_mul_f32_e32 v17, s39, v22
	s_waitcnt vmcnt(3)
	v_fmac_f32_e32 v3, v4, v17
	v_mul_f32_e32 v17, s40, v21
	s_waitcnt vmcnt(2)
	v_fmac_f32_e32 v45, v5, v17
	;; [unrolled: 3-line block ×4, first 2 shown]
	buffer_load_dword v4, off, s[48:51], 0 offset:800 ; 4-byte Folded Reload
	buffer_load_dword v5, off, s[48:51], 0 offset:804 ; 4-byte Folded Reload
	;; [unrolled: 1-line block ×4, first 2 shown]
	v_mul_f32_e32 v17, s39, v30
	s_waitcnt vmcnt(3)
	v_fmac_f32_e32 v3, v4, v17
	v_mul_f32_e32 v17, s40, v29
	s_waitcnt vmcnt(2)
	v_fmac_f32_e32 v45, v5, v17
	;; [unrolled: 3-line block ×4, first 2 shown]
	buffer_load_dword v17, off, s[48:51], 0 offset:816 ; 4-byte Folded Reload
	buffer_load_dword v18, off, s[48:51], 0 offset:820 ; 4-byte Folded Reload
	;; [unrolled: 1-line block ×4, first 2 shown]
	v_mul_f32_e32 v4, s39, v46
	s_waitcnt vmcnt(3)
	v_fmac_f32_e32 v3, v17, v4
	buffer_load_dword v4, off, s[48:51], 0 offset:832 ; 4-byte Folded Reload
	buffer_load_dword v5, off, s[48:51], 0 offset:836 ; 4-byte Folded Reload
	;; [unrolled: 1-line block ×4, first 2 shown]
	s_waitcnt vmcnt(6)
	v_fmac_f32_e32 v45, v18, v0
	v_mul_f32_e32 v0, s39, v1
	s_waitcnt vmcnt(5)
	v_fmac_f32_e32 v3, v19, v0
	v_mul_f32_e32 v0, s40, v2
	;; [unrolled: 3-line block ×6, first 2 shown]
	s_waitcnt vmcnt(0)
	v_fmac_f32_e32 v45, v7, v0
	buffer_load_dword v4, off, s[48:51], 0 offset:848 ; 4-byte Folded Reload
	buffer_load_dword v5, off, s[48:51], 0 offset:852 ; 4-byte Folded Reload
	buffer_load_dword v6, off, s[48:51], 0 offset:856 ; 4-byte Folded Reload
	buffer_load_dword v7, off, s[48:51], 0 offset:860 ; 4-byte Folded Reload
	v_mul_f32_e32 v0, s39, v10
	s_waitcnt vmcnt(3)
	v_fmac_f32_e32 v3, v4, v0
	v_mul_f32_e32 v0, s40, v11
	s_waitcnt vmcnt(2)
	v_fmac_f32_e32 v45, v5, v0
	v_mul_f32_e32 v0, s39, v12
	s_waitcnt vmcnt(1)
	v_fmac_f32_e32 v3, v6, v0
	v_mul_f32_e32 v0, s40, v13
	s_waitcnt vmcnt(0)
	v_fmac_f32_e32 v45, v7, v0
	buffer_load_dword v4, off, s[48:51], 0 offset:864 ; 4-byte Folded Reload
	buffer_load_dword v5, off, s[48:51], 0 offset:868 ; 4-byte Folded Reload
	buffer_load_dword v6, off, s[48:51], 0 offset:872 ; 4-byte Folded Reload
	buffer_load_dword v7, off, s[48:51], 0 offset:876 ; 4-byte Folded Reload
	v_mul_f32_e32 v0, s39, v49
	s_waitcnt vmcnt(3)
	v_fmac_f32_e32 v3, v4, v0
	v_mul_f32_e32 v0, s40, v48
	s_waitcnt vmcnt(2)
	v_fmac_f32_e32 v45, v5, v0
	v_mul_f32_e32 v0, s39, v14
	s_waitcnt vmcnt(1)
	v_fmac_f32_e32 v3, v6, v0
	v_mul_f32_e32 v0, s40, v15
	;; [unrolled: 16-line block ×4, first 2 shown]
	s_waitcnt vmcnt(0)
	v_fmac_f32_e32 v45, v7, v0
	buffer_load_dword v4, off, s[48:51], 0 offset:912 ; 4-byte Folded Reload
	buffer_load_dword v5, off, s[48:51], 0 offset:916 ; 4-byte Folded Reload
	;; [unrolled: 1-line block ×4, first 2 shown]
	v_mul_f32_e32 v0, s39, v52
	s_waitcnt vmcnt(3)
	v_fmac_f32_e32 v3, v4, v0
	buffer_load_dword v0, off, s[48:51], 0 offset:412 ; 4-byte Folded Reload
	s_waitcnt vmcnt(0)
	v_mul_f32_e32 v0, s40, v0
	v_fmac_f32_e32 v45, v5, v0
	v_mul_f32_e32 v0, s39, v47
	v_fmac_f32_e32 v3, v6, v0
	buffer_load_dword v0, off, s[48:51], 0 offset:436 ; 4-byte Folded Reload
	s_waitcnt vmcnt(0)
	v_mul_f32_e32 v0, s40, v0
	v_fmac_f32_e32 v45, v7, v0
	buffer_load_dword v0, off, s[48:51], 0 offset:428 ; 4-byte Folded Reload
	buffer_load_dword v4, off, s[48:51], 0 offset:932 ; 4-byte Folded Reload
	;; [unrolled: 1-line block ×5, first 2 shown]
	s_waitcnt vmcnt(4)
	v_mul_f32_e32 v0, s39, v0
	s_waitcnt vmcnt(3)
	v_fmac_f32_e32 v3, v4, v0
	v_mul_f32_e32 v0, s40, v32
	s_waitcnt vmcnt(2)
	v_fmac_f32_e32 v45, v5, v0
	;; [unrolled: 3-line block ×4, first 2 shown]
	buffer_load_dword v4, off, s[48:51], 0 offset:948 ; 4-byte Folded Reload
	buffer_load_dword v5, off, s[48:51], 0 offset:952 ; 4-byte Folded Reload
	;; [unrolled: 1-line block ×4, first 2 shown]
	v_mul_f32_e32 v0, s39, v41
	s_waitcnt vmcnt(3)
	v_fmac_f32_e32 v3, v4, v0
	buffer_load_dword v0, off, s[48:51], 0 offset:484 ; 4-byte Folded Reload
	s_waitcnt vmcnt(0)
	v_mul_f32_e32 v0, s40, v0
	v_fmac_f32_e32 v45, v5, v0
	buffer_load_dword v0, off, s[48:51], 0 offset:476 ; 4-byte Folded Reload
	s_waitcnt vmcnt(0)
	v_mul_f32_e32 v0, s39, v0
	v_fmac_f32_e32 v3, v6, v0
	buffer_load_dword v0, off, s[48:51], 0 offset:500 ; 4-byte Folded Reload
	s_waitcnt vmcnt(0)
	v_mul_f32_e32 v0, s40, v0
	v_fmac_f32_e32 v45, v7, v0
	buffer_load_dword v0, off, s[48:51], 0 offset:492 ; 4-byte Folded Reload
	buffer_load_dword v4, off, s[48:51], 0 offset:964 ; 4-byte Folded Reload
	buffer_load_dword v5, off, s[48:51], 0 offset:968 ; 4-byte Folded Reload
	buffer_load_dword v6, off, s[48:51], 0 offset:972 ; 4-byte Folded Reload
	buffer_load_dword v7, off, s[48:51], 0 offset:976 ; 4-byte Folded Reload
	s_waitcnt vmcnt(4)
	v_mul_f32_e32 v0, s39, v0
	s_waitcnt vmcnt(3)
	v_fmac_f32_e32 v3, v4, v0
	buffer_load_dword v0, off, s[48:51], 0 offset:516 ; 4-byte Folded Reload
	s_waitcnt vmcnt(0)
	v_mul_f32_e32 v0, s40, v0
	v_fmac_f32_e32 v45, v5, v0
	buffer_load_dword v0, off, s[48:51], 0 offset:508 ; 4-byte Folded Reload
	s_waitcnt vmcnt(0)
	v_mul_f32_e32 v0, s39, v0
	v_fmac_f32_e32 v3, v6, v0
	buffer_load_dword v0, off, s[48:51], 0 offset:532 ; 4-byte Folded Reload
	s_waitcnt vmcnt(0)
	v_mul_f32_e32 v0, s40, v0
	v_fmac_f32_e32 v45, v7, v0
	buffer_load_dword v0, off, s[48:51], 0 offset:524 ; 4-byte Folded Reload
	buffer_load_dword v4, off, s[48:51], 0 offset:980 ; 4-byte Folded Reload
	buffer_load_dword v5, off, s[48:51], 0 offset:984 ; 4-byte Folded Reload
	buffer_load_dword v6, off, s[48:51], 0 offset:988 ; 4-byte Folded Reload
	buffer_load_dword v7, off, s[48:51], 0 offset:992 ; 4-byte Folded Reload
	s_waitcnt vmcnt(4)
	;; [unrolled: 21-line block ×8, first 2 shown]
	v_mul_f32_e32 v0, s39, v0
	s_waitcnt vmcnt(3)
	v_fmac_f32_e32 v3, v4, v0
	buffer_load_dword v0, off, s[48:51], 0 offset:636 ; 4-byte Folded Reload
	s_waitcnt vmcnt(0)
	v_mul_f32_e32 v0, s40, v0
	v_fmac_f32_e32 v45, v5, v0
	buffer_load_dword v0, off, s[48:51], 0 offset:632 ; 4-byte Folded Reload
	s_waitcnt vmcnt(0)
	v_mul_f32_e32 v0, s39, v0
	;; [unrolled: 4-line block ×3, first 2 shown]
	v_fmac_f32_e32 v45, v7, v0
	buffer_load_dword v0, off, s[48:51], 0 offset:624 ; 4-byte Folded Reload
	buffer_load_dword v4, off, s[48:51], 0 offset:1092 ; 4-byte Folded Reload
	;; [unrolled: 1-line block ×6, first 2 shown]
	s_waitcnt vmcnt(5)
	v_mul_f32_e32 v0, s39, v0
	s_waitcnt vmcnt(4)
	v_fmac_f32_e32 v3, v4, v0
	buffer_load_dword v0, off, s[48:51], 0 offset:620 ; 4-byte Folded Reload
	s_waitcnt vmcnt(0)
	v_mul_f32_e32 v0, s40, v0
	v_fmac_f32_e32 v45, v5, v0
	v_mul_f32_e32 v0, s39, v59
	v_fmac_f32_e32 v3, v6, v0
	;; [unrolled: 2-line block ×3, first 2 shown]
	v_add_f32_e32 v0, v3, v45
	ds_bpermute_b32 v1, v1, v0
	s_mov_b64 s[16:17], exec
	buffer_load_dword v5, off, s[48:51], 0 offset:616 ; 4-byte Folded Reload
	s_and_b64 s[34:35], s[16:17], s[2:3]
	s_mov_b64 exec, s[34:35]
	s_cbranch_execz .LBB215_8
; %bb.586:                              ;   in Loop: Header=BB215_9 Depth=1
	buffer_load_dword v4, off, s[48:51], 0 offset:596 ; 4-byte Folded Reload
	buffer_load_dword v3, off, s[48:51], 0 offset:708 ; 4-byte Folded Reload
	s_waitcnt lgkmcnt(0)
	v_add_f32_e32 v0, v0, v1
	s_waitcnt vmcnt(1)
	v_add_u32_e32 v2, s41, v4
	v_cmp_gt_i32_e32 vcc, s30, v4
	buffer_load_dword v4, off, s[48:51], 0 offset:600 ; 4-byte Folded Reload
	v_cvt_f32_i32_e32 v2, v2
	s_waitcnt vmcnt(1)
	v_max_f32_e32 v1, v3, v3
	v_mul_f32_e32 v2, s33, v2
	v_cndmask_b32_e64 v2, 0, v2, s[4:5]
	v_fmac_f32_e32 v2, s31, v0
	v_cndmask_b32_e32 v0, 0, v2, vcc
	s_waitcnt vmcnt(0)
	ds_write_b32 v4, v0
	v_max_f32_e32 v0, v1, v2
	v_cndmask_b32_e32 v3, v3, v0, vcc
	buffer_store_dword v3, off, s[48:51], 0 offset:708 ; 4-byte Folded Spill
	s_branch .LBB215_8
.LBB215_587:
	s_or_b64 exec, exec, s[14:15]
	buffer_load_dword v10, off, s[48:51], 0 offset:1112 ; 4-byte Folded Reload
	buffer_load_dword v11, off, s[48:51], 0 offset:1116 ; 4-byte Folded Reload
	;; [unrolled: 1-line block ×6, first 2 shown]
.LBB215_588:
	s_or_b64 exec, exec, s[6:7]
	s_waitcnt vmcnt(3)
	v_xor_b32_e32 v0, 32, v12
	s_waitcnt vmcnt(1)
	v_cmp_lt_i32_e32 vcc, v0, v8
	v_cndmask_b32_e32 v0, v12, v0, vcc
	v_lshlrev_b32_e32 v0, 2, v0
	s_waitcnt vmcnt(0)
	ds_bpermute_b32 v1, v0, v3
	v_max_f32_e32 v2, v3, v3
	v_xor_b32_e32 v3, 16, v12
	v_cmp_lt_i32_e32 vcc, v3, v8
	v_xor_b32_e32 v4, 8, v12
	s_waitcnt lgkmcnt(0)
	v_max_f32_e32 v1, v1, v1
	v_max_f32_e32 v2, v2, v1
	v_cndmask_b32_e32 v1, v12, v3, vcc
	v_lshlrev_b32_e32 v1, 2, v1
	ds_bpermute_b32 v3, v1, v2
	v_cmp_lt_i32_e32 vcc, v4, v8
	v_xor_b32_e32 v5, 4, v12
	s_waitcnt lgkmcnt(0)
	v_max_f32_e32 v3, v3, v3
	v_max_f32_e32 v3, v2, v3
	v_cndmask_b32_e32 v2, v12, v4, vcc
	v_lshlrev_b32_e32 v2, 2, v2
	ds_bpermute_b32 v4, v2, v3
	v_cmp_lt_i32_e32 vcc, v5, v8
	s_waitcnt lgkmcnt(0)
	v_max_f32_e32 v4, v4, v4
	v_max_f32_e32 v3, v3, v4
	v_cndmask_b32_e32 v4, v12, v5, vcc
	v_lshlrev_b32_e32 v25, 2, v4
	ds_bpermute_b32 v4, v25, v3
	v_xor_b32_e32 v5, 2, v12
	v_cmp_lt_i32_e32 vcc, v5, v8
	s_waitcnt lgkmcnt(0)
	v_max_f32_e32 v4, v4, v4
	v_max_f32_e32 v4, v3, v4
	v_cndmask_b32_e32 v3, v12, v5, vcc
	v_lshlrev_b32_e32 v28, 2, v3
	buffer_load_dword v3, off, s[48:51], 0 offset:1108 ; 4-byte Folded Reload
	ds_bpermute_b32 v5, v28, v4
	s_waitcnt vmcnt(0)
	v_and_b32_e32 v30, 63, v3
	buffer_load_dword v3, off, s[48:51], 0 offset:24 ; 4-byte Folded Reload
	v_cmp_eq_u32_e32 vcc, 0, v30
	s_waitcnt vmcnt(0)
	v_lshlrev_b32_e32 v3, 2, v3
	s_and_saveexec_b64 s[2:3], vcc
	s_cbranch_execz .LBB215_590
; %bb.589:
	s_waitcnt lgkmcnt(0)
	v_max_f32_e32 v5, v5, v5
	v_max_f32_e32 v4, v4, v4
	;; [unrolled: 1-line block ×3, first 2 shown]
	ds_write_b32 v3, v4 offset:768
.LBB215_590:
	s_or_b64 exec, exec, s[2:3]
	v_cmp_gt_u32_e64 s[2:3], 2, v30
	s_waitcnt lgkmcnt(0)
	v_mov_b32_e32 v5, 0xff7fffff
	v_lshlrev_b32_e32 v4, 2, v30
	s_barrier
	s_and_saveexec_b64 s[4:5], s[2:3]
; %bb.591:
	ds_read_b32 v5, v4 offset:768
; %bb.592:
	s_or_b64 exec, exec, s[4:5]
	v_xor_b32_e32 v6, 1, v12
	v_cmp_lt_i32_e64 s[4:5], v6, v8
	v_cndmask_b32_e64 v6, v12, v6, s[4:5]
	v_lshlrev_b32_e32 v31, 2, v6
	s_waitcnt lgkmcnt(0)
	ds_bpermute_b32 v6, v31, v5
	v_max_f32_e32 v5, v5, v5
	s_lshl_b32 s4, s21, 5
	s_min_i32 s31, s4, s30
	s_waitcnt lgkmcnt(0)
	v_max_f32_e32 v6, v6, v6
	v_max_f32_e32 v5, v5, v6
	v_lshlrev_b32_e32 v6, 2, v7
	ds_bpermute_b32 v6, v6, v5
	buffer_load_dword v5, off, s[48:51], 0 offset:1108 ; 4-byte Folded Reload
	s_waitcnt vmcnt(0)
	v_cmp_gt_i32_e64 s[4:5], s31, v5
	v_mov_b32_e32 v5, 0
	s_and_saveexec_b64 s[14:15], s[4:5]
	s_cbranch_execz .LBB215_596
; %bb.593:
	buffer_load_dword v8, off, s[48:51], 0 offset:1108 ; 4-byte Folded Reload
	v_mov_b32_e32 v5, 0x310
	s_mov_b64 s[16:17], 0
	s_waitcnt vmcnt(0)
	v_lshl_add_u32 v7, v8, 2, v5
	v_mov_b32_e32 v5, 0
.LBB215_594:                            ; =>This Inner Loop Header: Depth=1
	ds_read_b32 v9, v7
	v_add_u32_e32 v8, 0x80, v8
	v_cmp_le_i32_e64 s[6:7], s31, v8
	s_or_b64 s[16:17], s[6:7], s[16:17]
	s_waitcnt lgkmcnt(0)
	v_sub_f32_e32 v9, v9, v6
	v_mul_f32_e32 v9, 0x3fb8aa3b, v9
	v_exp_f32_e32 v9, v9
	ds_write_b32 v7, v9
	v_add_f32_e32 v5, v5, v9
	v_add_u32_e32 v7, 0x200, v7
	s_andn2_b64 exec, exec, s[16:17]
	s_cbranch_execnz .LBB215_594
; %bb.595:
	s_or_b64 exec, exec, s[16:17]
.LBB215_596:
	s_or_b64 exec, exec, s[14:15]
	ds_bpermute_b32 v0, v0, v5
	s_waitcnt lgkmcnt(0)
	v_add_f32_e32 v0, v5, v0
	ds_bpermute_b32 v1, v1, v0
	s_waitcnt lgkmcnt(0)
	v_add_f32_e32 v0, v0, v1
	;; [unrolled: 3-line block ×6, first 2 shown]
	s_and_saveexec_b64 s[6:7], vcc
; %bb.597:
	ds_write_b32 v3, v0 offset:776
; %bb.598:
	s_or_b64 exec, exec, s[6:7]
	s_waitcnt lgkmcnt(0)
	s_barrier
	s_and_saveexec_b64 s[6:7], s[2:3]
; %bb.599:
	ds_read_b32 v0, v4 offset:776
; %bb.600:
	s_or_b64 exec, exec, s[6:7]
	s_waitcnt lgkmcnt(0)
	ds_bpermute_b32 v1, v31, v0
	v_lshlrev_b32_e32 v2, 2, v12
	s_waitcnt lgkmcnt(0)
	v_add_f32_e32 v0, v0, v1
	v_and_b32_e32 v1, 0xffffff00, v2
	ds_bpermute_b32 v0, v1, v0
	s_and_saveexec_b64 s[2:3], s[4:5]
	s_cbranch_execz .LBB215_603
; %bb.601:
	s_waitcnt lgkmcnt(0)
	v_add_f32_e32 v1, 0x358637bd, v0
	v_div_scale_f32 v0, s[4:5], v1, v1, 1.0
	v_div_scale_f32 v2, vcc, 1.0, v1, 1.0
	s_mov_b64 s[4:5], 0
	v_rcp_f32_e32 v3, v0
	v_fma_f32 v4, -v0, v3, 1.0
	v_fmac_f32_e32 v3, v4, v3
	v_mul_f32_e32 v4, v2, v3
	v_fma_f32 v5, -v0, v4, v2
	v_fmac_f32_e32 v4, v5, v3
	v_fma_f32 v0, -v0, v4, v2
	v_div_fmas_f32 v2, v0, v3, v4
	buffer_load_dword v3, off, s[48:51], 0 offset:1108 ; 4-byte Folded Reload
	v_mov_b32_e32 v0, 0x310
	v_div_fixup_f32 v1, v2, v1, 1.0
	s_waitcnt vmcnt(0)
	v_lshl_add_u32 v0, v3, 2, v0
	v_mov_b32_e32 v2, v3
.LBB215_602:                            ; =>This Inner Loop Header: Depth=1
	ds_read_b32 v3, v0
	v_add_u32_e32 v2, 0x80, v2
	v_cmp_le_i32_e32 vcc, s31, v2
	s_or_b64 s[4:5], vcc, s[4:5]
	s_waitcnt lgkmcnt(0)
	v_mul_f32_e32 v3, v1, v3
	ds_write_b32 v0, v3
	v_add_u32_e32 v0, 0x200, v0
	s_andn2_b64 exec, exec, s[4:5]
	s_cbranch_execnz .LBB215_602
.LBB215_603:
	s_or_b64 exec, exec, s[2:3]
	s_waitcnt lgkmcnt(0)
	s_barrier
	buffer_load_dword v0, off, s[48:51], 0 offset:1108 ; 4-byte Folded Reload
	v_mov_b32_e32 v4, 0
	v_mov_b32_e32 v6, 0
	;; [unrolled: 1-line block ×24, first 2 shown]
	s_waitcnt vmcnt(0)
	v_and_b32_e32 v0, 7, v0
	buffer_store_dword v0, off, s[48:51], 0 offset:616 ; 4-byte Folded Spill
	s_and_saveexec_b64 s[2:3], s[0:1]
	s_cbranch_execz .LBB215_1231
; %bb.604:
	buffer_store_dword v31, off, s[48:51], 0 offset:632 ; 4-byte Folded Spill
	buffer_store_dword v28, off, s[48:51], 0 offset:628 ; 4-byte Folded Spill
	;; [unrolled: 1-line block ×4, first 2 shown]
	buffer_load_dword v2, off, s[48:51], 0 offset:24 ; 4-byte Folded Reload
	v_or_b32_e32 v1, 0xf00, v10
	v_and_b32_e32 v0, 28, v10
	buffer_store_dword v1, off, s[48:51], 0 offset:596 ; 4-byte Folded Spill
	s_ashr_i32 s1, s12, 31
	s_add_u32 s0, s28, s12
	s_load_dword s17, s[18:19], 0x0
	s_addc_u32 s1, s29, s1
	s_add_i32 s19, s21, -1
	s_lshl_b64 s[4:5], s[26:27], 2
	s_add_u32 s4, s24, s4
	s_addc_u32 s5, s25, s5
	v_mov_b32_e32 v5, 0
	s_mov_b32 s16, s13
	v_and_b32_e32 v28, 0xfc, v10
	s_waitcnt lgkmcnt(0)
	s_mov_b32 s18, s17
	s_movk_i32 s24, 0x80
	s_movk_i32 s25, 0x7f
	s_brev_b32 s26, 1
	s_mov_b32 s27, 0xffffff
	v_bfrev_b32_e32 v26, 60
	v_bfrev_b32_e32 v6, 1
	v_mov_b32_e32 v12, 0x7f800001
	v_mov_b32_e32 v55, v5
	v_mov_b32_e32 v54, v5
	v_mov_b32_e32 v57, v5
	v_mov_b32_e32 v16, v5
	s_waitcnt vmcnt(1)
	v_lshlrev_b32_e32 v1, 5, v2
	v_or3_b32 v56, v1, v0, 3
	buffer_load_dword v0, off, s[48:51], 0 offset:616 ; 4-byte Folded Reload
	v_mov_b32_e32 v1, s5
	s_waitcnt vmcnt(0)
	v_lshlrev_b32_e32 v0, 4, v0
	v_lshl_or_b32 v0, v2, 7, v0
	v_add_u32_e32 v2, 0x310, v0
	v_and_b32_e32 v0, 60, v11
	v_add_co_u32_e32 v7, vcc, s4, v0
	v_addc_co_u32_e32 v8, vcc, 0, v1, vcc
	v_mov_b32_e32 v0, s0
	v_mov_b32_e32 v1, s1
	buffer_store_dword v0, off, s[48:51], 0 offset:600 ; 4-byte Folded Spill
	s_nop 0
	buffer_store_dword v1, off, s[48:51], 0 offset:604 ; 4-byte Folded Spill
	s_mov_b64 s[4:5], 0
	v_mov_b32_e32 v0, v5
	buffer_store_dword v0, off, s[48:51], 0 offset:420 ; 4-byte Folded Spill
	buffer_store_dword v0, off, s[48:51], 0 offset:428 ; 4-byte Folded Spill
	;; [unrolled: 1-line block ×21, first 2 shown]
	s_branch .LBB215_606
.LBB215_605:                            ;   in Loop: Header=BB215_606 Depth=1
	s_or_b64 exec, exec, s[6:7]
	s_waitcnt lgkmcnt(0)
	v_mul_f32_e32 v10, v1, v10
	v_fmac_f32_e32 v10, v2, v52
	v_fmac_f32_e32 v10, v3, v9
	;; [unrolled: 1-line block ×3, first 2 shown]
	v_add_f32_e32 v57, v57, v10
	buffer_load_dword v10, off, s[48:51], 0 offset:420 ; 4-byte Folded Reload
	v_mul_f32_e32 v9, v1, v51
	v_fmac_f32_e32 v9, v2, v48
	v_fmac_f32_e32 v9, v3, v50
	;; [unrolled: 1-line block ×3, first 2 shown]
	v_mul_f32_e32 v16, v1, v27
	v_fmac_f32_e32 v16, v2, v60
	v_fmac_f32_e32 v16, v3, v23
	;; [unrolled: 1-line block ×3, first 2 shown]
	v_add_f32_e32 v54, v54, v16
	v_add_u32_e32 v56, 64, v56
	buffer_load_dword v16, off, s[48:51], 0 offset:580 ; 4-byte Folded Reload
	s_waitcnt vmcnt(1)
	v_add_f32_e32 v10, v10, v9
	buffer_store_dword v10, off, s[48:51], 0 offset:420 ; 4-byte Folded Spill
	buffer_load_dword v10, off, s[48:51], 0 offset:428 ; 4-byte Folded Reload
	v_mul_f32_e32 v9, v1, v47
	v_fmac_f32_e32 v9, v2, v44
	v_fmac_f32_e32 v9, v3, v46
	v_fmac_f32_e32 v9, v4, v45
	s_waitcnt vmcnt(0)
	v_add_f32_e32 v10, v10, v9
	buffer_store_dword v10, off, s[48:51], 0 offset:428 ; 4-byte Folded Spill
	buffer_load_dword v10, off, s[48:51], 0 offset:436 ; 4-byte Folded Reload
	v_mul_f32_e32 v9, v1, v43
	v_fmac_f32_e32 v9, v2, v40
	v_fmac_f32_e32 v9, v3, v42
	v_fmac_f32_e32 v9, v4, v41
	;; [unrolled: 8-line block ×4, first 2 shown]
	s_waitcnt vmcnt(0)
	v_add_f32_e32 v10, v10, v9
	v_mul_f32_e32 v9, v1, v32
	v_fmac_f32_e32 v9, v2, v30
	v_fmac_f32_e32 v9, v3, v31
	;; [unrolled: 1-line block ×3, first 2 shown]
	buffer_load_dword v0, off, s[48:51], 0 offset:460 ; 4-byte Folded Reload
	s_waitcnt vmcnt(0)
	v_add_f32_e32 v0, v0, v9
	buffer_load_dword v9, off, s[48:51], 0 offset:468 ; 4-byte Folded Reload
	s_nop 0
	buffer_store_dword v0, off, s[48:51], 0 offset:460 ; 4-byte Folded Spill
	v_mul_f32_e32 v0, v1, v63
	v_fmac_f32_e32 v0, v2, v62
	v_fmac_f32_e32 v0, v3, v25
	v_fmac_f32_e32 v0, v4, v24
	buffer_store_dword v10, off, s[48:51], 0 offset:452 ; 4-byte Folded Spill
	s_waitcnt vmcnt(2)
	v_add_f32_e32 v9, v9, v0
	buffer_store_dword v9, off, s[48:51], 0 offset:468 ; 4-byte Folded Spill
	buffer_load_dword v9, off, s[48:51], 0 offset:404 ; 4-byte Folded Reload
	v_mul_f32_e32 v0, v1, v61
	s_waitcnt vmcnt(0)
	v_fmac_f32_e32 v0, v2, v9
	buffer_load_dword v9, off, s[48:51], 0 offset:412 ; 4-byte Folded Reload
	v_fmac_f32_e32 v0, v3, v59
	s_waitcnt vmcnt(0)
	v_fmac_f32_e32 v0, v4, v9
	buffer_load_dword v9, off, s[48:51], 0 offset:476 ; 4-byte Folded Reload
	s_waitcnt vmcnt(0)
	v_add_f32_e32 v9, v9, v0
	buffer_load_dword v0, off, s[48:51], 0 offset:396 ; 4-byte Folded Reload
	s_nop 0
	buffer_store_dword v9, off, s[48:51], 0 offset:476 ; 4-byte Folded Spill
	buffer_load_dword v9, off, s[48:51], 0 offset:372 ; 4-byte Folded Reload
	s_waitcnt vmcnt(2)
	v_mul_f32_e32 v0, v1, v0
	s_waitcnt vmcnt(0)
	v_fmac_f32_e32 v0, v2, v9
	buffer_load_dword v9, off, s[48:51], 0 offset:388 ; 4-byte Folded Reload
	s_waitcnt vmcnt(0)
	v_fmac_f32_e32 v0, v3, v9
	buffer_load_dword v9, off, s[48:51], 0 offset:380 ; 4-byte Folded Reload
	s_waitcnt vmcnt(0)
	v_fmac_f32_e32 v0, v4, v9
	v_add_f32_e32 v16, v16, v0
	buffer_load_dword v0, off, s[48:51], 0 offset:364 ; 4-byte Folded Reload
	buffer_load_dword v9, off, s[48:51], 0 offset:340 ; 4-byte Folded Reload
	s_waitcnt vmcnt(1)
	v_mul_f32_e32 v0, v1, v0
	s_waitcnt vmcnt(0)
	v_fmac_f32_e32 v0, v2, v9
	buffer_load_dword v9, off, s[48:51], 0 offset:356 ; 4-byte Folded Reload
	s_waitcnt vmcnt(0)
	v_fmac_f32_e32 v0, v3, v9
	buffer_load_dword v9, off, s[48:51], 0 offset:348 ; 4-byte Folded Reload
	s_waitcnt vmcnt(0)
	v_fmac_f32_e32 v0, v4, v9
	buffer_load_dword v9, off, s[48:51], 0 offset:484 ; 4-byte Folded Reload
	s_waitcnt vmcnt(0)
	v_add_f32_e32 v9, v9, v0
	buffer_load_dword v0, off, s[48:51], 0 offset:332 ; 4-byte Folded Reload
	s_nop 0
	buffer_store_dword v9, off, s[48:51], 0 offset:484 ; 4-byte Folded Spill
	buffer_load_dword v9, off, s[48:51], 0 offset:308 ; 4-byte Folded Reload
	s_waitcnt vmcnt(2)
	v_mul_f32_e32 v0, v1, v0
	s_waitcnt vmcnt(0)
	v_fmac_f32_e32 v0, v2, v9
	buffer_load_dword v9, off, s[48:51], 0 offset:324 ; 4-byte Folded Reload
	s_waitcnt vmcnt(0)
	v_fmac_f32_e32 v0, v3, v9
	buffer_load_dword v9, off, s[48:51], 0 offset:316 ; 4-byte Folded Reload
	s_waitcnt vmcnt(0)
	v_fmac_f32_e32 v0, v4, v9
	buffer_load_dword v9, off, s[48:51], 0 offset:492 ; 4-byte Folded Reload
	s_waitcnt vmcnt(0)
	v_add_f32_e32 v9, v9, v0
	buffer_load_dword v0, off, s[48:51], 0 offset:300 ; 4-byte Folded Reload
	s_nop 0
	buffer_store_dword v9, off, s[48:51], 0 offset:492 ; 4-byte Folded Spill
	;; [unrolled: 17-line block ×11, first 2 shown]
	buffer_load_dword v9, off, s[48:51], 0  ; 4-byte Folded Reload
	s_waitcnt vmcnt(2)
	v_mul_f32_e32 v0, v1, v0
	s_waitcnt vmcnt(0)
	v_fmac_f32_e32 v0, v2, v9
	buffer_load_dword v9, off, s[48:51], 0 offset:12 ; 4-byte Folded Reload
	s_waitcnt vmcnt(0)
	v_fmac_f32_e32 v0, v3, v9
	buffer_load_dword v9, off, s[48:51], 0 offset:8 ; 4-byte Folded Reload
	;; [unrolled: 3-line block ×3, first 2 shown]
	s_waitcnt vmcnt(0)
	v_add_f32_e32 v9, v9, v0
	v_mul_f32_e32 v0, v1, v15
	v_fmac_f32_e32 v0, v2, v11
	v_fmac_f32_e32 v0, v3, v14
	;; [unrolled: 1-line block ×3, first 2 shown]
	v_add_f32_e32 v55, v55, v0
	buffer_load_dword v0, off, s[48:51], 0 offset:24 ; 4-byte Folded Reload
	buffer_load_dword v2, off, s[48:51], 0 offset:588 ; 4-byte Folded Reload
	s_waitcnt vmcnt(1)
	v_add_u32_e32 v0, 2, v0
	v_cmp_le_i32_e32 vcc, s21, v0
	s_or_b64 s[4:5], vcc, s[4:5]
	v_add_co_u32_e32 v7, vcc, 8, v7
	s_waitcnt vmcnt(0)
	v_add_u32_e32 v2, 0x100, v2
	v_addc_co_u32_e32 v8, vcc, 0, v8, vcc
	buffer_store_dword v9, off, s[48:51], 0 offset:564 ; 4-byte Folded Spill
	buffer_store_dword v0, off, s[48:51], 0 offset:24 ; 4-byte Folded Spill
	s_andn2_b64 exec, exec, s[4:5]
	s_cbranch_execz .LBB215_1230
.LBB215_606:                            ; =>This Inner Loop Header: Depth=1
	buffer_store_dword v16, off, s[48:51], 0 offset:580 ; 4-byte Folded Spill
	global_load_dword v0, v[7:8], off
	buffer_load_dword v3, off, s[48:51], 0 offset:600 ; 4-byte Folded Reload
	buffer_load_dword v4, off, s[48:51], 0 offset:604 ; 4-byte Folded Reload
	v_mov_b32_e32 v20, 0
	buffer_store_dword v2, off, s[48:51], 0 offset:588 ; 4-byte Folded Spill
	v_mov_b32_e32 v18, 0
	v_mov_b32_e32 v21, 0
	;; [unrolled: 1-line block ×3, first 2 shown]
	s_waitcnt vmcnt(1)
	v_mad_i64_i32 v[15:16], s[0:1], v0, s16, v[3:4]
	ds_read_b128 v[1:4], v2
	v_add_co_u32_e32 v13, vcc, v15, v28
	v_addc_co_u32_e32 v14, vcc, 0, v16, vcc
	global_load_dword v17, v[13:14], off
	s_waitcnt vmcnt(0)
	v_cmp_ne_u16_sdwa s[6:7], v17, v5 src0_sel:BYTE_0 src1_sel:DWORD
	s_and_saveexec_b64 s[0:1], s[6:7]
	s_cbranch_execz .LBB215_612
; %bb.607:                              ;   in Loop: Header=BB215_606 Depth=1
	v_bfrev_b32_e32 v18, 1
	v_mov_b32_e32 v19, 0
	v_cmp_ne_u16_sdwa s[12:13], v17, s24 src0_sel:BYTE_0 src1_sel:DWORD
	s_and_saveexec_b64 s[6:7], s[12:13]
	s_cbranch_execz .LBB215_611
; %bb.608:                              ;   in Loop: Header=BB215_606 Depth=1
	v_and_b32_e32 v0, 0x7f, v17
	v_mov_b32_e32 v18, 0x7f800001
	v_mov_b32_e32 v19, 0
	v_cmp_ne_u32_e32 vcc, s25, v0
	s_and_saveexec_b64 s[12:13], vcc
	s_cbranch_execz .LBB215_610
; %bb.609:                              ;   in Loop: Header=BB215_606 Depth=1
	v_and_b32_e32 v11, 7, v17
	v_ffbh_u32_e32 v9, v11
	v_min_u32_e32 v19, 32, v9
	v_lshrrev_b32_e32 v18, 3, v0
	v_subrev_u32_e32 v9, 28, v19
	v_lshlrev_b64 v[9:10], v9, v[17:18]
	v_sub_u32_e32 v10, 29, v19
	v_and_b32_e32 v9, 7, v9
	v_cmp_gt_u32_e32 vcc, 8, v0
	v_cndmask_b32_e32 v0, v18, v10, vcc
	v_cndmask_b32_e32 v9, v11, v9, vcc
	v_lshlrev_b32_e32 v9, 20, v9
	v_and_b32_sdwa v10, sext(v17), s26 dst_sel:DWORD dst_unused:UNUSED_PAD src0_sel:BYTE_0 src1_sel:DWORD
	v_lshl_add_u32 v0, v0, 23, v26
	v_or3_b32 v18, v10, v0, v9
	v_mov_b32_e32 v19, v5
.LBB215_610:                            ;   in Loop: Header=BB215_606 Depth=1
	s_or_b64 exec, exec, s[12:13]
.LBB215_611:                            ;   in Loop: Header=BB215_606 Depth=1
	s_or_b64 exec, exec, s[6:7]
.LBB215_612:                            ;   in Loop: Header=BB215_606 Depth=1
	s_or_b64 exec, exec, s[0:1]
	v_cmp_ne_u16_sdwa s[6:7], v17, v5 src0_sel:BYTE_1 src1_sel:DWORD
	s_and_saveexec_b64 s[0:1], s[6:7]
	s_cbranch_execz .LBB215_618
; %bb.613:                              ;   in Loop: Header=BB215_606 Depth=1
	v_mov_b32_e32 v21, v6
	v_cmp_ne_u16_sdwa s[12:13], v17, s24 src0_sel:BYTE_1 src1_sel:DWORD
	v_mov_b32_e32 v20, v5
	s_and_saveexec_b64 s[6:7], s[12:13]
	s_cbranch_execz .LBB215_617
; %bb.614:                              ;   in Loop: Header=BB215_606 Depth=1
	v_and_b32_sdwa v0, v17, s25 dst_sel:DWORD dst_unused:UNUSED_PAD src0_sel:BYTE_1 src1_sel:DWORD
	v_mov_b32_e32 v11, v5
	v_mov_b32_e32 v21, v12
	v_cmp_ne_u32_e32 vcc, s25, v0
	v_mov_b32_e32 v20, v11
	s_and_saveexec_b64 s[12:13], vcc
	s_cbranch_execz .LBB215_616
; %bb.615:                              ;   in Loop: Header=BB215_606 Depth=1
	v_mov_b32_e32 v9, 7
	v_and_b32_sdwa v9, v17, v9 dst_sel:DWORD dst_unused:UNUSED_PAD src0_sel:BYTE_1 src1_sel:DWORD
	v_ffbh_u32_e32 v11, v9
	v_min_u32_e32 v21, 32, v11
	v_mov_b32_e32 v10, v5
	v_subrev_u32_e32 v11, 28, v21
	v_lshlrev_b64 v[10:11], v11, v[9:10]
	v_lshrrev_b32_e32 v20, 3, v0
	v_sub_u32_e32 v11, 29, v21
	v_cmp_gt_u32_e32 vcc, 8, v0
	v_and_b32_e32 v10, 7, v10
	v_cndmask_b32_e32 v0, v20, v11, vcc
	v_cndmask_b32_e32 v9, v9, v10, vcc
	v_lshlrev_b32_e32 v10, 16, v17
	v_lshl_add_u32 v0, v0, 23, v26
	v_and_or_b32 v0, v10, s26, v0
	v_lshlrev_b32_e32 v9, 20, v9
	v_or_b32_e32 v21, v0, v9
	v_mov_b32_e32 v20, v5
.LBB215_616:                            ;   in Loop: Header=BB215_606 Depth=1
	s_or_b64 exec, exec, s[12:13]
.LBB215_617:                            ;   in Loop: Header=BB215_606 Depth=1
	s_or_b64 exec, exec, s[6:7]
.LBB215_618:                            ;   in Loop: Header=BB215_606 Depth=1
	s_or_b64 exec, exec, s[0:1]
	v_lshrrev_b32_e32 v11, 16, v17
	v_mov_b32_e32 v24, 0
	v_mov_b32_e32 v22, 0
	;; [unrolled: 1-line block ×4, first 2 shown]
	v_cmp_ne_u16_sdwa s[6:7], v11, v5 src0_sel:BYTE_0 src1_sel:DWORD
	s_and_saveexec_b64 s[0:1], s[6:7]
	s_cbranch_execz .LBB215_624
; %bb.619:                              ;   in Loop: Header=BB215_606 Depth=1
	v_bfrev_b32_e32 v22, 1
	v_mov_b32_e32 v23, 0
	v_cmp_ne_u16_sdwa s[12:13], v11, s24 src0_sel:BYTE_0 src1_sel:DWORD
	s_and_saveexec_b64 s[6:7], s[12:13]
	s_cbranch_execz .LBB215_623
; %bb.620:                              ;   in Loop: Header=BB215_606 Depth=1
	v_bfe_u32 v0, v17, 16, 7
	v_mov_b32_e32 v22, 0x7f800001
	v_mov_b32_e32 v23, 0
	v_cmp_ne_u32_e32 vcc, s25, v0
	s_and_saveexec_b64 s[12:13], vcc
	s_cbranch_execz .LBB215_622
; %bb.621:                              ;   in Loop: Header=BB215_606 Depth=1
	v_and_b32_e32 v22, 7, v11
	v_lshrrev_b32_e32 v23, 3, v0
	v_cmp_gt_u32_e32 vcc, 8, v0
	v_ffbh_u32_e32 v0, v22
	v_min_u32_e32 v0, 32, v0
	v_subrev_u32_e32 v9, 28, v0
	v_lshlrev_b64 v[9:10], v9, v[11:12]
	v_sub_u32_e32 v0, 29, v0
	v_and_b32_e32 v9, 7, v9
	v_cndmask_b32_e32 v0, v23, v0, vcc
	v_cndmask_b32_e32 v9, v22, v9, vcc
	v_lshlrev_b32_e32 v9, 20, v9
	v_and_b32_sdwa v10, sext(v11), s26 dst_sel:DWORD dst_unused:UNUSED_PAD src0_sel:BYTE_0 src1_sel:DWORD
	v_lshl_add_u32 v0, v0, 23, v26
	v_or3_b32 v22, v10, v0, v9
	v_mov_b32_e32 v23, v5
.LBB215_622:                            ;   in Loop: Header=BB215_606 Depth=1
	s_or_b64 exec, exec, s[12:13]
.LBB215_623:                            ;   in Loop: Header=BB215_606 Depth=1
	s_or_b64 exec, exec, s[6:7]
.LBB215_624:                            ;   in Loop: Header=BB215_606 Depth=1
	s_or_b64 exec, exec, s[0:1]
	v_cmp_lt_u32_e32 vcc, s27, v17
	s_and_saveexec_b64 s[0:1], vcc
	s_cbranch_execz .LBB215_630
; %bb.625:                              ;   in Loop: Header=BB215_606 Depth=1
	v_mov_b32_e32 v25, v6
	v_cmp_ne_u32_sdwa s[12:13], v17, s24 src0_sel:BYTE_3 src1_sel:DWORD
	v_mov_b32_e32 v24, v5
	s_and_saveexec_b64 s[6:7], s[12:13]
	s_cbranch_execz .LBB215_629
; %bb.626:                              ;   in Loop: Header=BB215_606 Depth=1
	v_bfe_u32 v0, v17, 24, 7
	v_mov_b32_e32 v11, v5
	v_mov_b32_e32 v25, v12
	v_cmp_ne_u32_e32 vcc, s25, v0
	v_mov_b32_e32 v24, v11
	s_and_saveexec_b64 s[12:13], vcc
	s_cbranch_execz .LBB215_628
; %bb.627:                              ;   in Loop: Header=BB215_606 Depth=1
	v_mov_b32_e32 v9, 7
	v_and_b32_sdwa v9, v17, v9 dst_sel:DWORD dst_unused:UNUSED_PAD src0_sel:BYTE_3 src1_sel:DWORD
	v_lshrrev_b32_e32 v24, 3, v0
	v_cmp_gt_u32_e32 vcc, 8, v0
	v_ffbh_u32_e32 v0, v9
	v_min_u32_e32 v0, 32, v0
	v_mov_b32_e32 v10, v5
	v_subrev_u32_e32 v11, 28, v0
	v_lshlrev_b64 v[10:11], v11, v[9:10]
	v_sub_u32_e32 v0, 29, v0
	v_and_b32_e32 v10, 7, v10
	v_cndmask_b32_e32 v0, v24, v0, vcc
	v_cndmask_b32_e32 v9, v9, v10, vcc
	v_mov_b32_e32 v10, 24
	v_lshlrev_b32_sdwa v10, v10, v17 dst_sel:DWORD dst_unused:UNUSED_PAD src0_sel:DWORD src1_sel:BYTE_3
	v_lshl_add_u32 v0, v0, 23, v26
	v_and_or_b32 v0, v10, s26, v0
	v_lshlrev_b32_e32 v9, 20, v9
	v_or_b32_e32 v25, v0, v9
	v_mov_b32_e32 v24, v5
.LBB215_628:                            ;   in Loop: Header=BB215_606 Depth=1
	s_or_b64 exec, exec, s[12:13]
.LBB215_629:                            ;   in Loop: Header=BB215_606 Depth=1
	s_or_b64 exec, exec, s[6:7]
.LBB215_630:                            ;   in Loop: Header=BB215_606 Depth=1
	s_or_b64 exec, exec, s[0:1]
	buffer_load_dword v0, off, s[48:51], 0 offset:24 ; 4-byte Folded Reload
	v_or_b32_e32 v9, v20, v18
	s_waitcnt vmcnt(0)
	v_cmp_eq_u32_e64 s[0:1], s19, v0
	v_or_b32_e32 v0, v21, v19
	v_mul_f32_e32 v0, s18, v0
	buffer_store_dword v0, off, s[48:51], 0 ; 4-byte Folded Spill
	v_mul_f32_e32 v0, s17, v9
	buffer_store_dword v0, off, s[48:51], 0 offset:16 ; 4-byte Folded Spill
	v_or_b32_e32 v0, v25, v23
	v_or_b32_e32 v9, v24, v22
	v_mul_f32_e32 v9, s17, v9
	v_mul_f32_e32 v0, s18, v0
	buffer_store_dword v9, off, s[48:51], 0 offset:12 ; 4-byte Folded Spill
	buffer_store_dword v0, off, s[48:51], 0 offset:8 ; 4-byte Folded Spill
	s_and_saveexec_b64 s[6:7], s[0:1]
	s_cbranch_execz .LBB215_632
; %bb.631:                              ;   in Loop: Header=BB215_606 Depth=1
	v_add_u32_e32 v0, -3, v56
	v_cmp_gt_i32_e32 vcc, s30, v0
	buffer_load_dword v0, off, s[48:51], 0 offset:16 ; 4-byte Folded Reload
	s_waitcnt vmcnt(0)
	v_cndmask_b32_e32 v0, 0, v0, vcc
	buffer_store_dword v0, off, s[48:51], 0 offset:16 ; 4-byte Folded Spill
	v_add_u32_e32 v0, -2, v56
	v_cmp_gt_i32_e32 vcc, s30, v0
	buffer_load_dword v0, off, s[48:51], 0  ; 4-byte Folded Reload
	s_waitcnt vmcnt(0)
	v_cndmask_b32_e32 v0, 0, v0, vcc
	buffer_store_dword v0, off, s[48:51], 0 ; 4-byte Folded Spill
	v_add_u32_e32 v0, -1, v56
	v_cmp_gt_i32_e32 vcc, s30, v0
	buffer_load_dword v0, off, s[48:51], 0 offset:12 ; 4-byte Folded Reload
	s_waitcnt vmcnt(0)
	v_cndmask_b32_e32 v0, 0, v0, vcc
	buffer_store_dword v0, off, s[48:51], 0 offset:12 ; 4-byte Folded Spill
	buffer_load_dword v0, off, s[48:51], 0 offset:8 ; 4-byte Folded Reload
	v_cmp_gt_i32_e32 vcc, s30, v56
	s_waitcnt vmcnt(0)
	v_cndmask_b32_e32 v0, 0, v0, vcc
	buffer_store_dword v0, off, s[48:51], 0 offset:8 ; 4-byte Folded Spill
.LBB215_632:                            ;   in Loop: Header=BB215_606 Depth=1
	s_or_b64 exec, exec, s[6:7]
	global_load_dword v17, v[13:14], off offset:256
	v_mov_b32_e32 v20, 0
	v_mov_b32_e32 v18, 0
	;; [unrolled: 1-line block ×4, first 2 shown]
	s_waitcnt vmcnt(0)
	v_cmp_ne_u16_sdwa s[12:13], v17, v5 src0_sel:BYTE_0 src1_sel:DWORD
	s_and_saveexec_b64 s[6:7], s[12:13]
	s_cbranch_execz .LBB215_638
; %bb.633:                              ;   in Loop: Header=BB215_606 Depth=1
	v_bfrev_b32_e32 v18, 1
	v_mov_b32_e32 v19, 0
	v_cmp_ne_u16_sdwa s[14:15], v17, s24 src0_sel:BYTE_0 src1_sel:DWORD
	s_and_saveexec_b64 s[12:13], s[14:15]
	s_cbranch_execz .LBB215_637
; %bb.634:                              ;   in Loop: Header=BB215_606 Depth=1
	v_and_b32_e32 v0, 0x7f, v17
	v_mov_b32_e32 v18, 0x7f800001
	v_mov_b32_e32 v19, 0
	v_cmp_ne_u32_e32 vcc, s25, v0
	s_and_saveexec_b64 s[14:15], vcc
	s_cbranch_execz .LBB215_636
; %bb.635:                              ;   in Loop: Header=BB215_606 Depth=1
	v_and_b32_e32 v11, 7, v17
	v_lshrrev_b32_e32 v18, 3, v0
	v_cmp_gt_u32_e32 vcc, 8, v0
	v_ffbh_u32_e32 v0, v11
	v_min_u32_e32 v0, 32, v0
	v_subrev_u32_e32 v9, 28, v0
	v_lshlrev_b64 v[9:10], v9, v[17:18]
	v_sub_u32_e32 v0, 29, v0
	v_and_b32_e32 v9, 7, v9
	v_cndmask_b32_e32 v0, v18, v0, vcc
	v_cndmask_b32_e32 v9, v11, v9, vcc
	v_lshlrev_b32_e32 v9, 20, v9
	v_and_b32_sdwa v10, sext(v17), s26 dst_sel:DWORD dst_unused:UNUSED_PAD src0_sel:BYTE_0 src1_sel:DWORD
	v_lshl_add_u32 v0, v0, 23, v26
	v_or3_b32 v18, v10, v0, v9
	v_mov_b32_e32 v19, v5
.LBB215_636:                            ;   in Loop: Header=BB215_606 Depth=1
	s_or_b64 exec, exec, s[14:15]
.LBB215_637:                            ;   in Loop: Header=BB215_606 Depth=1
	s_or_b64 exec, exec, s[12:13]
.LBB215_638:                            ;   in Loop: Header=BB215_606 Depth=1
	s_or_b64 exec, exec, s[6:7]
	v_cmp_ne_u16_sdwa s[12:13], v17, v5 src0_sel:BYTE_1 src1_sel:DWORD
	s_and_saveexec_b64 s[6:7], s[12:13]
	s_cbranch_execz .LBB215_644
; %bb.639:                              ;   in Loop: Header=BB215_606 Depth=1
	v_mov_b32_e32 v21, v6
	v_cmp_ne_u16_sdwa s[14:15], v17, s24 src0_sel:BYTE_1 src1_sel:DWORD
	v_mov_b32_e32 v20, v5
	s_and_saveexec_b64 s[12:13], s[14:15]
	s_cbranch_execz .LBB215_643
; %bb.640:                              ;   in Loop: Header=BB215_606 Depth=1
	v_and_b32_sdwa v0, v17, s25 dst_sel:DWORD dst_unused:UNUSED_PAD src0_sel:BYTE_1 src1_sel:DWORD
	v_mov_b32_e32 v11, v5
	v_mov_b32_e32 v21, v12
	v_cmp_ne_u32_e32 vcc, s25, v0
	v_mov_b32_e32 v20, v11
	s_and_saveexec_b64 s[14:15], vcc
	s_cbranch_execz .LBB215_642
; %bb.641:                              ;   in Loop: Header=BB215_606 Depth=1
	v_mov_b32_e32 v9, 7
	v_and_b32_sdwa v9, v17, v9 dst_sel:DWORD dst_unused:UNUSED_PAD src0_sel:BYTE_1 src1_sel:DWORD
	v_lshrrev_b32_e32 v20, 3, v0
	v_cmp_gt_u32_e32 vcc, 8, v0
	v_ffbh_u32_e32 v0, v9
	v_min_u32_e32 v0, 32, v0
	v_mov_b32_e32 v10, v5
	v_subrev_u32_e32 v11, 28, v0
	v_lshlrev_b64 v[10:11], v11, v[9:10]
	v_sub_u32_e32 v0, 29, v0
	v_and_b32_e32 v10, 7, v10
	v_cndmask_b32_e32 v0, v20, v0, vcc
	v_cndmask_b32_e32 v9, v9, v10, vcc
	v_lshlrev_b32_e32 v10, 16, v17
	v_lshl_add_u32 v0, v0, 23, v26
	v_and_or_b32 v0, v10, s26, v0
	v_lshlrev_b32_e32 v9, 20, v9
	v_or_b32_e32 v21, v0, v9
	v_mov_b32_e32 v20, v5
.LBB215_642:                            ;   in Loop: Header=BB215_606 Depth=1
	s_or_b64 exec, exec, s[14:15]
.LBB215_643:                            ;   in Loop: Header=BB215_606 Depth=1
	s_or_b64 exec, exec, s[12:13]
.LBB215_644:                            ;   in Loop: Header=BB215_606 Depth=1
	s_or_b64 exec, exec, s[6:7]
	v_lshrrev_b32_e32 v11, 16, v17
	v_mov_b32_e32 v24, 0
	v_mov_b32_e32 v22, 0
	v_mov_b32_e32 v25, 0
	v_mov_b32_e32 v23, 0
	v_cmp_ne_u16_sdwa s[12:13], v11, v5 src0_sel:BYTE_0 src1_sel:DWORD
	s_and_saveexec_b64 s[6:7], s[12:13]
	s_cbranch_execz .LBB215_650
; %bb.645:                              ;   in Loop: Header=BB215_606 Depth=1
	v_bfrev_b32_e32 v22, 1
	v_mov_b32_e32 v23, 0
	v_cmp_ne_u16_sdwa s[14:15], v11, s24 src0_sel:BYTE_0 src1_sel:DWORD
	s_and_saveexec_b64 s[12:13], s[14:15]
	s_cbranch_execz .LBB215_649
; %bb.646:                              ;   in Loop: Header=BB215_606 Depth=1
	v_bfe_u32 v0, v17, 16, 7
	v_mov_b32_e32 v22, 0x7f800001
	v_mov_b32_e32 v23, 0
	v_cmp_ne_u32_e32 vcc, s25, v0
	s_and_saveexec_b64 s[14:15], vcc
	s_cbranch_execz .LBB215_648
; %bb.647:                              ;   in Loop: Header=BB215_606 Depth=1
	v_and_b32_e32 v22, 7, v11
	v_lshrrev_b32_e32 v23, 3, v0
	v_cmp_gt_u32_e32 vcc, 8, v0
	v_ffbh_u32_e32 v0, v22
	v_min_u32_e32 v0, 32, v0
	v_subrev_u32_e32 v9, 28, v0
	v_lshlrev_b64 v[9:10], v9, v[11:12]
	v_sub_u32_e32 v0, 29, v0
	v_and_b32_e32 v9, 7, v9
	v_cndmask_b32_e32 v0, v23, v0, vcc
	v_cndmask_b32_e32 v9, v22, v9, vcc
	v_lshlrev_b32_e32 v9, 20, v9
	v_and_b32_sdwa v10, sext(v11), s26 dst_sel:DWORD dst_unused:UNUSED_PAD src0_sel:BYTE_0 src1_sel:DWORD
	v_lshl_add_u32 v0, v0, 23, v26
	v_or3_b32 v22, v10, v0, v9
	v_mov_b32_e32 v23, v5
.LBB215_648:                            ;   in Loop: Header=BB215_606 Depth=1
	s_or_b64 exec, exec, s[14:15]
.LBB215_649:                            ;   in Loop: Header=BB215_606 Depth=1
	s_or_b64 exec, exec, s[12:13]
.LBB215_650:                            ;   in Loop: Header=BB215_606 Depth=1
	s_or_b64 exec, exec, s[6:7]
	v_cmp_lt_u32_e32 vcc, s27, v17
	s_and_saveexec_b64 s[6:7], vcc
	s_cbranch_execz .LBB215_656
; %bb.651:                              ;   in Loop: Header=BB215_606 Depth=1
	v_mov_b32_e32 v25, v6
	v_cmp_ne_u32_sdwa s[14:15], v17, s24 src0_sel:BYTE_3 src1_sel:DWORD
	v_mov_b32_e32 v24, v5
	s_and_saveexec_b64 s[12:13], s[14:15]
	s_cbranch_execz .LBB215_655
; %bb.652:                              ;   in Loop: Header=BB215_606 Depth=1
	v_bfe_u32 v0, v17, 24, 7
	v_mov_b32_e32 v11, v5
	v_mov_b32_e32 v25, v12
	v_cmp_ne_u32_e32 vcc, s25, v0
	v_mov_b32_e32 v24, v11
	s_and_saveexec_b64 s[14:15], vcc
	s_cbranch_execz .LBB215_654
; %bb.653:                              ;   in Loop: Header=BB215_606 Depth=1
	v_mov_b32_e32 v9, 7
	v_and_b32_sdwa v9, v17, v9 dst_sel:DWORD dst_unused:UNUSED_PAD src0_sel:BYTE_3 src1_sel:DWORD
	v_lshrrev_b32_e32 v24, 3, v0
	v_cmp_gt_u32_e32 vcc, 8, v0
	v_ffbh_u32_e32 v0, v9
	v_min_u32_e32 v0, 32, v0
	v_mov_b32_e32 v10, v5
	v_subrev_u32_e32 v11, 28, v0
	v_lshlrev_b64 v[10:11], v11, v[9:10]
	v_sub_u32_e32 v0, 29, v0
	v_and_b32_e32 v10, 7, v10
	v_cndmask_b32_e32 v0, v24, v0, vcc
	v_cndmask_b32_e32 v9, v9, v10, vcc
	v_mov_b32_e32 v10, 24
	v_lshlrev_b32_sdwa v10, v10, v17 dst_sel:DWORD dst_unused:UNUSED_PAD src0_sel:DWORD src1_sel:BYTE_3
	v_lshl_add_u32 v0, v0, 23, v26
	v_and_or_b32 v0, v10, s26, v0
	v_lshlrev_b32_e32 v9, 20, v9
	v_or_b32_e32 v25, v0, v9
	v_mov_b32_e32 v24, v5
.LBB215_654:                            ;   in Loop: Header=BB215_606 Depth=1
	s_or_b64 exec, exec, s[14:15]
.LBB215_655:                            ;   in Loop: Header=BB215_606 Depth=1
	s_or_b64 exec, exec, s[12:13]
.LBB215_656:                            ;   in Loop: Header=BB215_606 Depth=1
	s_or_b64 exec, exec, s[6:7]
	v_or_b32_e32 v0, v21, v19
	v_or_b32_e32 v9, v20, v18
	v_mul_f32_e32 v0, s18, v0
	buffer_store_dword v0, off, s[48:51], 0 offset:20 ; 4-byte Folded Spill
	v_mul_f32_e32 v0, s17, v9
	buffer_store_dword v0, off, s[48:51], 0 offset:44 ; 4-byte Folded Spill
	v_or_b32_e32 v0, v25, v23
	v_or_b32_e32 v9, v24, v22
	v_mul_f32_e32 v9, s17, v9
	v_mul_f32_e32 v0, s18, v0
	buffer_store_dword v9, off, s[48:51], 0 offset:36 ; 4-byte Folded Spill
	buffer_store_dword v0, off, s[48:51], 0 offset:28 ; 4-byte Folded Spill
	s_and_saveexec_b64 s[6:7], s[0:1]
	s_cbranch_execz .LBB215_658
; %bb.657:                              ;   in Loop: Header=BB215_606 Depth=1
	v_add_u32_e32 v0, -3, v56
	v_cmp_gt_i32_e32 vcc, s30, v0
	buffer_load_dword v0, off, s[48:51], 0 offset:44 ; 4-byte Folded Reload
	s_waitcnt vmcnt(0)
	v_cndmask_b32_e32 v0, 0, v0, vcc
	buffer_store_dword v0, off, s[48:51], 0 offset:44 ; 4-byte Folded Spill
	v_add_u32_e32 v0, -2, v56
	v_cmp_gt_i32_e32 vcc, s30, v0
	buffer_load_dword v0, off, s[48:51], 0 offset:20 ; 4-byte Folded Reload
	s_waitcnt vmcnt(0)
	v_cndmask_b32_e32 v0, 0, v0, vcc
	buffer_store_dword v0, off, s[48:51], 0 offset:20 ; 4-byte Folded Spill
	;; [unrolled: 6-line block ×3, first 2 shown]
	buffer_load_dword v0, off, s[48:51], 0 offset:28 ; 4-byte Folded Reload
	v_cmp_gt_i32_e32 vcc, s30, v56
	s_waitcnt vmcnt(0)
	v_cndmask_b32_e32 v0, 0, v0, vcc
	buffer_store_dword v0, off, s[48:51], 0 offset:28 ; 4-byte Folded Spill
.LBB215_658:                            ;   in Loop: Header=BB215_606 Depth=1
	s_or_b64 exec, exec, s[6:7]
	global_load_dword v17, v[13:14], off offset:512
	v_mov_b32_e32 v20, 0
	v_mov_b32_e32 v18, 0
	;; [unrolled: 1-line block ×4, first 2 shown]
	s_waitcnt vmcnt(0)
	v_cmp_ne_u16_sdwa s[12:13], v17, v5 src0_sel:BYTE_0 src1_sel:DWORD
	s_and_saveexec_b64 s[6:7], s[12:13]
	s_cbranch_execz .LBB215_664
; %bb.659:                              ;   in Loop: Header=BB215_606 Depth=1
	v_bfrev_b32_e32 v18, 1
	v_mov_b32_e32 v19, 0
	v_cmp_ne_u16_sdwa s[14:15], v17, s24 src0_sel:BYTE_0 src1_sel:DWORD
	s_and_saveexec_b64 s[12:13], s[14:15]
	s_cbranch_execz .LBB215_663
; %bb.660:                              ;   in Loop: Header=BB215_606 Depth=1
	v_and_b32_e32 v0, 0x7f, v17
	v_mov_b32_e32 v18, 0x7f800001
	v_mov_b32_e32 v19, 0
	v_cmp_ne_u32_e32 vcc, s25, v0
	s_and_saveexec_b64 s[14:15], vcc
	s_cbranch_execz .LBB215_662
; %bb.661:                              ;   in Loop: Header=BB215_606 Depth=1
	v_and_b32_e32 v11, 7, v17
	v_lshrrev_b32_e32 v18, 3, v0
	v_cmp_gt_u32_e32 vcc, 8, v0
	v_ffbh_u32_e32 v0, v11
	v_min_u32_e32 v0, 32, v0
	v_subrev_u32_e32 v9, 28, v0
	v_lshlrev_b64 v[9:10], v9, v[17:18]
	v_sub_u32_e32 v0, 29, v0
	v_and_b32_e32 v9, 7, v9
	v_cndmask_b32_e32 v0, v18, v0, vcc
	v_cndmask_b32_e32 v9, v11, v9, vcc
	v_lshlrev_b32_e32 v9, 20, v9
	v_and_b32_sdwa v10, sext(v17), s26 dst_sel:DWORD dst_unused:UNUSED_PAD src0_sel:BYTE_0 src1_sel:DWORD
	v_lshl_add_u32 v0, v0, 23, v26
	v_or3_b32 v18, v10, v0, v9
	v_mov_b32_e32 v19, v5
.LBB215_662:                            ;   in Loop: Header=BB215_606 Depth=1
	s_or_b64 exec, exec, s[14:15]
.LBB215_663:                            ;   in Loop: Header=BB215_606 Depth=1
	s_or_b64 exec, exec, s[12:13]
.LBB215_664:                            ;   in Loop: Header=BB215_606 Depth=1
	s_or_b64 exec, exec, s[6:7]
	v_cmp_ne_u16_sdwa s[12:13], v17, v5 src0_sel:BYTE_1 src1_sel:DWORD
	s_and_saveexec_b64 s[6:7], s[12:13]
	s_cbranch_execz .LBB215_670
; %bb.665:                              ;   in Loop: Header=BB215_606 Depth=1
	v_mov_b32_e32 v21, v6
	v_cmp_ne_u16_sdwa s[14:15], v17, s24 src0_sel:BYTE_1 src1_sel:DWORD
	v_mov_b32_e32 v20, v5
	s_and_saveexec_b64 s[12:13], s[14:15]
	s_cbranch_execz .LBB215_669
; %bb.666:                              ;   in Loop: Header=BB215_606 Depth=1
	v_and_b32_sdwa v0, v17, s25 dst_sel:DWORD dst_unused:UNUSED_PAD src0_sel:BYTE_1 src1_sel:DWORD
	v_mov_b32_e32 v11, v5
	v_mov_b32_e32 v21, v12
	v_cmp_ne_u32_e32 vcc, s25, v0
	v_mov_b32_e32 v20, v11
	s_and_saveexec_b64 s[14:15], vcc
	s_cbranch_execz .LBB215_668
; %bb.667:                              ;   in Loop: Header=BB215_606 Depth=1
	v_mov_b32_e32 v9, 7
	v_and_b32_sdwa v9, v17, v9 dst_sel:DWORD dst_unused:UNUSED_PAD src0_sel:BYTE_1 src1_sel:DWORD
	v_lshrrev_b32_e32 v20, 3, v0
	v_cmp_gt_u32_e32 vcc, 8, v0
	v_ffbh_u32_e32 v0, v9
	v_min_u32_e32 v0, 32, v0
	v_mov_b32_e32 v10, v5
	v_subrev_u32_e32 v11, 28, v0
	v_lshlrev_b64 v[10:11], v11, v[9:10]
	v_sub_u32_e32 v0, 29, v0
	v_and_b32_e32 v10, 7, v10
	v_cndmask_b32_e32 v0, v20, v0, vcc
	v_cndmask_b32_e32 v9, v9, v10, vcc
	v_lshlrev_b32_e32 v10, 16, v17
	v_lshl_add_u32 v0, v0, 23, v26
	v_and_or_b32 v0, v10, s26, v0
	v_lshlrev_b32_e32 v9, 20, v9
	v_or_b32_e32 v21, v0, v9
	v_mov_b32_e32 v20, v5
.LBB215_668:                            ;   in Loop: Header=BB215_606 Depth=1
	s_or_b64 exec, exec, s[14:15]
.LBB215_669:                            ;   in Loop: Header=BB215_606 Depth=1
	s_or_b64 exec, exec, s[12:13]
.LBB215_670:                            ;   in Loop: Header=BB215_606 Depth=1
	s_or_b64 exec, exec, s[6:7]
	v_lshrrev_b32_e32 v11, 16, v17
	v_mov_b32_e32 v24, 0
	v_mov_b32_e32 v22, 0
	;; [unrolled: 1-line block ×4, first 2 shown]
	v_cmp_ne_u16_sdwa s[12:13], v11, v5 src0_sel:BYTE_0 src1_sel:DWORD
	s_and_saveexec_b64 s[6:7], s[12:13]
	s_cbranch_execz .LBB215_676
; %bb.671:                              ;   in Loop: Header=BB215_606 Depth=1
	v_bfrev_b32_e32 v22, 1
	v_mov_b32_e32 v23, 0
	v_cmp_ne_u16_sdwa s[14:15], v11, s24 src0_sel:BYTE_0 src1_sel:DWORD
	s_and_saveexec_b64 s[12:13], s[14:15]
	s_cbranch_execz .LBB215_675
; %bb.672:                              ;   in Loop: Header=BB215_606 Depth=1
	v_bfe_u32 v0, v17, 16, 7
	v_mov_b32_e32 v22, 0x7f800001
	v_mov_b32_e32 v23, 0
	v_cmp_ne_u32_e32 vcc, s25, v0
	s_and_saveexec_b64 s[14:15], vcc
	s_cbranch_execz .LBB215_674
; %bb.673:                              ;   in Loop: Header=BB215_606 Depth=1
	v_and_b32_e32 v22, 7, v11
	v_lshrrev_b32_e32 v23, 3, v0
	v_cmp_gt_u32_e32 vcc, 8, v0
	v_ffbh_u32_e32 v0, v22
	v_min_u32_e32 v0, 32, v0
	v_subrev_u32_e32 v9, 28, v0
	v_lshlrev_b64 v[9:10], v9, v[11:12]
	v_sub_u32_e32 v0, 29, v0
	v_and_b32_e32 v9, 7, v9
	v_cndmask_b32_e32 v0, v23, v0, vcc
	v_cndmask_b32_e32 v9, v22, v9, vcc
	v_lshlrev_b32_e32 v9, 20, v9
	v_and_b32_sdwa v10, sext(v11), s26 dst_sel:DWORD dst_unused:UNUSED_PAD src0_sel:BYTE_0 src1_sel:DWORD
	v_lshl_add_u32 v0, v0, 23, v26
	v_or3_b32 v22, v10, v0, v9
	v_mov_b32_e32 v23, v5
.LBB215_674:                            ;   in Loop: Header=BB215_606 Depth=1
	s_or_b64 exec, exec, s[14:15]
.LBB215_675:                            ;   in Loop: Header=BB215_606 Depth=1
	s_or_b64 exec, exec, s[12:13]
.LBB215_676:                            ;   in Loop: Header=BB215_606 Depth=1
	s_or_b64 exec, exec, s[6:7]
	v_cmp_lt_u32_e32 vcc, s27, v17
	s_and_saveexec_b64 s[6:7], vcc
	s_cbranch_execz .LBB215_682
; %bb.677:                              ;   in Loop: Header=BB215_606 Depth=1
	v_mov_b32_e32 v25, v6
	v_cmp_ne_u32_sdwa s[14:15], v17, s24 src0_sel:BYTE_3 src1_sel:DWORD
	v_mov_b32_e32 v24, v5
	s_and_saveexec_b64 s[12:13], s[14:15]
	s_cbranch_execz .LBB215_681
; %bb.678:                              ;   in Loop: Header=BB215_606 Depth=1
	v_bfe_u32 v0, v17, 24, 7
	v_mov_b32_e32 v11, v5
	v_mov_b32_e32 v25, v12
	v_cmp_ne_u32_e32 vcc, s25, v0
	v_mov_b32_e32 v24, v11
	s_and_saveexec_b64 s[14:15], vcc
	s_cbranch_execz .LBB215_680
; %bb.679:                              ;   in Loop: Header=BB215_606 Depth=1
	v_mov_b32_e32 v9, 7
	v_and_b32_sdwa v9, v17, v9 dst_sel:DWORD dst_unused:UNUSED_PAD src0_sel:BYTE_3 src1_sel:DWORD
	v_lshrrev_b32_e32 v24, 3, v0
	v_cmp_gt_u32_e32 vcc, 8, v0
	v_ffbh_u32_e32 v0, v9
	v_min_u32_e32 v0, 32, v0
	v_mov_b32_e32 v10, v5
	v_subrev_u32_e32 v11, 28, v0
	v_lshlrev_b64 v[10:11], v11, v[9:10]
	v_sub_u32_e32 v0, 29, v0
	v_and_b32_e32 v10, 7, v10
	v_cndmask_b32_e32 v0, v24, v0, vcc
	v_cndmask_b32_e32 v9, v9, v10, vcc
	v_mov_b32_e32 v10, 24
	v_lshlrev_b32_sdwa v10, v10, v17 dst_sel:DWORD dst_unused:UNUSED_PAD src0_sel:DWORD src1_sel:BYTE_3
	v_lshl_add_u32 v0, v0, 23, v26
	v_and_or_b32 v0, v10, s26, v0
	v_lshlrev_b32_e32 v9, 20, v9
	v_or_b32_e32 v25, v0, v9
	v_mov_b32_e32 v24, v5
.LBB215_680:                            ;   in Loop: Header=BB215_606 Depth=1
	s_or_b64 exec, exec, s[14:15]
.LBB215_681:                            ;   in Loop: Header=BB215_606 Depth=1
	s_or_b64 exec, exec, s[12:13]
.LBB215_682:                            ;   in Loop: Header=BB215_606 Depth=1
	s_or_b64 exec, exec, s[6:7]
	v_or_b32_e32 v0, v21, v19
	v_or_b32_e32 v9, v20, v18
	v_mul_f32_e32 v0, s18, v0
	buffer_store_dword v0, off, s[48:51], 0 offset:52 ; 4-byte Folded Spill
	v_mul_f32_e32 v0, s17, v9
	buffer_store_dword v0, off, s[48:51], 0 offset:76 ; 4-byte Folded Spill
	v_or_b32_e32 v0, v25, v23
	v_or_b32_e32 v9, v24, v22
	v_mul_f32_e32 v9, s17, v9
	v_mul_f32_e32 v0, s18, v0
	buffer_store_dword v9, off, s[48:51], 0 offset:68 ; 4-byte Folded Spill
	buffer_store_dword v0, off, s[48:51], 0 offset:60 ; 4-byte Folded Spill
	s_and_saveexec_b64 s[6:7], s[0:1]
	s_cbranch_execz .LBB215_684
; %bb.683:                              ;   in Loop: Header=BB215_606 Depth=1
	v_add_u32_e32 v0, -3, v56
	v_cmp_gt_i32_e32 vcc, s30, v0
	buffer_load_dword v0, off, s[48:51], 0 offset:76 ; 4-byte Folded Reload
	s_waitcnt vmcnt(0)
	v_cndmask_b32_e32 v0, 0, v0, vcc
	buffer_store_dword v0, off, s[48:51], 0 offset:76 ; 4-byte Folded Spill
	v_add_u32_e32 v0, -2, v56
	v_cmp_gt_i32_e32 vcc, s30, v0
	buffer_load_dword v0, off, s[48:51], 0 offset:52 ; 4-byte Folded Reload
	s_waitcnt vmcnt(0)
	v_cndmask_b32_e32 v0, 0, v0, vcc
	buffer_store_dword v0, off, s[48:51], 0 offset:52 ; 4-byte Folded Spill
	;; [unrolled: 6-line block ×3, first 2 shown]
	buffer_load_dword v0, off, s[48:51], 0 offset:60 ; 4-byte Folded Reload
	v_cmp_gt_i32_e32 vcc, s30, v56
	s_waitcnt vmcnt(0)
	v_cndmask_b32_e32 v0, 0, v0, vcc
	buffer_store_dword v0, off, s[48:51], 0 offset:60 ; 4-byte Folded Spill
.LBB215_684:                            ;   in Loop: Header=BB215_606 Depth=1
	s_or_b64 exec, exec, s[6:7]
	global_load_dword v17, v[13:14], off offset:768
	v_mov_b32_e32 v20, 0
	v_mov_b32_e32 v18, 0
	;; [unrolled: 1-line block ×4, first 2 shown]
	s_waitcnt vmcnt(0)
	v_cmp_ne_u16_sdwa s[12:13], v17, v5 src0_sel:BYTE_0 src1_sel:DWORD
	s_and_saveexec_b64 s[6:7], s[12:13]
	s_cbranch_execz .LBB215_690
; %bb.685:                              ;   in Loop: Header=BB215_606 Depth=1
	v_bfrev_b32_e32 v18, 1
	v_mov_b32_e32 v19, 0
	v_cmp_ne_u16_sdwa s[14:15], v17, s24 src0_sel:BYTE_0 src1_sel:DWORD
	s_and_saveexec_b64 s[12:13], s[14:15]
	s_cbranch_execz .LBB215_689
; %bb.686:                              ;   in Loop: Header=BB215_606 Depth=1
	v_and_b32_e32 v0, 0x7f, v17
	v_mov_b32_e32 v18, 0x7f800001
	v_mov_b32_e32 v19, 0
	v_cmp_ne_u32_e32 vcc, s25, v0
	s_and_saveexec_b64 s[14:15], vcc
	s_cbranch_execz .LBB215_688
; %bb.687:                              ;   in Loop: Header=BB215_606 Depth=1
	v_and_b32_e32 v11, 7, v17
	v_lshrrev_b32_e32 v18, 3, v0
	v_cmp_gt_u32_e32 vcc, 8, v0
	v_ffbh_u32_e32 v0, v11
	v_min_u32_e32 v0, 32, v0
	v_subrev_u32_e32 v9, 28, v0
	v_lshlrev_b64 v[9:10], v9, v[17:18]
	v_sub_u32_e32 v0, 29, v0
	v_and_b32_e32 v9, 7, v9
	v_cndmask_b32_e32 v0, v18, v0, vcc
	v_cndmask_b32_e32 v9, v11, v9, vcc
	v_lshlrev_b32_e32 v9, 20, v9
	v_and_b32_sdwa v10, sext(v17), s26 dst_sel:DWORD dst_unused:UNUSED_PAD src0_sel:BYTE_0 src1_sel:DWORD
	v_lshl_add_u32 v0, v0, 23, v26
	v_or3_b32 v18, v10, v0, v9
	v_mov_b32_e32 v19, v5
.LBB215_688:                            ;   in Loop: Header=BB215_606 Depth=1
	s_or_b64 exec, exec, s[14:15]
.LBB215_689:                            ;   in Loop: Header=BB215_606 Depth=1
	s_or_b64 exec, exec, s[12:13]
.LBB215_690:                            ;   in Loop: Header=BB215_606 Depth=1
	s_or_b64 exec, exec, s[6:7]
	v_cmp_ne_u16_sdwa s[12:13], v17, v5 src0_sel:BYTE_1 src1_sel:DWORD
	s_and_saveexec_b64 s[6:7], s[12:13]
	s_cbranch_execz .LBB215_696
; %bb.691:                              ;   in Loop: Header=BB215_606 Depth=1
	v_mov_b32_e32 v21, v6
	v_cmp_ne_u16_sdwa s[14:15], v17, s24 src0_sel:BYTE_1 src1_sel:DWORD
	v_mov_b32_e32 v20, v5
	s_and_saveexec_b64 s[12:13], s[14:15]
	s_cbranch_execz .LBB215_695
; %bb.692:                              ;   in Loop: Header=BB215_606 Depth=1
	v_and_b32_sdwa v0, v17, s25 dst_sel:DWORD dst_unused:UNUSED_PAD src0_sel:BYTE_1 src1_sel:DWORD
	v_mov_b32_e32 v11, v5
	v_mov_b32_e32 v21, v12
	v_cmp_ne_u32_e32 vcc, s25, v0
	v_mov_b32_e32 v20, v11
	s_and_saveexec_b64 s[14:15], vcc
	s_cbranch_execz .LBB215_694
; %bb.693:                              ;   in Loop: Header=BB215_606 Depth=1
	v_mov_b32_e32 v9, 7
	v_and_b32_sdwa v9, v17, v9 dst_sel:DWORD dst_unused:UNUSED_PAD src0_sel:BYTE_1 src1_sel:DWORD
	v_lshrrev_b32_e32 v20, 3, v0
	v_cmp_gt_u32_e32 vcc, 8, v0
	v_ffbh_u32_e32 v0, v9
	v_min_u32_e32 v0, 32, v0
	v_mov_b32_e32 v10, v5
	v_subrev_u32_e32 v11, 28, v0
	v_lshlrev_b64 v[10:11], v11, v[9:10]
	v_sub_u32_e32 v0, 29, v0
	v_and_b32_e32 v10, 7, v10
	v_cndmask_b32_e32 v0, v20, v0, vcc
	v_cndmask_b32_e32 v9, v9, v10, vcc
	v_lshlrev_b32_e32 v10, 16, v17
	v_lshl_add_u32 v0, v0, 23, v26
	v_and_or_b32 v0, v10, s26, v0
	v_lshlrev_b32_e32 v9, 20, v9
	v_or_b32_e32 v21, v0, v9
	v_mov_b32_e32 v20, v5
.LBB215_694:                            ;   in Loop: Header=BB215_606 Depth=1
	s_or_b64 exec, exec, s[14:15]
.LBB215_695:                            ;   in Loop: Header=BB215_606 Depth=1
	s_or_b64 exec, exec, s[12:13]
.LBB215_696:                            ;   in Loop: Header=BB215_606 Depth=1
	s_or_b64 exec, exec, s[6:7]
	v_lshrrev_b32_e32 v11, 16, v17
	v_mov_b32_e32 v24, 0
	v_mov_b32_e32 v22, 0
	;; [unrolled: 1-line block ×4, first 2 shown]
	v_cmp_ne_u16_sdwa s[12:13], v11, v5 src0_sel:BYTE_0 src1_sel:DWORD
	s_and_saveexec_b64 s[6:7], s[12:13]
	s_cbranch_execz .LBB215_702
; %bb.697:                              ;   in Loop: Header=BB215_606 Depth=1
	v_bfrev_b32_e32 v22, 1
	v_mov_b32_e32 v23, 0
	v_cmp_ne_u16_sdwa s[14:15], v11, s24 src0_sel:BYTE_0 src1_sel:DWORD
	s_and_saveexec_b64 s[12:13], s[14:15]
	s_cbranch_execz .LBB215_701
; %bb.698:                              ;   in Loop: Header=BB215_606 Depth=1
	v_bfe_u32 v0, v17, 16, 7
	v_mov_b32_e32 v22, 0x7f800001
	v_mov_b32_e32 v23, 0
	v_cmp_ne_u32_e32 vcc, s25, v0
	s_and_saveexec_b64 s[14:15], vcc
	s_cbranch_execz .LBB215_700
; %bb.699:                              ;   in Loop: Header=BB215_606 Depth=1
	v_and_b32_e32 v22, 7, v11
	v_lshrrev_b32_e32 v23, 3, v0
	v_cmp_gt_u32_e32 vcc, 8, v0
	v_ffbh_u32_e32 v0, v22
	v_min_u32_e32 v0, 32, v0
	v_subrev_u32_e32 v9, 28, v0
	v_lshlrev_b64 v[9:10], v9, v[11:12]
	v_sub_u32_e32 v0, 29, v0
	v_and_b32_e32 v9, 7, v9
	v_cndmask_b32_e32 v0, v23, v0, vcc
	v_cndmask_b32_e32 v9, v22, v9, vcc
	v_lshlrev_b32_e32 v9, 20, v9
	v_and_b32_sdwa v10, sext(v11), s26 dst_sel:DWORD dst_unused:UNUSED_PAD src0_sel:BYTE_0 src1_sel:DWORD
	v_lshl_add_u32 v0, v0, 23, v26
	v_or3_b32 v22, v10, v0, v9
	v_mov_b32_e32 v23, v5
.LBB215_700:                            ;   in Loop: Header=BB215_606 Depth=1
	s_or_b64 exec, exec, s[14:15]
.LBB215_701:                            ;   in Loop: Header=BB215_606 Depth=1
	s_or_b64 exec, exec, s[12:13]
.LBB215_702:                            ;   in Loop: Header=BB215_606 Depth=1
	s_or_b64 exec, exec, s[6:7]
	v_cmp_lt_u32_e32 vcc, s27, v17
	s_and_saveexec_b64 s[6:7], vcc
	s_cbranch_execz .LBB215_708
; %bb.703:                              ;   in Loop: Header=BB215_606 Depth=1
	v_mov_b32_e32 v25, v6
	v_cmp_ne_u32_sdwa s[14:15], v17, s24 src0_sel:BYTE_3 src1_sel:DWORD
	v_mov_b32_e32 v24, v5
	s_and_saveexec_b64 s[12:13], s[14:15]
	s_cbranch_execz .LBB215_707
; %bb.704:                              ;   in Loop: Header=BB215_606 Depth=1
	v_bfe_u32 v0, v17, 24, 7
	v_mov_b32_e32 v11, v5
	v_mov_b32_e32 v25, v12
	v_cmp_ne_u32_e32 vcc, s25, v0
	v_mov_b32_e32 v24, v11
	s_and_saveexec_b64 s[14:15], vcc
	s_cbranch_execz .LBB215_706
; %bb.705:                              ;   in Loop: Header=BB215_606 Depth=1
	v_mov_b32_e32 v9, 7
	v_and_b32_sdwa v9, v17, v9 dst_sel:DWORD dst_unused:UNUSED_PAD src0_sel:BYTE_3 src1_sel:DWORD
	v_lshrrev_b32_e32 v24, 3, v0
	v_cmp_gt_u32_e32 vcc, 8, v0
	v_ffbh_u32_e32 v0, v9
	v_min_u32_e32 v0, 32, v0
	v_mov_b32_e32 v10, v5
	v_subrev_u32_e32 v11, 28, v0
	v_lshlrev_b64 v[10:11], v11, v[9:10]
	v_sub_u32_e32 v0, 29, v0
	v_and_b32_e32 v10, 7, v10
	v_cndmask_b32_e32 v0, v24, v0, vcc
	v_cndmask_b32_e32 v9, v9, v10, vcc
	v_mov_b32_e32 v10, 24
	v_lshlrev_b32_sdwa v10, v10, v17 dst_sel:DWORD dst_unused:UNUSED_PAD src0_sel:DWORD src1_sel:BYTE_3
	v_lshl_add_u32 v0, v0, 23, v26
	v_and_or_b32 v0, v10, s26, v0
	v_lshlrev_b32_e32 v9, 20, v9
	v_or_b32_e32 v25, v0, v9
	v_mov_b32_e32 v24, v5
.LBB215_706:                            ;   in Loop: Header=BB215_606 Depth=1
	s_or_b64 exec, exec, s[14:15]
.LBB215_707:                            ;   in Loop: Header=BB215_606 Depth=1
	s_or_b64 exec, exec, s[12:13]
.LBB215_708:                            ;   in Loop: Header=BB215_606 Depth=1
	s_or_b64 exec, exec, s[6:7]
	v_or_b32_e32 v0, v21, v19
	v_or_b32_e32 v9, v20, v18
	v_mul_f32_e32 v0, s18, v0
	buffer_store_dword v0, off, s[48:51], 0 offset:84 ; 4-byte Folded Spill
	v_mul_f32_e32 v0, s17, v9
	buffer_store_dword v0, off, s[48:51], 0 offset:108 ; 4-byte Folded Spill
	v_or_b32_e32 v0, v25, v23
	v_or_b32_e32 v9, v24, v22
	v_mul_f32_e32 v9, s17, v9
	v_mul_f32_e32 v0, s18, v0
	buffer_store_dword v9, off, s[48:51], 0 offset:100 ; 4-byte Folded Spill
	buffer_store_dword v0, off, s[48:51], 0 offset:92 ; 4-byte Folded Spill
	s_and_saveexec_b64 s[6:7], s[0:1]
	s_cbranch_execz .LBB215_710
; %bb.709:                              ;   in Loop: Header=BB215_606 Depth=1
	v_add_u32_e32 v0, -3, v56
	v_cmp_gt_i32_e32 vcc, s30, v0
	buffer_load_dword v0, off, s[48:51], 0 offset:108 ; 4-byte Folded Reload
	s_waitcnt vmcnt(0)
	v_cndmask_b32_e32 v0, 0, v0, vcc
	buffer_store_dword v0, off, s[48:51], 0 offset:108 ; 4-byte Folded Spill
	v_add_u32_e32 v0, -2, v56
	v_cmp_gt_i32_e32 vcc, s30, v0
	buffer_load_dword v0, off, s[48:51], 0 offset:84 ; 4-byte Folded Reload
	s_waitcnt vmcnt(0)
	v_cndmask_b32_e32 v0, 0, v0, vcc
	buffer_store_dword v0, off, s[48:51], 0 offset:84 ; 4-byte Folded Spill
	;; [unrolled: 6-line block ×3, first 2 shown]
	buffer_load_dword v0, off, s[48:51], 0 offset:92 ; 4-byte Folded Reload
	v_cmp_gt_i32_e32 vcc, s30, v56
	s_waitcnt vmcnt(0)
	v_cndmask_b32_e32 v0, 0, v0, vcc
	buffer_store_dword v0, off, s[48:51], 0 offset:92 ; 4-byte Folded Spill
.LBB215_710:                            ;   in Loop: Header=BB215_606 Depth=1
	s_or_b64 exec, exec, s[6:7]
	global_load_dword v17, v[13:14], off offset:1024
	v_mov_b32_e32 v20, 0
	v_mov_b32_e32 v18, 0
	;; [unrolled: 1-line block ×4, first 2 shown]
	s_waitcnt vmcnt(0)
	v_cmp_ne_u16_sdwa s[12:13], v17, v5 src0_sel:BYTE_0 src1_sel:DWORD
	s_and_saveexec_b64 s[6:7], s[12:13]
	s_cbranch_execz .LBB215_716
; %bb.711:                              ;   in Loop: Header=BB215_606 Depth=1
	v_bfrev_b32_e32 v18, 1
	v_mov_b32_e32 v19, 0
	v_cmp_ne_u16_sdwa s[14:15], v17, s24 src0_sel:BYTE_0 src1_sel:DWORD
	s_and_saveexec_b64 s[12:13], s[14:15]
	s_cbranch_execz .LBB215_715
; %bb.712:                              ;   in Loop: Header=BB215_606 Depth=1
	v_and_b32_e32 v0, 0x7f, v17
	v_mov_b32_e32 v18, 0x7f800001
	v_mov_b32_e32 v19, 0
	v_cmp_ne_u32_e32 vcc, s25, v0
	s_and_saveexec_b64 s[14:15], vcc
	s_cbranch_execz .LBB215_714
; %bb.713:                              ;   in Loop: Header=BB215_606 Depth=1
	v_and_b32_e32 v11, 7, v17
	v_lshrrev_b32_e32 v18, 3, v0
	v_cmp_gt_u32_e32 vcc, 8, v0
	v_ffbh_u32_e32 v0, v11
	v_min_u32_e32 v0, 32, v0
	v_subrev_u32_e32 v9, 28, v0
	v_lshlrev_b64 v[9:10], v9, v[17:18]
	v_sub_u32_e32 v0, 29, v0
	v_and_b32_e32 v9, 7, v9
	v_cndmask_b32_e32 v0, v18, v0, vcc
	v_cndmask_b32_e32 v9, v11, v9, vcc
	v_lshlrev_b32_e32 v9, 20, v9
	v_and_b32_sdwa v10, sext(v17), s26 dst_sel:DWORD dst_unused:UNUSED_PAD src0_sel:BYTE_0 src1_sel:DWORD
	v_lshl_add_u32 v0, v0, 23, v26
	v_or3_b32 v18, v10, v0, v9
	v_mov_b32_e32 v19, v5
.LBB215_714:                            ;   in Loop: Header=BB215_606 Depth=1
	s_or_b64 exec, exec, s[14:15]
.LBB215_715:                            ;   in Loop: Header=BB215_606 Depth=1
	s_or_b64 exec, exec, s[12:13]
.LBB215_716:                            ;   in Loop: Header=BB215_606 Depth=1
	s_or_b64 exec, exec, s[6:7]
	v_cmp_ne_u16_sdwa s[12:13], v17, v5 src0_sel:BYTE_1 src1_sel:DWORD
	s_and_saveexec_b64 s[6:7], s[12:13]
	s_cbranch_execz .LBB215_722
; %bb.717:                              ;   in Loop: Header=BB215_606 Depth=1
	v_mov_b32_e32 v21, v6
	v_cmp_ne_u16_sdwa s[14:15], v17, s24 src0_sel:BYTE_1 src1_sel:DWORD
	v_mov_b32_e32 v20, v5
	s_and_saveexec_b64 s[12:13], s[14:15]
	s_cbranch_execz .LBB215_721
; %bb.718:                              ;   in Loop: Header=BB215_606 Depth=1
	v_and_b32_sdwa v0, v17, s25 dst_sel:DWORD dst_unused:UNUSED_PAD src0_sel:BYTE_1 src1_sel:DWORD
	v_mov_b32_e32 v11, v5
	v_mov_b32_e32 v21, v12
	v_cmp_ne_u32_e32 vcc, s25, v0
	v_mov_b32_e32 v20, v11
	s_and_saveexec_b64 s[14:15], vcc
	s_cbranch_execz .LBB215_720
; %bb.719:                              ;   in Loop: Header=BB215_606 Depth=1
	v_mov_b32_e32 v9, 7
	v_and_b32_sdwa v9, v17, v9 dst_sel:DWORD dst_unused:UNUSED_PAD src0_sel:BYTE_1 src1_sel:DWORD
	v_lshrrev_b32_e32 v20, 3, v0
	v_cmp_gt_u32_e32 vcc, 8, v0
	v_ffbh_u32_e32 v0, v9
	v_min_u32_e32 v0, 32, v0
	v_mov_b32_e32 v10, v5
	v_subrev_u32_e32 v11, 28, v0
	v_lshlrev_b64 v[10:11], v11, v[9:10]
	v_sub_u32_e32 v0, 29, v0
	v_and_b32_e32 v10, 7, v10
	v_cndmask_b32_e32 v0, v20, v0, vcc
	v_cndmask_b32_e32 v9, v9, v10, vcc
	v_lshlrev_b32_e32 v10, 16, v17
	v_lshl_add_u32 v0, v0, 23, v26
	v_and_or_b32 v0, v10, s26, v0
	v_lshlrev_b32_e32 v9, 20, v9
	v_or_b32_e32 v21, v0, v9
	v_mov_b32_e32 v20, v5
.LBB215_720:                            ;   in Loop: Header=BB215_606 Depth=1
	s_or_b64 exec, exec, s[14:15]
.LBB215_721:                            ;   in Loop: Header=BB215_606 Depth=1
	s_or_b64 exec, exec, s[12:13]
.LBB215_722:                            ;   in Loop: Header=BB215_606 Depth=1
	s_or_b64 exec, exec, s[6:7]
	v_lshrrev_b32_e32 v11, 16, v17
	v_mov_b32_e32 v24, 0
	v_mov_b32_e32 v22, 0
	;; [unrolled: 1-line block ×4, first 2 shown]
	v_cmp_ne_u16_sdwa s[12:13], v11, v5 src0_sel:BYTE_0 src1_sel:DWORD
	s_and_saveexec_b64 s[6:7], s[12:13]
	s_cbranch_execz .LBB215_728
; %bb.723:                              ;   in Loop: Header=BB215_606 Depth=1
	v_bfrev_b32_e32 v22, 1
	v_mov_b32_e32 v23, 0
	v_cmp_ne_u16_sdwa s[14:15], v11, s24 src0_sel:BYTE_0 src1_sel:DWORD
	s_and_saveexec_b64 s[12:13], s[14:15]
	s_cbranch_execz .LBB215_727
; %bb.724:                              ;   in Loop: Header=BB215_606 Depth=1
	v_bfe_u32 v0, v17, 16, 7
	v_mov_b32_e32 v22, 0x7f800001
	v_mov_b32_e32 v23, 0
	v_cmp_ne_u32_e32 vcc, s25, v0
	s_and_saveexec_b64 s[14:15], vcc
	s_cbranch_execz .LBB215_726
; %bb.725:                              ;   in Loop: Header=BB215_606 Depth=1
	v_and_b32_e32 v22, 7, v11
	v_lshrrev_b32_e32 v23, 3, v0
	v_cmp_gt_u32_e32 vcc, 8, v0
	v_ffbh_u32_e32 v0, v22
	v_min_u32_e32 v0, 32, v0
	v_subrev_u32_e32 v9, 28, v0
	v_lshlrev_b64 v[9:10], v9, v[11:12]
	v_sub_u32_e32 v0, 29, v0
	v_and_b32_e32 v9, 7, v9
	v_cndmask_b32_e32 v0, v23, v0, vcc
	v_cndmask_b32_e32 v9, v22, v9, vcc
	v_lshlrev_b32_e32 v9, 20, v9
	v_and_b32_sdwa v10, sext(v11), s26 dst_sel:DWORD dst_unused:UNUSED_PAD src0_sel:BYTE_0 src1_sel:DWORD
	v_lshl_add_u32 v0, v0, 23, v26
	v_or3_b32 v22, v10, v0, v9
	v_mov_b32_e32 v23, v5
.LBB215_726:                            ;   in Loop: Header=BB215_606 Depth=1
	s_or_b64 exec, exec, s[14:15]
.LBB215_727:                            ;   in Loop: Header=BB215_606 Depth=1
	s_or_b64 exec, exec, s[12:13]
.LBB215_728:                            ;   in Loop: Header=BB215_606 Depth=1
	s_or_b64 exec, exec, s[6:7]
	v_cmp_lt_u32_e32 vcc, s27, v17
	s_and_saveexec_b64 s[6:7], vcc
	s_cbranch_execz .LBB215_734
; %bb.729:                              ;   in Loop: Header=BB215_606 Depth=1
	v_mov_b32_e32 v25, v6
	v_cmp_ne_u32_sdwa s[14:15], v17, s24 src0_sel:BYTE_3 src1_sel:DWORD
	v_mov_b32_e32 v24, v5
	s_and_saveexec_b64 s[12:13], s[14:15]
	s_cbranch_execz .LBB215_733
; %bb.730:                              ;   in Loop: Header=BB215_606 Depth=1
	v_bfe_u32 v0, v17, 24, 7
	v_mov_b32_e32 v11, v5
	v_mov_b32_e32 v25, v12
	v_cmp_ne_u32_e32 vcc, s25, v0
	v_mov_b32_e32 v24, v11
	s_and_saveexec_b64 s[14:15], vcc
	s_cbranch_execz .LBB215_732
; %bb.731:                              ;   in Loop: Header=BB215_606 Depth=1
	v_mov_b32_e32 v9, 7
	v_and_b32_sdwa v9, v17, v9 dst_sel:DWORD dst_unused:UNUSED_PAD src0_sel:BYTE_3 src1_sel:DWORD
	v_lshrrev_b32_e32 v24, 3, v0
	v_cmp_gt_u32_e32 vcc, 8, v0
	v_ffbh_u32_e32 v0, v9
	v_min_u32_e32 v0, 32, v0
	v_mov_b32_e32 v10, v5
	v_subrev_u32_e32 v11, 28, v0
	v_lshlrev_b64 v[10:11], v11, v[9:10]
	v_sub_u32_e32 v0, 29, v0
	v_and_b32_e32 v10, 7, v10
	v_cndmask_b32_e32 v0, v24, v0, vcc
	v_cndmask_b32_e32 v9, v9, v10, vcc
	v_mov_b32_e32 v10, 24
	v_lshlrev_b32_sdwa v10, v10, v17 dst_sel:DWORD dst_unused:UNUSED_PAD src0_sel:DWORD src1_sel:BYTE_3
	v_lshl_add_u32 v0, v0, 23, v26
	v_and_or_b32 v0, v10, s26, v0
	v_lshlrev_b32_e32 v9, 20, v9
	v_or_b32_e32 v25, v0, v9
	v_mov_b32_e32 v24, v5
.LBB215_732:                            ;   in Loop: Header=BB215_606 Depth=1
	s_or_b64 exec, exec, s[14:15]
.LBB215_733:                            ;   in Loop: Header=BB215_606 Depth=1
	s_or_b64 exec, exec, s[12:13]
.LBB215_734:                            ;   in Loop: Header=BB215_606 Depth=1
	s_or_b64 exec, exec, s[6:7]
	v_or_b32_e32 v0, v21, v19
	v_or_b32_e32 v9, v20, v18
	v_mul_f32_e32 v0, s18, v0
	buffer_store_dword v0, off, s[48:51], 0 offset:116 ; 4-byte Folded Spill
	v_mul_f32_e32 v0, s17, v9
	buffer_store_dword v0, off, s[48:51], 0 offset:140 ; 4-byte Folded Spill
	v_or_b32_e32 v0, v25, v23
	v_or_b32_e32 v9, v24, v22
	v_mul_f32_e32 v9, s17, v9
	v_mul_f32_e32 v0, s18, v0
	buffer_store_dword v9, off, s[48:51], 0 offset:132 ; 4-byte Folded Spill
	buffer_store_dword v0, off, s[48:51], 0 offset:124 ; 4-byte Folded Spill
	s_and_saveexec_b64 s[6:7], s[0:1]
	s_cbranch_execz .LBB215_736
; %bb.735:                              ;   in Loop: Header=BB215_606 Depth=1
	v_add_u32_e32 v0, -3, v56
	v_cmp_gt_i32_e32 vcc, s30, v0
	buffer_load_dword v0, off, s[48:51], 0 offset:140 ; 4-byte Folded Reload
	s_waitcnt vmcnt(0)
	v_cndmask_b32_e32 v0, 0, v0, vcc
	buffer_store_dword v0, off, s[48:51], 0 offset:140 ; 4-byte Folded Spill
	v_add_u32_e32 v0, -2, v56
	v_cmp_gt_i32_e32 vcc, s30, v0
	buffer_load_dword v0, off, s[48:51], 0 offset:116 ; 4-byte Folded Reload
	s_waitcnt vmcnt(0)
	v_cndmask_b32_e32 v0, 0, v0, vcc
	buffer_store_dword v0, off, s[48:51], 0 offset:116 ; 4-byte Folded Spill
	;; [unrolled: 6-line block ×3, first 2 shown]
	buffer_load_dword v0, off, s[48:51], 0 offset:124 ; 4-byte Folded Reload
	v_cmp_gt_i32_e32 vcc, s30, v56
	s_waitcnt vmcnt(0)
	v_cndmask_b32_e32 v0, 0, v0, vcc
	buffer_store_dword v0, off, s[48:51], 0 offset:124 ; 4-byte Folded Spill
.LBB215_736:                            ;   in Loop: Header=BB215_606 Depth=1
	s_or_b64 exec, exec, s[6:7]
	global_load_dword v17, v[13:14], off offset:1280
	v_mov_b32_e32 v20, 0
	v_mov_b32_e32 v18, 0
	;; [unrolled: 1-line block ×4, first 2 shown]
	s_waitcnt vmcnt(0)
	v_cmp_ne_u16_sdwa s[12:13], v17, v5 src0_sel:BYTE_0 src1_sel:DWORD
	s_and_saveexec_b64 s[6:7], s[12:13]
	s_cbranch_execz .LBB215_742
; %bb.737:                              ;   in Loop: Header=BB215_606 Depth=1
	v_bfrev_b32_e32 v18, 1
	v_mov_b32_e32 v19, 0
	v_cmp_ne_u16_sdwa s[14:15], v17, s24 src0_sel:BYTE_0 src1_sel:DWORD
	s_and_saveexec_b64 s[12:13], s[14:15]
	s_cbranch_execz .LBB215_741
; %bb.738:                              ;   in Loop: Header=BB215_606 Depth=1
	v_and_b32_e32 v0, 0x7f, v17
	v_mov_b32_e32 v18, 0x7f800001
	v_mov_b32_e32 v19, 0
	v_cmp_ne_u32_e32 vcc, s25, v0
	s_and_saveexec_b64 s[14:15], vcc
	s_cbranch_execz .LBB215_740
; %bb.739:                              ;   in Loop: Header=BB215_606 Depth=1
	v_and_b32_e32 v11, 7, v17
	v_lshrrev_b32_e32 v18, 3, v0
	v_cmp_gt_u32_e32 vcc, 8, v0
	v_ffbh_u32_e32 v0, v11
	v_min_u32_e32 v0, 32, v0
	v_subrev_u32_e32 v9, 28, v0
	v_lshlrev_b64 v[9:10], v9, v[17:18]
	v_sub_u32_e32 v0, 29, v0
	v_and_b32_e32 v9, 7, v9
	v_cndmask_b32_e32 v0, v18, v0, vcc
	v_cndmask_b32_e32 v9, v11, v9, vcc
	v_lshlrev_b32_e32 v9, 20, v9
	v_and_b32_sdwa v10, sext(v17), s26 dst_sel:DWORD dst_unused:UNUSED_PAD src0_sel:BYTE_0 src1_sel:DWORD
	v_lshl_add_u32 v0, v0, 23, v26
	v_or3_b32 v18, v10, v0, v9
	v_mov_b32_e32 v19, v5
.LBB215_740:                            ;   in Loop: Header=BB215_606 Depth=1
	s_or_b64 exec, exec, s[14:15]
.LBB215_741:                            ;   in Loop: Header=BB215_606 Depth=1
	s_or_b64 exec, exec, s[12:13]
.LBB215_742:                            ;   in Loop: Header=BB215_606 Depth=1
	s_or_b64 exec, exec, s[6:7]
	v_cmp_ne_u16_sdwa s[12:13], v17, v5 src0_sel:BYTE_1 src1_sel:DWORD
	s_and_saveexec_b64 s[6:7], s[12:13]
	s_cbranch_execz .LBB215_748
; %bb.743:                              ;   in Loop: Header=BB215_606 Depth=1
	v_mov_b32_e32 v21, v6
	v_cmp_ne_u16_sdwa s[14:15], v17, s24 src0_sel:BYTE_1 src1_sel:DWORD
	v_mov_b32_e32 v20, v5
	s_and_saveexec_b64 s[12:13], s[14:15]
	s_cbranch_execz .LBB215_747
; %bb.744:                              ;   in Loop: Header=BB215_606 Depth=1
	v_and_b32_sdwa v0, v17, s25 dst_sel:DWORD dst_unused:UNUSED_PAD src0_sel:BYTE_1 src1_sel:DWORD
	v_mov_b32_e32 v11, v5
	v_mov_b32_e32 v21, v12
	v_cmp_ne_u32_e32 vcc, s25, v0
	v_mov_b32_e32 v20, v11
	s_and_saveexec_b64 s[14:15], vcc
	s_cbranch_execz .LBB215_746
; %bb.745:                              ;   in Loop: Header=BB215_606 Depth=1
	v_mov_b32_e32 v9, 7
	v_and_b32_sdwa v9, v17, v9 dst_sel:DWORD dst_unused:UNUSED_PAD src0_sel:BYTE_1 src1_sel:DWORD
	v_lshrrev_b32_e32 v20, 3, v0
	v_cmp_gt_u32_e32 vcc, 8, v0
	v_ffbh_u32_e32 v0, v9
	v_min_u32_e32 v0, 32, v0
	v_mov_b32_e32 v10, v5
	v_subrev_u32_e32 v11, 28, v0
	v_lshlrev_b64 v[10:11], v11, v[9:10]
	v_sub_u32_e32 v0, 29, v0
	v_and_b32_e32 v10, 7, v10
	v_cndmask_b32_e32 v0, v20, v0, vcc
	v_cndmask_b32_e32 v9, v9, v10, vcc
	v_lshlrev_b32_e32 v10, 16, v17
	v_lshl_add_u32 v0, v0, 23, v26
	v_and_or_b32 v0, v10, s26, v0
	v_lshlrev_b32_e32 v9, 20, v9
	v_or_b32_e32 v21, v0, v9
	v_mov_b32_e32 v20, v5
.LBB215_746:                            ;   in Loop: Header=BB215_606 Depth=1
	s_or_b64 exec, exec, s[14:15]
.LBB215_747:                            ;   in Loop: Header=BB215_606 Depth=1
	s_or_b64 exec, exec, s[12:13]
.LBB215_748:                            ;   in Loop: Header=BB215_606 Depth=1
	s_or_b64 exec, exec, s[6:7]
	v_lshrrev_b32_e32 v11, 16, v17
	v_mov_b32_e32 v24, 0
	v_mov_b32_e32 v22, 0
	;; [unrolled: 1-line block ×4, first 2 shown]
	v_cmp_ne_u16_sdwa s[12:13], v11, v5 src0_sel:BYTE_0 src1_sel:DWORD
	s_and_saveexec_b64 s[6:7], s[12:13]
	s_cbranch_execz .LBB215_754
; %bb.749:                              ;   in Loop: Header=BB215_606 Depth=1
	v_bfrev_b32_e32 v22, 1
	v_mov_b32_e32 v23, 0
	v_cmp_ne_u16_sdwa s[14:15], v11, s24 src0_sel:BYTE_0 src1_sel:DWORD
	s_and_saveexec_b64 s[12:13], s[14:15]
	s_cbranch_execz .LBB215_753
; %bb.750:                              ;   in Loop: Header=BB215_606 Depth=1
	v_bfe_u32 v0, v17, 16, 7
	v_mov_b32_e32 v22, 0x7f800001
	v_mov_b32_e32 v23, 0
	v_cmp_ne_u32_e32 vcc, s25, v0
	s_and_saveexec_b64 s[14:15], vcc
	s_cbranch_execz .LBB215_752
; %bb.751:                              ;   in Loop: Header=BB215_606 Depth=1
	v_and_b32_e32 v22, 7, v11
	v_lshrrev_b32_e32 v23, 3, v0
	v_cmp_gt_u32_e32 vcc, 8, v0
	v_ffbh_u32_e32 v0, v22
	v_min_u32_e32 v0, 32, v0
	v_subrev_u32_e32 v9, 28, v0
	v_lshlrev_b64 v[9:10], v9, v[11:12]
	v_sub_u32_e32 v0, 29, v0
	v_and_b32_e32 v9, 7, v9
	v_cndmask_b32_e32 v0, v23, v0, vcc
	v_cndmask_b32_e32 v9, v22, v9, vcc
	v_lshlrev_b32_e32 v9, 20, v9
	v_and_b32_sdwa v10, sext(v11), s26 dst_sel:DWORD dst_unused:UNUSED_PAD src0_sel:BYTE_0 src1_sel:DWORD
	v_lshl_add_u32 v0, v0, 23, v26
	v_or3_b32 v22, v10, v0, v9
	v_mov_b32_e32 v23, v5
.LBB215_752:                            ;   in Loop: Header=BB215_606 Depth=1
	s_or_b64 exec, exec, s[14:15]
.LBB215_753:                            ;   in Loop: Header=BB215_606 Depth=1
	s_or_b64 exec, exec, s[12:13]
.LBB215_754:                            ;   in Loop: Header=BB215_606 Depth=1
	s_or_b64 exec, exec, s[6:7]
	v_cmp_lt_u32_e32 vcc, s27, v17
	s_and_saveexec_b64 s[6:7], vcc
	s_cbranch_execz .LBB215_760
; %bb.755:                              ;   in Loop: Header=BB215_606 Depth=1
	v_mov_b32_e32 v25, v6
	v_cmp_ne_u32_sdwa s[14:15], v17, s24 src0_sel:BYTE_3 src1_sel:DWORD
	v_mov_b32_e32 v24, v5
	s_and_saveexec_b64 s[12:13], s[14:15]
	s_cbranch_execz .LBB215_759
; %bb.756:                              ;   in Loop: Header=BB215_606 Depth=1
	v_bfe_u32 v0, v17, 24, 7
	v_mov_b32_e32 v11, v5
	v_mov_b32_e32 v25, v12
	v_cmp_ne_u32_e32 vcc, s25, v0
	v_mov_b32_e32 v24, v11
	s_and_saveexec_b64 s[14:15], vcc
	s_cbranch_execz .LBB215_758
; %bb.757:                              ;   in Loop: Header=BB215_606 Depth=1
	v_mov_b32_e32 v9, 7
	v_and_b32_sdwa v9, v17, v9 dst_sel:DWORD dst_unused:UNUSED_PAD src0_sel:BYTE_3 src1_sel:DWORD
	v_lshrrev_b32_e32 v24, 3, v0
	v_cmp_gt_u32_e32 vcc, 8, v0
	v_ffbh_u32_e32 v0, v9
	v_min_u32_e32 v0, 32, v0
	v_mov_b32_e32 v10, v5
	v_subrev_u32_e32 v11, 28, v0
	v_lshlrev_b64 v[10:11], v11, v[9:10]
	v_sub_u32_e32 v0, 29, v0
	v_and_b32_e32 v10, 7, v10
	v_cndmask_b32_e32 v0, v24, v0, vcc
	v_cndmask_b32_e32 v9, v9, v10, vcc
	v_mov_b32_e32 v10, 24
	v_lshlrev_b32_sdwa v10, v10, v17 dst_sel:DWORD dst_unused:UNUSED_PAD src0_sel:DWORD src1_sel:BYTE_3
	v_lshl_add_u32 v0, v0, 23, v26
	v_and_or_b32 v0, v10, s26, v0
	v_lshlrev_b32_e32 v9, 20, v9
	v_or_b32_e32 v25, v0, v9
	v_mov_b32_e32 v24, v5
.LBB215_758:                            ;   in Loop: Header=BB215_606 Depth=1
	s_or_b64 exec, exec, s[14:15]
.LBB215_759:                            ;   in Loop: Header=BB215_606 Depth=1
	s_or_b64 exec, exec, s[12:13]
.LBB215_760:                            ;   in Loop: Header=BB215_606 Depth=1
	s_or_b64 exec, exec, s[6:7]
	v_or_b32_e32 v0, v21, v19
	v_or_b32_e32 v9, v20, v18
	v_mul_f32_e32 v0, s18, v0
	buffer_store_dword v0, off, s[48:51], 0 offset:148 ; 4-byte Folded Spill
	v_mul_f32_e32 v0, s17, v9
	buffer_store_dword v0, off, s[48:51], 0 offset:172 ; 4-byte Folded Spill
	v_or_b32_e32 v0, v25, v23
	v_or_b32_e32 v9, v24, v22
	v_mul_f32_e32 v9, s17, v9
	v_mul_f32_e32 v0, s18, v0
	buffer_store_dword v9, off, s[48:51], 0 offset:164 ; 4-byte Folded Spill
	buffer_store_dword v0, off, s[48:51], 0 offset:156 ; 4-byte Folded Spill
	s_and_saveexec_b64 s[6:7], s[0:1]
	s_cbranch_execz .LBB215_762
; %bb.761:                              ;   in Loop: Header=BB215_606 Depth=1
	v_add_u32_e32 v0, -3, v56
	v_cmp_gt_i32_e32 vcc, s30, v0
	buffer_load_dword v0, off, s[48:51], 0 offset:172 ; 4-byte Folded Reload
	s_waitcnt vmcnt(0)
	v_cndmask_b32_e32 v0, 0, v0, vcc
	buffer_store_dword v0, off, s[48:51], 0 offset:172 ; 4-byte Folded Spill
	v_add_u32_e32 v0, -2, v56
	v_cmp_gt_i32_e32 vcc, s30, v0
	buffer_load_dword v0, off, s[48:51], 0 offset:148 ; 4-byte Folded Reload
	s_waitcnt vmcnt(0)
	v_cndmask_b32_e32 v0, 0, v0, vcc
	buffer_store_dword v0, off, s[48:51], 0 offset:148 ; 4-byte Folded Spill
	;; [unrolled: 6-line block ×3, first 2 shown]
	buffer_load_dword v0, off, s[48:51], 0 offset:156 ; 4-byte Folded Reload
	v_cmp_gt_i32_e32 vcc, s30, v56
	s_waitcnt vmcnt(0)
	v_cndmask_b32_e32 v0, 0, v0, vcc
	buffer_store_dword v0, off, s[48:51], 0 offset:156 ; 4-byte Folded Spill
.LBB215_762:                            ;   in Loop: Header=BB215_606 Depth=1
	s_or_b64 exec, exec, s[6:7]
	global_load_dword v17, v[13:14], off offset:1536
	v_mov_b32_e32 v20, 0
	v_mov_b32_e32 v18, 0
	v_mov_b32_e32 v21, 0
	v_mov_b32_e32 v19, 0
	s_waitcnt vmcnt(0)
	v_cmp_ne_u16_sdwa s[12:13], v17, v5 src0_sel:BYTE_0 src1_sel:DWORD
	s_and_saveexec_b64 s[6:7], s[12:13]
	s_cbranch_execz .LBB215_768
; %bb.763:                              ;   in Loop: Header=BB215_606 Depth=1
	v_bfrev_b32_e32 v18, 1
	v_mov_b32_e32 v19, 0
	v_cmp_ne_u16_sdwa s[14:15], v17, s24 src0_sel:BYTE_0 src1_sel:DWORD
	s_and_saveexec_b64 s[12:13], s[14:15]
	s_cbranch_execz .LBB215_767
; %bb.764:                              ;   in Loop: Header=BB215_606 Depth=1
	v_and_b32_e32 v0, 0x7f, v17
	v_mov_b32_e32 v18, 0x7f800001
	v_mov_b32_e32 v19, 0
	v_cmp_ne_u32_e32 vcc, s25, v0
	s_and_saveexec_b64 s[14:15], vcc
	s_cbranch_execz .LBB215_766
; %bb.765:                              ;   in Loop: Header=BB215_606 Depth=1
	v_and_b32_e32 v11, 7, v17
	v_lshrrev_b32_e32 v18, 3, v0
	v_cmp_gt_u32_e32 vcc, 8, v0
	v_ffbh_u32_e32 v0, v11
	v_min_u32_e32 v0, 32, v0
	v_subrev_u32_e32 v9, 28, v0
	v_lshlrev_b64 v[9:10], v9, v[17:18]
	v_sub_u32_e32 v0, 29, v0
	v_and_b32_e32 v9, 7, v9
	v_cndmask_b32_e32 v0, v18, v0, vcc
	v_cndmask_b32_e32 v9, v11, v9, vcc
	v_lshlrev_b32_e32 v9, 20, v9
	v_and_b32_sdwa v10, sext(v17), s26 dst_sel:DWORD dst_unused:UNUSED_PAD src0_sel:BYTE_0 src1_sel:DWORD
	v_lshl_add_u32 v0, v0, 23, v26
	v_or3_b32 v18, v10, v0, v9
	v_mov_b32_e32 v19, v5
.LBB215_766:                            ;   in Loop: Header=BB215_606 Depth=1
	s_or_b64 exec, exec, s[14:15]
.LBB215_767:                            ;   in Loop: Header=BB215_606 Depth=1
	s_or_b64 exec, exec, s[12:13]
.LBB215_768:                            ;   in Loop: Header=BB215_606 Depth=1
	s_or_b64 exec, exec, s[6:7]
	v_cmp_ne_u16_sdwa s[12:13], v17, v5 src0_sel:BYTE_1 src1_sel:DWORD
	s_and_saveexec_b64 s[6:7], s[12:13]
	s_cbranch_execz .LBB215_774
; %bb.769:                              ;   in Loop: Header=BB215_606 Depth=1
	v_mov_b32_e32 v21, v6
	v_cmp_ne_u16_sdwa s[14:15], v17, s24 src0_sel:BYTE_1 src1_sel:DWORD
	v_mov_b32_e32 v20, v5
	s_and_saveexec_b64 s[12:13], s[14:15]
	s_cbranch_execz .LBB215_773
; %bb.770:                              ;   in Loop: Header=BB215_606 Depth=1
	v_and_b32_sdwa v0, v17, s25 dst_sel:DWORD dst_unused:UNUSED_PAD src0_sel:BYTE_1 src1_sel:DWORD
	v_mov_b32_e32 v11, v5
	v_mov_b32_e32 v21, v12
	v_cmp_ne_u32_e32 vcc, s25, v0
	v_mov_b32_e32 v20, v11
	s_and_saveexec_b64 s[14:15], vcc
	s_cbranch_execz .LBB215_772
; %bb.771:                              ;   in Loop: Header=BB215_606 Depth=1
	v_mov_b32_e32 v9, 7
	v_and_b32_sdwa v9, v17, v9 dst_sel:DWORD dst_unused:UNUSED_PAD src0_sel:BYTE_1 src1_sel:DWORD
	v_lshrrev_b32_e32 v20, 3, v0
	v_cmp_gt_u32_e32 vcc, 8, v0
	v_ffbh_u32_e32 v0, v9
	v_min_u32_e32 v0, 32, v0
	v_mov_b32_e32 v10, v5
	v_subrev_u32_e32 v11, 28, v0
	v_lshlrev_b64 v[10:11], v11, v[9:10]
	v_sub_u32_e32 v0, 29, v0
	v_and_b32_e32 v10, 7, v10
	v_cndmask_b32_e32 v0, v20, v0, vcc
	v_cndmask_b32_e32 v9, v9, v10, vcc
	v_lshlrev_b32_e32 v10, 16, v17
	v_lshl_add_u32 v0, v0, 23, v26
	v_and_or_b32 v0, v10, s26, v0
	v_lshlrev_b32_e32 v9, 20, v9
	v_or_b32_e32 v21, v0, v9
	v_mov_b32_e32 v20, v5
.LBB215_772:                            ;   in Loop: Header=BB215_606 Depth=1
	s_or_b64 exec, exec, s[14:15]
.LBB215_773:                            ;   in Loop: Header=BB215_606 Depth=1
	s_or_b64 exec, exec, s[12:13]
.LBB215_774:                            ;   in Loop: Header=BB215_606 Depth=1
	s_or_b64 exec, exec, s[6:7]
	v_lshrrev_b32_e32 v11, 16, v17
	v_mov_b32_e32 v24, 0
	v_mov_b32_e32 v22, 0
	;; [unrolled: 1-line block ×4, first 2 shown]
	v_cmp_ne_u16_sdwa s[12:13], v11, v5 src0_sel:BYTE_0 src1_sel:DWORD
	s_and_saveexec_b64 s[6:7], s[12:13]
	s_cbranch_execz .LBB215_780
; %bb.775:                              ;   in Loop: Header=BB215_606 Depth=1
	v_bfrev_b32_e32 v22, 1
	v_mov_b32_e32 v23, 0
	v_cmp_ne_u16_sdwa s[14:15], v11, s24 src0_sel:BYTE_0 src1_sel:DWORD
	s_and_saveexec_b64 s[12:13], s[14:15]
	s_cbranch_execz .LBB215_779
; %bb.776:                              ;   in Loop: Header=BB215_606 Depth=1
	v_bfe_u32 v0, v17, 16, 7
	v_mov_b32_e32 v22, 0x7f800001
	v_mov_b32_e32 v23, 0
	v_cmp_ne_u32_e32 vcc, s25, v0
	s_and_saveexec_b64 s[14:15], vcc
	s_cbranch_execz .LBB215_778
; %bb.777:                              ;   in Loop: Header=BB215_606 Depth=1
	v_and_b32_e32 v22, 7, v11
	v_lshrrev_b32_e32 v23, 3, v0
	v_cmp_gt_u32_e32 vcc, 8, v0
	v_ffbh_u32_e32 v0, v22
	v_min_u32_e32 v0, 32, v0
	v_subrev_u32_e32 v9, 28, v0
	v_lshlrev_b64 v[9:10], v9, v[11:12]
	v_sub_u32_e32 v0, 29, v0
	v_and_b32_e32 v9, 7, v9
	v_cndmask_b32_e32 v0, v23, v0, vcc
	v_cndmask_b32_e32 v9, v22, v9, vcc
	v_lshlrev_b32_e32 v9, 20, v9
	v_and_b32_sdwa v10, sext(v11), s26 dst_sel:DWORD dst_unused:UNUSED_PAD src0_sel:BYTE_0 src1_sel:DWORD
	v_lshl_add_u32 v0, v0, 23, v26
	v_or3_b32 v22, v10, v0, v9
	v_mov_b32_e32 v23, v5
.LBB215_778:                            ;   in Loop: Header=BB215_606 Depth=1
	s_or_b64 exec, exec, s[14:15]
.LBB215_779:                            ;   in Loop: Header=BB215_606 Depth=1
	s_or_b64 exec, exec, s[12:13]
.LBB215_780:                            ;   in Loop: Header=BB215_606 Depth=1
	s_or_b64 exec, exec, s[6:7]
	v_cmp_lt_u32_e32 vcc, s27, v17
	s_and_saveexec_b64 s[6:7], vcc
	s_cbranch_execz .LBB215_786
; %bb.781:                              ;   in Loop: Header=BB215_606 Depth=1
	v_mov_b32_e32 v25, v6
	v_cmp_ne_u32_sdwa s[14:15], v17, s24 src0_sel:BYTE_3 src1_sel:DWORD
	v_mov_b32_e32 v24, v5
	s_and_saveexec_b64 s[12:13], s[14:15]
	s_cbranch_execz .LBB215_785
; %bb.782:                              ;   in Loop: Header=BB215_606 Depth=1
	v_bfe_u32 v0, v17, 24, 7
	v_mov_b32_e32 v11, v5
	v_mov_b32_e32 v25, v12
	v_cmp_ne_u32_e32 vcc, s25, v0
	v_mov_b32_e32 v24, v11
	s_and_saveexec_b64 s[14:15], vcc
	s_cbranch_execz .LBB215_784
; %bb.783:                              ;   in Loop: Header=BB215_606 Depth=1
	v_mov_b32_e32 v9, 7
	v_and_b32_sdwa v9, v17, v9 dst_sel:DWORD dst_unused:UNUSED_PAD src0_sel:BYTE_3 src1_sel:DWORD
	v_lshrrev_b32_e32 v24, 3, v0
	v_cmp_gt_u32_e32 vcc, 8, v0
	v_ffbh_u32_e32 v0, v9
	v_min_u32_e32 v0, 32, v0
	v_mov_b32_e32 v10, v5
	v_subrev_u32_e32 v11, 28, v0
	v_lshlrev_b64 v[10:11], v11, v[9:10]
	v_sub_u32_e32 v0, 29, v0
	v_and_b32_e32 v10, 7, v10
	v_cndmask_b32_e32 v0, v24, v0, vcc
	v_cndmask_b32_e32 v9, v9, v10, vcc
	v_mov_b32_e32 v10, 24
	v_lshlrev_b32_sdwa v10, v10, v17 dst_sel:DWORD dst_unused:UNUSED_PAD src0_sel:DWORD src1_sel:BYTE_3
	v_lshl_add_u32 v0, v0, 23, v26
	v_and_or_b32 v0, v10, s26, v0
	v_lshlrev_b32_e32 v9, 20, v9
	v_or_b32_e32 v25, v0, v9
	v_mov_b32_e32 v24, v5
.LBB215_784:                            ;   in Loop: Header=BB215_606 Depth=1
	s_or_b64 exec, exec, s[14:15]
.LBB215_785:                            ;   in Loop: Header=BB215_606 Depth=1
	s_or_b64 exec, exec, s[12:13]
.LBB215_786:                            ;   in Loop: Header=BB215_606 Depth=1
	s_or_b64 exec, exec, s[6:7]
	v_or_b32_e32 v0, v21, v19
	v_or_b32_e32 v9, v20, v18
	v_mul_f32_e32 v0, s18, v0
	buffer_store_dword v0, off, s[48:51], 0 offset:180 ; 4-byte Folded Spill
	v_mul_f32_e32 v0, s17, v9
	buffer_store_dword v0, off, s[48:51], 0 offset:204 ; 4-byte Folded Spill
	v_or_b32_e32 v0, v25, v23
	v_or_b32_e32 v9, v24, v22
	v_mul_f32_e32 v9, s17, v9
	v_mul_f32_e32 v0, s18, v0
	buffer_store_dword v9, off, s[48:51], 0 offset:196 ; 4-byte Folded Spill
	buffer_store_dword v0, off, s[48:51], 0 offset:188 ; 4-byte Folded Spill
	s_and_saveexec_b64 s[6:7], s[0:1]
	s_cbranch_execz .LBB215_788
; %bb.787:                              ;   in Loop: Header=BB215_606 Depth=1
	v_add_u32_e32 v0, -3, v56
	v_cmp_gt_i32_e32 vcc, s30, v0
	buffer_load_dword v0, off, s[48:51], 0 offset:204 ; 4-byte Folded Reload
	s_waitcnt vmcnt(0)
	v_cndmask_b32_e32 v0, 0, v0, vcc
	buffer_store_dword v0, off, s[48:51], 0 offset:204 ; 4-byte Folded Spill
	v_add_u32_e32 v0, -2, v56
	v_cmp_gt_i32_e32 vcc, s30, v0
	buffer_load_dword v0, off, s[48:51], 0 offset:180 ; 4-byte Folded Reload
	s_waitcnt vmcnt(0)
	v_cndmask_b32_e32 v0, 0, v0, vcc
	buffer_store_dword v0, off, s[48:51], 0 offset:180 ; 4-byte Folded Spill
	;; [unrolled: 6-line block ×3, first 2 shown]
	buffer_load_dword v0, off, s[48:51], 0 offset:188 ; 4-byte Folded Reload
	v_cmp_gt_i32_e32 vcc, s30, v56
	s_waitcnt vmcnt(0)
	v_cndmask_b32_e32 v0, 0, v0, vcc
	buffer_store_dword v0, off, s[48:51], 0 offset:188 ; 4-byte Folded Spill
.LBB215_788:                            ;   in Loop: Header=BB215_606 Depth=1
	s_or_b64 exec, exec, s[6:7]
	global_load_dword v17, v[13:14], off offset:1792
	v_mov_b32_e32 v20, 0
	v_mov_b32_e32 v18, 0
	;; [unrolled: 1-line block ×4, first 2 shown]
	s_waitcnt vmcnt(0)
	v_cmp_ne_u16_sdwa s[12:13], v17, v5 src0_sel:BYTE_0 src1_sel:DWORD
	s_and_saveexec_b64 s[6:7], s[12:13]
	s_cbranch_execz .LBB215_794
; %bb.789:                              ;   in Loop: Header=BB215_606 Depth=1
	v_bfrev_b32_e32 v18, 1
	v_mov_b32_e32 v19, 0
	v_cmp_ne_u16_sdwa s[14:15], v17, s24 src0_sel:BYTE_0 src1_sel:DWORD
	s_and_saveexec_b64 s[12:13], s[14:15]
	s_cbranch_execz .LBB215_793
; %bb.790:                              ;   in Loop: Header=BB215_606 Depth=1
	v_and_b32_e32 v0, 0x7f, v17
	v_mov_b32_e32 v18, 0x7f800001
	v_mov_b32_e32 v19, 0
	v_cmp_ne_u32_e32 vcc, s25, v0
	s_and_saveexec_b64 s[14:15], vcc
	s_cbranch_execz .LBB215_792
; %bb.791:                              ;   in Loop: Header=BB215_606 Depth=1
	v_and_b32_e32 v11, 7, v17
	v_lshrrev_b32_e32 v18, 3, v0
	v_cmp_gt_u32_e32 vcc, 8, v0
	v_ffbh_u32_e32 v0, v11
	v_min_u32_e32 v0, 32, v0
	v_subrev_u32_e32 v9, 28, v0
	v_lshlrev_b64 v[9:10], v9, v[17:18]
	v_sub_u32_e32 v0, 29, v0
	v_and_b32_e32 v9, 7, v9
	v_cndmask_b32_e32 v0, v18, v0, vcc
	v_cndmask_b32_e32 v9, v11, v9, vcc
	v_lshlrev_b32_e32 v9, 20, v9
	v_and_b32_sdwa v10, sext(v17), s26 dst_sel:DWORD dst_unused:UNUSED_PAD src0_sel:BYTE_0 src1_sel:DWORD
	v_lshl_add_u32 v0, v0, 23, v26
	v_or3_b32 v18, v10, v0, v9
	v_mov_b32_e32 v19, v5
.LBB215_792:                            ;   in Loop: Header=BB215_606 Depth=1
	s_or_b64 exec, exec, s[14:15]
.LBB215_793:                            ;   in Loop: Header=BB215_606 Depth=1
	s_or_b64 exec, exec, s[12:13]
.LBB215_794:                            ;   in Loop: Header=BB215_606 Depth=1
	s_or_b64 exec, exec, s[6:7]
	v_cmp_ne_u16_sdwa s[12:13], v17, v5 src0_sel:BYTE_1 src1_sel:DWORD
	s_and_saveexec_b64 s[6:7], s[12:13]
	s_cbranch_execz .LBB215_800
; %bb.795:                              ;   in Loop: Header=BB215_606 Depth=1
	v_mov_b32_e32 v21, v6
	v_cmp_ne_u16_sdwa s[14:15], v17, s24 src0_sel:BYTE_1 src1_sel:DWORD
	v_mov_b32_e32 v20, v5
	s_and_saveexec_b64 s[12:13], s[14:15]
	s_cbranch_execz .LBB215_799
; %bb.796:                              ;   in Loop: Header=BB215_606 Depth=1
	v_and_b32_sdwa v0, v17, s25 dst_sel:DWORD dst_unused:UNUSED_PAD src0_sel:BYTE_1 src1_sel:DWORD
	v_mov_b32_e32 v11, v5
	v_mov_b32_e32 v21, v12
	v_cmp_ne_u32_e32 vcc, s25, v0
	v_mov_b32_e32 v20, v11
	s_and_saveexec_b64 s[14:15], vcc
	s_cbranch_execz .LBB215_798
; %bb.797:                              ;   in Loop: Header=BB215_606 Depth=1
	v_mov_b32_e32 v9, 7
	v_and_b32_sdwa v9, v17, v9 dst_sel:DWORD dst_unused:UNUSED_PAD src0_sel:BYTE_1 src1_sel:DWORD
	v_lshrrev_b32_e32 v20, 3, v0
	v_cmp_gt_u32_e32 vcc, 8, v0
	v_ffbh_u32_e32 v0, v9
	v_min_u32_e32 v0, 32, v0
	v_mov_b32_e32 v10, v5
	v_subrev_u32_e32 v11, 28, v0
	v_lshlrev_b64 v[10:11], v11, v[9:10]
	v_sub_u32_e32 v0, 29, v0
	v_and_b32_e32 v10, 7, v10
	v_cndmask_b32_e32 v0, v20, v0, vcc
	v_cndmask_b32_e32 v9, v9, v10, vcc
	v_lshlrev_b32_e32 v10, 16, v17
	v_lshl_add_u32 v0, v0, 23, v26
	v_and_or_b32 v0, v10, s26, v0
	v_lshlrev_b32_e32 v9, 20, v9
	v_or_b32_e32 v21, v0, v9
	v_mov_b32_e32 v20, v5
.LBB215_798:                            ;   in Loop: Header=BB215_606 Depth=1
	s_or_b64 exec, exec, s[14:15]
.LBB215_799:                            ;   in Loop: Header=BB215_606 Depth=1
	s_or_b64 exec, exec, s[12:13]
.LBB215_800:                            ;   in Loop: Header=BB215_606 Depth=1
	s_or_b64 exec, exec, s[6:7]
	v_lshrrev_b32_e32 v11, 16, v17
	v_mov_b32_e32 v24, 0
	v_mov_b32_e32 v22, 0
	;; [unrolled: 1-line block ×4, first 2 shown]
	v_cmp_ne_u16_sdwa s[12:13], v11, v5 src0_sel:BYTE_0 src1_sel:DWORD
	s_and_saveexec_b64 s[6:7], s[12:13]
	s_cbranch_execz .LBB215_806
; %bb.801:                              ;   in Loop: Header=BB215_606 Depth=1
	v_bfrev_b32_e32 v22, 1
	v_mov_b32_e32 v23, 0
	v_cmp_ne_u16_sdwa s[14:15], v11, s24 src0_sel:BYTE_0 src1_sel:DWORD
	s_and_saveexec_b64 s[12:13], s[14:15]
	s_cbranch_execz .LBB215_805
; %bb.802:                              ;   in Loop: Header=BB215_606 Depth=1
	v_bfe_u32 v0, v17, 16, 7
	v_mov_b32_e32 v22, 0x7f800001
	v_mov_b32_e32 v23, 0
	v_cmp_ne_u32_e32 vcc, s25, v0
	s_and_saveexec_b64 s[14:15], vcc
	s_cbranch_execz .LBB215_804
; %bb.803:                              ;   in Loop: Header=BB215_606 Depth=1
	v_and_b32_e32 v22, 7, v11
	v_lshrrev_b32_e32 v23, 3, v0
	v_cmp_gt_u32_e32 vcc, 8, v0
	v_ffbh_u32_e32 v0, v22
	v_min_u32_e32 v0, 32, v0
	v_subrev_u32_e32 v9, 28, v0
	v_lshlrev_b64 v[9:10], v9, v[11:12]
	v_sub_u32_e32 v0, 29, v0
	v_and_b32_e32 v9, 7, v9
	v_cndmask_b32_e32 v0, v23, v0, vcc
	v_cndmask_b32_e32 v9, v22, v9, vcc
	v_lshlrev_b32_e32 v9, 20, v9
	v_and_b32_sdwa v10, sext(v11), s26 dst_sel:DWORD dst_unused:UNUSED_PAD src0_sel:BYTE_0 src1_sel:DWORD
	v_lshl_add_u32 v0, v0, 23, v26
	v_or3_b32 v22, v10, v0, v9
	v_mov_b32_e32 v23, v5
.LBB215_804:                            ;   in Loop: Header=BB215_606 Depth=1
	s_or_b64 exec, exec, s[14:15]
.LBB215_805:                            ;   in Loop: Header=BB215_606 Depth=1
	s_or_b64 exec, exec, s[12:13]
.LBB215_806:                            ;   in Loop: Header=BB215_606 Depth=1
	s_or_b64 exec, exec, s[6:7]
	v_cmp_lt_u32_e32 vcc, s27, v17
	s_and_saveexec_b64 s[6:7], vcc
	s_cbranch_execz .LBB215_812
; %bb.807:                              ;   in Loop: Header=BB215_606 Depth=1
	v_mov_b32_e32 v25, v6
	v_cmp_ne_u32_sdwa s[14:15], v17, s24 src0_sel:BYTE_3 src1_sel:DWORD
	v_mov_b32_e32 v24, v5
	s_and_saveexec_b64 s[12:13], s[14:15]
	s_cbranch_execz .LBB215_811
; %bb.808:                              ;   in Loop: Header=BB215_606 Depth=1
	v_bfe_u32 v0, v17, 24, 7
	v_mov_b32_e32 v11, v5
	v_mov_b32_e32 v25, v12
	v_cmp_ne_u32_e32 vcc, s25, v0
	v_mov_b32_e32 v24, v11
	s_and_saveexec_b64 s[14:15], vcc
	s_cbranch_execz .LBB215_810
; %bb.809:                              ;   in Loop: Header=BB215_606 Depth=1
	v_mov_b32_e32 v9, 7
	v_and_b32_sdwa v9, v17, v9 dst_sel:DWORD dst_unused:UNUSED_PAD src0_sel:BYTE_3 src1_sel:DWORD
	v_lshrrev_b32_e32 v24, 3, v0
	v_cmp_gt_u32_e32 vcc, 8, v0
	v_ffbh_u32_e32 v0, v9
	v_min_u32_e32 v0, 32, v0
	v_mov_b32_e32 v10, v5
	v_subrev_u32_e32 v11, 28, v0
	v_lshlrev_b64 v[10:11], v11, v[9:10]
	v_sub_u32_e32 v0, 29, v0
	v_and_b32_e32 v10, 7, v10
	v_cndmask_b32_e32 v0, v24, v0, vcc
	v_cndmask_b32_e32 v9, v9, v10, vcc
	v_mov_b32_e32 v10, 24
	v_lshlrev_b32_sdwa v10, v10, v17 dst_sel:DWORD dst_unused:UNUSED_PAD src0_sel:DWORD src1_sel:BYTE_3
	v_lshl_add_u32 v0, v0, 23, v26
	v_and_or_b32 v0, v10, s26, v0
	v_lshlrev_b32_e32 v9, 20, v9
	v_or_b32_e32 v25, v0, v9
	v_mov_b32_e32 v24, v5
.LBB215_810:                            ;   in Loop: Header=BB215_606 Depth=1
	s_or_b64 exec, exec, s[14:15]
.LBB215_811:                            ;   in Loop: Header=BB215_606 Depth=1
	s_or_b64 exec, exec, s[12:13]
.LBB215_812:                            ;   in Loop: Header=BB215_606 Depth=1
	s_or_b64 exec, exec, s[6:7]
	v_or_b32_e32 v0, v21, v19
	v_or_b32_e32 v9, v20, v18
	v_mul_f32_e32 v0, s18, v0
	buffer_store_dword v0, off, s[48:51], 0 offset:212 ; 4-byte Folded Spill
	v_mul_f32_e32 v0, s17, v9
	buffer_store_dword v0, off, s[48:51], 0 offset:236 ; 4-byte Folded Spill
	v_or_b32_e32 v0, v25, v23
	v_or_b32_e32 v9, v24, v22
	v_mul_f32_e32 v9, s17, v9
	v_mul_f32_e32 v0, s18, v0
	buffer_store_dword v9, off, s[48:51], 0 offset:228 ; 4-byte Folded Spill
	buffer_store_dword v0, off, s[48:51], 0 offset:220 ; 4-byte Folded Spill
	s_and_saveexec_b64 s[6:7], s[0:1]
	s_cbranch_execz .LBB215_814
; %bb.813:                              ;   in Loop: Header=BB215_606 Depth=1
	v_add_u32_e32 v0, -3, v56
	v_cmp_gt_i32_e32 vcc, s30, v0
	buffer_load_dword v0, off, s[48:51], 0 offset:236 ; 4-byte Folded Reload
	s_waitcnt vmcnt(0)
	v_cndmask_b32_e32 v0, 0, v0, vcc
	buffer_store_dword v0, off, s[48:51], 0 offset:236 ; 4-byte Folded Spill
	v_add_u32_e32 v0, -2, v56
	v_cmp_gt_i32_e32 vcc, s30, v0
	buffer_load_dword v0, off, s[48:51], 0 offset:212 ; 4-byte Folded Reload
	s_waitcnt vmcnt(0)
	v_cndmask_b32_e32 v0, 0, v0, vcc
	buffer_store_dword v0, off, s[48:51], 0 offset:212 ; 4-byte Folded Spill
	;; [unrolled: 6-line block ×3, first 2 shown]
	buffer_load_dword v0, off, s[48:51], 0 offset:220 ; 4-byte Folded Reload
	v_cmp_gt_i32_e32 vcc, s30, v56
	s_waitcnt vmcnt(0)
	v_cndmask_b32_e32 v0, 0, v0, vcc
	buffer_store_dword v0, off, s[48:51], 0 offset:220 ; 4-byte Folded Spill
.LBB215_814:                            ;   in Loop: Header=BB215_606 Depth=1
	s_or_b64 exec, exec, s[6:7]
	global_load_dword v17, v[13:14], off offset:2048
	v_mov_b32_e32 v20, 0
	v_mov_b32_e32 v18, 0
	;; [unrolled: 1-line block ×4, first 2 shown]
	s_waitcnt vmcnt(0)
	v_cmp_ne_u16_sdwa s[12:13], v17, v5 src0_sel:BYTE_0 src1_sel:DWORD
	s_and_saveexec_b64 s[6:7], s[12:13]
	s_cbranch_execz .LBB215_820
; %bb.815:                              ;   in Loop: Header=BB215_606 Depth=1
	v_bfrev_b32_e32 v18, 1
	v_mov_b32_e32 v19, 0
	v_cmp_ne_u16_sdwa s[14:15], v17, s24 src0_sel:BYTE_0 src1_sel:DWORD
	s_and_saveexec_b64 s[12:13], s[14:15]
	s_cbranch_execz .LBB215_819
; %bb.816:                              ;   in Loop: Header=BB215_606 Depth=1
	v_and_b32_e32 v0, 0x7f, v17
	v_mov_b32_e32 v18, 0x7f800001
	v_mov_b32_e32 v19, 0
	v_cmp_ne_u32_e32 vcc, s25, v0
	s_and_saveexec_b64 s[14:15], vcc
	s_cbranch_execz .LBB215_818
; %bb.817:                              ;   in Loop: Header=BB215_606 Depth=1
	v_and_b32_e32 v11, 7, v17
	v_lshrrev_b32_e32 v18, 3, v0
	v_cmp_gt_u32_e32 vcc, 8, v0
	v_ffbh_u32_e32 v0, v11
	v_min_u32_e32 v0, 32, v0
	v_subrev_u32_e32 v9, 28, v0
	v_lshlrev_b64 v[9:10], v9, v[17:18]
	v_sub_u32_e32 v0, 29, v0
	v_and_b32_e32 v9, 7, v9
	v_cndmask_b32_e32 v0, v18, v0, vcc
	v_cndmask_b32_e32 v9, v11, v9, vcc
	v_lshlrev_b32_e32 v9, 20, v9
	v_and_b32_sdwa v10, sext(v17), s26 dst_sel:DWORD dst_unused:UNUSED_PAD src0_sel:BYTE_0 src1_sel:DWORD
	v_lshl_add_u32 v0, v0, 23, v26
	v_or3_b32 v18, v10, v0, v9
	v_mov_b32_e32 v19, v5
.LBB215_818:                            ;   in Loop: Header=BB215_606 Depth=1
	s_or_b64 exec, exec, s[14:15]
.LBB215_819:                            ;   in Loop: Header=BB215_606 Depth=1
	s_or_b64 exec, exec, s[12:13]
.LBB215_820:                            ;   in Loop: Header=BB215_606 Depth=1
	s_or_b64 exec, exec, s[6:7]
	v_cmp_ne_u16_sdwa s[12:13], v17, v5 src0_sel:BYTE_1 src1_sel:DWORD
	s_and_saveexec_b64 s[6:7], s[12:13]
	s_cbranch_execz .LBB215_826
; %bb.821:                              ;   in Loop: Header=BB215_606 Depth=1
	v_mov_b32_e32 v21, v6
	v_cmp_ne_u16_sdwa s[14:15], v17, s24 src0_sel:BYTE_1 src1_sel:DWORD
	v_mov_b32_e32 v20, v5
	s_and_saveexec_b64 s[12:13], s[14:15]
	s_cbranch_execz .LBB215_825
; %bb.822:                              ;   in Loop: Header=BB215_606 Depth=1
	v_and_b32_sdwa v0, v17, s25 dst_sel:DWORD dst_unused:UNUSED_PAD src0_sel:BYTE_1 src1_sel:DWORD
	v_mov_b32_e32 v11, v5
	v_mov_b32_e32 v21, v12
	v_cmp_ne_u32_e32 vcc, s25, v0
	v_mov_b32_e32 v20, v11
	s_and_saveexec_b64 s[14:15], vcc
	s_cbranch_execz .LBB215_824
; %bb.823:                              ;   in Loop: Header=BB215_606 Depth=1
	v_mov_b32_e32 v9, 7
	v_and_b32_sdwa v9, v17, v9 dst_sel:DWORD dst_unused:UNUSED_PAD src0_sel:BYTE_1 src1_sel:DWORD
	v_lshrrev_b32_e32 v20, 3, v0
	v_cmp_gt_u32_e32 vcc, 8, v0
	v_ffbh_u32_e32 v0, v9
	v_min_u32_e32 v0, 32, v0
	v_mov_b32_e32 v10, v5
	v_subrev_u32_e32 v11, 28, v0
	v_lshlrev_b64 v[10:11], v11, v[9:10]
	v_sub_u32_e32 v0, 29, v0
	v_and_b32_e32 v10, 7, v10
	v_cndmask_b32_e32 v0, v20, v0, vcc
	v_cndmask_b32_e32 v9, v9, v10, vcc
	v_lshlrev_b32_e32 v10, 16, v17
	v_lshl_add_u32 v0, v0, 23, v26
	v_and_or_b32 v0, v10, s26, v0
	v_lshlrev_b32_e32 v9, 20, v9
	v_or_b32_e32 v21, v0, v9
	v_mov_b32_e32 v20, v5
.LBB215_824:                            ;   in Loop: Header=BB215_606 Depth=1
	s_or_b64 exec, exec, s[14:15]
.LBB215_825:                            ;   in Loop: Header=BB215_606 Depth=1
	s_or_b64 exec, exec, s[12:13]
.LBB215_826:                            ;   in Loop: Header=BB215_606 Depth=1
	s_or_b64 exec, exec, s[6:7]
	v_lshrrev_b32_e32 v11, 16, v17
	v_mov_b32_e32 v24, 0
	v_mov_b32_e32 v22, 0
	;; [unrolled: 1-line block ×4, first 2 shown]
	v_cmp_ne_u16_sdwa s[12:13], v11, v5 src0_sel:BYTE_0 src1_sel:DWORD
	s_and_saveexec_b64 s[6:7], s[12:13]
	s_cbranch_execz .LBB215_832
; %bb.827:                              ;   in Loop: Header=BB215_606 Depth=1
	v_bfrev_b32_e32 v22, 1
	v_mov_b32_e32 v23, 0
	v_cmp_ne_u16_sdwa s[14:15], v11, s24 src0_sel:BYTE_0 src1_sel:DWORD
	s_and_saveexec_b64 s[12:13], s[14:15]
	s_cbranch_execz .LBB215_831
; %bb.828:                              ;   in Loop: Header=BB215_606 Depth=1
	v_bfe_u32 v0, v17, 16, 7
	v_mov_b32_e32 v22, 0x7f800001
	v_mov_b32_e32 v23, 0
	v_cmp_ne_u32_e32 vcc, s25, v0
	s_and_saveexec_b64 s[14:15], vcc
	s_cbranch_execz .LBB215_830
; %bb.829:                              ;   in Loop: Header=BB215_606 Depth=1
	v_and_b32_e32 v22, 7, v11
	v_lshrrev_b32_e32 v23, 3, v0
	v_cmp_gt_u32_e32 vcc, 8, v0
	v_ffbh_u32_e32 v0, v22
	v_min_u32_e32 v0, 32, v0
	v_subrev_u32_e32 v9, 28, v0
	v_lshlrev_b64 v[9:10], v9, v[11:12]
	v_sub_u32_e32 v0, 29, v0
	v_and_b32_e32 v9, 7, v9
	v_cndmask_b32_e32 v0, v23, v0, vcc
	v_cndmask_b32_e32 v9, v22, v9, vcc
	v_lshlrev_b32_e32 v9, 20, v9
	v_and_b32_sdwa v10, sext(v11), s26 dst_sel:DWORD dst_unused:UNUSED_PAD src0_sel:BYTE_0 src1_sel:DWORD
	v_lshl_add_u32 v0, v0, 23, v26
	v_or3_b32 v22, v10, v0, v9
	v_mov_b32_e32 v23, v5
.LBB215_830:                            ;   in Loop: Header=BB215_606 Depth=1
	s_or_b64 exec, exec, s[14:15]
.LBB215_831:                            ;   in Loop: Header=BB215_606 Depth=1
	s_or_b64 exec, exec, s[12:13]
.LBB215_832:                            ;   in Loop: Header=BB215_606 Depth=1
	s_or_b64 exec, exec, s[6:7]
	v_cmp_lt_u32_e32 vcc, s27, v17
	s_and_saveexec_b64 s[6:7], vcc
	s_cbranch_execz .LBB215_838
; %bb.833:                              ;   in Loop: Header=BB215_606 Depth=1
	v_mov_b32_e32 v25, v6
	v_cmp_ne_u32_sdwa s[14:15], v17, s24 src0_sel:BYTE_3 src1_sel:DWORD
	v_mov_b32_e32 v24, v5
	s_and_saveexec_b64 s[12:13], s[14:15]
	s_cbranch_execz .LBB215_837
; %bb.834:                              ;   in Loop: Header=BB215_606 Depth=1
	v_bfe_u32 v0, v17, 24, 7
	v_mov_b32_e32 v11, v5
	v_mov_b32_e32 v25, v12
	v_cmp_ne_u32_e32 vcc, s25, v0
	v_mov_b32_e32 v24, v11
	s_and_saveexec_b64 s[14:15], vcc
	s_cbranch_execz .LBB215_836
; %bb.835:                              ;   in Loop: Header=BB215_606 Depth=1
	v_mov_b32_e32 v9, 7
	v_and_b32_sdwa v9, v17, v9 dst_sel:DWORD dst_unused:UNUSED_PAD src0_sel:BYTE_3 src1_sel:DWORD
	v_lshrrev_b32_e32 v24, 3, v0
	v_cmp_gt_u32_e32 vcc, 8, v0
	v_ffbh_u32_e32 v0, v9
	v_min_u32_e32 v0, 32, v0
	v_mov_b32_e32 v10, v5
	v_subrev_u32_e32 v11, 28, v0
	v_lshlrev_b64 v[10:11], v11, v[9:10]
	v_sub_u32_e32 v0, 29, v0
	v_and_b32_e32 v10, 7, v10
	v_cndmask_b32_e32 v0, v24, v0, vcc
	v_cndmask_b32_e32 v9, v9, v10, vcc
	v_mov_b32_e32 v10, 24
	v_lshlrev_b32_sdwa v10, v10, v17 dst_sel:DWORD dst_unused:UNUSED_PAD src0_sel:DWORD src1_sel:BYTE_3
	v_lshl_add_u32 v0, v0, 23, v26
	v_and_or_b32 v0, v10, s26, v0
	v_lshlrev_b32_e32 v9, 20, v9
	v_or_b32_e32 v25, v0, v9
	v_mov_b32_e32 v24, v5
.LBB215_836:                            ;   in Loop: Header=BB215_606 Depth=1
	s_or_b64 exec, exec, s[14:15]
.LBB215_837:                            ;   in Loop: Header=BB215_606 Depth=1
	s_or_b64 exec, exec, s[12:13]
.LBB215_838:                            ;   in Loop: Header=BB215_606 Depth=1
	s_or_b64 exec, exec, s[6:7]
	v_or_b32_e32 v0, v21, v19
	v_or_b32_e32 v9, v20, v18
	v_mul_f32_e32 v0, s18, v0
	buffer_store_dword v0, off, s[48:51], 0 offset:244 ; 4-byte Folded Spill
	v_mul_f32_e32 v0, s17, v9
	buffer_store_dword v0, off, s[48:51], 0 offset:268 ; 4-byte Folded Spill
	v_or_b32_e32 v0, v25, v23
	v_or_b32_e32 v9, v24, v22
	v_mul_f32_e32 v9, s17, v9
	v_mul_f32_e32 v0, s18, v0
	buffer_store_dword v9, off, s[48:51], 0 offset:260 ; 4-byte Folded Spill
	buffer_store_dword v0, off, s[48:51], 0 offset:252 ; 4-byte Folded Spill
	s_and_saveexec_b64 s[6:7], s[0:1]
	s_cbranch_execz .LBB215_840
; %bb.839:                              ;   in Loop: Header=BB215_606 Depth=1
	v_add_u32_e32 v0, -3, v56
	v_cmp_gt_i32_e32 vcc, s30, v0
	buffer_load_dword v0, off, s[48:51], 0 offset:268 ; 4-byte Folded Reload
	s_waitcnt vmcnt(0)
	v_cndmask_b32_e32 v0, 0, v0, vcc
	buffer_store_dword v0, off, s[48:51], 0 offset:268 ; 4-byte Folded Spill
	v_add_u32_e32 v0, -2, v56
	v_cmp_gt_i32_e32 vcc, s30, v0
	buffer_load_dword v0, off, s[48:51], 0 offset:244 ; 4-byte Folded Reload
	s_waitcnt vmcnt(0)
	v_cndmask_b32_e32 v0, 0, v0, vcc
	buffer_store_dword v0, off, s[48:51], 0 offset:244 ; 4-byte Folded Spill
	;; [unrolled: 6-line block ×3, first 2 shown]
	buffer_load_dword v0, off, s[48:51], 0 offset:252 ; 4-byte Folded Reload
	v_cmp_gt_i32_e32 vcc, s30, v56
	s_waitcnt vmcnt(0)
	v_cndmask_b32_e32 v0, 0, v0, vcc
	buffer_store_dword v0, off, s[48:51], 0 offset:252 ; 4-byte Folded Spill
.LBB215_840:                            ;   in Loop: Header=BB215_606 Depth=1
	s_or_b64 exec, exec, s[6:7]
	global_load_dword v17, v[13:14], off offset:2304
	v_mov_b32_e32 v20, 0
	v_mov_b32_e32 v18, 0
	;; [unrolled: 1-line block ×4, first 2 shown]
	s_waitcnt vmcnt(0)
	v_cmp_ne_u16_sdwa s[12:13], v17, v5 src0_sel:BYTE_0 src1_sel:DWORD
	s_and_saveexec_b64 s[6:7], s[12:13]
	s_cbranch_execz .LBB215_846
; %bb.841:                              ;   in Loop: Header=BB215_606 Depth=1
	v_bfrev_b32_e32 v18, 1
	v_mov_b32_e32 v19, 0
	v_cmp_ne_u16_sdwa s[14:15], v17, s24 src0_sel:BYTE_0 src1_sel:DWORD
	s_and_saveexec_b64 s[12:13], s[14:15]
	s_cbranch_execz .LBB215_845
; %bb.842:                              ;   in Loop: Header=BB215_606 Depth=1
	v_and_b32_e32 v0, 0x7f, v17
	v_mov_b32_e32 v18, 0x7f800001
	v_mov_b32_e32 v19, 0
	v_cmp_ne_u32_e32 vcc, s25, v0
	s_and_saveexec_b64 s[14:15], vcc
	s_cbranch_execz .LBB215_844
; %bb.843:                              ;   in Loop: Header=BB215_606 Depth=1
	v_and_b32_e32 v11, 7, v17
	v_lshrrev_b32_e32 v18, 3, v0
	v_cmp_gt_u32_e32 vcc, 8, v0
	v_ffbh_u32_e32 v0, v11
	v_min_u32_e32 v0, 32, v0
	v_subrev_u32_e32 v9, 28, v0
	v_lshlrev_b64 v[9:10], v9, v[17:18]
	v_sub_u32_e32 v0, 29, v0
	v_and_b32_e32 v9, 7, v9
	v_cndmask_b32_e32 v0, v18, v0, vcc
	v_cndmask_b32_e32 v9, v11, v9, vcc
	v_lshlrev_b32_e32 v9, 20, v9
	v_and_b32_sdwa v10, sext(v17), s26 dst_sel:DWORD dst_unused:UNUSED_PAD src0_sel:BYTE_0 src1_sel:DWORD
	v_lshl_add_u32 v0, v0, 23, v26
	v_or3_b32 v18, v10, v0, v9
	v_mov_b32_e32 v19, v5
.LBB215_844:                            ;   in Loop: Header=BB215_606 Depth=1
	s_or_b64 exec, exec, s[14:15]
.LBB215_845:                            ;   in Loop: Header=BB215_606 Depth=1
	s_or_b64 exec, exec, s[12:13]
.LBB215_846:                            ;   in Loop: Header=BB215_606 Depth=1
	s_or_b64 exec, exec, s[6:7]
	v_cmp_ne_u16_sdwa s[12:13], v17, v5 src0_sel:BYTE_1 src1_sel:DWORD
	s_and_saveexec_b64 s[6:7], s[12:13]
	s_cbranch_execz .LBB215_852
; %bb.847:                              ;   in Loop: Header=BB215_606 Depth=1
	v_mov_b32_e32 v21, v6
	v_cmp_ne_u16_sdwa s[14:15], v17, s24 src0_sel:BYTE_1 src1_sel:DWORD
	v_mov_b32_e32 v20, v5
	s_and_saveexec_b64 s[12:13], s[14:15]
	s_cbranch_execz .LBB215_851
; %bb.848:                              ;   in Loop: Header=BB215_606 Depth=1
	v_and_b32_sdwa v0, v17, s25 dst_sel:DWORD dst_unused:UNUSED_PAD src0_sel:BYTE_1 src1_sel:DWORD
	v_mov_b32_e32 v11, v5
	v_mov_b32_e32 v21, v12
	v_cmp_ne_u32_e32 vcc, s25, v0
	v_mov_b32_e32 v20, v11
	s_and_saveexec_b64 s[14:15], vcc
	s_cbranch_execz .LBB215_850
; %bb.849:                              ;   in Loop: Header=BB215_606 Depth=1
	v_mov_b32_e32 v9, 7
	v_and_b32_sdwa v9, v17, v9 dst_sel:DWORD dst_unused:UNUSED_PAD src0_sel:BYTE_1 src1_sel:DWORD
	v_lshrrev_b32_e32 v20, 3, v0
	v_cmp_gt_u32_e32 vcc, 8, v0
	v_ffbh_u32_e32 v0, v9
	v_min_u32_e32 v0, 32, v0
	v_mov_b32_e32 v10, v5
	v_subrev_u32_e32 v11, 28, v0
	v_lshlrev_b64 v[10:11], v11, v[9:10]
	v_sub_u32_e32 v0, 29, v0
	v_and_b32_e32 v10, 7, v10
	v_cndmask_b32_e32 v0, v20, v0, vcc
	v_cndmask_b32_e32 v9, v9, v10, vcc
	v_lshlrev_b32_e32 v10, 16, v17
	v_lshl_add_u32 v0, v0, 23, v26
	v_and_or_b32 v0, v10, s26, v0
	v_lshlrev_b32_e32 v9, 20, v9
	v_or_b32_e32 v21, v0, v9
	v_mov_b32_e32 v20, v5
.LBB215_850:                            ;   in Loop: Header=BB215_606 Depth=1
	s_or_b64 exec, exec, s[14:15]
.LBB215_851:                            ;   in Loop: Header=BB215_606 Depth=1
	s_or_b64 exec, exec, s[12:13]
.LBB215_852:                            ;   in Loop: Header=BB215_606 Depth=1
	s_or_b64 exec, exec, s[6:7]
	v_lshrrev_b32_e32 v11, 16, v17
	v_mov_b32_e32 v24, 0
	v_mov_b32_e32 v22, 0
	;; [unrolled: 1-line block ×4, first 2 shown]
	v_cmp_ne_u16_sdwa s[12:13], v11, v5 src0_sel:BYTE_0 src1_sel:DWORD
	s_and_saveexec_b64 s[6:7], s[12:13]
	s_cbranch_execz .LBB215_858
; %bb.853:                              ;   in Loop: Header=BB215_606 Depth=1
	v_bfrev_b32_e32 v22, 1
	v_mov_b32_e32 v23, 0
	v_cmp_ne_u16_sdwa s[14:15], v11, s24 src0_sel:BYTE_0 src1_sel:DWORD
	s_and_saveexec_b64 s[12:13], s[14:15]
	s_cbranch_execz .LBB215_857
; %bb.854:                              ;   in Loop: Header=BB215_606 Depth=1
	v_bfe_u32 v0, v17, 16, 7
	v_mov_b32_e32 v22, 0x7f800001
	v_mov_b32_e32 v23, 0
	v_cmp_ne_u32_e32 vcc, s25, v0
	s_and_saveexec_b64 s[14:15], vcc
	s_cbranch_execz .LBB215_856
; %bb.855:                              ;   in Loop: Header=BB215_606 Depth=1
	v_and_b32_e32 v22, 7, v11
	v_lshrrev_b32_e32 v23, 3, v0
	v_cmp_gt_u32_e32 vcc, 8, v0
	v_ffbh_u32_e32 v0, v22
	v_min_u32_e32 v0, 32, v0
	v_subrev_u32_e32 v9, 28, v0
	v_lshlrev_b64 v[9:10], v9, v[11:12]
	v_sub_u32_e32 v0, 29, v0
	v_and_b32_e32 v9, 7, v9
	v_cndmask_b32_e32 v0, v23, v0, vcc
	v_cndmask_b32_e32 v9, v22, v9, vcc
	v_lshlrev_b32_e32 v9, 20, v9
	v_and_b32_sdwa v10, sext(v11), s26 dst_sel:DWORD dst_unused:UNUSED_PAD src0_sel:BYTE_0 src1_sel:DWORD
	v_lshl_add_u32 v0, v0, 23, v26
	v_or3_b32 v22, v10, v0, v9
	v_mov_b32_e32 v23, v5
.LBB215_856:                            ;   in Loop: Header=BB215_606 Depth=1
	s_or_b64 exec, exec, s[14:15]
.LBB215_857:                            ;   in Loop: Header=BB215_606 Depth=1
	s_or_b64 exec, exec, s[12:13]
.LBB215_858:                            ;   in Loop: Header=BB215_606 Depth=1
	s_or_b64 exec, exec, s[6:7]
	v_cmp_lt_u32_e32 vcc, s27, v17
	s_and_saveexec_b64 s[6:7], vcc
	s_cbranch_execz .LBB215_864
; %bb.859:                              ;   in Loop: Header=BB215_606 Depth=1
	v_mov_b32_e32 v25, v6
	v_cmp_ne_u32_sdwa s[14:15], v17, s24 src0_sel:BYTE_3 src1_sel:DWORD
	v_mov_b32_e32 v24, v5
	s_and_saveexec_b64 s[12:13], s[14:15]
	s_cbranch_execz .LBB215_863
; %bb.860:                              ;   in Loop: Header=BB215_606 Depth=1
	v_bfe_u32 v0, v17, 24, 7
	v_mov_b32_e32 v11, v5
	v_mov_b32_e32 v25, v12
	v_cmp_ne_u32_e32 vcc, s25, v0
	v_mov_b32_e32 v24, v11
	s_and_saveexec_b64 s[14:15], vcc
	s_cbranch_execz .LBB215_862
; %bb.861:                              ;   in Loop: Header=BB215_606 Depth=1
	v_mov_b32_e32 v9, 7
	v_and_b32_sdwa v9, v17, v9 dst_sel:DWORD dst_unused:UNUSED_PAD src0_sel:BYTE_3 src1_sel:DWORD
	v_lshrrev_b32_e32 v24, 3, v0
	v_cmp_gt_u32_e32 vcc, 8, v0
	v_ffbh_u32_e32 v0, v9
	v_min_u32_e32 v0, 32, v0
	v_mov_b32_e32 v10, v5
	v_subrev_u32_e32 v11, 28, v0
	v_lshlrev_b64 v[10:11], v11, v[9:10]
	v_sub_u32_e32 v0, 29, v0
	v_and_b32_e32 v10, 7, v10
	v_cndmask_b32_e32 v0, v24, v0, vcc
	v_cndmask_b32_e32 v9, v9, v10, vcc
	v_mov_b32_e32 v10, 24
	v_lshlrev_b32_sdwa v10, v10, v17 dst_sel:DWORD dst_unused:UNUSED_PAD src0_sel:DWORD src1_sel:BYTE_3
	v_lshl_add_u32 v0, v0, 23, v26
	v_and_or_b32 v0, v10, s26, v0
	v_lshlrev_b32_e32 v9, 20, v9
	v_or_b32_e32 v25, v0, v9
	v_mov_b32_e32 v24, v5
.LBB215_862:                            ;   in Loop: Header=BB215_606 Depth=1
	s_or_b64 exec, exec, s[14:15]
.LBB215_863:                            ;   in Loop: Header=BB215_606 Depth=1
	s_or_b64 exec, exec, s[12:13]
.LBB215_864:                            ;   in Loop: Header=BB215_606 Depth=1
	s_or_b64 exec, exec, s[6:7]
	v_or_b32_e32 v0, v21, v19
	v_or_b32_e32 v9, v20, v18
	v_mul_f32_e32 v0, s18, v0
	buffer_store_dword v0, off, s[48:51], 0 offset:276 ; 4-byte Folded Spill
	v_mul_f32_e32 v0, s17, v9
	buffer_store_dword v0, off, s[48:51], 0 offset:300 ; 4-byte Folded Spill
	v_or_b32_e32 v0, v25, v23
	v_or_b32_e32 v9, v24, v22
	v_mul_f32_e32 v9, s17, v9
	v_mul_f32_e32 v0, s18, v0
	buffer_store_dword v9, off, s[48:51], 0 offset:292 ; 4-byte Folded Spill
	buffer_store_dword v0, off, s[48:51], 0 offset:284 ; 4-byte Folded Spill
	s_and_saveexec_b64 s[6:7], s[0:1]
	s_cbranch_execz .LBB215_866
; %bb.865:                              ;   in Loop: Header=BB215_606 Depth=1
	v_add_u32_e32 v0, -3, v56
	v_cmp_gt_i32_e32 vcc, s30, v0
	buffer_load_dword v0, off, s[48:51], 0 offset:300 ; 4-byte Folded Reload
	s_waitcnt vmcnt(0)
	v_cndmask_b32_e32 v0, 0, v0, vcc
	buffer_store_dword v0, off, s[48:51], 0 offset:300 ; 4-byte Folded Spill
	v_add_u32_e32 v0, -2, v56
	v_cmp_gt_i32_e32 vcc, s30, v0
	buffer_load_dword v0, off, s[48:51], 0 offset:276 ; 4-byte Folded Reload
	s_waitcnt vmcnt(0)
	v_cndmask_b32_e32 v0, 0, v0, vcc
	buffer_store_dword v0, off, s[48:51], 0 offset:276 ; 4-byte Folded Spill
	;; [unrolled: 6-line block ×3, first 2 shown]
	buffer_load_dword v0, off, s[48:51], 0 offset:284 ; 4-byte Folded Reload
	v_cmp_gt_i32_e32 vcc, s30, v56
	s_waitcnt vmcnt(0)
	v_cndmask_b32_e32 v0, 0, v0, vcc
	buffer_store_dword v0, off, s[48:51], 0 offset:284 ; 4-byte Folded Spill
.LBB215_866:                            ;   in Loop: Header=BB215_606 Depth=1
	s_or_b64 exec, exec, s[6:7]
	global_load_dword v17, v[13:14], off offset:2560
	v_mov_b32_e32 v20, 0
	v_mov_b32_e32 v18, 0
	;; [unrolled: 1-line block ×4, first 2 shown]
	s_waitcnt vmcnt(0)
	v_cmp_ne_u16_sdwa s[12:13], v17, v5 src0_sel:BYTE_0 src1_sel:DWORD
	s_and_saveexec_b64 s[6:7], s[12:13]
	s_cbranch_execz .LBB215_872
; %bb.867:                              ;   in Loop: Header=BB215_606 Depth=1
	v_bfrev_b32_e32 v18, 1
	v_mov_b32_e32 v19, 0
	v_cmp_ne_u16_sdwa s[14:15], v17, s24 src0_sel:BYTE_0 src1_sel:DWORD
	s_and_saveexec_b64 s[12:13], s[14:15]
	s_cbranch_execz .LBB215_871
; %bb.868:                              ;   in Loop: Header=BB215_606 Depth=1
	v_and_b32_e32 v0, 0x7f, v17
	v_mov_b32_e32 v18, 0x7f800001
	v_mov_b32_e32 v19, 0
	v_cmp_ne_u32_e32 vcc, s25, v0
	s_and_saveexec_b64 s[14:15], vcc
	s_cbranch_execz .LBB215_870
; %bb.869:                              ;   in Loop: Header=BB215_606 Depth=1
	v_and_b32_e32 v11, 7, v17
	v_lshrrev_b32_e32 v18, 3, v0
	v_cmp_gt_u32_e32 vcc, 8, v0
	v_ffbh_u32_e32 v0, v11
	v_min_u32_e32 v0, 32, v0
	v_subrev_u32_e32 v9, 28, v0
	v_lshlrev_b64 v[9:10], v9, v[17:18]
	v_sub_u32_e32 v0, 29, v0
	v_and_b32_e32 v9, 7, v9
	v_cndmask_b32_e32 v0, v18, v0, vcc
	v_cndmask_b32_e32 v9, v11, v9, vcc
	v_lshlrev_b32_e32 v9, 20, v9
	v_and_b32_sdwa v10, sext(v17), s26 dst_sel:DWORD dst_unused:UNUSED_PAD src0_sel:BYTE_0 src1_sel:DWORD
	v_lshl_add_u32 v0, v0, 23, v26
	v_or3_b32 v18, v10, v0, v9
	v_mov_b32_e32 v19, v5
.LBB215_870:                            ;   in Loop: Header=BB215_606 Depth=1
	s_or_b64 exec, exec, s[14:15]
.LBB215_871:                            ;   in Loop: Header=BB215_606 Depth=1
	s_or_b64 exec, exec, s[12:13]
.LBB215_872:                            ;   in Loop: Header=BB215_606 Depth=1
	s_or_b64 exec, exec, s[6:7]
	v_cmp_ne_u16_sdwa s[12:13], v17, v5 src0_sel:BYTE_1 src1_sel:DWORD
	s_and_saveexec_b64 s[6:7], s[12:13]
	s_cbranch_execz .LBB215_878
; %bb.873:                              ;   in Loop: Header=BB215_606 Depth=1
	v_mov_b32_e32 v21, v6
	v_cmp_ne_u16_sdwa s[14:15], v17, s24 src0_sel:BYTE_1 src1_sel:DWORD
	v_mov_b32_e32 v20, v5
	s_and_saveexec_b64 s[12:13], s[14:15]
	s_cbranch_execz .LBB215_877
; %bb.874:                              ;   in Loop: Header=BB215_606 Depth=1
	v_and_b32_sdwa v0, v17, s25 dst_sel:DWORD dst_unused:UNUSED_PAD src0_sel:BYTE_1 src1_sel:DWORD
	v_mov_b32_e32 v11, v5
	v_mov_b32_e32 v21, v12
	v_cmp_ne_u32_e32 vcc, s25, v0
	v_mov_b32_e32 v20, v11
	s_and_saveexec_b64 s[14:15], vcc
	s_cbranch_execz .LBB215_876
; %bb.875:                              ;   in Loop: Header=BB215_606 Depth=1
	v_mov_b32_e32 v9, 7
	v_and_b32_sdwa v9, v17, v9 dst_sel:DWORD dst_unused:UNUSED_PAD src0_sel:BYTE_1 src1_sel:DWORD
	v_lshrrev_b32_e32 v20, 3, v0
	v_cmp_gt_u32_e32 vcc, 8, v0
	v_ffbh_u32_e32 v0, v9
	v_min_u32_e32 v0, 32, v0
	v_mov_b32_e32 v10, v5
	v_subrev_u32_e32 v11, 28, v0
	v_lshlrev_b64 v[10:11], v11, v[9:10]
	v_sub_u32_e32 v0, 29, v0
	v_and_b32_e32 v10, 7, v10
	v_cndmask_b32_e32 v0, v20, v0, vcc
	v_cndmask_b32_e32 v9, v9, v10, vcc
	v_lshlrev_b32_e32 v10, 16, v17
	v_lshl_add_u32 v0, v0, 23, v26
	v_and_or_b32 v0, v10, s26, v0
	v_lshlrev_b32_e32 v9, 20, v9
	v_or_b32_e32 v21, v0, v9
	v_mov_b32_e32 v20, v5
.LBB215_876:                            ;   in Loop: Header=BB215_606 Depth=1
	s_or_b64 exec, exec, s[14:15]
.LBB215_877:                            ;   in Loop: Header=BB215_606 Depth=1
	s_or_b64 exec, exec, s[12:13]
.LBB215_878:                            ;   in Loop: Header=BB215_606 Depth=1
	s_or_b64 exec, exec, s[6:7]
	v_lshrrev_b32_e32 v11, 16, v17
	v_mov_b32_e32 v24, 0
	v_mov_b32_e32 v22, 0
	;; [unrolled: 1-line block ×4, first 2 shown]
	v_cmp_ne_u16_sdwa s[12:13], v11, v5 src0_sel:BYTE_0 src1_sel:DWORD
	s_and_saveexec_b64 s[6:7], s[12:13]
	s_cbranch_execz .LBB215_884
; %bb.879:                              ;   in Loop: Header=BB215_606 Depth=1
	v_bfrev_b32_e32 v22, 1
	v_mov_b32_e32 v23, 0
	v_cmp_ne_u16_sdwa s[14:15], v11, s24 src0_sel:BYTE_0 src1_sel:DWORD
	s_and_saveexec_b64 s[12:13], s[14:15]
	s_cbranch_execz .LBB215_883
; %bb.880:                              ;   in Loop: Header=BB215_606 Depth=1
	v_bfe_u32 v0, v17, 16, 7
	v_mov_b32_e32 v22, 0x7f800001
	v_mov_b32_e32 v23, 0
	v_cmp_ne_u32_e32 vcc, s25, v0
	s_and_saveexec_b64 s[14:15], vcc
	s_cbranch_execz .LBB215_882
; %bb.881:                              ;   in Loop: Header=BB215_606 Depth=1
	v_and_b32_e32 v22, 7, v11
	v_lshrrev_b32_e32 v23, 3, v0
	v_cmp_gt_u32_e32 vcc, 8, v0
	v_ffbh_u32_e32 v0, v22
	v_min_u32_e32 v0, 32, v0
	v_subrev_u32_e32 v9, 28, v0
	v_lshlrev_b64 v[9:10], v9, v[11:12]
	v_sub_u32_e32 v0, 29, v0
	v_and_b32_e32 v9, 7, v9
	v_cndmask_b32_e32 v0, v23, v0, vcc
	v_cndmask_b32_e32 v9, v22, v9, vcc
	v_lshlrev_b32_e32 v9, 20, v9
	v_and_b32_sdwa v10, sext(v11), s26 dst_sel:DWORD dst_unused:UNUSED_PAD src0_sel:BYTE_0 src1_sel:DWORD
	v_lshl_add_u32 v0, v0, 23, v26
	v_or3_b32 v22, v10, v0, v9
	v_mov_b32_e32 v23, v5
.LBB215_882:                            ;   in Loop: Header=BB215_606 Depth=1
	s_or_b64 exec, exec, s[14:15]
.LBB215_883:                            ;   in Loop: Header=BB215_606 Depth=1
	s_or_b64 exec, exec, s[12:13]
.LBB215_884:                            ;   in Loop: Header=BB215_606 Depth=1
	s_or_b64 exec, exec, s[6:7]
	v_cmp_lt_u32_e32 vcc, s27, v17
	s_and_saveexec_b64 s[6:7], vcc
	s_cbranch_execz .LBB215_890
; %bb.885:                              ;   in Loop: Header=BB215_606 Depth=1
	v_mov_b32_e32 v25, v6
	v_cmp_ne_u32_sdwa s[14:15], v17, s24 src0_sel:BYTE_3 src1_sel:DWORD
	v_mov_b32_e32 v24, v5
	s_and_saveexec_b64 s[12:13], s[14:15]
	s_cbranch_execz .LBB215_889
; %bb.886:                              ;   in Loop: Header=BB215_606 Depth=1
	v_bfe_u32 v0, v17, 24, 7
	v_mov_b32_e32 v11, v5
	v_mov_b32_e32 v25, v12
	v_cmp_ne_u32_e32 vcc, s25, v0
	v_mov_b32_e32 v24, v11
	s_and_saveexec_b64 s[14:15], vcc
	s_cbranch_execz .LBB215_888
; %bb.887:                              ;   in Loop: Header=BB215_606 Depth=1
	v_mov_b32_e32 v9, 7
	v_and_b32_sdwa v9, v17, v9 dst_sel:DWORD dst_unused:UNUSED_PAD src0_sel:BYTE_3 src1_sel:DWORD
	v_lshrrev_b32_e32 v24, 3, v0
	v_cmp_gt_u32_e32 vcc, 8, v0
	v_ffbh_u32_e32 v0, v9
	v_min_u32_e32 v0, 32, v0
	v_mov_b32_e32 v10, v5
	v_subrev_u32_e32 v11, 28, v0
	v_lshlrev_b64 v[10:11], v11, v[9:10]
	v_sub_u32_e32 v0, 29, v0
	v_and_b32_e32 v10, 7, v10
	v_cndmask_b32_e32 v0, v24, v0, vcc
	v_cndmask_b32_e32 v9, v9, v10, vcc
	v_mov_b32_e32 v10, 24
	v_lshlrev_b32_sdwa v10, v10, v17 dst_sel:DWORD dst_unused:UNUSED_PAD src0_sel:DWORD src1_sel:BYTE_3
	v_lshl_add_u32 v0, v0, 23, v26
	v_and_or_b32 v0, v10, s26, v0
	v_lshlrev_b32_e32 v9, 20, v9
	v_or_b32_e32 v25, v0, v9
	v_mov_b32_e32 v24, v5
.LBB215_888:                            ;   in Loop: Header=BB215_606 Depth=1
	s_or_b64 exec, exec, s[14:15]
.LBB215_889:                            ;   in Loop: Header=BB215_606 Depth=1
	s_or_b64 exec, exec, s[12:13]
.LBB215_890:                            ;   in Loop: Header=BB215_606 Depth=1
	s_or_b64 exec, exec, s[6:7]
	v_or_b32_e32 v0, v21, v19
	v_or_b32_e32 v9, v20, v18
	v_mul_f32_e32 v0, s18, v0
	buffer_store_dword v0, off, s[48:51], 0 offset:308 ; 4-byte Folded Spill
	v_mul_f32_e32 v0, s17, v9
	buffer_store_dword v0, off, s[48:51], 0 offset:332 ; 4-byte Folded Spill
	v_or_b32_e32 v0, v25, v23
	v_or_b32_e32 v9, v24, v22
	v_mul_f32_e32 v9, s17, v9
	v_mul_f32_e32 v0, s18, v0
	buffer_store_dword v9, off, s[48:51], 0 offset:324 ; 4-byte Folded Spill
	buffer_store_dword v0, off, s[48:51], 0 offset:316 ; 4-byte Folded Spill
	s_and_saveexec_b64 s[6:7], s[0:1]
	s_cbranch_execz .LBB215_892
; %bb.891:                              ;   in Loop: Header=BB215_606 Depth=1
	v_add_u32_e32 v0, -3, v56
	v_cmp_gt_i32_e32 vcc, s30, v0
	buffer_load_dword v0, off, s[48:51], 0 offset:332 ; 4-byte Folded Reload
	s_waitcnt vmcnt(0)
	v_cndmask_b32_e32 v0, 0, v0, vcc
	buffer_store_dword v0, off, s[48:51], 0 offset:332 ; 4-byte Folded Spill
	v_add_u32_e32 v0, -2, v56
	v_cmp_gt_i32_e32 vcc, s30, v0
	buffer_load_dword v0, off, s[48:51], 0 offset:308 ; 4-byte Folded Reload
	s_waitcnt vmcnt(0)
	v_cndmask_b32_e32 v0, 0, v0, vcc
	buffer_store_dword v0, off, s[48:51], 0 offset:308 ; 4-byte Folded Spill
	;; [unrolled: 6-line block ×3, first 2 shown]
	buffer_load_dword v0, off, s[48:51], 0 offset:316 ; 4-byte Folded Reload
	v_cmp_gt_i32_e32 vcc, s30, v56
	s_waitcnt vmcnt(0)
	v_cndmask_b32_e32 v0, 0, v0, vcc
	buffer_store_dword v0, off, s[48:51], 0 offset:316 ; 4-byte Folded Spill
.LBB215_892:                            ;   in Loop: Header=BB215_606 Depth=1
	s_or_b64 exec, exec, s[6:7]
	global_load_dword v17, v[13:14], off offset:2816
	v_mov_b32_e32 v20, 0
	v_mov_b32_e32 v18, 0
	;; [unrolled: 1-line block ×4, first 2 shown]
	s_waitcnt vmcnt(0)
	v_cmp_ne_u16_sdwa s[12:13], v17, v5 src0_sel:BYTE_0 src1_sel:DWORD
	s_and_saveexec_b64 s[6:7], s[12:13]
	s_cbranch_execz .LBB215_898
; %bb.893:                              ;   in Loop: Header=BB215_606 Depth=1
	v_bfrev_b32_e32 v18, 1
	v_mov_b32_e32 v19, 0
	v_cmp_ne_u16_sdwa s[14:15], v17, s24 src0_sel:BYTE_0 src1_sel:DWORD
	s_and_saveexec_b64 s[12:13], s[14:15]
	s_cbranch_execz .LBB215_897
; %bb.894:                              ;   in Loop: Header=BB215_606 Depth=1
	v_and_b32_e32 v0, 0x7f, v17
	v_mov_b32_e32 v18, 0x7f800001
	v_mov_b32_e32 v19, 0
	v_cmp_ne_u32_e32 vcc, s25, v0
	s_and_saveexec_b64 s[14:15], vcc
	s_cbranch_execz .LBB215_896
; %bb.895:                              ;   in Loop: Header=BB215_606 Depth=1
	v_and_b32_e32 v11, 7, v17
	v_lshrrev_b32_e32 v18, 3, v0
	v_cmp_gt_u32_e32 vcc, 8, v0
	v_ffbh_u32_e32 v0, v11
	v_min_u32_e32 v0, 32, v0
	v_subrev_u32_e32 v9, 28, v0
	v_lshlrev_b64 v[9:10], v9, v[17:18]
	v_sub_u32_e32 v0, 29, v0
	v_and_b32_e32 v9, 7, v9
	v_cndmask_b32_e32 v0, v18, v0, vcc
	v_cndmask_b32_e32 v9, v11, v9, vcc
	v_lshlrev_b32_e32 v9, 20, v9
	v_and_b32_sdwa v10, sext(v17), s26 dst_sel:DWORD dst_unused:UNUSED_PAD src0_sel:BYTE_0 src1_sel:DWORD
	v_lshl_add_u32 v0, v0, 23, v26
	v_or3_b32 v18, v10, v0, v9
	v_mov_b32_e32 v19, v5
.LBB215_896:                            ;   in Loop: Header=BB215_606 Depth=1
	s_or_b64 exec, exec, s[14:15]
.LBB215_897:                            ;   in Loop: Header=BB215_606 Depth=1
	s_or_b64 exec, exec, s[12:13]
.LBB215_898:                            ;   in Loop: Header=BB215_606 Depth=1
	s_or_b64 exec, exec, s[6:7]
	v_cmp_ne_u16_sdwa s[12:13], v17, v5 src0_sel:BYTE_1 src1_sel:DWORD
	s_and_saveexec_b64 s[6:7], s[12:13]
	s_cbranch_execz .LBB215_904
; %bb.899:                              ;   in Loop: Header=BB215_606 Depth=1
	v_mov_b32_e32 v21, v6
	v_cmp_ne_u16_sdwa s[14:15], v17, s24 src0_sel:BYTE_1 src1_sel:DWORD
	v_mov_b32_e32 v20, v5
	s_and_saveexec_b64 s[12:13], s[14:15]
	s_cbranch_execz .LBB215_903
; %bb.900:                              ;   in Loop: Header=BB215_606 Depth=1
	v_and_b32_sdwa v0, v17, s25 dst_sel:DWORD dst_unused:UNUSED_PAD src0_sel:BYTE_1 src1_sel:DWORD
	v_mov_b32_e32 v11, v5
	v_mov_b32_e32 v21, v12
	v_cmp_ne_u32_e32 vcc, s25, v0
	v_mov_b32_e32 v20, v11
	s_and_saveexec_b64 s[14:15], vcc
	s_cbranch_execz .LBB215_902
; %bb.901:                              ;   in Loop: Header=BB215_606 Depth=1
	v_mov_b32_e32 v9, 7
	v_and_b32_sdwa v9, v17, v9 dst_sel:DWORD dst_unused:UNUSED_PAD src0_sel:BYTE_1 src1_sel:DWORD
	v_lshrrev_b32_e32 v20, 3, v0
	v_cmp_gt_u32_e32 vcc, 8, v0
	v_ffbh_u32_e32 v0, v9
	v_min_u32_e32 v0, 32, v0
	v_mov_b32_e32 v10, v5
	v_subrev_u32_e32 v11, 28, v0
	v_lshlrev_b64 v[10:11], v11, v[9:10]
	v_sub_u32_e32 v0, 29, v0
	v_and_b32_e32 v10, 7, v10
	v_cndmask_b32_e32 v0, v20, v0, vcc
	v_cndmask_b32_e32 v9, v9, v10, vcc
	v_lshlrev_b32_e32 v10, 16, v17
	v_lshl_add_u32 v0, v0, 23, v26
	v_and_or_b32 v0, v10, s26, v0
	v_lshlrev_b32_e32 v9, 20, v9
	v_or_b32_e32 v21, v0, v9
	v_mov_b32_e32 v20, v5
.LBB215_902:                            ;   in Loop: Header=BB215_606 Depth=1
	s_or_b64 exec, exec, s[14:15]
.LBB215_903:                            ;   in Loop: Header=BB215_606 Depth=1
	s_or_b64 exec, exec, s[12:13]
.LBB215_904:                            ;   in Loop: Header=BB215_606 Depth=1
	s_or_b64 exec, exec, s[6:7]
	v_lshrrev_b32_e32 v11, 16, v17
	v_mov_b32_e32 v24, 0
	v_mov_b32_e32 v22, 0
	;; [unrolled: 1-line block ×4, first 2 shown]
	v_cmp_ne_u16_sdwa s[12:13], v11, v5 src0_sel:BYTE_0 src1_sel:DWORD
	s_and_saveexec_b64 s[6:7], s[12:13]
	s_cbranch_execz .LBB215_910
; %bb.905:                              ;   in Loop: Header=BB215_606 Depth=1
	v_bfrev_b32_e32 v22, 1
	v_mov_b32_e32 v23, 0
	v_cmp_ne_u16_sdwa s[14:15], v11, s24 src0_sel:BYTE_0 src1_sel:DWORD
	s_and_saveexec_b64 s[12:13], s[14:15]
	s_cbranch_execz .LBB215_909
; %bb.906:                              ;   in Loop: Header=BB215_606 Depth=1
	v_bfe_u32 v0, v17, 16, 7
	v_mov_b32_e32 v22, 0x7f800001
	v_mov_b32_e32 v23, 0
	v_cmp_ne_u32_e32 vcc, s25, v0
	s_and_saveexec_b64 s[14:15], vcc
	s_cbranch_execz .LBB215_908
; %bb.907:                              ;   in Loop: Header=BB215_606 Depth=1
	v_and_b32_e32 v22, 7, v11
	v_lshrrev_b32_e32 v23, 3, v0
	v_cmp_gt_u32_e32 vcc, 8, v0
	v_ffbh_u32_e32 v0, v22
	v_min_u32_e32 v0, 32, v0
	v_subrev_u32_e32 v9, 28, v0
	v_lshlrev_b64 v[9:10], v9, v[11:12]
	v_sub_u32_e32 v0, 29, v0
	v_and_b32_e32 v9, 7, v9
	v_cndmask_b32_e32 v0, v23, v0, vcc
	v_cndmask_b32_e32 v9, v22, v9, vcc
	v_lshlrev_b32_e32 v9, 20, v9
	v_and_b32_sdwa v10, sext(v11), s26 dst_sel:DWORD dst_unused:UNUSED_PAD src0_sel:BYTE_0 src1_sel:DWORD
	v_lshl_add_u32 v0, v0, 23, v26
	v_or3_b32 v22, v10, v0, v9
	v_mov_b32_e32 v23, v5
.LBB215_908:                            ;   in Loop: Header=BB215_606 Depth=1
	s_or_b64 exec, exec, s[14:15]
.LBB215_909:                            ;   in Loop: Header=BB215_606 Depth=1
	s_or_b64 exec, exec, s[12:13]
.LBB215_910:                            ;   in Loop: Header=BB215_606 Depth=1
	s_or_b64 exec, exec, s[6:7]
	v_cmp_lt_u32_e32 vcc, s27, v17
	s_and_saveexec_b64 s[6:7], vcc
	s_cbranch_execz .LBB215_916
; %bb.911:                              ;   in Loop: Header=BB215_606 Depth=1
	v_mov_b32_e32 v25, v6
	v_cmp_ne_u32_sdwa s[14:15], v17, s24 src0_sel:BYTE_3 src1_sel:DWORD
	v_mov_b32_e32 v24, v5
	s_and_saveexec_b64 s[12:13], s[14:15]
	s_cbranch_execz .LBB215_915
; %bb.912:                              ;   in Loop: Header=BB215_606 Depth=1
	v_bfe_u32 v0, v17, 24, 7
	v_mov_b32_e32 v11, v5
	v_mov_b32_e32 v25, v12
	v_cmp_ne_u32_e32 vcc, s25, v0
	v_mov_b32_e32 v24, v11
	s_and_saveexec_b64 s[14:15], vcc
	s_cbranch_execz .LBB215_914
; %bb.913:                              ;   in Loop: Header=BB215_606 Depth=1
	v_mov_b32_e32 v9, 7
	v_and_b32_sdwa v9, v17, v9 dst_sel:DWORD dst_unused:UNUSED_PAD src0_sel:BYTE_3 src1_sel:DWORD
	v_lshrrev_b32_e32 v24, 3, v0
	v_cmp_gt_u32_e32 vcc, 8, v0
	v_ffbh_u32_e32 v0, v9
	v_min_u32_e32 v0, 32, v0
	v_mov_b32_e32 v10, v5
	v_subrev_u32_e32 v11, 28, v0
	v_lshlrev_b64 v[10:11], v11, v[9:10]
	v_sub_u32_e32 v0, 29, v0
	v_and_b32_e32 v10, 7, v10
	v_cndmask_b32_e32 v0, v24, v0, vcc
	v_cndmask_b32_e32 v9, v9, v10, vcc
	v_mov_b32_e32 v10, 24
	v_lshlrev_b32_sdwa v10, v10, v17 dst_sel:DWORD dst_unused:UNUSED_PAD src0_sel:DWORD src1_sel:BYTE_3
	v_lshl_add_u32 v0, v0, 23, v26
	v_and_or_b32 v0, v10, s26, v0
	v_lshlrev_b32_e32 v9, 20, v9
	v_or_b32_e32 v25, v0, v9
	v_mov_b32_e32 v24, v5
.LBB215_914:                            ;   in Loop: Header=BB215_606 Depth=1
	s_or_b64 exec, exec, s[14:15]
.LBB215_915:                            ;   in Loop: Header=BB215_606 Depth=1
	s_or_b64 exec, exec, s[12:13]
.LBB215_916:                            ;   in Loop: Header=BB215_606 Depth=1
	s_or_b64 exec, exec, s[6:7]
	v_or_b32_e32 v0, v21, v19
	v_or_b32_e32 v9, v20, v18
	v_mul_f32_e32 v0, s18, v0
	buffer_store_dword v0, off, s[48:51], 0 offset:340 ; 4-byte Folded Spill
	v_mul_f32_e32 v0, s17, v9
	buffer_store_dword v0, off, s[48:51], 0 offset:364 ; 4-byte Folded Spill
	v_or_b32_e32 v0, v25, v23
	v_or_b32_e32 v9, v24, v22
	v_mul_f32_e32 v9, s17, v9
	v_mul_f32_e32 v0, s18, v0
	buffer_store_dword v9, off, s[48:51], 0 offset:356 ; 4-byte Folded Spill
	buffer_store_dword v0, off, s[48:51], 0 offset:348 ; 4-byte Folded Spill
	s_and_saveexec_b64 s[6:7], s[0:1]
	s_cbranch_execz .LBB215_918
; %bb.917:                              ;   in Loop: Header=BB215_606 Depth=1
	v_add_u32_e32 v0, -3, v56
	v_cmp_gt_i32_e32 vcc, s30, v0
	buffer_load_dword v0, off, s[48:51], 0 offset:364 ; 4-byte Folded Reload
	s_waitcnt vmcnt(0)
	v_cndmask_b32_e32 v0, 0, v0, vcc
	buffer_store_dword v0, off, s[48:51], 0 offset:364 ; 4-byte Folded Spill
	v_add_u32_e32 v0, -2, v56
	v_cmp_gt_i32_e32 vcc, s30, v0
	buffer_load_dword v0, off, s[48:51], 0 offset:340 ; 4-byte Folded Reload
	s_waitcnt vmcnt(0)
	v_cndmask_b32_e32 v0, 0, v0, vcc
	buffer_store_dword v0, off, s[48:51], 0 offset:340 ; 4-byte Folded Spill
	v_add_u32_e32 v0, -1, v56
	v_cmp_gt_i32_e32 vcc, s30, v0
	buffer_load_dword v0, off, s[48:51], 0 offset:356 ; 4-byte Folded Reload
	s_waitcnt vmcnt(0)
	v_cndmask_b32_e32 v0, 0, v0, vcc
	buffer_store_dword v0, off, s[48:51], 0 offset:356 ; 4-byte Folded Spill
	buffer_load_dword v0, off, s[48:51], 0 offset:348 ; 4-byte Folded Reload
	v_cmp_gt_i32_e32 vcc, s30, v56
	s_waitcnt vmcnt(0)
	v_cndmask_b32_e32 v0, 0, v0, vcc
	buffer_store_dword v0, off, s[48:51], 0 offset:348 ; 4-byte Folded Spill
.LBB215_918:                            ;   in Loop: Header=BB215_606 Depth=1
	s_or_b64 exec, exec, s[6:7]
	global_load_dword v17, v[13:14], off offset:3072
	v_mov_b32_e32 v20, 0
	v_mov_b32_e32 v18, 0
	;; [unrolled: 1-line block ×4, first 2 shown]
	s_waitcnt vmcnt(0)
	v_cmp_ne_u16_sdwa s[12:13], v17, v5 src0_sel:BYTE_0 src1_sel:DWORD
	s_and_saveexec_b64 s[6:7], s[12:13]
	s_cbranch_execz .LBB215_924
; %bb.919:                              ;   in Loop: Header=BB215_606 Depth=1
	v_bfrev_b32_e32 v18, 1
	v_mov_b32_e32 v19, 0
	v_cmp_ne_u16_sdwa s[14:15], v17, s24 src0_sel:BYTE_0 src1_sel:DWORD
	s_and_saveexec_b64 s[12:13], s[14:15]
	s_cbranch_execz .LBB215_923
; %bb.920:                              ;   in Loop: Header=BB215_606 Depth=1
	v_and_b32_e32 v0, 0x7f, v17
	v_mov_b32_e32 v18, 0x7f800001
	v_mov_b32_e32 v19, 0
	v_cmp_ne_u32_e32 vcc, s25, v0
	s_and_saveexec_b64 s[14:15], vcc
	s_cbranch_execz .LBB215_922
; %bb.921:                              ;   in Loop: Header=BB215_606 Depth=1
	v_and_b32_e32 v11, 7, v17
	v_lshrrev_b32_e32 v18, 3, v0
	v_cmp_gt_u32_e32 vcc, 8, v0
	v_ffbh_u32_e32 v0, v11
	v_min_u32_e32 v0, 32, v0
	v_subrev_u32_e32 v9, 28, v0
	v_lshlrev_b64 v[9:10], v9, v[17:18]
	v_sub_u32_e32 v0, 29, v0
	v_and_b32_e32 v9, 7, v9
	v_cndmask_b32_e32 v0, v18, v0, vcc
	v_cndmask_b32_e32 v9, v11, v9, vcc
	v_lshlrev_b32_e32 v9, 20, v9
	v_and_b32_sdwa v10, sext(v17), s26 dst_sel:DWORD dst_unused:UNUSED_PAD src0_sel:BYTE_0 src1_sel:DWORD
	v_lshl_add_u32 v0, v0, 23, v26
	v_or3_b32 v18, v10, v0, v9
	v_mov_b32_e32 v19, v5
.LBB215_922:                            ;   in Loop: Header=BB215_606 Depth=1
	s_or_b64 exec, exec, s[14:15]
.LBB215_923:                            ;   in Loop: Header=BB215_606 Depth=1
	s_or_b64 exec, exec, s[12:13]
.LBB215_924:                            ;   in Loop: Header=BB215_606 Depth=1
	s_or_b64 exec, exec, s[6:7]
	v_cmp_ne_u16_sdwa s[12:13], v17, v5 src0_sel:BYTE_1 src1_sel:DWORD
	s_and_saveexec_b64 s[6:7], s[12:13]
	s_cbranch_execz .LBB215_930
; %bb.925:                              ;   in Loop: Header=BB215_606 Depth=1
	v_mov_b32_e32 v21, v6
	v_cmp_ne_u16_sdwa s[14:15], v17, s24 src0_sel:BYTE_1 src1_sel:DWORD
	v_mov_b32_e32 v20, v5
	s_and_saveexec_b64 s[12:13], s[14:15]
	s_cbranch_execz .LBB215_929
; %bb.926:                              ;   in Loop: Header=BB215_606 Depth=1
	v_and_b32_sdwa v0, v17, s25 dst_sel:DWORD dst_unused:UNUSED_PAD src0_sel:BYTE_1 src1_sel:DWORD
	v_mov_b32_e32 v11, v5
	v_mov_b32_e32 v21, v12
	v_cmp_ne_u32_e32 vcc, s25, v0
	v_mov_b32_e32 v20, v11
	s_and_saveexec_b64 s[14:15], vcc
	s_cbranch_execz .LBB215_928
; %bb.927:                              ;   in Loop: Header=BB215_606 Depth=1
	v_mov_b32_e32 v9, 7
	v_and_b32_sdwa v9, v17, v9 dst_sel:DWORD dst_unused:UNUSED_PAD src0_sel:BYTE_1 src1_sel:DWORD
	v_lshrrev_b32_e32 v20, 3, v0
	v_cmp_gt_u32_e32 vcc, 8, v0
	v_ffbh_u32_e32 v0, v9
	v_min_u32_e32 v0, 32, v0
	v_mov_b32_e32 v10, v5
	v_subrev_u32_e32 v11, 28, v0
	v_lshlrev_b64 v[10:11], v11, v[9:10]
	v_sub_u32_e32 v0, 29, v0
	v_and_b32_e32 v10, 7, v10
	v_cndmask_b32_e32 v0, v20, v0, vcc
	v_cndmask_b32_e32 v9, v9, v10, vcc
	v_lshlrev_b32_e32 v10, 16, v17
	v_lshl_add_u32 v0, v0, 23, v26
	v_and_or_b32 v0, v10, s26, v0
	v_lshlrev_b32_e32 v9, 20, v9
	v_or_b32_e32 v21, v0, v9
	v_mov_b32_e32 v20, v5
.LBB215_928:                            ;   in Loop: Header=BB215_606 Depth=1
	s_or_b64 exec, exec, s[14:15]
.LBB215_929:                            ;   in Loop: Header=BB215_606 Depth=1
	s_or_b64 exec, exec, s[12:13]
.LBB215_930:                            ;   in Loop: Header=BB215_606 Depth=1
	s_or_b64 exec, exec, s[6:7]
	v_lshrrev_b32_e32 v11, 16, v17
	v_mov_b32_e32 v24, 0
	v_mov_b32_e32 v22, 0
	;; [unrolled: 1-line block ×4, first 2 shown]
	v_cmp_ne_u16_sdwa s[12:13], v11, v5 src0_sel:BYTE_0 src1_sel:DWORD
	s_and_saveexec_b64 s[6:7], s[12:13]
	s_cbranch_execz .LBB215_936
; %bb.931:                              ;   in Loop: Header=BB215_606 Depth=1
	v_bfrev_b32_e32 v22, 1
	v_mov_b32_e32 v23, 0
	v_cmp_ne_u16_sdwa s[14:15], v11, s24 src0_sel:BYTE_0 src1_sel:DWORD
	s_and_saveexec_b64 s[12:13], s[14:15]
	s_cbranch_execz .LBB215_935
; %bb.932:                              ;   in Loop: Header=BB215_606 Depth=1
	v_bfe_u32 v0, v17, 16, 7
	v_mov_b32_e32 v22, 0x7f800001
	v_mov_b32_e32 v23, 0
	v_cmp_ne_u32_e32 vcc, s25, v0
	s_and_saveexec_b64 s[14:15], vcc
	s_cbranch_execz .LBB215_934
; %bb.933:                              ;   in Loop: Header=BB215_606 Depth=1
	v_and_b32_e32 v22, 7, v11
	v_lshrrev_b32_e32 v23, 3, v0
	v_cmp_gt_u32_e32 vcc, 8, v0
	v_ffbh_u32_e32 v0, v22
	v_min_u32_e32 v0, 32, v0
	v_subrev_u32_e32 v9, 28, v0
	v_lshlrev_b64 v[9:10], v9, v[11:12]
	v_sub_u32_e32 v0, 29, v0
	v_and_b32_e32 v9, 7, v9
	v_cndmask_b32_e32 v0, v23, v0, vcc
	v_cndmask_b32_e32 v9, v22, v9, vcc
	v_lshlrev_b32_e32 v9, 20, v9
	v_and_b32_sdwa v10, sext(v11), s26 dst_sel:DWORD dst_unused:UNUSED_PAD src0_sel:BYTE_0 src1_sel:DWORD
	v_lshl_add_u32 v0, v0, 23, v26
	v_or3_b32 v22, v10, v0, v9
	v_mov_b32_e32 v23, v5
.LBB215_934:                            ;   in Loop: Header=BB215_606 Depth=1
	s_or_b64 exec, exec, s[14:15]
.LBB215_935:                            ;   in Loop: Header=BB215_606 Depth=1
	s_or_b64 exec, exec, s[12:13]
.LBB215_936:                            ;   in Loop: Header=BB215_606 Depth=1
	s_or_b64 exec, exec, s[6:7]
	v_cmp_lt_u32_e32 vcc, s27, v17
	s_and_saveexec_b64 s[6:7], vcc
	s_cbranch_execz .LBB215_942
; %bb.937:                              ;   in Loop: Header=BB215_606 Depth=1
	v_mov_b32_e32 v25, v6
	v_cmp_ne_u32_sdwa s[14:15], v17, s24 src0_sel:BYTE_3 src1_sel:DWORD
	v_mov_b32_e32 v24, v5
	s_and_saveexec_b64 s[12:13], s[14:15]
	s_cbranch_execz .LBB215_941
; %bb.938:                              ;   in Loop: Header=BB215_606 Depth=1
	v_bfe_u32 v0, v17, 24, 7
	v_mov_b32_e32 v11, v5
	v_mov_b32_e32 v25, v12
	v_cmp_ne_u32_e32 vcc, s25, v0
	v_mov_b32_e32 v24, v11
	s_and_saveexec_b64 s[14:15], vcc
	s_cbranch_execz .LBB215_940
; %bb.939:                              ;   in Loop: Header=BB215_606 Depth=1
	v_mov_b32_e32 v9, 7
	v_and_b32_sdwa v9, v17, v9 dst_sel:DWORD dst_unused:UNUSED_PAD src0_sel:BYTE_3 src1_sel:DWORD
	v_lshrrev_b32_e32 v24, 3, v0
	v_cmp_gt_u32_e32 vcc, 8, v0
	v_ffbh_u32_e32 v0, v9
	v_min_u32_e32 v0, 32, v0
	v_mov_b32_e32 v10, v5
	v_subrev_u32_e32 v11, 28, v0
	v_lshlrev_b64 v[10:11], v11, v[9:10]
	v_sub_u32_e32 v0, 29, v0
	v_and_b32_e32 v10, 7, v10
	v_cndmask_b32_e32 v0, v24, v0, vcc
	v_cndmask_b32_e32 v9, v9, v10, vcc
	v_mov_b32_e32 v10, 24
	v_lshlrev_b32_sdwa v10, v10, v17 dst_sel:DWORD dst_unused:UNUSED_PAD src0_sel:DWORD src1_sel:BYTE_3
	v_lshl_add_u32 v0, v0, 23, v26
	v_and_or_b32 v0, v10, s26, v0
	v_lshlrev_b32_e32 v9, 20, v9
	v_or_b32_e32 v25, v0, v9
	v_mov_b32_e32 v24, v5
.LBB215_940:                            ;   in Loop: Header=BB215_606 Depth=1
	s_or_b64 exec, exec, s[14:15]
.LBB215_941:                            ;   in Loop: Header=BB215_606 Depth=1
	s_or_b64 exec, exec, s[12:13]
.LBB215_942:                            ;   in Loop: Header=BB215_606 Depth=1
	s_or_b64 exec, exec, s[6:7]
	v_or_b32_e32 v0, v21, v19
	v_or_b32_e32 v9, v20, v18
	v_mul_f32_e32 v0, s18, v0
	buffer_store_dword v0, off, s[48:51], 0 offset:372 ; 4-byte Folded Spill
	v_mul_f32_e32 v0, s17, v9
	buffer_store_dword v0, off, s[48:51], 0 offset:396 ; 4-byte Folded Spill
	v_or_b32_e32 v0, v25, v23
	v_or_b32_e32 v9, v24, v22
	v_mul_f32_e32 v9, s17, v9
	v_mul_f32_e32 v0, s18, v0
	buffer_store_dword v9, off, s[48:51], 0 offset:388 ; 4-byte Folded Spill
	buffer_store_dword v0, off, s[48:51], 0 offset:380 ; 4-byte Folded Spill
	s_and_saveexec_b64 s[6:7], s[0:1]
	s_cbranch_execz .LBB215_944
; %bb.943:                              ;   in Loop: Header=BB215_606 Depth=1
	v_add_u32_e32 v0, -3, v56
	v_cmp_gt_i32_e32 vcc, s30, v0
	buffer_load_dword v0, off, s[48:51], 0 offset:396 ; 4-byte Folded Reload
	s_waitcnt vmcnt(0)
	v_cndmask_b32_e32 v0, 0, v0, vcc
	buffer_store_dword v0, off, s[48:51], 0 offset:396 ; 4-byte Folded Spill
	v_add_u32_e32 v0, -2, v56
	v_cmp_gt_i32_e32 vcc, s30, v0
	buffer_load_dword v0, off, s[48:51], 0 offset:372 ; 4-byte Folded Reload
	s_waitcnt vmcnt(0)
	v_cndmask_b32_e32 v0, 0, v0, vcc
	buffer_store_dword v0, off, s[48:51], 0 offset:372 ; 4-byte Folded Spill
	v_add_u32_e32 v0, -1, v56
	v_cmp_gt_i32_e32 vcc, s30, v0
	buffer_load_dword v0, off, s[48:51], 0 offset:388 ; 4-byte Folded Reload
	s_waitcnt vmcnt(0)
	v_cndmask_b32_e32 v0, 0, v0, vcc
	buffer_store_dword v0, off, s[48:51], 0 offset:388 ; 4-byte Folded Spill
	buffer_load_dword v0, off, s[48:51], 0 offset:380 ; 4-byte Folded Reload
	v_cmp_gt_i32_e32 vcc, s30, v56
	s_waitcnt vmcnt(0)
	v_cndmask_b32_e32 v0, 0, v0, vcc
	buffer_store_dword v0, off, s[48:51], 0 offset:380 ; 4-byte Folded Spill
.LBB215_944:                            ;   in Loop: Header=BB215_606 Depth=1
	s_or_b64 exec, exec, s[6:7]
	global_load_dword v17, v[13:14], off offset:3328
	v_mov_b32_e32 v20, 0
	v_mov_b32_e32 v18, 0
	;; [unrolled: 1-line block ×4, first 2 shown]
	s_waitcnt vmcnt(0)
	v_cmp_ne_u16_sdwa s[12:13], v17, v5 src0_sel:BYTE_0 src1_sel:DWORD
	s_and_saveexec_b64 s[6:7], s[12:13]
	s_cbranch_execz .LBB215_950
; %bb.945:                              ;   in Loop: Header=BB215_606 Depth=1
	v_bfrev_b32_e32 v18, 1
	v_mov_b32_e32 v19, 0
	v_cmp_ne_u16_sdwa s[14:15], v17, s24 src0_sel:BYTE_0 src1_sel:DWORD
	s_and_saveexec_b64 s[12:13], s[14:15]
	s_cbranch_execz .LBB215_949
; %bb.946:                              ;   in Loop: Header=BB215_606 Depth=1
	v_and_b32_e32 v0, 0x7f, v17
	v_mov_b32_e32 v18, 0x7f800001
	v_mov_b32_e32 v19, 0
	v_cmp_ne_u32_e32 vcc, s25, v0
	s_and_saveexec_b64 s[14:15], vcc
	s_cbranch_execz .LBB215_948
; %bb.947:                              ;   in Loop: Header=BB215_606 Depth=1
	v_and_b32_e32 v11, 7, v17
	v_lshrrev_b32_e32 v18, 3, v0
	v_cmp_gt_u32_e32 vcc, 8, v0
	v_ffbh_u32_e32 v0, v11
	v_min_u32_e32 v0, 32, v0
	v_subrev_u32_e32 v9, 28, v0
	v_lshlrev_b64 v[9:10], v9, v[17:18]
	v_sub_u32_e32 v0, 29, v0
	v_and_b32_e32 v9, 7, v9
	v_cndmask_b32_e32 v0, v18, v0, vcc
	v_cndmask_b32_e32 v9, v11, v9, vcc
	v_lshlrev_b32_e32 v9, 20, v9
	v_and_b32_sdwa v10, sext(v17), s26 dst_sel:DWORD dst_unused:UNUSED_PAD src0_sel:BYTE_0 src1_sel:DWORD
	v_lshl_add_u32 v0, v0, 23, v26
	v_or3_b32 v18, v10, v0, v9
	v_mov_b32_e32 v19, v5
.LBB215_948:                            ;   in Loop: Header=BB215_606 Depth=1
	s_or_b64 exec, exec, s[14:15]
.LBB215_949:                            ;   in Loop: Header=BB215_606 Depth=1
	s_or_b64 exec, exec, s[12:13]
.LBB215_950:                            ;   in Loop: Header=BB215_606 Depth=1
	s_or_b64 exec, exec, s[6:7]
	v_cmp_ne_u16_sdwa s[12:13], v17, v5 src0_sel:BYTE_1 src1_sel:DWORD
	s_and_saveexec_b64 s[6:7], s[12:13]
	s_cbranch_execz .LBB215_956
; %bb.951:                              ;   in Loop: Header=BB215_606 Depth=1
	v_mov_b32_e32 v21, v6
	v_cmp_ne_u16_sdwa s[14:15], v17, s24 src0_sel:BYTE_1 src1_sel:DWORD
	v_mov_b32_e32 v20, v5
	s_and_saveexec_b64 s[12:13], s[14:15]
	s_cbranch_execz .LBB215_955
; %bb.952:                              ;   in Loop: Header=BB215_606 Depth=1
	v_and_b32_sdwa v0, v17, s25 dst_sel:DWORD dst_unused:UNUSED_PAD src0_sel:BYTE_1 src1_sel:DWORD
	v_mov_b32_e32 v11, v5
	v_mov_b32_e32 v21, v12
	v_cmp_ne_u32_e32 vcc, s25, v0
	v_mov_b32_e32 v20, v11
	s_and_saveexec_b64 s[14:15], vcc
	s_cbranch_execz .LBB215_954
; %bb.953:                              ;   in Loop: Header=BB215_606 Depth=1
	v_mov_b32_e32 v9, 7
	v_and_b32_sdwa v9, v17, v9 dst_sel:DWORD dst_unused:UNUSED_PAD src0_sel:BYTE_1 src1_sel:DWORD
	v_lshrrev_b32_e32 v20, 3, v0
	v_cmp_gt_u32_e32 vcc, 8, v0
	v_ffbh_u32_e32 v0, v9
	v_min_u32_e32 v0, 32, v0
	v_mov_b32_e32 v10, v5
	v_subrev_u32_e32 v11, 28, v0
	v_lshlrev_b64 v[10:11], v11, v[9:10]
	v_sub_u32_e32 v0, 29, v0
	v_and_b32_e32 v10, 7, v10
	v_cndmask_b32_e32 v0, v20, v0, vcc
	v_cndmask_b32_e32 v9, v9, v10, vcc
	v_lshlrev_b32_e32 v10, 16, v17
	v_lshl_add_u32 v0, v0, 23, v26
	v_and_or_b32 v0, v10, s26, v0
	v_lshlrev_b32_e32 v9, 20, v9
	v_or_b32_e32 v21, v0, v9
	v_mov_b32_e32 v20, v5
.LBB215_954:                            ;   in Loop: Header=BB215_606 Depth=1
	s_or_b64 exec, exec, s[14:15]
.LBB215_955:                            ;   in Loop: Header=BB215_606 Depth=1
	s_or_b64 exec, exec, s[12:13]
.LBB215_956:                            ;   in Loop: Header=BB215_606 Depth=1
	s_or_b64 exec, exec, s[6:7]
	v_lshrrev_b32_e32 v11, 16, v17
	v_mov_b32_e32 v24, 0
	v_mov_b32_e32 v22, 0
	;; [unrolled: 1-line block ×4, first 2 shown]
	v_cmp_ne_u16_sdwa s[12:13], v11, v5 src0_sel:BYTE_0 src1_sel:DWORD
	s_and_saveexec_b64 s[6:7], s[12:13]
	s_cbranch_execz .LBB215_962
; %bb.957:                              ;   in Loop: Header=BB215_606 Depth=1
	v_bfrev_b32_e32 v22, 1
	v_mov_b32_e32 v23, 0
	v_cmp_ne_u16_sdwa s[14:15], v11, s24 src0_sel:BYTE_0 src1_sel:DWORD
	s_and_saveexec_b64 s[12:13], s[14:15]
	s_cbranch_execz .LBB215_961
; %bb.958:                              ;   in Loop: Header=BB215_606 Depth=1
	v_bfe_u32 v0, v17, 16, 7
	v_mov_b32_e32 v22, 0x7f800001
	v_mov_b32_e32 v23, 0
	v_cmp_ne_u32_e32 vcc, s25, v0
	s_and_saveexec_b64 s[14:15], vcc
	s_cbranch_execz .LBB215_960
; %bb.959:                              ;   in Loop: Header=BB215_606 Depth=1
	v_and_b32_e32 v22, 7, v11
	v_lshrrev_b32_e32 v23, 3, v0
	v_cmp_gt_u32_e32 vcc, 8, v0
	v_ffbh_u32_e32 v0, v22
	v_min_u32_e32 v0, 32, v0
	v_subrev_u32_e32 v9, 28, v0
	v_lshlrev_b64 v[9:10], v9, v[11:12]
	v_sub_u32_e32 v0, 29, v0
	v_and_b32_e32 v9, 7, v9
	v_cndmask_b32_e32 v0, v23, v0, vcc
	v_cndmask_b32_e32 v9, v22, v9, vcc
	v_lshlrev_b32_e32 v9, 20, v9
	v_and_b32_sdwa v10, sext(v11), s26 dst_sel:DWORD dst_unused:UNUSED_PAD src0_sel:BYTE_0 src1_sel:DWORD
	v_lshl_add_u32 v0, v0, 23, v26
	v_or3_b32 v22, v10, v0, v9
	v_mov_b32_e32 v23, v5
.LBB215_960:                            ;   in Loop: Header=BB215_606 Depth=1
	s_or_b64 exec, exec, s[14:15]
.LBB215_961:                            ;   in Loop: Header=BB215_606 Depth=1
	s_or_b64 exec, exec, s[12:13]
.LBB215_962:                            ;   in Loop: Header=BB215_606 Depth=1
	s_or_b64 exec, exec, s[6:7]
	v_cmp_lt_u32_e32 vcc, s27, v17
	s_and_saveexec_b64 s[6:7], vcc
	s_cbranch_execz .LBB215_968
; %bb.963:                              ;   in Loop: Header=BB215_606 Depth=1
	v_mov_b32_e32 v25, v6
	v_cmp_ne_u32_sdwa s[14:15], v17, s24 src0_sel:BYTE_3 src1_sel:DWORD
	v_mov_b32_e32 v24, v5
	s_and_saveexec_b64 s[12:13], s[14:15]
	s_cbranch_execz .LBB215_967
; %bb.964:                              ;   in Loop: Header=BB215_606 Depth=1
	v_bfe_u32 v0, v17, 24, 7
	v_mov_b32_e32 v11, v5
	v_mov_b32_e32 v25, v12
	v_cmp_ne_u32_e32 vcc, s25, v0
	v_mov_b32_e32 v24, v11
	s_and_saveexec_b64 s[14:15], vcc
	s_cbranch_execz .LBB215_966
; %bb.965:                              ;   in Loop: Header=BB215_606 Depth=1
	v_mov_b32_e32 v9, 7
	v_and_b32_sdwa v9, v17, v9 dst_sel:DWORD dst_unused:UNUSED_PAD src0_sel:BYTE_3 src1_sel:DWORD
	v_lshrrev_b32_e32 v24, 3, v0
	v_cmp_gt_u32_e32 vcc, 8, v0
	v_ffbh_u32_e32 v0, v9
	v_min_u32_e32 v0, 32, v0
	v_mov_b32_e32 v10, v5
	v_subrev_u32_e32 v11, 28, v0
	v_lshlrev_b64 v[10:11], v11, v[9:10]
	v_sub_u32_e32 v0, 29, v0
	v_and_b32_e32 v10, 7, v10
	v_cndmask_b32_e32 v0, v24, v0, vcc
	v_cndmask_b32_e32 v9, v9, v10, vcc
	v_mov_b32_e32 v10, 24
	v_lshlrev_b32_sdwa v10, v10, v17 dst_sel:DWORD dst_unused:UNUSED_PAD src0_sel:DWORD src1_sel:BYTE_3
	v_lshl_add_u32 v0, v0, 23, v26
	v_and_or_b32 v0, v10, s26, v0
	v_lshlrev_b32_e32 v9, 20, v9
	v_or_b32_e32 v25, v0, v9
	v_mov_b32_e32 v24, v5
.LBB215_966:                            ;   in Loop: Header=BB215_606 Depth=1
	s_or_b64 exec, exec, s[14:15]
.LBB215_967:                            ;   in Loop: Header=BB215_606 Depth=1
	s_or_b64 exec, exec, s[12:13]
.LBB215_968:                            ;   in Loop: Header=BB215_606 Depth=1
	s_or_b64 exec, exec, s[6:7]
	v_or_b32_e32 v0, v21, v19
	v_or_b32_e32 v9, v20, v18
	v_mul_f32_e32 v0, s18, v0
	buffer_store_dword v0, off, s[48:51], 0 offset:404 ; 4-byte Folded Spill
	v_mul_f32_e32 v61, s17, v9
	v_or_b32_e32 v0, v25, v23
	v_or_b32_e32 v9, v24, v22
	v_mul_f32_e32 v59, s17, v9
	v_mul_f32_e32 v0, s18, v0
	buffer_store_dword v0, off, s[48:51], 0 offset:412 ; 4-byte Folded Spill
	s_and_saveexec_b64 s[6:7], s[0:1]
	s_cbranch_execz .LBB215_970
; %bb.969:                              ;   in Loop: Header=BB215_606 Depth=1
	v_add_u32_e32 v0, -3, v56
	v_cmp_gt_i32_e32 vcc, s30, v0
	v_add_u32_e32 v0, -2, v56
	v_cndmask_b32_e32 v61, 0, v61, vcc
	v_cmp_gt_i32_e32 vcc, s30, v0
	buffer_load_dword v0, off, s[48:51], 0 offset:404 ; 4-byte Folded Reload
	s_waitcnt vmcnt(0)
	v_cndmask_b32_e32 v0, 0, v0, vcc
	buffer_store_dword v0, off, s[48:51], 0 offset:404 ; 4-byte Folded Spill
	v_add_u32_e32 v0, -1, v56
	v_cmp_gt_i32_e32 vcc, s30, v0
	buffer_load_dword v0, off, s[48:51], 0 offset:412 ; 4-byte Folded Reload
	v_cndmask_b32_e32 v59, 0, v59, vcc
	v_cmp_gt_i32_e32 vcc, s30, v56
	s_waitcnt vmcnt(0)
	v_cndmask_b32_e32 v0, 0, v0, vcc
	buffer_store_dword v0, off, s[48:51], 0 offset:412 ; 4-byte Folded Spill
.LBB215_970:                            ;   in Loop: Header=BB215_606 Depth=1
	s_or_b64 exec, exec, s[6:7]
	global_load_dword v17, v[13:14], off offset:3584
	v_mov_b32_e32 v20, 0
	v_mov_b32_e32 v18, 0
	;; [unrolled: 1-line block ×4, first 2 shown]
	s_waitcnt vmcnt(0)
	v_cmp_ne_u16_sdwa s[12:13], v17, v5 src0_sel:BYTE_0 src1_sel:DWORD
	s_and_saveexec_b64 s[6:7], s[12:13]
	s_cbranch_execz .LBB215_976
; %bb.971:                              ;   in Loop: Header=BB215_606 Depth=1
	v_bfrev_b32_e32 v18, 1
	v_mov_b32_e32 v19, 0
	v_cmp_ne_u16_sdwa s[14:15], v17, s24 src0_sel:BYTE_0 src1_sel:DWORD
	s_and_saveexec_b64 s[12:13], s[14:15]
	s_cbranch_execz .LBB215_975
; %bb.972:                              ;   in Loop: Header=BB215_606 Depth=1
	v_and_b32_e32 v0, 0x7f, v17
	v_mov_b32_e32 v18, 0x7f800001
	v_mov_b32_e32 v19, 0
	v_cmp_ne_u32_e32 vcc, s25, v0
	s_and_saveexec_b64 s[14:15], vcc
	s_cbranch_execz .LBB215_974
; %bb.973:                              ;   in Loop: Header=BB215_606 Depth=1
	v_and_b32_e32 v11, 7, v17
	v_lshrrev_b32_e32 v18, 3, v0
	v_cmp_gt_u32_e32 vcc, 8, v0
	v_ffbh_u32_e32 v0, v11
	v_min_u32_e32 v0, 32, v0
	v_subrev_u32_e32 v9, 28, v0
	v_lshlrev_b64 v[9:10], v9, v[17:18]
	v_sub_u32_e32 v0, 29, v0
	v_and_b32_e32 v9, 7, v9
	v_cndmask_b32_e32 v0, v18, v0, vcc
	v_cndmask_b32_e32 v9, v11, v9, vcc
	v_lshlrev_b32_e32 v9, 20, v9
	v_and_b32_sdwa v10, sext(v17), s26 dst_sel:DWORD dst_unused:UNUSED_PAD src0_sel:BYTE_0 src1_sel:DWORD
	v_lshl_add_u32 v0, v0, 23, v26
	v_or3_b32 v18, v10, v0, v9
	v_mov_b32_e32 v19, v5
.LBB215_974:                            ;   in Loop: Header=BB215_606 Depth=1
	s_or_b64 exec, exec, s[14:15]
.LBB215_975:                            ;   in Loop: Header=BB215_606 Depth=1
	s_or_b64 exec, exec, s[12:13]
.LBB215_976:                            ;   in Loop: Header=BB215_606 Depth=1
	s_or_b64 exec, exec, s[6:7]
	v_cmp_ne_u16_sdwa s[12:13], v17, v5 src0_sel:BYTE_1 src1_sel:DWORD
	s_and_saveexec_b64 s[6:7], s[12:13]
	s_cbranch_execz .LBB215_982
; %bb.977:                              ;   in Loop: Header=BB215_606 Depth=1
	v_mov_b32_e32 v21, v6
	v_cmp_ne_u16_sdwa s[14:15], v17, s24 src0_sel:BYTE_1 src1_sel:DWORD
	v_mov_b32_e32 v20, v5
	s_and_saveexec_b64 s[12:13], s[14:15]
	s_cbranch_execz .LBB215_981
; %bb.978:                              ;   in Loop: Header=BB215_606 Depth=1
	v_and_b32_sdwa v0, v17, s25 dst_sel:DWORD dst_unused:UNUSED_PAD src0_sel:BYTE_1 src1_sel:DWORD
	v_mov_b32_e32 v11, v5
	v_mov_b32_e32 v21, v12
	v_cmp_ne_u32_e32 vcc, s25, v0
	v_mov_b32_e32 v20, v11
	s_and_saveexec_b64 s[14:15], vcc
	s_cbranch_execz .LBB215_980
; %bb.979:                              ;   in Loop: Header=BB215_606 Depth=1
	v_mov_b32_e32 v9, 7
	v_and_b32_sdwa v9, v17, v9 dst_sel:DWORD dst_unused:UNUSED_PAD src0_sel:BYTE_1 src1_sel:DWORD
	v_lshrrev_b32_e32 v20, 3, v0
	v_cmp_gt_u32_e32 vcc, 8, v0
	v_ffbh_u32_e32 v0, v9
	v_min_u32_e32 v0, 32, v0
	v_mov_b32_e32 v10, v5
	v_subrev_u32_e32 v11, 28, v0
	v_lshlrev_b64 v[10:11], v11, v[9:10]
	v_sub_u32_e32 v0, 29, v0
	v_and_b32_e32 v10, 7, v10
	v_cndmask_b32_e32 v0, v20, v0, vcc
	v_cndmask_b32_e32 v9, v9, v10, vcc
	v_lshlrev_b32_e32 v10, 16, v17
	v_lshl_add_u32 v0, v0, 23, v26
	v_and_or_b32 v0, v10, s26, v0
	v_lshlrev_b32_e32 v9, 20, v9
	v_or_b32_e32 v21, v0, v9
	v_mov_b32_e32 v20, v5
.LBB215_980:                            ;   in Loop: Header=BB215_606 Depth=1
	s_or_b64 exec, exec, s[14:15]
.LBB215_981:                            ;   in Loop: Header=BB215_606 Depth=1
	s_or_b64 exec, exec, s[12:13]
.LBB215_982:                            ;   in Loop: Header=BB215_606 Depth=1
	s_or_b64 exec, exec, s[6:7]
	v_lshrrev_b32_e32 v11, 16, v17
	v_mov_b32_e32 v24, 0
	v_mov_b32_e32 v22, 0
	;; [unrolled: 1-line block ×4, first 2 shown]
	v_cmp_ne_u16_sdwa s[12:13], v11, v5 src0_sel:BYTE_0 src1_sel:DWORD
	s_and_saveexec_b64 s[6:7], s[12:13]
	s_cbranch_execz .LBB215_988
; %bb.983:                              ;   in Loop: Header=BB215_606 Depth=1
	v_bfrev_b32_e32 v22, 1
	v_mov_b32_e32 v23, 0
	v_cmp_ne_u16_sdwa s[14:15], v11, s24 src0_sel:BYTE_0 src1_sel:DWORD
	s_and_saveexec_b64 s[12:13], s[14:15]
	s_cbranch_execz .LBB215_987
; %bb.984:                              ;   in Loop: Header=BB215_606 Depth=1
	v_bfe_u32 v0, v17, 16, 7
	v_mov_b32_e32 v22, 0x7f800001
	v_mov_b32_e32 v23, 0
	v_cmp_ne_u32_e32 vcc, s25, v0
	s_and_saveexec_b64 s[14:15], vcc
	s_cbranch_execz .LBB215_986
; %bb.985:                              ;   in Loop: Header=BB215_606 Depth=1
	v_and_b32_e32 v22, 7, v11
	v_lshrrev_b32_e32 v23, 3, v0
	v_cmp_gt_u32_e32 vcc, 8, v0
	v_ffbh_u32_e32 v0, v22
	v_min_u32_e32 v0, 32, v0
	v_subrev_u32_e32 v9, 28, v0
	v_lshlrev_b64 v[9:10], v9, v[11:12]
	v_sub_u32_e32 v0, 29, v0
	v_and_b32_e32 v9, 7, v9
	v_cndmask_b32_e32 v0, v23, v0, vcc
	v_cndmask_b32_e32 v9, v22, v9, vcc
	v_lshlrev_b32_e32 v9, 20, v9
	v_and_b32_sdwa v10, sext(v11), s26 dst_sel:DWORD dst_unused:UNUSED_PAD src0_sel:BYTE_0 src1_sel:DWORD
	v_lshl_add_u32 v0, v0, 23, v26
	v_or3_b32 v22, v10, v0, v9
	v_mov_b32_e32 v23, v5
.LBB215_986:                            ;   in Loop: Header=BB215_606 Depth=1
	s_or_b64 exec, exec, s[14:15]
.LBB215_987:                            ;   in Loop: Header=BB215_606 Depth=1
	s_or_b64 exec, exec, s[12:13]
.LBB215_988:                            ;   in Loop: Header=BB215_606 Depth=1
	s_or_b64 exec, exec, s[6:7]
	v_cmp_lt_u32_e32 vcc, s27, v17
	s_and_saveexec_b64 s[6:7], vcc
	s_cbranch_execz .LBB215_994
; %bb.989:                              ;   in Loop: Header=BB215_606 Depth=1
	v_mov_b32_e32 v25, v6
	v_cmp_ne_u32_sdwa s[14:15], v17, s24 src0_sel:BYTE_3 src1_sel:DWORD
	v_mov_b32_e32 v24, v5
	s_and_saveexec_b64 s[12:13], s[14:15]
	s_cbranch_execz .LBB215_993
; %bb.990:                              ;   in Loop: Header=BB215_606 Depth=1
	v_bfe_u32 v0, v17, 24, 7
	v_mov_b32_e32 v11, v5
	v_mov_b32_e32 v25, v12
	v_cmp_ne_u32_e32 vcc, s25, v0
	v_mov_b32_e32 v24, v11
	s_and_saveexec_b64 s[14:15], vcc
	s_cbranch_execz .LBB215_992
; %bb.991:                              ;   in Loop: Header=BB215_606 Depth=1
	v_mov_b32_e32 v9, 7
	v_and_b32_sdwa v9, v17, v9 dst_sel:DWORD dst_unused:UNUSED_PAD src0_sel:BYTE_3 src1_sel:DWORD
	v_lshrrev_b32_e32 v24, 3, v0
	v_cmp_gt_u32_e32 vcc, 8, v0
	v_ffbh_u32_e32 v0, v9
	v_min_u32_e32 v0, 32, v0
	v_mov_b32_e32 v10, v5
	v_subrev_u32_e32 v11, 28, v0
	v_lshlrev_b64 v[10:11], v11, v[9:10]
	v_sub_u32_e32 v0, 29, v0
	v_and_b32_e32 v10, 7, v10
	v_cndmask_b32_e32 v0, v24, v0, vcc
	v_cndmask_b32_e32 v9, v9, v10, vcc
	v_mov_b32_e32 v10, 24
	v_lshlrev_b32_sdwa v10, v10, v17 dst_sel:DWORD dst_unused:UNUSED_PAD src0_sel:DWORD src1_sel:BYTE_3
	v_lshl_add_u32 v0, v0, 23, v26
	v_and_or_b32 v0, v10, s26, v0
	v_lshlrev_b32_e32 v9, 20, v9
	v_or_b32_e32 v25, v0, v9
	v_mov_b32_e32 v24, v5
.LBB215_992:                            ;   in Loop: Header=BB215_606 Depth=1
	s_or_b64 exec, exec, s[14:15]
.LBB215_993:                            ;   in Loop: Header=BB215_606 Depth=1
	s_or_b64 exec, exec, s[12:13]
.LBB215_994:                            ;   in Loop: Header=BB215_606 Depth=1
	s_or_b64 exec, exec, s[6:7]
	v_or_b32_e32 v0, v21, v19
	v_or_b32_e32 v9, v20, v18
	v_mul_f32_e32 v62, s18, v0
	v_mul_f32_e32 v63, s17, v9
	v_or_b32_e32 v0, v25, v23
	v_or_b32_e32 v9, v24, v22
	v_mul_f32_e32 v25, s17, v9
	v_mul_f32_e32 v24, s18, v0
	s_and_saveexec_b64 s[6:7], s[0:1]
	s_cbranch_execz .LBB215_996
; %bb.995:                              ;   in Loop: Header=BB215_606 Depth=1
	v_add_u32_e32 v0, -3, v56
	v_cmp_gt_i32_e32 vcc, s30, v0
	v_add_u32_e32 v0, -2, v56
	v_cndmask_b32_e32 v63, 0, v63, vcc
	v_cmp_gt_i32_e32 vcc, s30, v0
	v_add_u32_e32 v0, -1, v56
	v_cndmask_b32_e32 v62, 0, v62, vcc
	v_cmp_gt_i32_e32 vcc, s30, v0
	v_cndmask_b32_e32 v25, 0, v25, vcc
	v_cmp_gt_i32_e32 vcc, s30, v56
	v_cndmask_b32_e32 v24, 0, v24, vcc
.LBB215_996:                            ;   in Loop: Header=BB215_606 Depth=1
	s_or_b64 exec, exec, s[6:7]
	buffer_load_dword v0, off, s[48:51], 0 offset:596 ; 4-byte Folded Reload
	v_mov_b32_e32 v18, 0
	v_mov_b32_e32 v19, 0
	s_waitcnt vmcnt(0)
	v_add_co_u32_e32 v9, vcc, v15, v0
	v_addc_co_u32_e32 v10, vcc, 0, v16, vcc
	global_load_dword v15, v[9:10], off
	v_mov_b32_e32 v16, 0
	v_mov_b32_e32 v17, 0
	s_waitcnt vmcnt(0)
	v_cmp_ne_u16_sdwa s[12:13], v15, v5 src0_sel:BYTE_0 src1_sel:DWORD
	s_and_saveexec_b64 s[6:7], s[12:13]
	s_cbranch_execz .LBB215_1002
; %bb.997:                              ;   in Loop: Header=BB215_606 Depth=1
	v_bfrev_b32_e32 v16, 1
	v_mov_b32_e32 v17, 0
	v_cmp_ne_u16_sdwa s[14:15], v15, s24 src0_sel:BYTE_0 src1_sel:DWORD
	s_and_saveexec_b64 s[12:13], s[14:15]
	s_cbranch_execz .LBB215_1001
; %bb.998:                              ;   in Loop: Header=BB215_606 Depth=1
	v_and_b32_e32 v0, 0x7f, v15
	v_mov_b32_e32 v16, 0x7f800001
	v_mov_b32_e32 v17, 0
	v_cmp_ne_u32_e32 vcc, s25, v0
	s_and_saveexec_b64 s[14:15], vcc
	s_cbranch_execz .LBB215_1000
; %bb.999:                              ;   in Loop: Header=BB215_606 Depth=1
	v_and_b32_e32 v11, 7, v15
	v_lshrrev_b32_e32 v16, 3, v0
	v_cmp_gt_u32_e32 vcc, 8, v0
	v_ffbh_u32_e32 v0, v11
	v_min_u32_e32 v0, 32, v0
	v_subrev_u32_e32 v9, 28, v0
	v_lshlrev_b64 v[9:10], v9, v[15:16]
	v_sub_u32_e32 v0, 29, v0
	v_and_b32_e32 v9, 7, v9
	v_cndmask_b32_e32 v0, v16, v0, vcc
	v_cndmask_b32_e32 v9, v11, v9, vcc
	v_lshlrev_b32_e32 v9, 20, v9
	v_and_b32_sdwa v10, sext(v15), s26 dst_sel:DWORD dst_unused:UNUSED_PAD src0_sel:BYTE_0 src1_sel:DWORD
	v_lshl_add_u32 v0, v0, 23, v26
	v_or3_b32 v16, v10, v0, v9
	v_mov_b32_e32 v17, v5
.LBB215_1000:                           ;   in Loop: Header=BB215_606 Depth=1
	s_or_b64 exec, exec, s[14:15]
.LBB215_1001:                           ;   in Loop: Header=BB215_606 Depth=1
	s_or_b64 exec, exec, s[12:13]
.LBB215_1002:                           ;   in Loop: Header=BB215_606 Depth=1
	s_or_b64 exec, exec, s[6:7]
	v_cmp_ne_u16_sdwa s[12:13], v15, v5 src0_sel:BYTE_1 src1_sel:DWORD
	s_and_saveexec_b64 s[6:7], s[12:13]
	s_cbranch_execz .LBB215_1008
; %bb.1003:                             ;   in Loop: Header=BB215_606 Depth=1
	v_mov_b32_e32 v19, v6
	v_cmp_ne_u16_sdwa s[14:15], v15, s24 src0_sel:BYTE_1 src1_sel:DWORD
	v_mov_b32_e32 v18, v5
	s_and_saveexec_b64 s[12:13], s[14:15]
	s_cbranch_execz .LBB215_1007
; %bb.1004:                             ;   in Loop: Header=BB215_606 Depth=1
	v_and_b32_sdwa v0, v15, s25 dst_sel:DWORD dst_unused:UNUSED_PAD src0_sel:BYTE_1 src1_sel:DWORD
	v_mov_b32_e32 v11, v5
	v_mov_b32_e32 v19, v12
	v_cmp_ne_u32_e32 vcc, s25, v0
	v_mov_b32_e32 v18, v11
	s_and_saveexec_b64 s[14:15], vcc
	s_cbranch_execz .LBB215_1006
; %bb.1005:                             ;   in Loop: Header=BB215_606 Depth=1
	v_mov_b32_e32 v9, 7
	v_and_b32_sdwa v9, v15, v9 dst_sel:DWORD dst_unused:UNUSED_PAD src0_sel:BYTE_1 src1_sel:DWORD
	v_lshrrev_b32_e32 v18, 3, v0
	v_cmp_gt_u32_e32 vcc, 8, v0
	v_ffbh_u32_e32 v0, v9
	v_min_u32_e32 v0, 32, v0
	v_mov_b32_e32 v10, v5
	v_subrev_u32_e32 v11, 28, v0
	v_lshlrev_b64 v[10:11], v11, v[9:10]
	v_sub_u32_e32 v0, 29, v0
	v_and_b32_e32 v10, 7, v10
	v_cndmask_b32_e32 v0, v18, v0, vcc
	v_cndmask_b32_e32 v9, v9, v10, vcc
	v_lshlrev_b32_e32 v10, 16, v15
	v_lshl_add_u32 v0, v0, 23, v26
	v_and_or_b32 v0, v10, s26, v0
	v_lshlrev_b32_e32 v9, 20, v9
	v_or_b32_e32 v19, v0, v9
	v_mov_b32_e32 v18, v5
.LBB215_1006:                           ;   in Loop: Header=BB215_606 Depth=1
	s_or_b64 exec, exec, s[14:15]
.LBB215_1007:                           ;   in Loop: Header=BB215_606 Depth=1
	s_or_b64 exec, exec, s[12:13]
.LBB215_1008:                           ;   in Loop: Header=BB215_606 Depth=1
	s_or_b64 exec, exec, s[6:7]
	v_lshrrev_b32_e32 v11, 16, v15
	v_mov_b32_e32 v22, 0
	v_mov_b32_e32 v20, 0
	;; [unrolled: 1-line block ×4, first 2 shown]
	v_cmp_ne_u16_sdwa s[12:13], v11, v5 src0_sel:BYTE_0 src1_sel:DWORD
	s_and_saveexec_b64 s[6:7], s[12:13]
	s_cbranch_execz .LBB215_1014
; %bb.1009:                             ;   in Loop: Header=BB215_606 Depth=1
	v_bfrev_b32_e32 v20, 1
	v_mov_b32_e32 v21, 0
	v_cmp_ne_u16_sdwa s[14:15], v11, s24 src0_sel:BYTE_0 src1_sel:DWORD
	s_and_saveexec_b64 s[12:13], s[14:15]
	s_cbranch_execz .LBB215_1013
; %bb.1010:                             ;   in Loop: Header=BB215_606 Depth=1
	v_bfe_u32 v0, v15, 16, 7
	v_mov_b32_e32 v20, 0x7f800001
	v_mov_b32_e32 v21, 0
	v_cmp_ne_u32_e32 vcc, s25, v0
	s_and_saveexec_b64 s[14:15], vcc
	s_cbranch_execz .LBB215_1012
; %bb.1011:                             ;   in Loop: Header=BB215_606 Depth=1
	v_and_b32_e32 v20, 7, v11
	v_lshrrev_b32_e32 v21, 3, v0
	v_cmp_gt_u32_e32 vcc, 8, v0
	v_ffbh_u32_e32 v0, v20
	v_min_u32_e32 v0, 32, v0
	v_subrev_u32_e32 v9, 28, v0
	v_lshlrev_b64 v[9:10], v9, v[11:12]
	v_sub_u32_e32 v0, 29, v0
	v_and_b32_e32 v9, 7, v9
	v_cndmask_b32_e32 v0, v21, v0, vcc
	v_cndmask_b32_e32 v9, v20, v9, vcc
	v_lshlrev_b32_e32 v9, 20, v9
	v_and_b32_sdwa v10, sext(v11), s26 dst_sel:DWORD dst_unused:UNUSED_PAD src0_sel:BYTE_0 src1_sel:DWORD
	v_lshl_add_u32 v0, v0, 23, v26
	v_or3_b32 v20, v10, v0, v9
	v_mov_b32_e32 v21, v5
.LBB215_1012:                           ;   in Loop: Header=BB215_606 Depth=1
	s_or_b64 exec, exec, s[14:15]
.LBB215_1013:                           ;   in Loop: Header=BB215_606 Depth=1
	s_or_b64 exec, exec, s[12:13]
.LBB215_1014:                           ;   in Loop: Header=BB215_606 Depth=1
	s_or_b64 exec, exec, s[6:7]
	v_cmp_lt_u32_e32 vcc, s27, v15
	s_and_saveexec_b64 s[6:7], vcc
	s_cbranch_execz .LBB215_1020
; %bb.1015:                             ;   in Loop: Header=BB215_606 Depth=1
	v_mov_b32_e32 v23, v6
	v_cmp_ne_u32_sdwa s[14:15], v15, s24 src0_sel:BYTE_3 src1_sel:DWORD
	v_mov_b32_e32 v22, v5
	s_and_saveexec_b64 s[12:13], s[14:15]
	s_cbranch_execz .LBB215_1019
; %bb.1016:                             ;   in Loop: Header=BB215_606 Depth=1
	v_bfe_u32 v0, v15, 24, 7
	v_mov_b32_e32 v11, v5
	v_mov_b32_e32 v23, v12
	v_cmp_ne_u32_e32 vcc, s25, v0
	v_mov_b32_e32 v22, v11
	s_and_saveexec_b64 s[14:15], vcc
	s_cbranch_execz .LBB215_1018
; %bb.1017:                             ;   in Loop: Header=BB215_606 Depth=1
	v_mov_b32_e32 v9, 7
	v_and_b32_sdwa v9, v15, v9 dst_sel:DWORD dst_unused:UNUSED_PAD src0_sel:BYTE_3 src1_sel:DWORD
	v_lshrrev_b32_e32 v22, 3, v0
	v_cmp_gt_u32_e32 vcc, 8, v0
	v_ffbh_u32_e32 v0, v9
	v_min_u32_e32 v0, 32, v0
	v_mov_b32_e32 v10, v5
	v_subrev_u32_e32 v11, 28, v0
	v_lshlrev_b64 v[10:11], v11, v[9:10]
	v_sub_u32_e32 v0, 29, v0
	v_and_b32_e32 v10, 7, v10
	v_cndmask_b32_e32 v0, v22, v0, vcc
	v_cndmask_b32_e32 v9, v9, v10, vcc
	v_mov_b32_e32 v10, 24
	v_lshlrev_b32_sdwa v10, v10, v15 dst_sel:DWORD dst_unused:UNUSED_PAD src0_sel:DWORD src1_sel:BYTE_3
	v_lshl_add_u32 v0, v0, 23, v26
	v_and_or_b32 v0, v10, s26, v0
	v_lshlrev_b32_e32 v9, 20, v9
	v_or_b32_e32 v23, v0, v9
	v_mov_b32_e32 v22, v5
.LBB215_1018:                           ;   in Loop: Header=BB215_606 Depth=1
	s_or_b64 exec, exec, s[14:15]
.LBB215_1019:                           ;   in Loop: Header=BB215_606 Depth=1
	s_or_b64 exec, exec, s[12:13]
.LBB215_1020:                           ;   in Loop: Header=BB215_606 Depth=1
	s_or_b64 exec, exec, s[6:7]
	v_or_b32_e32 v0, v19, v17
	v_or_b32_e32 v9, v18, v16
	v_mul_f32_e32 v30, s18, v0
	v_mul_f32_e32 v32, s17, v9
	v_or_b32_e32 v0, v23, v21
	v_or_b32_e32 v9, v22, v20
	v_mul_f32_e32 v31, s17, v9
	v_mul_f32_e32 v0, s18, v0
	s_and_saveexec_b64 s[6:7], s[0:1]
	s_cbranch_execz .LBB215_1022
; %bb.1021:                             ;   in Loop: Header=BB215_606 Depth=1
	v_add_u32_e32 v9, -3, v56
	v_cmp_gt_i32_e32 vcc, s30, v9
	v_add_u32_e32 v9, -2, v56
	v_cndmask_b32_e32 v32, 0, v32, vcc
	v_cmp_gt_i32_e32 vcc, s30, v9
	v_add_u32_e32 v9, -1, v56
	v_cndmask_b32_e32 v30, 0, v30, vcc
	v_cmp_gt_i32_e32 vcc, s30, v9
	v_cndmask_b32_e32 v31, 0, v31, vcc
	v_cmp_gt_i32_e32 vcc, s30, v56
	v_cndmask_b32_e32 v0, 0, v0, vcc
.LBB215_1022:                           ;   in Loop: Header=BB215_606 Depth=1
	s_or_b64 exec, exec, s[6:7]
	v_add_co_u32_e32 v9, vcc, 0x1000, v13
	v_addc_co_u32_e32 v10, vcc, 0, v14, vcc
	global_load_dword v15, v[9:10], off
	v_mov_b32_e32 v18, 0
	v_mov_b32_e32 v16, 0
	;; [unrolled: 1-line block ×4, first 2 shown]
	s_waitcnt vmcnt(0)
	v_cmp_ne_u16_sdwa s[12:13], v15, v5 src0_sel:BYTE_0 src1_sel:DWORD
	s_and_saveexec_b64 s[6:7], s[12:13]
	s_cbranch_execz .LBB215_1028
; %bb.1023:                             ;   in Loop: Header=BB215_606 Depth=1
	v_bfrev_b32_e32 v16, 1
	v_mov_b32_e32 v17, 0
	v_cmp_ne_u16_sdwa s[14:15], v15, s24 src0_sel:BYTE_0 src1_sel:DWORD
	s_and_saveexec_b64 s[12:13], s[14:15]
	s_cbranch_execz .LBB215_1027
; %bb.1024:                             ;   in Loop: Header=BB215_606 Depth=1
	v_and_b32_e32 v9, 0x7f, v15
	v_mov_b32_e32 v16, 0x7f800001
	v_mov_b32_e32 v17, 0
	v_cmp_ne_u32_e32 vcc, s25, v9
	s_and_saveexec_b64 s[14:15], vcc
	s_cbranch_execz .LBB215_1026
; %bb.1025:                             ;   in Loop: Header=BB215_606 Depth=1
	v_and_b32_e32 v11, 7, v15
	v_lshrrev_b32_e32 v16, 3, v9
	v_cmp_gt_u32_e32 vcc, 8, v9
	v_ffbh_u32_e32 v9, v11
	v_min_u32_e32 v17, 32, v9
	v_subrev_u32_e32 v9, 28, v17
	v_lshlrev_b64 v[9:10], v9, v[15:16]
	v_sub_u32_e32 v10, 29, v17
	v_and_b32_e32 v9, 7, v9
	v_cndmask_b32_e32 v10, v16, v10, vcc
	v_cndmask_b32_e32 v9, v11, v9, vcc
	v_lshlrev_b32_e32 v9, 20, v9
	v_and_b32_sdwa v11, sext(v15), s26 dst_sel:DWORD dst_unused:UNUSED_PAD src0_sel:BYTE_0 src1_sel:DWORD
	v_lshl_add_u32 v10, v10, 23, v26
	v_or3_b32 v16, v11, v10, v9
	v_mov_b32_e32 v17, v5
.LBB215_1026:                           ;   in Loop: Header=BB215_606 Depth=1
	s_or_b64 exec, exec, s[14:15]
.LBB215_1027:                           ;   in Loop: Header=BB215_606 Depth=1
	s_or_b64 exec, exec, s[12:13]
.LBB215_1028:                           ;   in Loop: Header=BB215_606 Depth=1
	s_or_b64 exec, exec, s[6:7]
	v_cmp_ne_u16_sdwa s[12:13], v15, v5 src0_sel:BYTE_1 src1_sel:DWORD
	s_and_saveexec_b64 s[6:7], s[12:13]
	s_cbranch_execz .LBB215_1034
; %bb.1029:                             ;   in Loop: Header=BB215_606 Depth=1
	v_mov_b32_e32 v19, v6
	v_cmp_ne_u16_sdwa s[14:15], v15, s24 src0_sel:BYTE_1 src1_sel:DWORD
	v_mov_b32_e32 v18, v5
	s_and_saveexec_b64 s[12:13], s[14:15]
	s_cbranch_execz .LBB215_1033
; %bb.1030:                             ;   in Loop: Header=BB215_606 Depth=1
	v_and_b32_sdwa v9, v15, s25 dst_sel:DWORD dst_unused:UNUSED_PAD src0_sel:BYTE_1 src1_sel:DWORD
	v_mov_b32_e32 v11, v5
	v_mov_b32_e32 v19, v12
	v_cmp_ne_u32_e32 vcc, s25, v9
	v_mov_b32_e32 v18, v11
	s_and_saveexec_b64 s[14:15], vcc
	s_cbranch_execz .LBB215_1032
; %bb.1031:                             ;   in Loop: Header=BB215_606 Depth=1
	v_mov_b32_e32 v10, 7
	v_and_b32_sdwa v10, v15, v10 dst_sel:DWORD dst_unused:UNUSED_PAD src0_sel:BYTE_1 src1_sel:DWORD
	v_lshrrev_b32_e32 v20, 3, v9
	v_cmp_gt_u32_e32 vcc, 8, v9
	v_ffbh_u32_e32 v9, v10
	v_min_u32_e32 v9, 32, v9
	v_mov_b32_e32 v11, v5
	v_subrev_u32_e32 v18, 28, v9
	v_lshlrev_b64 v[18:19], v18, v[10:11]
	v_sub_u32_e32 v9, 29, v9
	v_and_b32_e32 v11, 7, v18
	v_cndmask_b32_e32 v9, v20, v9, vcc
	v_cndmask_b32_e32 v10, v10, v11, vcc
	v_lshlrev_b32_e32 v11, 16, v15
	v_lshl_add_u32 v9, v9, 23, v26
	v_and_or_b32 v9, v11, s26, v9
	v_lshlrev_b32_e32 v10, 20, v10
	v_or_b32_e32 v19, v9, v10
	v_mov_b32_e32 v18, v5
.LBB215_1032:                           ;   in Loop: Header=BB215_606 Depth=1
	s_or_b64 exec, exec, s[14:15]
.LBB215_1033:                           ;   in Loop: Header=BB215_606 Depth=1
	s_or_b64 exec, exec, s[12:13]
.LBB215_1034:                           ;   in Loop: Header=BB215_606 Depth=1
	s_or_b64 exec, exec, s[6:7]
	v_lshrrev_b32_e32 v11, 16, v15
	v_mov_b32_e32 v22, 0
	v_mov_b32_e32 v20, 0
	;; [unrolled: 1-line block ×4, first 2 shown]
	v_cmp_ne_u16_sdwa s[12:13], v11, v5 src0_sel:BYTE_0 src1_sel:DWORD
	s_and_saveexec_b64 s[6:7], s[12:13]
	s_cbranch_execz .LBB215_1040
; %bb.1035:                             ;   in Loop: Header=BB215_606 Depth=1
	v_bfrev_b32_e32 v20, 1
	v_mov_b32_e32 v21, 0
	v_cmp_ne_u16_sdwa s[14:15], v11, s24 src0_sel:BYTE_0 src1_sel:DWORD
	s_and_saveexec_b64 s[12:13], s[14:15]
	s_cbranch_execz .LBB215_1039
; %bb.1036:                             ;   in Loop: Header=BB215_606 Depth=1
	v_bfe_u32 v9, v15, 16, 7
	v_mov_b32_e32 v20, 0x7f800001
	v_mov_b32_e32 v21, 0
	v_cmp_ne_u32_e32 vcc, s25, v9
	s_and_saveexec_b64 s[14:15], vcc
	s_cbranch_execz .LBB215_1038
; %bb.1037:                             ;   in Loop: Header=BB215_606 Depth=1
	v_and_b32_e32 v20, 7, v11
	v_lshrrev_b32_e32 v21, 3, v9
	v_cmp_gt_u32_e32 vcc, 8, v9
	v_ffbh_u32_e32 v9, v20
	v_min_u32_e32 v26, 32, v9
	v_subrev_u32_e32 v9, 28, v26
	v_lshlrev_b64 v[9:10], v9, v[11:12]
	v_sub_u32_e32 v10, 29, v26
	v_and_b32_e32 v9, 7, v9
	v_bfrev_b32_e32 v26, 60
	v_cndmask_b32_e32 v10, v21, v10, vcc
	v_cndmask_b32_e32 v9, v20, v9, vcc
	v_lshlrev_b32_e32 v9, 20, v9
	v_and_b32_sdwa v11, sext(v11), s26 dst_sel:DWORD dst_unused:UNUSED_PAD src0_sel:BYTE_0 src1_sel:DWORD
	v_lshl_add_u32 v10, v10, 23, v26
	v_or3_b32 v20, v11, v10, v9
	v_mov_b32_e32 v21, v5
.LBB215_1038:                           ;   in Loop: Header=BB215_606 Depth=1
	s_or_b64 exec, exec, s[14:15]
.LBB215_1039:                           ;   in Loop: Header=BB215_606 Depth=1
	s_or_b64 exec, exec, s[12:13]
.LBB215_1040:                           ;   in Loop: Header=BB215_606 Depth=1
	s_or_b64 exec, exec, s[6:7]
	v_cmp_lt_u32_e32 vcc, s27, v15
	s_and_saveexec_b64 s[6:7], vcc
	s_cbranch_execz .LBB215_1046
; %bb.1041:                             ;   in Loop: Header=BB215_606 Depth=1
	v_mov_b32_e32 v23, v6
	v_cmp_ne_u32_sdwa s[14:15], v15, s24 src0_sel:BYTE_3 src1_sel:DWORD
	v_mov_b32_e32 v22, v5
	s_and_saveexec_b64 s[12:13], s[14:15]
	s_cbranch_execz .LBB215_1045
; %bb.1042:                             ;   in Loop: Header=BB215_606 Depth=1
	v_bfe_u32 v9, v15, 24, 7
	v_mov_b32_e32 v11, v5
	v_mov_b32_e32 v23, v12
	v_cmp_ne_u32_e32 vcc, s25, v9
	v_mov_b32_e32 v22, v11
	s_and_saveexec_b64 s[14:15], vcc
	s_cbranch_execz .LBB215_1044
; %bb.1043:                             ;   in Loop: Header=BB215_606 Depth=1
	v_mov_b32_e32 v10, 7
	v_and_b32_sdwa v10, v15, v10 dst_sel:DWORD dst_unused:UNUSED_PAD src0_sel:BYTE_3 src1_sel:DWORD
	v_lshrrev_b32_e32 v26, 3, v9
	v_cmp_gt_u32_e32 vcc, 8, v9
	v_ffbh_u32_e32 v9, v10
	v_min_u32_e32 v9, 32, v9
	v_mov_b32_e32 v11, v5
	v_subrev_u32_e32 v22, 28, v9
	v_lshlrev_b64 v[22:23], v22, v[10:11]
	v_sub_u32_e32 v9, 29, v9
	v_and_b32_e32 v11, 7, v22
	v_cndmask_b32_e32 v9, v26, v9, vcc
	v_bfrev_b32_e32 v26, 60
	v_cndmask_b32_e32 v10, v10, v11, vcc
	v_mov_b32_e32 v11, 24
	v_lshlrev_b32_sdwa v11, v11, v15 dst_sel:DWORD dst_unused:UNUSED_PAD src0_sel:DWORD src1_sel:BYTE_3
	v_lshl_add_u32 v9, v9, 23, v26
	v_and_or_b32 v9, v11, s26, v9
	v_lshlrev_b32_e32 v10, 20, v10
	v_or_b32_e32 v23, v9, v10
	v_mov_b32_e32 v22, v5
.LBB215_1044:                           ;   in Loop: Header=BB215_606 Depth=1
	s_or_b64 exec, exec, s[14:15]
.LBB215_1045:                           ;   in Loop: Header=BB215_606 Depth=1
	s_or_b64 exec, exec, s[12:13]
.LBB215_1046:                           ;   in Loop: Header=BB215_606 Depth=1
	s_or_b64 exec, exec, s[6:7]
	v_or_b32_e32 v9, v19, v17
	v_or_b32_e32 v10, v18, v16
	v_mul_f32_e32 v58, s18, v9
	v_mul_f32_e32 v35, s17, v10
	v_or_b32_e32 v9, v23, v21
	v_or_b32_e32 v10, v22, v20
	v_mul_f32_e32 v34, s17, v10
	v_mul_f32_e32 v33, s18, v9
	s_and_saveexec_b64 s[6:7], s[0:1]
	s_cbranch_execz .LBB215_1048
; %bb.1047:                             ;   in Loop: Header=BB215_606 Depth=1
	v_add_u32_e32 v9, -3, v56
	v_cmp_gt_i32_e32 vcc, s30, v9
	v_add_u32_e32 v9, -2, v56
	v_cndmask_b32_e32 v35, 0, v35, vcc
	v_cmp_gt_i32_e32 vcc, s30, v9
	v_add_u32_e32 v9, -1, v56
	v_cndmask_b32_e32 v58, 0, v58, vcc
	v_cmp_gt_i32_e32 vcc, s30, v9
	v_cndmask_b32_e32 v34, 0, v34, vcc
	v_cmp_gt_i32_e32 vcc, s30, v56
	v_cndmask_b32_e32 v33, 0, v33, vcc
.LBB215_1048:                           ;   in Loop: Header=BB215_606 Depth=1
	s_or_b64 exec, exec, s[6:7]
	v_add_co_u32_e32 v9, vcc, 0x1000, v13
	v_addc_co_u32_e32 v10, vcc, 0, v14, vcc
	global_load_dword v15, v[9:10], off offset:256
	v_mov_b32_e32 v18, 0
	v_mov_b32_e32 v16, 0
	;; [unrolled: 1-line block ×4, first 2 shown]
	s_waitcnt vmcnt(0)
	v_cmp_ne_u16_sdwa s[12:13], v15, v5 src0_sel:BYTE_0 src1_sel:DWORD
	s_and_saveexec_b64 s[6:7], s[12:13]
	s_cbranch_execz .LBB215_1054
; %bb.1049:                             ;   in Loop: Header=BB215_606 Depth=1
	v_bfrev_b32_e32 v16, 1
	v_mov_b32_e32 v17, 0
	v_cmp_ne_u16_sdwa s[14:15], v15, s24 src0_sel:BYTE_0 src1_sel:DWORD
	s_and_saveexec_b64 s[12:13], s[14:15]
	s_cbranch_execz .LBB215_1053
; %bb.1050:                             ;   in Loop: Header=BB215_606 Depth=1
	v_and_b32_e32 v9, 0x7f, v15
	v_mov_b32_e32 v16, 0x7f800001
	v_mov_b32_e32 v17, 0
	v_cmp_ne_u32_e32 vcc, s25, v9
	s_and_saveexec_b64 s[14:15], vcc
	s_cbranch_execz .LBB215_1052
; %bb.1051:                             ;   in Loop: Header=BB215_606 Depth=1
	v_and_b32_e32 v11, 7, v15
	v_lshrrev_b32_e32 v16, 3, v9
	v_cmp_gt_u32_e32 vcc, 8, v9
	v_ffbh_u32_e32 v9, v11
	v_min_u32_e32 v17, 32, v9
	v_subrev_u32_e32 v9, 28, v17
	v_lshlrev_b64 v[9:10], v9, v[15:16]
	v_sub_u32_e32 v10, 29, v17
	v_and_b32_e32 v9, 7, v9
	v_cndmask_b32_e32 v10, v16, v10, vcc
	v_cndmask_b32_e32 v9, v11, v9, vcc
	v_lshlrev_b32_e32 v9, 20, v9
	v_and_b32_sdwa v11, sext(v15), s26 dst_sel:DWORD dst_unused:UNUSED_PAD src0_sel:BYTE_0 src1_sel:DWORD
	v_lshl_add_u32 v10, v10, 23, v26
	v_or3_b32 v16, v11, v10, v9
	v_mov_b32_e32 v17, v5
.LBB215_1052:                           ;   in Loop: Header=BB215_606 Depth=1
	s_or_b64 exec, exec, s[14:15]
.LBB215_1053:                           ;   in Loop: Header=BB215_606 Depth=1
	s_or_b64 exec, exec, s[12:13]
.LBB215_1054:                           ;   in Loop: Header=BB215_606 Depth=1
	s_or_b64 exec, exec, s[6:7]
	v_cmp_ne_u16_sdwa s[12:13], v15, v5 src0_sel:BYTE_1 src1_sel:DWORD
	s_and_saveexec_b64 s[6:7], s[12:13]
	s_cbranch_execz .LBB215_1060
; %bb.1055:                             ;   in Loop: Header=BB215_606 Depth=1
	v_mov_b32_e32 v19, v6
	v_cmp_ne_u16_sdwa s[14:15], v15, s24 src0_sel:BYTE_1 src1_sel:DWORD
	v_mov_b32_e32 v18, v5
	s_and_saveexec_b64 s[12:13], s[14:15]
	s_cbranch_execz .LBB215_1059
; %bb.1056:                             ;   in Loop: Header=BB215_606 Depth=1
	v_and_b32_sdwa v9, v15, s25 dst_sel:DWORD dst_unused:UNUSED_PAD src0_sel:BYTE_1 src1_sel:DWORD
	v_mov_b32_e32 v11, v5
	v_mov_b32_e32 v19, v12
	v_cmp_ne_u32_e32 vcc, s25, v9
	v_mov_b32_e32 v18, v11
	s_and_saveexec_b64 s[14:15], vcc
	s_cbranch_execz .LBB215_1058
; %bb.1057:                             ;   in Loop: Header=BB215_606 Depth=1
	v_mov_b32_e32 v10, 7
	v_and_b32_sdwa v10, v15, v10 dst_sel:DWORD dst_unused:UNUSED_PAD src0_sel:BYTE_1 src1_sel:DWORD
	v_lshrrev_b32_e32 v20, 3, v9
	v_cmp_gt_u32_e32 vcc, 8, v9
	v_ffbh_u32_e32 v9, v10
	v_min_u32_e32 v9, 32, v9
	v_mov_b32_e32 v11, v5
	v_subrev_u32_e32 v18, 28, v9
	v_lshlrev_b64 v[18:19], v18, v[10:11]
	v_sub_u32_e32 v9, 29, v9
	v_and_b32_e32 v11, 7, v18
	v_cndmask_b32_e32 v9, v20, v9, vcc
	v_cndmask_b32_e32 v10, v10, v11, vcc
	v_lshlrev_b32_e32 v11, 16, v15
	v_lshl_add_u32 v9, v9, 23, v26
	v_and_or_b32 v9, v11, s26, v9
	v_lshlrev_b32_e32 v10, 20, v10
	v_or_b32_e32 v19, v9, v10
	v_mov_b32_e32 v18, v5
.LBB215_1058:                           ;   in Loop: Header=BB215_606 Depth=1
	s_or_b64 exec, exec, s[14:15]
.LBB215_1059:                           ;   in Loop: Header=BB215_606 Depth=1
	s_or_b64 exec, exec, s[12:13]
.LBB215_1060:                           ;   in Loop: Header=BB215_606 Depth=1
	s_or_b64 exec, exec, s[6:7]
	v_lshrrev_b32_e32 v11, 16, v15
	v_mov_b32_e32 v22, 0
	v_mov_b32_e32 v20, 0
	v_mov_b32_e32 v23, 0
	v_mov_b32_e32 v21, 0
	v_cmp_ne_u16_sdwa s[12:13], v11, v5 src0_sel:BYTE_0 src1_sel:DWORD
	s_and_saveexec_b64 s[6:7], s[12:13]
	s_cbranch_execz .LBB215_1066
; %bb.1061:                             ;   in Loop: Header=BB215_606 Depth=1
	v_bfrev_b32_e32 v20, 1
	v_mov_b32_e32 v21, 0
	v_cmp_ne_u16_sdwa s[14:15], v11, s24 src0_sel:BYTE_0 src1_sel:DWORD
	s_and_saveexec_b64 s[12:13], s[14:15]
	s_cbranch_execz .LBB215_1065
; %bb.1062:                             ;   in Loop: Header=BB215_606 Depth=1
	v_bfe_u32 v9, v15, 16, 7
	v_mov_b32_e32 v20, 0x7f800001
	v_mov_b32_e32 v21, 0
	v_cmp_ne_u32_e32 vcc, s25, v9
	s_and_saveexec_b64 s[14:15], vcc
	s_cbranch_execz .LBB215_1064
; %bb.1063:                             ;   in Loop: Header=BB215_606 Depth=1
	v_and_b32_e32 v20, 7, v11
	v_lshrrev_b32_e32 v21, 3, v9
	v_cmp_gt_u32_e32 vcc, 8, v9
	v_ffbh_u32_e32 v9, v20
	v_min_u32_e32 v26, 32, v9
	v_subrev_u32_e32 v9, 28, v26
	v_lshlrev_b64 v[9:10], v9, v[11:12]
	v_sub_u32_e32 v10, 29, v26
	v_and_b32_e32 v9, 7, v9
	v_bfrev_b32_e32 v26, 60
	v_cndmask_b32_e32 v10, v21, v10, vcc
	v_cndmask_b32_e32 v9, v20, v9, vcc
	v_lshlrev_b32_e32 v9, 20, v9
	v_and_b32_sdwa v11, sext(v11), s26 dst_sel:DWORD dst_unused:UNUSED_PAD src0_sel:BYTE_0 src1_sel:DWORD
	v_lshl_add_u32 v10, v10, 23, v26
	v_or3_b32 v20, v11, v10, v9
	v_mov_b32_e32 v21, v5
.LBB215_1064:                           ;   in Loop: Header=BB215_606 Depth=1
	s_or_b64 exec, exec, s[14:15]
.LBB215_1065:                           ;   in Loop: Header=BB215_606 Depth=1
	s_or_b64 exec, exec, s[12:13]
.LBB215_1066:                           ;   in Loop: Header=BB215_606 Depth=1
	s_or_b64 exec, exec, s[6:7]
	v_cmp_lt_u32_e32 vcc, s27, v15
	s_and_saveexec_b64 s[6:7], vcc
	s_cbranch_execz .LBB215_1072
; %bb.1067:                             ;   in Loop: Header=BB215_606 Depth=1
	v_mov_b32_e32 v23, v6
	v_cmp_ne_u32_sdwa s[14:15], v15, s24 src0_sel:BYTE_3 src1_sel:DWORD
	v_mov_b32_e32 v22, v5
	s_and_saveexec_b64 s[12:13], s[14:15]
	s_cbranch_execz .LBB215_1071
; %bb.1068:                             ;   in Loop: Header=BB215_606 Depth=1
	v_bfe_u32 v9, v15, 24, 7
	v_mov_b32_e32 v11, v5
	v_mov_b32_e32 v23, v12
	v_cmp_ne_u32_e32 vcc, s25, v9
	v_mov_b32_e32 v22, v11
	s_and_saveexec_b64 s[14:15], vcc
	s_cbranch_execz .LBB215_1070
; %bb.1069:                             ;   in Loop: Header=BB215_606 Depth=1
	v_mov_b32_e32 v10, 7
	v_and_b32_sdwa v10, v15, v10 dst_sel:DWORD dst_unused:UNUSED_PAD src0_sel:BYTE_3 src1_sel:DWORD
	v_lshrrev_b32_e32 v26, 3, v9
	v_cmp_gt_u32_e32 vcc, 8, v9
	v_ffbh_u32_e32 v9, v10
	v_min_u32_e32 v9, 32, v9
	v_mov_b32_e32 v11, v5
	v_subrev_u32_e32 v22, 28, v9
	v_lshlrev_b64 v[22:23], v22, v[10:11]
	v_sub_u32_e32 v9, 29, v9
	v_and_b32_e32 v11, 7, v22
	v_cndmask_b32_e32 v9, v26, v9, vcc
	v_bfrev_b32_e32 v26, 60
	v_cndmask_b32_e32 v10, v10, v11, vcc
	v_mov_b32_e32 v11, 24
	v_lshlrev_b32_sdwa v11, v11, v15 dst_sel:DWORD dst_unused:UNUSED_PAD src0_sel:DWORD src1_sel:BYTE_3
	v_lshl_add_u32 v9, v9, 23, v26
	v_and_or_b32 v9, v11, s26, v9
	v_lshlrev_b32_e32 v10, 20, v10
	v_or_b32_e32 v23, v9, v10
	v_mov_b32_e32 v22, v5
.LBB215_1070:                           ;   in Loop: Header=BB215_606 Depth=1
	s_or_b64 exec, exec, s[14:15]
.LBB215_1071:                           ;   in Loop: Header=BB215_606 Depth=1
	s_or_b64 exec, exec, s[12:13]
.LBB215_1072:                           ;   in Loop: Header=BB215_606 Depth=1
	s_or_b64 exec, exec, s[6:7]
	v_or_b32_e32 v9, v19, v17
	v_or_b32_e32 v10, v18, v16
	v_mul_f32_e32 v36, s18, v9
	v_mul_f32_e32 v39, s17, v10
	v_or_b32_e32 v9, v23, v21
	v_or_b32_e32 v10, v22, v20
	v_mul_f32_e32 v38, s17, v10
	v_mul_f32_e32 v37, s18, v9
	s_and_saveexec_b64 s[6:7], s[0:1]
	s_cbranch_execz .LBB215_1074
; %bb.1073:                             ;   in Loop: Header=BB215_606 Depth=1
	v_add_u32_e32 v9, -3, v56
	v_cmp_gt_i32_e32 vcc, s30, v9
	v_add_u32_e32 v9, -2, v56
	v_cndmask_b32_e32 v39, 0, v39, vcc
	v_cmp_gt_i32_e32 vcc, s30, v9
	v_add_u32_e32 v9, -1, v56
	v_cndmask_b32_e32 v36, 0, v36, vcc
	v_cmp_gt_i32_e32 vcc, s30, v9
	v_cndmask_b32_e32 v38, 0, v38, vcc
	v_cmp_gt_i32_e32 vcc, s30, v56
	v_cndmask_b32_e32 v37, 0, v37, vcc
.LBB215_1074:                           ;   in Loop: Header=BB215_606 Depth=1
	s_or_b64 exec, exec, s[6:7]
	v_add_co_u32_e32 v9, vcc, 0x1000, v13
	v_addc_co_u32_e32 v10, vcc, 0, v14, vcc
	global_load_dword v15, v[9:10], off offset:512
	v_mov_b32_e32 v18, 0
	v_mov_b32_e32 v16, 0
	;; [unrolled: 1-line block ×4, first 2 shown]
	s_waitcnt vmcnt(0)
	v_cmp_ne_u16_sdwa s[12:13], v15, v5 src0_sel:BYTE_0 src1_sel:DWORD
	s_and_saveexec_b64 s[6:7], s[12:13]
	s_cbranch_execz .LBB215_1080
; %bb.1075:                             ;   in Loop: Header=BB215_606 Depth=1
	v_bfrev_b32_e32 v16, 1
	v_mov_b32_e32 v17, 0
	v_cmp_ne_u16_sdwa s[14:15], v15, s24 src0_sel:BYTE_0 src1_sel:DWORD
	s_and_saveexec_b64 s[12:13], s[14:15]
	s_cbranch_execz .LBB215_1079
; %bb.1076:                             ;   in Loop: Header=BB215_606 Depth=1
	v_and_b32_e32 v9, 0x7f, v15
	v_mov_b32_e32 v16, 0x7f800001
	v_mov_b32_e32 v17, 0
	v_cmp_ne_u32_e32 vcc, s25, v9
	s_and_saveexec_b64 s[14:15], vcc
	s_cbranch_execz .LBB215_1078
; %bb.1077:                             ;   in Loop: Header=BB215_606 Depth=1
	v_and_b32_e32 v11, 7, v15
	v_lshrrev_b32_e32 v16, 3, v9
	v_cmp_gt_u32_e32 vcc, 8, v9
	v_ffbh_u32_e32 v9, v11
	v_min_u32_e32 v17, 32, v9
	v_subrev_u32_e32 v9, 28, v17
	v_lshlrev_b64 v[9:10], v9, v[15:16]
	v_sub_u32_e32 v10, 29, v17
	v_and_b32_e32 v9, 7, v9
	v_cndmask_b32_e32 v10, v16, v10, vcc
	v_cndmask_b32_e32 v9, v11, v9, vcc
	v_lshlrev_b32_e32 v9, 20, v9
	v_and_b32_sdwa v11, sext(v15), s26 dst_sel:DWORD dst_unused:UNUSED_PAD src0_sel:BYTE_0 src1_sel:DWORD
	v_lshl_add_u32 v10, v10, 23, v26
	v_or3_b32 v16, v11, v10, v9
	v_mov_b32_e32 v17, v5
.LBB215_1078:                           ;   in Loop: Header=BB215_606 Depth=1
	s_or_b64 exec, exec, s[14:15]
.LBB215_1079:                           ;   in Loop: Header=BB215_606 Depth=1
	s_or_b64 exec, exec, s[12:13]
.LBB215_1080:                           ;   in Loop: Header=BB215_606 Depth=1
	s_or_b64 exec, exec, s[6:7]
	v_cmp_ne_u16_sdwa s[12:13], v15, v5 src0_sel:BYTE_1 src1_sel:DWORD
	s_and_saveexec_b64 s[6:7], s[12:13]
	s_cbranch_execz .LBB215_1086
; %bb.1081:                             ;   in Loop: Header=BB215_606 Depth=1
	v_mov_b32_e32 v19, v6
	v_cmp_ne_u16_sdwa s[14:15], v15, s24 src0_sel:BYTE_1 src1_sel:DWORD
	v_mov_b32_e32 v18, v5
	s_and_saveexec_b64 s[12:13], s[14:15]
	s_cbranch_execz .LBB215_1085
; %bb.1082:                             ;   in Loop: Header=BB215_606 Depth=1
	v_and_b32_sdwa v9, v15, s25 dst_sel:DWORD dst_unused:UNUSED_PAD src0_sel:BYTE_1 src1_sel:DWORD
	v_mov_b32_e32 v11, v5
	v_mov_b32_e32 v19, v12
	v_cmp_ne_u32_e32 vcc, s25, v9
	v_mov_b32_e32 v18, v11
	s_and_saveexec_b64 s[14:15], vcc
	s_cbranch_execz .LBB215_1084
; %bb.1083:                             ;   in Loop: Header=BB215_606 Depth=1
	v_mov_b32_e32 v10, 7
	v_and_b32_sdwa v10, v15, v10 dst_sel:DWORD dst_unused:UNUSED_PAD src0_sel:BYTE_1 src1_sel:DWORD
	v_lshrrev_b32_e32 v20, 3, v9
	v_cmp_gt_u32_e32 vcc, 8, v9
	v_ffbh_u32_e32 v9, v10
	v_min_u32_e32 v9, 32, v9
	v_mov_b32_e32 v11, v5
	v_subrev_u32_e32 v18, 28, v9
	v_lshlrev_b64 v[18:19], v18, v[10:11]
	v_sub_u32_e32 v9, 29, v9
	v_and_b32_e32 v11, 7, v18
	v_cndmask_b32_e32 v9, v20, v9, vcc
	v_cndmask_b32_e32 v10, v10, v11, vcc
	v_lshlrev_b32_e32 v11, 16, v15
	v_lshl_add_u32 v9, v9, 23, v26
	v_and_or_b32 v9, v11, s26, v9
	v_lshlrev_b32_e32 v10, 20, v10
	v_or_b32_e32 v19, v9, v10
	v_mov_b32_e32 v18, v5
.LBB215_1084:                           ;   in Loop: Header=BB215_606 Depth=1
	s_or_b64 exec, exec, s[14:15]
.LBB215_1085:                           ;   in Loop: Header=BB215_606 Depth=1
	s_or_b64 exec, exec, s[12:13]
.LBB215_1086:                           ;   in Loop: Header=BB215_606 Depth=1
	s_or_b64 exec, exec, s[6:7]
	v_lshrrev_b32_e32 v11, 16, v15
	v_mov_b32_e32 v22, 0
	v_mov_b32_e32 v20, 0
	;; [unrolled: 1-line block ×4, first 2 shown]
	v_cmp_ne_u16_sdwa s[12:13], v11, v5 src0_sel:BYTE_0 src1_sel:DWORD
	s_and_saveexec_b64 s[6:7], s[12:13]
	s_cbranch_execz .LBB215_1092
; %bb.1087:                             ;   in Loop: Header=BB215_606 Depth=1
	v_bfrev_b32_e32 v20, 1
	v_mov_b32_e32 v21, 0
	v_cmp_ne_u16_sdwa s[14:15], v11, s24 src0_sel:BYTE_0 src1_sel:DWORD
	s_and_saveexec_b64 s[12:13], s[14:15]
	s_cbranch_execz .LBB215_1091
; %bb.1088:                             ;   in Loop: Header=BB215_606 Depth=1
	v_bfe_u32 v9, v15, 16, 7
	v_mov_b32_e32 v20, 0x7f800001
	v_mov_b32_e32 v21, 0
	v_cmp_ne_u32_e32 vcc, s25, v9
	s_and_saveexec_b64 s[14:15], vcc
	s_cbranch_execz .LBB215_1090
; %bb.1089:                             ;   in Loop: Header=BB215_606 Depth=1
	v_and_b32_e32 v20, 7, v11
	v_lshrrev_b32_e32 v21, 3, v9
	v_cmp_gt_u32_e32 vcc, 8, v9
	v_ffbh_u32_e32 v9, v20
	v_min_u32_e32 v26, 32, v9
	v_subrev_u32_e32 v9, 28, v26
	v_lshlrev_b64 v[9:10], v9, v[11:12]
	v_sub_u32_e32 v10, 29, v26
	v_and_b32_e32 v9, 7, v9
	v_bfrev_b32_e32 v26, 60
	v_cndmask_b32_e32 v10, v21, v10, vcc
	v_cndmask_b32_e32 v9, v20, v9, vcc
	v_lshlrev_b32_e32 v9, 20, v9
	v_and_b32_sdwa v11, sext(v11), s26 dst_sel:DWORD dst_unused:UNUSED_PAD src0_sel:BYTE_0 src1_sel:DWORD
	v_lshl_add_u32 v10, v10, 23, v26
	v_or3_b32 v20, v11, v10, v9
	v_mov_b32_e32 v21, v5
.LBB215_1090:                           ;   in Loop: Header=BB215_606 Depth=1
	s_or_b64 exec, exec, s[14:15]
.LBB215_1091:                           ;   in Loop: Header=BB215_606 Depth=1
	s_or_b64 exec, exec, s[12:13]
.LBB215_1092:                           ;   in Loop: Header=BB215_606 Depth=1
	s_or_b64 exec, exec, s[6:7]
	v_cmp_lt_u32_e32 vcc, s27, v15
	s_and_saveexec_b64 s[6:7], vcc
	s_cbranch_execz .LBB215_1098
; %bb.1093:                             ;   in Loop: Header=BB215_606 Depth=1
	v_mov_b32_e32 v23, v6
	v_cmp_ne_u32_sdwa s[14:15], v15, s24 src0_sel:BYTE_3 src1_sel:DWORD
	v_mov_b32_e32 v22, v5
	s_and_saveexec_b64 s[12:13], s[14:15]
	s_cbranch_execz .LBB215_1097
; %bb.1094:                             ;   in Loop: Header=BB215_606 Depth=1
	v_bfe_u32 v9, v15, 24, 7
	v_mov_b32_e32 v11, v5
	v_mov_b32_e32 v23, v12
	v_cmp_ne_u32_e32 vcc, s25, v9
	v_mov_b32_e32 v22, v11
	s_and_saveexec_b64 s[14:15], vcc
	s_cbranch_execz .LBB215_1096
; %bb.1095:                             ;   in Loop: Header=BB215_606 Depth=1
	v_mov_b32_e32 v10, 7
	v_and_b32_sdwa v10, v15, v10 dst_sel:DWORD dst_unused:UNUSED_PAD src0_sel:BYTE_3 src1_sel:DWORD
	v_lshrrev_b32_e32 v26, 3, v9
	v_cmp_gt_u32_e32 vcc, 8, v9
	v_ffbh_u32_e32 v9, v10
	v_min_u32_e32 v9, 32, v9
	v_mov_b32_e32 v11, v5
	v_subrev_u32_e32 v22, 28, v9
	v_lshlrev_b64 v[22:23], v22, v[10:11]
	v_sub_u32_e32 v9, 29, v9
	v_and_b32_e32 v11, 7, v22
	v_cndmask_b32_e32 v9, v26, v9, vcc
	v_bfrev_b32_e32 v26, 60
	v_cndmask_b32_e32 v10, v10, v11, vcc
	v_mov_b32_e32 v11, 24
	v_lshlrev_b32_sdwa v11, v11, v15 dst_sel:DWORD dst_unused:UNUSED_PAD src0_sel:DWORD src1_sel:BYTE_3
	v_lshl_add_u32 v9, v9, 23, v26
	v_and_or_b32 v9, v11, s26, v9
	v_lshlrev_b32_e32 v10, 20, v10
	v_or_b32_e32 v23, v9, v10
	v_mov_b32_e32 v22, v5
.LBB215_1096:                           ;   in Loop: Header=BB215_606 Depth=1
	s_or_b64 exec, exec, s[14:15]
.LBB215_1097:                           ;   in Loop: Header=BB215_606 Depth=1
	s_or_b64 exec, exec, s[12:13]
.LBB215_1098:                           ;   in Loop: Header=BB215_606 Depth=1
	s_or_b64 exec, exec, s[6:7]
	v_or_b32_e32 v9, v19, v17
	v_or_b32_e32 v10, v18, v16
	v_mul_f32_e32 v40, s18, v9
	v_mul_f32_e32 v43, s17, v10
	v_or_b32_e32 v9, v23, v21
	v_or_b32_e32 v10, v22, v20
	v_mul_f32_e32 v42, s17, v10
	v_mul_f32_e32 v41, s18, v9
	s_and_saveexec_b64 s[6:7], s[0:1]
	s_cbranch_execz .LBB215_1100
; %bb.1099:                             ;   in Loop: Header=BB215_606 Depth=1
	v_add_u32_e32 v9, -3, v56
	v_cmp_gt_i32_e32 vcc, s30, v9
	v_add_u32_e32 v9, -2, v56
	v_cndmask_b32_e32 v43, 0, v43, vcc
	v_cmp_gt_i32_e32 vcc, s30, v9
	v_add_u32_e32 v9, -1, v56
	v_cndmask_b32_e32 v40, 0, v40, vcc
	v_cmp_gt_i32_e32 vcc, s30, v9
	v_cndmask_b32_e32 v42, 0, v42, vcc
	v_cmp_gt_i32_e32 vcc, s30, v56
	v_cndmask_b32_e32 v41, 0, v41, vcc
.LBB215_1100:                           ;   in Loop: Header=BB215_606 Depth=1
	s_or_b64 exec, exec, s[6:7]
	v_add_co_u32_e32 v9, vcc, 0x1000, v13
	v_addc_co_u32_e32 v10, vcc, 0, v14, vcc
	global_load_dword v15, v[9:10], off offset:768
	v_mov_b32_e32 v18, 0
	v_mov_b32_e32 v16, 0
	;; [unrolled: 1-line block ×4, first 2 shown]
	s_waitcnt vmcnt(0)
	v_cmp_ne_u16_sdwa s[12:13], v15, v5 src0_sel:BYTE_0 src1_sel:DWORD
	s_and_saveexec_b64 s[6:7], s[12:13]
	s_cbranch_execz .LBB215_1106
; %bb.1101:                             ;   in Loop: Header=BB215_606 Depth=1
	v_bfrev_b32_e32 v16, 1
	v_mov_b32_e32 v17, 0
	v_cmp_ne_u16_sdwa s[14:15], v15, s24 src0_sel:BYTE_0 src1_sel:DWORD
	s_and_saveexec_b64 s[12:13], s[14:15]
	s_cbranch_execz .LBB215_1105
; %bb.1102:                             ;   in Loop: Header=BB215_606 Depth=1
	v_and_b32_e32 v9, 0x7f, v15
	v_mov_b32_e32 v16, 0x7f800001
	v_mov_b32_e32 v17, 0
	v_cmp_ne_u32_e32 vcc, s25, v9
	s_and_saveexec_b64 s[14:15], vcc
	s_cbranch_execz .LBB215_1104
; %bb.1103:                             ;   in Loop: Header=BB215_606 Depth=1
	v_and_b32_e32 v11, 7, v15
	v_lshrrev_b32_e32 v16, 3, v9
	v_cmp_gt_u32_e32 vcc, 8, v9
	v_ffbh_u32_e32 v9, v11
	v_min_u32_e32 v17, 32, v9
	v_subrev_u32_e32 v9, 28, v17
	v_lshlrev_b64 v[9:10], v9, v[15:16]
	v_sub_u32_e32 v10, 29, v17
	v_and_b32_e32 v9, 7, v9
	v_cndmask_b32_e32 v10, v16, v10, vcc
	v_cndmask_b32_e32 v9, v11, v9, vcc
	v_lshlrev_b32_e32 v9, 20, v9
	v_and_b32_sdwa v11, sext(v15), s26 dst_sel:DWORD dst_unused:UNUSED_PAD src0_sel:BYTE_0 src1_sel:DWORD
	v_lshl_add_u32 v10, v10, 23, v26
	v_or3_b32 v16, v11, v10, v9
	v_mov_b32_e32 v17, v5
.LBB215_1104:                           ;   in Loop: Header=BB215_606 Depth=1
	s_or_b64 exec, exec, s[14:15]
.LBB215_1105:                           ;   in Loop: Header=BB215_606 Depth=1
	s_or_b64 exec, exec, s[12:13]
.LBB215_1106:                           ;   in Loop: Header=BB215_606 Depth=1
	s_or_b64 exec, exec, s[6:7]
	v_cmp_ne_u16_sdwa s[12:13], v15, v5 src0_sel:BYTE_1 src1_sel:DWORD
	s_and_saveexec_b64 s[6:7], s[12:13]
	s_cbranch_execz .LBB215_1112
; %bb.1107:                             ;   in Loop: Header=BB215_606 Depth=1
	v_mov_b32_e32 v19, v6
	v_cmp_ne_u16_sdwa s[14:15], v15, s24 src0_sel:BYTE_1 src1_sel:DWORD
	v_mov_b32_e32 v18, v5
	s_and_saveexec_b64 s[12:13], s[14:15]
	s_cbranch_execz .LBB215_1111
; %bb.1108:                             ;   in Loop: Header=BB215_606 Depth=1
	v_and_b32_sdwa v9, v15, s25 dst_sel:DWORD dst_unused:UNUSED_PAD src0_sel:BYTE_1 src1_sel:DWORD
	v_mov_b32_e32 v11, v5
	v_mov_b32_e32 v19, v12
	v_cmp_ne_u32_e32 vcc, s25, v9
	v_mov_b32_e32 v18, v11
	s_and_saveexec_b64 s[14:15], vcc
	s_cbranch_execz .LBB215_1110
; %bb.1109:                             ;   in Loop: Header=BB215_606 Depth=1
	v_mov_b32_e32 v10, 7
	v_and_b32_sdwa v10, v15, v10 dst_sel:DWORD dst_unused:UNUSED_PAD src0_sel:BYTE_1 src1_sel:DWORD
	v_lshrrev_b32_e32 v20, 3, v9
	v_cmp_gt_u32_e32 vcc, 8, v9
	v_ffbh_u32_e32 v9, v10
	v_min_u32_e32 v9, 32, v9
	v_mov_b32_e32 v11, v5
	v_subrev_u32_e32 v18, 28, v9
	v_lshlrev_b64 v[18:19], v18, v[10:11]
	v_sub_u32_e32 v9, 29, v9
	v_and_b32_e32 v11, 7, v18
	v_cndmask_b32_e32 v9, v20, v9, vcc
	v_cndmask_b32_e32 v10, v10, v11, vcc
	v_lshlrev_b32_e32 v11, 16, v15
	v_lshl_add_u32 v9, v9, 23, v26
	v_and_or_b32 v9, v11, s26, v9
	v_lshlrev_b32_e32 v10, 20, v10
	v_or_b32_e32 v19, v9, v10
	v_mov_b32_e32 v18, v5
.LBB215_1110:                           ;   in Loop: Header=BB215_606 Depth=1
	s_or_b64 exec, exec, s[14:15]
.LBB215_1111:                           ;   in Loop: Header=BB215_606 Depth=1
	s_or_b64 exec, exec, s[12:13]
.LBB215_1112:                           ;   in Loop: Header=BB215_606 Depth=1
	s_or_b64 exec, exec, s[6:7]
	v_lshrrev_b32_e32 v11, 16, v15
	v_mov_b32_e32 v22, 0
	v_mov_b32_e32 v20, 0
	;; [unrolled: 1-line block ×4, first 2 shown]
	v_cmp_ne_u16_sdwa s[12:13], v11, v5 src0_sel:BYTE_0 src1_sel:DWORD
	s_and_saveexec_b64 s[6:7], s[12:13]
	s_cbranch_execz .LBB215_1118
; %bb.1113:                             ;   in Loop: Header=BB215_606 Depth=1
	v_bfrev_b32_e32 v20, 1
	v_mov_b32_e32 v21, 0
	v_cmp_ne_u16_sdwa s[14:15], v11, s24 src0_sel:BYTE_0 src1_sel:DWORD
	s_and_saveexec_b64 s[12:13], s[14:15]
	s_cbranch_execz .LBB215_1117
; %bb.1114:                             ;   in Loop: Header=BB215_606 Depth=1
	v_bfe_u32 v9, v15, 16, 7
	v_mov_b32_e32 v20, 0x7f800001
	v_mov_b32_e32 v21, 0
	v_cmp_ne_u32_e32 vcc, s25, v9
	s_and_saveexec_b64 s[14:15], vcc
	s_cbranch_execz .LBB215_1116
; %bb.1115:                             ;   in Loop: Header=BB215_606 Depth=1
	v_and_b32_e32 v20, 7, v11
	v_lshrrev_b32_e32 v21, 3, v9
	v_cmp_gt_u32_e32 vcc, 8, v9
	v_ffbh_u32_e32 v9, v20
	v_min_u32_e32 v26, 32, v9
	v_subrev_u32_e32 v9, 28, v26
	v_lshlrev_b64 v[9:10], v9, v[11:12]
	v_sub_u32_e32 v10, 29, v26
	v_and_b32_e32 v9, 7, v9
	v_bfrev_b32_e32 v26, 60
	v_cndmask_b32_e32 v10, v21, v10, vcc
	v_cndmask_b32_e32 v9, v20, v9, vcc
	v_lshlrev_b32_e32 v9, 20, v9
	v_and_b32_sdwa v11, sext(v11), s26 dst_sel:DWORD dst_unused:UNUSED_PAD src0_sel:BYTE_0 src1_sel:DWORD
	v_lshl_add_u32 v10, v10, 23, v26
	v_or3_b32 v20, v11, v10, v9
	v_mov_b32_e32 v21, v5
.LBB215_1116:                           ;   in Loop: Header=BB215_606 Depth=1
	s_or_b64 exec, exec, s[14:15]
.LBB215_1117:                           ;   in Loop: Header=BB215_606 Depth=1
	s_or_b64 exec, exec, s[12:13]
.LBB215_1118:                           ;   in Loop: Header=BB215_606 Depth=1
	s_or_b64 exec, exec, s[6:7]
	v_cmp_lt_u32_e32 vcc, s27, v15
	s_and_saveexec_b64 s[6:7], vcc
	s_cbranch_execz .LBB215_1124
; %bb.1119:                             ;   in Loop: Header=BB215_606 Depth=1
	v_mov_b32_e32 v23, v6
	v_cmp_ne_u32_sdwa s[14:15], v15, s24 src0_sel:BYTE_3 src1_sel:DWORD
	v_mov_b32_e32 v22, v5
	s_and_saveexec_b64 s[12:13], s[14:15]
	s_cbranch_execz .LBB215_1123
; %bb.1120:                             ;   in Loop: Header=BB215_606 Depth=1
	v_bfe_u32 v9, v15, 24, 7
	v_mov_b32_e32 v11, v5
	v_mov_b32_e32 v23, v12
	v_cmp_ne_u32_e32 vcc, s25, v9
	v_mov_b32_e32 v22, v11
	s_and_saveexec_b64 s[14:15], vcc
	s_cbranch_execz .LBB215_1122
; %bb.1121:                             ;   in Loop: Header=BB215_606 Depth=1
	v_mov_b32_e32 v10, 7
	v_and_b32_sdwa v10, v15, v10 dst_sel:DWORD dst_unused:UNUSED_PAD src0_sel:BYTE_3 src1_sel:DWORD
	v_lshrrev_b32_e32 v26, 3, v9
	v_cmp_gt_u32_e32 vcc, 8, v9
	v_ffbh_u32_e32 v9, v10
	v_min_u32_e32 v9, 32, v9
	v_mov_b32_e32 v11, v5
	v_subrev_u32_e32 v22, 28, v9
	v_lshlrev_b64 v[22:23], v22, v[10:11]
	v_sub_u32_e32 v9, 29, v9
	v_and_b32_e32 v11, 7, v22
	v_cndmask_b32_e32 v9, v26, v9, vcc
	v_bfrev_b32_e32 v26, 60
	v_cndmask_b32_e32 v10, v10, v11, vcc
	v_mov_b32_e32 v11, 24
	v_lshlrev_b32_sdwa v11, v11, v15 dst_sel:DWORD dst_unused:UNUSED_PAD src0_sel:DWORD src1_sel:BYTE_3
	v_lshl_add_u32 v9, v9, 23, v26
	v_and_or_b32 v9, v11, s26, v9
	v_lshlrev_b32_e32 v10, 20, v10
	v_or_b32_e32 v23, v9, v10
	v_mov_b32_e32 v22, v5
.LBB215_1122:                           ;   in Loop: Header=BB215_606 Depth=1
	s_or_b64 exec, exec, s[14:15]
.LBB215_1123:                           ;   in Loop: Header=BB215_606 Depth=1
	s_or_b64 exec, exec, s[12:13]
.LBB215_1124:                           ;   in Loop: Header=BB215_606 Depth=1
	s_or_b64 exec, exec, s[6:7]
	v_or_b32_e32 v9, v19, v17
	v_or_b32_e32 v10, v18, v16
	v_mul_f32_e32 v44, s18, v9
	v_mul_f32_e32 v47, s17, v10
	v_or_b32_e32 v9, v23, v21
	v_or_b32_e32 v10, v22, v20
	v_mul_f32_e32 v46, s17, v10
	v_mul_f32_e32 v45, s18, v9
	s_and_saveexec_b64 s[6:7], s[0:1]
	s_cbranch_execz .LBB215_1126
; %bb.1125:                             ;   in Loop: Header=BB215_606 Depth=1
	v_add_u32_e32 v9, -3, v56
	v_cmp_gt_i32_e32 vcc, s30, v9
	v_add_u32_e32 v9, -2, v56
	v_cndmask_b32_e32 v47, 0, v47, vcc
	v_cmp_gt_i32_e32 vcc, s30, v9
	v_add_u32_e32 v9, -1, v56
	v_cndmask_b32_e32 v44, 0, v44, vcc
	v_cmp_gt_i32_e32 vcc, s30, v9
	v_cndmask_b32_e32 v46, 0, v46, vcc
	v_cmp_gt_i32_e32 vcc, s30, v56
	v_cndmask_b32_e32 v45, 0, v45, vcc
.LBB215_1126:                           ;   in Loop: Header=BB215_606 Depth=1
	s_or_b64 exec, exec, s[6:7]
	v_add_co_u32_e32 v9, vcc, 0x1000, v13
	v_addc_co_u32_e32 v10, vcc, 0, v14, vcc
	global_load_dword v15, v[9:10], off offset:1024
	v_mov_b32_e32 v18, 0
	v_mov_b32_e32 v16, 0
	;; [unrolled: 1-line block ×4, first 2 shown]
	s_waitcnt vmcnt(0)
	v_cmp_ne_u16_sdwa s[12:13], v15, v5 src0_sel:BYTE_0 src1_sel:DWORD
	s_and_saveexec_b64 s[6:7], s[12:13]
	s_cbranch_execz .LBB215_1132
; %bb.1127:                             ;   in Loop: Header=BB215_606 Depth=1
	v_bfrev_b32_e32 v16, 1
	v_mov_b32_e32 v17, 0
	v_cmp_ne_u16_sdwa s[14:15], v15, s24 src0_sel:BYTE_0 src1_sel:DWORD
	s_and_saveexec_b64 s[12:13], s[14:15]
	s_cbranch_execz .LBB215_1131
; %bb.1128:                             ;   in Loop: Header=BB215_606 Depth=1
	v_and_b32_e32 v9, 0x7f, v15
	v_mov_b32_e32 v16, 0x7f800001
	v_mov_b32_e32 v17, 0
	v_cmp_ne_u32_e32 vcc, s25, v9
	s_and_saveexec_b64 s[14:15], vcc
	s_cbranch_execz .LBB215_1130
; %bb.1129:                             ;   in Loop: Header=BB215_606 Depth=1
	v_and_b32_e32 v11, 7, v15
	v_lshrrev_b32_e32 v16, 3, v9
	v_cmp_gt_u32_e32 vcc, 8, v9
	v_ffbh_u32_e32 v9, v11
	v_min_u32_e32 v17, 32, v9
	v_subrev_u32_e32 v9, 28, v17
	v_lshlrev_b64 v[9:10], v9, v[15:16]
	v_sub_u32_e32 v10, 29, v17
	v_and_b32_e32 v9, 7, v9
	v_cndmask_b32_e32 v10, v16, v10, vcc
	v_cndmask_b32_e32 v9, v11, v9, vcc
	v_lshlrev_b32_e32 v9, 20, v9
	v_and_b32_sdwa v11, sext(v15), s26 dst_sel:DWORD dst_unused:UNUSED_PAD src0_sel:BYTE_0 src1_sel:DWORD
	v_lshl_add_u32 v10, v10, 23, v26
	v_or3_b32 v16, v11, v10, v9
	v_mov_b32_e32 v17, v5
.LBB215_1130:                           ;   in Loop: Header=BB215_606 Depth=1
	s_or_b64 exec, exec, s[14:15]
.LBB215_1131:                           ;   in Loop: Header=BB215_606 Depth=1
	s_or_b64 exec, exec, s[12:13]
.LBB215_1132:                           ;   in Loop: Header=BB215_606 Depth=1
	s_or_b64 exec, exec, s[6:7]
	v_cmp_ne_u16_sdwa s[12:13], v15, v5 src0_sel:BYTE_1 src1_sel:DWORD
	s_and_saveexec_b64 s[6:7], s[12:13]
	s_cbranch_execz .LBB215_1138
; %bb.1133:                             ;   in Loop: Header=BB215_606 Depth=1
	v_mov_b32_e32 v19, v6
	v_cmp_ne_u16_sdwa s[14:15], v15, s24 src0_sel:BYTE_1 src1_sel:DWORD
	v_mov_b32_e32 v18, v5
	s_and_saveexec_b64 s[12:13], s[14:15]
	s_cbranch_execz .LBB215_1137
; %bb.1134:                             ;   in Loop: Header=BB215_606 Depth=1
	v_and_b32_sdwa v9, v15, s25 dst_sel:DWORD dst_unused:UNUSED_PAD src0_sel:BYTE_1 src1_sel:DWORD
	v_mov_b32_e32 v11, v5
	v_mov_b32_e32 v19, v12
	v_cmp_ne_u32_e32 vcc, s25, v9
	v_mov_b32_e32 v18, v11
	s_and_saveexec_b64 s[14:15], vcc
	s_cbranch_execz .LBB215_1136
; %bb.1135:                             ;   in Loop: Header=BB215_606 Depth=1
	v_mov_b32_e32 v10, 7
	v_and_b32_sdwa v10, v15, v10 dst_sel:DWORD dst_unused:UNUSED_PAD src0_sel:BYTE_1 src1_sel:DWORD
	v_lshrrev_b32_e32 v20, 3, v9
	v_cmp_gt_u32_e32 vcc, 8, v9
	v_ffbh_u32_e32 v9, v10
	v_min_u32_e32 v9, 32, v9
	v_mov_b32_e32 v11, v5
	v_subrev_u32_e32 v18, 28, v9
	v_lshlrev_b64 v[18:19], v18, v[10:11]
	v_sub_u32_e32 v9, 29, v9
	v_and_b32_e32 v11, 7, v18
	v_cndmask_b32_e32 v9, v20, v9, vcc
	v_cndmask_b32_e32 v10, v10, v11, vcc
	v_lshlrev_b32_e32 v11, 16, v15
	v_lshl_add_u32 v9, v9, 23, v26
	v_and_or_b32 v9, v11, s26, v9
	v_lshlrev_b32_e32 v10, 20, v10
	v_or_b32_e32 v19, v9, v10
	v_mov_b32_e32 v18, v5
.LBB215_1136:                           ;   in Loop: Header=BB215_606 Depth=1
	s_or_b64 exec, exec, s[14:15]
.LBB215_1137:                           ;   in Loop: Header=BB215_606 Depth=1
	s_or_b64 exec, exec, s[12:13]
.LBB215_1138:                           ;   in Loop: Header=BB215_606 Depth=1
	s_or_b64 exec, exec, s[6:7]
	v_lshrrev_b32_e32 v11, 16, v15
	v_mov_b32_e32 v22, 0
	v_mov_b32_e32 v20, 0
	;; [unrolled: 1-line block ×4, first 2 shown]
	v_cmp_ne_u16_sdwa s[12:13], v11, v5 src0_sel:BYTE_0 src1_sel:DWORD
	s_and_saveexec_b64 s[6:7], s[12:13]
	s_cbranch_execz .LBB215_1144
; %bb.1139:                             ;   in Loop: Header=BB215_606 Depth=1
	v_bfrev_b32_e32 v20, 1
	v_mov_b32_e32 v21, 0
	v_cmp_ne_u16_sdwa s[14:15], v11, s24 src0_sel:BYTE_0 src1_sel:DWORD
	s_and_saveexec_b64 s[12:13], s[14:15]
	s_cbranch_execz .LBB215_1143
; %bb.1140:                             ;   in Loop: Header=BB215_606 Depth=1
	v_bfe_u32 v9, v15, 16, 7
	v_mov_b32_e32 v20, 0x7f800001
	v_mov_b32_e32 v21, 0
	v_cmp_ne_u32_e32 vcc, s25, v9
	s_and_saveexec_b64 s[14:15], vcc
	s_cbranch_execz .LBB215_1142
; %bb.1141:                             ;   in Loop: Header=BB215_606 Depth=1
	v_and_b32_e32 v20, 7, v11
	v_lshrrev_b32_e32 v21, 3, v9
	v_cmp_gt_u32_e32 vcc, 8, v9
	v_ffbh_u32_e32 v9, v20
	v_min_u32_e32 v26, 32, v9
	v_subrev_u32_e32 v9, 28, v26
	v_lshlrev_b64 v[9:10], v9, v[11:12]
	v_sub_u32_e32 v10, 29, v26
	v_and_b32_e32 v9, 7, v9
	v_bfrev_b32_e32 v26, 60
	v_cndmask_b32_e32 v10, v21, v10, vcc
	v_cndmask_b32_e32 v9, v20, v9, vcc
	v_lshlrev_b32_e32 v9, 20, v9
	v_and_b32_sdwa v11, sext(v11), s26 dst_sel:DWORD dst_unused:UNUSED_PAD src0_sel:BYTE_0 src1_sel:DWORD
	v_lshl_add_u32 v10, v10, 23, v26
	v_or3_b32 v20, v11, v10, v9
	v_mov_b32_e32 v21, v5
.LBB215_1142:                           ;   in Loop: Header=BB215_606 Depth=1
	s_or_b64 exec, exec, s[14:15]
.LBB215_1143:                           ;   in Loop: Header=BB215_606 Depth=1
	s_or_b64 exec, exec, s[12:13]
.LBB215_1144:                           ;   in Loop: Header=BB215_606 Depth=1
	s_or_b64 exec, exec, s[6:7]
	v_cmp_lt_u32_e32 vcc, s27, v15
	s_and_saveexec_b64 s[6:7], vcc
	s_cbranch_execz .LBB215_1150
; %bb.1145:                             ;   in Loop: Header=BB215_606 Depth=1
	v_mov_b32_e32 v23, v6
	v_cmp_ne_u32_sdwa s[14:15], v15, s24 src0_sel:BYTE_3 src1_sel:DWORD
	v_mov_b32_e32 v22, v5
	s_and_saveexec_b64 s[12:13], s[14:15]
	s_cbranch_execz .LBB215_1149
; %bb.1146:                             ;   in Loop: Header=BB215_606 Depth=1
	v_bfe_u32 v9, v15, 24, 7
	v_mov_b32_e32 v11, v5
	v_mov_b32_e32 v23, v12
	v_cmp_ne_u32_e32 vcc, s25, v9
	v_mov_b32_e32 v22, v11
	s_and_saveexec_b64 s[14:15], vcc
	s_cbranch_execz .LBB215_1148
; %bb.1147:                             ;   in Loop: Header=BB215_606 Depth=1
	v_mov_b32_e32 v10, 7
	v_and_b32_sdwa v10, v15, v10 dst_sel:DWORD dst_unused:UNUSED_PAD src0_sel:BYTE_3 src1_sel:DWORD
	v_lshrrev_b32_e32 v26, 3, v9
	v_cmp_gt_u32_e32 vcc, 8, v9
	v_ffbh_u32_e32 v9, v10
	v_min_u32_e32 v9, 32, v9
	v_mov_b32_e32 v11, v5
	v_subrev_u32_e32 v22, 28, v9
	v_lshlrev_b64 v[22:23], v22, v[10:11]
	v_sub_u32_e32 v9, 29, v9
	v_and_b32_e32 v11, 7, v22
	v_cndmask_b32_e32 v9, v26, v9, vcc
	v_bfrev_b32_e32 v26, 60
	v_cndmask_b32_e32 v10, v10, v11, vcc
	v_mov_b32_e32 v11, 24
	v_lshlrev_b32_sdwa v11, v11, v15 dst_sel:DWORD dst_unused:UNUSED_PAD src0_sel:DWORD src1_sel:BYTE_3
	v_lshl_add_u32 v9, v9, 23, v26
	v_and_or_b32 v9, v11, s26, v9
	v_lshlrev_b32_e32 v10, 20, v10
	v_or_b32_e32 v23, v9, v10
	v_mov_b32_e32 v22, v5
.LBB215_1148:                           ;   in Loop: Header=BB215_606 Depth=1
	s_or_b64 exec, exec, s[14:15]
.LBB215_1149:                           ;   in Loop: Header=BB215_606 Depth=1
	s_or_b64 exec, exec, s[12:13]
.LBB215_1150:                           ;   in Loop: Header=BB215_606 Depth=1
	s_or_b64 exec, exec, s[6:7]
	v_or_b32_e32 v9, v19, v17
	v_or_b32_e32 v10, v18, v16
	v_mul_f32_e32 v48, s18, v9
	v_mul_f32_e32 v51, s17, v10
	v_or_b32_e32 v9, v23, v21
	v_or_b32_e32 v10, v22, v20
	v_mul_f32_e32 v50, s17, v10
	v_mul_f32_e32 v49, s18, v9
	s_and_saveexec_b64 s[6:7], s[0:1]
	s_cbranch_execz .LBB215_1152
; %bb.1151:                             ;   in Loop: Header=BB215_606 Depth=1
	v_add_u32_e32 v9, -3, v56
	v_cmp_gt_i32_e32 vcc, s30, v9
	v_add_u32_e32 v9, -2, v56
	v_cndmask_b32_e32 v51, 0, v51, vcc
	v_cmp_gt_i32_e32 vcc, s30, v9
	v_add_u32_e32 v9, -1, v56
	v_cndmask_b32_e32 v48, 0, v48, vcc
	v_cmp_gt_i32_e32 vcc, s30, v9
	v_cndmask_b32_e32 v50, 0, v50, vcc
	v_cmp_gt_i32_e32 vcc, s30, v56
	v_cndmask_b32_e32 v49, 0, v49, vcc
.LBB215_1152:                           ;   in Loop: Header=BB215_606 Depth=1
	s_or_b64 exec, exec, s[6:7]
	v_add_co_u32_e32 v9, vcc, 0x1000, v13
	v_addc_co_u32_e32 v10, vcc, 0, v14, vcc
	global_load_dword v15, v[9:10], off offset:1280
	v_mov_b32_e32 v18, 0
	v_mov_b32_e32 v16, 0
	;; [unrolled: 1-line block ×4, first 2 shown]
	s_waitcnt vmcnt(0)
	v_cmp_ne_u16_sdwa s[12:13], v15, v5 src0_sel:BYTE_0 src1_sel:DWORD
	s_and_saveexec_b64 s[6:7], s[12:13]
	s_cbranch_execz .LBB215_1158
; %bb.1153:                             ;   in Loop: Header=BB215_606 Depth=1
	v_bfrev_b32_e32 v16, 1
	v_mov_b32_e32 v17, 0
	v_cmp_ne_u16_sdwa s[14:15], v15, s24 src0_sel:BYTE_0 src1_sel:DWORD
	s_and_saveexec_b64 s[12:13], s[14:15]
	s_cbranch_execz .LBB215_1157
; %bb.1154:                             ;   in Loop: Header=BB215_606 Depth=1
	v_and_b32_e32 v9, 0x7f, v15
	v_mov_b32_e32 v16, 0x7f800001
	v_mov_b32_e32 v17, 0
	v_cmp_ne_u32_e32 vcc, s25, v9
	s_and_saveexec_b64 s[14:15], vcc
	s_cbranch_execz .LBB215_1156
; %bb.1155:                             ;   in Loop: Header=BB215_606 Depth=1
	v_and_b32_e32 v11, 7, v15
	v_lshrrev_b32_e32 v16, 3, v9
	v_cmp_gt_u32_e32 vcc, 8, v9
	v_ffbh_u32_e32 v9, v11
	v_min_u32_e32 v17, 32, v9
	v_subrev_u32_e32 v9, 28, v17
	v_lshlrev_b64 v[9:10], v9, v[15:16]
	v_sub_u32_e32 v10, 29, v17
	v_and_b32_e32 v9, 7, v9
	v_cndmask_b32_e32 v10, v16, v10, vcc
	v_cndmask_b32_e32 v9, v11, v9, vcc
	v_lshlrev_b32_e32 v9, 20, v9
	v_and_b32_sdwa v11, sext(v15), s26 dst_sel:DWORD dst_unused:UNUSED_PAD src0_sel:BYTE_0 src1_sel:DWORD
	v_lshl_add_u32 v10, v10, 23, v26
	v_or3_b32 v16, v11, v10, v9
	v_mov_b32_e32 v17, v5
.LBB215_1156:                           ;   in Loop: Header=BB215_606 Depth=1
	s_or_b64 exec, exec, s[14:15]
.LBB215_1157:                           ;   in Loop: Header=BB215_606 Depth=1
	s_or_b64 exec, exec, s[12:13]
.LBB215_1158:                           ;   in Loop: Header=BB215_606 Depth=1
	s_or_b64 exec, exec, s[6:7]
	v_cmp_ne_u16_sdwa s[12:13], v15, v5 src0_sel:BYTE_1 src1_sel:DWORD
	s_and_saveexec_b64 s[6:7], s[12:13]
	s_cbranch_execz .LBB215_1164
; %bb.1159:                             ;   in Loop: Header=BB215_606 Depth=1
	v_mov_b32_e32 v19, v6
	v_cmp_ne_u16_sdwa s[14:15], v15, s24 src0_sel:BYTE_1 src1_sel:DWORD
	v_mov_b32_e32 v18, v5
	s_and_saveexec_b64 s[12:13], s[14:15]
	s_cbranch_execz .LBB215_1163
; %bb.1160:                             ;   in Loop: Header=BB215_606 Depth=1
	v_and_b32_sdwa v9, v15, s25 dst_sel:DWORD dst_unused:UNUSED_PAD src0_sel:BYTE_1 src1_sel:DWORD
	v_mov_b32_e32 v11, v5
	v_mov_b32_e32 v19, v12
	v_cmp_ne_u32_e32 vcc, s25, v9
	v_mov_b32_e32 v18, v11
	s_and_saveexec_b64 s[14:15], vcc
	s_cbranch_execz .LBB215_1162
; %bb.1161:                             ;   in Loop: Header=BB215_606 Depth=1
	v_mov_b32_e32 v10, 7
	v_and_b32_sdwa v10, v15, v10 dst_sel:DWORD dst_unused:UNUSED_PAD src0_sel:BYTE_1 src1_sel:DWORD
	v_lshrrev_b32_e32 v20, 3, v9
	v_cmp_gt_u32_e32 vcc, 8, v9
	v_ffbh_u32_e32 v9, v10
	v_min_u32_e32 v9, 32, v9
	v_mov_b32_e32 v11, v5
	v_subrev_u32_e32 v18, 28, v9
	v_lshlrev_b64 v[18:19], v18, v[10:11]
	v_sub_u32_e32 v9, 29, v9
	v_and_b32_e32 v11, 7, v18
	v_cndmask_b32_e32 v9, v20, v9, vcc
	v_cndmask_b32_e32 v10, v10, v11, vcc
	v_lshlrev_b32_e32 v11, 16, v15
	v_lshl_add_u32 v9, v9, 23, v26
	v_and_or_b32 v9, v11, s26, v9
	v_lshlrev_b32_e32 v10, 20, v10
	v_or_b32_e32 v19, v9, v10
	v_mov_b32_e32 v18, v5
.LBB215_1162:                           ;   in Loop: Header=BB215_606 Depth=1
	s_or_b64 exec, exec, s[14:15]
.LBB215_1163:                           ;   in Loop: Header=BB215_606 Depth=1
	s_or_b64 exec, exec, s[12:13]
.LBB215_1164:                           ;   in Loop: Header=BB215_606 Depth=1
	s_or_b64 exec, exec, s[6:7]
	v_lshrrev_b32_e32 v11, 16, v15
	v_mov_b32_e32 v22, 0
	v_mov_b32_e32 v20, 0
	;; [unrolled: 1-line block ×4, first 2 shown]
	v_cmp_ne_u16_sdwa s[12:13], v11, v5 src0_sel:BYTE_0 src1_sel:DWORD
	s_and_saveexec_b64 s[6:7], s[12:13]
	s_cbranch_execz .LBB215_1170
; %bb.1165:                             ;   in Loop: Header=BB215_606 Depth=1
	v_bfrev_b32_e32 v20, 1
	v_mov_b32_e32 v21, 0
	v_cmp_ne_u16_sdwa s[14:15], v11, s24 src0_sel:BYTE_0 src1_sel:DWORD
	s_and_saveexec_b64 s[12:13], s[14:15]
	s_cbranch_execz .LBB215_1169
; %bb.1166:                             ;   in Loop: Header=BB215_606 Depth=1
	v_bfe_u32 v9, v15, 16, 7
	v_mov_b32_e32 v20, 0x7f800001
	v_mov_b32_e32 v21, 0
	v_cmp_ne_u32_e32 vcc, s25, v9
	s_and_saveexec_b64 s[14:15], vcc
	s_cbranch_execz .LBB215_1168
; %bb.1167:                             ;   in Loop: Header=BB215_606 Depth=1
	v_and_b32_e32 v20, 7, v11
	v_lshrrev_b32_e32 v21, 3, v9
	v_cmp_gt_u32_e32 vcc, 8, v9
	v_ffbh_u32_e32 v9, v20
	v_min_u32_e32 v26, 32, v9
	v_subrev_u32_e32 v9, 28, v26
	v_lshlrev_b64 v[9:10], v9, v[11:12]
	v_sub_u32_e32 v10, 29, v26
	v_and_b32_e32 v9, 7, v9
	v_bfrev_b32_e32 v26, 60
	v_cndmask_b32_e32 v10, v21, v10, vcc
	v_cndmask_b32_e32 v9, v20, v9, vcc
	v_lshlrev_b32_e32 v9, 20, v9
	v_and_b32_sdwa v11, sext(v11), s26 dst_sel:DWORD dst_unused:UNUSED_PAD src0_sel:BYTE_0 src1_sel:DWORD
	v_lshl_add_u32 v10, v10, 23, v26
	v_or3_b32 v20, v11, v10, v9
	v_mov_b32_e32 v21, v5
.LBB215_1168:                           ;   in Loop: Header=BB215_606 Depth=1
	s_or_b64 exec, exec, s[14:15]
.LBB215_1169:                           ;   in Loop: Header=BB215_606 Depth=1
	s_or_b64 exec, exec, s[12:13]
.LBB215_1170:                           ;   in Loop: Header=BB215_606 Depth=1
	s_or_b64 exec, exec, s[6:7]
	v_cmp_lt_u32_e32 vcc, s27, v15
	s_and_saveexec_b64 s[6:7], vcc
	s_cbranch_execz .LBB215_1176
; %bb.1171:                             ;   in Loop: Header=BB215_606 Depth=1
	v_mov_b32_e32 v23, v6
	v_cmp_ne_u32_sdwa s[14:15], v15, s24 src0_sel:BYTE_3 src1_sel:DWORD
	v_mov_b32_e32 v22, v5
	s_and_saveexec_b64 s[12:13], s[14:15]
	s_cbranch_execz .LBB215_1175
; %bb.1172:                             ;   in Loop: Header=BB215_606 Depth=1
	v_bfe_u32 v9, v15, 24, 7
	v_mov_b32_e32 v11, v5
	v_mov_b32_e32 v23, v12
	v_cmp_ne_u32_e32 vcc, s25, v9
	v_mov_b32_e32 v22, v11
	s_and_saveexec_b64 s[14:15], vcc
	s_cbranch_execz .LBB215_1174
; %bb.1173:                             ;   in Loop: Header=BB215_606 Depth=1
	v_mov_b32_e32 v10, 7
	v_and_b32_sdwa v10, v15, v10 dst_sel:DWORD dst_unused:UNUSED_PAD src0_sel:BYTE_3 src1_sel:DWORD
	v_lshrrev_b32_e32 v26, 3, v9
	v_cmp_gt_u32_e32 vcc, 8, v9
	v_ffbh_u32_e32 v9, v10
	v_min_u32_e32 v9, 32, v9
	v_mov_b32_e32 v11, v5
	v_subrev_u32_e32 v22, 28, v9
	v_lshlrev_b64 v[22:23], v22, v[10:11]
	v_sub_u32_e32 v9, 29, v9
	v_and_b32_e32 v11, 7, v22
	v_cndmask_b32_e32 v9, v26, v9, vcc
	v_bfrev_b32_e32 v26, 60
	v_cndmask_b32_e32 v10, v10, v11, vcc
	v_mov_b32_e32 v11, 24
	v_lshlrev_b32_sdwa v11, v11, v15 dst_sel:DWORD dst_unused:UNUSED_PAD src0_sel:DWORD src1_sel:BYTE_3
	v_lshl_add_u32 v9, v9, 23, v26
	v_and_or_b32 v9, v11, s26, v9
	v_lshlrev_b32_e32 v10, 20, v10
	v_or_b32_e32 v23, v9, v10
	v_mov_b32_e32 v22, v5
.LBB215_1174:                           ;   in Loop: Header=BB215_606 Depth=1
	s_or_b64 exec, exec, s[14:15]
.LBB215_1175:                           ;   in Loop: Header=BB215_606 Depth=1
	s_or_b64 exec, exec, s[12:13]
.LBB215_1176:                           ;   in Loop: Header=BB215_606 Depth=1
	s_or_b64 exec, exec, s[6:7]
	v_or_b32_e32 v9, v19, v17
	v_or_b32_e32 v10, v18, v16
	v_mul_f32_e32 v52, s18, v9
	v_or_b32_e32 v11, v23, v21
	v_or_b32_e32 v9, v22, v20
	v_mul_f32_e32 v10, s17, v10
	v_mul_f32_e32 v9, s17, v9
	v_mul_f32_e32 v53, s18, v11
	s_and_saveexec_b64 s[6:7], s[0:1]
	s_cbranch_execz .LBB215_1178
; %bb.1177:                             ;   in Loop: Header=BB215_606 Depth=1
	v_add_u32_e32 v11, -3, v56
	v_cmp_gt_i32_e32 vcc, s30, v11
	v_add_u32_e32 v11, -2, v56
	v_cndmask_b32_e32 v10, 0, v10, vcc
	v_cmp_gt_i32_e32 vcc, s30, v11
	v_add_u32_e32 v11, -1, v56
	v_cndmask_b32_e32 v52, 0, v52, vcc
	v_cmp_gt_i32_e32 vcc, s30, v11
	v_cndmask_b32_e32 v9, 0, v9, vcc
	v_cmp_gt_i32_e32 vcc, s30, v56
	v_cndmask_b32_e32 v53, 0, v53, vcc
.LBB215_1178:                           ;   in Loop: Header=BB215_606 Depth=1
	s_or_b64 exec, exec, s[6:7]
	v_add_co_u32_e32 v15, vcc, 0x1000, v13
	v_addc_co_u32_e32 v16, vcc, 0, v14, vcc
	global_load_dword v15, v[15:16], off offset:1536
	v_mov_b32_e32 v18, 0
	v_mov_b32_e32 v16, 0
	;; [unrolled: 1-line block ×4, first 2 shown]
	s_waitcnt vmcnt(0)
	v_cmp_ne_u16_sdwa s[12:13], v15, v5 src0_sel:BYTE_0 src1_sel:DWORD
	s_and_saveexec_b64 s[6:7], s[12:13]
	s_cbranch_execz .LBB215_1184
; %bb.1179:                             ;   in Loop: Header=BB215_606 Depth=1
	v_bfrev_b32_e32 v16, 1
	v_mov_b32_e32 v17, 0
	v_cmp_ne_u16_sdwa s[14:15], v15, s24 src0_sel:BYTE_0 src1_sel:DWORD
	s_and_saveexec_b64 s[12:13], s[14:15]
	s_cbranch_execz .LBB215_1183
; %bb.1180:                             ;   in Loop: Header=BB215_606 Depth=1
	v_and_b32_e32 v11, 0x7f, v15
	v_mov_b32_e32 v16, 0x7f800001
	v_mov_b32_e32 v17, 0
	v_cmp_ne_u32_e32 vcc, s25, v11
	s_and_saveexec_b64 s[14:15], vcc
	s_cbranch_execz .LBB215_1182
; %bb.1181:                             ;   in Loop: Header=BB215_606 Depth=1
	v_and_b32_e32 v20, 7, v15
	v_lshrrev_b32_e32 v21, 3, v11
	v_cmp_gt_u32_e32 vcc, 8, v11
	v_ffbh_u32_e32 v11, v20
	v_min_u32_e32 v11, 32, v11
	v_subrev_u32_e32 v16, 28, v11
	v_lshlrev_b64 v[16:17], v16, v[15:16]
	v_sub_u32_e32 v11, 29, v11
	v_and_b32_e32 v16, 7, v16
	v_cndmask_b32_e32 v11, v21, v11, vcc
	v_cndmask_b32_e32 v16, v20, v16, vcc
	v_lshlrev_b32_e32 v16, 20, v16
	v_and_b32_sdwa v17, sext(v15), s26 dst_sel:DWORD dst_unused:UNUSED_PAD src0_sel:BYTE_0 src1_sel:DWORD
	v_lshl_add_u32 v11, v11, 23, v26
	v_or3_b32 v16, v17, v11, v16
	v_mov_b32_e32 v17, v5
.LBB215_1182:                           ;   in Loop: Header=BB215_606 Depth=1
	s_or_b64 exec, exec, s[14:15]
.LBB215_1183:                           ;   in Loop: Header=BB215_606 Depth=1
	s_or_b64 exec, exec, s[12:13]
.LBB215_1184:                           ;   in Loop: Header=BB215_606 Depth=1
	s_or_b64 exec, exec, s[6:7]
	v_cmp_ne_u16_sdwa s[12:13], v15, v5 src0_sel:BYTE_1 src1_sel:DWORD
	s_and_saveexec_b64 s[6:7], s[12:13]
	s_cbranch_execz .LBB215_1190
; %bb.1185:                             ;   in Loop: Header=BB215_606 Depth=1
	v_mov_b32_e32 v19, v6
	v_cmp_ne_u16_sdwa s[14:15], v15, s24 src0_sel:BYTE_1 src1_sel:DWORD
	v_mov_b32_e32 v18, v5
	s_and_saveexec_b64 s[12:13], s[14:15]
	s_cbranch_execz .LBB215_1189
; %bb.1186:                             ;   in Loop: Header=BB215_606 Depth=1
	v_and_b32_sdwa v20, v15, s25 dst_sel:DWORD dst_unused:UNUSED_PAD src0_sel:BYTE_1 src1_sel:DWORD
	v_mov_b32_e32 v11, v5
	v_mov_b32_e32 v19, v12
	v_cmp_ne_u32_e32 vcc, s25, v20
	v_mov_b32_e32 v18, v11
	s_and_saveexec_b64 s[14:15], vcc
	s_cbranch_execz .LBB215_1188
; %bb.1187:                             ;   in Loop: Header=BB215_606 Depth=1
	v_mov_b32_e32 v11, 7
	v_and_b32_sdwa v18, v15, v11 dst_sel:DWORD dst_unused:UNUSED_PAD src0_sel:BYTE_1 src1_sel:DWORD
	v_lshrrev_b32_e32 v11, 3, v20
	v_cmp_gt_u32_e32 vcc, 8, v20
	v_ffbh_u32_e32 v20, v18
	v_min_u32_e32 v21, 32, v20
	v_mov_b32_e32 v19, v5
	v_subrev_u32_e32 v20, 28, v21
	v_lshlrev_b64 v[19:20], v20, v[18:19]
	v_sub_u32_e32 v20, 29, v21
	v_and_b32_e32 v19, 7, v19
	v_cndmask_b32_e32 v11, v11, v20, vcc
	v_cndmask_b32_e32 v18, v18, v19, vcc
	v_lshlrev_b32_e32 v19, 16, v15
	v_lshl_add_u32 v11, v11, 23, v26
	v_and_or_b32 v11, v19, s26, v11
	v_lshlrev_b32_e32 v18, 20, v18
	v_or_b32_e32 v19, v11, v18
	v_mov_b32_e32 v18, v5
.LBB215_1188:                           ;   in Loop: Header=BB215_606 Depth=1
	s_or_b64 exec, exec, s[14:15]
.LBB215_1189:                           ;   in Loop: Header=BB215_606 Depth=1
	s_or_b64 exec, exec, s[12:13]
.LBB215_1190:                           ;   in Loop: Header=BB215_606 Depth=1
	s_or_b64 exec, exec, s[6:7]
	v_lshrrev_b32_e32 v11, 16, v15
	v_mov_b32_e32 v22, 0
	v_mov_b32_e32 v20, 0
	;; [unrolled: 1-line block ×4, first 2 shown]
	v_cmp_ne_u16_sdwa s[12:13], v11, v5 src0_sel:BYTE_0 src1_sel:DWORD
	s_and_saveexec_b64 s[6:7], s[12:13]
	s_cbranch_execz .LBB215_1196
; %bb.1191:                             ;   in Loop: Header=BB215_606 Depth=1
	v_bfrev_b32_e32 v20, 1
	v_mov_b32_e32 v21, 0
	v_cmp_ne_u16_sdwa s[14:15], v11, s24 src0_sel:BYTE_0 src1_sel:DWORD
	s_and_saveexec_b64 s[12:13], s[14:15]
	s_cbranch_execz .LBB215_1195
; %bb.1192:                             ;   in Loop: Header=BB215_606 Depth=1
	v_bfe_u32 v27, v15, 16, 7
	v_mov_b32_e32 v20, 0x7f800001
	v_mov_b32_e32 v21, 0
	v_cmp_ne_u32_e32 vcc, s25, v27
	s_and_saveexec_b64 s[14:15], vcc
	s_cbranch_execz .LBB215_1194
; %bb.1193:                             ;   in Loop: Header=BB215_606 Depth=1
	v_and_b32_e32 v26, 7, v11
	v_ffbh_u32_e32 v20, v26
	v_mov_b32_e32 v28, v57
	v_mov_b32_e32 v57, v54
	v_lshrrev_b32_e32 v54, 3, v27
	v_cmp_gt_u32_e32 vcc, 8, v27
	v_min_u32_e32 v27, 32, v20
	v_subrev_u32_e32 v20, 28, v27
	v_lshlrev_b64 v[20:21], v20, v[11:12]
	v_sub_u32_e32 v21, 29, v27
	v_cndmask_b32_e32 v21, v54, v21, vcc
	v_mov_b32_e32 v54, v57
	v_mov_b32_e32 v57, v28
	buffer_load_dword v28, off, s[48:51], 0 offset:608 ; 4-byte Folded Reload
	v_and_b32_e32 v20, 7, v20
	v_cndmask_b32_e32 v20, v26, v20, vcc
	v_bfrev_b32_e32 v26, 60
	v_lshlrev_b32_e32 v20, 20, v20
	v_and_b32_sdwa v11, sext(v11), s26 dst_sel:DWORD dst_unused:UNUSED_PAD src0_sel:BYTE_0 src1_sel:DWORD
	v_lshl_add_u32 v21, v21, 23, v26
	v_or3_b32 v20, v11, v21, v20
	v_mov_b32_e32 v21, v5
.LBB215_1194:                           ;   in Loop: Header=BB215_606 Depth=1
	s_or_b64 exec, exec, s[14:15]
.LBB215_1195:                           ;   in Loop: Header=BB215_606 Depth=1
	s_or_b64 exec, exec, s[12:13]
.LBB215_1196:                           ;   in Loop: Header=BB215_606 Depth=1
	s_or_b64 exec, exec, s[6:7]
	v_cmp_lt_u32_e32 vcc, s27, v15
	s_and_saveexec_b64 s[6:7], vcc
	s_cbranch_execz .LBB215_1202
; %bb.1197:                             ;   in Loop: Header=BB215_606 Depth=1
	v_mov_b32_e32 v23, v6
	v_cmp_ne_u32_sdwa s[14:15], v15, s24 src0_sel:BYTE_3 src1_sel:DWORD
	v_mov_b32_e32 v22, v5
	s_and_saveexec_b64 s[12:13], s[14:15]
	s_cbranch_execz .LBB215_1201
; %bb.1198:                             ;   in Loop: Header=BB215_606 Depth=1
	v_bfe_u32 v27, v15, 24, 7
	v_mov_b32_e32 v11, v5
	v_mov_b32_e32 v23, v12
	v_cmp_ne_u32_e32 vcc, s25, v27
	v_mov_b32_e32 v22, v11
	s_and_saveexec_b64 s[14:15], vcc
	s_cbranch_execz .LBB215_1200
; %bb.1199:                             ;   in Loop: Header=BB215_606 Depth=1
	v_mov_b32_e32 v11, 7
	v_and_b32_sdwa v22, v15, v11 dst_sel:DWORD dst_unused:UNUSED_PAD src0_sel:BYTE_3 src1_sel:DWORD
	v_ffbh_u32_e32 v26, v22
	s_waitcnt vmcnt(0)
	v_mov_b32_e32 v28, v54
	v_min_u32_e32 v54, 32, v26
	v_mov_b32_e32 v23, v5
	v_subrev_u32_e32 v26, 28, v54
	v_lshrrev_b32_e32 v11, 3, v27
	v_cmp_gt_u32_e32 vcc, 8, v27
	v_lshlrev_b64 v[26:27], v26, v[22:23]
	v_sub_u32_e32 v23, 29, v54
	v_mov_b32_e32 v54, v28
	buffer_load_dword v28, off, s[48:51], 0 offset:608 ; 4-byte Folded Reload
	v_and_b32_e32 v26, 7, v26
	v_cndmask_b32_e32 v11, v11, v23, vcc
	v_cndmask_b32_e32 v22, v22, v26, vcc
	v_bfrev_b32_e32 v26, 60
	v_mov_b32_e32 v23, 24
	v_lshlrev_b32_sdwa v15, v23, v15 dst_sel:DWORD dst_unused:UNUSED_PAD src0_sel:DWORD src1_sel:BYTE_3
	v_lshl_add_u32 v11, v11, 23, v26
	v_and_or_b32 v11, v15, s26, v11
	v_lshlrev_b32_e32 v15, 20, v22
	v_or_b32_e32 v23, v11, v15
	v_mov_b32_e32 v22, v5
.LBB215_1200:                           ;   in Loop: Header=BB215_606 Depth=1
	s_or_b64 exec, exec, s[14:15]
.LBB215_1201:                           ;   in Loop: Header=BB215_606 Depth=1
	s_or_b64 exec, exec, s[12:13]
.LBB215_1202:                           ;   in Loop: Header=BB215_606 Depth=1
	s_or_b64 exec, exec, s[6:7]
	v_or_b32_e32 v11, v19, v17
	v_or_b32_e32 v15, v18, v16
	v_mul_f32_e32 v60, s18, v11
	v_mul_f32_e32 v27, s17, v15
	v_or_b32_e32 v11, v23, v21
	v_or_b32_e32 v15, v22, v20
	v_mul_f32_e32 v23, s17, v15
	v_mul_f32_e32 v22, s18, v11
	s_and_saveexec_b64 s[6:7], s[0:1]
	s_cbranch_execz .LBB215_1204
; %bb.1203:                             ;   in Loop: Header=BB215_606 Depth=1
	v_add_u32_e32 v11, -3, v56
	v_cmp_gt_i32_e32 vcc, s30, v11
	v_add_u32_e32 v11, -2, v56
	v_cndmask_b32_e32 v27, 0, v27, vcc
	v_cmp_gt_i32_e32 vcc, s30, v11
	v_add_u32_e32 v11, -1, v56
	v_cndmask_b32_e32 v60, 0, v60, vcc
	v_cmp_gt_i32_e32 vcc, s30, v11
	v_cndmask_b32_e32 v23, 0, v23, vcc
	v_cmp_gt_i32_e32 vcc, s30, v56
	v_cndmask_b32_e32 v22, 0, v22, vcc
.LBB215_1204:                           ;   in Loop: Header=BB215_606 Depth=1
	s_or_b64 exec, exec, s[6:7]
	v_add_co_u32_e32 v13, vcc, 0x1000, v13
	v_addc_co_u32_e32 v14, vcc, 0, v14, vcc
	global_load_dword v13, v[13:14], off offset:1792
	v_mov_b32_e32 v16, 0
	v_mov_b32_e32 v14, 0
	;; [unrolled: 1-line block ×4, first 2 shown]
	s_waitcnt vmcnt(0)
	v_cmp_ne_u16_sdwa s[12:13], v13, v5 src0_sel:BYTE_0 src1_sel:DWORD
	s_and_saveexec_b64 s[6:7], s[12:13]
	s_cbranch_execz .LBB215_1210
; %bb.1205:                             ;   in Loop: Header=BB215_606 Depth=1
	v_bfrev_b32_e32 v14, 1
	v_mov_b32_e32 v15, 0
	v_cmp_ne_u16_sdwa s[14:15], v13, s24 src0_sel:BYTE_0 src1_sel:DWORD
	s_and_saveexec_b64 s[12:13], s[14:15]
	s_cbranch_execz .LBB215_1209
; %bb.1206:                             ;   in Loop: Header=BB215_606 Depth=1
	v_and_b32_e32 v11, 0x7f, v13
	v_mov_b32_e32 v14, 0x7f800001
	v_mov_b32_e32 v15, 0
	v_cmp_ne_u32_e32 vcc, s25, v11
	s_and_saveexec_b64 s[14:15], vcc
	s_cbranch_execz .LBB215_1208
; %bb.1207:                             ;   in Loop: Header=BB215_606 Depth=1
	v_and_b32_e32 v18, 7, v13
	v_lshrrev_b32_e32 v19, 3, v11
	v_cmp_gt_u32_e32 vcc, 8, v11
	v_ffbh_u32_e32 v11, v18
	v_min_u32_e32 v11, 32, v11
	v_subrev_u32_e32 v14, 28, v11
	v_lshlrev_b64 v[14:15], v14, v[13:14]
	v_sub_u32_e32 v11, 29, v11
	v_and_b32_e32 v14, 7, v14
	v_cndmask_b32_e32 v11, v19, v11, vcc
	v_cndmask_b32_e32 v14, v18, v14, vcc
	v_lshlrev_b32_e32 v14, 20, v14
	v_and_b32_sdwa v15, sext(v13), s26 dst_sel:DWORD dst_unused:UNUSED_PAD src0_sel:BYTE_0 src1_sel:DWORD
	v_lshl_add_u32 v11, v11, 23, v26
	v_or3_b32 v14, v15, v11, v14
	v_mov_b32_e32 v15, v5
.LBB215_1208:                           ;   in Loop: Header=BB215_606 Depth=1
	s_or_b64 exec, exec, s[14:15]
.LBB215_1209:                           ;   in Loop: Header=BB215_606 Depth=1
	s_or_b64 exec, exec, s[12:13]
.LBB215_1210:                           ;   in Loop: Header=BB215_606 Depth=1
	s_or_b64 exec, exec, s[6:7]
	v_cmp_ne_u16_sdwa s[12:13], v13, v5 src0_sel:BYTE_1 src1_sel:DWORD
	s_and_saveexec_b64 s[6:7], s[12:13]
	s_cbranch_execz .LBB215_1216
; %bb.1211:                             ;   in Loop: Header=BB215_606 Depth=1
	v_mov_b32_e32 v17, v6
	v_cmp_ne_u16_sdwa s[14:15], v13, s24 src0_sel:BYTE_1 src1_sel:DWORD
	v_mov_b32_e32 v16, v5
	s_and_saveexec_b64 s[12:13], s[14:15]
	s_cbranch_execz .LBB215_1215
; %bb.1212:                             ;   in Loop: Header=BB215_606 Depth=1
	v_and_b32_sdwa v18, v13, s25 dst_sel:DWORD dst_unused:UNUSED_PAD src0_sel:BYTE_1 src1_sel:DWORD
	v_mov_b32_e32 v11, v5
	v_mov_b32_e32 v17, v12
	v_cmp_ne_u32_e32 vcc, s25, v18
	v_mov_b32_e32 v16, v11
	s_and_saveexec_b64 s[14:15], vcc
	s_cbranch_execz .LBB215_1214
; %bb.1213:                             ;   in Loop: Header=BB215_606 Depth=1
	v_mov_b32_e32 v11, 7
	v_and_b32_sdwa v16, v13, v11 dst_sel:DWORD dst_unused:UNUSED_PAD src0_sel:BYTE_1 src1_sel:DWORD
	v_lshrrev_b32_e32 v11, 3, v18
	v_cmp_gt_u32_e32 vcc, 8, v18
	v_ffbh_u32_e32 v18, v16
	v_min_u32_e32 v19, 32, v18
	v_mov_b32_e32 v17, v5
	v_subrev_u32_e32 v18, 28, v19
	v_lshlrev_b64 v[17:18], v18, v[16:17]
	v_sub_u32_e32 v18, 29, v19
	v_and_b32_e32 v17, 7, v17
	v_cndmask_b32_e32 v11, v11, v18, vcc
	v_cndmask_b32_e32 v16, v16, v17, vcc
	v_lshlrev_b32_e32 v17, 16, v13
	v_lshl_add_u32 v11, v11, 23, v26
	v_and_or_b32 v11, v17, s26, v11
	v_lshlrev_b32_e32 v16, 20, v16
	v_or_b32_e32 v17, v11, v16
	v_mov_b32_e32 v16, v5
.LBB215_1214:                           ;   in Loop: Header=BB215_606 Depth=1
	s_or_b64 exec, exec, s[14:15]
.LBB215_1215:                           ;   in Loop: Header=BB215_606 Depth=1
	s_or_b64 exec, exec, s[12:13]
.LBB215_1216:                           ;   in Loop: Header=BB215_606 Depth=1
	s_or_b64 exec, exec, s[6:7]
	v_lshrrev_b32_e32 v11, 16, v13
	v_mov_b32_e32 v20, 0
	v_mov_b32_e32 v18, 0
	;; [unrolled: 1-line block ×4, first 2 shown]
	v_cmp_ne_u16_sdwa s[12:13], v11, v5 src0_sel:BYTE_0 src1_sel:DWORD
	s_and_saveexec_b64 s[6:7], s[12:13]
	s_cbranch_execz .LBB215_1222
; %bb.1217:                             ;   in Loop: Header=BB215_606 Depth=1
	v_bfrev_b32_e32 v18, 1
	v_mov_b32_e32 v19, 0
	v_cmp_ne_u16_sdwa s[14:15], v11, s24 src0_sel:BYTE_0 src1_sel:DWORD
	s_and_saveexec_b64 s[12:13], s[14:15]
	s_cbranch_execz .LBB215_1221
; %bb.1218:                             ;   in Loop: Header=BB215_606 Depth=1
	v_mov_b32_e32 v29, v57
	v_bfe_u32 v57, v13, 16, 7
	v_mov_b32_e32 v18, 0x7f800001
	v_mov_b32_e32 v19, 0
	v_cmp_ne_u32_e32 vcc, s25, v57
	s_and_saveexec_b64 s[14:15], vcc
	s_cbranch_execz .LBB215_1220
; %bb.1219:                             ;   in Loop: Header=BB215_606 Depth=1
	v_and_b32_e32 v26, 7, v11
	v_ffbh_u32_e32 v18, v26
	v_mov_b32_e32 v28, v54
	v_lshrrev_b32_e32 v54, 3, v57
	v_cmp_gt_u32_e32 vcc, 8, v57
	v_mov_b32_e32 v57, v55
	v_min_u32_e32 v55, 32, v18
	v_subrev_u32_e32 v18, 28, v55
	v_lshlrev_b64 v[18:19], v18, v[11:12]
	v_sub_u32_e32 v19, 29, v55
	v_cndmask_b32_e32 v19, v54, v19, vcc
	v_mov_b32_e32 v54, v28
	buffer_load_dword v28, off, s[48:51], 0 offset:608 ; 4-byte Folded Reload
	v_and_b32_e32 v18, 7, v18
	v_cndmask_b32_e32 v18, v26, v18, vcc
	v_bfrev_b32_e32 v26, 60
	v_lshlrev_b32_e32 v18, 20, v18
	v_and_b32_sdwa v11, sext(v11), s26 dst_sel:DWORD dst_unused:UNUSED_PAD src0_sel:BYTE_0 src1_sel:DWORD
	v_lshl_add_u32 v19, v19, 23, v26
	v_mov_b32_e32 v55, v57
	v_or3_b32 v18, v11, v19, v18
	v_mov_b32_e32 v19, v5
.LBB215_1220:                           ;   in Loop: Header=BB215_606 Depth=1
	s_or_b64 exec, exec, s[14:15]
	v_mov_b32_e32 v57, v29
.LBB215_1221:                           ;   in Loop: Header=BB215_606 Depth=1
	s_or_b64 exec, exec, s[12:13]
.LBB215_1222:                           ;   in Loop: Header=BB215_606 Depth=1
	s_or_b64 exec, exec, s[6:7]
	v_cmp_lt_u32_e32 vcc, s27, v13
	s_and_saveexec_b64 s[6:7], vcc
	s_cbranch_execz .LBB215_1228
; %bb.1223:                             ;   in Loop: Header=BB215_606 Depth=1
	v_mov_b32_e32 v21, v6
	v_cmp_ne_u32_sdwa s[14:15], v13, s24 src0_sel:BYTE_3 src1_sel:DWORD
	v_mov_b32_e32 v20, v5
	s_and_saveexec_b64 s[12:13], s[14:15]
	s_cbranch_execz .LBB215_1227
; %bb.1224:                             ;   in Loop: Header=BB215_606 Depth=1
	v_mov_b32_e32 v29, v57
	v_bfe_u32 v57, v13, 24, 7
	v_mov_b32_e32 v11, v5
	v_mov_b32_e32 v21, v12
	v_cmp_ne_u32_e32 vcc, s25, v57
	v_mov_b32_e32 v20, v11
	s_and_saveexec_b64 s[14:15], vcc
	s_cbranch_execz .LBB215_1226
; %bb.1225:                             ;   in Loop: Header=BB215_606 Depth=1
	v_mov_b32_e32 v11, 7
	v_and_b32_sdwa v20, v13, v11 dst_sel:DWORD dst_unused:UNUSED_PAD src0_sel:BYTE_3 src1_sel:DWORD
	v_ffbh_u32_e32 v26, v20
	v_min_u32_e32 v26, 32, v26
	v_mov_b32_e32 v21, v5
	s_waitcnt vmcnt(0)
	v_mov_b32_e32 v28, v54
	v_subrev_u32_e32 v54, 28, v26
	v_lshrrev_b32_e32 v11, 3, v57
	v_cmp_gt_u32_e32 vcc, 8, v57
	v_mov_b32_e32 v57, v55
	v_lshlrev_b64 v[54:55], v54, v[20:21]
	v_sub_u32_e32 v21, 29, v26
	v_and_b32_e32 v26, 7, v54
	v_mov_b32_e32 v54, v28
	buffer_load_dword v28, off, s[48:51], 0 offset:608 ; 4-byte Folded Reload
	v_cndmask_b32_e32 v11, v11, v21, vcc
	v_cndmask_b32_e32 v20, v20, v26, vcc
	v_bfrev_b32_e32 v26, 60
	v_mov_b32_e32 v21, 24
	v_lshlrev_b32_sdwa v13, v21, v13 dst_sel:DWORD dst_unused:UNUSED_PAD src0_sel:DWORD src1_sel:BYTE_3
	v_lshl_add_u32 v11, v11, 23, v26
	v_and_or_b32 v11, v13, s26, v11
	v_lshlrev_b32_e32 v13, 20, v20
	v_mov_b32_e32 v55, v57
	v_or_b32_e32 v21, v11, v13
	v_mov_b32_e32 v20, v5
.LBB215_1226:                           ;   in Loop: Header=BB215_606 Depth=1
	s_or_b64 exec, exec, s[14:15]
	v_mov_b32_e32 v57, v29
.LBB215_1227:                           ;   in Loop: Header=BB215_606 Depth=1
	s_or_b64 exec, exec, s[12:13]
.LBB215_1228:                           ;   in Loop: Header=BB215_606 Depth=1
	s_or_b64 exec, exec, s[6:7]
	v_or_b32_e32 v13, v16, v14
	v_or_b32_e32 v11, v17, v15
	v_mul_f32_e32 v15, s17, v13
	v_or_b32_e32 v13, v21, v19
	v_or_b32_e32 v14, v20, v18
	v_mul_f32_e32 v11, s18, v11
	v_mul_f32_e32 v14, s17, v14
	v_mul_f32_e32 v13, s18, v13
	s_and_saveexec_b64 s[6:7], s[0:1]
	s_cbranch_execz .LBB215_605
; %bb.1229:                             ;   in Loop: Header=BB215_606 Depth=1
	v_add_u32_e32 v16, -3, v56
	v_cmp_gt_i32_e32 vcc, s30, v16
	v_add_u32_e32 v16, -2, v56
	v_cndmask_b32_e32 v15, 0, v15, vcc
	v_cmp_gt_i32_e32 vcc, s30, v16
	v_add_u32_e32 v16, -1, v56
	v_cndmask_b32_e32 v11, 0, v11, vcc
	v_cmp_gt_i32_e32 vcc, s30, v16
	v_cndmask_b32_e32 v14, 0, v14, vcc
	v_cmp_gt_i32_e32 vcc, s30, v56
	v_cndmask_b32_e32 v13, 0, v13, vcc
	s_branch .LBB215_605
.LBB215_1230:
	s_or_b64 exec, exec, s[4:5]
	buffer_load_dword v30, off, s[48:51], 0 offset:620 ; 4-byte Folded Reload
	buffer_load_dword v25, off, s[48:51], 0 offset:624 ; 4-byte Folded Reload
	;; [unrolled: 1-line block ×24, first 2 shown]
.LBB215_1231:
	s_or_b64 exec, exec, s[2:3]
	s_waitcnt vmcnt(0)
	ds_bpermute_b32 v1, v25, v6
	ds_bpermute_b32 v0, v25, v4
	;; [unrolled: 1-line block ×5, first 2 shown]
	s_waitcnt lgkmcnt(4)
	v_add_f32_e32 v1, v6, v1
	s_waitcnt lgkmcnt(3)
	v_add_f32_e32 v0, v4, v0
	;; [unrolled: 2-line block ×3, first 2 shown]
	ds_bpermute_b32 v5, v28, v1
	ds_bpermute_b32 v4, v28, v0
	;; [unrolled: 1-line block ×3, first 2 shown]
	s_waitcnt lgkmcnt(4)
	v_add_f32_e32 v3, v29, v3
	s_waitcnt lgkmcnt(0)
	v_add_f32_e32 v1, v1, v5
	v_add_f32_e32 v0, v0, v4
	ds_bpermute_b32 v5, v31, v1
	ds_bpermute_b32 v4, v31, v0
	v_add_f32_e32 v2, v2, v6
	ds_bpermute_b32 v6, v31, v2
	s_waitcnt lgkmcnt(0)
	s_barrier
	v_add_f32_e32 v1, v1, v5
	v_add_f32_e32 v5, v8, v7
	;; [unrolled: 1-line block ×3, first 2 shown]
	ds_bpermute_b32 v4, v28, v3
	ds_bpermute_b32 v7, v28, v5
	v_add_f32_e32 v2, v2, v6
	s_waitcnt lgkmcnt(0)
	v_add_f32_e32 v3, v3, v4
	v_add_f32_e32 v5, v5, v7
	ds_bpermute_b32 v4, v25, v9
	ds_bpermute_b32 v6, v31, v3
	;; [unrolled: 1-line block ×4, first 2 shown]
	s_waitcnt lgkmcnt(3)
	v_add_f32_e32 v9, v9, v4
	s_waitcnt lgkmcnt(2)
	v_add_f32_e32 v3, v3, v6
	;; [unrolled: 2-line block ×4, first 2 shown]
	ds_bpermute_b32 v8, v25, v13
	ds_bpermute_b32 v10, v28, v9
	;; [unrolled: 1-line block ×3, first 2 shown]
	s_waitcnt lgkmcnt(2)
	v_add_f32_e32 v8, v13, v8
	s_waitcnt lgkmcnt(1)
	v_add_f32_e32 v5, v9, v10
	;; [unrolled: 2-line block ×3, first 2 shown]
	ds_bpermute_b32 v7, v25, v12
	ds_bpermute_b32 v11, v28, v8
	ds_bpermute_b32 v9, v31, v5
	ds_bpermute_b32 v10, v31, v6
	s_waitcnt lgkmcnt(3)
	v_add_f32_e32 v7, v12, v7
	s_waitcnt lgkmcnt(2)
	v_add_f32_e32 v8, v8, v11
	s_waitcnt lgkmcnt(1)
	v_add_f32_e32 v5, v5, v9
	ds_bpermute_b32 v9, v28, v7
	s_waitcnt lgkmcnt(1)
	v_add_f32_e32 v6, v6, v10
	ds_bpermute_b32 v10, v25, v14
	ds_bpermute_b32 v11, v31, v8
	;; [unrolled: 1-line block ×3, first 2 shown]
	s_waitcnt lgkmcnt(3)
	v_add_f32_e32 v9, v7, v9
	ds_bpermute_b32 v13, v31, v9
	s_waitcnt lgkmcnt(3)
	v_add_f32_e32 v10, v14, v10
	s_waitcnt lgkmcnt(2)
	v_add_f32_e32 v7, v8, v11
	;; [unrolled: 2-line block ×3, first 2 shown]
	ds_bpermute_b32 v14, v28, v10
	ds_bpermute_b32 v12, v28, v11
	s_waitcnt lgkmcnt(2)
	v_add_f32_e32 v8, v9, v13
	s_waitcnt lgkmcnt(1)
	v_add_f32_e32 v9, v10, v14
	ds_bpermute_b32 v10, v25, v15
	s_waitcnt lgkmcnt(1)
	v_add_f32_e32 v11, v11, v12
	ds_bpermute_b32 v12, v25, v16
	ds_bpermute_b32 v14, v31, v11
	;; [unrolled: 1-line block ×3, first 2 shown]
	s_waitcnt lgkmcnt(3)
	v_add_f32_e32 v15, v15, v10
	v_mov_b32_e32 v10, v16
	s_waitcnt lgkmcnt(2)
	v_add_f32_e32 v12, v10, v12
	s_waitcnt lgkmcnt(1)
	v_add_f32_e32 v10, v11, v14
	ds_bpermute_b32 v14, v25, v17
	ds_bpermute_b32 v16, v28, v15
	s_waitcnt lgkmcnt(2)
	v_add_f32_e32 v9, v9, v13
	ds_bpermute_b32 v13, v28, v12
	s_waitcnt lgkmcnt(2)
	v_add_f32_e32 v14, v17, v14
	s_waitcnt lgkmcnt(1)
	v_add_f32_e32 v11, v15, v16
	ds_bpermute_b32 v17, v28, v14
	s_waitcnt lgkmcnt(1)
	v_add_f32_e32 v12, v12, v13
	ds_bpermute_b32 v13, v25, v18
	ds_bpermute_b32 v15, v31, v11
	;; [unrolled: 1-line block ×3, first 2 shown]
	s_waitcnt lgkmcnt(3)
	v_add_f32_e32 v14, v14, v17
	ds_bpermute_b32 v17, v31, v14
	s_waitcnt lgkmcnt(3)
	v_add_f32_e32 v13, v18, v13
	s_waitcnt lgkmcnt(2)
	v_add_f32_e32 v11, v11, v15
	ds_bpermute_b32 v15, v28, v13
	s_waitcnt lgkmcnt(2)
	v_add_f32_e32 v12, v12, v16
	ds_bpermute_b32 v16, v25, v20
	ds_bpermute_b32 v18, v25, v22
	s_waitcnt lgkmcnt(2)
	v_add_f32_e32 v15, v13, v15
	v_add_f32_e32 v13, v14, v17
	s_waitcnt lgkmcnt(1)
	v_add_f32_e32 v16, v20, v16
	s_waitcnt lgkmcnt(0)
	v_add_f32_e32 v17, v22, v18
	ds_bpermute_b32 v19, v31, v15
	ds_bpermute_b32 v20, v28, v16
	;; [unrolled: 1-line block ×3, first 2 shown]
	s_waitcnt lgkmcnt(2)
	v_add_f32_e32 v14, v15, v19
	s_waitcnt lgkmcnt(1)
	v_add_f32_e32 v15, v16, v20
	ds_bpermute_b32 v16, v25, v21
	s_waitcnt lgkmcnt(1)
	v_add_f32_e32 v17, v17, v18
	ds_bpermute_b32 v18, v25, v26
	ds_bpermute_b32 v19, v31, v15
	ds_bpermute_b32 v20, v31, v17
	s_waitcnt lgkmcnt(3)
	v_add_f32_e32 v21, v21, v16
	ds_bpermute_b32 v22, v28, v21
	s_waitcnt lgkmcnt(3)
	v_add_f32_e32 v18, v26, v18
	s_waitcnt lgkmcnt(2)
	v_add_f32_e32 v15, v15, v19
	ds_bpermute_b32 v19, v28, v18
	s_waitcnt lgkmcnt(2)
	v_add_f32_e32 v16, v17, v20
	s_waitcnt lgkmcnt(1)
	v_add_f32_e32 v17, v21, v22
	ds_bpermute_b32 v21, v31, v17
	ds_bpermute_b32 v20, v25, v23
	s_waitcnt lgkmcnt(2)
	v_add_f32_e32 v18, v18, v19
	ds_bpermute_b32 v19, v25, v24
	ds_bpermute_b32 v22, v31, v18
	s_waitcnt lgkmcnt(3)
	v_add_f32_e32 v17, v17, v21
	s_waitcnt lgkmcnt(2)
	v_add_f32_e32 v20, v23, v20
	ds_bpermute_b32 v23, v28, v20
	s_waitcnt lgkmcnt(2)
	v_add_f32_e32 v19, v24, v19
	ds_bpermute_b32 v21, v28, v19
	s_waitcnt lgkmcnt(2)
	v_add_f32_e32 v18, v18, v22
	s_waitcnt lgkmcnt(1)
	v_add_f32_e32 v20, v20, v23
	ds_bpermute_b32 v22, v31, v20
	s_waitcnt lgkmcnt(1)
	v_add_f32_e32 v21, v19, v21
	ds_bpermute_b32 v19, v25, v54
	ds_bpermute_b32 v24, v31, v21
	;; [unrolled: 1-line block ×4, first 2 shown]
	s_waitcnt lgkmcnt(3)
	v_add_f32_e32 v19, v54, v19
	ds_bpermute_b32 v27, v28, v19
	s_waitcnt lgkmcnt(2)
	v_add_f32_e32 v23, v57, v23
	s_waitcnt lgkmcnt(1)
	v_add_f32_e32 v25, v55, v25
	ds_bpermute_b32 v26, v28, v23
	ds_bpermute_b32 v28, v28, v25
	s_waitcnt lgkmcnt(2)
	v_add_f32_e32 v27, v19, v27
	v_add_f32_e32 v19, v20, v22
	v_add_f32_e32 v20, v21, v24
	buffer_load_dword v24, off, s[48:51], 0 offset:1108 ; 4-byte Folded Reload
	s_waitcnt lgkmcnt(1)
	v_add_f32_e32 v23, v23, v26
	s_waitcnt lgkmcnt(0)
	v_add_f32_e32 v25, v25, v28
	ds_bpermute_b32 v26, v31, v23
	ds_bpermute_b32 v28, v31, v25
	;; [unrolled: 1-line block ×3, first 2 shown]
	s_waitcnt lgkmcnt(2)
	v_add_f32_e32 v21, v23, v26
	s_waitcnt lgkmcnt(1)
	v_add_f32_e32 v23, v25, v28
	;; [unrolled: 2-line block ×3, first 2 shown]
	s_waitcnt vmcnt(0)
	v_and_b32_e32 v25, 0x3c7, v24
	v_cmp_eq_u32_e32 vcc, 64, v25
	s_and_saveexec_b64 s[0:1], vcc
	s_cbranch_execz .LBB215_1233
; %bb.1232:
	v_lshrrev_b32_e32 v24, 1, v30
	v_add_u32_e32 v24, 0x310, v24
	ds_write2_b32 v24, v0, v1 offset1:8
	ds_write2_b32 v24, v2, v3 offset0:16 offset1:24
	ds_write2_b32 v24, v4, v5 offset0:32 offset1:40
	;; [unrolled: 1-line block ×11, first 2 shown]
.LBB215_1233:
	s_or_b64 exec, exec, s[0:1]
	buffer_load_dword v24, off, s[48:51], 0 offset:1108 ; 4-byte Folded Reload
	s_waitcnt vmcnt(0) lgkmcnt(0)
	s_barrier
	v_cmp_gt_u32_e32 vcc, 64, v24
	v_lshrrev_b32_e32 v24, 3, v24
	s_and_saveexec_b64 s[0:1], vcc
	s_cbranch_execz .LBB215_1260
; %bb.1234:
	buffer_load_dword v26, off, s[48:51], 0 offset:616 ; 4-byte Folded Reload
	s_waitcnt vmcnt(0)
	v_cmp_eq_u32_e32 vcc, 0, v26
	v_mov_b32_e32 v26, 0x310
	v_lshl_add_u32 v26, v24, 2, v26
	s_and_saveexec_b64 s[2:3], vcc
	s_cbranch_execnz .LBB215_1263
; %bb.1235:
	s_or_b64 exec, exec, s[2:3]
	s_and_saveexec_b64 s[2:3], vcc
	s_cbranch_execnz .LBB215_1264
.LBB215_1236:
	s_or_b64 exec, exec, s[2:3]
	s_and_saveexec_b64 s[2:3], vcc
	s_cbranch_execnz .LBB215_1265
.LBB215_1237:
	s_or_b64 exec, exec, s[2:3]
	s_and_saveexec_b64 s[2:3], vcc
	s_cbranch_execnz .LBB215_1266
.LBB215_1238:
	s_or_b64 exec, exec, s[2:3]
	s_and_saveexec_b64 s[2:3], vcc
	s_cbranch_execnz .LBB215_1267
.LBB215_1239:
	s_or_b64 exec, exec, s[2:3]
	s_and_saveexec_b64 s[2:3], vcc
	s_cbranch_execnz .LBB215_1268
.LBB215_1240:
	s_or_b64 exec, exec, s[2:3]
	s_and_saveexec_b64 s[2:3], vcc
	s_cbranch_execnz .LBB215_1269
.LBB215_1241:
	s_or_b64 exec, exec, s[2:3]
	s_and_saveexec_b64 s[2:3], vcc
	s_cbranch_execnz .LBB215_1270
.LBB215_1242:
	s_or_b64 exec, exec, s[2:3]
	s_and_saveexec_b64 s[2:3], vcc
	s_cbranch_execnz .LBB215_1271
.LBB215_1243:
	s_or_b64 exec, exec, s[2:3]
	s_and_saveexec_b64 s[2:3], vcc
	s_cbranch_execnz .LBB215_1272
.LBB215_1244:
	s_or_b64 exec, exec, s[2:3]
	s_and_saveexec_b64 s[2:3], vcc
	s_cbranch_execnz .LBB215_1273
.LBB215_1245:
	s_or_b64 exec, exec, s[2:3]
	s_and_saveexec_b64 s[2:3], vcc
	s_cbranch_execnz .LBB215_1274
.LBB215_1246:
	s_or_b64 exec, exec, s[2:3]
	s_and_saveexec_b64 s[2:3], vcc
	s_cbranch_execnz .LBB215_1275
.LBB215_1247:
	s_or_b64 exec, exec, s[2:3]
	s_and_saveexec_b64 s[2:3], vcc
	s_cbranch_execnz .LBB215_1276
.LBB215_1248:
	s_or_b64 exec, exec, s[2:3]
	s_and_saveexec_b64 s[2:3], vcc
	s_cbranch_execnz .LBB215_1277
.LBB215_1249:
	s_or_b64 exec, exec, s[2:3]
	s_and_saveexec_b64 s[2:3], vcc
	s_cbranch_execnz .LBB215_1278
.LBB215_1250:
	s_or_b64 exec, exec, s[2:3]
	s_and_saveexec_b64 s[2:3], vcc
	s_cbranch_execnz .LBB215_1279
.LBB215_1251:
	s_or_b64 exec, exec, s[2:3]
	s_and_saveexec_b64 s[2:3], vcc
	s_cbranch_execnz .LBB215_1280
.LBB215_1252:
	s_or_b64 exec, exec, s[2:3]
	s_and_saveexec_b64 s[2:3], vcc
	s_cbranch_execnz .LBB215_1281
.LBB215_1253:
	s_or_b64 exec, exec, s[2:3]
	s_and_saveexec_b64 s[2:3], vcc
	s_cbranch_execnz .LBB215_1282
.LBB215_1254:
	s_or_b64 exec, exec, s[2:3]
	s_and_saveexec_b64 s[2:3], vcc
	s_cbranch_execnz .LBB215_1283
.LBB215_1255:
	s_or_b64 exec, exec, s[2:3]
	s_and_saveexec_b64 s[2:3], vcc
	s_cbranch_execnz .LBB215_1284
.LBB215_1256:
	s_or_b64 exec, exec, s[2:3]
	s_and_saveexec_b64 s[2:3], vcc
	s_cbranch_execnz .LBB215_1285
.LBB215_1257:
	s_or_b64 exec, exec, s[2:3]
	s_and_saveexec_b64 s[2:3], vcc
	s_cbranch_execz .LBB215_1259
.LBB215_1258:
	ds_read_b32 v26, v26 offset:736
	s_waitcnt lgkmcnt(0)
	v_add_f32_e32 v23, v23, v26
.LBB215_1259:
	s_or_b64 exec, exec, s[2:3]
.LBB215_1260:
	s_or_b64 exec, exec, s[0:1]
	v_cmp_eq_u32_e32 vcc, 0, v25
	s_barrier
	s_and_saveexec_b64 s[0:1], vcc
	s_cbranch_execz .LBB215_1262
; %bb.1261:
	s_mul_i32 s0, s10, s11
	s_mul_i32 s0, s0, s9
	s_mulk_i32 s0, 0xc0
	s_ashr_i32 s1, s0, 31
	s_lshl_b64 s[0:1], s[0:1], 2
	s_add_u32 s2, s22, s0
	s_mul_i32 s0, s11, s20
	s_addc_u32 s3, s23, s1
	s_ashr_i32 s1, s0, 31
	s_lshl_b64 s[0:1], s[0:1], 2
	s_add_u32 s2, s2, s0
	s_mul_i32 s0, s8, 0xc0
	s_addc_u32 s3, s3, s1
	s_ashr_i32 s1, s0, 31
	s_lshl_b64 s[0:1], s[0:1], 2
	s_add_u32 s0, s2, s0
	s_addc_u32 s1, s3, s1
	v_lshlrev_b32_e32 v24, 2, v24
	global_store_dword v24, v0, s[0:1]
	global_store_dword v24, v1, s[0:1] offset:32
	global_store_dword v24, v2, s[0:1] offset:64
	;; [unrolled: 1-line block ×23, first 2 shown]
.LBB215_1262:
	s_endpgm
.LBB215_1263:
	ds_read_b32 v27, v26
	s_waitcnt lgkmcnt(0)
	v_add_f32_e32 v0, v0, v27
	s_or_b64 exec, exec, s[2:3]
	s_and_saveexec_b64 s[2:3], vcc
	s_cbranch_execz .LBB215_1236
.LBB215_1264:
	ds_read_b32 v27, v26 offset:32
	s_waitcnt lgkmcnt(0)
	v_add_f32_e32 v1, v1, v27
	s_or_b64 exec, exec, s[2:3]
	s_and_saveexec_b64 s[2:3], vcc
	s_cbranch_execz .LBB215_1237
.LBB215_1265:
	ds_read_b32 v27, v26 offset:64
	s_waitcnt lgkmcnt(0)
	v_add_f32_e32 v2, v2, v27
	s_or_b64 exec, exec, s[2:3]
	s_and_saveexec_b64 s[2:3], vcc
	s_cbranch_execz .LBB215_1238
.LBB215_1266:
	ds_read_b32 v27, v26 offset:96
	s_waitcnt lgkmcnt(0)
	v_add_f32_e32 v3, v3, v27
	s_or_b64 exec, exec, s[2:3]
	s_and_saveexec_b64 s[2:3], vcc
	s_cbranch_execz .LBB215_1239
.LBB215_1267:
	ds_read_b32 v27, v26 offset:128
	s_waitcnt lgkmcnt(0)
	v_add_f32_e32 v4, v4, v27
	s_or_b64 exec, exec, s[2:3]
	s_and_saveexec_b64 s[2:3], vcc
	s_cbranch_execz .LBB215_1240
.LBB215_1268:
	ds_read_b32 v27, v26 offset:160
	s_waitcnt lgkmcnt(0)
	v_add_f32_e32 v5, v5, v27
	s_or_b64 exec, exec, s[2:3]
	s_and_saveexec_b64 s[2:3], vcc
	s_cbranch_execz .LBB215_1241
.LBB215_1269:
	ds_read_b32 v27, v26 offset:192
	s_waitcnt lgkmcnt(0)
	v_add_f32_e32 v6, v6, v27
	s_or_b64 exec, exec, s[2:3]
	s_and_saveexec_b64 s[2:3], vcc
	s_cbranch_execz .LBB215_1242
.LBB215_1270:
	ds_read_b32 v27, v26 offset:224
	s_waitcnt lgkmcnt(0)
	v_add_f32_e32 v7, v7, v27
	s_or_b64 exec, exec, s[2:3]
	s_and_saveexec_b64 s[2:3], vcc
	s_cbranch_execz .LBB215_1243
.LBB215_1271:
	ds_read_b32 v27, v26 offset:256
	s_waitcnt lgkmcnt(0)
	v_add_f32_e32 v8, v8, v27
	s_or_b64 exec, exec, s[2:3]
	s_and_saveexec_b64 s[2:3], vcc
	s_cbranch_execz .LBB215_1244
.LBB215_1272:
	ds_read_b32 v27, v26 offset:288
	s_waitcnt lgkmcnt(0)
	v_add_f32_e32 v9, v9, v27
	s_or_b64 exec, exec, s[2:3]
	s_and_saveexec_b64 s[2:3], vcc
	s_cbranch_execz .LBB215_1245
.LBB215_1273:
	ds_read_b32 v27, v26 offset:320
	s_waitcnt lgkmcnt(0)
	v_add_f32_e32 v10, v10, v27
	s_or_b64 exec, exec, s[2:3]
	s_and_saveexec_b64 s[2:3], vcc
	s_cbranch_execz .LBB215_1246
.LBB215_1274:
	ds_read_b32 v27, v26 offset:352
	s_waitcnt lgkmcnt(0)
	v_add_f32_e32 v11, v11, v27
	s_or_b64 exec, exec, s[2:3]
	s_and_saveexec_b64 s[2:3], vcc
	s_cbranch_execz .LBB215_1247
.LBB215_1275:
	ds_read_b32 v27, v26 offset:384
	s_waitcnt lgkmcnt(0)
	v_add_f32_e32 v12, v12, v27
	s_or_b64 exec, exec, s[2:3]
	s_and_saveexec_b64 s[2:3], vcc
	s_cbranch_execz .LBB215_1248
.LBB215_1276:
	ds_read_b32 v27, v26 offset:416
	s_waitcnt lgkmcnt(0)
	v_add_f32_e32 v13, v13, v27
	s_or_b64 exec, exec, s[2:3]
	s_and_saveexec_b64 s[2:3], vcc
	s_cbranch_execz .LBB215_1249
.LBB215_1277:
	ds_read_b32 v27, v26 offset:448
	s_waitcnt lgkmcnt(0)
	v_add_f32_e32 v14, v14, v27
	s_or_b64 exec, exec, s[2:3]
	s_and_saveexec_b64 s[2:3], vcc
	s_cbranch_execz .LBB215_1250
.LBB215_1278:
	ds_read_b32 v27, v26 offset:480
	s_waitcnt lgkmcnt(0)
	v_add_f32_e32 v15, v15, v27
	s_or_b64 exec, exec, s[2:3]
	s_and_saveexec_b64 s[2:3], vcc
	s_cbranch_execz .LBB215_1251
.LBB215_1279:
	ds_read_b32 v27, v26 offset:512
	s_waitcnt lgkmcnt(0)
	v_add_f32_e32 v16, v16, v27
	s_or_b64 exec, exec, s[2:3]
	s_and_saveexec_b64 s[2:3], vcc
	s_cbranch_execz .LBB215_1252
.LBB215_1280:
	ds_read_b32 v27, v26 offset:544
	s_waitcnt lgkmcnt(0)
	v_add_f32_e32 v17, v17, v27
	s_or_b64 exec, exec, s[2:3]
	s_and_saveexec_b64 s[2:3], vcc
	s_cbranch_execz .LBB215_1253
.LBB215_1281:
	ds_read_b32 v27, v26 offset:576
	s_waitcnt lgkmcnt(0)
	v_add_f32_e32 v18, v18, v27
	s_or_b64 exec, exec, s[2:3]
	s_and_saveexec_b64 s[2:3], vcc
	s_cbranch_execz .LBB215_1254
.LBB215_1282:
	ds_read_b32 v27, v26 offset:608
	s_waitcnt lgkmcnt(0)
	v_add_f32_e32 v19, v19, v27
	s_or_b64 exec, exec, s[2:3]
	s_and_saveexec_b64 s[2:3], vcc
	s_cbranch_execz .LBB215_1255
.LBB215_1283:
	ds_read_b32 v27, v26 offset:640
	s_waitcnt lgkmcnt(0)
	v_add_f32_e32 v20, v20, v27
	s_or_b64 exec, exec, s[2:3]
	s_and_saveexec_b64 s[2:3], vcc
	s_cbranch_execz .LBB215_1256
.LBB215_1284:
	ds_read_b32 v27, v26 offset:672
	s_waitcnt lgkmcnt(0)
	v_add_f32_e32 v21, v21, v27
	s_or_b64 exec, exec, s[2:3]
	s_and_saveexec_b64 s[2:3], vcc
	s_cbranch_execz .LBB215_1257
.LBB215_1285:
	ds_read_b32 v27, v26 offset:704
	s_waitcnt lgkmcnt(0)
	v_add_f32_e32 v22, v22, v27
	s_or_b64 exec, exec, s[2:3]
	s_and_saveexec_b64 s[2:3], vcc
	s_cbranch_execnz .LBB215_1258
	s_branch .LBB215_1259
	.section	.rodata,"a",@progbits
	.p2align	6, 0x0
	.amdhsa_kernel _ZN4vllm25paged_attention_v1_kernelIfhLi192ELi32ELi128ELNS_18Fp8KVCacheDataTypeE1ELb0EEEvPT_PKS2_PKT0_S8_ifPKiSA_iPKfiiiSC_SC_iiiii
		.amdhsa_group_segment_fixed_size 784
		.amdhsa_private_segment_fixed_size 1136
		.amdhsa_kernarg_size 384
		.amdhsa_user_sgpr_count 6
		.amdhsa_user_sgpr_private_segment_buffer 1
		.amdhsa_user_sgpr_dispatch_ptr 0
		.amdhsa_user_sgpr_queue_ptr 0
		.amdhsa_user_sgpr_kernarg_segment_ptr 1
		.amdhsa_user_sgpr_dispatch_id 0
		.amdhsa_user_sgpr_flat_scratch_init 0
		.amdhsa_user_sgpr_private_segment_size 0
		.amdhsa_uses_dynamic_stack 0
		.amdhsa_system_sgpr_private_segment_wavefront_offset 1
		.amdhsa_system_sgpr_workgroup_id_x 1
		.amdhsa_system_sgpr_workgroup_id_y 1
		.amdhsa_system_sgpr_workgroup_id_z 1
		.amdhsa_system_sgpr_workgroup_info 0
		.amdhsa_system_vgpr_workitem_id 0
		.amdhsa_next_free_vgpr 64
		.amdhsa_next_free_sgpr 52
		.amdhsa_reserve_vcc 1
		.amdhsa_reserve_flat_scratch 0
		.amdhsa_float_round_mode_32 0
		.amdhsa_float_round_mode_16_64 0
		.amdhsa_float_denorm_mode_32 3
		.amdhsa_float_denorm_mode_16_64 3
		.amdhsa_dx10_clamp 1
		.amdhsa_ieee_mode 1
		.amdhsa_fp16_overflow 0
		.amdhsa_exception_fp_ieee_invalid_op 0
		.amdhsa_exception_fp_denorm_src 0
		.amdhsa_exception_fp_ieee_div_zero 0
		.amdhsa_exception_fp_ieee_overflow 0
		.amdhsa_exception_fp_ieee_underflow 0
		.amdhsa_exception_fp_ieee_inexact 0
		.amdhsa_exception_int_div_zero 0
	.end_amdhsa_kernel
	.section	.text._ZN4vllm25paged_attention_v1_kernelIfhLi192ELi32ELi128ELNS_18Fp8KVCacheDataTypeE1ELb0EEEvPT_PKS2_PKT0_S8_ifPKiSA_iPKfiiiSC_SC_iiiii,"axG",@progbits,_ZN4vllm25paged_attention_v1_kernelIfhLi192ELi32ELi128ELNS_18Fp8KVCacheDataTypeE1ELb0EEEvPT_PKS2_PKT0_S8_ifPKiSA_iPKfiiiSC_SC_iiiii,comdat
.Lfunc_end215:
	.size	_ZN4vllm25paged_attention_v1_kernelIfhLi192ELi32ELi128ELNS_18Fp8KVCacheDataTypeE1ELb0EEEvPT_PKS2_PKT0_S8_ifPKiSA_iPKfiiiSC_SC_iiiii, .Lfunc_end215-_ZN4vllm25paged_attention_v1_kernelIfhLi192ELi32ELi128ELNS_18Fp8KVCacheDataTypeE1ELb0EEEvPT_PKS2_PKT0_S8_ifPKiSA_iPKfiiiSC_SC_iiiii
                                        ; -- End function
	.set _ZN4vllm25paged_attention_v1_kernelIfhLi192ELi32ELi128ELNS_18Fp8KVCacheDataTypeE1ELb0EEEvPT_PKS2_PKT0_S8_ifPKiSA_iPKfiiiSC_SC_iiiii.num_vgpr, 64
	.set _ZN4vllm25paged_attention_v1_kernelIfhLi192ELi32ELi128ELNS_18Fp8KVCacheDataTypeE1ELb0EEEvPT_PKS2_PKT0_S8_ifPKiSA_iPKfiiiSC_SC_iiiii.num_agpr, 0
	.set _ZN4vllm25paged_attention_v1_kernelIfhLi192ELi32ELi128ELNS_18Fp8KVCacheDataTypeE1ELb0EEEvPT_PKS2_PKT0_S8_ifPKiSA_iPKfiiiSC_SC_iiiii.numbered_sgpr, 52
	.set _ZN4vllm25paged_attention_v1_kernelIfhLi192ELi32ELi128ELNS_18Fp8KVCacheDataTypeE1ELb0EEEvPT_PKS2_PKT0_S8_ifPKiSA_iPKfiiiSC_SC_iiiii.num_named_barrier, 0
	.set _ZN4vllm25paged_attention_v1_kernelIfhLi192ELi32ELi128ELNS_18Fp8KVCacheDataTypeE1ELb0EEEvPT_PKS2_PKT0_S8_ifPKiSA_iPKfiiiSC_SC_iiiii.private_seg_size, 1136
	.set _ZN4vllm25paged_attention_v1_kernelIfhLi192ELi32ELi128ELNS_18Fp8KVCacheDataTypeE1ELb0EEEvPT_PKS2_PKT0_S8_ifPKiSA_iPKfiiiSC_SC_iiiii.uses_vcc, 1
	.set _ZN4vllm25paged_attention_v1_kernelIfhLi192ELi32ELi128ELNS_18Fp8KVCacheDataTypeE1ELb0EEEvPT_PKS2_PKT0_S8_ifPKiSA_iPKfiiiSC_SC_iiiii.uses_flat_scratch, 0
	.set _ZN4vllm25paged_attention_v1_kernelIfhLi192ELi32ELi128ELNS_18Fp8KVCacheDataTypeE1ELb0EEEvPT_PKS2_PKT0_S8_ifPKiSA_iPKfiiiSC_SC_iiiii.has_dyn_sized_stack, 0
	.set _ZN4vllm25paged_attention_v1_kernelIfhLi192ELi32ELi128ELNS_18Fp8KVCacheDataTypeE1ELb0EEEvPT_PKS2_PKT0_S8_ifPKiSA_iPKfiiiSC_SC_iiiii.has_recursion, 0
	.set _ZN4vllm25paged_attention_v1_kernelIfhLi192ELi32ELi128ELNS_18Fp8KVCacheDataTypeE1ELb0EEEvPT_PKS2_PKT0_S8_ifPKiSA_iPKfiiiSC_SC_iiiii.has_indirect_call, 0
	.section	.AMDGPU.csdata,"",@progbits
; Kernel info:
; codeLenInByte = 60804
; TotalNumSgprs: 56
; NumVgprs: 64
; ScratchSize: 1136
; MemoryBound: 0
; FloatMode: 240
; IeeeMode: 1
; LDSByteSize: 784 bytes/workgroup (compile time only)
; SGPRBlocks: 6
; VGPRBlocks: 15
; NumSGPRsForWavesPerEU: 56
; NumVGPRsForWavesPerEU: 64
; Occupancy: 4
; WaveLimiterHint : 1
; COMPUTE_PGM_RSRC2:SCRATCH_EN: 1
; COMPUTE_PGM_RSRC2:USER_SGPR: 6
; COMPUTE_PGM_RSRC2:TRAP_HANDLER: 0
; COMPUTE_PGM_RSRC2:TGID_X_EN: 1
; COMPUTE_PGM_RSRC2:TGID_Y_EN: 1
; COMPUTE_PGM_RSRC2:TGID_Z_EN: 1
; COMPUTE_PGM_RSRC2:TIDIG_COMP_CNT: 0
	.text
	.p2align	2                               ; -- Begin function _ZN4vllm22paged_attention_kernelIfhLi256ELi32ELi128ELNS_18Fp8KVCacheDataTypeE1ELb0ELi0EEEvPfS2_PT_PKS3_PKT0_S9_ifPKiSB_iPKfiiiSD_SD_iiiii
	.type	_ZN4vllm22paged_attention_kernelIfhLi256ELi32ELi128ELNS_18Fp8KVCacheDataTypeE1ELb0ELi0EEEvPfS2_PT_PKS3_PKT0_S9_ifPKiSB_iPKfiiiSD_SD_iiiii,@function
_ZN4vllm22paged_attention_kernelIfhLi256ELi32ELi128ELNS_18Fp8KVCacheDataTypeE1ELb0ELi0EEEvPfS2_PT_PKS3_PKT0_S9_ifPKiSB_iPKfiiiSD_SD_iiiii: ; @_ZN4vllm22paged_attention_kernelIfhLi256ELi32ELi128ELNS_18Fp8KVCacheDataTypeE1ELb0ELi0EEEvPfS2_PT_PKS3_PKT0_S9_ifPKiSB_iPKfiiiSD_SD_iiiii
; %bb.0:
	s_waitcnt vmcnt(0) expcnt(0) lgkmcnt(0)
	buffer_store_dword v40, off, s[0:3], s32 offset:60 ; 4-byte Folded Spill
	buffer_store_dword v41, off, s[0:3], s32 offset:56 ; 4-byte Folded Spill
	;; [unrolled: 1-line block ×15, first 2 shown]
	buffer_store_dword v63, off, s[0:3], s32 ; 4-byte Folded Spill
	s_mov_b32 s16, s13
	s_ashr_i32 s17, s13, 31
	s_lshl_b64 s[4:5], s[16:17], 2
	buffer_store_dword v18, off, s[0:3], s32 offset:956 ; 4-byte Folded Spill
	buffer_store_dword v11, off, s[0:3], s32 offset:1660 ; 4-byte Folded Spill
	;; [unrolled: 1-line block ×8, first 2 shown]
	v_mov_b32_e32 v1, s5
	v_add_co_u32_e32 v0, vcc, s4, v12
	buffer_store_dword v20, off, s[0:3], s32 offset:1108 ; 4-byte Folded Spill
	s_nop 0
	buffer_store_dword v21, off, s[0:3], s32 offset:1112 ; 4-byte Folded Spill
	v_addc_co_u32_e32 v1, vcc, v13, v1, vcc
	flat_load_dword v0, v[0:1]
	v_sub_u32_e32 v6, 0, v8
	v_max_i32_e32 v6, v8, v6
	v_cvt_f32_u32_e32 v7, v6
	s_load_dword s4, s[8:9], 0x10
	s_load_dword s6, s[8:9], 0x0
	v_sub_u32_e32 v1, 0, v6
	s_mov_b32 s18, s15
	s_waitcnt lgkmcnt(0)
	s_lshr_b32 s4, s4, 16
	s_cmp_lg_u32 s4, 0
	s_cselect_b64 s[4:5], -1, 0
	s_cmp_lg_u64 s[4:5], 0
	s_addc_u32 s15, s6, 0
	s_abs_i32 s4, s15
	s_abs_i32 s6, s12
	s_waitcnt vmcnt(0)
	buffer_store_dword v0, off, s[0:3], s32 offset:72 ; 4-byte Folded Spill
	v_rcp_iflag_f32_e32 v0, v7
	v_mul_f32_e32 v0, 0x4f7ffffe, v0
	v_cvt_u32_f32_e32 v0, v0
	v_mul_lo_u32 v1, v1, v0
	v_mul_hi_u32 v1, v0, v1
	v_add_u32_e32 v0, v0, v1
	v_mul_hi_u32 v0, s4, v0
	v_mul_lo_u32 v1, v0, v6
	v_add_u32_e32 v7, 1, v0
	v_sub_u32_e32 v1, s4, v1
	v_cmp_ge_u32_e32 vcc, v1, v6
	v_cndmask_b32_e32 v0, v0, v7, vcc
	v_sub_u32_e32 v7, v1, v6
	v_cndmask_b32_e32 v1, v1, v7, vcc
	v_add_u32_e32 v7, 1, v0
	v_cmp_ge_u32_e32 vcc, v1, v6
	v_xor_b32_e32 v1, s15, v8
	v_cndmask_b32_e32 v0, v0, v7, vcc
	v_ashrrev_i32_e32 v1, 31, v1
	v_xor_b32_e32 v0, v0, v1
	v_sub_u32_e32 v6, v0, v1
	v_sub_u32_e32 v0, 0, v6
	v_max_i32_e32 v7, v6, v0
	v_cvt_f32_u32_e32 v0, v7
	v_sub_u32_e32 v1, 0, v7
	v_cmp_ne_u64_e32 vcc, 0, v[15:16]
	v_rcp_iflag_f32_e32 v0, v0
	v_mul_f32_e32 v0, 0x4f7ffffe, v0
	v_cvt_u32_f32_e32 v0, v0
	v_mul_lo_u32 v1, v1, v0
	v_mul_hi_u32 v1, v0, v1
	v_add_u32_e32 v0, v0, v1
	v_mad_u64_u32 v[0:1], s[4:5], s6, v0, 0
	v_mov_b32_e32 v0, 0
	buffer_store_dword v0, off, s[0:3], s32 offset:1640 ; 4-byte Folded Spill
	s_and_saveexec_b64 s[4:5], vcc
	s_cbranch_execz .LBB216_2
; %bb.1:
	s_ashr_i32 s13, s12, 31
	s_lshl_b64 s[10:11], s[12:13], 2
	v_mov_b32_e32 v0, s11
	v_add_co_u32_e32 v8, vcc, s10, v15
	v_addc_co_u32_e32 v9, vcc, v16, v0, vcc
	flat_load_dword v0, v[8:9]
	s_waitcnt vmcnt(0) lgkmcnt(0)
	buffer_store_dword v0, off, s[0:3], s32 offset:1640 ; 4-byte Folded Spill
.LBB216_2:
	s_or_b64 exec, exec, s[4:5]
	v_and_b32_e32 v10, 0x3ff, v31
	s_movk_i32 s4, 0x80
	s_ashr_i32 s7, s12, 31
	v_ashrrev_i32_e32 v0, 31, v6
	v_and_b32_e32 v6, 1, v31
	s_lshl_b32 s12, s12, 8
	v_cmp_gt_u32_e32 vcc, s4, v10
	v_lshlrev_b32_e32 v8, 2, v10
	buffer_store_dword v8, off, s[0:3], s32 offset:1708 ; 4-byte Folded Spill
	s_and_saveexec_b64 s[4:5], vcc
	s_cbranch_execz .LBB216_4
; %bb.3:
	v_mul_lo_u32 v8, v17, s16
	s_ashr_i32 s13, s12, 31
	s_lshl_b64 s[10:11], s[12:13], 2
	v_ashrrev_i32_e32 v9, 31, v8
	v_lshlrev_b64 v[8:9], 2, v[8:9]
	v_add_co_u32_e32 v2, vcc, v2, v8
	v_addc_co_u32_e32 v3, vcc, v3, v9, vcc
	v_mov_b32_e32 v8, s11
	v_add_co_u32_e32 v2, vcc, s10, v2
	v_addc_co_u32_e32 v3, vcc, v3, v8, vcc
	v_lshlrev_b32_e32 v8, 3, v10
	v_add_co_u32_e32 v2, vcc, v2, v8
	v_addc_co_u32_e32 v3, vcc, 0, v3, vcc
	flat_load_dwordx2 v[2:3], v[2:3]
	v_lshlrev_b32_e32 v8, 2, v10
	v_and_b32_e32 v8, 0xff8, v8
	v_lshl_add_u32 v8, v6, 9, v8
	s_waitcnt vmcnt(0) lgkmcnt(0)
	ds_write_b64 v8, v[2:3]
.LBB216_4:
	s_or_b64 exec, exec, s[4:5]
	buffer_load_dword v2, off, s[0:3], s32 offset:72 ; 4-byte Folded Reload
	v_xor_b32_e32 v0, s7, v0
	v_lshrrev_b32_e32 v9, 6, v10
	buffer_store_dword v10, off, s[0:3], s32 offset:1648 ; 4-byte Folded Spill
	s_waitcnt vmcnt(0) lgkmcnt(0)
	s_barrier
	v_add_u32_e32 v2, 31, v2
	v_ashrrev_i32_e32 v3, 31, v2
	v_lshrrev_b32_e32 v3, 27, v3
	v_add_u32_e32 v2, v2, v3
	v_mul_lo_u32 v3, v1, v7
	v_ashrrev_i32_e32 v8, 5, v2
	v_cmp_ge_i32_e64 s[4:5], v9, v8
	buffer_store_dword v8, off, s[0:3], s32 offset:96 ; 4-byte Folded Spill
	buffer_store_dword v9, off, s[0:3], s32 offset:92 ; 4-byte Folded Spill
	v_sub_u32_e32 v2, s6, v3
	v_add_u32_e32 v3, 1, v1
	v_cmp_ge_u32_e32 vcc, v2, v7
	v_cndmask_b32_e32 v1, v1, v3, vcc
	v_sub_u32_e32 v3, v2, v7
	v_cndmask_b32_e32 v2, v2, v3, vcc
	v_add_u32_e32 v3, 1, v1
	v_cmp_ge_u32_e32 vcc, v2, v7
	v_cndmask_b32_e32 v1, v1, v3, vcc
	v_xor_b32_e32 v1, v1, v0
	v_sub_u32_e32 v3, v1, v0
	v_mul_lo_u32 v0, v14, s16
                                        ; implicit-def: $vgpr7
	v_mbcnt_lo_u32_b32 v2, -1, 0
                                        ; kill: killed $vgpr7
                                        ; implicit-def: $vgpr7
                                        ; kill: killed $vgpr7
                                        ; implicit-def: $vgpr7
                                        ; kill: killed $vgpr7
	v_ashrrev_i32_e32 v1, 31, v0
	s_and_saveexec_b64 s[6:7], s[4:5]
	s_xor_b64 s[6:7], exec, s[6:7]
	s_cbranch_execz .LBB216_6
; %bb.5:
	v_mbcnt_hi_u32_b32 v2, -1, v2
	buffer_store_dword v2, off, s[0:3], s32 offset:1652 ; 4-byte Folded Spill
	v_and_b32_e32 v2, 64, v2
	buffer_store_dword v2, off, s[0:3], s32 offset:1688 ; 4-byte Folded Spill
	v_add_u32_e32 v2, 64, v2
	buffer_store_dword v2, off, s[0:3], s32 offset:1656 ; 4-byte Folded Spill
                                        ; implicit-def: $vgpr2
                                        ; kill: killed $vgpr2
                                        ; implicit-def: $vgpr2
                                        ; kill: killed $vgpr2
                                        ; implicit-def: $vgpr2
	buffer_store_dword v2, off, s[0:3], s32 offset:1108 ; 4-byte Folded Spill
	s_nop 0
	buffer_store_dword v3, off, s[0:3], s32 offset:1112 ; 4-byte Folded Spill
                                        ; implicit-def: $vgpr4
                                        ; implicit-def: $vgpr5
                                        ; implicit-def: $vgpr6
                                        ; implicit-def: $vgpr2
.LBB216_6:
	s_or_saveexec_b64 s[10:11], s[6:7]
	v_mul_lo_u32 v3, v3, v19
	v_mov_b32_e32 v7, 0xff7fffff
	v_lshlrev_b64 v[0:1], 2, v[0:1]
	s_load_dword s17, s[8:9], 0x14
	s_load_dword s13, s[8:9], 0x8
	buffer_store_dword v7, off, s[0:3], s32 offset:1104 ; 4-byte Folded Spill
	buffer_store_dword v3, off, s[0:3], s32 offset:1680 ; 4-byte Folded Spill
	v_ashrrev_i32_e32 v3, 31, v3
	buffer_store_dword v3, off, s[0:3], s32 offset:1684 ; 4-byte Folded Spill
	buffer_store_dword v0, off, s[0:3], s32 offset:1668 ; 4-byte Folded Spill
	s_nop 0
	buffer_store_dword v1, off, s[0:3], s32 offset:1672 ; 4-byte Folded Spill
	buffer_load_dword v0, off, s[0:3], s32 offset:1648 ; 4-byte Folded Reload
	s_waitcnt vmcnt(0)
	v_lshrrev_b32_e32 v1, 4, v0
	buffer_store_dword v1, off, s[0:3], s32 offset:1676 ; 4-byte Folded Spill
	s_xor_b64 exec, exec, s[10:11]
	s_cbranch_execz .LBB216_780
; %bb.7:
	buffer_store_dword v22, off, s[0:3], s32 offset:1712 ; 4-byte Folded Spill
	s_nop 0
	buffer_store_dword v23, off, s[0:3], s32 offset:1716 ; 4-byte Folded Spill
	buffer_load_dword v1, off, s[0:3], s32 offset:1680 ; 4-byte Folded Reload
	buffer_load_dword v3, off, s[0:3], s32 offset:1684 ; 4-byte Folded Reload
	v_bfe_u32 v0, v0, 1, 5
	s_ashr_i32 s19, s18, 31
	s_lshl_b64 s[20:21], s[18:19], 2
	s_getpc_b64 s[22:23]
	s_add_u32 s22, s22, llvm.amdgcn.dynlds.offset.table@rel32@lo+4
	s_addc_u32 s23, s23, llvm.amdgcn.dynlds.offset.table@rel32@hi+12
	s_add_u32 s20, s22, s20
	v_mov_b32_e32 v22, 0
	v_cmp_eq_u32_e64 s[6:7], 0, v6
	s_addc_u32 s21, s23, s21
	s_mov_b64 s[22:23], 0
	s_movk_i32 s19, 0x80
	s_movk_i32 s40, 0x7f
	s_brev_b32 s41, 1
	v_bfrev_b32_e32 v23, 1
	s_waitcnt vmcnt(1)
	v_add_co_u32_e32 v1, vcc, v4, v1
	s_waitcnt vmcnt(0)
	v_addc_co_u32_e32 v3, vcc, v5, v3, vcc
	v_lshlrev_b32_e32 v4, 4, v0
	v_add_co_u32_e32 v4, vcc, v1, v4
	v_addc_co_u32_e32 v5, vcc, 0, v3, vcc
	buffer_store_dword v4, off, s[0:3], s32 offset:1116 ; 4-byte Folded Spill
	s_nop 0
	buffer_store_dword v5, off, s[0:3], s32 offset:1120 ; 4-byte Folded Spill
	v_lshlrev_b32_e32 v1, 9, v6
	ds_read_b128 v[7:10], v1
	s_waitcnt lgkmcnt(0)
	buffer_store_dword v7, off, s[0:3], s32 offset:1124 ; 4-byte Folded Spill
	s_nop 0
	buffer_store_dword v8, off, s[0:3], s32 offset:1128 ; 4-byte Folded Spill
	buffer_store_dword v9, off, s[0:3], s32 offset:1132 ; 4-byte Folded Spill
	buffer_store_dword v10, off, s[0:3], s32 offset:1136 ; 4-byte Folded Spill
	ds_read_b128 v[7:10], v1 offset:16
	s_waitcnt lgkmcnt(0)
	buffer_store_dword v7, off, s[0:3], s32 offset:1140 ; 4-byte Folded Spill
	s_nop 0
	buffer_store_dword v8, off, s[0:3], s32 offset:1144 ; 4-byte Folded Spill
	buffer_store_dword v9, off, s[0:3], s32 offset:1148 ; 4-byte Folded Spill
	buffer_store_dword v10, off, s[0:3], s32 offset:1152 ; 4-byte Folded Spill
	ds_read_b128 v[7:10], v1 offset:32
	;; [unrolled: 7-line block ×12, first 2 shown]
	v_mbcnt_hi_u32_b32 v3, -1, v2
	v_and_b32_e32 v4, 64, v3
	s_waitcnt lgkmcnt(0)
	buffer_store_dword v7, off, s[0:3], s32 offset:1316 ; 4-byte Folded Spill
	s_nop 0
	buffer_store_dword v8, off, s[0:3], s32 offset:1320 ; 4-byte Folded Spill
	buffer_store_dword v9, off, s[0:3], s32 offset:1324 ; 4-byte Folded Spill
	;; [unrolled: 1-line block ×3, first 2 shown]
	v_xor_b32_e32 v2, 1, v3
	buffer_store_dword v4, off, s[0:3], s32 offset:1688 ; 4-byte Folded Spill
	v_add_u32_e32 v4, 64, v4
	v_cmp_lt_i32_e32 vcc, v2, v4
	v_cndmask_b32_e32 v2, v3, v2, vcc
	v_lshlrev_b32_e32 v2, 2, v2
	buffer_store_dword v2, off, s[0:3], s32 offset:1332 ; 4-byte Folded Spill
	buffer_load_dword v2, off, s[0:3], s32 offset:1640 ; 4-byte Folded Reload
	v_lshlrev_b32_e32 v5, 1, v6
	buffer_store_dword v4, off, s[0:3], s32 offset:1656 ; 4-byte Folded Spill
	buffer_store_dword v3, off, s[0:3], s32 offset:1652 ; 4-byte Folded Spill
	s_waitcnt vmcnt(2)
	v_cmp_neq_f32_e64 s[8:9], 0, v2
	v_or_b32_e32 v2, 4, v5
	buffer_store_dword v2, off, s[0:3], s32 offset:80 ; 4-byte Folded Spill
	v_or_b32_e32 v2, 8, v5
	buffer_store_dword v2, off, s[0:3], s32 offset:84 ; 4-byte Folded Spill
	buffer_store_dword v5, off, s[0:3], s32 offset:76 ; 4-byte Folded Spill
	v_or_b32_e32 v2, 12, v5
	buffer_store_dword v2, off, s[0:3], s32 offset:88 ; 4-byte Folded Spill
	ds_read_b128 v[2:5], v1 offset:208
	s_waitcnt lgkmcnt(0)
	buffer_store_dword v2, off, s[0:3], s32 offset:1336 ; 4-byte Folded Spill
	s_nop 0
	buffer_store_dword v3, off, s[0:3], s32 offset:1340 ; 4-byte Folded Spill
	buffer_store_dword v4, off, s[0:3], s32 offset:1344 ; 4-byte Folded Spill
	buffer_store_dword v5, off, s[0:3], s32 offset:1348 ; 4-byte Folded Spill
	ds_read_b128 v[2:5], v1 offset:224
	s_waitcnt lgkmcnt(0)
	buffer_store_dword v2, off, s[0:3], s32 offset:1352 ; 4-byte Folded Spill
	s_nop 0
	buffer_store_dword v3, off, s[0:3], s32 offset:1356 ; 4-byte Folded Spill
	buffer_store_dword v4, off, s[0:3], s32 offset:1360 ; 4-byte Folded Spill
	buffer_store_dword v5, off, s[0:3], s32 offset:1364 ; 4-byte Folded Spill
	ds_read_b128 v[2:5], v1 offset:240
	s_waitcnt lgkmcnt(0)
	buffer_store_dword v2, off, s[0:3], s32 offset:1368 ; 4-byte Folded Spill
	s_nop 0
	buffer_store_dword v3, off, s[0:3], s32 offset:1372 ; 4-byte Folded Spill
	buffer_store_dword v4, off, s[0:3], s32 offset:1376 ; 4-byte Folded Spill
	buffer_store_dword v5, off, s[0:3], s32 offset:1380 ; 4-byte Folded Spill
	ds_read_b128 v[2:5], v1 offset:256
	s_waitcnt lgkmcnt(0)
	buffer_store_dword v2, off, s[0:3], s32 offset:1384 ; 4-byte Folded Spill
	s_nop 0
	buffer_store_dword v3, off, s[0:3], s32 offset:1388 ; 4-byte Folded Spill
	buffer_store_dword v4, off, s[0:3], s32 offset:1392 ; 4-byte Folded Spill
	buffer_store_dword v5, off, s[0:3], s32 offset:1396 ; 4-byte Folded Spill
	ds_read_b128 v[2:5], v1 offset:272
	s_waitcnt lgkmcnt(0)
	buffer_store_dword v2, off, s[0:3], s32 offset:1400 ; 4-byte Folded Spill
	s_nop 0
	buffer_store_dword v3, off, s[0:3], s32 offset:1404 ; 4-byte Folded Spill
	buffer_store_dword v4, off, s[0:3], s32 offset:1408 ; 4-byte Folded Spill
	buffer_store_dword v5, off, s[0:3], s32 offset:1412 ; 4-byte Folded Spill
	ds_read_b128 v[2:5], v1 offset:288
	s_waitcnt lgkmcnt(0)
	buffer_store_dword v2, off, s[0:3], s32 offset:1416 ; 4-byte Folded Spill
	s_nop 0
	buffer_store_dword v3, off, s[0:3], s32 offset:1420 ; 4-byte Folded Spill
	buffer_store_dword v4, off, s[0:3], s32 offset:1424 ; 4-byte Folded Spill
	buffer_store_dword v5, off, s[0:3], s32 offset:1428 ; 4-byte Folded Spill
	ds_read_b128 v[2:5], v1 offset:304
	s_waitcnt lgkmcnt(0)
	buffer_store_dword v2, off, s[0:3], s32 offset:1432 ; 4-byte Folded Spill
	s_nop 0
	buffer_store_dword v3, off, s[0:3], s32 offset:1436 ; 4-byte Folded Spill
	buffer_store_dword v4, off, s[0:3], s32 offset:1440 ; 4-byte Folded Spill
	buffer_store_dword v5, off, s[0:3], s32 offset:1444 ; 4-byte Folded Spill
	ds_read_b128 v[2:5], v1 offset:320
	s_waitcnt lgkmcnt(0)
	buffer_store_dword v2, off, s[0:3], s32 offset:1448 ; 4-byte Folded Spill
	s_nop 0
	buffer_store_dword v3, off, s[0:3], s32 offset:1452 ; 4-byte Folded Spill
	buffer_store_dword v4, off, s[0:3], s32 offset:1456 ; 4-byte Folded Spill
	buffer_store_dword v5, off, s[0:3], s32 offset:1460 ; 4-byte Folded Spill
	ds_read_b128 v[2:5], v1 offset:336
	s_waitcnt lgkmcnt(0)
	buffer_store_dword v2, off, s[0:3], s32 offset:1464 ; 4-byte Folded Spill
	s_nop 0
	buffer_store_dword v3, off, s[0:3], s32 offset:1468 ; 4-byte Folded Spill
	buffer_store_dword v4, off, s[0:3], s32 offset:1472 ; 4-byte Folded Spill
	buffer_store_dword v5, off, s[0:3], s32 offset:1476 ; 4-byte Folded Spill
	ds_read_b128 v[2:5], v1 offset:352
	s_waitcnt lgkmcnt(0)
	buffer_store_dword v2, off, s[0:3], s32 offset:1480 ; 4-byte Folded Spill
	s_nop 0
	buffer_store_dword v3, off, s[0:3], s32 offset:1484 ; 4-byte Folded Spill
	buffer_store_dword v4, off, s[0:3], s32 offset:1488 ; 4-byte Folded Spill
	buffer_store_dword v5, off, s[0:3], s32 offset:1492 ; 4-byte Folded Spill
	ds_read_b128 v[2:5], v1 offset:368
	s_waitcnt lgkmcnt(0)
	buffer_store_dword v2, off, s[0:3], s32 offset:1496 ; 4-byte Folded Spill
	s_nop 0
	buffer_store_dword v3, off, s[0:3], s32 offset:1500 ; 4-byte Folded Spill
	buffer_store_dword v4, off, s[0:3], s32 offset:1504 ; 4-byte Folded Spill
	buffer_store_dword v5, off, s[0:3], s32 offset:1508 ; 4-byte Folded Spill
	ds_read_b128 v[2:5], v1 offset:384
	s_waitcnt lgkmcnt(0)
	buffer_store_dword v2, off, s[0:3], s32 offset:1512 ; 4-byte Folded Spill
	s_nop 0
	buffer_store_dword v3, off, s[0:3], s32 offset:1516 ; 4-byte Folded Spill
	buffer_store_dword v4, off, s[0:3], s32 offset:1520 ; 4-byte Folded Spill
	buffer_store_dword v5, off, s[0:3], s32 offset:1524 ; 4-byte Folded Spill
	ds_read_b128 v[2:5], v1 offset:400
	s_waitcnt lgkmcnt(0)
	buffer_store_dword v2, off, s[0:3], s32 offset:1528 ; 4-byte Folded Spill
	s_nop 0
	buffer_store_dword v3, off, s[0:3], s32 offset:1532 ; 4-byte Folded Spill
	buffer_store_dword v4, off, s[0:3], s32 offset:1536 ; 4-byte Folded Spill
	buffer_store_dword v5, off, s[0:3], s32 offset:1540 ; 4-byte Folded Spill
	ds_read_b128 v[2:5], v1 offset:416
	s_waitcnt lgkmcnt(0)
	buffer_store_dword v2, off, s[0:3], s32 offset:1544 ; 4-byte Folded Spill
	s_nop 0
	buffer_store_dword v3, off, s[0:3], s32 offset:1548 ; 4-byte Folded Spill
	buffer_store_dword v4, off, s[0:3], s32 offset:1552 ; 4-byte Folded Spill
	buffer_store_dword v5, off, s[0:3], s32 offset:1556 ; 4-byte Folded Spill
	ds_read_b128 v[2:5], v1 offset:432
	s_waitcnt lgkmcnt(0)
	buffer_store_dword v2, off, s[0:3], s32 offset:1560 ; 4-byte Folded Spill
	s_nop 0
	buffer_store_dword v3, off, s[0:3], s32 offset:1564 ; 4-byte Folded Spill
	buffer_store_dword v4, off, s[0:3], s32 offset:1568 ; 4-byte Folded Spill
	buffer_store_dword v5, off, s[0:3], s32 offset:1572 ; 4-byte Folded Spill
	ds_read_b128 v[2:5], v1 offset:448
	s_waitcnt lgkmcnt(0)
	buffer_store_dword v2, off, s[0:3], s32 offset:1576 ; 4-byte Folded Spill
	s_nop 0
	buffer_store_dword v3, off, s[0:3], s32 offset:1580 ; 4-byte Folded Spill
	buffer_store_dword v4, off, s[0:3], s32 offset:1584 ; 4-byte Folded Spill
	buffer_store_dword v5, off, s[0:3], s32 offset:1588 ; 4-byte Folded Spill
	ds_read_b128 v[2:5], v1 offset:464
	s_waitcnt lgkmcnt(0)
	buffer_store_dword v2, off, s[0:3], s32 offset:1592 ; 4-byte Folded Spill
	s_nop 0
	buffer_store_dword v3, off, s[0:3], s32 offset:1596 ; 4-byte Folded Spill
	buffer_store_dword v4, off, s[0:3], s32 offset:1600 ; 4-byte Folded Spill
	buffer_store_dword v5, off, s[0:3], s32 offset:1604 ; 4-byte Folded Spill
	ds_read_b128 v[2:5], v1 offset:480
	s_waitcnt lgkmcnt(0)
	buffer_store_dword v2, off, s[0:3], s32 offset:1608 ; 4-byte Folded Spill
	s_nop 0
	buffer_store_dword v3, off, s[0:3], s32 offset:1612 ; 4-byte Folded Spill
	buffer_store_dword v4, off, s[0:3], s32 offset:1616 ; 4-byte Folded Spill
	buffer_store_dword v5, off, s[0:3], s32 offset:1620 ; 4-byte Folded Spill
	ds_read_b128 v[1:4], v1 offset:496
	s_waitcnt lgkmcnt(0)
	buffer_store_dword v1, off, s[0:3], s32 offset:1624 ; 4-byte Folded Spill
	s_nop 0
	buffer_store_dword v2, off, s[0:3], s32 offset:1628 ; 4-byte Folded Spill
	buffer_store_dword v3, off, s[0:3], s32 offset:1632 ; 4-byte Folded Spill
	buffer_store_dword v4, off, s[0:3], s32 offset:1636 ; 4-byte Folded Spill
	buffer_load_dword v1, off, s[0:3], s32 offset:1676 ; 4-byte Folded Reload
	s_nop 0
	buffer_load_dword v2, off, s[0:3], s32 offset:1668 ; 4-byte Folded Reload
	buffer_load_dword v3, off, s[0:3], s32 offset:1672 ; 4-byte Folded Reload
	s_waitcnt vmcnt(2)
	v_and_b32_e32 v1, 60, v1
	s_waitcnt vmcnt(1)
	v_add_co_u32_e32 v1, vcc, v1, v2
	s_waitcnt vmcnt(0)
	v_addc_co_u32_e32 v2, vcc, 0, v3, vcc
	buffer_load_dword v3, off, s[0:3], s32 offset:1664 ; 4-byte Folded Reload
	s_waitcnt vmcnt(0)
	v_add_co_u32_e32 v3, vcc, v3, v1
	buffer_load_dword v1, off, s[0:3], s32 offset:1660 ; 4-byte Folded Reload
	s_waitcnt vmcnt(0)
	v_addc_co_u32_e32 v4, vcc, v1, v2, vcc
	buffer_load_dword v1, off, s[0:3], s32 offset:92 ; 4-byte Folded Reload
	s_waitcnt vmcnt(0)
	v_lshl_or_b32 v2, v1, 5, v0
	v_lshlrev_b32_e32 v0, 2, v0
	v_lshl_or_b32 v0, v1, 7, v0
	buffer_store_dword v2, off, s[0:3], s32 offset:948 ; 4-byte Folded Spill
	buffer_store_dword v0, off, s[0:3], s32 offset:952 ; 4-byte Folded Spill
	v_mov_b32_e32 v0, 0xff7fffff
	v_mov_b32_e32 v2, 0x7f800001
	buffer_store_dword v0, off, s[0:3], s32 offset:1104 ; 4-byte Folded Spill
	buffer_store_dword v1, off, s[0:3], s32 offset:64 ; 4-byte Folded Spill
	s_nop 0
	buffer_store_dword v2, off, s[0:3], s32 offset:68 ; 4-byte Folded Spill
	v_mov_b32_e32 v6, v1
	s_branch .LBB216_9
.LBB216_8:                              ;   in Loop: Header=BB216_9 Depth=1
	s_or_b64 exec, exec, s[24:25]
	buffer_load_dword v3, off, s[0:3], s32 offset:960 ; 4-byte Folded Reload
	buffer_load_dword v4, off, s[0:3], s32 offset:964 ; 4-byte Folded Reload
	;; [unrolled: 1-line block ×3, first 2 shown]
	s_waitcnt vmcnt(3)
	v_add_u32_e32 v6, 2, v6
	s_waitcnt vmcnt(2)
	v_add_co_u32_e32 v3, vcc, 8, v3
	s_waitcnt vmcnt(0)
	v_add_u32_e32 v0, 64, v0
	buffer_store_dword v0, off, s[0:3], s32 offset:948 ; 4-byte Folded Spill
	buffer_load_dword v0, off, s[0:3], s32 offset:96 ; 4-byte Folded Reload
	v_addc_co_u32_e32 v4, vcc, 0, v4, vcc
	s_waitcnt vmcnt(0)
	v_cmp_ge_i32_e32 vcc, v6, v0
	buffer_load_dword v0, off, s[0:3], s32 offset:952 ; 4-byte Folded Reload
	s_or_b64 s[22:23], vcc, s[22:23]
	s_waitcnt vmcnt(0)
	v_add_u32_e32 v0, 0x100, v0
	buffer_store_dword v0, off, s[0:3], s32 offset:952 ; 4-byte Folded Spill
	s_andn2_b64 exec, exec, s[22:23]
	s_cbranch_execz .LBB216_779
.LBB216_9:                              ; =>This Inner Loop Header: Depth=1
	buffer_store_dword v6, off, s[0:3], s32 offset:968 ; 4-byte Folded Spill
	buffer_store_dword v3, off, s[0:3], s32 offset:960 ; 4-byte Folded Spill
	s_nop 0
	buffer_store_dword v4, off, s[0:3], s32 offset:964 ; 4-byte Folded Spill
	flat_load_dword v0, v[3:4]
	s_waitcnt lgkmcnt(0)
	buffer_load_dword v1, off, s[0:3], s32 offset:956 ; 4-byte Folded Reload
	buffer_load_dword v2, off, s[0:3], s32 offset:1116 ; 4-byte Folded Reload
	;; [unrolled: 1-line block ×3, first 2 shown]
	s_waitcnt vmcnt(0) lgkmcnt(0)
	v_mad_i64_i32 v[49:50], s[24:25], v0, v1, v[2:3]
	buffer_load_dword v0, off, s[0:3], s32 offset:1108 ; 4-byte Folded Reload
	buffer_load_dword v1, off, s[0:3], s32 offset:1112 ; 4-byte Folded Reload
	s_waitcnt vmcnt(0)
	flat_load_dword v42, v[0:1]
	s_nop 0
	buffer_load_dword v0, off, s[0:3], s32 offset:76 ; 4-byte Folded Reload
	s_waitcnt vmcnt(0)
	v_add_co_u32_e32 v1, vcc, v49, v0
	v_addc_co_u32_e32 v2, vcc, 0, v50, vcc
	flat_load_ushort v3, v[1:2]
	s_waitcnt vmcnt(0) lgkmcnt(0)
	v_and_b32_e32 v0, 0xffff, v3
	v_cmp_ne_u16_sdwa s[26:27], v3, v22 src0_sel:BYTE_0 src1_sel:DWORD
	v_mov_b32_e32 v3, 0
	v_mov_b32_e32 v4, 0
	buffer_store_dword v3, off, s[0:3], s32 offset:108 ; 4-byte Folded Spill
	s_nop 0
	buffer_store_dword v4, off, s[0:3], s32 offset:112 ; 4-byte Folded Spill
	v_mov_b32_e32 v3, 0
	v_mov_b32_e32 v4, 0
	buffer_store_dword v3, off, s[0:3], s32 offset:100 ; 4-byte Folded Spill
	s_nop 0
	buffer_store_dword v4, off, s[0:3], s32 offset:104 ; 4-byte Folded Spill
	s_and_saveexec_b64 s[24:25], s[26:27]
	s_cbranch_execz .LBB216_15
; %bb.10:                               ;   in Loop: Header=BB216_9 Depth=1
	v_bfrev_b32_e32 v3, 1
	v_mov_b32_e32 v4, 0
	v_cmp_ne_u16_sdwa s[28:29], v0, s19 src0_sel:BYTE_0 src1_sel:DWORD
	buffer_store_dword v3, off, s[0:3], s32 offset:100 ; 4-byte Folded Spill
	s_nop 0
	buffer_store_dword v4, off, s[0:3], s32 offset:104 ; 4-byte Folded Spill
	s_and_saveexec_b64 s[26:27], s[28:29]
	s_cbranch_execz .LBB216_14
; %bb.11:                               ;   in Loop: Header=BB216_9 Depth=1
	v_and_b32_e32 v3, 0x7f, v0
	v_mov_b32_e32 v4, 0x7f800001
	v_mov_b32_e32 v5, 0
	v_cmp_ne_u32_e32 vcc, s40, v3
	buffer_store_dword v4, off, s[0:3], s32 offset:100 ; 4-byte Folded Spill
	s_nop 0
	buffer_store_dword v5, off, s[0:3], s32 offset:104 ; 4-byte Folded Spill
	s_and_saveexec_b64 s[28:29], vcc
	s_cbranch_execz .LBB216_13
; %bb.12:                               ;   in Loop: Header=BB216_9 Depth=1
	v_and_b32_e32 v5, 7, v0
	v_lshrrev_b32_e32 v6, 3, v3
	v_cmp_gt_u32_e32 vcc, 8, v3
	v_ffbh_u32_e32 v3, v5
	v_min_u32_e32 v7, 32, v3
	v_subrev_u32_e32 v3, 28, v7
	v_lshlrev_b64 v[3:4], v3, v[0:1]
	v_sub_u32_e32 v4, 29, v7
	v_and_b32_e32 v3, 7, v3
	v_cndmask_b32_e32 v4, v6, v4, vcc
	v_cndmask_b32_e32 v3, v5, v3, vcc
	v_bfrev_b32_e32 v6, 60
	v_lshlrev_b32_e32 v3, 20, v3
	v_and_b32_sdwa v5, sext(v0), s41 dst_sel:DWORD dst_unused:UNUSED_PAD src0_sel:BYTE_0 src1_sel:DWORD
	v_lshl_add_u32 v4, v4, 23, v6
	v_or3_b32 v3, v5, v4, v3
	v_mov_b32_e32 v4, v22
	buffer_store_dword v3, off, s[0:3], s32 offset:100 ; 4-byte Folded Spill
	s_nop 0
	buffer_store_dword v4, off, s[0:3], s32 offset:104 ; 4-byte Folded Spill
.LBB216_13:                             ;   in Loop: Header=BB216_9 Depth=1
	s_or_b64 exec, exec, s[28:29]
.LBB216_14:                             ;   in Loop: Header=BB216_9 Depth=1
	s_or_b64 exec, exec, s[26:27]
.LBB216_15:                             ;   in Loop: Header=BB216_9 Depth=1
	s_or_b64 exec, exec, s[24:25]
	v_cmp_ne_u16_sdwa s[26:27], v0, v22 src0_sel:BYTE_1 src1_sel:DWORD
	s_and_saveexec_b64 s[24:25], s[26:27]
	s_cbranch_execz .LBB216_21
; %bb.16:                               ;   in Loop: Header=BB216_9 Depth=1
	v_cmp_ne_u16_sdwa s[28:29], v0, s19 src0_sel:BYTE_1 src1_sel:DWORD
	buffer_store_dword v22, off, s[0:3], s32 offset:108 ; 4-byte Folded Spill
	s_nop 0
	buffer_store_dword v23, off, s[0:3], s32 offset:112 ; 4-byte Folded Spill
	s_and_saveexec_b64 s[26:27], s[28:29]
	s_cbranch_execz .LBB216_20
; %bb.17:                               ;   in Loop: Header=BB216_9 Depth=1
	buffer_load_dword v4, off, s[0:3], s32 offset:64 ; 4-byte Folded Reload
	buffer_load_dword v5, off, s[0:3], s32 offset:68 ; 4-byte Folded Reload
	v_and_b32_sdwa v3, v0, s40 dst_sel:DWORD dst_unused:UNUSED_PAD src0_sel:BYTE_1 src1_sel:DWORD
	v_cmp_ne_u32_e32 vcc, s40, v3
	s_waitcnt vmcnt(1)
	v_mov_b32_e32 v4, v22
	s_waitcnt vmcnt(0)
	v_mov_b32_e32 v6, v5
	buffer_store_dword v5, off, s[0:3], s32 offset:64 ; 4-byte Folded Spill
	s_nop 0
	buffer_store_dword v6, off, s[0:3], s32 offset:68 ; 4-byte Folded Spill
	buffer_store_dword v4, off, s[0:3], s32 offset:108 ; 4-byte Folded Spill
	s_nop 0
	buffer_store_dword v5, off, s[0:3], s32 offset:112 ; 4-byte Folded Spill
	s_and_saveexec_b64 s[28:29], vcc
	s_cbranch_execz .LBB216_19
; %bb.18:                               ;   in Loop: Header=BB216_9 Depth=1
	v_mov_b32_e32 v4, 7
	v_and_b32_sdwa v4, v0, v4 dst_sel:DWORD dst_unused:UNUSED_PAD src0_sel:BYTE_1 src1_sel:DWORD
	v_lshrrev_b32_e32 v7, 3, v3
	v_cmp_gt_u32_e32 vcc, 8, v3
	v_ffbh_u32_e32 v3, v4
	v_min_u32_e32 v3, 32, v3
	v_mov_b32_e32 v5, v22
	v_subrev_u32_e32 v6, 28, v3
	v_lshlrev_b64 v[5:6], v6, v[4:5]
	v_sub_u32_e32 v3, 29, v3
	v_and_b32_e32 v5, 7, v5
	v_cndmask_b32_e32 v3, v7, v3, vcc
	v_cndmask_b32_e32 v4, v4, v5, vcc
	v_bfrev_b32_e32 v5, 60
	v_lshlrev_b32_e32 v0, 16, v0
	v_lshl_add_u32 v3, v3, 23, v5
	v_and_or_b32 v0, v0, s41, v3
	v_lshlrev_b32_e32 v3, 20, v4
	v_or_b32_e32 v4, v0, v3
	v_mov_b32_e32 v3, v22
	buffer_store_dword v3, off, s[0:3], s32 offset:108 ; 4-byte Folded Spill
	s_nop 0
	buffer_store_dword v4, off, s[0:3], s32 offset:112 ; 4-byte Folded Spill
.LBB216_19:                             ;   in Loop: Header=BB216_9 Depth=1
	s_or_b64 exec, exec, s[28:29]
.LBB216_20:                             ;   in Loop: Header=BB216_9 Depth=1
	s_or_b64 exec, exec, s[26:27]
.LBB216_21:                             ;   in Loop: Header=BB216_9 Depth=1
	s_or_b64 exec, exec, s[24:25]
	flat_load_ushort v3, v[1:2] offset:4
	s_waitcnt vmcnt(0) lgkmcnt(0)
	v_and_b32_e32 v0, 0xffff, v3
	v_cmp_ne_u16_sdwa s[26:27], v3, v22 src0_sel:BYTE_0 src1_sel:DWORD
	v_mov_b32_e32 v3, 0
	v_mov_b32_e32 v4, 0
	buffer_store_dword v3, off, s[0:3], s32 offset:124 ; 4-byte Folded Spill
	s_nop 0
	buffer_store_dword v4, off, s[0:3], s32 offset:128 ; 4-byte Folded Spill
	v_mov_b32_e32 v3, 0
	v_mov_b32_e32 v4, 0
	buffer_store_dword v3, off, s[0:3], s32 offset:116 ; 4-byte Folded Spill
	s_nop 0
	buffer_store_dword v4, off, s[0:3], s32 offset:120 ; 4-byte Folded Spill
	s_and_saveexec_b64 s[24:25], s[26:27]
	s_cbranch_execz .LBB216_27
; %bb.22:                               ;   in Loop: Header=BB216_9 Depth=1
	v_bfrev_b32_e32 v3, 1
	v_mov_b32_e32 v4, 0
	v_cmp_ne_u16_sdwa s[28:29], v0, s19 src0_sel:BYTE_0 src1_sel:DWORD
	buffer_store_dword v3, off, s[0:3], s32 offset:116 ; 4-byte Folded Spill
	s_nop 0
	buffer_store_dword v4, off, s[0:3], s32 offset:120 ; 4-byte Folded Spill
	s_and_saveexec_b64 s[26:27], s[28:29]
	s_cbranch_execz .LBB216_26
; %bb.23:                               ;   in Loop: Header=BB216_9 Depth=1
	v_and_b32_e32 v3, 0x7f, v0
	v_mov_b32_e32 v4, 0x7f800001
	v_mov_b32_e32 v5, 0
	v_cmp_ne_u32_e32 vcc, s40, v3
	buffer_store_dword v4, off, s[0:3], s32 offset:116 ; 4-byte Folded Spill
	s_nop 0
	buffer_store_dword v5, off, s[0:3], s32 offset:120 ; 4-byte Folded Spill
	s_and_saveexec_b64 s[28:29], vcc
	s_cbranch_execz .LBB216_25
; %bb.24:                               ;   in Loop: Header=BB216_9 Depth=1
	v_and_b32_e32 v5, 7, v0
	v_lshrrev_b32_e32 v6, 3, v3
	v_cmp_gt_u32_e32 vcc, 8, v3
	v_ffbh_u32_e32 v3, v5
	v_min_u32_e32 v7, 32, v3
	v_subrev_u32_e32 v3, 28, v7
	v_lshlrev_b64 v[3:4], v3, v[0:1]
	v_sub_u32_e32 v4, 29, v7
	v_and_b32_e32 v3, 7, v3
	v_cndmask_b32_e32 v4, v6, v4, vcc
	v_cndmask_b32_e32 v3, v5, v3, vcc
	v_bfrev_b32_e32 v6, 60
	v_lshlrev_b32_e32 v3, 20, v3
	v_and_b32_sdwa v5, sext(v0), s41 dst_sel:DWORD dst_unused:UNUSED_PAD src0_sel:BYTE_0 src1_sel:DWORD
	v_lshl_add_u32 v4, v4, 23, v6
	v_or3_b32 v3, v5, v4, v3
	v_mov_b32_e32 v4, v22
	buffer_store_dword v3, off, s[0:3], s32 offset:116 ; 4-byte Folded Spill
	s_nop 0
	buffer_store_dword v4, off, s[0:3], s32 offset:120 ; 4-byte Folded Spill
.LBB216_25:                             ;   in Loop: Header=BB216_9 Depth=1
	s_or_b64 exec, exec, s[28:29]
.LBB216_26:                             ;   in Loop: Header=BB216_9 Depth=1
	s_or_b64 exec, exec, s[26:27]
.LBB216_27:                             ;   in Loop: Header=BB216_9 Depth=1
	s_or_b64 exec, exec, s[24:25]
	v_cmp_ne_u16_sdwa s[26:27], v0, v22 src0_sel:BYTE_1 src1_sel:DWORD
	s_and_saveexec_b64 s[24:25], s[26:27]
	s_cbranch_execz .LBB216_33
; %bb.28:                               ;   in Loop: Header=BB216_9 Depth=1
	v_cmp_ne_u16_sdwa s[28:29], v0, s19 src0_sel:BYTE_1 src1_sel:DWORD
	buffer_store_dword v22, off, s[0:3], s32 offset:124 ; 4-byte Folded Spill
	s_nop 0
	buffer_store_dword v23, off, s[0:3], s32 offset:128 ; 4-byte Folded Spill
	s_and_saveexec_b64 s[26:27], s[28:29]
	s_cbranch_execz .LBB216_32
; %bb.29:                               ;   in Loop: Header=BB216_9 Depth=1
	buffer_load_dword v4, off, s[0:3], s32 offset:64 ; 4-byte Folded Reload
	buffer_load_dword v5, off, s[0:3], s32 offset:68 ; 4-byte Folded Reload
	v_and_b32_sdwa v3, v0, s40 dst_sel:DWORD dst_unused:UNUSED_PAD src0_sel:BYTE_1 src1_sel:DWORD
	v_cmp_ne_u32_e32 vcc, s40, v3
	s_waitcnt vmcnt(1)
	v_mov_b32_e32 v4, v22
	s_waitcnt vmcnt(0)
	v_mov_b32_e32 v6, v5
	buffer_store_dword v5, off, s[0:3], s32 offset:64 ; 4-byte Folded Spill
	s_nop 0
	buffer_store_dword v6, off, s[0:3], s32 offset:68 ; 4-byte Folded Spill
	buffer_store_dword v4, off, s[0:3], s32 offset:124 ; 4-byte Folded Spill
	s_nop 0
	buffer_store_dword v5, off, s[0:3], s32 offset:128 ; 4-byte Folded Spill
	s_and_saveexec_b64 s[28:29], vcc
	s_cbranch_execz .LBB216_31
; %bb.30:                               ;   in Loop: Header=BB216_9 Depth=1
	v_mov_b32_e32 v4, 7
	v_and_b32_sdwa v4, v0, v4 dst_sel:DWORD dst_unused:UNUSED_PAD src0_sel:BYTE_1 src1_sel:DWORD
	v_lshrrev_b32_e32 v7, 3, v3
	v_cmp_gt_u32_e32 vcc, 8, v3
	v_ffbh_u32_e32 v3, v4
	v_min_u32_e32 v3, 32, v3
	v_mov_b32_e32 v5, v22
	v_subrev_u32_e32 v6, 28, v3
	v_lshlrev_b64 v[5:6], v6, v[4:5]
	v_sub_u32_e32 v3, 29, v3
	v_and_b32_e32 v5, 7, v5
	v_cndmask_b32_e32 v3, v7, v3, vcc
	v_cndmask_b32_e32 v4, v4, v5, vcc
	v_bfrev_b32_e32 v5, 60
	v_lshlrev_b32_e32 v0, 16, v0
	v_lshl_add_u32 v3, v3, 23, v5
	v_and_or_b32 v0, v0, s41, v3
	v_lshlrev_b32_e32 v3, 20, v4
	v_or_b32_e32 v4, v0, v3
	v_mov_b32_e32 v3, v22
	buffer_store_dword v3, off, s[0:3], s32 offset:124 ; 4-byte Folded Spill
	s_nop 0
	buffer_store_dword v4, off, s[0:3], s32 offset:128 ; 4-byte Folded Spill
.LBB216_31:                             ;   in Loop: Header=BB216_9 Depth=1
	s_or_b64 exec, exec, s[28:29]
.LBB216_32:                             ;   in Loop: Header=BB216_9 Depth=1
	s_or_b64 exec, exec, s[26:27]
.LBB216_33:                             ;   in Loop: Header=BB216_9 Depth=1
	s_or_b64 exec, exec, s[24:25]
	flat_load_ushort v3, v[1:2] offset:8
	s_waitcnt vmcnt(0) lgkmcnt(0)
	v_and_b32_e32 v0, 0xffff, v3
	v_cmp_ne_u16_sdwa s[26:27], v3, v22 src0_sel:BYTE_0 src1_sel:DWORD
	v_mov_b32_e32 v3, 0
	v_mov_b32_e32 v4, 0
	buffer_store_dword v3, off, s[0:3], s32 offset:140 ; 4-byte Folded Spill
	s_nop 0
	buffer_store_dword v4, off, s[0:3], s32 offset:144 ; 4-byte Folded Spill
	v_mov_b32_e32 v3, 0
	v_mov_b32_e32 v4, 0
	buffer_store_dword v3, off, s[0:3], s32 offset:132 ; 4-byte Folded Spill
	s_nop 0
	buffer_store_dword v4, off, s[0:3], s32 offset:136 ; 4-byte Folded Spill
	s_and_saveexec_b64 s[24:25], s[26:27]
	s_cbranch_execz .LBB216_39
; %bb.34:                               ;   in Loop: Header=BB216_9 Depth=1
	v_bfrev_b32_e32 v3, 1
	v_mov_b32_e32 v4, 0
	v_cmp_ne_u16_sdwa s[28:29], v0, s19 src0_sel:BYTE_0 src1_sel:DWORD
	buffer_store_dword v3, off, s[0:3], s32 offset:132 ; 4-byte Folded Spill
	s_nop 0
	buffer_store_dword v4, off, s[0:3], s32 offset:136 ; 4-byte Folded Spill
	s_and_saveexec_b64 s[26:27], s[28:29]
	s_cbranch_execz .LBB216_38
; %bb.35:                               ;   in Loop: Header=BB216_9 Depth=1
	v_and_b32_e32 v3, 0x7f, v0
	v_mov_b32_e32 v4, 0x7f800001
	v_mov_b32_e32 v5, 0
	v_cmp_ne_u32_e32 vcc, s40, v3
	buffer_store_dword v4, off, s[0:3], s32 offset:132 ; 4-byte Folded Spill
	s_nop 0
	buffer_store_dword v5, off, s[0:3], s32 offset:136 ; 4-byte Folded Spill
	s_and_saveexec_b64 s[28:29], vcc
	s_cbranch_execz .LBB216_37
; %bb.36:                               ;   in Loop: Header=BB216_9 Depth=1
	v_and_b32_e32 v5, 7, v0
	v_lshrrev_b32_e32 v6, 3, v3
	v_cmp_gt_u32_e32 vcc, 8, v3
	v_ffbh_u32_e32 v3, v5
	v_min_u32_e32 v7, 32, v3
	v_subrev_u32_e32 v3, 28, v7
	v_lshlrev_b64 v[3:4], v3, v[0:1]
	v_sub_u32_e32 v4, 29, v7
	v_and_b32_e32 v3, 7, v3
	v_cndmask_b32_e32 v4, v6, v4, vcc
	v_cndmask_b32_e32 v3, v5, v3, vcc
	v_bfrev_b32_e32 v6, 60
	v_lshlrev_b32_e32 v3, 20, v3
	v_and_b32_sdwa v5, sext(v0), s41 dst_sel:DWORD dst_unused:UNUSED_PAD src0_sel:BYTE_0 src1_sel:DWORD
	v_lshl_add_u32 v4, v4, 23, v6
	v_or3_b32 v3, v5, v4, v3
	v_mov_b32_e32 v4, v22
	buffer_store_dword v3, off, s[0:3], s32 offset:132 ; 4-byte Folded Spill
	s_nop 0
	buffer_store_dword v4, off, s[0:3], s32 offset:136 ; 4-byte Folded Spill
.LBB216_37:                             ;   in Loop: Header=BB216_9 Depth=1
	s_or_b64 exec, exec, s[28:29]
.LBB216_38:                             ;   in Loop: Header=BB216_9 Depth=1
	s_or_b64 exec, exec, s[26:27]
.LBB216_39:                             ;   in Loop: Header=BB216_9 Depth=1
	s_or_b64 exec, exec, s[24:25]
	v_cmp_ne_u16_sdwa s[26:27], v0, v22 src0_sel:BYTE_1 src1_sel:DWORD
	s_and_saveexec_b64 s[24:25], s[26:27]
	s_cbranch_execz .LBB216_45
; %bb.40:                               ;   in Loop: Header=BB216_9 Depth=1
	v_cmp_ne_u16_sdwa s[28:29], v0, s19 src0_sel:BYTE_1 src1_sel:DWORD
	buffer_store_dword v22, off, s[0:3], s32 offset:140 ; 4-byte Folded Spill
	s_nop 0
	buffer_store_dword v23, off, s[0:3], s32 offset:144 ; 4-byte Folded Spill
	s_and_saveexec_b64 s[26:27], s[28:29]
	s_cbranch_execz .LBB216_44
; %bb.41:                               ;   in Loop: Header=BB216_9 Depth=1
	buffer_load_dword v4, off, s[0:3], s32 offset:64 ; 4-byte Folded Reload
	buffer_load_dword v5, off, s[0:3], s32 offset:68 ; 4-byte Folded Reload
	v_and_b32_sdwa v3, v0, s40 dst_sel:DWORD dst_unused:UNUSED_PAD src0_sel:BYTE_1 src1_sel:DWORD
	v_cmp_ne_u32_e32 vcc, s40, v3
	s_waitcnt vmcnt(1)
	v_mov_b32_e32 v4, v22
	s_waitcnt vmcnt(0)
	v_mov_b32_e32 v6, v5
	buffer_store_dword v5, off, s[0:3], s32 offset:64 ; 4-byte Folded Spill
	s_nop 0
	buffer_store_dword v6, off, s[0:3], s32 offset:68 ; 4-byte Folded Spill
	buffer_store_dword v4, off, s[0:3], s32 offset:140 ; 4-byte Folded Spill
	s_nop 0
	buffer_store_dword v5, off, s[0:3], s32 offset:144 ; 4-byte Folded Spill
	s_and_saveexec_b64 s[28:29], vcc
	s_cbranch_execz .LBB216_43
; %bb.42:                               ;   in Loop: Header=BB216_9 Depth=1
	v_mov_b32_e32 v4, 7
	v_and_b32_sdwa v4, v0, v4 dst_sel:DWORD dst_unused:UNUSED_PAD src0_sel:BYTE_1 src1_sel:DWORD
	v_lshrrev_b32_e32 v7, 3, v3
	v_cmp_gt_u32_e32 vcc, 8, v3
	v_ffbh_u32_e32 v3, v4
	v_min_u32_e32 v3, 32, v3
	v_mov_b32_e32 v5, v22
	v_subrev_u32_e32 v6, 28, v3
	v_lshlrev_b64 v[5:6], v6, v[4:5]
	v_sub_u32_e32 v3, 29, v3
	v_and_b32_e32 v5, 7, v5
	v_cndmask_b32_e32 v3, v7, v3, vcc
	v_cndmask_b32_e32 v4, v4, v5, vcc
	v_bfrev_b32_e32 v5, 60
	v_lshlrev_b32_e32 v0, 16, v0
	v_lshl_add_u32 v3, v3, 23, v5
	v_and_or_b32 v0, v0, s41, v3
	v_lshlrev_b32_e32 v3, 20, v4
	v_or_b32_e32 v4, v0, v3
	v_mov_b32_e32 v3, v22
	buffer_store_dword v3, off, s[0:3], s32 offset:140 ; 4-byte Folded Spill
	s_nop 0
	buffer_store_dword v4, off, s[0:3], s32 offset:144 ; 4-byte Folded Spill
.LBB216_43:                             ;   in Loop: Header=BB216_9 Depth=1
	s_or_b64 exec, exec, s[28:29]
.LBB216_44:                             ;   in Loop: Header=BB216_9 Depth=1
	s_or_b64 exec, exec, s[26:27]
.LBB216_45:                             ;   in Loop: Header=BB216_9 Depth=1
	s_or_b64 exec, exec, s[24:25]
	flat_load_ushort v3, v[1:2] offset:12
	s_waitcnt vmcnt(0) lgkmcnt(0)
	v_and_b32_e32 v0, 0xffff, v3
	v_cmp_ne_u16_sdwa s[26:27], v3, v22 src0_sel:BYTE_0 src1_sel:DWORD
	v_mov_b32_e32 v3, 0
	v_mov_b32_e32 v4, 0
	buffer_store_dword v3, off, s[0:3], s32 offset:156 ; 4-byte Folded Spill
	s_nop 0
	buffer_store_dword v4, off, s[0:3], s32 offset:160 ; 4-byte Folded Spill
	v_mov_b32_e32 v3, 0
	v_mov_b32_e32 v4, 0
	buffer_store_dword v3, off, s[0:3], s32 offset:148 ; 4-byte Folded Spill
	s_nop 0
	buffer_store_dword v4, off, s[0:3], s32 offset:152 ; 4-byte Folded Spill
	s_and_saveexec_b64 s[24:25], s[26:27]
	s_cbranch_execz .LBB216_51
; %bb.46:                               ;   in Loop: Header=BB216_9 Depth=1
	v_bfrev_b32_e32 v3, 1
	v_mov_b32_e32 v4, 0
	v_cmp_ne_u16_sdwa s[28:29], v0, s19 src0_sel:BYTE_0 src1_sel:DWORD
	buffer_store_dword v3, off, s[0:3], s32 offset:148 ; 4-byte Folded Spill
	s_nop 0
	buffer_store_dword v4, off, s[0:3], s32 offset:152 ; 4-byte Folded Spill
	s_and_saveexec_b64 s[26:27], s[28:29]
	s_cbranch_execz .LBB216_50
; %bb.47:                               ;   in Loop: Header=BB216_9 Depth=1
	v_and_b32_e32 v3, 0x7f, v0
	v_mov_b32_e32 v4, 0x7f800001
	v_mov_b32_e32 v5, 0
	v_cmp_ne_u32_e32 vcc, s40, v3
	buffer_store_dword v4, off, s[0:3], s32 offset:148 ; 4-byte Folded Spill
	s_nop 0
	buffer_store_dword v5, off, s[0:3], s32 offset:152 ; 4-byte Folded Spill
	s_and_saveexec_b64 s[28:29], vcc
	s_cbranch_execz .LBB216_49
; %bb.48:                               ;   in Loop: Header=BB216_9 Depth=1
	v_and_b32_e32 v5, 7, v0
	v_lshrrev_b32_e32 v6, 3, v3
	v_cmp_gt_u32_e32 vcc, 8, v3
	v_ffbh_u32_e32 v3, v5
	v_min_u32_e32 v7, 32, v3
	v_subrev_u32_e32 v3, 28, v7
	v_lshlrev_b64 v[3:4], v3, v[0:1]
	v_sub_u32_e32 v4, 29, v7
	v_and_b32_e32 v3, 7, v3
	v_cndmask_b32_e32 v4, v6, v4, vcc
	v_cndmask_b32_e32 v3, v5, v3, vcc
	v_bfrev_b32_e32 v6, 60
	v_lshlrev_b32_e32 v3, 20, v3
	v_and_b32_sdwa v5, sext(v0), s41 dst_sel:DWORD dst_unused:UNUSED_PAD src0_sel:BYTE_0 src1_sel:DWORD
	v_lshl_add_u32 v4, v4, 23, v6
	v_or3_b32 v3, v5, v4, v3
	v_mov_b32_e32 v4, v22
	buffer_store_dword v3, off, s[0:3], s32 offset:148 ; 4-byte Folded Spill
	s_nop 0
	buffer_store_dword v4, off, s[0:3], s32 offset:152 ; 4-byte Folded Spill
.LBB216_49:                             ;   in Loop: Header=BB216_9 Depth=1
	s_or_b64 exec, exec, s[28:29]
.LBB216_50:                             ;   in Loop: Header=BB216_9 Depth=1
	s_or_b64 exec, exec, s[26:27]
.LBB216_51:                             ;   in Loop: Header=BB216_9 Depth=1
	s_or_b64 exec, exec, s[24:25]
	v_cmp_ne_u16_sdwa s[26:27], v0, v22 src0_sel:BYTE_1 src1_sel:DWORD
	s_and_saveexec_b64 s[24:25], s[26:27]
	s_cbranch_execz .LBB216_57
; %bb.52:                               ;   in Loop: Header=BB216_9 Depth=1
	v_cmp_ne_u16_sdwa s[28:29], v0, s19 src0_sel:BYTE_1 src1_sel:DWORD
	buffer_store_dword v22, off, s[0:3], s32 offset:156 ; 4-byte Folded Spill
	s_nop 0
	buffer_store_dword v23, off, s[0:3], s32 offset:160 ; 4-byte Folded Spill
	s_and_saveexec_b64 s[26:27], s[28:29]
	s_cbranch_execz .LBB216_56
; %bb.53:                               ;   in Loop: Header=BB216_9 Depth=1
	buffer_load_dword v4, off, s[0:3], s32 offset:64 ; 4-byte Folded Reload
	buffer_load_dword v5, off, s[0:3], s32 offset:68 ; 4-byte Folded Reload
	v_and_b32_sdwa v3, v0, s40 dst_sel:DWORD dst_unused:UNUSED_PAD src0_sel:BYTE_1 src1_sel:DWORD
	v_cmp_ne_u32_e32 vcc, s40, v3
	s_waitcnt vmcnt(1)
	v_mov_b32_e32 v4, v22
	s_waitcnt vmcnt(0)
	v_mov_b32_e32 v6, v5
	buffer_store_dword v5, off, s[0:3], s32 offset:64 ; 4-byte Folded Spill
	s_nop 0
	buffer_store_dword v6, off, s[0:3], s32 offset:68 ; 4-byte Folded Spill
	buffer_store_dword v4, off, s[0:3], s32 offset:156 ; 4-byte Folded Spill
	s_nop 0
	buffer_store_dword v5, off, s[0:3], s32 offset:160 ; 4-byte Folded Spill
	s_and_saveexec_b64 s[28:29], vcc
	s_cbranch_execz .LBB216_55
; %bb.54:                               ;   in Loop: Header=BB216_9 Depth=1
	v_mov_b32_e32 v4, 7
	v_and_b32_sdwa v4, v0, v4 dst_sel:DWORD dst_unused:UNUSED_PAD src0_sel:BYTE_1 src1_sel:DWORD
	v_lshrrev_b32_e32 v7, 3, v3
	v_cmp_gt_u32_e32 vcc, 8, v3
	v_ffbh_u32_e32 v3, v4
	v_min_u32_e32 v3, 32, v3
	v_mov_b32_e32 v5, v22
	v_subrev_u32_e32 v6, 28, v3
	v_lshlrev_b64 v[5:6], v6, v[4:5]
	v_sub_u32_e32 v3, 29, v3
	v_and_b32_e32 v5, 7, v5
	v_cndmask_b32_e32 v3, v7, v3, vcc
	v_cndmask_b32_e32 v4, v4, v5, vcc
	v_bfrev_b32_e32 v5, 60
	v_lshlrev_b32_e32 v0, 16, v0
	v_lshl_add_u32 v3, v3, 23, v5
	v_and_or_b32 v0, v0, s41, v3
	v_lshlrev_b32_e32 v3, 20, v4
	v_or_b32_e32 v4, v0, v3
	v_mov_b32_e32 v3, v22
	buffer_store_dword v3, off, s[0:3], s32 offset:156 ; 4-byte Folded Spill
	s_nop 0
	buffer_store_dword v4, off, s[0:3], s32 offset:160 ; 4-byte Folded Spill
.LBB216_55:                             ;   in Loop: Header=BB216_9 Depth=1
	s_or_b64 exec, exec, s[28:29]
.LBB216_56:                             ;   in Loop: Header=BB216_9 Depth=1
	s_or_b64 exec, exec, s[26:27]
.LBB216_57:                             ;   in Loop: Header=BB216_9 Depth=1
	s_or_b64 exec, exec, s[24:25]
	flat_load_ushort v3, v[1:2] offset:512
	s_waitcnt vmcnt(0) lgkmcnt(0)
	v_and_b32_e32 v0, 0xffff, v3
	v_cmp_ne_u16_sdwa s[26:27], v3, v22 src0_sel:BYTE_0 src1_sel:DWORD
	v_mov_b32_e32 v3, 0
	v_mov_b32_e32 v4, 0
	buffer_store_dword v3, off, s[0:3], s32 offset:172 ; 4-byte Folded Spill
	s_nop 0
	buffer_store_dword v4, off, s[0:3], s32 offset:176 ; 4-byte Folded Spill
	v_mov_b32_e32 v3, 0
	v_mov_b32_e32 v4, 0
	buffer_store_dword v3, off, s[0:3], s32 offset:164 ; 4-byte Folded Spill
	s_nop 0
	buffer_store_dword v4, off, s[0:3], s32 offset:168 ; 4-byte Folded Spill
	s_and_saveexec_b64 s[24:25], s[26:27]
	s_cbranch_execz .LBB216_63
; %bb.58:                               ;   in Loop: Header=BB216_9 Depth=1
	v_bfrev_b32_e32 v3, 1
	v_mov_b32_e32 v4, 0
	v_cmp_ne_u16_sdwa s[28:29], v0, s19 src0_sel:BYTE_0 src1_sel:DWORD
	buffer_store_dword v3, off, s[0:3], s32 offset:164 ; 4-byte Folded Spill
	s_nop 0
	buffer_store_dword v4, off, s[0:3], s32 offset:168 ; 4-byte Folded Spill
	s_and_saveexec_b64 s[26:27], s[28:29]
	s_cbranch_execz .LBB216_62
; %bb.59:                               ;   in Loop: Header=BB216_9 Depth=1
	v_and_b32_e32 v3, 0x7f, v0
	v_mov_b32_e32 v4, 0x7f800001
	v_mov_b32_e32 v5, 0
	v_cmp_ne_u32_e32 vcc, s40, v3
	buffer_store_dword v4, off, s[0:3], s32 offset:164 ; 4-byte Folded Spill
	s_nop 0
	buffer_store_dword v5, off, s[0:3], s32 offset:168 ; 4-byte Folded Spill
	s_and_saveexec_b64 s[28:29], vcc
	s_cbranch_execz .LBB216_61
; %bb.60:                               ;   in Loop: Header=BB216_9 Depth=1
	v_and_b32_e32 v5, 7, v0
	v_lshrrev_b32_e32 v6, 3, v3
	v_cmp_gt_u32_e32 vcc, 8, v3
	v_ffbh_u32_e32 v3, v5
	v_min_u32_e32 v7, 32, v3
	v_subrev_u32_e32 v3, 28, v7
	v_lshlrev_b64 v[3:4], v3, v[0:1]
	v_sub_u32_e32 v4, 29, v7
	v_and_b32_e32 v3, 7, v3
	v_cndmask_b32_e32 v4, v6, v4, vcc
	v_cndmask_b32_e32 v3, v5, v3, vcc
	v_bfrev_b32_e32 v6, 60
	v_lshlrev_b32_e32 v3, 20, v3
	v_and_b32_sdwa v5, sext(v0), s41 dst_sel:DWORD dst_unused:UNUSED_PAD src0_sel:BYTE_0 src1_sel:DWORD
	v_lshl_add_u32 v4, v4, 23, v6
	v_or3_b32 v3, v5, v4, v3
	v_mov_b32_e32 v4, v22
	buffer_store_dword v3, off, s[0:3], s32 offset:164 ; 4-byte Folded Spill
	s_nop 0
	buffer_store_dword v4, off, s[0:3], s32 offset:168 ; 4-byte Folded Spill
.LBB216_61:                             ;   in Loop: Header=BB216_9 Depth=1
	s_or_b64 exec, exec, s[28:29]
.LBB216_62:                             ;   in Loop: Header=BB216_9 Depth=1
	s_or_b64 exec, exec, s[26:27]
.LBB216_63:                             ;   in Loop: Header=BB216_9 Depth=1
	s_or_b64 exec, exec, s[24:25]
	v_cmp_ne_u16_sdwa s[26:27], v0, v22 src0_sel:BYTE_1 src1_sel:DWORD
	s_and_saveexec_b64 s[24:25], s[26:27]
	s_cbranch_execz .LBB216_69
; %bb.64:                               ;   in Loop: Header=BB216_9 Depth=1
	v_cmp_ne_u16_sdwa s[28:29], v0, s19 src0_sel:BYTE_1 src1_sel:DWORD
	buffer_store_dword v22, off, s[0:3], s32 offset:172 ; 4-byte Folded Spill
	s_nop 0
	buffer_store_dword v23, off, s[0:3], s32 offset:176 ; 4-byte Folded Spill
	s_and_saveexec_b64 s[26:27], s[28:29]
	s_cbranch_execz .LBB216_68
; %bb.65:                               ;   in Loop: Header=BB216_9 Depth=1
	buffer_load_dword v4, off, s[0:3], s32 offset:64 ; 4-byte Folded Reload
	buffer_load_dword v5, off, s[0:3], s32 offset:68 ; 4-byte Folded Reload
	v_and_b32_sdwa v3, v0, s40 dst_sel:DWORD dst_unused:UNUSED_PAD src0_sel:BYTE_1 src1_sel:DWORD
	v_cmp_ne_u32_e32 vcc, s40, v3
	s_waitcnt vmcnt(1)
	v_mov_b32_e32 v4, v22
	s_waitcnt vmcnt(0)
	v_mov_b32_e32 v6, v5
	buffer_store_dword v5, off, s[0:3], s32 offset:64 ; 4-byte Folded Spill
	s_nop 0
	buffer_store_dword v6, off, s[0:3], s32 offset:68 ; 4-byte Folded Spill
	buffer_store_dword v4, off, s[0:3], s32 offset:172 ; 4-byte Folded Spill
	s_nop 0
	buffer_store_dword v5, off, s[0:3], s32 offset:176 ; 4-byte Folded Spill
	s_and_saveexec_b64 s[28:29], vcc
	s_cbranch_execz .LBB216_67
; %bb.66:                               ;   in Loop: Header=BB216_9 Depth=1
	v_mov_b32_e32 v4, 7
	v_and_b32_sdwa v4, v0, v4 dst_sel:DWORD dst_unused:UNUSED_PAD src0_sel:BYTE_1 src1_sel:DWORD
	v_lshrrev_b32_e32 v7, 3, v3
	v_cmp_gt_u32_e32 vcc, 8, v3
	v_ffbh_u32_e32 v3, v4
	v_min_u32_e32 v3, 32, v3
	v_mov_b32_e32 v5, v22
	v_subrev_u32_e32 v6, 28, v3
	v_lshlrev_b64 v[5:6], v6, v[4:5]
	v_sub_u32_e32 v3, 29, v3
	v_and_b32_e32 v5, 7, v5
	v_cndmask_b32_e32 v3, v7, v3, vcc
	v_cndmask_b32_e32 v4, v4, v5, vcc
	v_bfrev_b32_e32 v5, 60
	v_lshlrev_b32_e32 v0, 16, v0
	v_lshl_add_u32 v3, v3, 23, v5
	v_and_or_b32 v0, v0, s41, v3
	v_lshlrev_b32_e32 v3, 20, v4
	v_or_b32_e32 v4, v0, v3
	v_mov_b32_e32 v3, v22
	buffer_store_dword v3, off, s[0:3], s32 offset:172 ; 4-byte Folded Spill
	s_nop 0
	buffer_store_dword v4, off, s[0:3], s32 offset:176 ; 4-byte Folded Spill
.LBB216_67:                             ;   in Loop: Header=BB216_9 Depth=1
	s_or_b64 exec, exec, s[28:29]
.LBB216_68:                             ;   in Loop: Header=BB216_9 Depth=1
	s_or_b64 exec, exec, s[26:27]
.LBB216_69:                             ;   in Loop: Header=BB216_9 Depth=1
	s_or_b64 exec, exec, s[24:25]
	flat_load_ushort v3, v[1:2] offset:516
	s_waitcnt vmcnt(0) lgkmcnt(0)
	v_and_b32_e32 v0, 0xffff, v3
	v_cmp_ne_u16_sdwa s[26:27], v3, v22 src0_sel:BYTE_0 src1_sel:DWORD
	v_mov_b32_e32 v3, 0
	v_mov_b32_e32 v4, 0
	buffer_store_dword v3, off, s[0:3], s32 offset:188 ; 4-byte Folded Spill
	s_nop 0
	buffer_store_dword v4, off, s[0:3], s32 offset:192 ; 4-byte Folded Spill
	v_mov_b32_e32 v3, 0
	v_mov_b32_e32 v4, 0
	buffer_store_dword v3, off, s[0:3], s32 offset:180 ; 4-byte Folded Spill
	s_nop 0
	buffer_store_dword v4, off, s[0:3], s32 offset:184 ; 4-byte Folded Spill
	s_and_saveexec_b64 s[24:25], s[26:27]
	s_cbranch_execz .LBB216_75
; %bb.70:                               ;   in Loop: Header=BB216_9 Depth=1
	v_bfrev_b32_e32 v3, 1
	v_mov_b32_e32 v4, 0
	v_cmp_ne_u16_sdwa s[28:29], v0, s19 src0_sel:BYTE_0 src1_sel:DWORD
	buffer_store_dword v3, off, s[0:3], s32 offset:180 ; 4-byte Folded Spill
	s_nop 0
	buffer_store_dword v4, off, s[0:3], s32 offset:184 ; 4-byte Folded Spill
	s_and_saveexec_b64 s[26:27], s[28:29]
	s_cbranch_execz .LBB216_74
; %bb.71:                               ;   in Loop: Header=BB216_9 Depth=1
	v_and_b32_e32 v3, 0x7f, v0
	v_mov_b32_e32 v4, 0x7f800001
	v_mov_b32_e32 v5, 0
	v_cmp_ne_u32_e32 vcc, s40, v3
	buffer_store_dword v4, off, s[0:3], s32 offset:180 ; 4-byte Folded Spill
	s_nop 0
	buffer_store_dword v5, off, s[0:3], s32 offset:184 ; 4-byte Folded Spill
	s_and_saveexec_b64 s[28:29], vcc
	s_cbranch_execz .LBB216_73
; %bb.72:                               ;   in Loop: Header=BB216_9 Depth=1
	v_and_b32_e32 v5, 7, v0
	v_lshrrev_b32_e32 v6, 3, v3
	v_cmp_gt_u32_e32 vcc, 8, v3
	v_ffbh_u32_e32 v3, v5
	v_min_u32_e32 v7, 32, v3
	v_subrev_u32_e32 v3, 28, v7
	v_lshlrev_b64 v[3:4], v3, v[0:1]
	v_sub_u32_e32 v4, 29, v7
	v_and_b32_e32 v3, 7, v3
	v_cndmask_b32_e32 v4, v6, v4, vcc
	v_cndmask_b32_e32 v3, v5, v3, vcc
	v_bfrev_b32_e32 v6, 60
	v_lshlrev_b32_e32 v3, 20, v3
	v_and_b32_sdwa v5, sext(v0), s41 dst_sel:DWORD dst_unused:UNUSED_PAD src0_sel:BYTE_0 src1_sel:DWORD
	v_lshl_add_u32 v4, v4, 23, v6
	v_or3_b32 v3, v5, v4, v3
	v_mov_b32_e32 v4, v22
	buffer_store_dword v3, off, s[0:3], s32 offset:180 ; 4-byte Folded Spill
	s_nop 0
	buffer_store_dword v4, off, s[0:3], s32 offset:184 ; 4-byte Folded Spill
.LBB216_73:                             ;   in Loop: Header=BB216_9 Depth=1
	s_or_b64 exec, exec, s[28:29]
.LBB216_74:                             ;   in Loop: Header=BB216_9 Depth=1
	s_or_b64 exec, exec, s[26:27]
.LBB216_75:                             ;   in Loop: Header=BB216_9 Depth=1
	s_or_b64 exec, exec, s[24:25]
	v_cmp_ne_u16_sdwa s[26:27], v0, v22 src0_sel:BYTE_1 src1_sel:DWORD
	s_and_saveexec_b64 s[24:25], s[26:27]
	s_cbranch_execz .LBB216_81
; %bb.76:                               ;   in Loop: Header=BB216_9 Depth=1
	v_cmp_ne_u16_sdwa s[28:29], v0, s19 src0_sel:BYTE_1 src1_sel:DWORD
	buffer_store_dword v22, off, s[0:3], s32 offset:188 ; 4-byte Folded Spill
	s_nop 0
	buffer_store_dword v23, off, s[0:3], s32 offset:192 ; 4-byte Folded Spill
	s_and_saveexec_b64 s[26:27], s[28:29]
	s_cbranch_execz .LBB216_80
; %bb.77:                               ;   in Loop: Header=BB216_9 Depth=1
	buffer_load_dword v4, off, s[0:3], s32 offset:64 ; 4-byte Folded Reload
	buffer_load_dword v5, off, s[0:3], s32 offset:68 ; 4-byte Folded Reload
	v_and_b32_sdwa v3, v0, s40 dst_sel:DWORD dst_unused:UNUSED_PAD src0_sel:BYTE_1 src1_sel:DWORD
	v_cmp_ne_u32_e32 vcc, s40, v3
	s_waitcnt vmcnt(1)
	v_mov_b32_e32 v4, v22
	s_waitcnt vmcnt(0)
	v_mov_b32_e32 v6, v5
	buffer_store_dword v5, off, s[0:3], s32 offset:64 ; 4-byte Folded Spill
	s_nop 0
	buffer_store_dword v6, off, s[0:3], s32 offset:68 ; 4-byte Folded Spill
	buffer_store_dword v4, off, s[0:3], s32 offset:188 ; 4-byte Folded Spill
	s_nop 0
	buffer_store_dword v5, off, s[0:3], s32 offset:192 ; 4-byte Folded Spill
	s_and_saveexec_b64 s[28:29], vcc
	s_cbranch_execz .LBB216_79
; %bb.78:                               ;   in Loop: Header=BB216_9 Depth=1
	v_mov_b32_e32 v4, 7
	v_and_b32_sdwa v4, v0, v4 dst_sel:DWORD dst_unused:UNUSED_PAD src0_sel:BYTE_1 src1_sel:DWORD
	v_lshrrev_b32_e32 v7, 3, v3
	v_cmp_gt_u32_e32 vcc, 8, v3
	v_ffbh_u32_e32 v3, v4
	v_min_u32_e32 v3, 32, v3
	v_mov_b32_e32 v5, v22
	v_subrev_u32_e32 v6, 28, v3
	v_lshlrev_b64 v[5:6], v6, v[4:5]
	v_sub_u32_e32 v3, 29, v3
	v_and_b32_e32 v5, 7, v5
	v_cndmask_b32_e32 v3, v7, v3, vcc
	v_cndmask_b32_e32 v4, v4, v5, vcc
	v_bfrev_b32_e32 v5, 60
	v_lshlrev_b32_e32 v0, 16, v0
	v_lshl_add_u32 v3, v3, 23, v5
	v_and_or_b32 v0, v0, s41, v3
	v_lshlrev_b32_e32 v3, 20, v4
	v_or_b32_e32 v4, v0, v3
	v_mov_b32_e32 v3, v22
	buffer_store_dword v3, off, s[0:3], s32 offset:188 ; 4-byte Folded Spill
	s_nop 0
	buffer_store_dword v4, off, s[0:3], s32 offset:192 ; 4-byte Folded Spill
.LBB216_79:                             ;   in Loop: Header=BB216_9 Depth=1
	s_or_b64 exec, exec, s[28:29]
.LBB216_80:                             ;   in Loop: Header=BB216_9 Depth=1
	s_or_b64 exec, exec, s[26:27]
.LBB216_81:                             ;   in Loop: Header=BB216_9 Depth=1
	s_or_b64 exec, exec, s[24:25]
	flat_load_ushort v3, v[1:2] offset:520
	s_waitcnt vmcnt(0) lgkmcnt(0)
	v_and_b32_e32 v0, 0xffff, v3
	v_cmp_ne_u16_sdwa s[26:27], v3, v22 src0_sel:BYTE_0 src1_sel:DWORD
	v_mov_b32_e32 v3, 0
	v_mov_b32_e32 v4, 0
	buffer_store_dword v3, off, s[0:3], s32 offset:204 ; 4-byte Folded Spill
	s_nop 0
	buffer_store_dword v4, off, s[0:3], s32 offset:208 ; 4-byte Folded Spill
	v_mov_b32_e32 v3, 0
	v_mov_b32_e32 v4, 0
	buffer_store_dword v3, off, s[0:3], s32 offset:196 ; 4-byte Folded Spill
	s_nop 0
	buffer_store_dword v4, off, s[0:3], s32 offset:200 ; 4-byte Folded Spill
	s_and_saveexec_b64 s[24:25], s[26:27]
	s_cbranch_execz .LBB216_87
; %bb.82:                               ;   in Loop: Header=BB216_9 Depth=1
	v_bfrev_b32_e32 v3, 1
	v_mov_b32_e32 v4, 0
	v_cmp_ne_u16_sdwa s[28:29], v0, s19 src0_sel:BYTE_0 src1_sel:DWORD
	buffer_store_dword v3, off, s[0:3], s32 offset:196 ; 4-byte Folded Spill
	s_nop 0
	buffer_store_dword v4, off, s[0:3], s32 offset:200 ; 4-byte Folded Spill
	s_and_saveexec_b64 s[26:27], s[28:29]
	s_cbranch_execz .LBB216_86
; %bb.83:                               ;   in Loop: Header=BB216_9 Depth=1
	v_and_b32_e32 v3, 0x7f, v0
	v_mov_b32_e32 v4, 0x7f800001
	v_mov_b32_e32 v5, 0
	v_cmp_ne_u32_e32 vcc, s40, v3
	buffer_store_dword v4, off, s[0:3], s32 offset:196 ; 4-byte Folded Spill
	s_nop 0
	buffer_store_dword v5, off, s[0:3], s32 offset:200 ; 4-byte Folded Spill
	s_and_saveexec_b64 s[28:29], vcc
	s_cbranch_execz .LBB216_85
; %bb.84:                               ;   in Loop: Header=BB216_9 Depth=1
	v_and_b32_e32 v5, 7, v0
	v_lshrrev_b32_e32 v6, 3, v3
	v_cmp_gt_u32_e32 vcc, 8, v3
	v_ffbh_u32_e32 v3, v5
	v_min_u32_e32 v7, 32, v3
	v_subrev_u32_e32 v3, 28, v7
	v_lshlrev_b64 v[3:4], v3, v[0:1]
	v_sub_u32_e32 v4, 29, v7
	v_and_b32_e32 v3, 7, v3
	v_cndmask_b32_e32 v4, v6, v4, vcc
	v_cndmask_b32_e32 v3, v5, v3, vcc
	v_bfrev_b32_e32 v6, 60
	v_lshlrev_b32_e32 v3, 20, v3
	v_and_b32_sdwa v5, sext(v0), s41 dst_sel:DWORD dst_unused:UNUSED_PAD src0_sel:BYTE_0 src1_sel:DWORD
	v_lshl_add_u32 v4, v4, 23, v6
	v_or3_b32 v3, v5, v4, v3
	v_mov_b32_e32 v4, v22
	buffer_store_dword v3, off, s[0:3], s32 offset:196 ; 4-byte Folded Spill
	s_nop 0
	buffer_store_dword v4, off, s[0:3], s32 offset:200 ; 4-byte Folded Spill
.LBB216_85:                             ;   in Loop: Header=BB216_9 Depth=1
	s_or_b64 exec, exec, s[28:29]
.LBB216_86:                             ;   in Loop: Header=BB216_9 Depth=1
	s_or_b64 exec, exec, s[26:27]
.LBB216_87:                             ;   in Loop: Header=BB216_9 Depth=1
	s_or_b64 exec, exec, s[24:25]
	v_cmp_ne_u16_sdwa s[26:27], v0, v22 src0_sel:BYTE_1 src1_sel:DWORD
	s_and_saveexec_b64 s[24:25], s[26:27]
	s_cbranch_execz .LBB216_93
; %bb.88:                               ;   in Loop: Header=BB216_9 Depth=1
	v_cmp_ne_u16_sdwa s[28:29], v0, s19 src0_sel:BYTE_1 src1_sel:DWORD
	buffer_store_dword v22, off, s[0:3], s32 offset:204 ; 4-byte Folded Spill
	s_nop 0
	buffer_store_dword v23, off, s[0:3], s32 offset:208 ; 4-byte Folded Spill
	s_and_saveexec_b64 s[26:27], s[28:29]
	s_cbranch_execz .LBB216_92
; %bb.89:                               ;   in Loop: Header=BB216_9 Depth=1
	buffer_load_dword v4, off, s[0:3], s32 offset:64 ; 4-byte Folded Reload
	buffer_load_dword v5, off, s[0:3], s32 offset:68 ; 4-byte Folded Reload
	v_and_b32_sdwa v3, v0, s40 dst_sel:DWORD dst_unused:UNUSED_PAD src0_sel:BYTE_1 src1_sel:DWORD
	v_cmp_ne_u32_e32 vcc, s40, v3
	s_waitcnt vmcnt(1)
	v_mov_b32_e32 v4, v22
	s_waitcnt vmcnt(0)
	v_mov_b32_e32 v6, v5
	buffer_store_dword v5, off, s[0:3], s32 offset:64 ; 4-byte Folded Spill
	s_nop 0
	buffer_store_dword v6, off, s[0:3], s32 offset:68 ; 4-byte Folded Spill
	buffer_store_dword v4, off, s[0:3], s32 offset:204 ; 4-byte Folded Spill
	s_nop 0
	buffer_store_dword v5, off, s[0:3], s32 offset:208 ; 4-byte Folded Spill
	s_and_saveexec_b64 s[28:29], vcc
	s_cbranch_execz .LBB216_91
; %bb.90:                               ;   in Loop: Header=BB216_9 Depth=1
	v_mov_b32_e32 v4, 7
	v_and_b32_sdwa v4, v0, v4 dst_sel:DWORD dst_unused:UNUSED_PAD src0_sel:BYTE_1 src1_sel:DWORD
	v_lshrrev_b32_e32 v7, 3, v3
	v_cmp_gt_u32_e32 vcc, 8, v3
	v_ffbh_u32_e32 v3, v4
	v_min_u32_e32 v3, 32, v3
	v_mov_b32_e32 v5, v22
	v_subrev_u32_e32 v6, 28, v3
	v_lshlrev_b64 v[5:6], v6, v[4:5]
	v_sub_u32_e32 v3, 29, v3
	v_and_b32_e32 v5, 7, v5
	v_cndmask_b32_e32 v3, v7, v3, vcc
	v_cndmask_b32_e32 v4, v4, v5, vcc
	v_bfrev_b32_e32 v5, 60
	v_lshlrev_b32_e32 v0, 16, v0
	v_lshl_add_u32 v3, v3, 23, v5
	v_and_or_b32 v0, v0, s41, v3
	v_lshlrev_b32_e32 v3, 20, v4
	v_or_b32_e32 v4, v0, v3
	v_mov_b32_e32 v3, v22
	buffer_store_dword v3, off, s[0:3], s32 offset:204 ; 4-byte Folded Spill
	s_nop 0
	buffer_store_dword v4, off, s[0:3], s32 offset:208 ; 4-byte Folded Spill
.LBB216_91:                             ;   in Loop: Header=BB216_9 Depth=1
	s_or_b64 exec, exec, s[28:29]
.LBB216_92:                             ;   in Loop: Header=BB216_9 Depth=1
	s_or_b64 exec, exec, s[26:27]
.LBB216_93:                             ;   in Loop: Header=BB216_9 Depth=1
	s_or_b64 exec, exec, s[24:25]
	flat_load_ushort v3, v[1:2] offset:524
	s_waitcnt vmcnt(0) lgkmcnt(0)
	v_and_b32_e32 v0, 0xffff, v3
	v_cmp_ne_u16_sdwa s[26:27], v3, v22 src0_sel:BYTE_0 src1_sel:DWORD
	v_mov_b32_e32 v3, 0
	v_mov_b32_e32 v4, 0
	buffer_store_dword v3, off, s[0:3], s32 offset:220 ; 4-byte Folded Spill
	s_nop 0
	buffer_store_dword v4, off, s[0:3], s32 offset:224 ; 4-byte Folded Spill
	v_mov_b32_e32 v3, 0
	v_mov_b32_e32 v4, 0
	buffer_store_dword v3, off, s[0:3], s32 offset:212 ; 4-byte Folded Spill
	s_nop 0
	buffer_store_dword v4, off, s[0:3], s32 offset:216 ; 4-byte Folded Spill
	s_and_saveexec_b64 s[24:25], s[26:27]
	s_cbranch_execz .LBB216_99
; %bb.94:                               ;   in Loop: Header=BB216_9 Depth=1
	v_bfrev_b32_e32 v3, 1
	v_mov_b32_e32 v4, 0
	v_cmp_ne_u16_sdwa s[28:29], v0, s19 src0_sel:BYTE_0 src1_sel:DWORD
	buffer_store_dword v3, off, s[0:3], s32 offset:212 ; 4-byte Folded Spill
	s_nop 0
	buffer_store_dword v4, off, s[0:3], s32 offset:216 ; 4-byte Folded Spill
	s_and_saveexec_b64 s[26:27], s[28:29]
	s_cbranch_execz .LBB216_98
; %bb.95:                               ;   in Loop: Header=BB216_9 Depth=1
	v_and_b32_e32 v3, 0x7f, v0
	v_mov_b32_e32 v4, 0x7f800001
	v_mov_b32_e32 v5, 0
	v_cmp_ne_u32_e32 vcc, s40, v3
	buffer_store_dword v4, off, s[0:3], s32 offset:212 ; 4-byte Folded Spill
	s_nop 0
	buffer_store_dword v5, off, s[0:3], s32 offset:216 ; 4-byte Folded Spill
	s_and_saveexec_b64 s[28:29], vcc
	s_cbranch_execz .LBB216_97
; %bb.96:                               ;   in Loop: Header=BB216_9 Depth=1
	v_and_b32_e32 v5, 7, v0
	v_lshrrev_b32_e32 v6, 3, v3
	v_cmp_gt_u32_e32 vcc, 8, v3
	v_ffbh_u32_e32 v3, v5
	v_min_u32_e32 v7, 32, v3
	v_subrev_u32_e32 v3, 28, v7
	v_lshlrev_b64 v[3:4], v3, v[0:1]
	v_sub_u32_e32 v4, 29, v7
	v_and_b32_e32 v3, 7, v3
	v_cndmask_b32_e32 v4, v6, v4, vcc
	v_cndmask_b32_e32 v3, v5, v3, vcc
	v_bfrev_b32_e32 v6, 60
	v_lshlrev_b32_e32 v3, 20, v3
	v_and_b32_sdwa v5, sext(v0), s41 dst_sel:DWORD dst_unused:UNUSED_PAD src0_sel:BYTE_0 src1_sel:DWORD
	v_lshl_add_u32 v4, v4, 23, v6
	v_or3_b32 v3, v5, v4, v3
	v_mov_b32_e32 v4, v22
	buffer_store_dword v3, off, s[0:3], s32 offset:212 ; 4-byte Folded Spill
	s_nop 0
	buffer_store_dword v4, off, s[0:3], s32 offset:216 ; 4-byte Folded Spill
.LBB216_97:                             ;   in Loop: Header=BB216_9 Depth=1
	s_or_b64 exec, exec, s[28:29]
.LBB216_98:                             ;   in Loop: Header=BB216_9 Depth=1
	s_or_b64 exec, exec, s[26:27]
.LBB216_99:                             ;   in Loop: Header=BB216_9 Depth=1
	s_or_b64 exec, exec, s[24:25]
	v_cmp_ne_u16_sdwa s[26:27], v0, v22 src0_sel:BYTE_1 src1_sel:DWORD
	s_and_saveexec_b64 s[24:25], s[26:27]
	s_cbranch_execz .LBB216_105
; %bb.100:                              ;   in Loop: Header=BB216_9 Depth=1
	v_cmp_ne_u16_sdwa s[28:29], v0, s19 src0_sel:BYTE_1 src1_sel:DWORD
	buffer_store_dword v22, off, s[0:3], s32 offset:220 ; 4-byte Folded Spill
	s_nop 0
	buffer_store_dword v23, off, s[0:3], s32 offset:224 ; 4-byte Folded Spill
	s_and_saveexec_b64 s[26:27], s[28:29]
	s_cbranch_execz .LBB216_104
; %bb.101:                              ;   in Loop: Header=BB216_9 Depth=1
	buffer_load_dword v4, off, s[0:3], s32 offset:64 ; 4-byte Folded Reload
	buffer_load_dword v5, off, s[0:3], s32 offset:68 ; 4-byte Folded Reload
	v_and_b32_sdwa v3, v0, s40 dst_sel:DWORD dst_unused:UNUSED_PAD src0_sel:BYTE_1 src1_sel:DWORD
	v_cmp_ne_u32_e32 vcc, s40, v3
	s_waitcnt vmcnt(1)
	v_mov_b32_e32 v4, v22
	s_waitcnt vmcnt(0)
	v_mov_b32_e32 v6, v5
	buffer_store_dword v5, off, s[0:3], s32 offset:64 ; 4-byte Folded Spill
	s_nop 0
	buffer_store_dword v6, off, s[0:3], s32 offset:68 ; 4-byte Folded Spill
	buffer_store_dword v4, off, s[0:3], s32 offset:220 ; 4-byte Folded Spill
	s_nop 0
	buffer_store_dword v5, off, s[0:3], s32 offset:224 ; 4-byte Folded Spill
	s_and_saveexec_b64 s[28:29], vcc
	s_cbranch_execz .LBB216_103
; %bb.102:                              ;   in Loop: Header=BB216_9 Depth=1
	v_mov_b32_e32 v4, 7
	v_and_b32_sdwa v4, v0, v4 dst_sel:DWORD dst_unused:UNUSED_PAD src0_sel:BYTE_1 src1_sel:DWORD
	v_lshrrev_b32_e32 v7, 3, v3
	v_cmp_gt_u32_e32 vcc, 8, v3
	v_ffbh_u32_e32 v3, v4
	v_min_u32_e32 v3, 32, v3
	v_mov_b32_e32 v5, v22
	v_subrev_u32_e32 v6, 28, v3
	v_lshlrev_b64 v[5:6], v6, v[4:5]
	v_sub_u32_e32 v3, 29, v3
	v_and_b32_e32 v5, 7, v5
	v_cndmask_b32_e32 v3, v7, v3, vcc
	v_cndmask_b32_e32 v4, v4, v5, vcc
	v_bfrev_b32_e32 v5, 60
	v_lshlrev_b32_e32 v0, 16, v0
	v_lshl_add_u32 v3, v3, 23, v5
	v_and_or_b32 v0, v0, s41, v3
	v_lshlrev_b32_e32 v3, 20, v4
	v_or_b32_e32 v4, v0, v3
	v_mov_b32_e32 v3, v22
	buffer_store_dword v3, off, s[0:3], s32 offset:220 ; 4-byte Folded Spill
	s_nop 0
	buffer_store_dword v4, off, s[0:3], s32 offset:224 ; 4-byte Folded Spill
.LBB216_103:                            ;   in Loop: Header=BB216_9 Depth=1
	s_or_b64 exec, exec, s[28:29]
.LBB216_104:                            ;   in Loop: Header=BB216_9 Depth=1
	s_or_b64 exec, exec, s[26:27]
.LBB216_105:                            ;   in Loop: Header=BB216_9 Depth=1
	s_or_b64 exec, exec, s[24:25]
	flat_load_ushort v3, v[1:2] offset:1024
	s_waitcnt vmcnt(0) lgkmcnt(0)
	v_and_b32_e32 v0, 0xffff, v3
	v_cmp_ne_u16_sdwa s[26:27], v3, v22 src0_sel:BYTE_0 src1_sel:DWORD
	v_mov_b32_e32 v3, 0
	v_mov_b32_e32 v4, 0
	buffer_store_dword v3, off, s[0:3], s32 offset:236 ; 4-byte Folded Spill
	s_nop 0
	buffer_store_dword v4, off, s[0:3], s32 offset:240 ; 4-byte Folded Spill
	v_mov_b32_e32 v3, 0
	v_mov_b32_e32 v4, 0
	buffer_store_dword v3, off, s[0:3], s32 offset:228 ; 4-byte Folded Spill
	s_nop 0
	buffer_store_dword v4, off, s[0:3], s32 offset:232 ; 4-byte Folded Spill
	s_and_saveexec_b64 s[24:25], s[26:27]
	s_cbranch_execz .LBB216_111
; %bb.106:                              ;   in Loop: Header=BB216_9 Depth=1
	v_bfrev_b32_e32 v3, 1
	v_mov_b32_e32 v4, 0
	v_cmp_ne_u16_sdwa s[28:29], v0, s19 src0_sel:BYTE_0 src1_sel:DWORD
	buffer_store_dword v3, off, s[0:3], s32 offset:228 ; 4-byte Folded Spill
	s_nop 0
	buffer_store_dword v4, off, s[0:3], s32 offset:232 ; 4-byte Folded Spill
	s_and_saveexec_b64 s[26:27], s[28:29]
	s_cbranch_execz .LBB216_110
; %bb.107:                              ;   in Loop: Header=BB216_9 Depth=1
	v_and_b32_e32 v3, 0x7f, v0
	v_mov_b32_e32 v4, 0x7f800001
	v_mov_b32_e32 v5, 0
	v_cmp_ne_u32_e32 vcc, s40, v3
	buffer_store_dword v4, off, s[0:3], s32 offset:228 ; 4-byte Folded Spill
	s_nop 0
	buffer_store_dword v5, off, s[0:3], s32 offset:232 ; 4-byte Folded Spill
	s_and_saveexec_b64 s[28:29], vcc
	s_cbranch_execz .LBB216_109
; %bb.108:                              ;   in Loop: Header=BB216_9 Depth=1
	v_and_b32_e32 v5, 7, v0
	v_lshrrev_b32_e32 v6, 3, v3
	v_cmp_gt_u32_e32 vcc, 8, v3
	v_ffbh_u32_e32 v3, v5
	v_min_u32_e32 v7, 32, v3
	v_subrev_u32_e32 v3, 28, v7
	v_lshlrev_b64 v[3:4], v3, v[0:1]
	v_sub_u32_e32 v4, 29, v7
	v_and_b32_e32 v3, 7, v3
	v_cndmask_b32_e32 v4, v6, v4, vcc
	v_cndmask_b32_e32 v3, v5, v3, vcc
	v_bfrev_b32_e32 v6, 60
	v_lshlrev_b32_e32 v3, 20, v3
	v_and_b32_sdwa v5, sext(v0), s41 dst_sel:DWORD dst_unused:UNUSED_PAD src0_sel:BYTE_0 src1_sel:DWORD
	v_lshl_add_u32 v4, v4, 23, v6
	v_or3_b32 v3, v5, v4, v3
	v_mov_b32_e32 v4, v22
	buffer_store_dword v3, off, s[0:3], s32 offset:228 ; 4-byte Folded Spill
	s_nop 0
	buffer_store_dword v4, off, s[0:3], s32 offset:232 ; 4-byte Folded Spill
.LBB216_109:                            ;   in Loop: Header=BB216_9 Depth=1
	s_or_b64 exec, exec, s[28:29]
.LBB216_110:                            ;   in Loop: Header=BB216_9 Depth=1
	s_or_b64 exec, exec, s[26:27]
.LBB216_111:                            ;   in Loop: Header=BB216_9 Depth=1
	s_or_b64 exec, exec, s[24:25]
	v_cmp_ne_u16_sdwa s[26:27], v0, v22 src0_sel:BYTE_1 src1_sel:DWORD
	s_and_saveexec_b64 s[24:25], s[26:27]
	s_cbranch_execz .LBB216_117
; %bb.112:                              ;   in Loop: Header=BB216_9 Depth=1
	v_cmp_ne_u16_sdwa s[28:29], v0, s19 src0_sel:BYTE_1 src1_sel:DWORD
	buffer_store_dword v22, off, s[0:3], s32 offset:236 ; 4-byte Folded Spill
	s_nop 0
	buffer_store_dword v23, off, s[0:3], s32 offset:240 ; 4-byte Folded Spill
	s_and_saveexec_b64 s[26:27], s[28:29]
	s_cbranch_execz .LBB216_116
; %bb.113:                              ;   in Loop: Header=BB216_9 Depth=1
	buffer_load_dword v4, off, s[0:3], s32 offset:64 ; 4-byte Folded Reload
	buffer_load_dword v5, off, s[0:3], s32 offset:68 ; 4-byte Folded Reload
	v_and_b32_sdwa v3, v0, s40 dst_sel:DWORD dst_unused:UNUSED_PAD src0_sel:BYTE_1 src1_sel:DWORD
	v_cmp_ne_u32_e32 vcc, s40, v3
	s_waitcnt vmcnt(1)
	v_mov_b32_e32 v4, v22
	s_waitcnt vmcnt(0)
	v_mov_b32_e32 v6, v5
	buffer_store_dword v5, off, s[0:3], s32 offset:64 ; 4-byte Folded Spill
	s_nop 0
	buffer_store_dword v6, off, s[0:3], s32 offset:68 ; 4-byte Folded Spill
	buffer_store_dword v4, off, s[0:3], s32 offset:236 ; 4-byte Folded Spill
	s_nop 0
	buffer_store_dword v5, off, s[0:3], s32 offset:240 ; 4-byte Folded Spill
	s_and_saveexec_b64 s[28:29], vcc
	s_cbranch_execz .LBB216_115
; %bb.114:                              ;   in Loop: Header=BB216_9 Depth=1
	v_mov_b32_e32 v4, 7
	v_and_b32_sdwa v4, v0, v4 dst_sel:DWORD dst_unused:UNUSED_PAD src0_sel:BYTE_1 src1_sel:DWORD
	v_lshrrev_b32_e32 v7, 3, v3
	v_cmp_gt_u32_e32 vcc, 8, v3
	v_ffbh_u32_e32 v3, v4
	v_min_u32_e32 v3, 32, v3
	v_mov_b32_e32 v5, v22
	v_subrev_u32_e32 v6, 28, v3
	v_lshlrev_b64 v[5:6], v6, v[4:5]
	v_sub_u32_e32 v3, 29, v3
	v_and_b32_e32 v5, 7, v5
	v_cndmask_b32_e32 v3, v7, v3, vcc
	v_cndmask_b32_e32 v4, v4, v5, vcc
	v_bfrev_b32_e32 v5, 60
	v_lshlrev_b32_e32 v0, 16, v0
	v_lshl_add_u32 v3, v3, 23, v5
	v_and_or_b32 v0, v0, s41, v3
	v_lshlrev_b32_e32 v3, 20, v4
	v_or_b32_e32 v4, v0, v3
	v_mov_b32_e32 v3, v22
	buffer_store_dword v3, off, s[0:3], s32 offset:236 ; 4-byte Folded Spill
	s_nop 0
	buffer_store_dword v4, off, s[0:3], s32 offset:240 ; 4-byte Folded Spill
.LBB216_115:                            ;   in Loop: Header=BB216_9 Depth=1
	s_or_b64 exec, exec, s[28:29]
.LBB216_116:                            ;   in Loop: Header=BB216_9 Depth=1
	s_or_b64 exec, exec, s[26:27]
.LBB216_117:                            ;   in Loop: Header=BB216_9 Depth=1
	s_or_b64 exec, exec, s[24:25]
	flat_load_ushort v3, v[1:2] offset:1028
	s_waitcnt vmcnt(0) lgkmcnt(0)
	v_and_b32_e32 v0, 0xffff, v3
	v_cmp_ne_u16_sdwa s[26:27], v3, v22 src0_sel:BYTE_0 src1_sel:DWORD
	v_mov_b32_e32 v3, 0
	v_mov_b32_e32 v4, 0
	buffer_store_dword v3, off, s[0:3], s32 offset:252 ; 4-byte Folded Spill
	s_nop 0
	buffer_store_dword v4, off, s[0:3], s32 offset:256 ; 4-byte Folded Spill
	v_mov_b32_e32 v3, 0
	v_mov_b32_e32 v4, 0
	buffer_store_dword v3, off, s[0:3], s32 offset:244 ; 4-byte Folded Spill
	s_nop 0
	buffer_store_dword v4, off, s[0:3], s32 offset:248 ; 4-byte Folded Spill
	s_and_saveexec_b64 s[24:25], s[26:27]
	s_cbranch_execz .LBB216_123
; %bb.118:                              ;   in Loop: Header=BB216_9 Depth=1
	v_bfrev_b32_e32 v3, 1
	v_mov_b32_e32 v4, 0
	v_cmp_ne_u16_sdwa s[28:29], v0, s19 src0_sel:BYTE_0 src1_sel:DWORD
	buffer_store_dword v3, off, s[0:3], s32 offset:244 ; 4-byte Folded Spill
	s_nop 0
	buffer_store_dword v4, off, s[0:3], s32 offset:248 ; 4-byte Folded Spill
	s_and_saveexec_b64 s[26:27], s[28:29]
	s_cbranch_execz .LBB216_122
; %bb.119:                              ;   in Loop: Header=BB216_9 Depth=1
	v_and_b32_e32 v3, 0x7f, v0
	v_mov_b32_e32 v4, 0x7f800001
	v_mov_b32_e32 v5, 0
	v_cmp_ne_u32_e32 vcc, s40, v3
	buffer_store_dword v4, off, s[0:3], s32 offset:244 ; 4-byte Folded Spill
	s_nop 0
	buffer_store_dword v5, off, s[0:3], s32 offset:248 ; 4-byte Folded Spill
	s_and_saveexec_b64 s[28:29], vcc
	s_cbranch_execz .LBB216_121
; %bb.120:                              ;   in Loop: Header=BB216_9 Depth=1
	v_and_b32_e32 v5, 7, v0
	v_lshrrev_b32_e32 v6, 3, v3
	v_cmp_gt_u32_e32 vcc, 8, v3
	v_ffbh_u32_e32 v3, v5
	v_min_u32_e32 v7, 32, v3
	v_subrev_u32_e32 v3, 28, v7
	v_lshlrev_b64 v[3:4], v3, v[0:1]
	v_sub_u32_e32 v4, 29, v7
	v_and_b32_e32 v3, 7, v3
	v_cndmask_b32_e32 v4, v6, v4, vcc
	v_cndmask_b32_e32 v3, v5, v3, vcc
	v_bfrev_b32_e32 v6, 60
	v_lshlrev_b32_e32 v3, 20, v3
	v_and_b32_sdwa v5, sext(v0), s41 dst_sel:DWORD dst_unused:UNUSED_PAD src0_sel:BYTE_0 src1_sel:DWORD
	v_lshl_add_u32 v4, v4, 23, v6
	v_or3_b32 v3, v5, v4, v3
	v_mov_b32_e32 v4, v22
	buffer_store_dword v3, off, s[0:3], s32 offset:244 ; 4-byte Folded Spill
	s_nop 0
	buffer_store_dword v4, off, s[0:3], s32 offset:248 ; 4-byte Folded Spill
.LBB216_121:                            ;   in Loop: Header=BB216_9 Depth=1
	s_or_b64 exec, exec, s[28:29]
.LBB216_122:                            ;   in Loop: Header=BB216_9 Depth=1
	s_or_b64 exec, exec, s[26:27]
.LBB216_123:                            ;   in Loop: Header=BB216_9 Depth=1
	s_or_b64 exec, exec, s[24:25]
	v_cmp_ne_u16_sdwa s[26:27], v0, v22 src0_sel:BYTE_1 src1_sel:DWORD
	s_and_saveexec_b64 s[24:25], s[26:27]
	s_cbranch_execz .LBB216_129
; %bb.124:                              ;   in Loop: Header=BB216_9 Depth=1
	v_cmp_ne_u16_sdwa s[28:29], v0, s19 src0_sel:BYTE_1 src1_sel:DWORD
	buffer_store_dword v22, off, s[0:3], s32 offset:252 ; 4-byte Folded Spill
	s_nop 0
	buffer_store_dword v23, off, s[0:3], s32 offset:256 ; 4-byte Folded Spill
	s_and_saveexec_b64 s[26:27], s[28:29]
	s_cbranch_execz .LBB216_128
; %bb.125:                              ;   in Loop: Header=BB216_9 Depth=1
	buffer_load_dword v4, off, s[0:3], s32 offset:64 ; 4-byte Folded Reload
	buffer_load_dword v5, off, s[0:3], s32 offset:68 ; 4-byte Folded Reload
	v_and_b32_sdwa v3, v0, s40 dst_sel:DWORD dst_unused:UNUSED_PAD src0_sel:BYTE_1 src1_sel:DWORD
	v_cmp_ne_u32_e32 vcc, s40, v3
	s_waitcnt vmcnt(1)
	v_mov_b32_e32 v4, v22
	s_waitcnt vmcnt(0)
	v_mov_b32_e32 v6, v5
	buffer_store_dword v5, off, s[0:3], s32 offset:64 ; 4-byte Folded Spill
	s_nop 0
	buffer_store_dword v6, off, s[0:3], s32 offset:68 ; 4-byte Folded Spill
	buffer_store_dword v4, off, s[0:3], s32 offset:252 ; 4-byte Folded Spill
	s_nop 0
	buffer_store_dword v5, off, s[0:3], s32 offset:256 ; 4-byte Folded Spill
	s_and_saveexec_b64 s[28:29], vcc
	s_cbranch_execz .LBB216_127
; %bb.126:                              ;   in Loop: Header=BB216_9 Depth=1
	v_mov_b32_e32 v4, 7
	v_and_b32_sdwa v4, v0, v4 dst_sel:DWORD dst_unused:UNUSED_PAD src0_sel:BYTE_1 src1_sel:DWORD
	v_lshrrev_b32_e32 v7, 3, v3
	v_cmp_gt_u32_e32 vcc, 8, v3
	v_ffbh_u32_e32 v3, v4
	v_min_u32_e32 v3, 32, v3
	v_mov_b32_e32 v5, v22
	v_subrev_u32_e32 v6, 28, v3
	v_lshlrev_b64 v[5:6], v6, v[4:5]
	v_sub_u32_e32 v3, 29, v3
	v_and_b32_e32 v5, 7, v5
	v_cndmask_b32_e32 v3, v7, v3, vcc
	v_cndmask_b32_e32 v4, v4, v5, vcc
	v_bfrev_b32_e32 v5, 60
	v_lshlrev_b32_e32 v0, 16, v0
	v_lshl_add_u32 v3, v3, 23, v5
	v_and_or_b32 v0, v0, s41, v3
	v_lshlrev_b32_e32 v3, 20, v4
	v_or_b32_e32 v4, v0, v3
	v_mov_b32_e32 v3, v22
	buffer_store_dword v3, off, s[0:3], s32 offset:252 ; 4-byte Folded Spill
	s_nop 0
	buffer_store_dword v4, off, s[0:3], s32 offset:256 ; 4-byte Folded Spill
.LBB216_127:                            ;   in Loop: Header=BB216_9 Depth=1
	s_or_b64 exec, exec, s[28:29]
.LBB216_128:                            ;   in Loop: Header=BB216_9 Depth=1
	s_or_b64 exec, exec, s[26:27]
.LBB216_129:                            ;   in Loop: Header=BB216_9 Depth=1
	s_or_b64 exec, exec, s[24:25]
	flat_load_ushort v3, v[1:2] offset:1032
	s_waitcnt vmcnt(0) lgkmcnt(0)
	v_and_b32_e32 v0, 0xffff, v3
	v_cmp_ne_u16_sdwa s[26:27], v3, v22 src0_sel:BYTE_0 src1_sel:DWORD
	v_mov_b32_e32 v3, 0
	v_mov_b32_e32 v4, 0
	buffer_store_dword v3, off, s[0:3], s32 offset:268 ; 4-byte Folded Spill
	s_nop 0
	buffer_store_dword v4, off, s[0:3], s32 offset:272 ; 4-byte Folded Spill
	v_mov_b32_e32 v3, 0
	v_mov_b32_e32 v4, 0
	buffer_store_dword v3, off, s[0:3], s32 offset:260 ; 4-byte Folded Spill
	s_nop 0
	buffer_store_dword v4, off, s[0:3], s32 offset:264 ; 4-byte Folded Spill
	s_and_saveexec_b64 s[24:25], s[26:27]
	s_cbranch_execz .LBB216_135
; %bb.130:                              ;   in Loop: Header=BB216_9 Depth=1
	v_bfrev_b32_e32 v3, 1
	v_mov_b32_e32 v4, 0
	v_cmp_ne_u16_sdwa s[28:29], v0, s19 src0_sel:BYTE_0 src1_sel:DWORD
	buffer_store_dword v3, off, s[0:3], s32 offset:260 ; 4-byte Folded Spill
	s_nop 0
	buffer_store_dword v4, off, s[0:3], s32 offset:264 ; 4-byte Folded Spill
	s_and_saveexec_b64 s[26:27], s[28:29]
	s_cbranch_execz .LBB216_134
; %bb.131:                              ;   in Loop: Header=BB216_9 Depth=1
	v_and_b32_e32 v3, 0x7f, v0
	v_mov_b32_e32 v4, 0x7f800001
	v_mov_b32_e32 v5, 0
	v_cmp_ne_u32_e32 vcc, s40, v3
	buffer_store_dword v4, off, s[0:3], s32 offset:260 ; 4-byte Folded Spill
	s_nop 0
	buffer_store_dword v5, off, s[0:3], s32 offset:264 ; 4-byte Folded Spill
	s_and_saveexec_b64 s[28:29], vcc
	s_cbranch_execz .LBB216_133
; %bb.132:                              ;   in Loop: Header=BB216_9 Depth=1
	v_and_b32_e32 v5, 7, v0
	v_lshrrev_b32_e32 v6, 3, v3
	v_cmp_gt_u32_e32 vcc, 8, v3
	v_ffbh_u32_e32 v3, v5
	v_min_u32_e32 v7, 32, v3
	v_subrev_u32_e32 v3, 28, v7
	v_lshlrev_b64 v[3:4], v3, v[0:1]
	v_sub_u32_e32 v4, 29, v7
	v_and_b32_e32 v3, 7, v3
	v_cndmask_b32_e32 v4, v6, v4, vcc
	v_cndmask_b32_e32 v3, v5, v3, vcc
	v_bfrev_b32_e32 v6, 60
	v_lshlrev_b32_e32 v3, 20, v3
	v_and_b32_sdwa v5, sext(v0), s41 dst_sel:DWORD dst_unused:UNUSED_PAD src0_sel:BYTE_0 src1_sel:DWORD
	v_lshl_add_u32 v4, v4, 23, v6
	v_or3_b32 v3, v5, v4, v3
	v_mov_b32_e32 v4, v22
	buffer_store_dword v3, off, s[0:3], s32 offset:260 ; 4-byte Folded Spill
	s_nop 0
	buffer_store_dword v4, off, s[0:3], s32 offset:264 ; 4-byte Folded Spill
.LBB216_133:                            ;   in Loop: Header=BB216_9 Depth=1
	s_or_b64 exec, exec, s[28:29]
.LBB216_134:                            ;   in Loop: Header=BB216_9 Depth=1
	s_or_b64 exec, exec, s[26:27]
.LBB216_135:                            ;   in Loop: Header=BB216_9 Depth=1
	s_or_b64 exec, exec, s[24:25]
	v_cmp_ne_u16_sdwa s[26:27], v0, v22 src0_sel:BYTE_1 src1_sel:DWORD
	s_and_saveexec_b64 s[24:25], s[26:27]
	s_cbranch_execz .LBB216_141
; %bb.136:                              ;   in Loop: Header=BB216_9 Depth=1
	v_cmp_ne_u16_sdwa s[28:29], v0, s19 src0_sel:BYTE_1 src1_sel:DWORD
	buffer_store_dword v22, off, s[0:3], s32 offset:268 ; 4-byte Folded Spill
	s_nop 0
	buffer_store_dword v23, off, s[0:3], s32 offset:272 ; 4-byte Folded Spill
	s_and_saveexec_b64 s[26:27], s[28:29]
	s_cbranch_execz .LBB216_140
; %bb.137:                              ;   in Loop: Header=BB216_9 Depth=1
	buffer_load_dword v4, off, s[0:3], s32 offset:64 ; 4-byte Folded Reload
	buffer_load_dword v5, off, s[0:3], s32 offset:68 ; 4-byte Folded Reload
	v_and_b32_sdwa v3, v0, s40 dst_sel:DWORD dst_unused:UNUSED_PAD src0_sel:BYTE_1 src1_sel:DWORD
	v_cmp_ne_u32_e32 vcc, s40, v3
	s_waitcnt vmcnt(1)
	v_mov_b32_e32 v4, v22
	s_waitcnt vmcnt(0)
	v_mov_b32_e32 v6, v5
	buffer_store_dword v5, off, s[0:3], s32 offset:64 ; 4-byte Folded Spill
	s_nop 0
	buffer_store_dword v6, off, s[0:3], s32 offset:68 ; 4-byte Folded Spill
	buffer_store_dword v4, off, s[0:3], s32 offset:268 ; 4-byte Folded Spill
	s_nop 0
	buffer_store_dword v5, off, s[0:3], s32 offset:272 ; 4-byte Folded Spill
	s_and_saveexec_b64 s[28:29], vcc
	s_cbranch_execz .LBB216_139
; %bb.138:                              ;   in Loop: Header=BB216_9 Depth=1
	v_mov_b32_e32 v4, 7
	v_and_b32_sdwa v4, v0, v4 dst_sel:DWORD dst_unused:UNUSED_PAD src0_sel:BYTE_1 src1_sel:DWORD
	v_lshrrev_b32_e32 v7, 3, v3
	v_cmp_gt_u32_e32 vcc, 8, v3
	v_ffbh_u32_e32 v3, v4
	v_min_u32_e32 v3, 32, v3
	v_mov_b32_e32 v5, v22
	v_subrev_u32_e32 v6, 28, v3
	v_lshlrev_b64 v[5:6], v6, v[4:5]
	v_sub_u32_e32 v3, 29, v3
	v_and_b32_e32 v5, 7, v5
	v_cndmask_b32_e32 v3, v7, v3, vcc
	v_cndmask_b32_e32 v4, v4, v5, vcc
	v_bfrev_b32_e32 v5, 60
	v_lshlrev_b32_e32 v0, 16, v0
	v_lshl_add_u32 v3, v3, 23, v5
	v_and_or_b32 v0, v0, s41, v3
	v_lshlrev_b32_e32 v3, 20, v4
	v_or_b32_e32 v4, v0, v3
	v_mov_b32_e32 v3, v22
	buffer_store_dword v3, off, s[0:3], s32 offset:268 ; 4-byte Folded Spill
	s_nop 0
	buffer_store_dword v4, off, s[0:3], s32 offset:272 ; 4-byte Folded Spill
.LBB216_139:                            ;   in Loop: Header=BB216_9 Depth=1
	s_or_b64 exec, exec, s[28:29]
.LBB216_140:                            ;   in Loop: Header=BB216_9 Depth=1
	s_or_b64 exec, exec, s[26:27]
.LBB216_141:                            ;   in Loop: Header=BB216_9 Depth=1
	s_or_b64 exec, exec, s[24:25]
	flat_load_ushort v3, v[1:2] offset:1036
	s_waitcnt vmcnt(0) lgkmcnt(0)
	v_and_b32_e32 v0, 0xffff, v3
	v_cmp_ne_u16_sdwa s[26:27], v3, v22 src0_sel:BYTE_0 src1_sel:DWORD
	v_mov_b32_e32 v3, 0
	v_mov_b32_e32 v4, 0
	buffer_store_dword v3, off, s[0:3], s32 offset:284 ; 4-byte Folded Spill
	s_nop 0
	buffer_store_dword v4, off, s[0:3], s32 offset:288 ; 4-byte Folded Spill
	v_mov_b32_e32 v3, 0
	v_mov_b32_e32 v4, 0
	buffer_store_dword v3, off, s[0:3], s32 offset:276 ; 4-byte Folded Spill
	s_nop 0
	buffer_store_dword v4, off, s[0:3], s32 offset:280 ; 4-byte Folded Spill
	s_and_saveexec_b64 s[24:25], s[26:27]
	s_cbranch_execz .LBB216_147
; %bb.142:                              ;   in Loop: Header=BB216_9 Depth=1
	v_bfrev_b32_e32 v3, 1
	v_mov_b32_e32 v4, 0
	v_cmp_ne_u16_sdwa s[28:29], v0, s19 src0_sel:BYTE_0 src1_sel:DWORD
	buffer_store_dword v3, off, s[0:3], s32 offset:276 ; 4-byte Folded Spill
	s_nop 0
	buffer_store_dword v4, off, s[0:3], s32 offset:280 ; 4-byte Folded Spill
	s_and_saveexec_b64 s[26:27], s[28:29]
	s_cbranch_execz .LBB216_146
; %bb.143:                              ;   in Loop: Header=BB216_9 Depth=1
	v_and_b32_e32 v3, 0x7f, v0
	v_mov_b32_e32 v4, 0x7f800001
	v_mov_b32_e32 v5, 0
	v_cmp_ne_u32_e32 vcc, s40, v3
	buffer_store_dword v4, off, s[0:3], s32 offset:276 ; 4-byte Folded Spill
	s_nop 0
	buffer_store_dword v5, off, s[0:3], s32 offset:280 ; 4-byte Folded Spill
	s_and_saveexec_b64 s[28:29], vcc
	s_cbranch_execz .LBB216_145
; %bb.144:                              ;   in Loop: Header=BB216_9 Depth=1
	v_and_b32_e32 v5, 7, v0
	v_lshrrev_b32_e32 v6, 3, v3
	v_cmp_gt_u32_e32 vcc, 8, v3
	v_ffbh_u32_e32 v3, v5
	v_min_u32_e32 v7, 32, v3
	v_subrev_u32_e32 v3, 28, v7
	v_lshlrev_b64 v[3:4], v3, v[0:1]
	v_sub_u32_e32 v4, 29, v7
	v_and_b32_e32 v3, 7, v3
	v_cndmask_b32_e32 v4, v6, v4, vcc
	v_cndmask_b32_e32 v3, v5, v3, vcc
	v_bfrev_b32_e32 v6, 60
	v_lshlrev_b32_e32 v3, 20, v3
	v_and_b32_sdwa v5, sext(v0), s41 dst_sel:DWORD dst_unused:UNUSED_PAD src0_sel:BYTE_0 src1_sel:DWORD
	v_lshl_add_u32 v4, v4, 23, v6
	v_or3_b32 v3, v5, v4, v3
	v_mov_b32_e32 v4, v22
	buffer_store_dword v3, off, s[0:3], s32 offset:276 ; 4-byte Folded Spill
	s_nop 0
	buffer_store_dword v4, off, s[0:3], s32 offset:280 ; 4-byte Folded Spill
.LBB216_145:                            ;   in Loop: Header=BB216_9 Depth=1
	s_or_b64 exec, exec, s[28:29]
.LBB216_146:                            ;   in Loop: Header=BB216_9 Depth=1
	s_or_b64 exec, exec, s[26:27]
.LBB216_147:                            ;   in Loop: Header=BB216_9 Depth=1
	s_or_b64 exec, exec, s[24:25]
	v_cmp_ne_u16_sdwa s[26:27], v0, v22 src0_sel:BYTE_1 src1_sel:DWORD
	s_and_saveexec_b64 s[24:25], s[26:27]
	s_cbranch_execz .LBB216_153
; %bb.148:                              ;   in Loop: Header=BB216_9 Depth=1
	v_cmp_ne_u16_sdwa s[28:29], v0, s19 src0_sel:BYTE_1 src1_sel:DWORD
	buffer_store_dword v22, off, s[0:3], s32 offset:284 ; 4-byte Folded Spill
	s_nop 0
	buffer_store_dword v23, off, s[0:3], s32 offset:288 ; 4-byte Folded Spill
	s_and_saveexec_b64 s[26:27], s[28:29]
	s_cbranch_execz .LBB216_152
; %bb.149:                              ;   in Loop: Header=BB216_9 Depth=1
	buffer_load_dword v4, off, s[0:3], s32 offset:64 ; 4-byte Folded Reload
	buffer_load_dword v5, off, s[0:3], s32 offset:68 ; 4-byte Folded Reload
	v_and_b32_sdwa v3, v0, s40 dst_sel:DWORD dst_unused:UNUSED_PAD src0_sel:BYTE_1 src1_sel:DWORD
	v_cmp_ne_u32_e32 vcc, s40, v3
	s_waitcnt vmcnt(1)
	v_mov_b32_e32 v4, v22
	s_waitcnt vmcnt(0)
	v_mov_b32_e32 v6, v5
	buffer_store_dword v5, off, s[0:3], s32 offset:64 ; 4-byte Folded Spill
	s_nop 0
	buffer_store_dword v6, off, s[0:3], s32 offset:68 ; 4-byte Folded Spill
	buffer_store_dword v4, off, s[0:3], s32 offset:284 ; 4-byte Folded Spill
	s_nop 0
	buffer_store_dword v5, off, s[0:3], s32 offset:288 ; 4-byte Folded Spill
	s_and_saveexec_b64 s[28:29], vcc
	s_cbranch_execz .LBB216_151
; %bb.150:                              ;   in Loop: Header=BB216_9 Depth=1
	v_mov_b32_e32 v4, 7
	v_and_b32_sdwa v4, v0, v4 dst_sel:DWORD dst_unused:UNUSED_PAD src0_sel:BYTE_1 src1_sel:DWORD
	v_lshrrev_b32_e32 v7, 3, v3
	v_cmp_gt_u32_e32 vcc, 8, v3
	v_ffbh_u32_e32 v3, v4
	v_min_u32_e32 v3, 32, v3
	v_mov_b32_e32 v5, v22
	v_subrev_u32_e32 v6, 28, v3
	v_lshlrev_b64 v[5:6], v6, v[4:5]
	v_sub_u32_e32 v3, 29, v3
	v_and_b32_e32 v5, 7, v5
	v_cndmask_b32_e32 v3, v7, v3, vcc
	v_cndmask_b32_e32 v4, v4, v5, vcc
	v_bfrev_b32_e32 v5, 60
	v_lshlrev_b32_e32 v0, 16, v0
	v_lshl_add_u32 v3, v3, 23, v5
	v_and_or_b32 v0, v0, s41, v3
	v_lshlrev_b32_e32 v3, 20, v4
	v_or_b32_e32 v4, v0, v3
	v_mov_b32_e32 v3, v22
	buffer_store_dword v3, off, s[0:3], s32 offset:284 ; 4-byte Folded Spill
	s_nop 0
	buffer_store_dword v4, off, s[0:3], s32 offset:288 ; 4-byte Folded Spill
.LBB216_151:                            ;   in Loop: Header=BB216_9 Depth=1
	s_or_b64 exec, exec, s[28:29]
.LBB216_152:                            ;   in Loop: Header=BB216_9 Depth=1
	s_or_b64 exec, exec, s[26:27]
.LBB216_153:                            ;   in Loop: Header=BB216_9 Depth=1
	s_or_b64 exec, exec, s[24:25]
	flat_load_ushort v3, v[1:2] offset:1536
	s_waitcnt vmcnt(0) lgkmcnt(0)
	v_and_b32_e32 v0, 0xffff, v3
	v_cmp_ne_u16_sdwa s[26:27], v3, v22 src0_sel:BYTE_0 src1_sel:DWORD
	v_mov_b32_e32 v3, 0
	v_mov_b32_e32 v4, 0
	buffer_store_dword v3, off, s[0:3], s32 offset:300 ; 4-byte Folded Spill
	s_nop 0
	buffer_store_dword v4, off, s[0:3], s32 offset:304 ; 4-byte Folded Spill
	v_mov_b32_e32 v3, 0
	v_mov_b32_e32 v4, 0
	buffer_store_dword v3, off, s[0:3], s32 offset:292 ; 4-byte Folded Spill
	s_nop 0
	buffer_store_dword v4, off, s[0:3], s32 offset:296 ; 4-byte Folded Spill
	s_and_saveexec_b64 s[24:25], s[26:27]
	s_cbranch_execz .LBB216_159
; %bb.154:                              ;   in Loop: Header=BB216_9 Depth=1
	v_bfrev_b32_e32 v3, 1
	v_mov_b32_e32 v4, 0
	v_cmp_ne_u16_sdwa s[28:29], v0, s19 src0_sel:BYTE_0 src1_sel:DWORD
	buffer_store_dword v3, off, s[0:3], s32 offset:292 ; 4-byte Folded Spill
	s_nop 0
	buffer_store_dword v4, off, s[0:3], s32 offset:296 ; 4-byte Folded Spill
	s_and_saveexec_b64 s[26:27], s[28:29]
	s_cbranch_execz .LBB216_158
; %bb.155:                              ;   in Loop: Header=BB216_9 Depth=1
	v_and_b32_e32 v3, 0x7f, v0
	v_mov_b32_e32 v4, 0x7f800001
	v_mov_b32_e32 v5, 0
	v_cmp_ne_u32_e32 vcc, s40, v3
	buffer_store_dword v4, off, s[0:3], s32 offset:292 ; 4-byte Folded Spill
	s_nop 0
	buffer_store_dword v5, off, s[0:3], s32 offset:296 ; 4-byte Folded Spill
	s_and_saveexec_b64 s[28:29], vcc
	s_cbranch_execz .LBB216_157
; %bb.156:                              ;   in Loop: Header=BB216_9 Depth=1
	v_and_b32_e32 v5, 7, v0
	v_lshrrev_b32_e32 v6, 3, v3
	v_cmp_gt_u32_e32 vcc, 8, v3
	v_ffbh_u32_e32 v3, v5
	v_min_u32_e32 v7, 32, v3
	v_subrev_u32_e32 v3, 28, v7
	v_lshlrev_b64 v[3:4], v3, v[0:1]
	v_sub_u32_e32 v4, 29, v7
	v_and_b32_e32 v3, 7, v3
	v_cndmask_b32_e32 v4, v6, v4, vcc
	v_cndmask_b32_e32 v3, v5, v3, vcc
	v_bfrev_b32_e32 v6, 60
	v_lshlrev_b32_e32 v3, 20, v3
	v_and_b32_sdwa v5, sext(v0), s41 dst_sel:DWORD dst_unused:UNUSED_PAD src0_sel:BYTE_0 src1_sel:DWORD
	v_lshl_add_u32 v4, v4, 23, v6
	v_or3_b32 v3, v5, v4, v3
	v_mov_b32_e32 v4, v22
	buffer_store_dword v3, off, s[0:3], s32 offset:292 ; 4-byte Folded Spill
	s_nop 0
	buffer_store_dword v4, off, s[0:3], s32 offset:296 ; 4-byte Folded Spill
.LBB216_157:                            ;   in Loop: Header=BB216_9 Depth=1
	s_or_b64 exec, exec, s[28:29]
.LBB216_158:                            ;   in Loop: Header=BB216_9 Depth=1
	s_or_b64 exec, exec, s[26:27]
.LBB216_159:                            ;   in Loop: Header=BB216_9 Depth=1
	s_or_b64 exec, exec, s[24:25]
	v_cmp_ne_u16_sdwa s[26:27], v0, v22 src0_sel:BYTE_1 src1_sel:DWORD
	s_and_saveexec_b64 s[24:25], s[26:27]
	s_cbranch_execz .LBB216_165
; %bb.160:                              ;   in Loop: Header=BB216_9 Depth=1
	v_cmp_ne_u16_sdwa s[28:29], v0, s19 src0_sel:BYTE_1 src1_sel:DWORD
	buffer_store_dword v22, off, s[0:3], s32 offset:300 ; 4-byte Folded Spill
	s_nop 0
	buffer_store_dword v23, off, s[0:3], s32 offset:304 ; 4-byte Folded Spill
	s_and_saveexec_b64 s[26:27], s[28:29]
	s_cbranch_execz .LBB216_164
; %bb.161:                              ;   in Loop: Header=BB216_9 Depth=1
	buffer_load_dword v4, off, s[0:3], s32 offset:64 ; 4-byte Folded Reload
	buffer_load_dword v5, off, s[0:3], s32 offset:68 ; 4-byte Folded Reload
	v_and_b32_sdwa v3, v0, s40 dst_sel:DWORD dst_unused:UNUSED_PAD src0_sel:BYTE_1 src1_sel:DWORD
	v_cmp_ne_u32_e32 vcc, s40, v3
	s_waitcnt vmcnt(1)
	v_mov_b32_e32 v4, v22
	s_waitcnt vmcnt(0)
	v_mov_b32_e32 v6, v5
	buffer_store_dword v5, off, s[0:3], s32 offset:64 ; 4-byte Folded Spill
	s_nop 0
	buffer_store_dword v6, off, s[0:3], s32 offset:68 ; 4-byte Folded Spill
	buffer_store_dword v4, off, s[0:3], s32 offset:300 ; 4-byte Folded Spill
	s_nop 0
	buffer_store_dword v5, off, s[0:3], s32 offset:304 ; 4-byte Folded Spill
	s_and_saveexec_b64 s[28:29], vcc
	s_cbranch_execz .LBB216_163
; %bb.162:                              ;   in Loop: Header=BB216_9 Depth=1
	v_mov_b32_e32 v4, 7
	v_and_b32_sdwa v4, v0, v4 dst_sel:DWORD dst_unused:UNUSED_PAD src0_sel:BYTE_1 src1_sel:DWORD
	v_lshrrev_b32_e32 v7, 3, v3
	v_cmp_gt_u32_e32 vcc, 8, v3
	v_ffbh_u32_e32 v3, v4
	v_min_u32_e32 v3, 32, v3
	v_mov_b32_e32 v5, v22
	v_subrev_u32_e32 v6, 28, v3
	v_lshlrev_b64 v[5:6], v6, v[4:5]
	v_sub_u32_e32 v3, 29, v3
	v_and_b32_e32 v5, 7, v5
	v_cndmask_b32_e32 v3, v7, v3, vcc
	v_cndmask_b32_e32 v4, v4, v5, vcc
	v_bfrev_b32_e32 v5, 60
	v_lshlrev_b32_e32 v0, 16, v0
	v_lshl_add_u32 v3, v3, 23, v5
	v_and_or_b32 v0, v0, s41, v3
	v_lshlrev_b32_e32 v3, 20, v4
	v_or_b32_e32 v4, v0, v3
	v_mov_b32_e32 v3, v22
	buffer_store_dword v3, off, s[0:3], s32 offset:300 ; 4-byte Folded Spill
	s_nop 0
	buffer_store_dword v4, off, s[0:3], s32 offset:304 ; 4-byte Folded Spill
.LBB216_163:                            ;   in Loop: Header=BB216_9 Depth=1
	s_or_b64 exec, exec, s[28:29]
.LBB216_164:                            ;   in Loop: Header=BB216_9 Depth=1
	s_or_b64 exec, exec, s[26:27]
.LBB216_165:                            ;   in Loop: Header=BB216_9 Depth=1
	s_or_b64 exec, exec, s[24:25]
	flat_load_ushort v3, v[1:2] offset:1540
	s_waitcnt vmcnt(0) lgkmcnt(0)
	v_and_b32_e32 v0, 0xffff, v3
	v_cmp_ne_u16_sdwa s[26:27], v3, v22 src0_sel:BYTE_0 src1_sel:DWORD
	v_mov_b32_e32 v3, 0
	v_mov_b32_e32 v4, 0
	buffer_store_dword v3, off, s[0:3], s32 offset:316 ; 4-byte Folded Spill
	s_nop 0
	buffer_store_dword v4, off, s[0:3], s32 offset:320 ; 4-byte Folded Spill
	v_mov_b32_e32 v3, 0
	v_mov_b32_e32 v4, 0
	buffer_store_dword v3, off, s[0:3], s32 offset:308 ; 4-byte Folded Spill
	s_nop 0
	buffer_store_dword v4, off, s[0:3], s32 offset:312 ; 4-byte Folded Spill
	s_and_saveexec_b64 s[24:25], s[26:27]
	s_cbranch_execz .LBB216_171
; %bb.166:                              ;   in Loop: Header=BB216_9 Depth=1
	v_bfrev_b32_e32 v3, 1
	v_mov_b32_e32 v4, 0
	v_cmp_ne_u16_sdwa s[28:29], v0, s19 src0_sel:BYTE_0 src1_sel:DWORD
	buffer_store_dword v3, off, s[0:3], s32 offset:308 ; 4-byte Folded Spill
	s_nop 0
	buffer_store_dword v4, off, s[0:3], s32 offset:312 ; 4-byte Folded Spill
	s_and_saveexec_b64 s[26:27], s[28:29]
	s_cbranch_execz .LBB216_170
; %bb.167:                              ;   in Loop: Header=BB216_9 Depth=1
	v_and_b32_e32 v3, 0x7f, v0
	v_mov_b32_e32 v4, 0x7f800001
	v_mov_b32_e32 v5, 0
	v_cmp_ne_u32_e32 vcc, s40, v3
	buffer_store_dword v4, off, s[0:3], s32 offset:308 ; 4-byte Folded Spill
	s_nop 0
	buffer_store_dword v5, off, s[0:3], s32 offset:312 ; 4-byte Folded Spill
	s_and_saveexec_b64 s[28:29], vcc
	s_cbranch_execz .LBB216_169
; %bb.168:                              ;   in Loop: Header=BB216_9 Depth=1
	v_and_b32_e32 v5, 7, v0
	v_lshrrev_b32_e32 v6, 3, v3
	v_cmp_gt_u32_e32 vcc, 8, v3
	v_ffbh_u32_e32 v3, v5
	v_min_u32_e32 v7, 32, v3
	v_subrev_u32_e32 v3, 28, v7
	v_lshlrev_b64 v[3:4], v3, v[0:1]
	v_sub_u32_e32 v4, 29, v7
	v_and_b32_e32 v3, 7, v3
	v_cndmask_b32_e32 v4, v6, v4, vcc
	v_cndmask_b32_e32 v3, v5, v3, vcc
	v_bfrev_b32_e32 v6, 60
	v_lshlrev_b32_e32 v3, 20, v3
	v_and_b32_sdwa v5, sext(v0), s41 dst_sel:DWORD dst_unused:UNUSED_PAD src0_sel:BYTE_0 src1_sel:DWORD
	v_lshl_add_u32 v4, v4, 23, v6
	v_or3_b32 v3, v5, v4, v3
	v_mov_b32_e32 v4, v22
	buffer_store_dword v3, off, s[0:3], s32 offset:308 ; 4-byte Folded Spill
	s_nop 0
	buffer_store_dword v4, off, s[0:3], s32 offset:312 ; 4-byte Folded Spill
.LBB216_169:                            ;   in Loop: Header=BB216_9 Depth=1
	s_or_b64 exec, exec, s[28:29]
.LBB216_170:                            ;   in Loop: Header=BB216_9 Depth=1
	s_or_b64 exec, exec, s[26:27]
.LBB216_171:                            ;   in Loop: Header=BB216_9 Depth=1
	s_or_b64 exec, exec, s[24:25]
	v_cmp_ne_u16_sdwa s[26:27], v0, v22 src0_sel:BYTE_1 src1_sel:DWORD
	s_and_saveexec_b64 s[24:25], s[26:27]
	s_cbranch_execz .LBB216_177
; %bb.172:                              ;   in Loop: Header=BB216_9 Depth=1
	v_cmp_ne_u16_sdwa s[28:29], v0, s19 src0_sel:BYTE_1 src1_sel:DWORD
	buffer_store_dword v22, off, s[0:3], s32 offset:316 ; 4-byte Folded Spill
	s_nop 0
	buffer_store_dword v23, off, s[0:3], s32 offset:320 ; 4-byte Folded Spill
	s_and_saveexec_b64 s[26:27], s[28:29]
	s_cbranch_execz .LBB216_176
; %bb.173:                              ;   in Loop: Header=BB216_9 Depth=1
	buffer_load_dword v4, off, s[0:3], s32 offset:64 ; 4-byte Folded Reload
	buffer_load_dword v5, off, s[0:3], s32 offset:68 ; 4-byte Folded Reload
	v_and_b32_sdwa v3, v0, s40 dst_sel:DWORD dst_unused:UNUSED_PAD src0_sel:BYTE_1 src1_sel:DWORD
	v_cmp_ne_u32_e32 vcc, s40, v3
	s_waitcnt vmcnt(1)
	v_mov_b32_e32 v4, v22
	s_waitcnt vmcnt(0)
	v_mov_b32_e32 v6, v5
	buffer_store_dword v5, off, s[0:3], s32 offset:64 ; 4-byte Folded Spill
	s_nop 0
	buffer_store_dword v6, off, s[0:3], s32 offset:68 ; 4-byte Folded Spill
	buffer_store_dword v4, off, s[0:3], s32 offset:316 ; 4-byte Folded Spill
	s_nop 0
	buffer_store_dword v5, off, s[0:3], s32 offset:320 ; 4-byte Folded Spill
	s_and_saveexec_b64 s[28:29], vcc
	s_cbranch_execz .LBB216_175
; %bb.174:                              ;   in Loop: Header=BB216_9 Depth=1
	v_mov_b32_e32 v4, 7
	v_and_b32_sdwa v4, v0, v4 dst_sel:DWORD dst_unused:UNUSED_PAD src0_sel:BYTE_1 src1_sel:DWORD
	v_lshrrev_b32_e32 v7, 3, v3
	v_cmp_gt_u32_e32 vcc, 8, v3
	v_ffbh_u32_e32 v3, v4
	v_min_u32_e32 v3, 32, v3
	v_mov_b32_e32 v5, v22
	v_subrev_u32_e32 v6, 28, v3
	v_lshlrev_b64 v[5:6], v6, v[4:5]
	v_sub_u32_e32 v3, 29, v3
	v_and_b32_e32 v5, 7, v5
	v_cndmask_b32_e32 v3, v7, v3, vcc
	v_cndmask_b32_e32 v4, v4, v5, vcc
	v_bfrev_b32_e32 v5, 60
	v_lshlrev_b32_e32 v0, 16, v0
	v_lshl_add_u32 v3, v3, 23, v5
	v_and_or_b32 v0, v0, s41, v3
	v_lshlrev_b32_e32 v3, 20, v4
	v_or_b32_e32 v4, v0, v3
	v_mov_b32_e32 v3, v22
	buffer_store_dword v3, off, s[0:3], s32 offset:316 ; 4-byte Folded Spill
	s_nop 0
	buffer_store_dword v4, off, s[0:3], s32 offset:320 ; 4-byte Folded Spill
.LBB216_175:                            ;   in Loop: Header=BB216_9 Depth=1
	s_or_b64 exec, exec, s[28:29]
.LBB216_176:                            ;   in Loop: Header=BB216_9 Depth=1
	s_or_b64 exec, exec, s[26:27]
.LBB216_177:                            ;   in Loop: Header=BB216_9 Depth=1
	s_or_b64 exec, exec, s[24:25]
	flat_load_ushort v3, v[1:2] offset:1544
	s_waitcnt vmcnt(0) lgkmcnt(0)
	v_and_b32_e32 v0, 0xffff, v3
	v_cmp_ne_u16_sdwa s[26:27], v3, v22 src0_sel:BYTE_0 src1_sel:DWORD
	v_mov_b32_e32 v3, 0
	v_mov_b32_e32 v4, 0
	buffer_store_dword v3, off, s[0:3], s32 offset:332 ; 4-byte Folded Spill
	s_nop 0
	buffer_store_dword v4, off, s[0:3], s32 offset:336 ; 4-byte Folded Spill
	v_mov_b32_e32 v3, 0
	v_mov_b32_e32 v4, 0
	buffer_store_dword v3, off, s[0:3], s32 offset:324 ; 4-byte Folded Spill
	s_nop 0
	buffer_store_dword v4, off, s[0:3], s32 offset:328 ; 4-byte Folded Spill
	s_and_saveexec_b64 s[24:25], s[26:27]
	s_cbranch_execz .LBB216_183
; %bb.178:                              ;   in Loop: Header=BB216_9 Depth=1
	v_bfrev_b32_e32 v3, 1
	v_mov_b32_e32 v4, 0
	v_cmp_ne_u16_sdwa s[28:29], v0, s19 src0_sel:BYTE_0 src1_sel:DWORD
	buffer_store_dword v3, off, s[0:3], s32 offset:324 ; 4-byte Folded Spill
	s_nop 0
	buffer_store_dword v4, off, s[0:3], s32 offset:328 ; 4-byte Folded Spill
	s_and_saveexec_b64 s[26:27], s[28:29]
	s_cbranch_execz .LBB216_182
; %bb.179:                              ;   in Loop: Header=BB216_9 Depth=1
	v_and_b32_e32 v3, 0x7f, v0
	v_mov_b32_e32 v4, 0x7f800001
	v_mov_b32_e32 v5, 0
	v_cmp_ne_u32_e32 vcc, s40, v3
	buffer_store_dword v4, off, s[0:3], s32 offset:324 ; 4-byte Folded Spill
	s_nop 0
	buffer_store_dword v5, off, s[0:3], s32 offset:328 ; 4-byte Folded Spill
	s_and_saveexec_b64 s[28:29], vcc
	s_cbranch_execz .LBB216_181
; %bb.180:                              ;   in Loop: Header=BB216_9 Depth=1
	v_and_b32_e32 v5, 7, v0
	v_lshrrev_b32_e32 v6, 3, v3
	v_cmp_gt_u32_e32 vcc, 8, v3
	v_ffbh_u32_e32 v3, v5
	v_min_u32_e32 v7, 32, v3
	v_subrev_u32_e32 v3, 28, v7
	v_lshlrev_b64 v[3:4], v3, v[0:1]
	v_sub_u32_e32 v4, 29, v7
	v_and_b32_e32 v3, 7, v3
	v_cndmask_b32_e32 v4, v6, v4, vcc
	v_cndmask_b32_e32 v3, v5, v3, vcc
	v_bfrev_b32_e32 v6, 60
	v_lshlrev_b32_e32 v3, 20, v3
	v_and_b32_sdwa v5, sext(v0), s41 dst_sel:DWORD dst_unused:UNUSED_PAD src0_sel:BYTE_0 src1_sel:DWORD
	v_lshl_add_u32 v4, v4, 23, v6
	v_or3_b32 v3, v5, v4, v3
	v_mov_b32_e32 v4, v22
	buffer_store_dword v3, off, s[0:3], s32 offset:324 ; 4-byte Folded Spill
	s_nop 0
	buffer_store_dword v4, off, s[0:3], s32 offset:328 ; 4-byte Folded Spill
.LBB216_181:                            ;   in Loop: Header=BB216_9 Depth=1
	s_or_b64 exec, exec, s[28:29]
.LBB216_182:                            ;   in Loop: Header=BB216_9 Depth=1
	s_or_b64 exec, exec, s[26:27]
.LBB216_183:                            ;   in Loop: Header=BB216_9 Depth=1
	s_or_b64 exec, exec, s[24:25]
	v_cmp_ne_u16_sdwa s[26:27], v0, v22 src0_sel:BYTE_1 src1_sel:DWORD
	s_and_saveexec_b64 s[24:25], s[26:27]
	s_cbranch_execz .LBB216_189
; %bb.184:                              ;   in Loop: Header=BB216_9 Depth=1
	v_cmp_ne_u16_sdwa s[28:29], v0, s19 src0_sel:BYTE_1 src1_sel:DWORD
	buffer_store_dword v22, off, s[0:3], s32 offset:332 ; 4-byte Folded Spill
	s_nop 0
	buffer_store_dword v23, off, s[0:3], s32 offset:336 ; 4-byte Folded Spill
	s_and_saveexec_b64 s[26:27], s[28:29]
	s_cbranch_execz .LBB216_188
; %bb.185:                              ;   in Loop: Header=BB216_9 Depth=1
	buffer_load_dword v4, off, s[0:3], s32 offset:64 ; 4-byte Folded Reload
	buffer_load_dword v5, off, s[0:3], s32 offset:68 ; 4-byte Folded Reload
	v_and_b32_sdwa v3, v0, s40 dst_sel:DWORD dst_unused:UNUSED_PAD src0_sel:BYTE_1 src1_sel:DWORD
	v_cmp_ne_u32_e32 vcc, s40, v3
	s_waitcnt vmcnt(1)
	v_mov_b32_e32 v4, v22
	s_waitcnt vmcnt(0)
	v_mov_b32_e32 v6, v5
	buffer_store_dword v5, off, s[0:3], s32 offset:64 ; 4-byte Folded Spill
	s_nop 0
	buffer_store_dword v6, off, s[0:3], s32 offset:68 ; 4-byte Folded Spill
	buffer_store_dword v4, off, s[0:3], s32 offset:332 ; 4-byte Folded Spill
	s_nop 0
	buffer_store_dword v5, off, s[0:3], s32 offset:336 ; 4-byte Folded Spill
	s_and_saveexec_b64 s[28:29], vcc
	s_cbranch_execz .LBB216_187
; %bb.186:                              ;   in Loop: Header=BB216_9 Depth=1
	v_mov_b32_e32 v4, 7
	v_and_b32_sdwa v4, v0, v4 dst_sel:DWORD dst_unused:UNUSED_PAD src0_sel:BYTE_1 src1_sel:DWORD
	v_lshrrev_b32_e32 v7, 3, v3
	v_cmp_gt_u32_e32 vcc, 8, v3
	v_ffbh_u32_e32 v3, v4
	v_min_u32_e32 v3, 32, v3
	v_mov_b32_e32 v5, v22
	v_subrev_u32_e32 v6, 28, v3
	v_lshlrev_b64 v[5:6], v6, v[4:5]
	v_sub_u32_e32 v3, 29, v3
	v_and_b32_e32 v5, 7, v5
	v_cndmask_b32_e32 v3, v7, v3, vcc
	v_cndmask_b32_e32 v4, v4, v5, vcc
	v_bfrev_b32_e32 v5, 60
	v_lshlrev_b32_e32 v0, 16, v0
	v_lshl_add_u32 v3, v3, 23, v5
	v_and_or_b32 v0, v0, s41, v3
	v_lshlrev_b32_e32 v3, 20, v4
	v_or_b32_e32 v4, v0, v3
	v_mov_b32_e32 v3, v22
	buffer_store_dword v3, off, s[0:3], s32 offset:332 ; 4-byte Folded Spill
	s_nop 0
	buffer_store_dword v4, off, s[0:3], s32 offset:336 ; 4-byte Folded Spill
.LBB216_187:                            ;   in Loop: Header=BB216_9 Depth=1
	s_or_b64 exec, exec, s[28:29]
.LBB216_188:                            ;   in Loop: Header=BB216_9 Depth=1
	s_or_b64 exec, exec, s[26:27]
.LBB216_189:                            ;   in Loop: Header=BB216_9 Depth=1
	s_or_b64 exec, exec, s[24:25]
	flat_load_ushort v3, v[1:2] offset:1548
	s_waitcnt vmcnt(0) lgkmcnt(0)
	v_and_b32_e32 v0, 0xffff, v3
	v_cmp_ne_u16_sdwa s[26:27], v3, v22 src0_sel:BYTE_0 src1_sel:DWORD
	v_mov_b32_e32 v3, 0
	v_mov_b32_e32 v4, 0
	buffer_store_dword v3, off, s[0:3], s32 offset:348 ; 4-byte Folded Spill
	s_nop 0
	buffer_store_dword v4, off, s[0:3], s32 offset:352 ; 4-byte Folded Spill
	v_mov_b32_e32 v3, 0
	v_mov_b32_e32 v4, 0
	buffer_store_dword v3, off, s[0:3], s32 offset:340 ; 4-byte Folded Spill
	s_nop 0
	buffer_store_dword v4, off, s[0:3], s32 offset:344 ; 4-byte Folded Spill
	s_and_saveexec_b64 s[24:25], s[26:27]
	s_cbranch_execz .LBB216_195
; %bb.190:                              ;   in Loop: Header=BB216_9 Depth=1
	v_bfrev_b32_e32 v3, 1
	v_mov_b32_e32 v4, 0
	v_cmp_ne_u16_sdwa s[28:29], v0, s19 src0_sel:BYTE_0 src1_sel:DWORD
	buffer_store_dword v3, off, s[0:3], s32 offset:340 ; 4-byte Folded Spill
	s_nop 0
	buffer_store_dword v4, off, s[0:3], s32 offset:344 ; 4-byte Folded Spill
	s_and_saveexec_b64 s[26:27], s[28:29]
	s_cbranch_execz .LBB216_194
; %bb.191:                              ;   in Loop: Header=BB216_9 Depth=1
	v_and_b32_e32 v3, 0x7f, v0
	v_mov_b32_e32 v4, 0x7f800001
	v_mov_b32_e32 v5, 0
	v_cmp_ne_u32_e32 vcc, s40, v3
	buffer_store_dword v4, off, s[0:3], s32 offset:340 ; 4-byte Folded Spill
	s_nop 0
	buffer_store_dword v5, off, s[0:3], s32 offset:344 ; 4-byte Folded Spill
	s_and_saveexec_b64 s[28:29], vcc
	s_cbranch_execz .LBB216_193
; %bb.192:                              ;   in Loop: Header=BB216_9 Depth=1
	v_and_b32_e32 v5, 7, v0
	v_lshrrev_b32_e32 v6, 3, v3
	v_cmp_gt_u32_e32 vcc, 8, v3
	v_ffbh_u32_e32 v3, v5
	v_min_u32_e32 v7, 32, v3
	v_subrev_u32_e32 v3, 28, v7
	v_lshlrev_b64 v[3:4], v3, v[0:1]
	v_sub_u32_e32 v4, 29, v7
	v_and_b32_e32 v3, 7, v3
	v_cndmask_b32_e32 v4, v6, v4, vcc
	v_cndmask_b32_e32 v3, v5, v3, vcc
	v_bfrev_b32_e32 v6, 60
	v_lshlrev_b32_e32 v3, 20, v3
	v_and_b32_sdwa v5, sext(v0), s41 dst_sel:DWORD dst_unused:UNUSED_PAD src0_sel:BYTE_0 src1_sel:DWORD
	v_lshl_add_u32 v4, v4, 23, v6
	v_or3_b32 v3, v5, v4, v3
	v_mov_b32_e32 v4, v22
	buffer_store_dword v3, off, s[0:3], s32 offset:340 ; 4-byte Folded Spill
	s_nop 0
	buffer_store_dword v4, off, s[0:3], s32 offset:344 ; 4-byte Folded Spill
.LBB216_193:                            ;   in Loop: Header=BB216_9 Depth=1
	s_or_b64 exec, exec, s[28:29]
.LBB216_194:                            ;   in Loop: Header=BB216_9 Depth=1
	s_or_b64 exec, exec, s[26:27]
.LBB216_195:                            ;   in Loop: Header=BB216_9 Depth=1
	s_or_b64 exec, exec, s[24:25]
	v_cmp_ne_u16_sdwa s[26:27], v0, v22 src0_sel:BYTE_1 src1_sel:DWORD
	s_and_saveexec_b64 s[24:25], s[26:27]
	s_cbranch_execz .LBB216_201
; %bb.196:                              ;   in Loop: Header=BB216_9 Depth=1
	v_cmp_ne_u16_sdwa s[28:29], v0, s19 src0_sel:BYTE_1 src1_sel:DWORD
	buffer_store_dword v22, off, s[0:3], s32 offset:348 ; 4-byte Folded Spill
	s_nop 0
	buffer_store_dword v23, off, s[0:3], s32 offset:352 ; 4-byte Folded Spill
	s_and_saveexec_b64 s[26:27], s[28:29]
	s_cbranch_execz .LBB216_200
; %bb.197:                              ;   in Loop: Header=BB216_9 Depth=1
	buffer_load_dword v4, off, s[0:3], s32 offset:64 ; 4-byte Folded Reload
	buffer_load_dword v5, off, s[0:3], s32 offset:68 ; 4-byte Folded Reload
	v_and_b32_sdwa v3, v0, s40 dst_sel:DWORD dst_unused:UNUSED_PAD src0_sel:BYTE_1 src1_sel:DWORD
	v_cmp_ne_u32_e32 vcc, s40, v3
	s_waitcnt vmcnt(1)
	v_mov_b32_e32 v4, v22
	s_waitcnt vmcnt(0)
	v_mov_b32_e32 v6, v5
	buffer_store_dword v5, off, s[0:3], s32 offset:64 ; 4-byte Folded Spill
	s_nop 0
	buffer_store_dword v6, off, s[0:3], s32 offset:68 ; 4-byte Folded Spill
	buffer_store_dword v4, off, s[0:3], s32 offset:348 ; 4-byte Folded Spill
	s_nop 0
	buffer_store_dword v5, off, s[0:3], s32 offset:352 ; 4-byte Folded Spill
	s_and_saveexec_b64 s[28:29], vcc
	s_cbranch_execz .LBB216_199
; %bb.198:                              ;   in Loop: Header=BB216_9 Depth=1
	v_mov_b32_e32 v4, 7
	v_and_b32_sdwa v4, v0, v4 dst_sel:DWORD dst_unused:UNUSED_PAD src0_sel:BYTE_1 src1_sel:DWORD
	v_lshrrev_b32_e32 v7, 3, v3
	v_cmp_gt_u32_e32 vcc, 8, v3
	v_ffbh_u32_e32 v3, v4
	v_min_u32_e32 v3, 32, v3
	v_mov_b32_e32 v5, v22
	v_subrev_u32_e32 v6, 28, v3
	v_lshlrev_b64 v[5:6], v6, v[4:5]
	v_sub_u32_e32 v3, 29, v3
	v_and_b32_e32 v5, 7, v5
	v_cndmask_b32_e32 v3, v7, v3, vcc
	v_cndmask_b32_e32 v4, v4, v5, vcc
	v_bfrev_b32_e32 v5, 60
	v_lshlrev_b32_e32 v0, 16, v0
	v_lshl_add_u32 v3, v3, 23, v5
	v_and_or_b32 v0, v0, s41, v3
	v_lshlrev_b32_e32 v3, 20, v4
	v_or_b32_e32 v4, v0, v3
	v_mov_b32_e32 v3, v22
	buffer_store_dword v3, off, s[0:3], s32 offset:348 ; 4-byte Folded Spill
	s_nop 0
	buffer_store_dword v4, off, s[0:3], s32 offset:352 ; 4-byte Folded Spill
.LBB216_199:                            ;   in Loop: Header=BB216_9 Depth=1
	s_or_b64 exec, exec, s[28:29]
.LBB216_200:                            ;   in Loop: Header=BB216_9 Depth=1
	s_or_b64 exec, exec, s[26:27]
.LBB216_201:                            ;   in Loop: Header=BB216_9 Depth=1
	s_or_b64 exec, exec, s[24:25]
	flat_load_ushort v3, v[1:2] offset:2048
	s_waitcnt vmcnt(0) lgkmcnt(0)
	v_and_b32_e32 v0, 0xffff, v3
	v_cmp_ne_u16_sdwa s[26:27], v3, v22 src0_sel:BYTE_0 src1_sel:DWORD
	v_mov_b32_e32 v3, 0
	v_mov_b32_e32 v4, 0
	buffer_store_dword v3, off, s[0:3], s32 offset:364 ; 4-byte Folded Spill
	s_nop 0
	buffer_store_dword v4, off, s[0:3], s32 offset:368 ; 4-byte Folded Spill
	v_mov_b32_e32 v3, 0
	v_mov_b32_e32 v4, 0
	buffer_store_dword v3, off, s[0:3], s32 offset:356 ; 4-byte Folded Spill
	s_nop 0
	buffer_store_dword v4, off, s[0:3], s32 offset:360 ; 4-byte Folded Spill
	s_and_saveexec_b64 s[24:25], s[26:27]
	s_cbranch_execz .LBB216_207
; %bb.202:                              ;   in Loop: Header=BB216_9 Depth=1
	v_bfrev_b32_e32 v3, 1
	v_mov_b32_e32 v4, 0
	v_cmp_ne_u16_sdwa s[28:29], v0, s19 src0_sel:BYTE_0 src1_sel:DWORD
	buffer_store_dword v3, off, s[0:3], s32 offset:356 ; 4-byte Folded Spill
	s_nop 0
	buffer_store_dword v4, off, s[0:3], s32 offset:360 ; 4-byte Folded Spill
	s_and_saveexec_b64 s[26:27], s[28:29]
	s_cbranch_execz .LBB216_206
; %bb.203:                              ;   in Loop: Header=BB216_9 Depth=1
	v_and_b32_e32 v3, 0x7f, v0
	v_mov_b32_e32 v4, 0x7f800001
	v_mov_b32_e32 v5, 0
	v_cmp_ne_u32_e32 vcc, s40, v3
	buffer_store_dword v4, off, s[0:3], s32 offset:356 ; 4-byte Folded Spill
	s_nop 0
	buffer_store_dword v5, off, s[0:3], s32 offset:360 ; 4-byte Folded Spill
	s_and_saveexec_b64 s[28:29], vcc
	s_cbranch_execz .LBB216_205
; %bb.204:                              ;   in Loop: Header=BB216_9 Depth=1
	v_and_b32_e32 v5, 7, v0
	v_lshrrev_b32_e32 v6, 3, v3
	v_cmp_gt_u32_e32 vcc, 8, v3
	v_ffbh_u32_e32 v3, v5
	v_min_u32_e32 v7, 32, v3
	v_subrev_u32_e32 v3, 28, v7
	v_lshlrev_b64 v[3:4], v3, v[0:1]
	v_sub_u32_e32 v4, 29, v7
	v_and_b32_e32 v3, 7, v3
	v_cndmask_b32_e32 v4, v6, v4, vcc
	v_cndmask_b32_e32 v3, v5, v3, vcc
	v_bfrev_b32_e32 v6, 60
	v_lshlrev_b32_e32 v3, 20, v3
	v_and_b32_sdwa v5, sext(v0), s41 dst_sel:DWORD dst_unused:UNUSED_PAD src0_sel:BYTE_0 src1_sel:DWORD
	v_lshl_add_u32 v4, v4, 23, v6
	v_or3_b32 v3, v5, v4, v3
	v_mov_b32_e32 v4, v22
	buffer_store_dword v3, off, s[0:3], s32 offset:356 ; 4-byte Folded Spill
	s_nop 0
	buffer_store_dword v4, off, s[0:3], s32 offset:360 ; 4-byte Folded Spill
.LBB216_205:                            ;   in Loop: Header=BB216_9 Depth=1
	s_or_b64 exec, exec, s[28:29]
.LBB216_206:                            ;   in Loop: Header=BB216_9 Depth=1
	s_or_b64 exec, exec, s[26:27]
.LBB216_207:                            ;   in Loop: Header=BB216_9 Depth=1
	s_or_b64 exec, exec, s[24:25]
	v_cmp_ne_u16_sdwa s[26:27], v0, v22 src0_sel:BYTE_1 src1_sel:DWORD
	s_and_saveexec_b64 s[24:25], s[26:27]
	s_cbranch_execz .LBB216_213
; %bb.208:                              ;   in Loop: Header=BB216_9 Depth=1
	v_cmp_ne_u16_sdwa s[28:29], v0, s19 src0_sel:BYTE_1 src1_sel:DWORD
	buffer_store_dword v22, off, s[0:3], s32 offset:364 ; 4-byte Folded Spill
	s_nop 0
	buffer_store_dword v23, off, s[0:3], s32 offset:368 ; 4-byte Folded Spill
	s_and_saveexec_b64 s[26:27], s[28:29]
	s_cbranch_execz .LBB216_212
; %bb.209:                              ;   in Loop: Header=BB216_9 Depth=1
	buffer_load_dword v4, off, s[0:3], s32 offset:64 ; 4-byte Folded Reload
	buffer_load_dword v5, off, s[0:3], s32 offset:68 ; 4-byte Folded Reload
	v_and_b32_sdwa v3, v0, s40 dst_sel:DWORD dst_unused:UNUSED_PAD src0_sel:BYTE_1 src1_sel:DWORD
	v_cmp_ne_u32_e32 vcc, s40, v3
	s_waitcnt vmcnt(1)
	v_mov_b32_e32 v4, v22
	s_waitcnt vmcnt(0)
	v_mov_b32_e32 v6, v5
	buffer_store_dword v5, off, s[0:3], s32 offset:64 ; 4-byte Folded Spill
	s_nop 0
	buffer_store_dword v6, off, s[0:3], s32 offset:68 ; 4-byte Folded Spill
	buffer_store_dword v4, off, s[0:3], s32 offset:364 ; 4-byte Folded Spill
	s_nop 0
	buffer_store_dword v5, off, s[0:3], s32 offset:368 ; 4-byte Folded Spill
	s_and_saveexec_b64 s[28:29], vcc
	s_cbranch_execz .LBB216_211
; %bb.210:                              ;   in Loop: Header=BB216_9 Depth=1
	v_mov_b32_e32 v4, 7
	v_and_b32_sdwa v4, v0, v4 dst_sel:DWORD dst_unused:UNUSED_PAD src0_sel:BYTE_1 src1_sel:DWORD
	v_lshrrev_b32_e32 v7, 3, v3
	v_cmp_gt_u32_e32 vcc, 8, v3
	v_ffbh_u32_e32 v3, v4
	v_min_u32_e32 v3, 32, v3
	v_mov_b32_e32 v5, v22
	v_subrev_u32_e32 v6, 28, v3
	v_lshlrev_b64 v[5:6], v6, v[4:5]
	v_sub_u32_e32 v3, 29, v3
	v_and_b32_e32 v5, 7, v5
	v_cndmask_b32_e32 v3, v7, v3, vcc
	v_cndmask_b32_e32 v4, v4, v5, vcc
	v_bfrev_b32_e32 v5, 60
	v_lshlrev_b32_e32 v0, 16, v0
	v_lshl_add_u32 v3, v3, 23, v5
	v_and_or_b32 v0, v0, s41, v3
	v_lshlrev_b32_e32 v3, 20, v4
	v_or_b32_e32 v4, v0, v3
	v_mov_b32_e32 v3, v22
	buffer_store_dword v3, off, s[0:3], s32 offset:364 ; 4-byte Folded Spill
	s_nop 0
	buffer_store_dword v4, off, s[0:3], s32 offset:368 ; 4-byte Folded Spill
.LBB216_211:                            ;   in Loop: Header=BB216_9 Depth=1
	s_or_b64 exec, exec, s[28:29]
.LBB216_212:                            ;   in Loop: Header=BB216_9 Depth=1
	s_or_b64 exec, exec, s[26:27]
.LBB216_213:                            ;   in Loop: Header=BB216_9 Depth=1
	s_or_b64 exec, exec, s[24:25]
	flat_load_ushort v3, v[1:2] offset:2052
	s_waitcnt vmcnt(0) lgkmcnt(0)
	v_and_b32_e32 v0, 0xffff, v3
	v_cmp_ne_u16_sdwa s[26:27], v3, v22 src0_sel:BYTE_0 src1_sel:DWORD
	v_mov_b32_e32 v3, 0
	v_mov_b32_e32 v4, 0
	buffer_store_dword v3, off, s[0:3], s32 offset:380 ; 4-byte Folded Spill
	s_nop 0
	buffer_store_dword v4, off, s[0:3], s32 offset:384 ; 4-byte Folded Spill
	v_mov_b32_e32 v3, 0
	v_mov_b32_e32 v4, 0
	buffer_store_dword v3, off, s[0:3], s32 offset:372 ; 4-byte Folded Spill
	s_nop 0
	buffer_store_dword v4, off, s[0:3], s32 offset:376 ; 4-byte Folded Spill
	s_and_saveexec_b64 s[24:25], s[26:27]
	s_cbranch_execz .LBB216_219
; %bb.214:                              ;   in Loop: Header=BB216_9 Depth=1
	v_bfrev_b32_e32 v3, 1
	v_mov_b32_e32 v4, 0
	v_cmp_ne_u16_sdwa s[28:29], v0, s19 src0_sel:BYTE_0 src1_sel:DWORD
	buffer_store_dword v3, off, s[0:3], s32 offset:372 ; 4-byte Folded Spill
	s_nop 0
	buffer_store_dword v4, off, s[0:3], s32 offset:376 ; 4-byte Folded Spill
	s_and_saveexec_b64 s[26:27], s[28:29]
	s_cbranch_execz .LBB216_218
; %bb.215:                              ;   in Loop: Header=BB216_9 Depth=1
	v_and_b32_e32 v3, 0x7f, v0
	v_mov_b32_e32 v4, 0x7f800001
	v_mov_b32_e32 v5, 0
	v_cmp_ne_u32_e32 vcc, s40, v3
	buffer_store_dword v4, off, s[0:3], s32 offset:372 ; 4-byte Folded Spill
	s_nop 0
	buffer_store_dword v5, off, s[0:3], s32 offset:376 ; 4-byte Folded Spill
	s_and_saveexec_b64 s[28:29], vcc
	s_cbranch_execz .LBB216_217
; %bb.216:                              ;   in Loop: Header=BB216_9 Depth=1
	v_and_b32_e32 v5, 7, v0
	v_lshrrev_b32_e32 v6, 3, v3
	v_cmp_gt_u32_e32 vcc, 8, v3
	v_ffbh_u32_e32 v3, v5
	v_min_u32_e32 v7, 32, v3
	v_subrev_u32_e32 v3, 28, v7
	v_lshlrev_b64 v[3:4], v3, v[0:1]
	v_sub_u32_e32 v4, 29, v7
	v_and_b32_e32 v3, 7, v3
	v_cndmask_b32_e32 v4, v6, v4, vcc
	v_cndmask_b32_e32 v3, v5, v3, vcc
	v_bfrev_b32_e32 v6, 60
	v_lshlrev_b32_e32 v3, 20, v3
	v_and_b32_sdwa v5, sext(v0), s41 dst_sel:DWORD dst_unused:UNUSED_PAD src0_sel:BYTE_0 src1_sel:DWORD
	v_lshl_add_u32 v4, v4, 23, v6
	v_or3_b32 v3, v5, v4, v3
	v_mov_b32_e32 v4, v22
	buffer_store_dword v3, off, s[0:3], s32 offset:372 ; 4-byte Folded Spill
	s_nop 0
	buffer_store_dword v4, off, s[0:3], s32 offset:376 ; 4-byte Folded Spill
.LBB216_217:                            ;   in Loop: Header=BB216_9 Depth=1
	s_or_b64 exec, exec, s[28:29]
.LBB216_218:                            ;   in Loop: Header=BB216_9 Depth=1
	s_or_b64 exec, exec, s[26:27]
.LBB216_219:                            ;   in Loop: Header=BB216_9 Depth=1
	s_or_b64 exec, exec, s[24:25]
	v_cmp_ne_u16_sdwa s[26:27], v0, v22 src0_sel:BYTE_1 src1_sel:DWORD
	s_and_saveexec_b64 s[24:25], s[26:27]
	s_cbranch_execz .LBB216_225
; %bb.220:                              ;   in Loop: Header=BB216_9 Depth=1
	v_cmp_ne_u16_sdwa s[28:29], v0, s19 src0_sel:BYTE_1 src1_sel:DWORD
	buffer_store_dword v22, off, s[0:3], s32 offset:380 ; 4-byte Folded Spill
	s_nop 0
	buffer_store_dword v23, off, s[0:3], s32 offset:384 ; 4-byte Folded Spill
	s_and_saveexec_b64 s[26:27], s[28:29]
	s_cbranch_execz .LBB216_224
; %bb.221:                              ;   in Loop: Header=BB216_9 Depth=1
	buffer_load_dword v4, off, s[0:3], s32 offset:64 ; 4-byte Folded Reload
	buffer_load_dword v5, off, s[0:3], s32 offset:68 ; 4-byte Folded Reload
	v_and_b32_sdwa v3, v0, s40 dst_sel:DWORD dst_unused:UNUSED_PAD src0_sel:BYTE_1 src1_sel:DWORD
	v_cmp_ne_u32_e32 vcc, s40, v3
	s_waitcnt vmcnt(1)
	v_mov_b32_e32 v4, v22
	s_waitcnt vmcnt(0)
	v_mov_b32_e32 v6, v5
	buffer_store_dword v5, off, s[0:3], s32 offset:64 ; 4-byte Folded Spill
	s_nop 0
	buffer_store_dword v6, off, s[0:3], s32 offset:68 ; 4-byte Folded Spill
	buffer_store_dword v4, off, s[0:3], s32 offset:380 ; 4-byte Folded Spill
	s_nop 0
	buffer_store_dword v5, off, s[0:3], s32 offset:384 ; 4-byte Folded Spill
	s_and_saveexec_b64 s[28:29], vcc
	s_cbranch_execz .LBB216_223
; %bb.222:                              ;   in Loop: Header=BB216_9 Depth=1
	v_mov_b32_e32 v4, 7
	v_and_b32_sdwa v4, v0, v4 dst_sel:DWORD dst_unused:UNUSED_PAD src0_sel:BYTE_1 src1_sel:DWORD
	v_lshrrev_b32_e32 v7, 3, v3
	v_cmp_gt_u32_e32 vcc, 8, v3
	v_ffbh_u32_e32 v3, v4
	v_min_u32_e32 v3, 32, v3
	v_mov_b32_e32 v5, v22
	v_subrev_u32_e32 v6, 28, v3
	v_lshlrev_b64 v[5:6], v6, v[4:5]
	v_sub_u32_e32 v3, 29, v3
	v_and_b32_e32 v5, 7, v5
	v_cndmask_b32_e32 v3, v7, v3, vcc
	v_cndmask_b32_e32 v4, v4, v5, vcc
	v_bfrev_b32_e32 v5, 60
	v_lshlrev_b32_e32 v0, 16, v0
	v_lshl_add_u32 v3, v3, 23, v5
	v_and_or_b32 v0, v0, s41, v3
	v_lshlrev_b32_e32 v3, 20, v4
	v_or_b32_e32 v4, v0, v3
	v_mov_b32_e32 v3, v22
	buffer_store_dword v3, off, s[0:3], s32 offset:380 ; 4-byte Folded Spill
	s_nop 0
	buffer_store_dword v4, off, s[0:3], s32 offset:384 ; 4-byte Folded Spill
.LBB216_223:                            ;   in Loop: Header=BB216_9 Depth=1
	s_or_b64 exec, exec, s[28:29]
.LBB216_224:                            ;   in Loop: Header=BB216_9 Depth=1
	s_or_b64 exec, exec, s[26:27]
.LBB216_225:                            ;   in Loop: Header=BB216_9 Depth=1
	s_or_b64 exec, exec, s[24:25]
	flat_load_ushort v3, v[1:2] offset:2056
	s_waitcnt vmcnt(0) lgkmcnt(0)
	v_and_b32_e32 v0, 0xffff, v3
	v_cmp_ne_u16_sdwa s[26:27], v3, v22 src0_sel:BYTE_0 src1_sel:DWORD
	v_mov_b32_e32 v3, 0
	v_mov_b32_e32 v4, 0
	buffer_store_dword v3, off, s[0:3], s32 offset:396 ; 4-byte Folded Spill
	s_nop 0
	buffer_store_dword v4, off, s[0:3], s32 offset:400 ; 4-byte Folded Spill
	v_mov_b32_e32 v3, 0
	v_mov_b32_e32 v4, 0
	buffer_store_dword v3, off, s[0:3], s32 offset:388 ; 4-byte Folded Spill
	s_nop 0
	buffer_store_dword v4, off, s[0:3], s32 offset:392 ; 4-byte Folded Spill
	s_and_saveexec_b64 s[24:25], s[26:27]
	s_cbranch_execz .LBB216_231
; %bb.226:                              ;   in Loop: Header=BB216_9 Depth=1
	v_bfrev_b32_e32 v3, 1
	v_mov_b32_e32 v4, 0
	v_cmp_ne_u16_sdwa s[28:29], v0, s19 src0_sel:BYTE_0 src1_sel:DWORD
	buffer_store_dword v3, off, s[0:3], s32 offset:388 ; 4-byte Folded Spill
	s_nop 0
	buffer_store_dword v4, off, s[0:3], s32 offset:392 ; 4-byte Folded Spill
	s_and_saveexec_b64 s[26:27], s[28:29]
	s_cbranch_execz .LBB216_230
; %bb.227:                              ;   in Loop: Header=BB216_9 Depth=1
	v_and_b32_e32 v3, 0x7f, v0
	v_mov_b32_e32 v4, 0x7f800001
	v_mov_b32_e32 v5, 0
	v_cmp_ne_u32_e32 vcc, s40, v3
	buffer_store_dword v4, off, s[0:3], s32 offset:388 ; 4-byte Folded Spill
	s_nop 0
	buffer_store_dword v5, off, s[0:3], s32 offset:392 ; 4-byte Folded Spill
	s_and_saveexec_b64 s[28:29], vcc
	s_cbranch_execz .LBB216_229
; %bb.228:                              ;   in Loop: Header=BB216_9 Depth=1
	v_and_b32_e32 v5, 7, v0
	v_lshrrev_b32_e32 v6, 3, v3
	v_cmp_gt_u32_e32 vcc, 8, v3
	v_ffbh_u32_e32 v3, v5
	v_min_u32_e32 v7, 32, v3
	v_subrev_u32_e32 v3, 28, v7
	v_lshlrev_b64 v[3:4], v3, v[0:1]
	v_sub_u32_e32 v4, 29, v7
	v_and_b32_e32 v3, 7, v3
	v_cndmask_b32_e32 v4, v6, v4, vcc
	v_cndmask_b32_e32 v3, v5, v3, vcc
	v_bfrev_b32_e32 v6, 60
	v_lshlrev_b32_e32 v3, 20, v3
	v_and_b32_sdwa v5, sext(v0), s41 dst_sel:DWORD dst_unused:UNUSED_PAD src0_sel:BYTE_0 src1_sel:DWORD
	v_lshl_add_u32 v4, v4, 23, v6
	v_or3_b32 v3, v5, v4, v3
	v_mov_b32_e32 v4, v22
	buffer_store_dword v3, off, s[0:3], s32 offset:388 ; 4-byte Folded Spill
	s_nop 0
	buffer_store_dword v4, off, s[0:3], s32 offset:392 ; 4-byte Folded Spill
.LBB216_229:                            ;   in Loop: Header=BB216_9 Depth=1
	s_or_b64 exec, exec, s[28:29]
.LBB216_230:                            ;   in Loop: Header=BB216_9 Depth=1
	s_or_b64 exec, exec, s[26:27]
.LBB216_231:                            ;   in Loop: Header=BB216_9 Depth=1
	s_or_b64 exec, exec, s[24:25]
	v_cmp_ne_u16_sdwa s[26:27], v0, v22 src0_sel:BYTE_1 src1_sel:DWORD
	s_and_saveexec_b64 s[24:25], s[26:27]
	s_cbranch_execz .LBB216_237
; %bb.232:                              ;   in Loop: Header=BB216_9 Depth=1
	v_cmp_ne_u16_sdwa s[28:29], v0, s19 src0_sel:BYTE_1 src1_sel:DWORD
	buffer_store_dword v22, off, s[0:3], s32 offset:396 ; 4-byte Folded Spill
	s_nop 0
	buffer_store_dword v23, off, s[0:3], s32 offset:400 ; 4-byte Folded Spill
	s_and_saveexec_b64 s[26:27], s[28:29]
	s_cbranch_execz .LBB216_236
; %bb.233:                              ;   in Loop: Header=BB216_9 Depth=1
	buffer_load_dword v4, off, s[0:3], s32 offset:64 ; 4-byte Folded Reload
	buffer_load_dword v5, off, s[0:3], s32 offset:68 ; 4-byte Folded Reload
	v_and_b32_sdwa v3, v0, s40 dst_sel:DWORD dst_unused:UNUSED_PAD src0_sel:BYTE_1 src1_sel:DWORD
	v_cmp_ne_u32_e32 vcc, s40, v3
	s_waitcnt vmcnt(1)
	v_mov_b32_e32 v4, v22
	s_waitcnt vmcnt(0)
	v_mov_b32_e32 v6, v5
	buffer_store_dword v5, off, s[0:3], s32 offset:64 ; 4-byte Folded Spill
	s_nop 0
	buffer_store_dword v6, off, s[0:3], s32 offset:68 ; 4-byte Folded Spill
	buffer_store_dword v4, off, s[0:3], s32 offset:396 ; 4-byte Folded Spill
	s_nop 0
	buffer_store_dword v5, off, s[0:3], s32 offset:400 ; 4-byte Folded Spill
	s_and_saveexec_b64 s[28:29], vcc
	s_cbranch_execz .LBB216_235
; %bb.234:                              ;   in Loop: Header=BB216_9 Depth=1
	v_mov_b32_e32 v4, 7
	v_and_b32_sdwa v4, v0, v4 dst_sel:DWORD dst_unused:UNUSED_PAD src0_sel:BYTE_1 src1_sel:DWORD
	v_lshrrev_b32_e32 v7, 3, v3
	v_cmp_gt_u32_e32 vcc, 8, v3
	v_ffbh_u32_e32 v3, v4
	v_min_u32_e32 v3, 32, v3
	v_mov_b32_e32 v5, v22
	v_subrev_u32_e32 v6, 28, v3
	v_lshlrev_b64 v[5:6], v6, v[4:5]
	v_sub_u32_e32 v3, 29, v3
	v_and_b32_e32 v5, 7, v5
	v_cndmask_b32_e32 v3, v7, v3, vcc
	v_cndmask_b32_e32 v4, v4, v5, vcc
	v_bfrev_b32_e32 v5, 60
	v_lshlrev_b32_e32 v0, 16, v0
	v_lshl_add_u32 v3, v3, 23, v5
	v_and_or_b32 v0, v0, s41, v3
	v_lshlrev_b32_e32 v3, 20, v4
	v_or_b32_e32 v4, v0, v3
	v_mov_b32_e32 v3, v22
	buffer_store_dword v3, off, s[0:3], s32 offset:396 ; 4-byte Folded Spill
	s_nop 0
	buffer_store_dword v4, off, s[0:3], s32 offset:400 ; 4-byte Folded Spill
.LBB216_235:                            ;   in Loop: Header=BB216_9 Depth=1
	s_or_b64 exec, exec, s[28:29]
.LBB216_236:                            ;   in Loop: Header=BB216_9 Depth=1
	s_or_b64 exec, exec, s[26:27]
.LBB216_237:                            ;   in Loop: Header=BB216_9 Depth=1
	s_or_b64 exec, exec, s[24:25]
	flat_load_ushort v3, v[1:2] offset:2060
	s_waitcnt vmcnt(0) lgkmcnt(0)
	v_and_b32_e32 v0, 0xffff, v3
	v_cmp_ne_u16_sdwa s[26:27], v3, v22 src0_sel:BYTE_0 src1_sel:DWORD
	v_mov_b32_e32 v3, 0
	v_mov_b32_e32 v4, 0
	buffer_store_dword v3, off, s[0:3], s32 offset:412 ; 4-byte Folded Spill
	s_nop 0
	buffer_store_dword v4, off, s[0:3], s32 offset:416 ; 4-byte Folded Spill
	v_mov_b32_e32 v3, 0
	v_mov_b32_e32 v4, 0
	buffer_store_dword v3, off, s[0:3], s32 offset:404 ; 4-byte Folded Spill
	s_nop 0
	buffer_store_dword v4, off, s[0:3], s32 offset:408 ; 4-byte Folded Spill
	s_and_saveexec_b64 s[24:25], s[26:27]
	s_cbranch_execz .LBB216_243
; %bb.238:                              ;   in Loop: Header=BB216_9 Depth=1
	v_bfrev_b32_e32 v3, 1
	v_mov_b32_e32 v4, 0
	v_cmp_ne_u16_sdwa s[28:29], v0, s19 src0_sel:BYTE_0 src1_sel:DWORD
	buffer_store_dword v3, off, s[0:3], s32 offset:404 ; 4-byte Folded Spill
	s_nop 0
	buffer_store_dword v4, off, s[0:3], s32 offset:408 ; 4-byte Folded Spill
	s_and_saveexec_b64 s[26:27], s[28:29]
	s_cbranch_execz .LBB216_242
; %bb.239:                              ;   in Loop: Header=BB216_9 Depth=1
	v_and_b32_e32 v3, 0x7f, v0
	v_mov_b32_e32 v4, 0x7f800001
	v_mov_b32_e32 v5, 0
	v_cmp_ne_u32_e32 vcc, s40, v3
	buffer_store_dword v4, off, s[0:3], s32 offset:404 ; 4-byte Folded Spill
	s_nop 0
	buffer_store_dword v5, off, s[0:3], s32 offset:408 ; 4-byte Folded Spill
	s_and_saveexec_b64 s[28:29], vcc
	s_cbranch_execz .LBB216_241
; %bb.240:                              ;   in Loop: Header=BB216_9 Depth=1
	v_and_b32_e32 v5, 7, v0
	v_lshrrev_b32_e32 v6, 3, v3
	v_cmp_gt_u32_e32 vcc, 8, v3
	v_ffbh_u32_e32 v3, v5
	v_min_u32_e32 v7, 32, v3
	v_subrev_u32_e32 v3, 28, v7
	v_lshlrev_b64 v[3:4], v3, v[0:1]
	v_sub_u32_e32 v4, 29, v7
	v_and_b32_e32 v3, 7, v3
	v_cndmask_b32_e32 v4, v6, v4, vcc
	v_cndmask_b32_e32 v3, v5, v3, vcc
	v_bfrev_b32_e32 v6, 60
	v_lshlrev_b32_e32 v3, 20, v3
	v_and_b32_sdwa v5, sext(v0), s41 dst_sel:DWORD dst_unused:UNUSED_PAD src0_sel:BYTE_0 src1_sel:DWORD
	v_lshl_add_u32 v4, v4, 23, v6
	v_or3_b32 v3, v5, v4, v3
	v_mov_b32_e32 v4, v22
	buffer_store_dword v3, off, s[0:3], s32 offset:404 ; 4-byte Folded Spill
	s_nop 0
	buffer_store_dword v4, off, s[0:3], s32 offset:408 ; 4-byte Folded Spill
.LBB216_241:                            ;   in Loop: Header=BB216_9 Depth=1
	s_or_b64 exec, exec, s[28:29]
.LBB216_242:                            ;   in Loop: Header=BB216_9 Depth=1
	s_or_b64 exec, exec, s[26:27]
.LBB216_243:                            ;   in Loop: Header=BB216_9 Depth=1
	s_or_b64 exec, exec, s[24:25]
	v_cmp_ne_u16_sdwa s[26:27], v0, v22 src0_sel:BYTE_1 src1_sel:DWORD
	s_and_saveexec_b64 s[24:25], s[26:27]
	s_cbranch_execz .LBB216_249
; %bb.244:                              ;   in Loop: Header=BB216_9 Depth=1
	v_cmp_ne_u16_sdwa s[28:29], v0, s19 src0_sel:BYTE_1 src1_sel:DWORD
	buffer_store_dword v22, off, s[0:3], s32 offset:412 ; 4-byte Folded Spill
	s_nop 0
	buffer_store_dword v23, off, s[0:3], s32 offset:416 ; 4-byte Folded Spill
	s_and_saveexec_b64 s[26:27], s[28:29]
	s_cbranch_execz .LBB216_248
; %bb.245:                              ;   in Loop: Header=BB216_9 Depth=1
	buffer_load_dword v4, off, s[0:3], s32 offset:64 ; 4-byte Folded Reload
	buffer_load_dword v5, off, s[0:3], s32 offset:68 ; 4-byte Folded Reload
	v_and_b32_sdwa v3, v0, s40 dst_sel:DWORD dst_unused:UNUSED_PAD src0_sel:BYTE_1 src1_sel:DWORD
	v_cmp_ne_u32_e32 vcc, s40, v3
	s_waitcnt vmcnt(1)
	v_mov_b32_e32 v4, v22
	s_waitcnt vmcnt(0)
	v_mov_b32_e32 v6, v5
	buffer_store_dword v5, off, s[0:3], s32 offset:64 ; 4-byte Folded Spill
	s_nop 0
	buffer_store_dword v6, off, s[0:3], s32 offset:68 ; 4-byte Folded Spill
	buffer_store_dword v4, off, s[0:3], s32 offset:412 ; 4-byte Folded Spill
	s_nop 0
	buffer_store_dword v5, off, s[0:3], s32 offset:416 ; 4-byte Folded Spill
	s_and_saveexec_b64 s[28:29], vcc
	s_cbranch_execz .LBB216_247
; %bb.246:                              ;   in Loop: Header=BB216_9 Depth=1
	v_mov_b32_e32 v4, 7
	v_and_b32_sdwa v4, v0, v4 dst_sel:DWORD dst_unused:UNUSED_PAD src0_sel:BYTE_1 src1_sel:DWORD
	v_lshrrev_b32_e32 v7, 3, v3
	v_cmp_gt_u32_e32 vcc, 8, v3
	v_ffbh_u32_e32 v3, v4
	v_min_u32_e32 v3, 32, v3
	v_mov_b32_e32 v5, v22
	v_subrev_u32_e32 v6, 28, v3
	v_lshlrev_b64 v[5:6], v6, v[4:5]
	v_sub_u32_e32 v3, 29, v3
	v_and_b32_e32 v5, 7, v5
	v_cndmask_b32_e32 v3, v7, v3, vcc
	v_cndmask_b32_e32 v4, v4, v5, vcc
	v_bfrev_b32_e32 v5, 60
	v_lshlrev_b32_e32 v0, 16, v0
	v_lshl_add_u32 v3, v3, 23, v5
	v_and_or_b32 v0, v0, s41, v3
	v_lshlrev_b32_e32 v3, 20, v4
	v_or_b32_e32 v4, v0, v3
	v_mov_b32_e32 v3, v22
	buffer_store_dword v3, off, s[0:3], s32 offset:412 ; 4-byte Folded Spill
	s_nop 0
	buffer_store_dword v4, off, s[0:3], s32 offset:416 ; 4-byte Folded Spill
.LBB216_247:                            ;   in Loop: Header=BB216_9 Depth=1
	s_or_b64 exec, exec, s[28:29]
.LBB216_248:                            ;   in Loop: Header=BB216_9 Depth=1
	s_or_b64 exec, exec, s[26:27]
.LBB216_249:                            ;   in Loop: Header=BB216_9 Depth=1
	s_or_b64 exec, exec, s[24:25]
	flat_load_ushort v3, v[1:2] offset:2560
	s_waitcnt vmcnt(0) lgkmcnt(0)
	v_and_b32_e32 v0, 0xffff, v3
	v_cmp_ne_u16_sdwa s[26:27], v3, v22 src0_sel:BYTE_0 src1_sel:DWORD
	v_mov_b32_e32 v3, 0
	v_mov_b32_e32 v4, 0
	buffer_store_dword v3, off, s[0:3], s32 offset:428 ; 4-byte Folded Spill
	s_nop 0
	buffer_store_dword v4, off, s[0:3], s32 offset:432 ; 4-byte Folded Spill
	v_mov_b32_e32 v3, 0
	v_mov_b32_e32 v4, 0
	buffer_store_dword v3, off, s[0:3], s32 offset:420 ; 4-byte Folded Spill
	s_nop 0
	buffer_store_dword v4, off, s[0:3], s32 offset:424 ; 4-byte Folded Spill
	s_and_saveexec_b64 s[24:25], s[26:27]
	s_cbranch_execz .LBB216_255
; %bb.250:                              ;   in Loop: Header=BB216_9 Depth=1
	v_bfrev_b32_e32 v3, 1
	v_mov_b32_e32 v4, 0
	v_cmp_ne_u16_sdwa s[28:29], v0, s19 src0_sel:BYTE_0 src1_sel:DWORD
	buffer_store_dword v3, off, s[0:3], s32 offset:420 ; 4-byte Folded Spill
	s_nop 0
	buffer_store_dword v4, off, s[0:3], s32 offset:424 ; 4-byte Folded Spill
	s_and_saveexec_b64 s[26:27], s[28:29]
	s_cbranch_execz .LBB216_254
; %bb.251:                              ;   in Loop: Header=BB216_9 Depth=1
	v_and_b32_e32 v3, 0x7f, v0
	v_mov_b32_e32 v4, 0x7f800001
	v_mov_b32_e32 v5, 0
	v_cmp_ne_u32_e32 vcc, s40, v3
	buffer_store_dword v4, off, s[0:3], s32 offset:420 ; 4-byte Folded Spill
	s_nop 0
	buffer_store_dword v5, off, s[0:3], s32 offset:424 ; 4-byte Folded Spill
	s_and_saveexec_b64 s[28:29], vcc
	s_cbranch_execz .LBB216_253
; %bb.252:                              ;   in Loop: Header=BB216_9 Depth=1
	v_and_b32_e32 v5, 7, v0
	v_lshrrev_b32_e32 v6, 3, v3
	v_cmp_gt_u32_e32 vcc, 8, v3
	v_ffbh_u32_e32 v3, v5
	v_min_u32_e32 v7, 32, v3
	v_subrev_u32_e32 v3, 28, v7
	v_lshlrev_b64 v[3:4], v3, v[0:1]
	v_sub_u32_e32 v4, 29, v7
	v_and_b32_e32 v3, 7, v3
	v_cndmask_b32_e32 v4, v6, v4, vcc
	v_cndmask_b32_e32 v3, v5, v3, vcc
	v_bfrev_b32_e32 v6, 60
	v_lshlrev_b32_e32 v3, 20, v3
	v_and_b32_sdwa v5, sext(v0), s41 dst_sel:DWORD dst_unused:UNUSED_PAD src0_sel:BYTE_0 src1_sel:DWORD
	v_lshl_add_u32 v4, v4, 23, v6
	v_or3_b32 v3, v5, v4, v3
	v_mov_b32_e32 v4, v22
	buffer_store_dword v3, off, s[0:3], s32 offset:420 ; 4-byte Folded Spill
	s_nop 0
	buffer_store_dword v4, off, s[0:3], s32 offset:424 ; 4-byte Folded Spill
.LBB216_253:                            ;   in Loop: Header=BB216_9 Depth=1
	s_or_b64 exec, exec, s[28:29]
.LBB216_254:                            ;   in Loop: Header=BB216_9 Depth=1
	s_or_b64 exec, exec, s[26:27]
.LBB216_255:                            ;   in Loop: Header=BB216_9 Depth=1
	s_or_b64 exec, exec, s[24:25]
	v_cmp_ne_u16_sdwa s[26:27], v0, v22 src0_sel:BYTE_1 src1_sel:DWORD
	s_and_saveexec_b64 s[24:25], s[26:27]
	s_cbranch_execz .LBB216_261
; %bb.256:                              ;   in Loop: Header=BB216_9 Depth=1
	v_cmp_ne_u16_sdwa s[28:29], v0, s19 src0_sel:BYTE_1 src1_sel:DWORD
	buffer_store_dword v22, off, s[0:3], s32 offset:428 ; 4-byte Folded Spill
	s_nop 0
	buffer_store_dword v23, off, s[0:3], s32 offset:432 ; 4-byte Folded Spill
	s_and_saveexec_b64 s[26:27], s[28:29]
	s_cbranch_execz .LBB216_260
; %bb.257:                              ;   in Loop: Header=BB216_9 Depth=1
	buffer_load_dword v4, off, s[0:3], s32 offset:64 ; 4-byte Folded Reload
	buffer_load_dword v5, off, s[0:3], s32 offset:68 ; 4-byte Folded Reload
	v_and_b32_sdwa v3, v0, s40 dst_sel:DWORD dst_unused:UNUSED_PAD src0_sel:BYTE_1 src1_sel:DWORD
	v_cmp_ne_u32_e32 vcc, s40, v3
	s_waitcnt vmcnt(1)
	v_mov_b32_e32 v4, v22
	s_waitcnt vmcnt(0)
	v_mov_b32_e32 v6, v5
	buffer_store_dword v5, off, s[0:3], s32 offset:64 ; 4-byte Folded Spill
	s_nop 0
	buffer_store_dword v6, off, s[0:3], s32 offset:68 ; 4-byte Folded Spill
	buffer_store_dword v4, off, s[0:3], s32 offset:428 ; 4-byte Folded Spill
	s_nop 0
	buffer_store_dword v5, off, s[0:3], s32 offset:432 ; 4-byte Folded Spill
	s_and_saveexec_b64 s[28:29], vcc
	s_cbranch_execz .LBB216_259
; %bb.258:                              ;   in Loop: Header=BB216_9 Depth=1
	v_mov_b32_e32 v4, 7
	v_and_b32_sdwa v4, v0, v4 dst_sel:DWORD dst_unused:UNUSED_PAD src0_sel:BYTE_1 src1_sel:DWORD
	v_lshrrev_b32_e32 v7, 3, v3
	v_cmp_gt_u32_e32 vcc, 8, v3
	v_ffbh_u32_e32 v3, v4
	v_min_u32_e32 v3, 32, v3
	v_mov_b32_e32 v5, v22
	v_subrev_u32_e32 v6, 28, v3
	v_lshlrev_b64 v[5:6], v6, v[4:5]
	v_sub_u32_e32 v3, 29, v3
	v_and_b32_e32 v5, 7, v5
	v_cndmask_b32_e32 v3, v7, v3, vcc
	v_cndmask_b32_e32 v4, v4, v5, vcc
	v_bfrev_b32_e32 v5, 60
	v_lshlrev_b32_e32 v0, 16, v0
	v_lshl_add_u32 v3, v3, 23, v5
	v_and_or_b32 v0, v0, s41, v3
	v_lshlrev_b32_e32 v3, 20, v4
	v_or_b32_e32 v4, v0, v3
	v_mov_b32_e32 v3, v22
	buffer_store_dword v3, off, s[0:3], s32 offset:428 ; 4-byte Folded Spill
	s_nop 0
	buffer_store_dword v4, off, s[0:3], s32 offset:432 ; 4-byte Folded Spill
.LBB216_259:                            ;   in Loop: Header=BB216_9 Depth=1
	s_or_b64 exec, exec, s[28:29]
.LBB216_260:                            ;   in Loop: Header=BB216_9 Depth=1
	s_or_b64 exec, exec, s[26:27]
.LBB216_261:                            ;   in Loop: Header=BB216_9 Depth=1
	s_or_b64 exec, exec, s[24:25]
	flat_load_ushort v3, v[1:2] offset:2564
	s_waitcnt vmcnt(0) lgkmcnt(0)
	v_and_b32_e32 v0, 0xffff, v3
	v_cmp_ne_u16_sdwa s[26:27], v3, v22 src0_sel:BYTE_0 src1_sel:DWORD
	v_mov_b32_e32 v3, 0
	v_mov_b32_e32 v4, 0
	buffer_store_dword v3, off, s[0:3], s32 offset:444 ; 4-byte Folded Spill
	s_nop 0
	buffer_store_dword v4, off, s[0:3], s32 offset:448 ; 4-byte Folded Spill
	v_mov_b32_e32 v3, 0
	v_mov_b32_e32 v4, 0
	buffer_store_dword v3, off, s[0:3], s32 offset:436 ; 4-byte Folded Spill
	s_nop 0
	buffer_store_dword v4, off, s[0:3], s32 offset:440 ; 4-byte Folded Spill
	s_and_saveexec_b64 s[24:25], s[26:27]
	s_cbranch_execz .LBB216_267
; %bb.262:                              ;   in Loop: Header=BB216_9 Depth=1
	v_bfrev_b32_e32 v3, 1
	v_mov_b32_e32 v4, 0
	v_cmp_ne_u16_sdwa s[28:29], v0, s19 src0_sel:BYTE_0 src1_sel:DWORD
	buffer_store_dword v3, off, s[0:3], s32 offset:436 ; 4-byte Folded Spill
	s_nop 0
	buffer_store_dword v4, off, s[0:3], s32 offset:440 ; 4-byte Folded Spill
	s_and_saveexec_b64 s[26:27], s[28:29]
	s_cbranch_execz .LBB216_266
; %bb.263:                              ;   in Loop: Header=BB216_9 Depth=1
	v_and_b32_e32 v3, 0x7f, v0
	v_mov_b32_e32 v4, 0x7f800001
	v_mov_b32_e32 v5, 0
	v_cmp_ne_u32_e32 vcc, s40, v3
	buffer_store_dword v4, off, s[0:3], s32 offset:436 ; 4-byte Folded Spill
	s_nop 0
	buffer_store_dword v5, off, s[0:3], s32 offset:440 ; 4-byte Folded Spill
	s_and_saveexec_b64 s[28:29], vcc
	s_cbranch_execz .LBB216_265
; %bb.264:                              ;   in Loop: Header=BB216_9 Depth=1
	v_and_b32_e32 v5, 7, v0
	v_lshrrev_b32_e32 v6, 3, v3
	v_cmp_gt_u32_e32 vcc, 8, v3
	v_ffbh_u32_e32 v3, v5
	v_min_u32_e32 v7, 32, v3
	v_subrev_u32_e32 v3, 28, v7
	v_lshlrev_b64 v[3:4], v3, v[0:1]
	v_sub_u32_e32 v4, 29, v7
	v_and_b32_e32 v3, 7, v3
	v_cndmask_b32_e32 v4, v6, v4, vcc
	v_cndmask_b32_e32 v3, v5, v3, vcc
	v_bfrev_b32_e32 v6, 60
	v_lshlrev_b32_e32 v3, 20, v3
	v_and_b32_sdwa v5, sext(v0), s41 dst_sel:DWORD dst_unused:UNUSED_PAD src0_sel:BYTE_0 src1_sel:DWORD
	v_lshl_add_u32 v4, v4, 23, v6
	v_or3_b32 v3, v5, v4, v3
	v_mov_b32_e32 v4, v22
	buffer_store_dword v3, off, s[0:3], s32 offset:436 ; 4-byte Folded Spill
	s_nop 0
	buffer_store_dword v4, off, s[0:3], s32 offset:440 ; 4-byte Folded Spill
.LBB216_265:                            ;   in Loop: Header=BB216_9 Depth=1
	s_or_b64 exec, exec, s[28:29]
.LBB216_266:                            ;   in Loop: Header=BB216_9 Depth=1
	s_or_b64 exec, exec, s[26:27]
.LBB216_267:                            ;   in Loop: Header=BB216_9 Depth=1
	s_or_b64 exec, exec, s[24:25]
	v_cmp_ne_u16_sdwa s[26:27], v0, v22 src0_sel:BYTE_1 src1_sel:DWORD
	s_and_saveexec_b64 s[24:25], s[26:27]
	s_cbranch_execz .LBB216_273
; %bb.268:                              ;   in Loop: Header=BB216_9 Depth=1
	v_cmp_ne_u16_sdwa s[28:29], v0, s19 src0_sel:BYTE_1 src1_sel:DWORD
	buffer_store_dword v22, off, s[0:3], s32 offset:444 ; 4-byte Folded Spill
	s_nop 0
	buffer_store_dword v23, off, s[0:3], s32 offset:448 ; 4-byte Folded Spill
	s_and_saveexec_b64 s[26:27], s[28:29]
	s_cbranch_execz .LBB216_272
; %bb.269:                              ;   in Loop: Header=BB216_9 Depth=1
	buffer_load_dword v4, off, s[0:3], s32 offset:64 ; 4-byte Folded Reload
	buffer_load_dword v5, off, s[0:3], s32 offset:68 ; 4-byte Folded Reload
	v_and_b32_sdwa v3, v0, s40 dst_sel:DWORD dst_unused:UNUSED_PAD src0_sel:BYTE_1 src1_sel:DWORD
	v_cmp_ne_u32_e32 vcc, s40, v3
	s_waitcnt vmcnt(1)
	v_mov_b32_e32 v4, v22
	s_waitcnt vmcnt(0)
	v_mov_b32_e32 v6, v5
	buffer_store_dword v5, off, s[0:3], s32 offset:64 ; 4-byte Folded Spill
	s_nop 0
	buffer_store_dword v6, off, s[0:3], s32 offset:68 ; 4-byte Folded Spill
	buffer_store_dword v4, off, s[0:3], s32 offset:444 ; 4-byte Folded Spill
	s_nop 0
	buffer_store_dword v5, off, s[0:3], s32 offset:448 ; 4-byte Folded Spill
	s_and_saveexec_b64 s[28:29], vcc
	s_cbranch_execz .LBB216_271
; %bb.270:                              ;   in Loop: Header=BB216_9 Depth=1
	v_mov_b32_e32 v4, 7
	v_and_b32_sdwa v4, v0, v4 dst_sel:DWORD dst_unused:UNUSED_PAD src0_sel:BYTE_1 src1_sel:DWORD
	v_lshrrev_b32_e32 v7, 3, v3
	v_cmp_gt_u32_e32 vcc, 8, v3
	v_ffbh_u32_e32 v3, v4
	v_min_u32_e32 v3, 32, v3
	v_mov_b32_e32 v5, v22
	v_subrev_u32_e32 v6, 28, v3
	v_lshlrev_b64 v[5:6], v6, v[4:5]
	v_sub_u32_e32 v3, 29, v3
	v_and_b32_e32 v5, 7, v5
	v_cndmask_b32_e32 v3, v7, v3, vcc
	v_cndmask_b32_e32 v4, v4, v5, vcc
	v_bfrev_b32_e32 v5, 60
	v_lshlrev_b32_e32 v0, 16, v0
	v_lshl_add_u32 v3, v3, 23, v5
	v_and_or_b32 v0, v0, s41, v3
	v_lshlrev_b32_e32 v3, 20, v4
	v_or_b32_e32 v4, v0, v3
	v_mov_b32_e32 v3, v22
	buffer_store_dword v3, off, s[0:3], s32 offset:444 ; 4-byte Folded Spill
	s_nop 0
	buffer_store_dword v4, off, s[0:3], s32 offset:448 ; 4-byte Folded Spill
.LBB216_271:                            ;   in Loop: Header=BB216_9 Depth=1
	s_or_b64 exec, exec, s[28:29]
.LBB216_272:                            ;   in Loop: Header=BB216_9 Depth=1
	s_or_b64 exec, exec, s[26:27]
.LBB216_273:                            ;   in Loop: Header=BB216_9 Depth=1
	s_or_b64 exec, exec, s[24:25]
	flat_load_ushort v3, v[1:2] offset:2568
	s_waitcnt vmcnt(0) lgkmcnt(0)
	v_and_b32_e32 v0, 0xffff, v3
	v_cmp_ne_u16_sdwa s[26:27], v3, v22 src0_sel:BYTE_0 src1_sel:DWORD
	v_mov_b32_e32 v3, 0
	v_mov_b32_e32 v4, 0
	buffer_store_dword v3, off, s[0:3], s32 offset:460 ; 4-byte Folded Spill
	s_nop 0
	buffer_store_dword v4, off, s[0:3], s32 offset:464 ; 4-byte Folded Spill
	v_mov_b32_e32 v3, 0
	v_mov_b32_e32 v4, 0
	buffer_store_dword v3, off, s[0:3], s32 offset:452 ; 4-byte Folded Spill
	s_nop 0
	buffer_store_dword v4, off, s[0:3], s32 offset:456 ; 4-byte Folded Spill
	s_and_saveexec_b64 s[24:25], s[26:27]
	s_cbranch_execz .LBB216_279
; %bb.274:                              ;   in Loop: Header=BB216_9 Depth=1
	v_bfrev_b32_e32 v3, 1
	v_mov_b32_e32 v4, 0
	v_cmp_ne_u16_sdwa s[28:29], v0, s19 src0_sel:BYTE_0 src1_sel:DWORD
	buffer_store_dword v3, off, s[0:3], s32 offset:452 ; 4-byte Folded Spill
	s_nop 0
	buffer_store_dword v4, off, s[0:3], s32 offset:456 ; 4-byte Folded Spill
	s_and_saveexec_b64 s[26:27], s[28:29]
	s_cbranch_execz .LBB216_278
; %bb.275:                              ;   in Loop: Header=BB216_9 Depth=1
	v_and_b32_e32 v3, 0x7f, v0
	v_mov_b32_e32 v4, 0x7f800001
	v_mov_b32_e32 v5, 0
	v_cmp_ne_u32_e32 vcc, s40, v3
	buffer_store_dword v4, off, s[0:3], s32 offset:452 ; 4-byte Folded Spill
	s_nop 0
	buffer_store_dword v5, off, s[0:3], s32 offset:456 ; 4-byte Folded Spill
	s_and_saveexec_b64 s[28:29], vcc
	s_cbranch_execz .LBB216_277
; %bb.276:                              ;   in Loop: Header=BB216_9 Depth=1
	v_and_b32_e32 v5, 7, v0
	v_lshrrev_b32_e32 v6, 3, v3
	v_cmp_gt_u32_e32 vcc, 8, v3
	v_ffbh_u32_e32 v3, v5
	v_min_u32_e32 v7, 32, v3
	v_subrev_u32_e32 v3, 28, v7
	v_lshlrev_b64 v[3:4], v3, v[0:1]
	v_sub_u32_e32 v4, 29, v7
	v_and_b32_e32 v3, 7, v3
	v_cndmask_b32_e32 v4, v6, v4, vcc
	v_cndmask_b32_e32 v3, v5, v3, vcc
	v_bfrev_b32_e32 v6, 60
	v_lshlrev_b32_e32 v3, 20, v3
	v_and_b32_sdwa v5, sext(v0), s41 dst_sel:DWORD dst_unused:UNUSED_PAD src0_sel:BYTE_0 src1_sel:DWORD
	v_lshl_add_u32 v4, v4, 23, v6
	v_or3_b32 v3, v5, v4, v3
	v_mov_b32_e32 v4, v22
	buffer_store_dword v3, off, s[0:3], s32 offset:452 ; 4-byte Folded Spill
	s_nop 0
	buffer_store_dword v4, off, s[0:3], s32 offset:456 ; 4-byte Folded Spill
.LBB216_277:                            ;   in Loop: Header=BB216_9 Depth=1
	s_or_b64 exec, exec, s[28:29]
.LBB216_278:                            ;   in Loop: Header=BB216_9 Depth=1
	s_or_b64 exec, exec, s[26:27]
.LBB216_279:                            ;   in Loop: Header=BB216_9 Depth=1
	s_or_b64 exec, exec, s[24:25]
	v_cmp_ne_u16_sdwa s[26:27], v0, v22 src0_sel:BYTE_1 src1_sel:DWORD
	s_and_saveexec_b64 s[24:25], s[26:27]
	s_cbranch_execz .LBB216_285
; %bb.280:                              ;   in Loop: Header=BB216_9 Depth=1
	v_cmp_ne_u16_sdwa s[28:29], v0, s19 src0_sel:BYTE_1 src1_sel:DWORD
	buffer_store_dword v22, off, s[0:3], s32 offset:460 ; 4-byte Folded Spill
	s_nop 0
	buffer_store_dword v23, off, s[0:3], s32 offset:464 ; 4-byte Folded Spill
	s_and_saveexec_b64 s[26:27], s[28:29]
	s_cbranch_execz .LBB216_284
; %bb.281:                              ;   in Loop: Header=BB216_9 Depth=1
	buffer_load_dword v4, off, s[0:3], s32 offset:64 ; 4-byte Folded Reload
	buffer_load_dword v5, off, s[0:3], s32 offset:68 ; 4-byte Folded Reload
	v_and_b32_sdwa v3, v0, s40 dst_sel:DWORD dst_unused:UNUSED_PAD src0_sel:BYTE_1 src1_sel:DWORD
	v_cmp_ne_u32_e32 vcc, s40, v3
	s_waitcnt vmcnt(1)
	v_mov_b32_e32 v4, v22
	s_waitcnt vmcnt(0)
	v_mov_b32_e32 v6, v5
	buffer_store_dword v5, off, s[0:3], s32 offset:64 ; 4-byte Folded Spill
	s_nop 0
	buffer_store_dword v6, off, s[0:3], s32 offset:68 ; 4-byte Folded Spill
	buffer_store_dword v4, off, s[0:3], s32 offset:460 ; 4-byte Folded Spill
	s_nop 0
	buffer_store_dword v5, off, s[0:3], s32 offset:464 ; 4-byte Folded Spill
	s_and_saveexec_b64 s[28:29], vcc
	s_cbranch_execz .LBB216_283
; %bb.282:                              ;   in Loop: Header=BB216_9 Depth=1
	v_mov_b32_e32 v4, 7
	v_and_b32_sdwa v4, v0, v4 dst_sel:DWORD dst_unused:UNUSED_PAD src0_sel:BYTE_1 src1_sel:DWORD
	v_lshrrev_b32_e32 v7, 3, v3
	v_cmp_gt_u32_e32 vcc, 8, v3
	v_ffbh_u32_e32 v3, v4
	v_min_u32_e32 v3, 32, v3
	v_mov_b32_e32 v5, v22
	v_subrev_u32_e32 v6, 28, v3
	v_lshlrev_b64 v[5:6], v6, v[4:5]
	v_sub_u32_e32 v3, 29, v3
	v_and_b32_e32 v5, 7, v5
	v_cndmask_b32_e32 v3, v7, v3, vcc
	v_cndmask_b32_e32 v4, v4, v5, vcc
	v_bfrev_b32_e32 v5, 60
	v_lshlrev_b32_e32 v0, 16, v0
	v_lshl_add_u32 v3, v3, 23, v5
	v_and_or_b32 v0, v0, s41, v3
	v_lshlrev_b32_e32 v3, 20, v4
	v_or_b32_e32 v4, v0, v3
	v_mov_b32_e32 v3, v22
	buffer_store_dword v3, off, s[0:3], s32 offset:460 ; 4-byte Folded Spill
	s_nop 0
	buffer_store_dword v4, off, s[0:3], s32 offset:464 ; 4-byte Folded Spill
.LBB216_283:                            ;   in Loop: Header=BB216_9 Depth=1
	s_or_b64 exec, exec, s[28:29]
.LBB216_284:                            ;   in Loop: Header=BB216_9 Depth=1
	s_or_b64 exec, exec, s[26:27]
.LBB216_285:                            ;   in Loop: Header=BB216_9 Depth=1
	s_or_b64 exec, exec, s[24:25]
	flat_load_ushort v3, v[1:2] offset:2572
	s_waitcnt vmcnt(0) lgkmcnt(0)
	v_and_b32_e32 v0, 0xffff, v3
	v_cmp_ne_u16_sdwa s[26:27], v3, v22 src0_sel:BYTE_0 src1_sel:DWORD
	v_mov_b32_e32 v3, 0
	v_mov_b32_e32 v4, 0
	buffer_store_dword v3, off, s[0:3], s32 offset:476 ; 4-byte Folded Spill
	s_nop 0
	buffer_store_dword v4, off, s[0:3], s32 offset:480 ; 4-byte Folded Spill
	v_mov_b32_e32 v3, 0
	v_mov_b32_e32 v4, 0
	buffer_store_dword v3, off, s[0:3], s32 offset:468 ; 4-byte Folded Spill
	s_nop 0
	buffer_store_dword v4, off, s[0:3], s32 offset:472 ; 4-byte Folded Spill
	s_and_saveexec_b64 s[24:25], s[26:27]
	s_cbranch_execz .LBB216_291
; %bb.286:                              ;   in Loop: Header=BB216_9 Depth=1
	v_bfrev_b32_e32 v3, 1
	v_mov_b32_e32 v4, 0
	v_cmp_ne_u16_sdwa s[28:29], v0, s19 src0_sel:BYTE_0 src1_sel:DWORD
	buffer_store_dword v3, off, s[0:3], s32 offset:468 ; 4-byte Folded Spill
	s_nop 0
	buffer_store_dword v4, off, s[0:3], s32 offset:472 ; 4-byte Folded Spill
	s_and_saveexec_b64 s[26:27], s[28:29]
	s_cbranch_execz .LBB216_290
; %bb.287:                              ;   in Loop: Header=BB216_9 Depth=1
	v_and_b32_e32 v3, 0x7f, v0
	v_mov_b32_e32 v4, 0x7f800001
	v_mov_b32_e32 v5, 0
	v_cmp_ne_u32_e32 vcc, s40, v3
	buffer_store_dword v4, off, s[0:3], s32 offset:468 ; 4-byte Folded Spill
	s_nop 0
	buffer_store_dword v5, off, s[0:3], s32 offset:472 ; 4-byte Folded Spill
	s_and_saveexec_b64 s[28:29], vcc
	s_cbranch_execz .LBB216_289
; %bb.288:                              ;   in Loop: Header=BB216_9 Depth=1
	v_and_b32_e32 v5, 7, v0
	v_lshrrev_b32_e32 v6, 3, v3
	v_cmp_gt_u32_e32 vcc, 8, v3
	v_ffbh_u32_e32 v3, v5
	v_min_u32_e32 v7, 32, v3
	v_subrev_u32_e32 v3, 28, v7
	v_lshlrev_b64 v[3:4], v3, v[0:1]
	v_sub_u32_e32 v4, 29, v7
	v_and_b32_e32 v3, 7, v3
	v_cndmask_b32_e32 v4, v6, v4, vcc
	v_cndmask_b32_e32 v3, v5, v3, vcc
	v_bfrev_b32_e32 v6, 60
	v_lshlrev_b32_e32 v3, 20, v3
	v_and_b32_sdwa v5, sext(v0), s41 dst_sel:DWORD dst_unused:UNUSED_PAD src0_sel:BYTE_0 src1_sel:DWORD
	v_lshl_add_u32 v4, v4, 23, v6
	v_or3_b32 v3, v5, v4, v3
	v_mov_b32_e32 v4, v22
	buffer_store_dword v3, off, s[0:3], s32 offset:468 ; 4-byte Folded Spill
	s_nop 0
	buffer_store_dword v4, off, s[0:3], s32 offset:472 ; 4-byte Folded Spill
.LBB216_289:                            ;   in Loop: Header=BB216_9 Depth=1
	s_or_b64 exec, exec, s[28:29]
.LBB216_290:                            ;   in Loop: Header=BB216_9 Depth=1
	s_or_b64 exec, exec, s[26:27]
.LBB216_291:                            ;   in Loop: Header=BB216_9 Depth=1
	s_or_b64 exec, exec, s[24:25]
	v_cmp_ne_u16_sdwa s[26:27], v0, v22 src0_sel:BYTE_1 src1_sel:DWORD
	s_and_saveexec_b64 s[24:25], s[26:27]
	s_cbranch_execz .LBB216_297
; %bb.292:                              ;   in Loop: Header=BB216_9 Depth=1
	v_cmp_ne_u16_sdwa s[28:29], v0, s19 src0_sel:BYTE_1 src1_sel:DWORD
	buffer_store_dword v22, off, s[0:3], s32 offset:476 ; 4-byte Folded Spill
	s_nop 0
	buffer_store_dword v23, off, s[0:3], s32 offset:480 ; 4-byte Folded Spill
	s_and_saveexec_b64 s[26:27], s[28:29]
	s_cbranch_execz .LBB216_296
; %bb.293:                              ;   in Loop: Header=BB216_9 Depth=1
	buffer_load_dword v4, off, s[0:3], s32 offset:64 ; 4-byte Folded Reload
	buffer_load_dword v5, off, s[0:3], s32 offset:68 ; 4-byte Folded Reload
	v_and_b32_sdwa v3, v0, s40 dst_sel:DWORD dst_unused:UNUSED_PAD src0_sel:BYTE_1 src1_sel:DWORD
	v_cmp_ne_u32_e32 vcc, s40, v3
	s_waitcnt vmcnt(1)
	v_mov_b32_e32 v4, v22
	s_waitcnt vmcnt(0)
	v_mov_b32_e32 v6, v5
	buffer_store_dword v5, off, s[0:3], s32 offset:64 ; 4-byte Folded Spill
	s_nop 0
	buffer_store_dword v6, off, s[0:3], s32 offset:68 ; 4-byte Folded Spill
	buffer_store_dword v4, off, s[0:3], s32 offset:476 ; 4-byte Folded Spill
	s_nop 0
	buffer_store_dword v5, off, s[0:3], s32 offset:480 ; 4-byte Folded Spill
	s_and_saveexec_b64 s[28:29], vcc
	s_cbranch_execz .LBB216_295
; %bb.294:                              ;   in Loop: Header=BB216_9 Depth=1
	v_mov_b32_e32 v4, 7
	v_and_b32_sdwa v4, v0, v4 dst_sel:DWORD dst_unused:UNUSED_PAD src0_sel:BYTE_1 src1_sel:DWORD
	v_lshrrev_b32_e32 v7, 3, v3
	v_cmp_gt_u32_e32 vcc, 8, v3
	v_ffbh_u32_e32 v3, v4
	v_min_u32_e32 v3, 32, v3
	v_mov_b32_e32 v5, v22
	v_subrev_u32_e32 v6, 28, v3
	v_lshlrev_b64 v[5:6], v6, v[4:5]
	v_sub_u32_e32 v3, 29, v3
	v_and_b32_e32 v5, 7, v5
	v_cndmask_b32_e32 v3, v7, v3, vcc
	v_cndmask_b32_e32 v4, v4, v5, vcc
	v_bfrev_b32_e32 v5, 60
	v_lshlrev_b32_e32 v0, 16, v0
	v_lshl_add_u32 v3, v3, 23, v5
	v_and_or_b32 v0, v0, s41, v3
	v_lshlrev_b32_e32 v3, 20, v4
	v_or_b32_e32 v4, v0, v3
	v_mov_b32_e32 v3, v22
	buffer_store_dword v3, off, s[0:3], s32 offset:476 ; 4-byte Folded Spill
	s_nop 0
	buffer_store_dword v4, off, s[0:3], s32 offset:480 ; 4-byte Folded Spill
.LBB216_295:                            ;   in Loop: Header=BB216_9 Depth=1
	s_or_b64 exec, exec, s[28:29]
.LBB216_296:                            ;   in Loop: Header=BB216_9 Depth=1
	s_or_b64 exec, exec, s[26:27]
.LBB216_297:                            ;   in Loop: Header=BB216_9 Depth=1
	s_or_b64 exec, exec, s[24:25]
	flat_load_ushort v3, v[1:2] offset:3072
	s_waitcnt vmcnt(0) lgkmcnt(0)
	v_and_b32_e32 v0, 0xffff, v3
	v_cmp_ne_u16_sdwa s[26:27], v3, v22 src0_sel:BYTE_0 src1_sel:DWORD
	v_mov_b32_e32 v3, 0
	v_mov_b32_e32 v4, 0
	buffer_store_dword v3, off, s[0:3], s32 offset:492 ; 4-byte Folded Spill
	s_nop 0
	buffer_store_dword v4, off, s[0:3], s32 offset:496 ; 4-byte Folded Spill
	v_mov_b32_e32 v3, 0
	v_mov_b32_e32 v4, 0
	buffer_store_dword v3, off, s[0:3], s32 offset:484 ; 4-byte Folded Spill
	s_nop 0
	buffer_store_dword v4, off, s[0:3], s32 offset:488 ; 4-byte Folded Spill
	s_and_saveexec_b64 s[24:25], s[26:27]
	s_cbranch_execz .LBB216_303
; %bb.298:                              ;   in Loop: Header=BB216_9 Depth=1
	v_bfrev_b32_e32 v3, 1
	v_mov_b32_e32 v4, 0
	v_cmp_ne_u16_sdwa s[28:29], v0, s19 src0_sel:BYTE_0 src1_sel:DWORD
	buffer_store_dword v3, off, s[0:3], s32 offset:484 ; 4-byte Folded Spill
	s_nop 0
	buffer_store_dword v4, off, s[0:3], s32 offset:488 ; 4-byte Folded Spill
	s_and_saveexec_b64 s[26:27], s[28:29]
	s_cbranch_execz .LBB216_302
; %bb.299:                              ;   in Loop: Header=BB216_9 Depth=1
	v_and_b32_e32 v3, 0x7f, v0
	v_mov_b32_e32 v4, 0x7f800001
	v_mov_b32_e32 v5, 0
	v_cmp_ne_u32_e32 vcc, s40, v3
	buffer_store_dword v4, off, s[0:3], s32 offset:484 ; 4-byte Folded Spill
	s_nop 0
	buffer_store_dword v5, off, s[0:3], s32 offset:488 ; 4-byte Folded Spill
	s_and_saveexec_b64 s[28:29], vcc
	s_cbranch_execz .LBB216_301
; %bb.300:                              ;   in Loop: Header=BB216_9 Depth=1
	v_and_b32_e32 v5, 7, v0
	v_lshrrev_b32_e32 v6, 3, v3
	v_cmp_gt_u32_e32 vcc, 8, v3
	v_ffbh_u32_e32 v3, v5
	v_min_u32_e32 v7, 32, v3
	v_subrev_u32_e32 v3, 28, v7
	v_lshlrev_b64 v[3:4], v3, v[0:1]
	v_sub_u32_e32 v4, 29, v7
	v_and_b32_e32 v3, 7, v3
	v_cndmask_b32_e32 v4, v6, v4, vcc
	v_cndmask_b32_e32 v3, v5, v3, vcc
	v_bfrev_b32_e32 v6, 60
	v_lshlrev_b32_e32 v3, 20, v3
	v_and_b32_sdwa v5, sext(v0), s41 dst_sel:DWORD dst_unused:UNUSED_PAD src0_sel:BYTE_0 src1_sel:DWORD
	v_lshl_add_u32 v4, v4, 23, v6
	v_or3_b32 v3, v5, v4, v3
	v_mov_b32_e32 v4, v22
	buffer_store_dword v3, off, s[0:3], s32 offset:484 ; 4-byte Folded Spill
	s_nop 0
	buffer_store_dword v4, off, s[0:3], s32 offset:488 ; 4-byte Folded Spill
.LBB216_301:                            ;   in Loop: Header=BB216_9 Depth=1
	s_or_b64 exec, exec, s[28:29]
.LBB216_302:                            ;   in Loop: Header=BB216_9 Depth=1
	s_or_b64 exec, exec, s[26:27]
.LBB216_303:                            ;   in Loop: Header=BB216_9 Depth=1
	s_or_b64 exec, exec, s[24:25]
	v_cmp_ne_u16_sdwa s[26:27], v0, v22 src0_sel:BYTE_1 src1_sel:DWORD
	s_and_saveexec_b64 s[24:25], s[26:27]
	s_cbranch_execz .LBB216_309
; %bb.304:                              ;   in Loop: Header=BB216_9 Depth=1
	v_cmp_ne_u16_sdwa s[28:29], v0, s19 src0_sel:BYTE_1 src1_sel:DWORD
	buffer_store_dword v22, off, s[0:3], s32 offset:492 ; 4-byte Folded Spill
	s_nop 0
	buffer_store_dword v23, off, s[0:3], s32 offset:496 ; 4-byte Folded Spill
	s_and_saveexec_b64 s[26:27], s[28:29]
	s_cbranch_execz .LBB216_308
; %bb.305:                              ;   in Loop: Header=BB216_9 Depth=1
	buffer_load_dword v4, off, s[0:3], s32 offset:64 ; 4-byte Folded Reload
	buffer_load_dword v5, off, s[0:3], s32 offset:68 ; 4-byte Folded Reload
	v_and_b32_sdwa v3, v0, s40 dst_sel:DWORD dst_unused:UNUSED_PAD src0_sel:BYTE_1 src1_sel:DWORD
	v_cmp_ne_u32_e32 vcc, s40, v3
	s_waitcnt vmcnt(1)
	v_mov_b32_e32 v4, v22
	s_waitcnt vmcnt(0)
	v_mov_b32_e32 v6, v5
	buffer_store_dword v5, off, s[0:3], s32 offset:64 ; 4-byte Folded Spill
	s_nop 0
	buffer_store_dword v6, off, s[0:3], s32 offset:68 ; 4-byte Folded Spill
	buffer_store_dword v4, off, s[0:3], s32 offset:492 ; 4-byte Folded Spill
	s_nop 0
	buffer_store_dword v5, off, s[0:3], s32 offset:496 ; 4-byte Folded Spill
	s_and_saveexec_b64 s[28:29], vcc
	s_cbranch_execz .LBB216_307
; %bb.306:                              ;   in Loop: Header=BB216_9 Depth=1
	v_mov_b32_e32 v4, 7
	v_and_b32_sdwa v4, v0, v4 dst_sel:DWORD dst_unused:UNUSED_PAD src0_sel:BYTE_1 src1_sel:DWORD
	v_lshrrev_b32_e32 v7, 3, v3
	v_cmp_gt_u32_e32 vcc, 8, v3
	v_ffbh_u32_e32 v3, v4
	v_min_u32_e32 v3, 32, v3
	v_mov_b32_e32 v5, v22
	v_subrev_u32_e32 v6, 28, v3
	v_lshlrev_b64 v[5:6], v6, v[4:5]
	v_sub_u32_e32 v3, 29, v3
	v_and_b32_e32 v5, 7, v5
	v_cndmask_b32_e32 v3, v7, v3, vcc
	v_cndmask_b32_e32 v4, v4, v5, vcc
	v_bfrev_b32_e32 v5, 60
	v_lshlrev_b32_e32 v0, 16, v0
	v_lshl_add_u32 v3, v3, 23, v5
	v_and_or_b32 v0, v0, s41, v3
	v_lshlrev_b32_e32 v3, 20, v4
	v_or_b32_e32 v4, v0, v3
	v_mov_b32_e32 v3, v22
	buffer_store_dword v3, off, s[0:3], s32 offset:492 ; 4-byte Folded Spill
	s_nop 0
	buffer_store_dword v4, off, s[0:3], s32 offset:496 ; 4-byte Folded Spill
.LBB216_307:                            ;   in Loop: Header=BB216_9 Depth=1
	s_or_b64 exec, exec, s[28:29]
.LBB216_308:                            ;   in Loop: Header=BB216_9 Depth=1
	s_or_b64 exec, exec, s[26:27]
.LBB216_309:                            ;   in Loop: Header=BB216_9 Depth=1
	s_or_b64 exec, exec, s[24:25]
	flat_load_ushort v3, v[1:2] offset:3076
	s_waitcnt vmcnt(0) lgkmcnt(0)
	v_and_b32_e32 v0, 0xffff, v3
	v_cmp_ne_u16_sdwa s[26:27], v3, v22 src0_sel:BYTE_0 src1_sel:DWORD
	v_mov_b32_e32 v3, 0
	v_mov_b32_e32 v4, 0
	buffer_store_dword v3, off, s[0:3], s32 offset:508 ; 4-byte Folded Spill
	s_nop 0
	buffer_store_dword v4, off, s[0:3], s32 offset:512 ; 4-byte Folded Spill
	v_mov_b32_e32 v3, 0
	v_mov_b32_e32 v4, 0
	buffer_store_dword v3, off, s[0:3], s32 offset:500 ; 4-byte Folded Spill
	s_nop 0
	buffer_store_dword v4, off, s[0:3], s32 offset:504 ; 4-byte Folded Spill
	s_and_saveexec_b64 s[24:25], s[26:27]
	s_cbranch_execz .LBB216_315
; %bb.310:                              ;   in Loop: Header=BB216_9 Depth=1
	v_bfrev_b32_e32 v3, 1
	v_mov_b32_e32 v4, 0
	v_cmp_ne_u16_sdwa s[28:29], v0, s19 src0_sel:BYTE_0 src1_sel:DWORD
	buffer_store_dword v3, off, s[0:3], s32 offset:500 ; 4-byte Folded Spill
	s_nop 0
	buffer_store_dword v4, off, s[0:3], s32 offset:504 ; 4-byte Folded Spill
	s_and_saveexec_b64 s[26:27], s[28:29]
	s_cbranch_execz .LBB216_314
; %bb.311:                              ;   in Loop: Header=BB216_9 Depth=1
	v_and_b32_e32 v3, 0x7f, v0
	v_mov_b32_e32 v4, 0x7f800001
	v_mov_b32_e32 v5, 0
	v_cmp_ne_u32_e32 vcc, s40, v3
	buffer_store_dword v4, off, s[0:3], s32 offset:500 ; 4-byte Folded Spill
	s_nop 0
	buffer_store_dword v5, off, s[0:3], s32 offset:504 ; 4-byte Folded Spill
	s_and_saveexec_b64 s[28:29], vcc
	s_cbranch_execz .LBB216_313
; %bb.312:                              ;   in Loop: Header=BB216_9 Depth=1
	v_and_b32_e32 v5, 7, v0
	v_lshrrev_b32_e32 v6, 3, v3
	v_cmp_gt_u32_e32 vcc, 8, v3
	v_ffbh_u32_e32 v3, v5
	v_min_u32_e32 v7, 32, v3
	v_subrev_u32_e32 v3, 28, v7
	v_lshlrev_b64 v[3:4], v3, v[0:1]
	v_sub_u32_e32 v4, 29, v7
	v_and_b32_e32 v3, 7, v3
	v_cndmask_b32_e32 v4, v6, v4, vcc
	v_cndmask_b32_e32 v3, v5, v3, vcc
	v_bfrev_b32_e32 v6, 60
	v_lshlrev_b32_e32 v3, 20, v3
	v_and_b32_sdwa v5, sext(v0), s41 dst_sel:DWORD dst_unused:UNUSED_PAD src0_sel:BYTE_0 src1_sel:DWORD
	v_lshl_add_u32 v4, v4, 23, v6
	v_or3_b32 v3, v5, v4, v3
	v_mov_b32_e32 v4, v22
	buffer_store_dword v3, off, s[0:3], s32 offset:500 ; 4-byte Folded Spill
	s_nop 0
	buffer_store_dword v4, off, s[0:3], s32 offset:504 ; 4-byte Folded Spill
.LBB216_313:                            ;   in Loop: Header=BB216_9 Depth=1
	s_or_b64 exec, exec, s[28:29]
.LBB216_314:                            ;   in Loop: Header=BB216_9 Depth=1
	s_or_b64 exec, exec, s[26:27]
.LBB216_315:                            ;   in Loop: Header=BB216_9 Depth=1
	s_or_b64 exec, exec, s[24:25]
	v_cmp_ne_u16_sdwa s[26:27], v0, v22 src0_sel:BYTE_1 src1_sel:DWORD
	s_and_saveexec_b64 s[24:25], s[26:27]
	s_cbranch_execz .LBB216_321
; %bb.316:                              ;   in Loop: Header=BB216_9 Depth=1
	v_cmp_ne_u16_sdwa s[28:29], v0, s19 src0_sel:BYTE_1 src1_sel:DWORD
	buffer_store_dword v22, off, s[0:3], s32 offset:508 ; 4-byte Folded Spill
	s_nop 0
	buffer_store_dword v23, off, s[0:3], s32 offset:512 ; 4-byte Folded Spill
	s_and_saveexec_b64 s[26:27], s[28:29]
	s_cbranch_execz .LBB216_320
; %bb.317:                              ;   in Loop: Header=BB216_9 Depth=1
	buffer_load_dword v4, off, s[0:3], s32 offset:64 ; 4-byte Folded Reload
	buffer_load_dword v5, off, s[0:3], s32 offset:68 ; 4-byte Folded Reload
	v_and_b32_sdwa v3, v0, s40 dst_sel:DWORD dst_unused:UNUSED_PAD src0_sel:BYTE_1 src1_sel:DWORD
	v_cmp_ne_u32_e32 vcc, s40, v3
	s_waitcnt vmcnt(1)
	v_mov_b32_e32 v4, v22
	s_waitcnt vmcnt(0)
	v_mov_b32_e32 v6, v5
	buffer_store_dword v5, off, s[0:3], s32 offset:64 ; 4-byte Folded Spill
	s_nop 0
	buffer_store_dword v6, off, s[0:3], s32 offset:68 ; 4-byte Folded Spill
	buffer_store_dword v4, off, s[0:3], s32 offset:508 ; 4-byte Folded Spill
	s_nop 0
	buffer_store_dword v5, off, s[0:3], s32 offset:512 ; 4-byte Folded Spill
	s_and_saveexec_b64 s[28:29], vcc
	s_cbranch_execz .LBB216_319
; %bb.318:                              ;   in Loop: Header=BB216_9 Depth=1
	v_mov_b32_e32 v4, 7
	v_and_b32_sdwa v4, v0, v4 dst_sel:DWORD dst_unused:UNUSED_PAD src0_sel:BYTE_1 src1_sel:DWORD
	v_lshrrev_b32_e32 v7, 3, v3
	v_cmp_gt_u32_e32 vcc, 8, v3
	v_ffbh_u32_e32 v3, v4
	v_min_u32_e32 v3, 32, v3
	v_mov_b32_e32 v5, v22
	v_subrev_u32_e32 v6, 28, v3
	v_lshlrev_b64 v[5:6], v6, v[4:5]
	v_sub_u32_e32 v3, 29, v3
	v_and_b32_e32 v5, 7, v5
	v_cndmask_b32_e32 v3, v7, v3, vcc
	v_cndmask_b32_e32 v4, v4, v5, vcc
	v_bfrev_b32_e32 v5, 60
	v_lshlrev_b32_e32 v0, 16, v0
	v_lshl_add_u32 v3, v3, 23, v5
	v_and_or_b32 v0, v0, s41, v3
	v_lshlrev_b32_e32 v3, 20, v4
	v_or_b32_e32 v4, v0, v3
	v_mov_b32_e32 v3, v22
	buffer_store_dword v3, off, s[0:3], s32 offset:508 ; 4-byte Folded Spill
	s_nop 0
	buffer_store_dword v4, off, s[0:3], s32 offset:512 ; 4-byte Folded Spill
.LBB216_319:                            ;   in Loop: Header=BB216_9 Depth=1
	s_or_b64 exec, exec, s[28:29]
.LBB216_320:                            ;   in Loop: Header=BB216_9 Depth=1
	s_or_b64 exec, exec, s[26:27]
.LBB216_321:                            ;   in Loop: Header=BB216_9 Depth=1
	s_or_b64 exec, exec, s[24:25]
	flat_load_ushort v3, v[1:2] offset:3080
	s_waitcnt vmcnt(0) lgkmcnt(0)
	v_and_b32_e32 v0, 0xffff, v3
	v_cmp_ne_u16_sdwa s[26:27], v3, v22 src0_sel:BYTE_0 src1_sel:DWORD
	v_mov_b32_e32 v3, 0
	v_mov_b32_e32 v4, 0
	buffer_store_dword v3, off, s[0:3], s32 offset:524 ; 4-byte Folded Spill
	s_nop 0
	buffer_store_dword v4, off, s[0:3], s32 offset:528 ; 4-byte Folded Spill
	v_mov_b32_e32 v3, 0
	v_mov_b32_e32 v4, 0
	buffer_store_dword v3, off, s[0:3], s32 offset:516 ; 4-byte Folded Spill
	s_nop 0
	buffer_store_dword v4, off, s[0:3], s32 offset:520 ; 4-byte Folded Spill
	s_and_saveexec_b64 s[24:25], s[26:27]
	s_cbranch_execz .LBB216_327
; %bb.322:                              ;   in Loop: Header=BB216_9 Depth=1
	v_bfrev_b32_e32 v3, 1
	v_mov_b32_e32 v4, 0
	v_cmp_ne_u16_sdwa s[28:29], v0, s19 src0_sel:BYTE_0 src1_sel:DWORD
	buffer_store_dword v3, off, s[0:3], s32 offset:516 ; 4-byte Folded Spill
	s_nop 0
	buffer_store_dword v4, off, s[0:3], s32 offset:520 ; 4-byte Folded Spill
	s_and_saveexec_b64 s[26:27], s[28:29]
	s_cbranch_execz .LBB216_326
; %bb.323:                              ;   in Loop: Header=BB216_9 Depth=1
	v_and_b32_e32 v3, 0x7f, v0
	v_mov_b32_e32 v4, 0x7f800001
	v_mov_b32_e32 v5, 0
	v_cmp_ne_u32_e32 vcc, s40, v3
	buffer_store_dword v4, off, s[0:3], s32 offset:516 ; 4-byte Folded Spill
	s_nop 0
	buffer_store_dword v5, off, s[0:3], s32 offset:520 ; 4-byte Folded Spill
	s_and_saveexec_b64 s[28:29], vcc
	s_cbranch_execz .LBB216_325
; %bb.324:                              ;   in Loop: Header=BB216_9 Depth=1
	v_and_b32_e32 v5, 7, v0
	v_lshrrev_b32_e32 v6, 3, v3
	v_cmp_gt_u32_e32 vcc, 8, v3
	v_ffbh_u32_e32 v3, v5
	v_min_u32_e32 v7, 32, v3
	v_subrev_u32_e32 v3, 28, v7
	v_lshlrev_b64 v[3:4], v3, v[0:1]
	v_sub_u32_e32 v4, 29, v7
	v_and_b32_e32 v3, 7, v3
	v_cndmask_b32_e32 v4, v6, v4, vcc
	v_cndmask_b32_e32 v3, v5, v3, vcc
	v_bfrev_b32_e32 v6, 60
	v_lshlrev_b32_e32 v3, 20, v3
	v_and_b32_sdwa v5, sext(v0), s41 dst_sel:DWORD dst_unused:UNUSED_PAD src0_sel:BYTE_0 src1_sel:DWORD
	v_lshl_add_u32 v4, v4, 23, v6
	v_or3_b32 v3, v5, v4, v3
	v_mov_b32_e32 v4, v22
	buffer_store_dword v3, off, s[0:3], s32 offset:516 ; 4-byte Folded Spill
	s_nop 0
	buffer_store_dword v4, off, s[0:3], s32 offset:520 ; 4-byte Folded Spill
.LBB216_325:                            ;   in Loop: Header=BB216_9 Depth=1
	s_or_b64 exec, exec, s[28:29]
.LBB216_326:                            ;   in Loop: Header=BB216_9 Depth=1
	s_or_b64 exec, exec, s[26:27]
.LBB216_327:                            ;   in Loop: Header=BB216_9 Depth=1
	s_or_b64 exec, exec, s[24:25]
	v_cmp_ne_u16_sdwa s[26:27], v0, v22 src0_sel:BYTE_1 src1_sel:DWORD
	s_and_saveexec_b64 s[24:25], s[26:27]
	s_cbranch_execz .LBB216_333
; %bb.328:                              ;   in Loop: Header=BB216_9 Depth=1
	v_cmp_ne_u16_sdwa s[28:29], v0, s19 src0_sel:BYTE_1 src1_sel:DWORD
	buffer_store_dword v22, off, s[0:3], s32 offset:524 ; 4-byte Folded Spill
	s_nop 0
	buffer_store_dword v23, off, s[0:3], s32 offset:528 ; 4-byte Folded Spill
	s_and_saveexec_b64 s[26:27], s[28:29]
	s_cbranch_execz .LBB216_332
; %bb.329:                              ;   in Loop: Header=BB216_9 Depth=1
	buffer_load_dword v4, off, s[0:3], s32 offset:64 ; 4-byte Folded Reload
	buffer_load_dword v5, off, s[0:3], s32 offset:68 ; 4-byte Folded Reload
	v_and_b32_sdwa v3, v0, s40 dst_sel:DWORD dst_unused:UNUSED_PAD src0_sel:BYTE_1 src1_sel:DWORD
	v_cmp_ne_u32_e32 vcc, s40, v3
	s_waitcnt vmcnt(1)
	v_mov_b32_e32 v4, v22
	s_waitcnt vmcnt(0)
	v_mov_b32_e32 v6, v5
	buffer_store_dword v5, off, s[0:3], s32 offset:64 ; 4-byte Folded Spill
	s_nop 0
	buffer_store_dword v6, off, s[0:3], s32 offset:68 ; 4-byte Folded Spill
	buffer_store_dword v4, off, s[0:3], s32 offset:524 ; 4-byte Folded Spill
	s_nop 0
	buffer_store_dword v5, off, s[0:3], s32 offset:528 ; 4-byte Folded Spill
	s_and_saveexec_b64 s[28:29], vcc
	s_cbranch_execz .LBB216_331
; %bb.330:                              ;   in Loop: Header=BB216_9 Depth=1
	v_mov_b32_e32 v4, 7
	v_and_b32_sdwa v4, v0, v4 dst_sel:DWORD dst_unused:UNUSED_PAD src0_sel:BYTE_1 src1_sel:DWORD
	v_lshrrev_b32_e32 v7, 3, v3
	v_cmp_gt_u32_e32 vcc, 8, v3
	v_ffbh_u32_e32 v3, v4
	v_min_u32_e32 v3, 32, v3
	v_mov_b32_e32 v5, v22
	v_subrev_u32_e32 v6, 28, v3
	v_lshlrev_b64 v[5:6], v6, v[4:5]
	v_sub_u32_e32 v3, 29, v3
	v_and_b32_e32 v5, 7, v5
	v_cndmask_b32_e32 v3, v7, v3, vcc
	v_cndmask_b32_e32 v4, v4, v5, vcc
	v_bfrev_b32_e32 v5, 60
	v_lshlrev_b32_e32 v0, 16, v0
	v_lshl_add_u32 v3, v3, 23, v5
	v_and_or_b32 v0, v0, s41, v3
	v_lshlrev_b32_e32 v3, 20, v4
	v_or_b32_e32 v4, v0, v3
	v_mov_b32_e32 v3, v22
	buffer_store_dword v3, off, s[0:3], s32 offset:524 ; 4-byte Folded Spill
	s_nop 0
	buffer_store_dword v4, off, s[0:3], s32 offset:528 ; 4-byte Folded Spill
.LBB216_331:                            ;   in Loop: Header=BB216_9 Depth=1
	s_or_b64 exec, exec, s[28:29]
.LBB216_332:                            ;   in Loop: Header=BB216_9 Depth=1
	s_or_b64 exec, exec, s[26:27]
.LBB216_333:                            ;   in Loop: Header=BB216_9 Depth=1
	s_or_b64 exec, exec, s[24:25]
	flat_load_ushort v3, v[1:2] offset:3084
	s_waitcnt vmcnt(0) lgkmcnt(0)
	v_and_b32_e32 v0, 0xffff, v3
	v_cmp_ne_u16_sdwa s[26:27], v3, v22 src0_sel:BYTE_0 src1_sel:DWORD
	v_mov_b32_e32 v3, 0
	v_mov_b32_e32 v4, 0
	buffer_store_dword v3, off, s[0:3], s32 offset:540 ; 4-byte Folded Spill
	s_nop 0
	buffer_store_dword v4, off, s[0:3], s32 offset:544 ; 4-byte Folded Spill
	v_mov_b32_e32 v3, 0
	v_mov_b32_e32 v4, 0
	buffer_store_dword v3, off, s[0:3], s32 offset:532 ; 4-byte Folded Spill
	s_nop 0
	buffer_store_dword v4, off, s[0:3], s32 offset:536 ; 4-byte Folded Spill
	s_and_saveexec_b64 s[24:25], s[26:27]
	s_cbranch_execz .LBB216_339
; %bb.334:                              ;   in Loop: Header=BB216_9 Depth=1
	v_bfrev_b32_e32 v3, 1
	v_mov_b32_e32 v4, 0
	v_cmp_ne_u16_sdwa s[28:29], v0, s19 src0_sel:BYTE_0 src1_sel:DWORD
	buffer_store_dword v3, off, s[0:3], s32 offset:532 ; 4-byte Folded Spill
	s_nop 0
	buffer_store_dword v4, off, s[0:3], s32 offset:536 ; 4-byte Folded Spill
	s_and_saveexec_b64 s[26:27], s[28:29]
	s_cbranch_execz .LBB216_338
; %bb.335:                              ;   in Loop: Header=BB216_9 Depth=1
	v_and_b32_e32 v3, 0x7f, v0
	v_mov_b32_e32 v4, 0x7f800001
	v_mov_b32_e32 v5, 0
	v_cmp_ne_u32_e32 vcc, s40, v3
	buffer_store_dword v4, off, s[0:3], s32 offset:532 ; 4-byte Folded Spill
	s_nop 0
	buffer_store_dword v5, off, s[0:3], s32 offset:536 ; 4-byte Folded Spill
	s_and_saveexec_b64 s[28:29], vcc
	s_cbranch_execz .LBB216_337
; %bb.336:                              ;   in Loop: Header=BB216_9 Depth=1
	v_and_b32_e32 v5, 7, v0
	v_lshrrev_b32_e32 v6, 3, v3
	v_cmp_gt_u32_e32 vcc, 8, v3
	v_ffbh_u32_e32 v3, v5
	v_min_u32_e32 v7, 32, v3
	v_subrev_u32_e32 v3, 28, v7
	v_lshlrev_b64 v[3:4], v3, v[0:1]
	v_sub_u32_e32 v4, 29, v7
	v_and_b32_e32 v3, 7, v3
	v_cndmask_b32_e32 v4, v6, v4, vcc
	v_cndmask_b32_e32 v3, v5, v3, vcc
	v_bfrev_b32_e32 v6, 60
	v_lshlrev_b32_e32 v3, 20, v3
	v_and_b32_sdwa v5, sext(v0), s41 dst_sel:DWORD dst_unused:UNUSED_PAD src0_sel:BYTE_0 src1_sel:DWORD
	v_lshl_add_u32 v4, v4, 23, v6
	v_or3_b32 v3, v5, v4, v3
	v_mov_b32_e32 v4, v22
	buffer_store_dword v3, off, s[0:3], s32 offset:532 ; 4-byte Folded Spill
	s_nop 0
	buffer_store_dword v4, off, s[0:3], s32 offset:536 ; 4-byte Folded Spill
.LBB216_337:                            ;   in Loop: Header=BB216_9 Depth=1
	s_or_b64 exec, exec, s[28:29]
.LBB216_338:                            ;   in Loop: Header=BB216_9 Depth=1
	s_or_b64 exec, exec, s[26:27]
.LBB216_339:                            ;   in Loop: Header=BB216_9 Depth=1
	s_or_b64 exec, exec, s[24:25]
	v_cmp_ne_u16_sdwa s[26:27], v0, v22 src0_sel:BYTE_1 src1_sel:DWORD
	s_and_saveexec_b64 s[24:25], s[26:27]
	s_cbranch_execz .LBB216_345
; %bb.340:                              ;   in Loop: Header=BB216_9 Depth=1
	v_cmp_ne_u16_sdwa s[28:29], v0, s19 src0_sel:BYTE_1 src1_sel:DWORD
	buffer_store_dword v22, off, s[0:3], s32 offset:540 ; 4-byte Folded Spill
	s_nop 0
	buffer_store_dword v23, off, s[0:3], s32 offset:544 ; 4-byte Folded Spill
	s_and_saveexec_b64 s[26:27], s[28:29]
	s_cbranch_execz .LBB216_344
; %bb.341:                              ;   in Loop: Header=BB216_9 Depth=1
	buffer_load_dword v4, off, s[0:3], s32 offset:64 ; 4-byte Folded Reload
	buffer_load_dword v5, off, s[0:3], s32 offset:68 ; 4-byte Folded Reload
	v_and_b32_sdwa v3, v0, s40 dst_sel:DWORD dst_unused:UNUSED_PAD src0_sel:BYTE_1 src1_sel:DWORD
	v_cmp_ne_u32_e32 vcc, s40, v3
	s_waitcnt vmcnt(1)
	v_mov_b32_e32 v4, v22
	s_waitcnt vmcnt(0)
	v_mov_b32_e32 v6, v5
	buffer_store_dword v5, off, s[0:3], s32 offset:64 ; 4-byte Folded Spill
	s_nop 0
	buffer_store_dword v6, off, s[0:3], s32 offset:68 ; 4-byte Folded Spill
	buffer_store_dword v4, off, s[0:3], s32 offset:540 ; 4-byte Folded Spill
	s_nop 0
	buffer_store_dword v5, off, s[0:3], s32 offset:544 ; 4-byte Folded Spill
	s_and_saveexec_b64 s[28:29], vcc
	s_cbranch_execz .LBB216_343
; %bb.342:                              ;   in Loop: Header=BB216_9 Depth=1
	v_mov_b32_e32 v4, 7
	v_and_b32_sdwa v4, v0, v4 dst_sel:DWORD dst_unused:UNUSED_PAD src0_sel:BYTE_1 src1_sel:DWORD
	v_lshrrev_b32_e32 v7, 3, v3
	v_cmp_gt_u32_e32 vcc, 8, v3
	v_ffbh_u32_e32 v3, v4
	v_min_u32_e32 v3, 32, v3
	v_mov_b32_e32 v5, v22
	v_subrev_u32_e32 v6, 28, v3
	v_lshlrev_b64 v[5:6], v6, v[4:5]
	v_sub_u32_e32 v3, 29, v3
	v_and_b32_e32 v5, 7, v5
	v_cndmask_b32_e32 v3, v7, v3, vcc
	v_cndmask_b32_e32 v4, v4, v5, vcc
	v_bfrev_b32_e32 v5, 60
	v_lshlrev_b32_e32 v0, 16, v0
	v_lshl_add_u32 v3, v3, 23, v5
	v_and_or_b32 v0, v0, s41, v3
	v_lshlrev_b32_e32 v3, 20, v4
	v_or_b32_e32 v4, v0, v3
	v_mov_b32_e32 v3, v22
	buffer_store_dword v3, off, s[0:3], s32 offset:540 ; 4-byte Folded Spill
	s_nop 0
	buffer_store_dword v4, off, s[0:3], s32 offset:544 ; 4-byte Folded Spill
.LBB216_343:                            ;   in Loop: Header=BB216_9 Depth=1
	s_or_b64 exec, exec, s[28:29]
.LBB216_344:                            ;   in Loop: Header=BB216_9 Depth=1
	s_or_b64 exec, exec, s[26:27]
.LBB216_345:                            ;   in Loop: Header=BB216_9 Depth=1
	s_or_b64 exec, exec, s[24:25]
	flat_load_ushort v3, v[1:2] offset:3584
	s_waitcnt vmcnt(0) lgkmcnt(0)
	v_and_b32_e32 v0, 0xffff, v3
	v_cmp_ne_u16_sdwa s[26:27], v3, v22 src0_sel:BYTE_0 src1_sel:DWORD
	v_mov_b32_e32 v3, 0
	v_mov_b32_e32 v4, 0
	buffer_store_dword v3, off, s[0:3], s32 offset:556 ; 4-byte Folded Spill
	s_nop 0
	buffer_store_dword v4, off, s[0:3], s32 offset:560 ; 4-byte Folded Spill
	v_mov_b32_e32 v3, 0
	v_mov_b32_e32 v4, 0
	buffer_store_dword v3, off, s[0:3], s32 offset:548 ; 4-byte Folded Spill
	s_nop 0
	buffer_store_dword v4, off, s[0:3], s32 offset:552 ; 4-byte Folded Spill
	s_and_saveexec_b64 s[24:25], s[26:27]
	s_cbranch_execz .LBB216_351
; %bb.346:                              ;   in Loop: Header=BB216_9 Depth=1
	v_bfrev_b32_e32 v3, 1
	v_mov_b32_e32 v4, 0
	v_cmp_ne_u16_sdwa s[28:29], v0, s19 src0_sel:BYTE_0 src1_sel:DWORD
	buffer_store_dword v3, off, s[0:3], s32 offset:548 ; 4-byte Folded Spill
	s_nop 0
	buffer_store_dword v4, off, s[0:3], s32 offset:552 ; 4-byte Folded Spill
	s_and_saveexec_b64 s[26:27], s[28:29]
	s_cbranch_execz .LBB216_350
; %bb.347:                              ;   in Loop: Header=BB216_9 Depth=1
	v_and_b32_e32 v3, 0x7f, v0
	v_mov_b32_e32 v4, 0x7f800001
	v_mov_b32_e32 v5, 0
	v_cmp_ne_u32_e32 vcc, s40, v3
	buffer_store_dword v4, off, s[0:3], s32 offset:548 ; 4-byte Folded Spill
	s_nop 0
	buffer_store_dword v5, off, s[0:3], s32 offset:552 ; 4-byte Folded Spill
	s_and_saveexec_b64 s[28:29], vcc
	s_cbranch_execz .LBB216_349
; %bb.348:                              ;   in Loop: Header=BB216_9 Depth=1
	v_and_b32_e32 v5, 7, v0
	v_lshrrev_b32_e32 v6, 3, v3
	v_cmp_gt_u32_e32 vcc, 8, v3
	v_ffbh_u32_e32 v3, v5
	v_min_u32_e32 v7, 32, v3
	v_subrev_u32_e32 v3, 28, v7
	v_lshlrev_b64 v[3:4], v3, v[0:1]
	v_sub_u32_e32 v4, 29, v7
	v_and_b32_e32 v3, 7, v3
	v_cndmask_b32_e32 v4, v6, v4, vcc
	v_cndmask_b32_e32 v3, v5, v3, vcc
	v_bfrev_b32_e32 v6, 60
	v_lshlrev_b32_e32 v3, 20, v3
	v_and_b32_sdwa v5, sext(v0), s41 dst_sel:DWORD dst_unused:UNUSED_PAD src0_sel:BYTE_0 src1_sel:DWORD
	v_lshl_add_u32 v4, v4, 23, v6
	v_or3_b32 v3, v5, v4, v3
	v_mov_b32_e32 v4, v22
	buffer_store_dword v3, off, s[0:3], s32 offset:548 ; 4-byte Folded Spill
	s_nop 0
	buffer_store_dword v4, off, s[0:3], s32 offset:552 ; 4-byte Folded Spill
.LBB216_349:                            ;   in Loop: Header=BB216_9 Depth=1
	s_or_b64 exec, exec, s[28:29]
.LBB216_350:                            ;   in Loop: Header=BB216_9 Depth=1
	s_or_b64 exec, exec, s[26:27]
.LBB216_351:                            ;   in Loop: Header=BB216_9 Depth=1
	s_or_b64 exec, exec, s[24:25]
	v_cmp_ne_u16_sdwa s[26:27], v0, v22 src0_sel:BYTE_1 src1_sel:DWORD
	s_and_saveexec_b64 s[24:25], s[26:27]
	s_cbranch_execz .LBB216_357
; %bb.352:                              ;   in Loop: Header=BB216_9 Depth=1
	v_cmp_ne_u16_sdwa s[28:29], v0, s19 src0_sel:BYTE_1 src1_sel:DWORD
	buffer_store_dword v22, off, s[0:3], s32 offset:556 ; 4-byte Folded Spill
	s_nop 0
	buffer_store_dword v23, off, s[0:3], s32 offset:560 ; 4-byte Folded Spill
	s_and_saveexec_b64 s[26:27], s[28:29]
	s_cbranch_execz .LBB216_356
; %bb.353:                              ;   in Loop: Header=BB216_9 Depth=1
	buffer_load_dword v4, off, s[0:3], s32 offset:64 ; 4-byte Folded Reload
	buffer_load_dword v5, off, s[0:3], s32 offset:68 ; 4-byte Folded Reload
	v_and_b32_sdwa v3, v0, s40 dst_sel:DWORD dst_unused:UNUSED_PAD src0_sel:BYTE_1 src1_sel:DWORD
	v_cmp_ne_u32_e32 vcc, s40, v3
	s_waitcnt vmcnt(1)
	v_mov_b32_e32 v4, v22
	s_waitcnt vmcnt(0)
	v_mov_b32_e32 v6, v5
	buffer_store_dword v5, off, s[0:3], s32 offset:64 ; 4-byte Folded Spill
	s_nop 0
	buffer_store_dword v6, off, s[0:3], s32 offset:68 ; 4-byte Folded Spill
	buffer_store_dword v4, off, s[0:3], s32 offset:556 ; 4-byte Folded Spill
	s_nop 0
	buffer_store_dword v5, off, s[0:3], s32 offset:560 ; 4-byte Folded Spill
	s_and_saveexec_b64 s[28:29], vcc
	s_cbranch_execz .LBB216_355
; %bb.354:                              ;   in Loop: Header=BB216_9 Depth=1
	v_mov_b32_e32 v4, 7
	v_and_b32_sdwa v4, v0, v4 dst_sel:DWORD dst_unused:UNUSED_PAD src0_sel:BYTE_1 src1_sel:DWORD
	v_lshrrev_b32_e32 v7, 3, v3
	v_cmp_gt_u32_e32 vcc, 8, v3
	v_ffbh_u32_e32 v3, v4
	v_min_u32_e32 v3, 32, v3
	v_mov_b32_e32 v5, v22
	v_subrev_u32_e32 v6, 28, v3
	v_lshlrev_b64 v[5:6], v6, v[4:5]
	v_sub_u32_e32 v3, 29, v3
	v_and_b32_e32 v5, 7, v5
	v_cndmask_b32_e32 v3, v7, v3, vcc
	v_cndmask_b32_e32 v4, v4, v5, vcc
	v_bfrev_b32_e32 v5, 60
	v_lshlrev_b32_e32 v0, 16, v0
	v_lshl_add_u32 v3, v3, 23, v5
	v_and_or_b32 v0, v0, s41, v3
	v_lshlrev_b32_e32 v3, 20, v4
	v_or_b32_e32 v4, v0, v3
	v_mov_b32_e32 v3, v22
	buffer_store_dword v3, off, s[0:3], s32 offset:556 ; 4-byte Folded Spill
	s_nop 0
	buffer_store_dword v4, off, s[0:3], s32 offset:560 ; 4-byte Folded Spill
.LBB216_355:                            ;   in Loop: Header=BB216_9 Depth=1
	s_or_b64 exec, exec, s[28:29]
.LBB216_356:                            ;   in Loop: Header=BB216_9 Depth=1
	s_or_b64 exec, exec, s[26:27]
.LBB216_357:                            ;   in Loop: Header=BB216_9 Depth=1
	s_or_b64 exec, exec, s[24:25]
	flat_load_ushort v3, v[1:2] offset:3588
	s_waitcnt vmcnt(0) lgkmcnt(0)
	v_and_b32_e32 v0, 0xffff, v3
	v_cmp_ne_u16_sdwa s[26:27], v3, v22 src0_sel:BYTE_0 src1_sel:DWORD
	v_mov_b32_e32 v3, 0
	v_mov_b32_e32 v4, 0
	buffer_store_dword v3, off, s[0:3], s32 offset:572 ; 4-byte Folded Spill
	s_nop 0
	buffer_store_dword v4, off, s[0:3], s32 offset:576 ; 4-byte Folded Spill
	v_mov_b32_e32 v3, 0
	v_mov_b32_e32 v4, 0
	buffer_store_dword v3, off, s[0:3], s32 offset:564 ; 4-byte Folded Spill
	s_nop 0
	buffer_store_dword v4, off, s[0:3], s32 offset:568 ; 4-byte Folded Spill
	s_and_saveexec_b64 s[24:25], s[26:27]
	s_cbranch_execz .LBB216_363
; %bb.358:                              ;   in Loop: Header=BB216_9 Depth=1
	v_bfrev_b32_e32 v3, 1
	v_mov_b32_e32 v4, 0
	v_cmp_ne_u16_sdwa s[28:29], v0, s19 src0_sel:BYTE_0 src1_sel:DWORD
	buffer_store_dword v3, off, s[0:3], s32 offset:564 ; 4-byte Folded Spill
	s_nop 0
	buffer_store_dword v4, off, s[0:3], s32 offset:568 ; 4-byte Folded Spill
	s_and_saveexec_b64 s[26:27], s[28:29]
	s_cbranch_execz .LBB216_362
; %bb.359:                              ;   in Loop: Header=BB216_9 Depth=1
	v_and_b32_e32 v3, 0x7f, v0
	v_mov_b32_e32 v4, 0x7f800001
	v_mov_b32_e32 v5, 0
	v_cmp_ne_u32_e32 vcc, s40, v3
	buffer_store_dword v4, off, s[0:3], s32 offset:564 ; 4-byte Folded Spill
	s_nop 0
	buffer_store_dword v5, off, s[0:3], s32 offset:568 ; 4-byte Folded Spill
	s_and_saveexec_b64 s[28:29], vcc
	s_cbranch_execz .LBB216_361
; %bb.360:                              ;   in Loop: Header=BB216_9 Depth=1
	v_and_b32_e32 v5, 7, v0
	v_lshrrev_b32_e32 v6, 3, v3
	v_cmp_gt_u32_e32 vcc, 8, v3
	v_ffbh_u32_e32 v3, v5
	v_min_u32_e32 v7, 32, v3
	v_subrev_u32_e32 v3, 28, v7
	v_lshlrev_b64 v[3:4], v3, v[0:1]
	v_sub_u32_e32 v4, 29, v7
	v_and_b32_e32 v3, 7, v3
	v_cndmask_b32_e32 v4, v6, v4, vcc
	v_cndmask_b32_e32 v3, v5, v3, vcc
	v_bfrev_b32_e32 v6, 60
	v_lshlrev_b32_e32 v3, 20, v3
	v_and_b32_sdwa v5, sext(v0), s41 dst_sel:DWORD dst_unused:UNUSED_PAD src0_sel:BYTE_0 src1_sel:DWORD
	v_lshl_add_u32 v4, v4, 23, v6
	v_or3_b32 v3, v5, v4, v3
	v_mov_b32_e32 v4, v22
	buffer_store_dword v3, off, s[0:3], s32 offset:564 ; 4-byte Folded Spill
	s_nop 0
	buffer_store_dword v4, off, s[0:3], s32 offset:568 ; 4-byte Folded Spill
.LBB216_361:                            ;   in Loop: Header=BB216_9 Depth=1
	s_or_b64 exec, exec, s[28:29]
.LBB216_362:                            ;   in Loop: Header=BB216_9 Depth=1
	s_or_b64 exec, exec, s[26:27]
.LBB216_363:                            ;   in Loop: Header=BB216_9 Depth=1
	s_or_b64 exec, exec, s[24:25]
	v_cmp_ne_u16_sdwa s[26:27], v0, v22 src0_sel:BYTE_1 src1_sel:DWORD
	s_and_saveexec_b64 s[24:25], s[26:27]
	s_cbranch_execz .LBB216_369
; %bb.364:                              ;   in Loop: Header=BB216_9 Depth=1
	v_cmp_ne_u16_sdwa s[28:29], v0, s19 src0_sel:BYTE_1 src1_sel:DWORD
	buffer_store_dword v22, off, s[0:3], s32 offset:572 ; 4-byte Folded Spill
	s_nop 0
	buffer_store_dword v23, off, s[0:3], s32 offset:576 ; 4-byte Folded Spill
	s_and_saveexec_b64 s[26:27], s[28:29]
	s_cbranch_execz .LBB216_368
; %bb.365:                              ;   in Loop: Header=BB216_9 Depth=1
	buffer_load_dword v4, off, s[0:3], s32 offset:64 ; 4-byte Folded Reload
	buffer_load_dword v5, off, s[0:3], s32 offset:68 ; 4-byte Folded Reload
	v_and_b32_sdwa v3, v0, s40 dst_sel:DWORD dst_unused:UNUSED_PAD src0_sel:BYTE_1 src1_sel:DWORD
	v_cmp_ne_u32_e32 vcc, s40, v3
	s_waitcnt vmcnt(1)
	v_mov_b32_e32 v4, v22
	s_waitcnt vmcnt(0)
	v_mov_b32_e32 v6, v5
	buffer_store_dword v5, off, s[0:3], s32 offset:64 ; 4-byte Folded Spill
	s_nop 0
	buffer_store_dword v6, off, s[0:3], s32 offset:68 ; 4-byte Folded Spill
	buffer_store_dword v4, off, s[0:3], s32 offset:572 ; 4-byte Folded Spill
	s_nop 0
	buffer_store_dword v5, off, s[0:3], s32 offset:576 ; 4-byte Folded Spill
	s_and_saveexec_b64 s[28:29], vcc
	s_cbranch_execz .LBB216_367
; %bb.366:                              ;   in Loop: Header=BB216_9 Depth=1
	v_mov_b32_e32 v4, 7
	v_and_b32_sdwa v4, v0, v4 dst_sel:DWORD dst_unused:UNUSED_PAD src0_sel:BYTE_1 src1_sel:DWORD
	v_lshrrev_b32_e32 v7, 3, v3
	v_cmp_gt_u32_e32 vcc, 8, v3
	v_ffbh_u32_e32 v3, v4
	v_min_u32_e32 v3, 32, v3
	v_mov_b32_e32 v5, v22
	v_subrev_u32_e32 v6, 28, v3
	v_lshlrev_b64 v[5:6], v6, v[4:5]
	v_sub_u32_e32 v3, 29, v3
	v_and_b32_e32 v5, 7, v5
	v_cndmask_b32_e32 v3, v7, v3, vcc
	v_cndmask_b32_e32 v4, v4, v5, vcc
	v_bfrev_b32_e32 v5, 60
	v_lshlrev_b32_e32 v0, 16, v0
	v_lshl_add_u32 v3, v3, 23, v5
	v_and_or_b32 v0, v0, s41, v3
	v_lshlrev_b32_e32 v3, 20, v4
	v_or_b32_e32 v4, v0, v3
	v_mov_b32_e32 v3, v22
	buffer_store_dword v3, off, s[0:3], s32 offset:572 ; 4-byte Folded Spill
	s_nop 0
	buffer_store_dword v4, off, s[0:3], s32 offset:576 ; 4-byte Folded Spill
.LBB216_367:                            ;   in Loop: Header=BB216_9 Depth=1
	s_or_b64 exec, exec, s[28:29]
.LBB216_368:                            ;   in Loop: Header=BB216_9 Depth=1
	s_or_b64 exec, exec, s[26:27]
.LBB216_369:                            ;   in Loop: Header=BB216_9 Depth=1
	s_or_b64 exec, exec, s[24:25]
	flat_load_ushort v3, v[1:2] offset:3592
	s_waitcnt vmcnt(0) lgkmcnt(0)
	v_and_b32_e32 v0, 0xffff, v3
	v_cmp_ne_u16_sdwa s[26:27], v3, v22 src0_sel:BYTE_0 src1_sel:DWORD
	v_mov_b32_e32 v3, 0
	v_mov_b32_e32 v4, 0
	buffer_store_dword v3, off, s[0:3], s32 offset:588 ; 4-byte Folded Spill
	s_nop 0
	buffer_store_dword v4, off, s[0:3], s32 offset:592 ; 4-byte Folded Spill
	v_mov_b32_e32 v3, 0
	v_mov_b32_e32 v4, 0
	buffer_store_dword v3, off, s[0:3], s32 offset:580 ; 4-byte Folded Spill
	s_nop 0
	buffer_store_dword v4, off, s[0:3], s32 offset:584 ; 4-byte Folded Spill
	s_and_saveexec_b64 s[24:25], s[26:27]
	s_cbranch_execz .LBB216_375
; %bb.370:                              ;   in Loop: Header=BB216_9 Depth=1
	v_bfrev_b32_e32 v3, 1
	v_mov_b32_e32 v4, 0
	v_cmp_ne_u16_sdwa s[28:29], v0, s19 src0_sel:BYTE_0 src1_sel:DWORD
	buffer_store_dword v3, off, s[0:3], s32 offset:580 ; 4-byte Folded Spill
	s_nop 0
	buffer_store_dword v4, off, s[0:3], s32 offset:584 ; 4-byte Folded Spill
	s_and_saveexec_b64 s[26:27], s[28:29]
	s_cbranch_execz .LBB216_374
; %bb.371:                              ;   in Loop: Header=BB216_9 Depth=1
	v_and_b32_e32 v3, 0x7f, v0
	v_mov_b32_e32 v4, 0x7f800001
	v_mov_b32_e32 v5, 0
	v_cmp_ne_u32_e32 vcc, s40, v3
	buffer_store_dword v4, off, s[0:3], s32 offset:580 ; 4-byte Folded Spill
	s_nop 0
	buffer_store_dword v5, off, s[0:3], s32 offset:584 ; 4-byte Folded Spill
	s_and_saveexec_b64 s[28:29], vcc
	s_cbranch_execz .LBB216_373
; %bb.372:                              ;   in Loop: Header=BB216_9 Depth=1
	v_and_b32_e32 v5, 7, v0
	v_lshrrev_b32_e32 v6, 3, v3
	v_cmp_gt_u32_e32 vcc, 8, v3
	v_ffbh_u32_e32 v3, v5
	v_min_u32_e32 v7, 32, v3
	v_subrev_u32_e32 v3, 28, v7
	v_lshlrev_b64 v[3:4], v3, v[0:1]
	v_sub_u32_e32 v4, 29, v7
	v_and_b32_e32 v3, 7, v3
	v_cndmask_b32_e32 v4, v6, v4, vcc
	v_cndmask_b32_e32 v3, v5, v3, vcc
	v_bfrev_b32_e32 v6, 60
	v_lshlrev_b32_e32 v3, 20, v3
	v_and_b32_sdwa v5, sext(v0), s41 dst_sel:DWORD dst_unused:UNUSED_PAD src0_sel:BYTE_0 src1_sel:DWORD
	v_lshl_add_u32 v4, v4, 23, v6
	v_or3_b32 v3, v5, v4, v3
	v_mov_b32_e32 v4, v22
	buffer_store_dword v3, off, s[0:3], s32 offset:580 ; 4-byte Folded Spill
	s_nop 0
	buffer_store_dword v4, off, s[0:3], s32 offset:584 ; 4-byte Folded Spill
.LBB216_373:                            ;   in Loop: Header=BB216_9 Depth=1
	s_or_b64 exec, exec, s[28:29]
.LBB216_374:                            ;   in Loop: Header=BB216_9 Depth=1
	s_or_b64 exec, exec, s[26:27]
.LBB216_375:                            ;   in Loop: Header=BB216_9 Depth=1
	s_or_b64 exec, exec, s[24:25]
	v_cmp_ne_u16_sdwa s[26:27], v0, v22 src0_sel:BYTE_1 src1_sel:DWORD
	s_and_saveexec_b64 s[24:25], s[26:27]
	s_cbranch_execz .LBB216_381
; %bb.376:                              ;   in Loop: Header=BB216_9 Depth=1
	v_cmp_ne_u16_sdwa s[28:29], v0, s19 src0_sel:BYTE_1 src1_sel:DWORD
	buffer_store_dword v22, off, s[0:3], s32 offset:588 ; 4-byte Folded Spill
	s_nop 0
	buffer_store_dword v23, off, s[0:3], s32 offset:592 ; 4-byte Folded Spill
	s_and_saveexec_b64 s[26:27], s[28:29]
	s_cbranch_execz .LBB216_380
; %bb.377:                              ;   in Loop: Header=BB216_9 Depth=1
	buffer_load_dword v4, off, s[0:3], s32 offset:64 ; 4-byte Folded Reload
	buffer_load_dword v5, off, s[0:3], s32 offset:68 ; 4-byte Folded Reload
	v_and_b32_sdwa v3, v0, s40 dst_sel:DWORD dst_unused:UNUSED_PAD src0_sel:BYTE_1 src1_sel:DWORD
	v_cmp_ne_u32_e32 vcc, s40, v3
	s_waitcnt vmcnt(1)
	v_mov_b32_e32 v4, v22
	s_waitcnt vmcnt(0)
	v_mov_b32_e32 v6, v5
	buffer_store_dword v5, off, s[0:3], s32 offset:64 ; 4-byte Folded Spill
	s_nop 0
	buffer_store_dword v6, off, s[0:3], s32 offset:68 ; 4-byte Folded Spill
	buffer_store_dword v4, off, s[0:3], s32 offset:588 ; 4-byte Folded Spill
	s_nop 0
	buffer_store_dword v5, off, s[0:3], s32 offset:592 ; 4-byte Folded Spill
	s_and_saveexec_b64 s[28:29], vcc
	s_cbranch_execz .LBB216_379
; %bb.378:                              ;   in Loop: Header=BB216_9 Depth=1
	v_mov_b32_e32 v4, 7
	v_and_b32_sdwa v4, v0, v4 dst_sel:DWORD dst_unused:UNUSED_PAD src0_sel:BYTE_1 src1_sel:DWORD
	v_lshrrev_b32_e32 v7, 3, v3
	v_cmp_gt_u32_e32 vcc, 8, v3
	v_ffbh_u32_e32 v3, v4
	v_min_u32_e32 v3, 32, v3
	v_mov_b32_e32 v5, v22
	v_subrev_u32_e32 v6, 28, v3
	v_lshlrev_b64 v[5:6], v6, v[4:5]
	v_sub_u32_e32 v3, 29, v3
	v_and_b32_e32 v5, 7, v5
	v_cndmask_b32_e32 v3, v7, v3, vcc
	v_cndmask_b32_e32 v4, v4, v5, vcc
	v_bfrev_b32_e32 v5, 60
	v_lshlrev_b32_e32 v0, 16, v0
	v_lshl_add_u32 v3, v3, 23, v5
	v_and_or_b32 v0, v0, s41, v3
	v_lshlrev_b32_e32 v3, 20, v4
	v_or_b32_e32 v4, v0, v3
	v_mov_b32_e32 v3, v22
	buffer_store_dword v3, off, s[0:3], s32 offset:588 ; 4-byte Folded Spill
	s_nop 0
	buffer_store_dword v4, off, s[0:3], s32 offset:592 ; 4-byte Folded Spill
.LBB216_379:                            ;   in Loop: Header=BB216_9 Depth=1
	s_or_b64 exec, exec, s[28:29]
.LBB216_380:                            ;   in Loop: Header=BB216_9 Depth=1
	s_or_b64 exec, exec, s[26:27]
.LBB216_381:                            ;   in Loop: Header=BB216_9 Depth=1
	s_or_b64 exec, exec, s[24:25]
	flat_load_ushort v1, v[1:2] offset:3596
	s_waitcnt vmcnt(0) lgkmcnt(0)
	v_and_b32_e32 v0, 0xffff, v1
	v_cmp_ne_u16_sdwa s[26:27], v1, v22 src0_sel:BYTE_0 src1_sel:DWORD
	v_mov_b32_e32 v1, 0
	v_mov_b32_e32 v2, 0
	buffer_store_dword v1, off, s[0:3], s32 offset:604 ; 4-byte Folded Spill
	s_nop 0
	buffer_store_dword v2, off, s[0:3], s32 offset:608 ; 4-byte Folded Spill
	v_mov_b32_e32 v1, 0
	v_mov_b32_e32 v2, 0
	buffer_store_dword v1, off, s[0:3], s32 offset:596 ; 4-byte Folded Spill
	s_nop 0
	buffer_store_dword v2, off, s[0:3], s32 offset:600 ; 4-byte Folded Spill
	s_and_saveexec_b64 s[24:25], s[26:27]
	s_cbranch_execz .LBB216_387
; %bb.382:                              ;   in Loop: Header=BB216_9 Depth=1
	v_bfrev_b32_e32 v1, 1
	v_mov_b32_e32 v2, 0
	v_cmp_ne_u16_sdwa s[28:29], v0, s19 src0_sel:BYTE_0 src1_sel:DWORD
	buffer_store_dword v1, off, s[0:3], s32 offset:596 ; 4-byte Folded Spill
	s_nop 0
	buffer_store_dword v2, off, s[0:3], s32 offset:600 ; 4-byte Folded Spill
	s_and_saveexec_b64 s[26:27], s[28:29]
	s_cbranch_execz .LBB216_386
; %bb.383:                              ;   in Loop: Header=BB216_9 Depth=1
	v_and_b32_e32 v1, 0x7f, v0
	v_mov_b32_e32 v2, 0x7f800001
	v_mov_b32_e32 v3, 0
	v_cmp_ne_u32_e32 vcc, s40, v1
	buffer_store_dword v2, off, s[0:3], s32 offset:596 ; 4-byte Folded Spill
	s_nop 0
	buffer_store_dword v3, off, s[0:3], s32 offset:600 ; 4-byte Folded Spill
	s_and_saveexec_b64 s[28:29], vcc
	s_cbranch_execz .LBB216_385
; %bb.384:                              ;   in Loop: Header=BB216_9 Depth=1
	v_and_b32_e32 v3, 7, v0
	v_lshrrev_b32_e32 v4, 3, v1
	v_cmp_gt_u32_e32 vcc, 8, v1
	v_ffbh_u32_e32 v1, v3
	v_min_u32_e32 v5, 32, v1
	v_subrev_u32_e32 v1, 28, v5
	v_lshlrev_b64 v[1:2], v1, v[0:1]
	v_sub_u32_e32 v2, 29, v5
	v_and_b32_e32 v1, 7, v1
	v_cndmask_b32_e32 v2, v4, v2, vcc
	v_cndmask_b32_e32 v1, v3, v1, vcc
	v_bfrev_b32_e32 v4, 60
	v_lshlrev_b32_e32 v1, 20, v1
	v_and_b32_sdwa v3, sext(v0), s41 dst_sel:DWORD dst_unused:UNUSED_PAD src0_sel:BYTE_0 src1_sel:DWORD
	v_lshl_add_u32 v2, v2, 23, v4
	v_or3_b32 v1, v3, v2, v1
	v_mov_b32_e32 v2, v22
	buffer_store_dword v1, off, s[0:3], s32 offset:596 ; 4-byte Folded Spill
	s_nop 0
	buffer_store_dword v2, off, s[0:3], s32 offset:600 ; 4-byte Folded Spill
.LBB216_385:                            ;   in Loop: Header=BB216_9 Depth=1
	s_or_b64 exec, exec, s[28:29]
.LBB216_386:                            ;   in Loop: Header=BB216_9 Depth=1
	s_or_b64 exec, exec, s[26:27]
.LBB216_387:                            ;   in Loop: Header=BB216_9 Depth=1
	s_or_b64 exec, exec, s[24:25]
	v_cmp_ne_u16_sdwa s[26:27], v0, v22 src0_sel:BYTE_1 src1_sel:DWORD
	s_and_saveexec_b64 s[24:25], s[26:27]
	s_cbranch_execz .LBB216_393
; %bb.388:                              ;   in Loop: Header=BB216_9 Depth=1
	v_cmp_ne_u16_sdwa s[28:29], v0, s19 src0_sel:BYTE_1 src1_sel:DWORD
	buffer_store_dword v22, off, s[0:3], s32 offset:604 ; 4-byte Folded Spill
	s_nop 0
	buffer_store_dword v23, off, s[0:3], s32 offset:608 ; 4-byte Folded Spill
	s_and_saveexec_b64 s[26:27], s[28:29]
	s_cbranch_execz .LBB216_392
; %bb.389:                              ;   in Loop: Header=BB216_9 Depth=1
	buffer_load_dword v2, off, s[0:3], s32 offset:64 ; 4-byte Folded Reload
	buffer_load_dword v3, off, s[0:3], s32 offset:68 ; 4-byte Folded Reload
	v_and_b32_sdwa v1, v0, s40 dst_sel:DWORD dst_unused:UNUSED_PAD src0_sel:BYTE_1 src1_sel:DWORD
	v_cmp_ne_u32_e32 vcc, s40, v1
	s_waitcnt vmcnt(1)
	v_mov_b32_e32 v2, v22
	s_waitcnt vmcnt(0)
	v_mov_b32_e32 v4, v3
	buffer_store_dword v3, off, s[0:3], s32 offset:64 ; 4-byte Folded Spill
	s_nop 0
	buffer_store_dword v4, off, s[0:3], s32 offset:68 ; 4-byte Folded Spill
	buffer_store_dword v2, off, s[0:3], s32 offset:604 ; 4-byte Folded Spill
	s_nop 0
	buffer_store_dword v3, off, s[0:3], s32 offset:608 ; 4-byte Folded Spill
	s_and_saveexec_b64 s[28:29], vcc
	s_cbranch_execz .LBB216_391
; %bb.390:                              ;   in Loop: Header=BB216_9 Depth=1
	v_mov_b32_e32 v2, 7
	v_and_b32_sdwa v2, v0, v2 dst_sel:DWORD dst_unused:UNUSED_PAD src0_sel:BYTE_1 src1_sel:DWORD
	v_lshrrev_b32_e32 v5, 3, v1
	v_cmp_gt_u32_e32 vcc, 8, v1
	v_ffbh_u32_e32 v1, v2
	v_min_u32_e32 v1, 32, v1
	v_mov_b32_e32 v3, v22
	v_subrev_u32_e32 v4, 28, v1
	v_lshlrev_b64 v[3:4], v4, v[2:3]
	v_sub_u32_e32 v1, 29, v1
	v_and_b32_e32 v3, 7, v3
	v_cndmask_b32_e32 v1, v5, v1, vcc
	v_cndmask_b32_e32 v2, v2, v3, vcc
	v_bfrev_b32_e32 v3, 60
	v_lshlrev_b32_e32 v0, 16, v0
	v_lshl_add_u32 v1, v1, 23, v3
	v_and_or_b32 v0, v0, s41, v1
	v_lshlrev_b32_e32 v1, 20, v2
	v_or_b32_e32 v1, v0, v1
	v_mov_b32_e32 v0, v22
	buffer_store_dword v0, off, s[0:3], s32 offset:604 ; 4-byte Folded Spill
	s_nop 0
	buffer_store_dword v1, off, s[0:3], s32 offset:608 ; 4-byte Folded Spill
.LBB216_391:                            ;   in Loop: Header=BB216_9 Depth=1
	s_or_b64 exec, exec, s[28:29]
.LBB216_392:                            ;   in Loop: Header=BB216_9 Depth=1
	s_or_b64 exec, exec, s[26:27]
.LBB216_393:                            ;   in Loop: Header=BB216_9 Depth=1
	s_or_b64 exec, exec, s[24:25]
	buffer_load_dword v0, off, s[0:3], s32 offset:76 ; 4-byte Folded Reload
	v_add_co_u32_e32 v1, vcc, 0x1000, v49
	v_addc_co_u32_e32 v2, vcc, 0, v50, vcc
	s_waitcnt vmcnt(0)
	v_add_co_u32_e32 v3, vcc, v1, v0
	v_addc_co_u32_e32 v4, vcc, 0, v2, vcc
	flat_load_ushort v3, v[3:4]
	s_waitcnt vmcnt(0) lgkmcnt(0)
	v_and_b32_e32 v0, 0xffff, v3
	v_cmp_ne_u16_sdwa s[26:27], v3, v22 src0_sel:BYTE_0 src1_sel:DWORD
	v_mov_b32_e32 v3, 0
	v_mov_b32_e32 v4, 0
	buffer_store_dword v3, off, s[0:3], s32 offset:620 ; 4-byte Folded Spill
	s_nop 0
	buffer_store_dword v4, off, s[0:3], s32 offset:624 ; 4-byte Folded Spill
	v_mov_b32_e32 v3, 0
	v_mov_b32_e32 v4, 0
	buffer_store_dword v3, off, s[0:3], s32 offset:612 ; 4-byte Folded Spill
	s_nop 0
	buffer_store_dword v4, off, s[0:3], s32 offset:616 ; 4-byte Folded Spill
	s_and_saveexec_b64 s[24:25], s[26:27]
	s_cbranch_execz .LBB216_399
; %bb.394:                              ;   in Loop: Header=BB216_9 Depth=1
	v_bfrev_b32_e32 v3, 1
	v_mov_b32_e32 v4, 0
	v_cmp_ne_u16_sdwa s[28:29], v0, s19 src0_sel:BYTE_0 src1_sel:DWORD
	buffer_store_dword v3, off, s[0:3], s32 offset:612 ; 4-byte Folded Spill
	s_nop 0
	buffer_store_dword v4, off, s[0:3], s32 offset:616 ; 4-byte Folded Spill
	s_and_saveexec_b64 s[26:27], s[28:29]
	s_cbranch_execz .LBB216_398
; %bb.395:                              ;   in Loop: Header=BB216_9 Depth=1
	v_and_b32_e32 v3, 0x7f, v0
	v_mov_b32_e32 v4, 0x7f800001
	v_mov_b32_e32 v5, 0
	v_cmp_ne_u32_e32 vcc, s40, v3
	buffer_store_dword v4, off, s[0:3], s32 offset:612 ; 4-byte Folded Spill
	s_nop 0
	buffer_store_dword v5, off, s[0:3], s32 offset:616 ; 4-byte Folded Spill
	s_and_saveexec_b64 s[28:29], vcc
	s_cbranch_execz .LBB216_397
; %bb.396:                              ;   in Loop: Header=BB216_9 Depth=1
	v_and_b32_e32 v5, 7, v0
	v_lshrrev_b32_e32 v6, 3, v3
	v_cmp_gt_u32_e32 vcc, 8, v3
	v_ffbh_u32_e32 v3, v5
	v_min_u32_e32 v7, 32, v3
	v_subrev_u32_e32 v3, 28, v7
	v_lshlrev_b64 v[3:4], v3, v[0:1]
	v_sub_u32_e32 v4, 29, v7
	v_and_b32_e32 v3, 7, v3
	v_cndmask_b32_e32 v4, v6, v4, vcc
	v_cndmask_b32_e32 v3, v5, v3, vcc
	v_bfrev_b32_e32 v6, 60
	v_lshlrev_b32_e32 v3, 20, v3
	v_and_b32_sdwa v5, sext(v0), s41 dst_sel:DWORD dst_unused:UNUSED_PAD src0_sel:BYTE_0 src1_sel:DWORD
	v_lshl_add_u32 v4, v4, 23, v6
	v_or3_b32 v3, v5, v4, v3
	v_mov_b32_e32 v4, v22
	buffer_store_dword v3, off, s[0:3], s32 offset:612 ; 4-byte Folded Spill
	s_nop 0
	buffer_store_dword v4, off, s[0:3], s32 offset:616 ; 4-byte Folded Spill
.LBB216_397:                            ;   in Loop: Header=BB216_9 Depth=1
	s_or_b64 exec, exec, s[28:29]
.LBB216_398:                            ;   in Loop: Header=BB216_9 Depth=1
	s_or_b64 exec, exec, s[26:27]
.LBB216_399:                            ;   in Loop: Header=BB216_9 Depth=1
	s_or_b64 exec, exec, s[24:25]
	v_cmp_ne_u16_sdwa s[26:27], v0, v22 src0_sel:BYTE_1 src1_sel:DWORD
	s_and_saveexec_b64 s[24:25], s[26:27]
	s_cbranch_execz .LBB216_405
; %bb.400:                              ;   in Loop: Header=BB216_9 Depth=1
	v_cmp_ne_u16_sdwa s[28:29], v0, s19 src0_sel:BYTE_1 src1_sel:DWORD
	buffer_store_dword v22, off, s[0:3], s32 offset:620 ; 4-byte Folded Spill
	s_nop 0
	buffer_store_dword v23, off, s[0:3], s32 offset:624 ; 4-byte Folded Spill
	s_and_saveexec_b64 s[26:27], s[28:29]
	s_cbranch_execz .LBB216_404
; %bb.401:                              ;   in Loop: Header=BB216_9 Depth=1
	buffer_load_dword v4, off, s[0:3], s32 offset:64 ; 4-byte Folded Reload
	buffer_load_dword v5, off, s[0:3], s32 offset:68 ; 4-byte Folded Reload
	v_and_b32_sdwa v3, v0, s40 dst_sel:DWORD dst_unused:UNUSED_PAD src0_sel:BYTE_1 src1_sel:DWORD
	v_cmp_ne_u32_e32 vcc, s40, v3
	s_waitcnt vmcnt(1)
	v_mov_b32_e32 v4, v22
	s_waitcnt vmcnt(0)
	v_mov_b32_e32 v6, v5
	buffer_store_dword v5, off, s[0:3], s32 offset:64 ; 4-byte Folded Spill
	s_nop 0
	buffer_store_dword v6, off, s[0:3], s32 offset:68 ; 4-byte Folded Spill
	buffer_store_dword v4, off, s[0:3], s32 offset:620 ; 4-byte Folded Spill
	s_nop 0
	buffer_store_dword v5, off, s[0:3], s32 offset:624 ; 4-byte Folded Spill
	s_and_saveexec_b64 s[28:29], vcc
	s_cbranch_execz .LBB216_403
; %bb.402:                              ;   in Loop: Header=BB216_9 Depth=1
	v_mov_b32_e32 v4, 7
	v_and_b32_sdwa v4, v0, v4 dst_sel:DWORD dst_unused:UNUSED_PAD src0_sel:BYTE_1 src1_sel:DWORD
	v_lshrrev_b32_e32 v7, 3, v3
	v_cmp_gt_u32_e32 vcc, 8, v3
	v_ffbh_u32_e32 v3, v4
	v_min_u32_e32 v3, 32, v3
	v_mov_b32_e32 v5, v22
	v_subrev_u32_e32 v6, 28, v3
	v_lshlrev_b64 v[5:6], v6, v[4:5]
	v_sub_u32_e32 v3, 29, v3
	v_and_b32_e32 v5, 7, v5
	v_cndmask_b32_e32 v3, v7, v3, vcc
	v_cndmask_b32_e32 v4, v4, v5, vcc
	v_bfrev_b32_e32 v5, 60
	v_lshlrev_b32_e32 v0, 16, v0
	v_lshl_add_u32 v3, v3, 23, v5
	v_and_or_b32 v0, v0, s41, v3
	v_lshlrev_b32_e32 v3, 20, v4
	v_or_b32_e32 v4, v0, v3
	v_mov_b32_e32 v3, v22
	buffer_store_dword v3, off, s[0:3], s32 offset:620 ; 4-byte Folded Spill
	s_nop 0
	buffer_store_dword v4, off, s[0:3], s32 offset:624 ; 4-byte Folded Spill
.LBB216_403:                            ;   in Loop: Header=BB216_9 Depth=1
	s_or_b64 exec, exec, s[28:29]
.LBB216_404:                            ;   in Loop: Header=BB216_9 Depth=1
	s_or_b64 exec, exec, s[26:27]
.LBB216_405:                            ;   in Loop: Header=BB216_9 Depth=1
	s_or_b64 exec, exec, s[24:25]
	buffer_load_dword v0, off, s[0:3], s32 offset:80 ; 4-byte Folded Reload
	s_waitcnt vmcnt(0)
	v_add_co_u32_e32 v3, vcc, v1, v0
	v_addc_co_u32_e32 v4, vcc, 0, v2, vcc
	flat_load_ushort v3, v[3:4]
	s_waitcnt vmcnt(0) lgkmcnt(0)
	v_and_b32_e32 v0, 0xffff, v3
	v_cmp_ne_u16_sdwa s[26:27], v3, v22 src0_sel:BYTE_0 src1_sel:DWORD
	v_mov_b32_e32 v3, 0
	v_mov_b32_e32 v4, 0
	buffer_store_dword v3, off, s[0:3], s32 offset:636 ; 4-byte Folded Spill
	s_nop 0
	buffer_store_dword v4, off, s[0:3], s32 offset:640 ; 4-byte Folded Spill
	v_mov_b32_e32 v3, 0
	v_mov_b32_e32 v4, 0
	buffer_store_dword v3, off, s[0:3], s32 offset:628 ; 4-byte Folded Spill
	s_nop 0
	buffer_store_dword v4, off, s[0:3], s32 offset:632 ; 4-byte Folded Spill
	s_and_saveexec_b64 s[24:25], s[26:27]
	s_cbranch_execz .LBB216_411
; %bb.406:                              ;   in Loop: Header=BB216_9 Depth=1
	v_bfrev_b32_e32 v3, 1
	v_mov_b32_e32 v4, 0
	v_cmp_ne_u16_sdwa s[28:29], v0, s19 src0_sel:BYTE_0 src1_sel:DWORD
	buffer_store_dword v3, off, s[0:3], s32 offset:628 ; 4-byte Folded Spill
	s_nop 0
	buffer_store_dword v4, off, s[0:3], s32 offset:632 ; 4-byte Folded Spill
	s_and_saveexec_b64 s[26:27], s[28:29]
	s_cbranch_execz .LBB216_410
; %bb.407:                              ;   in Loop: Header=BB216_9 Depth=1
	v_and_b32_e32 v3, 0x7f, v0
	v_mov_b32_e32 v4, 0x7f800001
	v_mov_b32_e32 v5, 0
	v_cmp_ne_u32_e32 vcc, s40, v3
	buffer_store_dword v4, off, s[0:3], s32 offset:628 ; 4-byte Folded Spill
	s_nop 0
	buffer_store_dword v5, off, s[0:3], s32 offset:632 ; 4-byte Folded Spill
	s_and_saveexec_b64 s[28:29], vcc
	s_cbranch_execz .LBB216_409
; %bb.408:                              ;   in Loop: Header=BB216_9 Depth=1
	v_and_b32_e32 v5, 7, v0
	v_lshrrev_b32_e32 v6, 3, v3
	v_cmp_gt_u32_e32 vcc, 8, v3
	v_ffbh_u32_e32 v3, v5
	v_min_u32_e32 v7, 32, v3
	v_subrev_u32_e32 v3, 28, v7
	v_lshlrev_b64 v[3:4], v3, v[0:1]
	v_sub_u32_e32 v4, 29, v7
	v_and_b32_e32 v3, 7, v3
	v_cndmask_b32_e32 v4, v6, v4, vcc
	v_cndmask_b32_e32 v3, v5, v3, vcc
	v_bfrev_b32_e32 v6, 60
	v_lshlrev_b32_e32 v3, 20, v3
	v_and_b32_sdwa v5, sext(v0), s41 dst_sel:DWORD dst_unused:UNUSED_PAD src0_sel:BYTE_0 src1_sel:DWORD
	v_lshl_add_u32 v4, v4, 23, v6
	v_or3_b32 v3, v5, v4, v3
	v_mov_b32_e32 v4, v22
	buffer_store_dword v3, off, s[0:3], s32 offset:628 ; 4-byte Folded Spill
	s_nop 0
	buffer_store_dword v4, off, s[0:3], s32 offset:632 ; 4-byte Folded Spill
.LBB216_409:                            ;   in Loop: Header=BB216_9 Depth=1
	s_or_b64 exec, exec, s[28:29]
.LBB216_410:                            ;   in Loop: Header=BB216_9 Depth=1
	s_or_b64 exec, exec, s[26:27]
.LBB216_411:                            ;   in Loop: Header=BB216_9 Depth=1
	s_or_b64 exec, exec, s[24:25]
	v_cmp_ne_u16_sdwa s[26:27], v0, v22 src0_sel:BYTE_1 src1_sel:DWORD
	s_and_saveexec_b64 s[24:25], s[26:27]
	s_cbranch_execz .LBB216_417
; %bb.412:                              ;   in Loop: Header=BB216_9 Depth=1
	v_cmp_ne_u16_sdwa s[28:29], v0, s19 src0_sel:BYTE_1 src1_sel:DWORD
	buffer_store_dword v22, off, s[0:3], s32 offset:636 ; 4-byte Folded Spill
	s_nop 0
	buffer_store_dword v23, off, s[0:3], s32 offset:640 ; 4-byte Folded Spill
	s_and_saveexec_b64 s[26:27], s[28:29]
	s_cbranch_execz .LBB216_416
; %bb.413:                              ;   in Loop: Header=BB216_9 Depth=1
	buffer_load_dword v4, off, s[0:3], s32 offset:64 ; 4-byte Folded Reload
	buffer_load_dword v5, off, s[0:3], s32 offset:68 ; 4-byte Folded Reload
	v_and_b32_sdwa v3, v0, s40 dst_sel:DWORD dst_unused:UNUSED_PAD src0_sel:BYTE_1 src1_sel:DWORD
	v_cmp_ne_u32_e32 vcc, s40, v3
	s_waitcnt vmcnt(1)
	v_mov_b32_e32 v4, v22
	s_waitcnt vmcnt(0)
	v_mov_b32_e32 v6, v5
	buffer_store_dword v5, off, s[0:3], s32 offset:64 ; 4-byte Folded Spill
	s_nop 0
	buffer_store_dword v6, off, s[0:3], s32 offset:68 ; 4-byte Folded Spill
	buffer_store_dword v4, off, s[0:3], s32 offset:636 ; 4-byte Folded Spill
	s_nop 0
	buffer_store_dword v5, off, s[0:3], s32 offset:640 ; 4-byte Folded Spill
	s_and_saveexec_b64 s[28:29], vcc
	s_cbranch_execz .LBB216_415
; %bb.414:                              ;   in Loop: Header=BB216_9 Depth=1
	v_mov_b32_e32 v4, 7
	v_and_b32_sdwa v4, v0, v4 dst_sel:DWORD dst_unused:UNUSED_PAD src0_sel:BYTE_1 src1_sel:DWORD
	v_lshrrev_b32_e32 v7, 3, v3
	v_cmp_gt_u32_e32 vcc, 8, v3
	v_ffbh_u32_e32 v3, v4
	v_min_u32_e32 v3, 32, v3
	v_mov_b32_e32 v5, v22
	v_subrev_u32_e32 v6, 28, v3
	v_lshlrev_b64 v[5:6], v6, v[4:5]
	v_sub_u32_e32 v3, 29, v3
	v_and_b32_e32 v5, 7, v5
	v_cndmask_b32_e32 v3, v7, v3, vcc
	v_cndmask_b32_e32 v4, v4, v5, vcc
	v_bfrev_b32_e32 v5, 60
	v_lshlrev_b32_e32 v0, 16, v0
	v_lshl_add_u32 v3, v3, 23, v5
	v_and_or_b32 v0, v0, s41, v3
	v_lshlrev_b32_e32 v3, 20, v4
	v_or_b32_e32 v4, v0, v3
	v_mov_b32_e32 v3, v22
	buffer_store_dword v3, off, s[0:3], s32 offset:636 ; 4-byte Folded Spill
	s_nop 0
	buffer_store_dword v4, off, s[0:3], s32 offset:640 ; 4-byte Folded Spill
.LBB216_415:                            ;   in Loop: Header=BB216_9 Depth=1
	s_or_b64 exec, exec, s[28:29]
.LBB216_416:                            ;   in Loop: Header=BB216_9 Depth=1
	s_or_b64 exec, exec, s[26:27]
.LBB216_417:                            ;   in Loop: Header=BB216_9 Depth=1
	s_or_b64 exec, exec, s[24:25]
	buffer_load_dword v0, off, s[0:3], s32 offset:84 ; 4-byte Folded Reload
	s_waitcnt vmcnt(0)
	v_add_co_u32_e32 v3, vcc, v1, v0
	v_addc_co_u32_e32 v4, vcc, 0, v2, vcc
	flat_load_ushort v3, v[3:4]
	s_waitcnt vmcnt(0) lgkmcnt(0)
	v_and_b32_e32 v0, 0xffff, v3
	v_cmp_ne_u16_sdwa s[26:27], v3, v22 src0_sel:BYTE_0 src1_sel:DWORD
	v_mov_b32_e32 v3, 0
	v_mov_b32_e32 v4, 0
	buffer_store_dword v3, off, s[0:3], s32 offset:652 ; 4-byte Folded Spill
	s_nop 0
	buffer_store_dword v4, off, s[0:3], s32 offset:656 ; 4-byte Folded Spill
	v_mov_b32_e32 v3, 0
	v_mov_b32_e32 v4, 0
	buffer_store_dword v3, off, s[0:3], s32 offset:644 ; 4-byte Folded Spill
	s_nop 0
	buffer_store_dword v4, off, s[0:3], s32 offset:648 ; 4-byte Folded Spill
	s_and_saveexec_b64 s[24:25], s[26:27]
	s_cbranch_execz .LBB216_423
; %bb.418:                              ;   in Loop: Header=BB216_9 Depth=1
	v_bfrev_b32_e32 v3, 1
	v_mov_b32_e32 v4, 0
	v_cmp_ne_u16_sdwa s[28:29], v0, s19 src0_sel:BYTE_0 src1_sel:DWORD
	buffer_store_dword v3, off, s[0:3], s32 offset:644 ; 4-byte Folded Spill
	s_nop 0
	buffer_store_dword v4, off, s[0:3], s32 offset:648 ; 4-byte Folded Spill
	s_and_saveexec_b64 s[26:27], s[28:29]
	s_cbranch_execz .LBB216_422
; %bb.419:                              ;   in Loop: Header=BB216_9 Depth=1
	v_and_b32_e32 v3, 0x7f, v0
	v_mov_b32_e32 v4, 0x7f800001
	v_mov_b32_e32 v5, 0
	v_cmp_ne_u32_e32 vcc, s40, v3
	buffer_store_dword v4, off, s[0:3], s32 offset:644 ; 4-byte Folded Spill
	s_nop 0
	buffer_store_dword v5, off, s[0:3], s32 offset:648 ; 4-byte Folded Spill
	s_and_saveexec_b64 s[28:29], vcc
	s_cbranch_execz .LBB216_421
; %bb.420:                              ;   in Loop: Header=BB216_9 Depth=1
	v_and_b32_e32 v5, 7, v0
	v_lshrrev_b32_e32 v6, 3, v3
	v_cmp_gt_u32_e32 vcc, 8, v3
	v_ffbh_u32_e32 v3, v5
	v_min_u32_e32 v7, 32, v3
	v_subrev_u32_e32 v3, 28, v7
	v_lshlrev_b64 v[3:4], v3, v[0:1]
	v_sub_u32_e32 v4, 29, v7
	v_and_b32_e32 v3, 7, v3
	v_cndmask_b32_e32 v4, v6, v4, vcc
	v_cndmask_b32_e32 v3, v5, v3, vcc
	v_bfrev_b32_e32 v6, 60
	v_lshlrev_b32_e32 v3, 20, v3
	v_and_b32_sdwa v5, sext(v0), s41 dst_sel:DWORD dst_unused:UNUSED_PAD src0_sel:BYTE_0 src1_sel:DWORD
	v_lshl_add_u32 v4, v4, 23, v6
	v_or3_b32 v3, v5, v4, v3
	v_mov_b32_e32 v4, v22
	buffer_store_dword v3, off, s[0:3], s32 offset:644 ; 4-byte Folded Spill
	s_nop 0
	buffer_store_dword v4, off, s[0:3], s32 offset:648 ; 4-byte Folded Spill
.LBB216_421:                            ;   in Loop: Header=BB216_9 Depth=1
	s_or_b64 exec, exec, s[28:29]
.LBB216_422:                            ;   in Loop: Header=BB216_9 Depth=1
	s_or_b64 exec, exec, s[26:27]
.LBB216_423:                            ;   in Loop: Header=BB216_9 Depth=1
	s_or_b64 exec, exec, s[24:25]
	v_cmp_ne_u16_sdwa s[26:27], v0, v22 src0_sel:BYTE_1 src1_sel:DWORD
	s_and_saveexec_b64 s[24:25], s[26:27]
	s_cbranch_execz .LBB216_429
; %bb.424:                              ;   in Loop: Header=BB216_9 Depth=1
	v_cmp_ne_u16_sdwa s[28:29], v0, s19 src0_sel:BYTE_1 src1_sel:DWORD
	buffer_store_dword v22, off, s[0:3], s32 offset:652 ; 4-byte Folded Spill
	s_nop 0
	buffer_store_dword v23, off, s[0:3], s32 offset:656 ; 4-byte Folded Spill
	s_and_saveexec_b64 s[26:27], s[28:29]
	s_cbranch_execz .LBB216_428
; %bb.425:                              ;   in Loop: Header=BB216_9 Depth=1
	buffer_load_dword v4, off, s[0:3], s32 offset:64 ; 4-byte Folded Reload
	buffer_load_dword v5, off, s[0:3], s32 offset:68 ; 4-byte Folded Reload
	v_and_b32_sdwa v3, v0, s40 dst_sel:DWORD dst_unused:UNUSED_PAD src0_sel:BYTE_1 src1_sel:DWORD
	v_cmp_ne_u32_e32 vcc, s40, v3
	s_waitcnt vmcnt(1)
	v_mov_b32_e32 v4, v22
	s_waitcnt vmcnt(0)
	v_mov_b32_e32 v6, v5
	buffer_store_dword v5, off, s[0:3], s32 offset:64 ; 4-byte Folded Spill
	s_nop 0
	buffer_store_dword v6, off, s[0:3], s32 offset:68 ; 4-byte Folded Spill
	buffer_store_dword v4, off, s[0:3], s32 offset:652 ; 4-byte Folded Spill
	s_nop 0
	buffer_store_dword v5, off, s[0:3], s32 offset:656 ; 4-byte Folded Spill
	s_and_saveexec_b64 s[28:29], vcc
	s_cbranch_execz .LBB216_427
; %bb.426:                              ;   in Loop: Header=BB216_9 Depth=1
	v_mov_b32_e32 v4, 7
	v_and_b32_sdwa v4, v0, v4 dst_sel:DWORD dst_unused:UNUSED_PAD src0_sel:BYTE_1 src1_sel:DWORD
	v_lshrrev_b32_e32 v7, 3, v3
	v_cmp_gt_u32_e32 vcc, 8, v3
	v_ffbh_u32_e32 v3, v4
	v_min_u32_e32 v3, 32, v3
	v_mov_b32_e32 v5, v22
	v_subrev_u32_e32 v6, 28, v3
	v_lshlrev_b64 v[5:6], v6, v[4:5]
	v_sub_u32_e32 v3, 29, v3
	v_and_b32_e32 v5, 7, v5
	v_cndmask_b32_e32 v3, v7, v3, vcc
	v_cndmask_b32_e32 v4, v4, v5, vcc
	v_bfrev_b32_e32 v5, 60
	v_lshlrev_b32_e32 v0, 16, v0
	v_lshl_add_u32 v3, v3, 23, v5
	v_and_or_b32 v0, v0, s41, v3
	v_lshlrev_b32_e32 v3, 20, v4
	v_or_b32_e32 v4, v0, v3
	v_mov_b32_e32 v3, v22
	buffer_store_dword v3, off, s[0:3], s32 offset:652 ; 4-byte Folded Spill
	s_nop 0
	buffer_store_dword v4, off, s[0:3], s32 offset:656 ; 4-byte Folded Spill
.LBB216_427:                            ;   in Loop: Header=BB216_9 Depth=1
	s_or_b64 exec, exec, s[28:29]
.LBB216_428:                            ;   in Loop: Header=BB216_9 Depth=1
	s_or_b64 exec, exec, s[26:27]
.LBB216_429:                            ;   in Loop: Header=BB216_9 Depth=1
	s_or_b64 exec, exec, s[24:25]
	buffer_load_dword v0, off, s[0:3], s32 offset:88 ; 4-byte Folded Reload
	s_waitcnt vmcnt(0)
	v_add_co_u32_e32 v0, vcc, v1, v0
	v_addc_co_u32_e32 v1, vcc, 0, v2, vcc
	flat_load_ushort v1, v[0:1]
	s_waitcnt vmcnt(0) lgkmcnt(0)
	v_and_b32_e32 v0, 0xffff, v1
	v_cmp_ne_u16_sdwa s[26:27], v1, v22 src0_sel:BYTE_0 src1_sel:DWORD
	v_mov_b32_e32 v1, 0
	v_mov_b32_e32 v2, 0
	buffer_store_dword v1, off, s[0:3], s32 offset:668 ; 4-byte Folded Spill
	s_nop 0
	buffer_store_dword v2, off, s[0:3], s32 offset:672 ; 4-byte Folded Spill
	v_mov_b32_e32 v1, 0
	v_mov_b32_e32 v2, 0
	buffer_store_dword v1, off, s[0:3], s32 offset:660 ; 4-byte Folded Spill
	s_nop 0
	buffer_store_dword v2, off, s[0:3], s32 offset:664 ; 4-byte Folded Spill
	s_and_saveexec_b64 s[24:25], s[26:27]
	s_cbranch_execz .LBB216_435
; %bb.430:                              ;   in Loop: Header=BB216_9 Depth=1
	v_bfrev_b32_e32 v1, 1
	v_mov_b32_e32 v2, 0
	v_cmp_ne_u16_sdwa s[28:29], v0, s19 src0_sel:BYTE_0 src1_sel:DWORD
	buffer_store_dword v1, off, s[0:3], s32 offset:660 ; 4-byte Folded Spill
	s_nop 0
	buffer_store_dword v2, off, s[0:3], s32 offset:664 ; 4-byte Folded Spill
	s_and_saveexec_b64 s[26:27], s[28:29]
	s_cbranch_execz .LBB216_434
; %bb.431:                              ;   in Loop: Header=BB216_9 Depth=1
	v_and_b32_e32 v1, 0x7f, v0
	v_mov_b32_e32 v2, 0x7f800001
	v_mov_b32_e32 v3, 0
	v_cmp_ne_u32_e32 vcc, s40, v1
	buffer_store_dword v2, off, s[0:3], s32 offset:660 ; 4-byte Folded Spill
	s_nop 0
	buffer_store_dword v3, off, s[0:3], s32 offset:664 ; 4-byte Folded Spill
	s_and_saveexec_b64 s[28:29], vcc
	s_cbranch_execz .LBB216_433
; %bb.432:                              ;   in Loop: Header=BB216_9 Depth=1
	v_and_b32_e32 v3, 7, v0
	v_lshrrev_b32_e32 v4, 3, v1
	v_cmp_gt_u32_e32 vcc, 8, v1
	v_ffbh_u32_e32 v1, v3
	v_min_u32_e32 v5, 32, v1
	v_subrev_u32_e32 v1, 28, v5
	v_lshlrev_b64 v[1:2], v1, v[0:1]
	v_sub_u32_e32 v2, 29, v5
	v_and_b32_e32 v1, 7, v1
	v_cndmask_b32_e32 v2, v4, v2, vcc
	v_cndmask_b32_e32 v1, v3, v1, vcc
	v_bfrev_b32_e32 v4, 60
	v_lshlrev_b32_e32 v1, 20, v1
	v_and_b32_sdwa v3, sext(v0), s41 dst_sel:DWORD dst_unused:UNUSED_PAD src0_sel:BYTE_0 src1_sel:DWORD
	v_lshl_add_u32 v2, v2, 23, v4
	v_or3_b32 v1, v3, v2, v1
	v_mov_b32_e32 v2, v22
	buffer_store_dword v1, off, s[0:3], s32 offset:660 ; 4-byte Folded Spill
	s_nop 0
	buffer_store_dword v2, off, s[0:3], s32 offset:664 ; 4-byte Folded Spill
.LBB216_433:                            ;   in Loop: Header=BB216_9 Depth=1
	s_or_b64 exec, exec, s[28:29]
.LBB216_434:                            ;   in Loop: Header=BB216_9 Depth=1
	s_or_b64 exec, exec, s[26:27]
.LBB216_435:                            ;   in Loop: Header=BB216_9 Depth=1
	s_or_b64 exec, exec, s[24:25]
	v_cmp_ne_u16_sdwa s[26:27], v0, v22 src0_sel:BYTE_1 src1_sel:DWORD
	s_and_saveexec_b64 s[24:25], s[26:27]
	s_cbranch_execz .LBB216_441
; %bb.436:                              ;   in Loop: Header=BB216_9 Depth=1
	v_cmp_ne_u16_sdwa s[28:29], v0, s19 src0_sel:BYTE_1 src1_sel:DWORD
	buffer_store_dword v22, off, s[0:3], s32 offset:668 ; 4-byte Folded Spill
	s_nop 0
	buffer_store_dword v23, off, s[0:3], s32 offset:672 ; 4-byte Folded Spill
	s_and_saveexec_b64 s[26:27], s[28:29]
	s_cbranch_execz .LBB216_440
; %bb.437:                              ;   in Loop: Header=BB216_9 Depth=1
	buffer_load_dword v2, off, s[0:3], s32 offset:64 ; 4-byte Folded Reload
	buffer_load_dword v3, off, s[0:3], s32 offset:68 ; 4-byte Folded Reload
	v_and_b32_sdwa v1, v0, s40 dst_sel:DWORD dst_unused:UNUSED_PAD src0_sel:BYTE_1 src1_sel:DWORD
	v_cmp_ne_u32_e32 vcc, s40, v1
	s_waitcnt vmcnt(1)
	v_mov_b32_e32 v2, v22
	s_waitcnt vmcnt(0)
	v_mov_b32_e32 v4, v3
	buffer_store_dword v3, off, s[0:3], s32 offset:64 ; 4-byte Folded Spill
	s_nop 0
	buffer_store_dword v4, off, s[0:3], s32 offset:68 ; 4-byte Folded Spill
	buffer_store_dword v2, off, s[0:3], s32 offset:668 ; 4-byte Folded Spill
	s_nop 0
	buffer_store_dword v3, off, s[0:3], s32 offset:672 ; 4-byte Folded Spill
	s_and_saveexec_b64 s[28:29], vcc
	s_cbranch_execz .LBB216_439
; %bb.438:                              ;   in Loop: Header=BB216_9 Depth=1
	v_mov_b32_e32 v2, 7
	v_and_b32_sdwa v2, v0, v2 dst_sel:DWORD dst_unused:UNUSED_PAD src0_sel:BYTE_1 src1_sel:DWORD
	v_lshrrev_b32_e32 v5, 3, v1
	v_cmp_gt_u32_e32 vcc, 8, v1
	v_ffbh_u32_e32 v1, v2
	v_min_u32_e32 v1, 32, v1
	v_mov_b32_e32 v3, v22
	v_subrev_u32_e32 v4, 28, v1
	v_lshlrev_b64 v[3:4], v4, v[2:3]
	v_sub_u32_e32 v1, 29, v1
	v_and_b32_e32 v3, 7, v3
	v_cndmask_b32_e32 v1, v5, v1, vcc
	v_cndmask_b32_e32 v2, v2, v3, vcc
	v_bfrev_b32_e32 v3, 60
	v_lshlrev_b32_e32 v0, 16, v0
	v_lshl_add_u32 v1, v1, 23, v3
	v_and_or_b32 v0, v0, s41, v1
	v_lshlrev_b32_e32 v1, 20, v2
	v_or_b32_e32 v1, v0, v1
	v_mov_b32_e32 v0, v22
	buffer_store_dword v0, off, s[0:3], s32 offset:668 ; 4-byte Folded Spill
	s_nop 0
	buffer_store_dword v1, off, s[0:3], s32 offset:672 ; 4-byte Folded Spill
.LBB216_439:                            ;   in Loop: Header=BB216_9 Depth=1
	s_or_b64 exec, exec, s[28:29]
.LBB216_440:                            ;   in Loop: Header=BB216_9 Depth=1
	s_or_b64 exec, exec, s[26:27]
.LBB216_441:                            ;   in Loop: Header=BB216_9 Depth=1
	s_or_b64 exec, exec, s[24:25]
	buffer_load_dword v0, off, s[0:3], s32 offset:76 ; 4-byte Folded Reload
	v_add_co_u32_e32 v1, vcc, 0x1200, v49
	v_addc_co_u32_e32 v2, vcc, 0, v50, vcc
	s_waitcnt vmcnt(0)
	v_add_co_u32_e32 v3, vcc, v1, v0
	v_addc_co_u32_e32 v4, vcc, 0, v2, vcc
	flat_load_ushort v3, v[3:4]
	s_waitcnt vmcnt(0) lgkmcnt(0)
	v_and_b32_e32 v0, 0xffff, v3
	v_cmp_ne_u16_sdwa s[26:27], v3, v22 src0_sel:BYTE_0 src1_sel:DWORD
	v_mov_b32_e32 v3, 0
	v_mov_b32_e32 v4, 0
	buffer_store_dword v3, off, s[0:3], s32 offset:684 ; 4-byte Folded Spill
	s_nop 0
	buffer_store_dword v4, off, s[0:3], s32 offset:688 ; 4-byte Folded Spill
	v_mov_b32_e32 v3, 0
	v_mov_b32_e32 v4, 0
	buffer_store_dword v3, off, s[0:3], s32 offset:676 ; 4-byte Folded Spill
	s_nop 0
	buffer_store_dword v4, off, s[0:3], s32 offset:680 ; 4-byte Folded Spill
	s_and_saveexec_b64 s[24:25], s[26:27]
	s_cbranch_execz .LBB216_447
; %bb.442:                              ;   in Loop: Header=BB216_9 Depth=1
	v_bfrev_b32_e32 v3, 1
	v_mov_b32_e32 v4, 0
	v_cmp_ne_u16_sdwa s[28:29], v0, s19 src0_sel:BYTE_0 src1_sel:DWORD
	buffer_store_dword v3, off, s[0:3], s32 offset:676 ; 4-byte Folded Spill
	s_nop 0
	buffer_store_dword v4, off, s[0:3], s32 offset:680 ; 4-byte Folded Spill
	s_and_saveexec_b64 s[26:27], s[28:29]
	s_cbranch_execz .LBB216_446
; %bb.443:                              ;   in Loop: Header=BB216_9 Depth=1
	v_and_b32_e32 v3, 0x7f, v0
	v_mov_b32_e32 v4, 0x7f800001
	v_mov_b32_e32 v5, 0
	v_cmp_ne_u32_e32 vcc, s40, v3
	buffer_store_dword v4, off, s[0:3], s32 offset:676 ; 4-byte Folded Spill
	s_nop 0
	buffer_store_dword v5, off, s[0:3], s32 offset:680 ; 4-byte Folded Spill
	s_and_saveexec_b64 s[28:29], vcc
	s_cbranch_execz .LBB216_445
; %bb.444:                              ;   in Loop: Header=BB216_9 Depth=1
	v_and_b32_e32 v5, 7, v0
	v_lshrrev_b32_e32 v6, 3, v3
	v_cmp_gt_u32_e32 vcc, 8, v3
	v_ffbh_u32_e32 v3, v5
	v_min_u32_e32 v7, 32, v3
	v_subrev_u32_e32 v3, 28, v7
	v_lshlrev_b64 v[3:4], v3, v[0:1]
	v_sub_u32_e32 v4, 29, v7
	v_and_b32_e32 v3, 7, v3
	v_cndmask_b32_e32 v4, v6, v4, vcc
	v_cndmask_b32_e32 v3, v5, v3, vcc
	v_bfrev_b32_e32 v6, 60
	v_lshlrev_b32_e32 v3, 20, v3
	v_and_b32_sdwa v5, sext(v0), s41 dst_sel:DWORD dst_unused:UNUSED_PAD src0_sel:BYTE_0 src1_sel:DWORD
	v_lshl_add_u32 v4, v4, 23, v6
	v_or3_b32 v3, v5, v4, v3
	v_mov_b32_e32 v4, v22
	buffer_store_dword v3, off, s[0:3], s32 offset:676 ; 4-byte Folded Spill
	s_nop 0
	buffer_store_dword v4, off, s[0:3], s32 offset:680 ; 4-byte Folded Spill
.LBB216_445:                            ;   in Loop: Header=BB216_9 Depth=1
	s_or_b64 exec, exec, s[28:29]
.LBB216_446:                            ;   in Loop: Header=BB216_9 Depth=1
	s_or_b64 exec, exec, s[26:27]
.LBB216_447:                            ;   in Loop: Header=BB216_9 Depth=1
	s_or_b64 exec, exec, s[24:25]
	v_cmp_ne_u16_sdwa s[26:27], v0, v22 src0_sel:BYTE_1 src1_sel:DWORD
	s_and_saveexec_b64 s[24:25], s[26:27]
	s_cbranch_execz .LBB216_453
; %bb.448:                              ;   in Loop: Header=BB216_9 Depth=1
	v_cmp_ne_u16_sdwa s[28:29], v0, s19 src0_sel:BYTE_1 src1_sel:DWORD
	buffer_store_dword v22, off, s[0:3], s32 offset:684 ; 4-byte Folded Spill
	s_nop 0
	buffer_store_dword v23, off, s[0:3], s32 offset:688 ; 4-byte Folded Spill
	s_and_saveexec_b64 s[26:27], s[28:29]
	s_cbranch_execz .LBB216_452
; %bb.449:                              ;   in Loop: Header=BB216_9 Depth=1
	buffer_load_dword v4, off, s[0:3], s32 offset:64 ; 4-byte Folded Reload
	buffer_load_dword v5, off, s[0:3], s32 offset:68 ; 4-byte Folded Reload
	v_and_b32_sdwa v3, v0, s40 dst_sel:DWORD dst_unused:UNUSED_PAD src0_sel:BYTE_1 src1_sel:DWORD
	v_cmp_ne_u32_e32 vcc, s40, v3
	s_waitcnt vmcnt(1)
	v_mov_b32_e32 v4, v22
	s_waitcnt vmcnt(0)
	v_mov_b32_e32 v6, v5
	buffer_store_dword v5, off, s[0:3], s32 offset:64 ; 4-byte Folded Spill
	s_nop 0
	buffer_store_dword v6, off, s[0:3], s32 offset:68 ; 4-byte Folded Spill
	buffer_store_dword v4, off, s[0:3], s32 offset:684 ; 4-byte Folded Spill
	s_nop 0
	buffer_store_dword v5, off, s[0:3], s32 offset:688 ; 4-byte Folded Spill
	s_and_saveexec_b64 s[28:29], vcc
	s_cbranch_execz .LBB216_451
; %bb.450:                              ;   in Loop: Header=BB216_9 Depth=1
	v_mov_b32_e32 v4, 7
	v_and_b32_sdwa v4, v0, v4 dst_sel:DWORD dst_unused:UNUSED_PAD src0_sel:BYTE_1 src1_sel:DWORD
	v_lshrrev_b32_e32 v7, 3, v3
	v_cmp_gt_u32_e32 vcc, 8, v3
	v_ffbh_u32_e32 v3, v4
	v_min_u32_e32 v3, 32, v3
	v_mov_b32_e32 v5, v22
	v_subrev_u32_e32 v6, 28, v3
	v_lshlrev_b64 v[5:6], v6, v[4:5]
	v_sub_u32_e32 v3, 29, v3
	v_and_b32_e32 v5, 7, v5
	v_cndmask_b32_e32 v3, v7, v3, vcc
	v_cndmask_b32_e32 v4, v4, v5, vcc
	v_bfrev_b32_e32 v5, 60
	v_lshlrev_b32_e32 v0, 16, v0
	v_lshl_add_u32 v3, v3, 23, v5
	v_and_or_b32 v0, v0, s41, v3
	v_lshlrev_b32_e32 v3, 20, v4
	v_or_b32_e32 v4, v0, v3
	v_mov_b32_e32 v3, v22
	buffer_store_dword v3, off, s[0:3], s32 offset:684 ; 4-byte Folded Spill
	s_nop 0
	buffer_store_dword v4, off, s[0:3], s32 offset:688 ; 4-byte Folded Spill
.LBB216_451:                            ;   in Loop: Header=BB216_9 Depth=1
	s_or_b64 exec, exec, s[28:29]
.LBB216_452:                            ;   in Loop: Header=BB216_9 Depth=1
	s_or_b64 exec, exec, s[26:27]
.LBB216_453:                            ;   in Loop: Header=BB216_9 Depth=1
	s_or_b64 exec, exec, s[24:25]
	buffer_load_dword v0, off, s[0:3], s32 offset:80 ; 4-byte Folded Reload
	s_waitcnt vmcnt(0)
	v_add_co_u32_e32 v3, vcc, v1, v0
	v_addc_co_u32_e32 v4, vcc, 0, v2, vcc
	flat_load_ushort v3, v[3:4]
	s_waitcnt vmcnt(0) lgkmcnt(0)
	v_and_b32_e32 v0, 0xffff, v3
	v_cmp_ne_u16_sdwa s[26:27], v3, v22 src0_sel:BYTE_0 src1_sel:DWORD
	v_mov_b32_e32 v3, 0
	v_mov_b32_e32 v4, 0
	buffer_store_dword v3, off, s[0:3], s32 offset:700 ; 4-byte Folded Spill
	s_nop 0
	buffer_store_dword v4, off, s[0:3], s32 offset:704 ; 4-byte Folded Spill
	v_mov_b32_e32 v3, 0
	v_mov_b32_e32 v4, 0
	buffer_store_dword v3, off, s[0:3], s32 offset:692 ; 4-byte Folded Spill
	s_nop 0
	buffer_store_dword v4, off, s[0:3], s32 offset:696 ; 4-byte Folded Spill
	s_and_saveexec_b64 s[24:25], s[26:27]
	s_cbranch_execz .LBB216_459
; %bb.454:                              ;   in Loop: Header=BB216_9 Depth=1
	v_bfrev_b32_e32 v3, 1
	v_mov_b32_e32 v4, 0
	v_cmp_ne_u16_sdwa s[28:29], v0, s19 src0_sel:BYTE_0 src1_sel:DWORD
	buffer_store_dword v3, off, s[0:3], s32 offset:692 ; 4-byte Folded Spill
	s_nop 0
	buffer_store_dword v4, off, s[0:3], s32 offset:696 ; 4-byte Folded Spill
	s_and_saveexec_b64 s[26:27], s[28:29]
	s_cbranch_execz .LBB216_458
; %bb.455:                              ;   in Loop: Header=BB216_9 Depth=1
	v_and_b32_e32 v3, 0x7f, v0
	v_mov_b32_e32 v4, 0x7f800001
	v_mov_b32_e32 v5, 0
	v_cmp_ne_u32_e32 vcc, s40, v3
	buffer_store_dword v4, off, s[0:3], s32 offset:692 ; 4-byte Folded Spill
	s_nop 0
	buffer_store_dword v5, off, s[0:3], s32 offset:696 ; 4-byte Folded Spill
	s_and_saveexec_b64 s[28:29], vcc
	s_cbranch_execz .LBB216_457
; %bb.456:                              ;   in Loop: Header=BB216_9 Depth=1
	v_and_b32_e32 v5, 7, v0
	v_lshrrev_b32_e32 v6, 3, v3
	v_cmp_gt_u32_e32 vcc, 8, v3
	v_ffbh_u32_e32 v3, v5
	v_min_u32_e32 v7, 32, v3
	v_subrev_u32_e32 v3, 28, v7
	v_lshlrev_b64 v[3:4], v3, v[0:1]
	v_sub_u32_e32 v4, 29, v7
	v_and_b32_e32 v3, 7, v3
	v_cndmask_b32_e32 v4, v6, v4, vcc
	v_cndmask_b32_e32 v3, v5, v3, vcc
	v_bfrev_b32_e32 v6, 60
	v_lshlrev_b32_e32 v3, 20, v3
	v_and_b32_sdwa v5, sext(v0), s41 dst_sel:DWORD dst_unused:UNUSED_PAD src0_sel:BYTE_0 src1_sel:DWORD
	v_lshl_add_u32 v4, v4, 23, v6
	v_or3_b32 v3, v5, v4, v3
	v_mov_b32_e32 v4, v22
	buffer_store_dword v3, off, s[0:3], s32 offset:692 ; 4-byte Folded Spill
	s_nop 0
	buffer_store_dword v4, off, s[0:3], s32 offset:696 ; 4-byte Folded Spill
.LBB216_457:                            ;   in Loop: Header=BB216_9 Depth=1
	s_or_b64 exec, exec, s[28:29]
.LBB216_458:                            ;   in Loop: Header=BB216_9 Depth=1
	s_or_b64 exec, exec, s[26:27]
.LBB216_459:                            ;   in Loop: Header=BB216_9 Depth=1
	s_or_b64 exec, exec, s[24:25]
	v_cmp_ne_u16_sdwa s[26:27], v0, v22 src0_sel:BYTE_1 src1_sel:DWORD
	s_and_saveexec_b64 s[24:25], s[26:27]
	s_cbranch_execz .LBB216_465
; %bb.460:                              ;   in Loop: Header=BB216_9 Depth=1
	v_cmp_ne_u16_sdwa s[28:29], v0, s19 src0_sel:BYTE_1 src1_sel:DWORD
	buffer_store_dword v22, off, s[0:3], s32 offset:700 ; 4-byte Folded Spill
	s_nop 0
	buffer_store_dword v23, off, s[0:3], s32 offset:704 ; 4-byte Folded Spill
	s_and_saveexec_b64 s[26:27], s[28:29]
	s_cbranch_execz .LBB216_464
; %bb.461:                              ;   in Loop: Header=BB216_9 Depth=1
	buffer_load_dword v4, off, s[0:3], s32 offset:64 ; 4-byte Folded Reload
	buffer_load_dword v5, off, s[0:3], s32 offset:68 ; 4-byte Folded Reload
	v_and_b32_sdwa v3, v0, s40 dst_sel:DWORD dst_unused:UNUSED_PAD src0_sel:BYTE_1 src1_sel:DWORD
	v_cmp_ne_u32_e32 vcc, s40, v3
	s_waitcnt vmcnt(1)
	v_mov_b32_e32 v4, v22
	s_waitcnt vmcnt(0)
	v_mov_b32_e32 v6, v5
	buffer_store_dword v5, off, s[0:3], s32 offset:64 ; 4-byte Folded Spill
	s_nop 0
	buffer_store_dword v6, off, s[0:3], s32 offset:68 ; 4-byte Folded Spill
	buffer_store_dword v4, off, s[0:3], s32 offset:700 ; 4-byte Folded Spill
	s_nop 0
	buffer_store_dword v5, off, s[0:3], s32 offset:704 ; 4-byte Folded Spill
	s_and_saveexec_b64 s[28:29], vcc
	s_cbranch_execz .LBB216_463
; %bb.462:                              ;   in Loop: Header=BB216_9 Depth=1
	v_mov_b32_e32 v4, 7
	v_and_b32_sdwa v4, v0, v4 dst_sel:DWORD dst_unused:UNUSED_PAD src0_sel:BYTE_1 src1_sel:DWORD
	v_lshrrev_b32_e32 v7, 3, v3
	v_cmp_gt_u32_e32 vcc, 8, v3
	v_ffbh_u32_e32 v3, v4
	v_min_u32_e32 v3, 32, v3
	v_mov_b32_e32 v5, v22
	v_subrev_u32_e32 v6, 28, v3
	v_lshlrev_b64 v[5:6], v6, v[4:5]
	v_sub_u32_e32 v3, 29, v3
	v_and_b32_e32 v5, 7, v5
	v_cndmask_b32_e32 v3, v7, v3, vcc
	v_cndmask_b32_e32 v4, v4, v5, vcc
	v_bfrev_b32_e32 v5, 60
	v_lshlrev_b32_e32 v0, 16, v0
	v_lshl_add_u32 v3, v3, 23, v5
	v_and_or_b32 v0, v0, s41, v3
	v_lshlrev_b32_e32 v3, 20, v4
	v_or_b32_e32 v4, v0, v3
	v_mov_b32_e32 v3, v22
	buffer_store_dword v3, off, s[0:3], s32 offset:700 ; 4-byte Folded Spill
	s_nop 0
	buffer_store_dword v4, off, s[0:3], s32 offset:704 ; 4-byte Folded Spill
.LBB216_463:                            ;   in Loop: Header=BB216_9 Depth=1
	s_or_b64 exec, exec, s[28:29]
.LBB216_464:                            ;   in Loop: Header=BB216_9 Depth=1
	s_or_b64 exec, exec, s[26:27]
.LBB216_465:                            ;   in Loop: Header=BB216_9 Depth=1
	s_or_b64 exec, exec, s[24:25]
	buffer_load_dword v0, off, s[0:3], s32 offset:84 ; 4-byte Folded Reload
	s_waitcnt vmcnt(0)
	v_add_co_u32_e32 v3, vcc, v1, v0
	v_addc_co_u32_e32 v4, vcc, 0, v2, vcc
	flat_load_ushort v3, v[3:4]
	s_waitcnt vmcnt(0) lgkmcnt(0)
	v_and_b32_e32 v0, 0xffff, v3
	v_cmp_ne_u16_sdwa s[26:27], v3, v22 src0_sel:BYTE_0 src1_sel:DWORD
	v_mov_b32_e32 v3, 0
	v_mov_b32_e32 v4, 0
	buffer_store_dword v3, off, s[0:3], s32 offset:716 ; 4-byte Folded Spill
	s_nop 0
	buffer_store_dword v4, off, s[0:3], s32 offset:720 ; 4-byte Folded Spill
	v_mov_b32_e32 v3, 0
	v_mov_b32_e32 v4, 0
	buffer_store_dword v3, off, s[0:3], s32 offset:708 ; 4-byte Folded Spill
	s_nop 0
	buffer_store_dword v4, off, s[0:3], s32 offset:712 ; 4-byte Folded Spill
	s_and_saveexec_b64 s[24:25], s[26:27]
	s_cbranch_execz .LBB216_471
; %bb.466:                              ;   in Loop: Header=BB216_9 Depth=1
	v_bfrev_b32_e32 v3, 1
	v_mov_b32_e32 v4, 0
	v_cmp_ne_u16_sdwa s[28:29], v0, s19 src0_sel:BYTE_0 src1_sel:DWORD
	buffer_store_dword v3, off, s[0:3], s32 offset:708 ; 4-byte Folded Spill
	s_nop 0
	buffer_store_dword v4, off, s[0:3], s32 offset:712 ; 4-byte Folded Spill
	s_and_saveexec_b64 s[26:27], s[28:29]
	s_cbranch_execz .LBB216_470
; %bb.467:                              ;   in Loop: Header=BB216_9 Depth=1
	v_and_b32_e32 v3, 0x7f, v0
	v_mov_b32_e32 v4, 0x7f800001
	v_mov_b32_e32 v5, 0
	v_cmp_ne_u32_e32 vcc, s40, v3
	buffer_store_dword v4, off, s[0:3], s32 offset:708 ; 4-byte Folded Spill
	s_nop 0
	buffer_store_dword v5, off, s[0:3], s32 offset:712 ; 4-byte Folded Spill
	s_and_saveexec_b64 s[28:29], vcc
	s_cbranch_execz .LBB216_469
; %bb.468:                              ;   in Loop: Header=BB216_9 Depth=1
	v_and_b32_e32 v5, 7, v0
	v_lshrrev_b32_e32 v6, 3, v3
	v_cmp_gt_u32_e32 vcc, 8, v3
	v_ffbh_u32_e32 v3, v5
	v_min_u32_e32 v7, 32, v3
	v_subrev_u32_e32 v3, 28, v7
	v_lshlrev_b64 v[3:4], v3, v[0:1]
	v_sub_u32_e32 v4, 29, v7
	v_and_b32_e32 v3, 7, v3
	v_cndmask_b32_e32 v4, v6, v4, vcc
	v_cndmask_b32_e32 v3, v5, v3, vcc
	v_bfrev_b32_e32 v6, 60
	v_lshlrev_b32_e32 v3, 20, v3
	v_and_b32_sdwa v5, sext(v0), s41 dst_sel:DWORD dst_unused:UNUSED_PAD src0_sel:BYTE_0 src1_sel:DWORD
	v_lshl_add_u32 v4, v4, 23, v6
	v_or3_b32 v3, v5, v4, v3
	v_mov_b32_e32 v4, v22
	buffer_store_dword v3, off, s[0:3], s32 offset:708 ; 4-byte Folded Spill
	s_nop 0
	buffer_store_dword v4, off, s[0:3], s32 offset:712 ; 4-byte Folded Spill
.LBB216_469:                            ;   in Loop: Header=BB216_9 Depth=1
	s_or_b64 exec, exec, s[28:29]
.LBB216_470:                            ;   in Loop: Header=BB216_9 Depth=1
	s_or_b64 exec, exec, s[26:27]
.LBB216_471:                            ;   in Loop: Header=BB216_9 Depth=1
	s_or_b64 exec, exec, s[24:25]
	v_cmp_ne_u16_sdwa s[26:27], v0, v22 src0_sel:BYTE_1 src1_sel:DWORD
	s_and_saveexec_b64 s[24:25], s[26:27]
	s_cbranch_execz .LBB216_477
; %bb.472:                              ;   in Loop: Header=BB216_9 Depth=1
	v_cmp_ne_u16_sdwa s[28:29], v0, s19 src0_sel:BYTE_1 src1_sel:DWORD
	buffer_store_dword v22, off, s[0:3], s32 offset:716 ; 4-byte Folded Spill
	s_nop 0
	buffer_store_dword v23, off, s[0:3], s32 offset:720 ; 4-byte Folded Spill
	s_and_saveexec_b64 s[26:27], s[28:29]
	s_cbranch_execz .LBB216_476
; %bb.473:                              ;   in Loop: Header=BB216_9 Depth=1
	buffer_load_dword v4, off, s[0:3], s32 offset:64 ; 4-byte Folded Reload
	buffer_load_dword v5, off, s[0:3], s32 offset:68 ; 4-byte Folded Reload
	v_and_b32_sdwa v3, v0, s40 dst_sel:DWORD dst_unused:UNUSED_PAD src0_sel:BYTE_1 src1_sel:DWORD
	v_cmp_ne_u32_e32 vcc, s40, v3
	s_waitcnt vmcnt(1)
	v_mov_b32_e32 v4, v22
	s_waitcnt vmcnt(0)
	v_mov_b32_e32 v6, v5
	buffer_store_dword v5, off, s[0:3], s32 offset:64 ; 4-byte Folded Spill
	s_nop 0
	buffer_store_dword v6, off, s[0:3], s32 offset:68 ; 4-byte Folded Spill
	buffer_store_dword v4, off, s[0:3], s32 offset:716 ; 4-byte Folded Spill
	s_nop 0
	buffer_store_dword v5, off, s[0:3], s32 offset:720 ; 4-byte Folded Spill
	s_and_saveexec_b64 s[28:29], vcc
	s_cbranch_execz .LBB216_475
; %bb.474:                              ;   in Loop: Header=BB216_9 Depth=1
	v_mov_b32_e32 v4, 7
	v_and_b32_sdwa v4, v0, v4 dst_sel:DWORD dst_unused:UNUSED_PAD src0_sel:BYTE_1 src1_sel:DWORD
	v_lshrrev_b32_e32 v7, 3, v3
	v_cmp_gt_u32_e32 vcc, 8, v3
	v_ffbh_u32_e32 v3, v4
	v_min_u32_e32 v3, 32, v3
	v_mov_b32_e32 v5, v22
	v_subrev_u32_e32 v6, 28, v3
	v_lshlrev_b64 v[5:6], v6, v[4:5]
	v_sub_u32_e32 v3, 29, v3
	v_and_b32_e32 v5, 7, v5
	v_cndmask_b32_e32 v3, v7, v3, vcc
	v_cndmask_b32_e32 v4, v4, v5, vcc
	v_bfrev_b32_e32 v5, 60
	v_lshlrev_b32_e32 v0, 16, v0
	v_lshl_add_u32 v3, v3, 23, v5
	v_and_or_b32 v0, v0, s41, v3
	v_lshlrev_b32_e32 v3, 20, v4
	v_or_b32_e32 v4, v0, v3
	v_mov_b32_e32 v3, v22
	buffer_store_dword v3, off, s[0:3], s32 offset:716 ; 4-byte Folded Spill
	s_nop 0
	buffer_store_dword v4, off, s[0:3], s32 offset:720 ; 4-byte Folded Spill
.LBB216_475:                            ;   in Loop: Header=BB216_9 Depth=1
	s_or_b64 exec, exec, s[28:29]
.LBB216_476:                            ;   in Loop: Header=BB216_9 Depth=1
	s_or_b64 exec, exec, s[26:27]
.LBB216_477:                            ;   in Loop: Header=BB216_9 Depth=1
	s_or_b64 exec, exec, s[24:25]
	buffer_load_dword v0, off, s[0:3], s32 offset:88 ; 4-byte Folded Reload
	s_waitcnt vmcnt(0)
	v_add_co_u32_e32 v0, vcc, v1, v0
	v_addc_co_u32_e32 v1, vcc, 0, v2, vcc
	flat_load_ushort v1, v[0:1]
	s_waitcnt vmcnt(0) lgkmcnt(0)
	v_and_b32_e32 v0, 0xffff, v1
	v_cmp_ne_u16_sdwa s[26:27], v1, v22 src0_sel:BYTE_0 src1_sel:DWORD
	v_mov_b32_e32 v1, 0
	v_mov_b32_e32 v2, 0
	buffer_store_dword v1, off, s[0:3], s32 offset:732 ; 4-byte Folded Spill
	s_nop 0
	buffer_store_dword v2, off, s[0:3], s32 offset:736 ; 4-byte Folded Spill
	v_mov_b32_e32 v1, 0
	v_mov_b32_e32 v2, 0
	buffer_store_dword v1, off, s[0:3], s32 offset:724 ; 4-byte Folded Spill
	s_nop 0
	buffer_store_dword v2, off, s[0:3], s32 offset:728 ; 4-byte Folded Spill
	s_and_saveexec_b64 s[24:25], s[26:27]
	s_cbranch_execz .LBB216_483
; %bb.478:                              ;   in Loop: Header=BB216_9 Depth=1
	v_bfrev_b32_e32 v1, 1
	v_mov_b32_e32 v2, 0
	v_cmp_ne_u16_sdwa s[28:29], v0, s19 src0_sel:BYTE_0 src1_sel:DWORD
	buffer_store_dword v1, off, s[0:3], s32 offset:724 ; 4-byte Folded Spill
	s_nop 0
	buffer_store_dword v2, off, s[0:3], s32 offset:728 ; 4-byte Folded Spill
	s_and_saveexec_b64 s[26:27], s[28:29]
	s_cbranch_execz .LBB216_482
; %bb.479:                              ;   in Loop: Header=BB216_9 Depth=1
	v_and_b32_e32 v1, 0x7f, v0
	v_mov_b32_e32 v2, 0x7f800001
	v_mov_b32_e32 v3, 0
	v_cmp_ne_u32_e32 vcc, s40, v1
	buffer_store_dword v2, off, s[0:3], s32 offset:724 ; 4-byte Folded Spill
	s_nop 0
	buffer_store_dword v3, off, s[0:3], s32 offset:728 ; 4-byte Folded Spill
	s_and_saveexec_b64 s[28:29], vcc
	s_cbranch_execz .LBB216_481
; %bb.480:                              ;   in Loop: Header=BB216_9 Depth=1
	v_and_b32_e32 v3, 7, v0
	v_lshrrev_b32_e32 v4, 3, v1
	v_cmp_gt_u32_e32 vcc, 8, v1
	v_ffbh_u32_e32 v1, v3
	v_min_u32_e32 v5, 32, v1
	v_subrev_u32_e32 v1, 28, v5
	v_lshlrev_b64 v[1:2], v1, v[0:1]
	v_sub_u32_e32 v2, 29, v5
	v_and_b32_e32 v1, 7, v1
	v_cndmask_b32_e32 v2, v4, v2, vcc
	v_cndmask_b32_e32 v1, v3, v1, vcc
	v_bfrev_b32_e32 v4, 60
	v_lshlrev_b32_e32 v1, 20, v1
	v_and_b32_sdwa v3, sext(v0), s41 dst_sel:DWORD dst_unused:UNUSED_PAD src0_sel:BYTE_0 src1_sel:DWORD
	v_lshl_add_u32 v2, v2, 23, v4
	v_or3_b32 v1, v3, v2, v1
	v_mov_b32_e32 v2, v22
	buffer_store_dword v1, off, s[0:3], s32 offset:724 ; 4-byte Folded Spill
	s_nop 0
	buffer_store_dword v2, off, s[0:3], s32 offset:728 ; 4-byte Folded Spill
.LBB216_481:                            ;   in Loop: Header=BB216_9 Depth=1
	s_or_b64 exec, exec, s[28:29]
.LBB216_482:                            ;   in Loop: Header=BB216_9 Depth=1
	s_or_b64 exec, exec, s[26:27]
.LBB216_483:                            ;   in Loop: Header=BB216_9 Depth=1
	s_or_b64 exec, exec, s[24:25]
	v_cmp_ne_u16_sdwa s[26:27], v0, v22 src0_sel:BYTE_1 src1_sel:DWORD
	s_and_saveexec_b64 s[24:25], s[26:27]
	s_cbranch_execz .LBB216_489
; %bb.484:                              ;   in Loop: Header=BB216_9 Depth=1
	v_cmp_ne_u16_sdwa s[28:29], v0, s19 src0_sel:BYTE_1 src1_sel:DWORD
	buffer_store_dword v22, off, s[0:3], s32 offset:732 ; 4-byte Folded Spill
	s_nop 0
	buffer_store_dword v23, off, s[0:3], s32 offset:736 ; 4-byte Folded Spill
	s_and_saveexec_b64 s[26:27], s[28:29]
	s_cbranch_execz .LBB216_488
; %bb.485:                              ;   in Loop: Header=BB216_9 Depth=1
	buffer_load_dword v2, off, s[0:3], s32 offset:64 ; 4-byte Folded Reload
	buffer_load_dword v3, off, s[0:3], s32 offset:68 ; 4-byte Folded Reload
	v_and_b32_sdwa v1, v0, s40 dst_sel:DWORD dst_unused:UNUSED_PAD src0_sel:BYTE_1 src1_sel:DWORD
	v_cmp_ne_u32_e32 vcc, s40, v1
	s_waitcnt vmcnt(1)
	v_mov_b32_e32 v2, v22
	s_waitcnt vmcnt(0)
	v_mov_b32_e32 v4, v3
	buffer_store_dword v3, off, s[0:3], s32 offset:64 ; 4-byte Folded Spill
	s_nop 0
	buffer_store_dword v4, off, s[0:3], s32 offset:68 ; 4-byte Folded Spill
	buffer_store_dword v2, off, s[0:3], s32 offset:732 ; 4-byte Folded Spill
	s_nop 0
	buffer_store_dword v3, off, s[0:3], s32 offset:736 ; 4-byte Folded Spill
	s_and_saveexec_b64 s[28:29], vcc
	s_cbranch_execz .LBB216_487
; %bb.486:                              ;   in Loop: Header=BB216_9 Depth=1
	v_mov_b32_e32 v2, 7
	v_and_b32_sdwa v2, v0, v2 dst_sel:DWORD dst_unused:UNUSED_PAD src0_sel:BYTE_1 src1_sel:DWORD
	v_lshrrev_b32_e32 v5, 3, v1
	v_cmp_gt_u32_e32 vcc, 8, v1
	v_ffbh_u32_e32 v1, v2
	v_min_u32_e32 v1, 32, v1
	v_mov_b32_e32 v3, v22
	v_subrev_u32_e32 v4, 28, v1
	v_lshlrev_b64 v[3:4], v4, v[2:3]
	v_sub_u32_e32 v1, 29, v1
	v_and_b32_e32 v3, 7, v3
	v_cndmask_b32_e32 v1, v5, v1, vcc
	v_cndmask_b32_e32 v2, v2, v3, vcc
	v_bfrev_b32_e32 v3, 60
	v_lshlrev_b32_e32 v0, 16, v0
	v_lshl_add_u32 v1, v1, 23, v3
	v_and_or_b32 v0, v0, s41, v1
	v_lshlrev_b32_e32 v1, 20, v2
	v_or_b32_e32 v1, v0, v1
	v_mov_b32_e32 v0, v22
	buffer_store_dword v0, off, s[0:3], s32 offset:732 ; 4-byte Folded Spill
	s_nop 0
	buffer_store_dword v1, off, s[0:3], s32 offset:736 ; 4-byte Folded Spill
.LBB216_487:                            ;   in Loop: Header=BB216_9 Depth=1
	s_or_b64 exec, exec, s[28:29]
.LBB216_488:                            ;   in Loop: Header=BB216_9 Depth=1
	s_or_b64 exec, exec, s[26:27]
.LBB216_489:                            ;   in Loop: Header=BB216_9 Depth=1
	s_or_b64 exec, exec, s[24:25]
	buffer_load_dword v0, off, s[0:3], s32 offset:76 ; 4-byte Folded Reload
	v_add_co_u32_e32 v1, vcc, 0x1400, v49
	v_addc_co_u32_e32 v2, vcc, 0, v50, vcc
	s_waitcnt vmcnt(0)
	v_add_co_u32_e32 v3, vcc, v1, v0
	v_addc_co_u32_e32 v4, vcc, 0, v2, vcc
	flat_load_ushort v3, v[3:4]
	s_waitcnt vmcnt(0) lgkmcnt(0)
	v_and_b32_e32 v0, 0xffff, v3
	v_cmp_ne_u16_sdwa s[26:27], v3, v22 src0_sel:BYTE_0 src1_sel:DWORD
	v_mov_b32_e32 v3, 0
	v_mov_b32_e32 v4, 0
	buffer_store_dword v3, off, s[0:3], s32 offset:748 ; 4-byte Folded Spill
	s_nop 0
	buffer_store_dword v4, off, s[0:3], s32 offset:752 ; 4-byte Folded Spill
	v_mov_b32_e32 v3, 0
	v_mov_b32_e32 v4, 0
	buffer_store_dword v3, off, s[0:3], s32 offset:740 ; 4-byte Folded Spill
	s_nop 0
	buffer_store_dword v4, off, s[0:3], s32 offset:744 ; 4-byte Folded Spill
	s_and_saveexec_b64 s[24:25], s[26:27]
	s_cbranch_execz .LBB216_495
; %bb.490:                              ;   in Loop: Header=BB216_9 Depth=1
	v_bfrev_b32_e32 v3, 1
	v_mov_b32_e32 v4, 0
	v_cmp_ne_u16_sdwa s[28:29], v0, s19 src0_sel:BYTE_0 src1_sel:DWORD
	buffer_store_dword v3, off, s[0:3], s32 offset:740 ; 4-byte Folded Spill
	s_nop 0
	buffer_store_dword v4, off, s[0:3], s32 offset:744 ; 4-byte Folded Spill
	s_and_saveexec_b64 s[26:27], s[28:29]
	s_cbranch_execz .LBB216_494
; %bb.491:                              ;   in Loop: Header=BB216_9 Depth=1
	v_and_b32_e32 v3, 0x7f, v0
	v_mov_b32_e32 v4, 0x7f800001
	v_mov_b32_e32 v5, 0
	v_cmp_ne_u32_e32 vcc, s40, v3
	buffer_store_dword v4, off, s[0:3], s32 offset:740 ; 4-byte Folded Spill
	s_nop 0
	buffer_store_dword v5, off, s[0:3], s32 offset:744 ; 4-byte Folded Spill
	s_and_saveexec_b64 s[28:29], vcc
	s_cbranch_execz .LBB216_493
; %bb.492:                              ;   in Loop: Header=BB216_9 Depth=1
	v_and_b32_e32 v5, 7, v0
	v_lshrrev_b32_e32 v6, 3, v3
	v_cmp_gt_u32_e32 vcc, 8, v3
	v_ffbh_u32_e32 v3, v5
	v_min_u32_e32 v7, 32, v3
	v_subrev_u32_e32 v3, 28, v7
	v_lshlrev_b64 v[3:4], v3, v[0:1]
	v_sub_u32_e32 v4, 29, v7
	v_and_b32_e32 v3, 7, v3
	v_cndmask_b32_e32 v4, v6, v4, vcc
	v_cndmask_b32_e32 v3, v5, v3, vcc
	v_bfrev_b32_e32 v6, 60
	v_lshlrev_b32_e32 v3, 20, v3
	v_and_b32_sdwa v5, sext(v0), s41 dst_sel:DWORD dst_unused:UNUSED_PAD src0_sel:BYTE_0 src1_sel:DWORD
	v_lshl_add_u32 v4, v4, 23, v6
	v_or3_b32 v3, v5, v4, v3
	v_mov_b32_e32 v4, v22
	buffer_store_dword v3, off, s[0:3], s32 offset:740 ; 4-byte Folded Spill
	s_nop 0
	buffer_store_dword v4, off, s[0:3], s32 offset:744 ; 4-byte Folded Spill
.LBB216_493:                            ;   in Loop: Header=BB216_9 Depth=1
	s_or_b64 exec, exec, s[28:29]
.LBB216_494:                            ;   in Loop: Header=BB216_9 Depth=1
	s_or_b64 exec, exec, s[26:27]
.LBB216_495:                            ;   in Loop: Header=BB216_9 Depth=1
	s_or_b64 exec, exec, s[24:25]
	v_cmp_ne_u16_sdwa s[26:27], v0, v22 src0_sel:BYTE_1 src1_sel:DWORD
	s_and_saveexec_b64 s[24:25], s[26:27]
	s_cbranch_execz .LBB216_501
; %bb.496:                              ;   in Loop: Header=BB216_9 Depth=1
	v_cmp_ne_u16_sdwa s[28:29], v0, s19 src0_sel:BYTE_1 src1_sel:DWORD
	buffer_store_dword v22, off, s[0:3], s32 offset:748 ; 4-byte Folded Spill
	s_nop 0
	buffer_store_dword v23, off, s[0:3], s32 offset:752 ; 4-byte Folded Spill
	s_and_saveexec_b64 s[26:27], s[28:29]
	s_cbranch_execz .LBB216_500
; %bb.497:                              ;   in Loop: Header=BB216_9 Depth=1
	buffer_load_dword v4, off, s[0:3], s32 offset:64 ; 4-byte Folded Reload
	buffer_load_dword v5, off, s[0:3], s32 offset:68 ; 4-byte Folded Reload
	v_and_b32_sdwa v3, v0, s40 dst_sel:DWORD dst_unused:UNUSED_PAD src0_sel:BYTE_1 src1_sel:DWORD
	v_cmp_ne_u32_e32 vcc, s40, v3
	s_waitcnt vmcnt(1)
	v_mov_b32_e32 v4, v22
	s_waitcnt vmcnt(0)
	v_mov_b32_e32 v6, v5
	buffer_store_dword v5, off, s[0:3], s32 offset:64 ; 4-byte Folded Spill
	s_nop 0
	buffer_store_dword v6, off, s[0:3], s32 offset:68 ; 4-byte Folded Spill
	buffer_store_dword v4, off, s[0:3], s32 offset:748 ; 4-byte Folded Spill
	s_nop 0
	buffer_store_dword v5, off, s[0:3], s32 offset:752 ; 4-byte Folded Spill
	s_and_saveexec_b64 s[28:29], vcc
	s_cbranch_execz .LBB216_499
; %bb.498:                              ;   in Loop: Header=BB216_9 Depth=1
	v_mov_b32_e32 v4, 7
	v_and_b32_sdwa v4, v0, v4 dst_sel:DWORD dst_unused:UNUSED_PAD src0_sel:BYTE_1 src1_sel:DWORD
	v_lshrrev_b32_e32 v7, 3, v3
	v_cmp_gt_u32_e32 vcc, 8, v3
	v_ffbh_u32_e32 v3, v4
	v_min_u32_e32 v3, 32, v3
	v_mov_b32_e32 v5, v22
	v_subrev_u32_e32 v6, 28, v3
	v_lshlrev_b64 v[5:6], v6, v[4:5]
	v_sub_u32_e32 v3, 29, v3
	v_and_b32_e32 v5, 7, v5
	v_cndmask_b32_e32 v3, v7, v3, vcc
	v_cndmask_b32_e32 v4, v4, v5, vcc
	v_bfrev_b32_e32 v5, 60
	v_lshlrev_b32_e32 v0, 16, v0
	v_lshl_add_u32 v3, v3, 23, v5
	v_and_or_b32 v0, v0, s41, v3
	v_lshlrev_b32_e32 v3, 20, v4
	v_or_b32_e32 v4, v0, v3
	v_mov_b32_e32 v3, v22
	buffer_store_dword v3, off, s[0:3], s32 offset:748 ; 4-byte Folded Spill
	s_nop 0
	buffer_store_dword v4, off, s[0:3], s32 offset:752 ; 4-byte Folded Spill
.LBB216_499:                            ;   in Loop: Header=BB216_9 Depth=1
	s_or_b64 exec, exec, s[28:29]
.LBB216_500:                            ;   in Loop: Header=BB216_9 Depth=1
	s_or_b64 exec, exec, s[26:27]
.LBB216_501:                            ;   in Loop: Header=BB216_9 Depth=1
	s_or_b64 exec, exec, s[24:25]
	buffer_load_dword v0, off, s[0:3], s32 offset:80 ; 4-byte Folded Reload
	s_waitcnt vmcnt(0)
	v_add_co_u32_e32 v3, vcc, v1, v0
	v_addc_co_u32_e32 v4, vcc, 0, v2, vcc
	flat_load_ushort v3, v[3:4]
	s_waitcnt vmcnt(0) lgkmcnt(0)
	v_and_b32_e32 v0, 0xffff, v3
	v_cmp_ne_u16_sdwa s[26:27], v3, v22 src0_sel:BYTE_0 src1_sel:DWORD
	v_mov_b32_e32 v3, 0
	v_mov_b32_e32 v4, 0
	buffer_store_dword v3, off, s[0:3], s32 offset:764 ; 4-byte Folded Spill
	s_nop 0
	buffer_store_dword v4, off, s[0:3], s32 offset:768 ; 4-byte Folded Spill
	v_mov_b32_e32 v3, 0
	v_mov_b32_e32 v4, 0
	buffer_store_dword v3, off, s[0:3], s32 offset:756 ; 4-byte Folded Spill
	s_nop 0
	buffer_store_dword v4, off, s[0:3], s32 offset:760 ; 4-byte Folded Spill
	s_and_saveexec_b64 s[24:25], s[26:27]
	s_cbranch_execz .LBB216_507
; %bb.502:                              ;   in Loop: Header=BB216_9 Depth=1
	v_bfrev_b32_e32 v3, 1
	v_mov_b32_e32 v4, 0
	v_cmp_ne_u16_sdwa s[28:29], v0, s19 src0_sel:BYTE_0 src1_sel:DWORD
	buffer_store_dword v3, off, s[0:3], s32 offset:756 ; 4-byte Folded Spill
	s_nop 0
	buffer_store_dword v4, off, s[0:3], s32 offset:760 ; 4-byte Folded Spill
	s_and_saveexec_b64 s[26:27], s[28:29]
	s_cbranch_execz .LBB216_506
; %bb.503:                              ;   in Loop: Header=BB216_9 Depth=1
	v_and_b32_e32 v3, 0x7f, v0
	v_mov_b32_e32 v4, 0x7f800001
	v_mov_b32_e32 v5, 0
	v_cmp_ne_u32_e32 vcc, s40, v3
	buffer_store_dword v4, off, s[0:3], s32 offset:756 ; 4-byte Folded Spill
	s_nop 0
	buffer_store_dword v5, off, s[0:3], s32 offset:760 ; 4-byte Folded Spill
	s_and_saveexec_b64 s[28:29], vcc
	s_cbranch_execz .LBB216_505
; %bb.504:                              ;   in Loop: Header=BB216_9 Depth=1
	v_and_b32_e32 v5, 7, v0
	v_lshrrev_b32_e32 v6, 3, v3
	v_cmp_gt_u32_e32 vcc, 8, v3
	v_ffbh_u32_e32 v3, v5
	v_min_u32_e32 v7, 32, v3
	v_subrev_u32_e32 v3, 28, v7
	v_lshlrev_b64 v[3:4], v3, v[0:1]
	v_sub_u32_e32 v4, 29, v7
	v_and_b32_e32 v3, 7, v3
	v_cndmask_b32_e32 v4, v6, v4, vcc
	v_cndmask_b32_e32 v3, v5, v3, vcc
	v_bfrev_b32_e32 v6, 60
	v_lshlrev_b32_e32 v3, 20, v3
	v_and_b32_sdwa v5, sext(v0), s41 dst_sel:DWORD dst_unused:UNUSED_PAD src0_sel:BYTE_0 src1_sel:DWORD
	v_lshl_add_u32 v4, v4, 23, v6
	v_or3_b32 v3, v5, v4, v3
	v_mov_b32_e32 v4, v22
	buffer_store_dword v3, off, s[0:3], s32 offset:756 ; 4-byte Folded Spill
	s_nop 0
	buffer_store_dword v4, off, s[0:3], s32 offset:760 ; 4-byte Folded Spill
.LBB216_505:                            ;   in Loop: Header=BB216_9 Depth=1
	s_or_b64 exec, exec, s[28:29]
.LBB216_506:                            ;   in Loop: Header=BB216_9 Depth=1
	s_or_b64 exec, exec, s[26:27]
.LBB216_507:                            ;   in Loop: Header=BB216_9 Depth=1
	s_or_b64 exec, exec, s[24:25]
	v_cmp_ne_u16_sdwa s[26:27], v0, v22 src0_sel:BYTE_1 src1_sel:DWORD
	s_and_saveexec_b64 s[24:25], s[26:27]
	s_cbranch_execz .LBB216_513
; %bb.508:                              ;   in Loop: Header=BB216_9 Depth=1
	v_cmp_ne_u16_sdwa s[28:29], v0, s19 src0_sel:BYTE_1 src1_sel:DWORD
	buffer_store_dword v22, off, s[0:3], s32 offset:764 ; 4-byte Folded Spill
	s_nop 0
	buffer_store_dword v23, off, s[0:3], s32 offset:768 ; 4-byte Folded Spill
	s_and_saveexec_b64 s[26:27], s[28:29]
	s_cbranch_execz .LBB216_512
; %bb.509:                              ;   in Loop: Header=BB216_9 Depth=1
	buffer_load_dword v4, off, s[0:3], s32 offset:64 ; 4-byte Folded Reload
	buffer_load_dword v5, off, s[0:3], s32 offset:68 ; 4-byte Folded Reload
	v_and_b32_sdwa v3, v0, s40 dst_sel:DWORD dst_unused:UNUSED_PAD src0_sel:BYTE_1 src1_sel:DWORD
	v_cmp_ne_u32_e32 vcc, s40, v3
	s_waitcnt vmcnt(1)
	v_mov_b32_e32 v4, v22
	s_waitcnt vmcnt(0)
	v_mov_b32_e32 v6, v5
	buffer_store_dword v5, off, s[0:3], s32 offset:64 ; 4-byte Folded Spill
	s_nop 0
	buffer_store_dword v6, off, s[0:3], s32 offset:68 ; 4-byte Folded Spill
	buffer_store_dword v4, off, s[0:3], s32 offset:764 ; 4-byte Folded Spill
	s_nop 0
	buffer_store_dword v5, off, s[0:3], s32 offset:768 ; 4-byte Folded Spill
	s_and_saveexec_b64 s[28:29], vcc
	s_cbranch_execz .LBB216_511
; %bb.510:                              ;   in Loop: Header=BB216_9 Depth=1
	v_mov_b32_e32 v4, 7
	v_and_b32_sdwa v4, v0, v4 dst_sel:DWORD dst_unused:UNUSED_PAD src0_sel:BYTE_1 src1_sel:DWORD
	v_lshrrev_b32_e32 v7, 3, v3
	v_cmp_gt_u32_e32 vcc, 8, v3
	v_ffbh_u32_e32 v3, v4
	v_min_u32_e32 v3, 32, v3
	v_mov_b32_e32 v5, v22
	v_subrev_u32_e32 v6, 28, v3
	v_lshlrev_b64 v[5:6], v6, v[4:5]
	v_sub_u32_e32 v3, 29, v3
	v_and_b32_e32 v5, 7, v5
	v_cndmask_b32_e32 v3, v7, v3, vcc
	v_cndmask_b32_e32 v4, v4, v5, vcc
	v_bfrev_b32_e32 v5, 60
	v_lshlrev_b32_e32 v0, 16, v0
	v_lshl_add_u32 v3, v3, 23, v5
	v_and_or_b32 v0, v0, s41, v3
	v_lshlrev_b32_e32 v3, 20, v4
	v_or_b32_e32 v4, v0, v3
	v_mov_b32_e32 v3, v22
	buffer_store_dword v3, off, s[0:3], s32 offset:764 ; 4-byte Folded Spill
	s_nop 0
	buffer_store_dword v4, off, s[0:3], s32 offset:768 ; 4-byte Folded Spill
.LBB216_511:                            ;   in Loop: Header=BB216_9 Depth=1
	s_or_b64 exec, exec, s[28:29]
.LBB216_512:                            ;   in Loop: Header=BB216_9 Depth=1
	s_or_b64 exec, exec, s[26:27]
.LBB216_513:                            ;   in Loop: Header=BB216_9 Depth=1
	s_or_b64 exec, exec, s[24:25]
	buffer_load_dword v0, off, s[0:3], s32 offset:84 ; 4-byte Folded Reload
	s_waitcnt vmcnt(0)
	v_add_co_u32_e32 v3, vcc, v1, v0
	v_addc_co_u32_e32 v4, vcc, 0, v2, vcc
	flat_load_ushort v3, v[3:4]
	s_waitcnt vmcnt(0) lgkmcnt(0)
	v_and_b32_e32 v0, 0xffff, v3
	v_cmp_ne_u16_sdwa s[26:27], v3, v22 src0_sel:BYTE_0 src1_sel:DWORD
	v_mov_b32_e32 v3, 0
	v_mov_b32_e32 v4, 0
	buffer_store_dword v3, off, s[0:3], s32 offset:780 ; 4-byte Folded Spill
	s_nop 0
	buffer_store_dword v4, off, s[0:3], s32 offset:784 ; 4-byte Folded Spill
	v_mov_b32_e32 v3, 0
	v_mov_b32_e32 v4, 0
	buffer_store_dword v3, off, s[0:3], s32 offset:772 ; 4-byte Folded Spill
	s_nop 0
	buffer_store_dword v4, off, s[0:3], s32 offset:776 ; 4-byte Folded Spill
	s_and_saveexec_b64 s[24:25], s[26:27]
	s_cbranch_execz .LBB216_519
; %bb.514:                              ;   in Loop: Header=BB216_9 Depth=1
	v_bfrev_b32_e32 v3, 1
	v_mov_b32_e32 v4, 0
	v_cmp_ne_u16_sdwa s[28:29], v0, s19 src0_sel:BYTE_0 src1_sel:DWORD
	buffer_store_dword v3, off, s[0:3], s32 offset:772 ; 4-byte Folded Spill
	s_nop 0
	buffer_store_dword v4, off, s[0:3], s32 offset:776 ; 4-byte Folded Spill
	s_and_saveexec_b64 s[26:27], s[28:29]
	s_cbranch_execz .LBB216_518
; %bb.515:                              ;   in Loop: Header=BB216_9 Depth=1
	v_and_b32_e32 v3, 0x7f, v0
	v_mov_b32_e32 v4, 0x7f800001
	v_mov_b32_e32 v5, 0
	v_cmp_ne_u32_e32 vcc, s40, v3
	buffer_store_dword v4, off, s[0:3], s32 offset:772 ; 4-byte Folded Spill
	s_nop 0
	buffer_store_dword v5, off, s[0:3], s32 offset:776 ; 4-byte Folded Spill
	s_and_saveexec_b64 s[28:29], vcc
	s_cbranch_execz .LBB216_517
; %bb.516:                              ;   in Loop: Header=BB216_9 Depth=1
	v_and_b32_e32 v5, 7, v0
	v_lshrrev_b32_e32 v6, 3, v3
	v_cmp_gt_u32_e32 vcc, 8, v3
	v_ffbh_u32_e32 v3, v5
	v_min_u32_e32 v7, 32, v3
	v_subrev_u32_e32 v3, 28, v7
	v_lshlrev_b64 v[3:4], v3, v[0:1]
	v_sub_u32_e32 v4, 29, v7
	v_and_b32_e32 v3, 7, v3
	v_cndmask_b32_e32 v4, v6, v4, vcc
	v_cndmask_b32_e32 v3, v5, v3, vcc
	v_bfrev_b32_e32 v6, 60
	v_lshlrev_b32_e32 v3, 20, v3
	v_and_b32_sdwa v5, sext(v0), s41 dst_sel:DWORD dst_unused:UNUSED_PAD src0_sel:BYTE_0 src1_sel:DWORD
	v_lshl_add_u32 v4, v4, 23, v6
	v_or3_b32 v3, v5, v4, v3
	v_mov_b32_e32 v4, v22
	buffer_store_dword v3, off, s[0:3], s32 offset:772 ; 4-byte Folded Spill
	s_nop 0
	buffer_store_dword v4, off, s[0:3], s32 offset:776 ; 4-byte Folded Spill
.LBB216_517:                            ;   in Loop: Header=BB216_9 Depth=1
	s_or_b64 exec, exec, s[28:29]
.LBB216_518:                            ;   in Loop: Header=BB216_9 Depth=1
	s_or_b64 exec, exec, s[26:27]
.LBB216_519:                            ;   in Loop: Header=BB216_9 Depth=1
	s_or_b64 exec, exec, s[24:25]
	v_cmp_ne_u16_sdwa s[26:27], v0, v22 src0_sel:BYTE_1 src1_sel:DWORD
	s_and_saveexec_b64 s[24:25], s[26:27]
	s_cbranch_execz .LBB216_525
; %bb.520:                              ;   in Loop: Header=BB216_9 Depth=1
	v_cmp_ne_u16_sdwa s[28:29], v0, s19 src0_sel:BYTE_1 src1_sel:DWORD
	buffer_store_dword v22, off, s[0:3], s32 offset:780 ; 4-byte Folded Spill
	s_nop 0
	buffer_store_dword v23, off, s[0:3], s32 offset:784 ; 4-byte Folded Spill
	s_and_saveexec_b64 s[26:27], s[28:29]
	s_cbranch_execz .LBB216_524
; %bb.521:                              ;   in Loop: Header=BB216_9 Depth=1
	buffer_load_dword v4, off, s[0:3], s32 offset:64 ; 4-byte Folded Reload
	buffer_load_dword v5, off, s[0:3], s32 offset:68 ; 4-byte Folded Reload
	v_and_b32_sdwa v3, v0, s40 dst_sel:DWORD dst_unused:UNUSED_PAD src0_sel:BYTE_1 src1_sel:DWORD
	v_cmp_ne_u32_e32 vcc, s40, v3
	s_waitcnt vmcnt(1)
	v_mov_b32_e32 v4, v22
	s_waitcnt vmcnt(0)
	v_mov_b32_e32 v6, v5
	buffer_store_dword v5, off, s[0:3], s32 offset:64 ; 4-byte Folded Spill
	s_nop 0
	buffer_store_dword v6, off, s[0:3], s32 offset:68 ; 4-byte Folded Spill
	buffer_store_dword v4, off, s[0:3], s32 offset:780 ; 4-byte Folded Spill
	s_nop 0
	buffer_store_dword v5, off, s[0:3], s32 offset:784 ; 4-byte Folded Spill
	s_and_saveexec_b64 s[28:29], vcc
	s_cbranch_execz .LBB216_523
; %bb.522:                              ;   in Loop: Header=BB216_9 Depth=1
	v_mov_b32_e32 v4, 7
	v_and_b32_sdwa v4, v0, v4 dst_sel:DWORD dst_unused:UNUSED_PAD src0_sel:BYTE_1 src1_sel:DWORD
	v_lshrrev_b32_e32 v7, 3, v3
	v_cmp_gt_u32_e32 vcc, 8, v3
	v_ffbh_u32_e32 v3, v4
	v_min_u32_e32 v3, 32, v3
	v_mov_b32_e32 v5, v22
	v_subrev_u32_e32 v6, 28, v3
	v_lshlrev_b64 v[5:6], v6, v[4:5]
	v_sub_u32_e32 v3, 29, v3
	v_and_b32_e32 v5, 7, v5
	v_cndmask_b32_e32 v3, v7, v3, vcc
	v_cndmask_b32_e32 v4, v4, v5, vcc
	v_bfrev_b32_e32 v5, 60
	v_lshlrev_b32_e32 v0, 16, v0
	v_lshl_add_u32 v3, v3, 23, v5
	v_and_or_b32 v0, v0, s41, v3
	v_lshlrev_b32_e32 v3, 20, v4
	v_or_b32_e32 v4, v0, v3
	v_mov_b32_e32 v3, v22
	buffer_store_dword v3, off, s[0:3], s32 offset:780 ; 4-byte Folded Spill
	s_nop 0
	buffer_store_dword v4, off, s[0:3], s32 offset:784 ; 4-byte Folded Spill
.LBB216_523:                            ;   in Loop: Header=BB216_9 Depth=1
	s_or_b64 exec, exec, s[28:29]
.LBB216_524:                            ;   in Loop: Header=BB216_9 Depth=1
	s_or_b64 exec, exec, s[26:27]
.LBB216_525:                            ;   in Loop: Header=BB216_9 Depth=1
	s_or_b64 exec, exec, s[24:25]
	buffer_load_dword v0, off, s[0:3], s32 offset:88 ; 4-byte Folded Reload
	s_waitcnt vmcnt(0)
	v_add_co_u32_e32 v0, vcc, v1, v0
	v_addc_co_u32_e32 v1, vcc, 0, v2, vcc
	flat_load_ushort v1, v[0:1]
	s_waitcnt vmcnt(0) lgkmcnt(0)
	v_and_b32_e32 v0, 0xffff, v1
	v_cmp_ne_u16_sdwa s[26:27], v1, v22 src0_sel:BYTE_0 src1_sel:DWORD
	v_mov_b32_e32 v1, 0
	v_mov_b32_e32 v2, 0
	buffer_store_dword v1, off, s[0:3], s32 offset:796 ; 4-byte Folded Spill
	s_nop 0
	buffer_store_dword v2, off, s[0:3], s32 offset:800 ; 4-byte Folded Spill
	v_mov_b32_e32 v1, 0
	v_mov_b32_e32 v2, 0
	buffer_store_dword v1, off, s[0:3], s32 offset:788 ; 4-byte Folded Spill
	s_nop 0
	buffer_store_dword v2, off, s[0:3], s32 offset:792 ; 4-byte Folded Spill
	s_and_saveexec_b64 s[24:25], s[26:27]
	s_cbranch_execz .LBB216_531
; %bb.526:                              ;   in Loop: Header=BB216_9 Depth=1
	v_bfrev_b32_e32 v1, 1
	v_mov_b32_e32 v2, 0
	v_cmp_ne_u16_sdwa s[28:29], v0, s19 src0_sel:BYTE_0 src1_sel:DWORD
	buffer_store_dword v1, off, s[0:3], s32 offset:788 ; 4-byte Folded Spill
	s_nop 0
	buffer_store_dword v2, off, s[0:3], s32 offset:792 ; 4-byte Folded Spill
	s_and_saveexec_b64 s[26:27], s[28:29]
	s_cbranch_execz .LBB216_530
; %bb.527:                              ;   in Loop: Header=BB216_9 Depth=1
	v_and_b32_e32 v1, 0x7f, v0
	v_mov_b32_e32 v2, 0x7f800001
	v_mov_b32_e32 v3, 0
	v_cmp_ne_u32_e32 vcc, s40, v1
	buffer_store_dword v2, off, s[0:3], s32 offset:788 ; 4-byte Folded Spill
	s_nop 0
	buffer_store_dword v3, off, s[0:3], s32 offset:792 ; 4-byte Folded Spill
	s_and_saveexec_b64 s[28:29], vcc
	s_cbranch_execz .LBB216_529
; %bb.528:                              ;   in Loop: Header=BB216_9 Depth=1
	v_and_b32_e32 v3, 7, v0
	v_lshrrev_b32_e32 v4, 3, v1
	v_cmp_gt_u32_e32 vcc, 8, v1
	v_ffbh_u32_e32 v1, v3
	v_min_u32_e32 v5, 32, v1
	v_subrev_u32_e32 v1, 28, v5
	v_lshlrev_b64 v[1:2], v1, v[0:1]
	v_sub_u32_e32 v2, 29, v5
	v_and_b32_e32 v1, 7, v1
	v_cndmask_b32_e32 v2, v4, v2, vcc
	v_cndmask_b32_e32 v1, v3, v1, vcc
	v_bfrev_b32_e32 v4, 60
	v_lshlrev_b32_e32 v1, 20, v1
	v_and_b32_sdwa v3, sext(v0), s41 dst_sel:DWORD dst_unused:UNUSED_PAD src0_sel:BYTE_0 src1_sel:DWORD
	v_lshl_add_u32 v2, v2, 23, v4
	v_or3_b32 v1, v3, v2, v1
	v_mov_b32_e32 v2, v22
	buffer_store_dword v1, off, s[0:3], s32 offset:788 ; 4-byte Folded Spill
	s_nop 0
	buffer_store_dword v2, off, s[0:3], s32 offset:792 ; 4-byte Folded Spill
.LBB216_529:                            ;   in Loop: Header=BB216_9 Depth=1
	s_or_b64 exec, exec, s[28:29]
.LBB216_530:                            ;   in Loop: Header=BB216_9 Depth=1
	s_or_b64 exec, exec, s[26:27]
.LBB216_531:                            ;   in Loop: Header=BB216_9 Depth=1
	s_or_b64 exec, exec, s[24:25]
	v_cmp_ne_u16_sdwa s[26:27], v0, v22 src0_sel:BYTE_1 src1_sel:DWORD
	s_and_saveexec_b64 s[24:25], s[26:27]
	s_cbranch_execz .LBB216_537
; %bb.532:                              ;   in Loop: Header=BB216_9 Depth=1
	v_cmp_ne_u16_sdwa s[28:29], v0, s19 src0_sel:BYTE_1 src1_sel:DWORD
	buffer_store_dword v22, off, s[0:3], s32 offset:796 ; 4-byte Folded Spill
	s_nop 0
	buffer_store_dword v23, off, s[0:3], s32 offset:800 ; 4-byte Folded Spill
	s_and_saveexec_b64 s[26:27], s[28:29]
	s_cbranch_execz .LBB216_536
; %bb.533:                              ;   in Loop: Header=BB216_9 Depth=1
	buffer_load_dword v2, off, s[0:3], s32 offset:64 ; 4-byte Folded Reload
	buffer_load_dword v3, off, s[0:3], s32 offset:68 ; 4-byte Folded Reload
	v_and_b32_sdwa v1, v0, s40 dst_sel:DWORD dst_unused:UNUSED_PAD src0_sel:BYTE_1 src1_sel:DWORD
	v_cmp_ne_u32_e32 vcc, s40, v1
	s_waitcnt vmcnt(1)
	v_mov_b32_e32 v2, v22
	s_waitcnt vmcnt(0)
	v_mov_b32_e32 v4, v3
	buffer_store_dword v3, off, s[0:3], s32 offset:64 ; 4-byte Folded Spill
	s_nop 0
	buffer_store_dword v4, off, s[0:3], s32 offset:68 ; 4-byte Folded Spill
	buffer_store_dword v2, off, s[0:3], s32 offset:796 ; 4-byte Folded Spill
	s_nop 0
	buffer_store_dword v3, off, s[0:3], s32 offset:800 ; 4-byte Folded Spill
	s_and_saveexec_b64 s[28:29], vcc
	s_cbranch_execz .LBB216_535
; %bb.534:                              ;   in Loop: Header=BB216_9 Depth=1
	v_mov_b32_e32 v2, 7
	v_and_b32_sdwa v2, v0, v2 dst_sel:DWORD dst_unused:UNUSED_PAD src0_sel:BYTE_1 src1_sel:DWORD
	v_lshrrev_b32_e32 v5, 3, v1
	v_cmp_gt_u32_e32 vcc, 8, v1
	v_ffbh_u32_e32 v1, v2
	v_min_u32_e32 v1, 32, v1
	v_mov_b32_e32 v3, v22
	v_subrev_u32_e32 v4, 28, v1
	v_lshlrev_b64 v[3:4], v4, v[2:3]
	v_sub_u32_e32 v1, 29, v1
	v_and_b32_e32 v3, 7, v3
	v_cndmask_b32_e32 v1, v5, v1, vcc
	v_cndmask_b32_e32 v2, v2, v3, vcc
	v_bfrev_b32_e32 v3, 60
	v_lshlrev_b32_e32 v0, 16, v0
	v_lshl_add_u32 v1, v1, 23, v3
	v_and_or_b32 v0, v0, s41, v1
	v_lshlrev_b32_e32 v1, 20, v2
	v_or_b32_e32 v1, v0, v1
	v_mov_b32_e32 v0, v22
	buffer_store_dword v0, off, s[0:3], s32 offset:796 ; 4-byte Folded Spill
	s_nop 0
	buffer_store_dword v1, off, s[0:3], s32 offset:800 ; 4-byte Folded Spill
.LBB216_535:                            ;   in Loop: Header=BB216_9 Depth=1
	s_or_b64 exec, exec, s[28:29]
.LBB216_536:                            ;   in Loop: Header=BB216_9 Depth=1
	s_or_b64 exec, exec, s[26:27]
.LBB216_537:                            ;   in Loop: Header=BB216_9 Depth=1
	s_or_b64 exec, exec, s[24:25]
	buffer_load_dword v0, off, s[0:3], s32 offset:76 ; 4-byte Folded Reload
	v_add_co_u32_e32 v1, vcc, 0x1600, v49
	v_addc_co_u32_e32 v2, vcc, 0, v50, vcc
	s_waitcnt vmcnt(0)
	v_add_co_u32_e32 v3, vcc, v1, v0
	v_addc_co_u32_e32 v4, vcc, 0, v2, vcc
	flat_load_ushort v3, v[3:4]
	s_waitcnt vmcnt(0) lgkmcnt(0)
	v_and_b32_e32 v0, 0xffff, v3
	v_cmp_ne_u16_sdwa s[26:27], v3, v22 src0_sel:BYTE_0 src1_sel:DWORD
	v_mov_b32_e32 v3, 0
	v_mov_b32_e32 v4, 0
	buffer_store_dword v3, off, s[0:3], s32 offset:812 ; 4-byte Folded Spill
	s_nop 0
	buffer_store_dword v4, off, s[0:3], s32 offset:816 ; 4-byte Folded Spill
	v_mov_b32_e32 v3, 0
	v_mov_b32_e32 v4, 0
	buffer_store_dword v3, off, s[0:3], s32 offset:804 ; 4-byte Folded Spill
	s_nop 0
	buffer_store_dword v4, off, s[0:3], s32 offset:808 ; 4-byte Folded Spill
	s_and_saveexec_b64 s[24:25], s[26:27]
	s_cbranch_execz .LBB216_543
; %bb.538:                              ;   in Loop: Header=BB216_9 Depth=1
	v_bfrev_b32_e32 v3, 1
	v_mov_b32_e32 v4, 0
	v_cmp_ne_u16_sdwa s[28:29], v0, s19 src0_sel:BYTE_0 src1_sel:DWORD
	buffer_store_dword v3, off, s[0:3], s32 offset:804 ; 4-byte Folded Spill
	s_nop 0
	buffer_store_dword v4, off, s[0:3], s32 offset:808 ; 4-byte Folded Spill
	s_and_saveexec_b64 s[26:27], s[28:29]
	s_cbranch_execz .LBB216_542
; %bb.539:                              ;   in Loop: Header=BB216_9 Depth=1
	v_and_b32_e32 v3, 0x7f, v0
	v_mov_b32_e32 v4, 0x7f800001
	v_mov_b32_e32 v5, 0
	v_cmp_ne_u32_e32 vcc, s40, v3
	buffer_store_dword v4, off, s[0:3], s32 offset:804 ; 4-byte Folded Spill
	s_nop 0
	buffer_store_dword v5, off, s[0:3], s32 offset:808 ; 4-byte Folded Spill
	s_and_saveexec_b64 s[28:29], vcc
	s_cbranch_execz .LBB216_541
; %bb.540:                              ;   in Loop: Header=BB216_9 Depth=1
	v_and_b32_e32 v5, 7, v0
	v_lshrrev_b32_e32 v6, 3, v3
	v_cmp_gt_u32_e32 vcc, 8, v3
	v_ffbh_u32_e32 v3, v5
	v_min_u32_e32 v7, 32, v3
	v_subrev_u32_e32 v3, 28, v7
	v_lshlrev_b64 v[3:4], v3, v[0:1]
	v_sub_u32_e32 v4, 29, v7
	v_and_b32_e32 v3, 7, v3
	v_cndmask_b32_e32 v4, v6, v4, vcc
	v_cndmask_b32_e32 v3, v5, v3, vcc
	v_bfrev_b32_e32 v6, 60
	v_lshlrev_b32_e32 v3, 20, v3
	v_and_b32_sdwa v5, sext(v0), s41 dst_sel:DWORD dst_unused:UNUSED_PAD src0_sel:BYTE_0 src1_sel:DWORD
	v_lshl_add_u32 v4, v4, 23, v6
	v_or3_b32 v3, v5, v4, v3
	v_mov_b32_e32 v4, v22
	buffer_store_dword v3, off, s[0:3], s32 offset:804 ; 4-byte Folded Spill
	s_nop 0
	buffer_store_dword v4, off, s[0:3], s32 offset:808 ; 4-byte Folded Spill
.LBB216_541:                            ;   in Loop: Header=BB216_9 Depth=1
	s_or_b64 exec, exec, s[28:29]
.LBB216_542:                            ;   in Loop: Header=BB216_9 Depth=1
	s_or_b64 exec, exec, s[26:27]
.LBB216_543:                            ;   in Loop: Header=BB216_9 Depth=1
	s_or_b64 exec, exec, s[24:25]
	v_cmp_ne_u16_sdwa s[26:27], v0, v22 src0_sel:BYTE_1 src1_sel:DWORD
	s_and_saveexec_b64 s[24:25], s[26:27]
	s_cbranch_execz .LBB216_549
; %bb.544:                              ;   in Loop: Header=BB216_9 Depth=1
	v_cmp_ne_u16_sdwa s[28:29], v0, s19 src0_sel:BYTE_1 src1_sel:DWORD
	buffer_store_dword v22, off, s[0:3], s32 offset:812 ; 4-byte Folded Spill
	s_nop 0
	buffer_store_dword v23, off, s[0:3], s32 offset:816 ; 4-byte Folded Spill
	s_and_saveexec_b64 s[26:27], s[28:29]
	s_cbranch_execz .LBB216_548
; %bb.545:                              ;   in Loop: Header=BB216_9 Depth=1
	buffer_load_dword v4, off, s[0:3], s32 offset:64 ; 4-byte Folded Reload
	buffer_load_dword v5, off, s[0:3], s32 offset:68 ; 4-byte Folded Reload
	v_and_b32_sdwa v3, v0, s40 dst_sel:DWORD dst_unused:UNUSED_PAD src0_sel:BYTE_1 src1_sel:DWORD
	v_cmp_ne_u32_e32 vcc, s40, v3
	s_waitcnt vmcnt(1)
	v_mov_b32_e32 v4, v22
	s_waitcnt vmcnt(0)
	v_mov_b32_e32 v6, v5
	buffer_store_dword v5, off, s[0:3], s32 offset:64 ; 4-byte Folded Spill
	s_nop 0
	buffer_store_dword v6, off, s[0:3], s32 offset:68 ; 4-byte Folded Spill
	buffer_store_dword v4, off, s[0:3], s32 offset:812 ; 4-byte Folded Spill
	s_nop 0
	buffer_store_dword v5, off, s[0:3], s32 offset:816 ; 4-byte Folded Spill
	s_and_saveexec_b64 s[28:29], vcc
	s_cbranch_execz .LBB216_547
; %bb.546:                              ;   in Loop: Header=BB216_9 Depth=1
	v_mov_b32_e32 v4, 7
	v_and_b32_sdwa v4, v0, v4 dst_sel:DWORD dst_unused:UNUSED_PAD src0_sel:BYTE_1 src1_sel:DWORD
	v_lshrrev_b32_e32 v7, 3, v3
	v_cmp_gt_u32_e32 vcc, 8, v3
	v_ffbh_u32_e32 v3, v4
	v_min_u32_e32 v3, 32, v3
	v_mov_b32_e32 v5, v22
	v_subrev_u32_e32 v6, 28, v3
	v_lshlrev_b64 v[5:6], v6, v[4:5]
	v_sub_u32_e32 v3, 29, v3
	v_and_b32_e32 v5, 7, v5
	v_cndmask_b32_e32 v3, v7, v3, vcc
	v_cndmask_b32_e32 v4, v4, v5, vcc
	v_bfrev_b32_e32 v5, 60
	v_lshlrev_b32_e32 v0, 16, v0
	v_lshl_add_u32 v3, v3, 23, v5
	v_and_or_b32 v0, v0, s41, v3
	v_lshlrev_b32_e32 v3, 20, v4
	v_or_b32_e32 v4, v0, v3
	v_mov_b32_e32 v3, v22
	buffer_store_dword v3, off, s[0:3], s32 offset:812 ; 4-byte Folded Spill
	s_nop 0
	buffer_store_dword v4, off, s[0:3], s32 offset:816 ; 4-byte Folded Spill
.LBB216_547:                            ;   in Loop: Header=BB216_9 Depth=1
	s_or_b64 exec, exec, s[28:29]
.LBB216_548:                            ;   in Loop: Header=BB216_9 Depth=1
	s_or_b64 exec, exec, s[26:27]
.LBB216_549:                            ;   in Loop: Header=BB216_9 Depth=1
	s_or_b64 exec, exec, s[24:25]
	buffer_load_dword v0, off, s[0:3], s32 offset:80 ; 4-byte Folded Reload
	s_waitcnt vmcnt(0)
	v_add_co_u32_e32 v3, vcc, v1, v0
	v_addc_co_u32_e32 v4, vcc, 0, v2, vcc
	flat_load_ushort v3, v[3:4]
	s_waitcnt vmcnt(0) lgkmcnt(0)
	v_and_b32_e32 v0, 0xffff, v3
	v_cmp_ne_u16_sdwa s[26:27], v3, v22 src0_sel:BYTE_0 src1_sel:DWORD
	v_mov_b32_e32 v3, 0
	v_mov_b32_e32 v4, 0
	buffer_store_dword v3, off, s[0:3], s32 offset:828 ; 4-byte Folded Spill
	s_nop 0
	buffer_store_dword v4, off, s[0:3], s32 offset:832 ; 4-byte Folded Spill
	v_mov_b32_e32 v3, 0
	v_mov_b32_e32 v4, 0
	buffer_store_dword v3, off, s[0:3], s32 offset:820 ; 4-byte Folded Spill
	s_nop 0
	buffer_store_dword v4, off, s[0:3], s32 offset:824 ; 4-byte Folded Spill
	s_and_saveexec_b64 s[24:25], s[26:27]
	s_cbranch_execz .LBB216_555
; %bb.550:                              ;   in Loop: Header=BB216_9 Depth=1
	v_bfrev_b32_e32 v3, 1
	v_mov_b32_e32 v4, 0
	v_cmp_ne_u16_sdwa s[28:29], v0, s19 src0_sel:BYTE_0 src1_sel:DWORD
	buffer_store_dword v3, off, s[0:3], s32 offset:820 ; 4-byte Folded Spill
	s_nop 0
	buffer_store_dword v4, off, s[0:3], s32 offset:824 ; 4-byte Folded Spill
	s_and_saveexec_b64 s[26:27], s[28:29]
	s_cbranch_execz .LBB216_554
; %bb.551:                              ;   in Loop: Header=BB216_9 Depth=1
	v_and_b32_e32 v3, 0x7f, v0
	v_mov_b32_e32 v4, 0x7f800001
	v_mov_b32_e32 v5, 0
	v_cmp_ne_u32_e32 vcc, s40, v3
	buffer_store_dword v4, off, s[0:3], s32 offset:820 ; 4-byte Folded Spill
	s_nop 0
	buffer_store_dword v5, off, s[0:3], s32 offset:824 ; 4-byte Folded Spill
	s_and_saveexec_b64 s[28:29], vcc
	s_cbranch_execz .LBB216_553
; %bb.552:                              ;   in Loop: Header=BB216_9 Depth=1
	v_and_b32_e32 v5, 7, v0
	v_lshrrev_b32_e32 v6, 3, v3
	v_cmp_gt_u32_e32 vcc, 8, v3
	v_ffbh_u32_e32 v3, v5
	v_min_u32_e32 v7, 32, v3
	v_subrev_u32_e32 v3, 28, v7
	v_lshlrev_b64 v[3:4], v3, v[0:1]
	v_sub_u32_e32 v4, 29, v7
	v_and_b32_e32 v3, 7, v3
	v_cndmask_b32_e32 v4, v6, v4, vcc
	v_cndmask_b32_e32 v3, v5, v3, vcc
	v_bfrev_b32_e32 v6, 60
	v_lshlrev_b32_e32 v3, 20, v3
	v_and_b32_sdwa v5, sext(v0), s41 dst_sel:DWORD dst_unused:UNUSED_PAD src0_sel:BYTE_0 src1_sel:DWORD
	v_lshl_add_u32 v4, v4, 23, v6
	v_or3_b32 v3, v5, v4, v3
	v_mov_b32_e32 v4, v22
	buffer_store_dword v3, off, s[0:3], s32 offset:820 ; 4-byte Folded Spill
	s_nop 0
	buffer_store_dword v4, off, s[0:3], s32 offset:824 ; 4-byte Folded Spill
.LBB216_553:                            ;   in Loop: Header=BB216_9 Depth=1
	s_or_b64 exec, exec, s[28:29]
.LBB216_554:                            ;   in Loop: Header=BB216_9 Depth=1
	s_or_b64 exec, exec, s[26:27]
.LBB216_555:                            ;   in Loop: Header=BB216_9 Depth=1
	s_or_b64 exec, exec, s[24:25]
	v_cmp_ne_u16_sdwa s[26:27], v0, v22 src0_sel:BYTE_1 src1_sel:DWORD
	s_and_saveexec_b64 s[24:25], s[26:27]
	s_cbranch_execz .LBB216_561
; %bb.556:                              ;   in Loop: Header=BB216_9 Depth=1
	v_cmp_ne_u16_sdwa s[28:29], v0, s19 src0_sel:BYTE_1 src1_sel:DWORD
	buffer_store_dword v22, off, s[0:3], s32 offset:828 ; 4-byte Folded Spill
	s_nop 0
	buffer_store_dword v23, off, s[0:3], s32 offset:832 ; 4-byte Folded Spill
	s_and_saveexec_b64 s[26:27], s[28:29]
	s_cbranch_execz .LBB216_560
; %bb.557:                              ;   in Loop: Header=BB216_9 Depth=1
	buffer_load_dword v4, off, s[0:3], s32 offset:64 ; 4-byte Folded Reload
	buffer_load_dword v5, off, s[0:3], s32 offset:68 ; 4-byte Folded Reload
	v_and_b32_sdwa v3, v0, s40 dst_sel:DWORD dst_unused:UNUSED_PAD src0_sel:BYTE_1 src1_sel:DWORD
	v_cmp_ne_u32_e32 vcc, s40, v3
	s_waitcnt vmcnt(1)
	v_mov_b32_e32 v4, v22
	s_waitcnt vmcnt(0)
	v_mov_b32_e32 v6, v5
	buffer_store_dword v5, off, s[0:3], s32 offset:64 ; 4-byte Folded Spill
	s_nop 0
	buffer_store_dword v6, off, s[0:3], s32 offset:68 ; 4-byte Folded Spill
	buffer_store_dword v4, off, s[0:3], s32 offset:828 ; 4-byte Folded Spill
	s_nop 0
	buffer_store_dword v5, off, s[0:3], s32 offset:832 ; 4-byte Folded Spill
	s_and_saveexec_b64 s[28:29], vcc
	s_cbranch_execz .LBB216_559
; %bb.558:                              ;   in Loop: Header=BB216_9 Depth=1
	v_mov_b32_e32 v4, 7
	v_and_b32_sdwa v4, v0, v4 dst_sel:DWORD dst_unused:UNUSED_PAD src0_sel:BYTE_1 src1_sel:DWORD
	v_lshrrev_b32_e32 v7, 3, v3
	v_cmp_gt_u32_e32 vcc, 8, v3
	v_ffbh_u32_e32 v3, v4
	v_min_u32_e32 v3, 32, v3
	v_mov_b32_e32 v5, v22
	v_subrev_u32_e32 v6, 28, v3
	v_lshlrev_b64 v[5:6], v6, v[4:5]
	v_sub_u32_e32 v3, 29, v3
	v_and_b32_e32 v5, 7, v5
	v_cndmask_b32_e32 v3, v7, v3, vcc
	v_cndmask_b32_e32 v4, v4, v5, vcc
	v_bfrev_b32_e32 v5, 60
	v_lshlrev_b32_e32 v0, 16, v0
	v_lshl_add_u32 v3, v3, 23, v5
	v_and_or_b32 v0, v0, s41, v3
	v_lshlrev_b32_e32 v3, 20, v4
	v_or_b32_e32 v4, v0, v3
	v_mov_b32_e32 v3, v22
	buffer_store_dword v3, off, s[0:3], s32 offset:828 ; 4-byte Folded Spill
	s_nop 0
	buffer_store_dword v4, off, s[0:3], s32 offset:832 ; 4-byte Folded Spill
.LBB216_559:                            ;   in Loop: Header=BB216_9 Depth=1
	s_or_b64 exec, exec, s[28:29]
.LBB216_560:                            ;   in Loop: Header=BB216_9 Depth=1
	s_or_b64 exec, exec, s[26:27]
.LBB216_561:                            ;   in Loop: Header=BB216_9 Depth=1
	s_or_b64 exec, exec, s[24:25]
	buffer_load_dword v0, off, s[0:3], s32 offset:84 ; 4-byte Folded Reload
	s_waitcnt vmcnt(0)
	v_add_co_u32_e32 v3, vcc, v1, v0
	v_addc_co_u32_e32 v4, vcc, 0, v2, vcc
	flat_load_ushort v3, v[3:4]
	s_waitcnt vmcnt(0) lgkmcnt(0)
	v_and_b32_e32 v0, 0xffff, v3
	v_cmp_ne_u16_sdwa s[26:27], v3, v22 src0_sel:BYTE_0 src1_sel:DWORD
	v_mov_b32_e32 v3, 0
	v_mov_b32_e32 v4, 0
	buffer_store_dword v3, off, s[0:3], s32 offset:844 ; 4-byte Folded Spill
	s_nop 0
	buffer_store_dword v4, off, s[0:3], s32 offset:848 ; 4-byte Folded Spill
	v_mov_b32_e32 v3, 0
	v_mov_b32_e32 v4, 0
	buffer_store_dword v3, off, s[0:3], s32 offset:836 ; 4-byte Folded Spill
	s_nop 0
	buffer_store_dword v4, off, s[0:3], s32 offset:840 ; 4-byte Folded Spill
	s_and_saveexec_b64 s[24:25], s[26:27]
	s_cbranch_execz .LBB216_567
; %bb.562:                              ;   in Loop: Header=BB216_9 Depth=1
	v_bfrev_b32_e32 v3, 1
	v_mov_b32_e32 v4, 0
	v_cmp_ne_u16_sdwa s[28:29], v0, s19 src0_sel:BYTE_0 src1_sel:DWORD
	buffer_store_dword v3, off, s[0:3], s32 offset:836 ; 4-byte Folded Spill
	s_nop 0
	buffer_store_dword v4, off, s[0:3], s32 offset:840 ; 4-byte Folded Spill
	s_and_saveexec_b64 s[26:27], s[28:29]
	s_cbranch_execz .LBB216_566
; %bb.563:                              ;   in Loop: Header=BB216_9 Depth=1
	v_and_b32_e32 v3, 0x7f, v0
	v_mov_b32_e32 v4, 0x7f800001
	v_mov_b32_e32 v5, 0
	v_cmp_ne_u32_e32 vcc, s40, v3
	buffer_store_dword v4, off, s[0:3], s32 offset:836 ; 4-byte Folded Spill
	s_nop 0
	buffer_store_dword v5, off, s[0:3], s32 offset:840 ; 4-byte Folded Spill
	s_and_saveexec_b64 s[28:29], vcc
	s_cbranch_execz .LBB216_565
; %bb.564:                              ;   in Loop: Header=BB216_9 Depth=1
	v_and_b32_e32 v5, 7, v0
	v_lshrrev_b32_e32 v6, 3, v3
	v_cmp_gt_u32_e32 vcc, 8, v3
	v_ffbh_u32_e32 v3, v5
	v_min_u32_e32 v7, 32, v3
	v_subrev_u32_e32 v3, 28, v7
	v_lshlrev_b64 v[3:4], v3, v[0:1]
	v_sub_u32_e32 v4, 29, v7
	v_and_b32_e32 v3, 7, v3
	v_cndmask_b32_e32 v4, v6, v4, vcc
	v_cndmask_b32_e32 v3, v5, v3, vcc
	v_bfrev_b32_e32 v6, 60
	v_lshlrev_b32_e32 v3, 20, v3
	v_and_b32_sdwa v5, sext(v0), s41 dst_sel:DWORD dst_unused:UNUSED_PAD src0_sel:BYTE_0 src1_sel:DWORD
	v_lshl_add_u32 v4, v4, 23, v6
	v_or3_b32 v3, v5, v4, v3
	v_mov_b32_e32 v4, v22
	buffer_store_dword v3, off, s[0:3], s32 offset:836 ; 4-byte Folded Spill
	s_nop 0
	buffer_store_dword v4, off, s[0:3], s32 offset:840 ; 4-byte Folded Spill
.LBB216_565:                            ;   in Loop: Header=BB216_9 Depth=1
	s_or_b64 exec, exec, s[28:29]
.LBB216_566:                            ;   in Loop: Header=BB216_9 Depth=1
	s_or_b64 exec, exec, s[26:27]
.LBB216_567:                            ;   in Loop: Header=BB216_9 Depth=1
	s_or_b64 exec, exec, s[24:25]
	v_cmp_ne_u16_sdwa s[26:27], v0, v22 src0_sel:BYTE_1 src1_sel:DWORD
	s_and_saveexec_b64 s[24:25], s[26:27]
	s_cbranch_execz .LBB216_573
; %bb.568:                              ;   in Loop: Header=BB216_9 Depth=1
	v_cmp_ne_u16_sdwa s[28:29], v0, s19 src0_sel:BYTE_1 src1_sel:DWORD
	buffer_store_dword v22, off, s[0:3], s32 offset:844 ; 4-byte Folded Spill
	s_nop 0
	buffer_store_dword v23, off, s[0:3], s32 offset:848 ; 4-byte Folded Spill
	s_and_saveexec_b64 s[26:27], s[28:29]
	s_cbranch_execz .LBB216_572
; %bb.569:                              ;   in Loop: Header=BB216_9 Depth=1
	buffer_load_dword v4, off, s[0:3], s32 offset:64 ; 4-byte Folded Reload
	buffer_load_dword v5, off, s[0:3], s32 offset:68 ; 4-byte Folded Reload
	v_and_b32_sdwa v3, v0, s40 dst_sel:DWORD dst_unused:UNUSED_PAD src0_sel:BYTE_1 src1_sel:DWORD
	v_cmp_ne_u32_e32 vcc, s40, v3
	s_waitcnt vmcnt(1)
	v_mov_b32_e32 v4, v22
	s_waitcnt vmcnt(0)
	v_mov_b32_e32 v6, v5
	buffer_store_dword v5, off, s[0:3], s32 offset:64 ; 4-byte Folded Spill
	s_nop 0
	buffer_store_dword v6, off, s[0:3], s32 offset:68 ; 4-byte Folded Spill
	buffer_store_dword v4, off, s[0:3], s32 offset:844 ; 4-byte Folded Spill
	s_nop 0
	buffer_store_dword v5, off, s[0:3], s32 offset:848 ; 4-byte Folded Spill
	s_and_saveexec_b64 s[28:29], vcc
	s_cbranch_execz .LBB216_571
; %bb.570:                              ;   in Loop: Header=BB216_9 Depth=1
	v_mov_b32_e32 v4, 7
	v_and_b32_sdwa v4, v0, v4 dst_sel:DWORD dst_unused:UNUSED_PAD src0_sel:BYTE_1 src1_sel:DWORD
	v_lshrrev_b32_e32 v7, 3, v3
	v_cmp_gt_u32_e32 vcc, 8, v3
	v_ffbh_u32_e32 v3, v4
	v_min_u32_e32 v3, 32, v3
	v_mov_b32_e32 v5, v22
	v_subrev_u32_e32 v6, 28, v3
	v_lshlrev_b64 v[5:6], v6, v[4:5]
	v_sub_u32_e32 v3, 29, v3
	v_and_b32_e32 v5, 7, v5
	v_cndmask_b32_e32 v3, v7, v3, vcc
	v_cndmask_b32_e32 v4, v4, v5, vcc
	v_bfrev_b32_e32 v5, 60
	v_lshlrev_b32_e32 v0, 16, v0
	v_lshl_add_u32 v3, v3, 23, v5
	v_and_or_b32 v0, v0, s41, v3
	v_lshlrev_b32_e32 v3, 20, v4
	v_or_b32_e32 v4, v0, v3
	v_mov_b32_e32 v3, v22
	buffer_store_dword v3, off, s[0:3], s32 offset:844 ; 4-byte Folded Spill
	s_nop 0
	buffer_store_dword v4, off, s[0:3], s32 offset:848 ; 4-byte Folded Spill
.LBB216_571:                            ;   in Loop: Header=BB216_9 Depth=1
	s_or_b64 exec, exec, s[28:29]
.LBB216_572:                            ;   in Loop: Header=BB216_9 Depth=1
	s_or_b64 exec, exec, s[26:27]
.LBB216_573:                            ;   in Loop: Header=BB216_9 Depth=1
	s_or_b64 exec, exec, s[24:25]
	buffer_load_dword v0, off, s[0:3], s32 offset:88 ; 4-byte Folded Reload
	s_waitcnt vmcnt(0)
	v_add_co_u32_e32 v0, vcc, v1, v0
	v_addc_co_u32_e32 v1, vcc, 0, v2, vcc
	flat_load_ushort v1, v[0:1]
	s_waitcnt vmcnt(0) lgkmcnt(0)
	v_and_b32_e32 v0, 0xffff, v1
	v_cmp_ne_u16_sdwa s[26:27], v1, v22 src0_sel:BYTE_0 src1_sel:DWORD
	v_mov_b32_e32 v1, 0
	v_mov_b32_e32 v2, 0
	buffer_store_dword v1, off, s[0:3], s32 offset:860 ; 4-byte Folded Spill
	s_nop 0
	buffer_store_dword v2, off, s[0:3], s32 offset:864 ; 4-byte Folded Spill
	v_mov_b32_e32 v1, 0
	v_mov_b32_e32 v2, 0
	buffer_store_dword v1, off, s[0:3], s32 offset:852 ; 4-byte Folded Spill
	s_nop 0
	buffer_store_dword v2, off, s[0:3], s32 offset:856 ; 4-byte Folded Spill
	s_and_saveexec_b64 s[24:25], s[26:27]
	s_cbranch_execz .LBB216_579
; %bb.574:                              ;   in Loop: Header=BB216_9 Depth=1
	v_bfrev_b32_e32 v1, 1
	v_mov_b32_e32 v2, 0
	v_cmp_ne_u16_sdwa s[28:29], v0, s19 src0_sel:BYTE_0 src1_sel:DWORD
	buffer_store_dword v1, off, s[0:3], s32 offset:852 ; 4-byte Folded Spill
	s_nop 0
	buffer_store_dword v2, off, s[0:3], s32 offset:856 ; 4-byte Folded Spill
	s_and_saveexec_b64 s[26:27], s[28:29]
	s_cbranch_execz .LBB216_578
; %bb.575:                              ;   in Loop: Header=BB216_9 Depth=1
	v_and_b32_e32 v1, 0x7f, v0
	v_mov_b32_e32 v2, 0x7f800001
	v_mov_b32_e32 v3, 0
	v_cmp_ne_u32_e32 vcc, s40, v1
	buffer_store_dword v2, off, s[0:3], s32 offset:852 ; 4-byte Folded Spill
	s_nop 0
	buffer_store_dword v3, off, s[0:3], s32 offset:856 ; 4-byte Folded Spill
	s_and_saveexec_b64 s[28:29], vcc
	s_cbranch_execz .LBB216_577
; %bb.576:                              ;   in Loop: Header=BB216_9 Depth=1
	v_and_b32_e32 v3, 7, v0
	v_lshrrev_b32_e32 v4, 3, v1
	v_cmp_gt_u32_e32 vcc, 8, v1
	v_ffbh_u32_e32 v1, v3
	v_min_u32_e32 v5, 32, v1
	v_subrev_u32_e32 v1, 28, v5
	v_lshlrev_b64 v[1:2], v1, v[0:1]
	v_sub_u32_e32 v2, 29, v5
	v_and_b32_e32 v1, 7, v1
	v_cndmask_b32_e32 v2, v4, v2, vcc
	v_cndmask_b32_e32 v1, v3, v1, vcc
	v_bfrev_b32_e32 v4, 60
	v_lshlrev_b32_e32 v1, 20, v1
	v_and_b32_sdwa v3, sext(v0), s41 dst_sel:DWORD dst_unused:UNUSED_PAD src0_sel:BYTE_0 src1_sel:DWORD
	v_lshl_add_u32 v2, v2, 23, v4
	v_or3_b32 v1, v3, v2, v1
	v_mov_b32_e32 v2, v22
	buffer_store_dword v1, off, s[0:3], s32 offset:852 ; 4-byte Folded Spill
	s_nop 0
	buffer_store_dword v2, off, s[0:3], s32 offset:856 ; 4-byte Folded Spill
.LBB216_577:                            ;   in Loop: Header=BB216_9 Depth=1
	s_or_b64 exec, exec, s[28:29]
.LBB216_578:                            ;   in Loop: Header=BB216_9 Depth=1
	s_or_b64 exec, exec, s[26:27]
.LBB216_579:                            ;   in Loop: Header=BB216_9 Depth=1
	s_or_b64 exec, exec, s[24:25]
	v_cmp_ne_u16_sdwa s[26:27], v0, v22 src0_sel:BYTE_1 src1_sel:DWORD
	s_and_saveexec_b64 s[24:25], s[26:27]
	s_cbranch_execz .LBB216_585
; %bb.580:                              ;   in Loop: Header=BB216_9 Depth=1
	v_cmp_ne_u16_sdwa s[28:29], v0, s19 src0_sel:BYTE_1 src1_sel:DWORD
	buffer_store_dword v22, off, s[0:3], s32 offset:860 ; 4-byte Folded Spill
	s_nop 0
	buffer_store_dword v23, off, s[0:3], s32 offset:864 ; 4-byte Folded Spill
	s_and_saveexec_b64 s[26:27], s[28:29]
	s_cbranch_execz .LBB216_584
; %bb.581:                              ;   in Loop: Header=BB216_9 Depth=1
	buffer_load_dword v2, off, s[0:3], s32 offset:64 ; 4-byte Folded Reload
	buffer_load_dword v3, off, s[0:3], s32 offset:68 ; 4-byte Folded Reload
	v_and_b32_sdwa v1, v0, s40 dst_sel:DWORD dst_unused:UNUSED_PAD src0_sel:BYTE_1 src1_sel:DWORD
	v_cmp_ne_u32_e32 vcc, s40, v1
	s_waitcnt vmcnt(1)
	v_mov_b32_e32 v2, v22
	s_waitcnt vmcnt(0)
	v_mov_b32_e32 v4, v3
	buffer_store_dword v3, off, s[0:3], s32 offset:64 ; 4-byte Folded Spill
	s_nop 0
	buffer_store_dword v4, off, s[0:3], s32 offset:68 ; 4-byte Folded Spill
	buffer_store_dword v2, off, s[0:3], s32 offset:860 ; 4-byte Folded Spill
	s_nop 0
	buffer_store_dword v3, off, s[0:3], s32 offset:864 ; 4-byte Folded Spill
	s_and_saveexec_b64 s[28:29], vcc
	s_cbranch_execz .LBB216_583
; %bb.582:                              ;   in Loop: Header=BB216_9 Depth=1
	v_mov_b32_e32 v2, 7
	v_and_b32_sdwa v2, v0, v2 dst_sel:DWORD dst_unused:UNUSED_PAD src0_sel:BYTE_1 src1_sel:DWORD
	v_lshrrev_b32_e32 v5, 3, v1
	v_cmp_gt_u32_e32 vcc, 8, v1
	v_ffbh_u32_e32 v1, v2
	v_min_u32_e32 v1, 32, v1
	v_mov_b32_e32 v3, v22
	v_subrev_u32_e32 v4, 28, v1
	v_lshlrev_b64 v[3:4], v4, v[2:3]
	v_sub_u32_e32 v1, 29, v1
	v_and_b32_e32 v3, 7, v3
	v_cndmask_b32_e32 v1, v5, v1, vcc
	v_cndmask_b32_e32 v2, v2, v3, vcc
	v_bfrev_b32_e32 v3, 60
	v_lshlrev_b32_e32 v0, 16, v0
	v_lshl_add_u32 v1, v1, 23, v3
	v_and_or_b32 v0, v0, s41, v1
	v_lshlrev_b32_e32 v1, 20, v2
	v_or_b32_e32 v1, v0, v1
	v_mov_b32_e32 v0, v22
	buffer_store_dword v0, off, s[0:3], s32 offset:860 ; 4-byte Folded Spill
	s_nop 0
	buffer_store_dword v1, off, s[0:3], s32 offset:864 ; 4-byte Folded Spill
.LBB216_583:                            ;   in Loop: Header=BB216_9 Depth=1
	s_or_b64 exec, exec, s[28:29]
.LBB216_584:                            ;   in Loop: Header=BB216_9 Depth=1
	s_or_b64 exec, exec, s[26:27]
.LBB216_585:                            ;   in Loop: Header=BB216_9 Depth=1
	s_or_b64 exec, exec, s[24:25]
	buffer_load_dword v0, off, s[0:3], s32 offset:76 ; 4-byte Folded Reload
	v_add_co_u32_e32 v1, vcc, 0x1800, v49
	v_addc_co_u32_e32 v2, vcc, 0, v50, vcc
	s_waitcnt vmcnt(0)
	v_add_co_u32_e32 v3, vcc, v1, v0
	v_addc_co_u32_e32 v4, vcc, 0, v2, vcc
	flat_load_ushort v3, v[3:4]
	s_waitcnt vmcnt(0) lgkmcnt(0)
	v_and_b32_e32 v0, 0xffff, v3
	v_cmp_ne_u16_sdwa s[26:27], v3, v22 src0_sel:BYTE_0 src1_sel:DWORD
	v_mov_b32_e32 v3, 0
	v_mov_b32_e32 v4, 0
	buffer_store_dword v3, off, s[0:3], s32 offset:876 ; 4-byte Folded Spill
	s_nop 0
	buffer_store_dword v4, off, s[0:3], s32 offset:880 ; 4-byte Folded Spill
	v_mov_b32_e32 v3, 0
	v_mov_b32_e32 v4, 0
	buffer_store_dword v3, off, s[0:3], s32 offset:868 ; 4-byte Folded Spill
	s_nop 0
	buffer_store_dword v4, off, s[0:3], s32 offset:872 ; 4-byte Folded Spill
	s_and_saveexec_b64 s[24:25], s[26:27]
	s_cbranch_execz .LBB216_591
; %bb.586:                              ;   in Loop: Header=BB216_9 Depth=1
	v_bfrev_b32_e32 v3, 1
	v_mov_b32_e32 v4, 0
	v_cmp_ne_u16_sdwa s[28:29], v0, s19 src0_sel:BYTE_0 src1_sel:DWORD
	buffer_store_dword v3, off, s[0:3], s32 offset:868 ; 4-byte Folded Spill
	s_nop 0
	buffer_store_dword v4, off, s[0:3], s32 offset:872 ; 4-byte Folded Spill
	s_and_saveexec_b64 s[26:27], s[28:29]
	s_cbranch_execz .LBB216_590
; %bb.587:                              ;   in Loop: Header=BB216_9 Depth=1
	v_and_b32_e32 v3, 0x7f, v0
	v_mov_b32_e32 v4, 0x7f800001
	v_mov_b32_e32 v5, 0
	v_cmp_ne_u32_e32 vcc, s40, v3
	buffer_store_dword v4, off, s[0:3], s32 offset:868 ; 4-byte Folded Spill
	s_nop 0
	buffer_store_dword v5, off, s[0:3], s32 offset:872 ; 4-byte Folded Spill
	s_and_saveexec_b64 s[28:29], vcc
	s_cbranch_execz .LBB216_589
; %bb.588:                              ;   in Loop: Header=BB216_9 Depth=1
	v_and_b32_e32 v5, 7, v0
	v_lshrrev_b32_e32 v6, 3, v3
	v_cmp_gt_u32_e32 vcc, 8, v3
	v_ffbh_u32_e32 v3, v5
	v_min_u32_e32 v7, 32, v3
	v_subrev_u32_e32 v3, 28, v7
	v_lshlrev_b64 v[3:4], v3, v[0:1]
	v_sub_u32_e32 v4, 29, v7
	v_and_b32_e32 v3, 7, v3
	v_cndmask_b32_e32 v4, v6, v4, vcc
	v_cndmask_b32_e32 v3, v5, v3, vcc
	v_bfrev_b32_e32 v6, 60
	v_lshlrev_b32_e32 v3, 20, v3
	v_and_b32_sdwa v5, sext(v0), s41 dst_sel:DWORD dst_unused:UNUSED_PAD src0_sel:BYTE_0 src1_sel:DWORD
	v_lshl_add_u32 v4, v4, 23, v6
	v_or3_b32 v3, v5, v4, v3
	v_mov_b32_e32 v4, v22
	buffer_store_dword v3, off, s[0:3], s32 offset:868 ; 4-byte Folded Spill
	s_nop 0
	buffer_store_dword v4, off, s[0:3], s32 offset:872 ; 4-byte Folded Spill
.LBB216_589:                            ;   in Loop: Header=BB216_9 Depth=1
	s_or_b64 exec, exec, s[28:29]
.LBB216_590:                            ;   in Loop: Header=BB216_9 Depth=1
	s_or_b64 exec, exec, s[26:27]
.LBB216_591:                            ;   in Loop: Header=BB216_9 Depth=1
	s_or_b64 exec, exec, s[24:25]
	v_cmp_ne_u16_sdwa s[26:27], v0, v22 src0_sel:BYTE_1 src1_sel:DWORD
	s_and_saveexec_b64 s[24:25], s[26:27]
	s_cbranch_execz .LBB216_597
; %bb.592:                              ;   in Loop: Header=BB216_9 Depth=1
	v_cmp_ne_u16_sdwa s[28:29], v0, s19 src0_sel:BYTE_1 src1_sel:DWORD
	buffer_store_dword v22, off, s[0:3], s32 offset:876 ; 4-byte Folded Spill
	s_nop 0
	buffer_store_dword v23, off, s[0:3], s32 offset:880 ; 4-byte Folded Spill
	s_and_saveexec_b64 s[26:27], s[28:29]
	s_cbranch_execz .LBB216_596
; %bb.593:                              ;   in Loop: Header=BB216_9 Depth=1
	buffer_load_dword v4, off, s[0:3], s32 offset:64 ; 4-byte Folded Reload
	buffer_load_dword v5, off, s[0:3], s32 offset:68 ; 4-byte Folded Reload
	v_and_b32_sdwa v3, v0, s40 dst_sel:DWORD dst_unused:UNUSED_PAD src0_sel:BYTE_1 src1_sel:DWORD
	v_cmp_ne_u32_e32 vcc, s40, v3
	s_waitcnt vmcnt(1)
	v_mov_b32_e32 v4, v22
	s_waitcnt vmcnt(0)
	v_mov_b32_e32 v6, v5
	buffer_store_dword v5, off, s[0:3], s32 offset:64 ; 4-byte Folded Spill
	s_nop 0
	buffer_store_dword v6, off, s[0:3], s32 offset:68 ; 4-byte Folded Spill
	buffer_store_dword v4, off, s[0:3], s32 offset:876 ; 4-byte Folded Spill
	s_nop 0
	buffer_store_dword v5, off, s[0:3], s32 offset:880 ; 4-byte Folded Spill
	s_and_saveexec_b64 s[28:29], vcc
	s_cbranch_execz .LBB216_595
; %bb.594:                              ;   in Loop: Header=BB216_9 Depth=1
	v_mov_b32_e32 v4, 7
	v_and_b32_sdwa v4, v0, v4 dst_sel:DWORD dst_unused:UNUSED_PAD src0_sel:BYTE_1 src1_sel:DWORD
	v_lshrrev_b32_e32 v7, 3, v3
	v_cmp_gt_u32_e32 vcc, 8, v3
	v_ffbh_u32_e32 v3, v4
	v_min_u32_e32 v3, 32, v3
	v_mov_b32_e32 v5, v22
	v_subrev_u32_e32 v6, 28, v3
	v_lshlrev_b64 v[5:6], v6, v[4:5]
	v_sub_u32_e32 v3, 29, v3
	v_and_b32_e32 v5, 7, v5
	v_cndmask_b32_e32 v3, v7, v3, vcc
	v_cndmask_b32_e32 v4, v4, v5, vcc
	v_bfrev_b32_e32 v5, 60
	v_lshlrev_b32_e32 v0, 16, v0
	v_lshl_add_u32 v3, v3, 23, v5
	v_and_or_b32 v0, v0, s41, v3
	v_lshlrev_b32_e32 v3, 20, v4
	v_or_b32_e32 v4, v0, v3
	v_mov_b32_e32 v3, v22
	buffer_store_dword v3, off, s[0:3], s32 offset:876 ; 4-byte Folded Spill
	s_nop 0
	buffer_store_dword v4, off, s[0:3], s32 offset:880 ; 4-byte Folded Spill
.LBB216_595:                            ;   in Loop: Header=BB216_9 Depth=1
	s_or_b64 exec, exec, s[28:29]
.LBB216_596:                            ;   in Loop: Header=BB216_9 Depth=1
	s_or_b64 exec, exec, s[26:27]
.LBB216_597:                            ;   in Loop: Header=BB216_9 Depth=1
	s_or_b64 exec, exec, s[24:25]
	buffer_load_dword v0, off, s[0:3], s32 offset:80 ; 4-byte Folded Reload
	s_waitcnt vmcnt(0)
	v_add_co_u32_e32 v3, vcc, v1, v0
	v_addc_co_u32_e32 v4, vcc, 0, v2, vcc
	flat_load_ushort v3, v[3:4]
	s_waitcnt vmcnt(0) lgkmcnt(0)
	v_and_b32_e32 v0, 0xffff, v3
	v_cmp_ne_u16_sdwa s[26:27], v3, v22 src0_sel:BYTE_0 src1_sel:DWORD
	v_mov_b32_e32 v3, 0
	v_mov_b32_e32 v4, 0
	buffer_store_dword v3, off, s[0:3], s32 offset:892 ; 4-byte Folded Spill
	s_nop 0
	buffer_store_dword v4, off, s[0:3], s32 offset:896 ; 4-byte Folded Spill
	v_mov_b32_e32 v3, 0
	v_mov_b32_e32 v4, 0
	buffer_store_dword v3, off, s[0:3], s32 offset:884 ; 4-byte Folded Spill
	s_nop 0
	buffer_store_dword v4, off, s[0:3], s32 offset:888 ; 4-byte Folded Spill
	s_and_saveexec_b64 s[24:25], s[26:27]
	s_cbranch_execz .LBB216_603
; %bb.598:                              ;   in Loop: Header=BB216_9 Depth=1
	v_bfrev_b32_e32 v3, 1
	v_mov_b32_e32 v4, 0
	v_cmp_ne_u16_sdwa s[28:29], v0, s19 src0_sel:BYTE_0 src1_sel:DWORD
	buffer_store_dword v3, off, s[0:3], s32 offset:884 ; 4-byte Folded Spill
	s_nop 0
	buffer_store_dword v4, off, s[0:3], s32 offset:888 ; 4-byte Folded Spill
	s_and_saveexec_b64 s[26:27], s[28:29]
	s_cbranch_execz .LBB216_602
; %bb.599:                              ;   in Loop: Header=BB216_9 Depth=1
	v_and_b32_e32 v3, 0x7f, v0
	v_mov_b32_e32 v4, 0x7f800001
	v_mov_b32_e32 v5, 0
	v_cmp_ne_u32_e32 vcc, s40, v3
	buffer_store_dword v4, off, s[0:3], s32 offset:884 ; 4-byte Folded Spill
	s_nop 0
	buffer_store_dword v5, off, s[0:3], s32 offset:888 ; 4-byte Folded Spill
	s_and_saveexec_b64 s[28:29], vcc
	s_cbranch_execz .LBB216_601
; %bb.600:                              ;   in Loop: Header=BB216_9 Depth=1
	v_and_b32_e32 v5, 7, v0
	v_lshrrev_b32_e32 v6, 3, v3
	v_cmp_gt_u32_e32 vcc, 8, v3
	v_ffbh_u32_e32 v3, v5
	v_min_u32_e32 v7, 32, v3
	v_subrev_u32_e32 v3, 28, v7
	v_lshlrev_b64 v[3:4], v3, v[0:1]
	v_sub_u32_e32 v4, 29, v7
	v_and_b32_e32 v3, 7, v3
	v_cndmask_b32_e32 v4, v6, v4, vcc
	v_cndmask_b32_e32 v3, v5, v3, vcc
	v_bfrev_b32_e32 v6, 60
	v_lshlrev_b32_e32 v3, 20, v3
	v_and_b32_sdwa v5, sext(v0), s41 dst_sel:DWORD dst_unused:UNUSED_PAD src0_sel:BYTE_0 src1_sel:DWORD
	v_lshl_add_u32 v4, v4, 23, v6
	v_or3_b32 v3, v5, v4, v3
	v_mov_b32_e32 v4, v22
	buffer_store_dword v3, off, s[0:3], s32 offset:884 ; 4-byte Folded Spill
	s_nop 0
	buffer_store_dword v4, off, s[0:3], s32 offset:888 ; 4-byte Folded Spill
.LBB216_601:                            ;   in Loop: Header=BB216_9 Depth=1
	s_or_b64 exec, exec, s[28:29]
.LBB216_602:                            ;   in Loop: Header=BB216_9 Depth=1
	s_or_b64 exec, exec, s[26:27]
.LBB216_603:                            ;   in Loop: Header=BB216_9 Depth=1
	s_or_b64 exec, exec, s[24:25]
	v_cmp_ne_u16_sdwa s[26:27], v0, v22 src0_sel:BYTE_1 src1_sel:DWORD
	s_and_saveexec_b64 s[24:25], s[26:27]
	s_cbranch_execz .LBB216_609
; %bb.604:                              ;   in Loop: Header=BB216_9 Depth=1
	v_cmp_ne_u16_sdwa s[28:29], v0, s19 src0_sel:BYTE_1 src1_sel:DWORD
	buffer_store_dword v22, off, s[0:3], s32 offset:892 ; 4-byte Folded Spill
	s_nop 0
	buffer_store_dword v23, off, s[0:3], s32 offset:896 ; 4-byte Folded Spill
	s_and_saveexec_b64 s[26:27], s[28:29]
	s_cbranch_execz .LBB216_608
; %bb.605:                              ;   in Loop: Header=BB216_9 Depth=1
	buffer_load_dword v4, off, s[0:3], s32 offset:64 ; 4-byte Folded Reload
	buffer_load_dword v5, off, s[0:3], s32 offset:68 ; 4-byte Folded Reload
	v_and_b32_sdwa v3, v0, s40 dst_sel:DWORD dst_unused:UNUSED_PAD src0_sel:BYTE_1 src1_sel:DWORD
	v_cmp_ne_u32_e32 vcc, s40, v3
	s_waitcnt vmcnt(1)
	v_mov_b32_e32 v4, v22
	s_waitcnt vmcnt(0)
	v_mov_b32_e32 v6, v5
	buffer_store_dword v5, off, s[0:3], s32 offset:64 ; 4-byte Folded Spill
	s_nop 0
	buffer_store_dword v6, off, s[0:3], s32 offset:68 ; 4-byte Folded Spill
	buffer_store_dword v4, off, s[0:3], s32 offset:892 ; 4-byte Folded Spill
	s_nop 0
	buffer_store_dword v5, off, s[0:3], s32 offset:896 ; 4-byte Folded Spill
	s_and_saveexec_b64 s[28:29], vcc
	s_cbranch_execz .LBB216_607
; %bb.606:                              ;   in Loop: Header=BB216_9 Depth=1
	v_mov_b32_e32 v4, 7
	v_and_b32_sdwa v4, v0, v4 dst_sel:DWORD dst_unused:UNUSED_PAD src0_sel:BYTE_1 src1_sel:DWORD
	v_lshrrev_b32_e32 v7, 3, v3
	v_cmp_gt_u32_e32 vcc, 8, v3
	v_ffbh_u32_e32 v3, v4
	v_min_u32_e32 v3, 32, v3
	v_mov_b32_e32 v5, v22
	v_subrev_u32_e32 v6, 28, v3
	v_lshlrev_b64 v[5:6], v6, v[4:5]
	v_sub_u32_e32 v3, 29, v3
	v_and_b32_e32 v5, 7, v5
	v_cndmask_b32_e32 v3, v7, v3, vcc
	v_cndmask_b32_e32 v4, v4, v5, vcc
	v_bfrev_b32_e32 v5, 60
	v_lshlrev_b32_e32 v0, 16, v0
	v_lshl_add_u32 v3, v3, 23, v5
	v_and_or_b32 v0, v0, s41, v3
	v_lshlrev_b32_e32 v3, 20, v4
	v_or_b32_e32 v4, v0, v3
	v_mov_b32_e32 v3, v22
	buffer_store_dword v3, off, s[0:3], s32 offset:892 ; 4-byte Folded Spill
	s_nop 0
	buffer_store_dword v4, off, s[0:3], s32 offset:896 ; 4-byte Folded Spill
.LBB216_607:                            ;   in Loop: Header=BB216_9 Depth=1
	s_or_b64 exec, exec, s[28:29]
.LBB216_608:                            ;   in Loop: Header=BB216_9 Depth=1
	s_or_b64 exec, exec, s[26:27]
.LBB216_609:                            ;   in Loop: Header=BB216_9 Depth=1
	s_or_b64 exec, exec, s[24:25]
	buffer_load_dword v0, off, s[0:3], s32 offset:84 ; 4-byte Folded Reload
	s_waitcnt vmcnt(0)
	v_add_co_u32_e32 v3, vcc, v1, v0
	v_addc_co_u32_e32 v4, vcc, 0, v2, vcc
	flat_load_ushort v3, v[3:4]
	s_waitcnt vmcnt(0) lgkmcnt(0)
	v_and_b32_e32 v0, 0xffff, v3
	v_cmp_ne_u16_sdwa s[26:27], v3, v22 src0_sel:BYTE_0 src1_sel:DWORD
	v_mov_b32_e32 v3, 0
	v_mov_b32_e32 v4, 0
	buffer_store_dword v3, off, s[0:3], s32 offset:908 ; 4-byte Folded Spill
	s_nop 0
	buffer_store_dword v4, off, s[0:3], s32 offset:912 ; 4-byte Folded Spill
	v_mov_b32_e32 v3, 0
	v_mov_b32_e32 v4, 0
	buffer_store_dword v3, off, s[0:3], s32 offset:900 ; 4-byte Folded Spill
	s_nop 0
	buffer_store_dword v4, off, s[0:3], s32 offset:904 ; 4-byte Folded Spill
	s_and_saveexec_b64 s[24:25], s[26:27]
	s_cbranch_execz .LBB216_615
; %bb.610:                              ;   in Loop: Header=BB216_9 Depth=1
	v_bfrev_b32_e32 v3, 1
	v_mov_b32_e32 v4, 0
	v_cmp_ne_u16_sdwa s[28:29], v0, s19 src0_sel:BYTE_0 src1_sel:DWORD
	buffer_store_dword v3, off, s[0:3], s32 offset:900 ; 4-byte Folded Spill
	s_nop 0
	buffer_store_dword v4, off, s[0:3], s32 offset:904 ; 4-byte Folded Spill
	s_and_saveexec_b64 s[26:27], s[28:29]
	s_cbranch_execz .LBB216_614
; %bb.611:                              ;   in Loop: Header=BB216_9 Depth=1
	v_and_b32_e32 v3, 0x7f, v0
	v_mov_b32_e32 v4, 0x7f800001
	v_mov_b32_e32 v5, 0
	v_cmp_ne_u32_e32 vcc, s40, v3
	buffer_store_dword v4, off, s[0:3], s32 offset:900 ; 4-byte Folded Spill
	s_nop 0
	buffer_store_dword v5, off, s[0:3], s32 offset:904 ; 4-byte Folded Spill
	s_and_saveexec_b64 s[28:29], vcc
	s_cbranch_execz .LBB216_613
; %bb.612:                              ;   in Loop: Header=BB216_9 Depth=1
	v_and_b32_e32 v5, 7, v0
	v_lshrrev_b32_e32 v6, 3, v3
	v_cmp_gt_u32_e32 vcc, 8, v3
	v_ffbh_u32_e32 v3, v5
	v_min_u32_e32 v7, 32, v3
	v_subrev_u32_e32 v3, 28, v7
	v_lshlrev_b64 v[3:4], v3, v[0:1]
	v_sub_u32_e32 v4, 29, v7
	v_and_b32_e32 v3, 7, v3
	v_cndmask_b32_e32 v4, v6, v4, vcc
	v_cndmask_b32_e32 v3, v5, v3, vcc
	v_bfrev_b32_e32 v6, 60
	v_lshlrev_b32_e32 v3, 20, v3
	v_and_b32_sdwa v5, sext(v0), s41 dst_sel:DWORD dst_unused:UNUSED_PAD src0_sel:BYTE_0 src1_sel:DWORD
	v_lshl_add_u32 v4, v4, 23, v6
	v_or3_b32 v3, v5, v4, v3
	v_mov_b32_e32 v4, v22
	buffer_store_dword v3, off, s[0:3], s32 offset:900 ; 4-byte Folded Spill
	s_nop 0
	buffer_store_dword v4, off, s[0:3], s32 offset:904 ; 4-byte Folded Spill
.LBB216_613:                            ;   in Loop: Header=BB216_9 Depth=1
	s_or_b64 exec, exec, s[28:29]
.LBB216_614:                            ;   in Loop: Header=BB216_9 Depth=1
	s_or_b64 exec, exec, s[26:27]
.LBB216_615:                            ;   in Loop: Header=BB216_9 Depth=1
	s_or_b64 exec, exec, s[24:25]
	v_cmp_ne_u16_sdwa s[26:27], v0, v22 src0_sel:BYTE_1 src1_sel:DWORD
	s_and_saveexec_b64 s[24:25], s[26:27]
	s_cbranch_execz .LBB216_621
; %bb.616:                              ;   in Loop: Header=BB216_9 Depth=1
	v_cmp_ne_u16_sdwa s[28:29], v0, s19 src0_sel:BYTE_1 src1_sel:DWORD
	buffer_store_dword v22, off, s[0:3], s32 offset:908 ; 4-byte Folded Spill
	s_nop 0
	buffer_store_dword v23, off, s[0:3], s32 offset:912 ; 4-byte Folded Spill
	s_and_saveexec_b64 s[26:27], s[28:29]
	s_cbranch_execz .LBB216_620
; %bb.617:                              ;   in Loop: Header=BB216_9 Depth=1
	buffer_load_dword v4, off, s[0:3], s32 offset:64 ; 4-byte Folded Reload
	buffer_load_dword v5, off, s[0:3], s32 offset:68 ; 4-byte Folded Reload
	v_and_b32_sdwa v3, v0, s40 dst_sel:DWORD dst_unused:UNUSED_PAD src0_sel:BYTE_1 src1_sel:DWORD
	v_cmp_ne_u32_e32 vcc, s40, v3
	s_waitcnt vmcnt(1)
	v_mov_b32_e32 v4, v22
	s_waitcnt vmcnt(0)
	v_mov_b32_e32 v6, v5
	buffer_store_dword v5, off, s[0:3], s32 offset:64 ; 4-byte Folded Spill
	s_nop 0
	buffer_store_dword v6, off, s[0:3], s32 offset:68 ; 4-byte Folded Spill
	buffer_store_dword v4, off, s[0:3], s32 offset:908 ; 4-byte Folded Spill
	s_nop 0
	buffer_store_dword v5, off, s[0:3], s32 offset:912 ; 4-byte Folded Spill
	s_and_saveexec_b64 s[28:29], vcc
	s_cbranch_execz .LBB216_619
; %bb.618:                              ;   in Loop: Header=BB216_9 Depth=1
	v_mov_b32_e32 v4, 7
	v_and_b32_sdwa v4, v0, v4 dst_sel:DWORD dst_unused:UNUSED_PAD src0_sel:BYTE_1 src1_sel:DWORD
	v_lshrrev_b32_e32 v7, 3, v3
	v_cmp_gt_u32_e32 vcc, 8, v3
	v_ffbh_u32_e32 v3, v4
	v_min_u32_e32 v3, 32, v3
	v_mov_b32_e32 v5, v22
	v_subrev_u32_e32 v6, 28, v3
	v_lshlrev_b64 v[5:6], v6, v[4:5]
	v_sub_u32_e32 v3, 29, v3
	v_and_b32_e32 v5, 7, v5
	v_cndmask_b32_e32 v3, v7, v3, vcc
	v_cndmask_b32_e32 v4, v4, v5, vcc
	v_bfrev_b32_e32 v5, 60
	v_lshlrev_b32_e32 v0, 16, v0
	v_lshl_add_u32 v3, v3, 23, v5
	v_and_or_b32 v0, v0, s41, v3
	v_lshlrev_b32_e32 v3, 20, v4
	v_or_b32_e32 v4, v0, v3
	v_mov_b32_e32 v3, v22
	buffer_store_dword v3, off, s[0:3], s32 offset:908 ; 4-byte Folded Spill
	s_nop 0
	buffer_store_dword v4, off, s[0:3], s32 offset:912 ; 4-byte Folded Spill
.LBB216_619:                            ;   in Loop: Header=BB216_9 Depth=1
	s_or_b64 exec, exec, s[28:29]
.LBB216_620:                            ;   in Loop: Header=BB216_9 Depth=1
	s_or_b64 exec, exec, s[26:27]
.LBB216_621:                            ;   in Loop: Header=BB216_9 Depth=1
	s_or_b64 exec, exec, s[24:25]
	buffer_load_dword v0, off, s[0:3], s32 offset:88 ; 4-byte Folded Reload
	s_waitcnt vmcnt(0)
	v_add_co_u32_e32 v0, vcc, v1, v0
	v_addc_co_u32_e32 v1, vcc, 0, v2, vcc
	flat_load_ushort v0, v[0:1]
	s_waitcnt vmcnt(0) lgkmcnt(0)
	v_and_b32_e32 v4, 0xffff, v0
	v_cmp_ne_u16_sdwa s[26:27], v0, v22 src0_sel:BYTE_0 src1_sel:DWORD
	v_mov_b32_e32 v0, 0
	v_mov_b32_e32 v1, 0
	buffer_store_dword v0, off, s[0:3], s32 offset:924 ; 4-byte Folded Spill
	s_nop 0
	buffer_store_dword v1, off, s[0:3], s32 offset:928 ; 4-byte Folded Spill
	v_mov_b32_e32 v0, 0
	v_mov_b32_e32 v1, 0
	buffer_store_dword v0, off, s[0:3], s32 offset:916 ; 4-byte Folded Spill
	s_nop 0
	buffer_store_dword v1, off, s[0:3], s32 offset:920 ; 4-byte Folded Spill
	s_and_saveexec_b64 s[24:25], s[26:27]
	s_cbranch_execz .LBB216_627
; %bb.622:                              ;   in Loop: Header=BB216_9 Depth=1
	v_bfrev_b32_e32 v0, 1
	v_mov_b32_e32 v1, 0
	v_cmp_ne_u16_sdwa s[28:29], v4, s19 src0_sel:BYTE_0 src1_sel:DWORD
	buffer_store_dword v0, off, s[0:3], s32 offset:916 ; 4-byte Folded Spill
	s_nop 0
	buffer_store_dword v1, off, s[0:3], s32 offset:920 ; 4-byte Folded Spill
	s_and_saveexec_b64 s[26:27], s[28:29]
	s_cbranch_execz .LBB216_626
; %bb.623:                              ;   in Loop: Header=BB216_9 Depth=1
	v_and_b32_e32 v0, 0x7f, v4
	v_mov_b32_e32 v1, 0x7f800001
	v_mov_b32_e32 v2, 0
	v_cmp_ne_u32_e32 vcc, s40, v0
	buffer_store_dword v1, off, s[0:3], s32 offset:916 ; 4-byte Folded Spill
	s_nop 0
	buffer_store_dword v2, off, s[0:3], s32 offset:920 ; 4-byte Folded Spill
	s_and_saveexec_b64 s[28:29], vcc
	s_cbranch_execz .LBB216_625
; %bb.624:                              ;   in Loop: Header=BB216_9 Depth=1
	v_and_b32_e32 v2, 7, v4
	v_lshrrev_b32_e32 v3, 3, v0
	v_cmp_gt_u32_e32 vcc, 8, v0
	v_ffbh_u32_e32 v0, v2
	v_min_u32_e32 v5, 32, v0
	v_subrev_u32_e32 v0, 28, v5
	v_lshlrev_b64 v[0:1], v0, v[4:5]
	v_sub_u32_e32 v1, 29, v5
	v_and_b32_e32 v0, 7, v0
	v_cndmask_b32_e32 v1, v3, v1, vcc
	v_cndmask_b32_e32 v0, v2, v0, vcc
	v_bfrev_b32_e32 v3, 60
	v_lshlrev_b32_e32 v0, 20, v0
	v_and_b32_sdwa v2, sext(v4), s41 dst_sel:DWORD dst_unused:UNUSED_PAD src0_sel:BYTE_0 src1_sel:DWORD
	v_lshl_add_u32 v1, v1, 23, v3
	v_or3_b32 v0, v2, v1, v0
	v_mov_b32_e32 v1, v22
	buffer_store_dword v0, off, s[0:3], s32 offset:916 ; 4-byte Folded Spill
	s_nop 0
	buffer_store_dword v1, off, s[0:3], s32 offset:920 ; 4-byte Folded Spill
.LBB216_625:                            ;   in Loop: Header=BB216_9 Depth=1
	s_or_b64 exec, exec, s[28:29]
.LBB216_626:                            ;   in Loop: Header=BB216_9 Depth=1
	s_or_b64 exec, exec, s[26:27]
.LBB216_627:                            ;   in Loop: Header=BB216_9 Depth=1
	s_or_b64 exec, exec, s[24:25]
	v_cmp_ne_u16_sdwa s[26:27], v4, v22 src0_sel:BYTE_1 src1_sel:DWORD
	s_and_saveexec_b64 s[24:25], s[26:27]
	s_cbranch_execz .LBB216_633
; %bb.628:                              ;   in Loop: Header=BB216_9 Depth=1
	v_cmp_ne_u16_sdwa s[28:29], v4, s19 src0_sel:BYTE_1 src1_sel:DWORD
	buffer_store_dword v22, off, s[0:3], s32 offset:924 ; 4-byte Folded Spill
	s_nop 0
	buffer_store_dword v23, off, s[0:3], s32 offset:928 ; 4-byte Folded Spill
	s_and_saveexec_b64 s[26:27], s[28:29]
	s_cbranch_execz .LBB216_632
; %bb.629:                              ;   in Loop: Header=BB216_9 Depth=1
	buffer_load_dword v1, off, s[0:3], s32 offset:64 ; 4-byte Folded Reload
	buffer_load_dword v2, off, s[0:3], s32 offset:68 ; 4-byte Folded Reload
	v_and_b32_sdwa v0, v4, s40 dst_sel:DWORD dst_unused:UNUSED_PAD src0_sel:BYTE_1 src1_sel:DWORD
	v_cmp_ne_u32_e32 vcc, s40, v0
	s_waitcnt vmcnt(1)
	v_mov_b32_e32 v1, v22
	s_waitcnt vmcnt(0)
	v_mov_b32_e32 v3, v2
	buffer_store_dword v2, off, s[0:3], s32 offset:64 ; 4-byte Folded Spill
	s_nop 0
	buffer_store_dword v3, off, s[0:3], s32 offset:68 ; 4-byte Folded Spill
	buffer_store_dword v1, off, s[0:3], s32 offset:924 ; 4-byte Folded Spill
	s_nop 0
	buffer_store_dword v2, off, s[0:3], s32 offset:928 ; 4-byte Folded Spill
	s_and_saveexec_b64 s[28:29], vcc
	s_cbranch_execz .LBB216_631
; %bb.630:                              ;   in Loop: Header=BB216_9 Depth=1
	v_mov_b32_e32 v1, 7
	v_and_b32_sdwa v1, v4, v1 dst_sel:DWORD dst_unused:UNUSED_PAD src0_sel:BYTE_1 src1_sel:DWORD
	v_lshrrev_b32_e32 v5, 3, v0
	v_cmp_gt_u32_e32 vcc, 8, v0
	v_ffbh_u32_e32 v0, v1
	v_min_u32_e32 v0, 32, v0
	v_mov_b32_e32 v2, v22
	v_subrev_u32_e32 v3, 28, v0
	v_lshlrev_b64 v[2:3], v3, v[1:2]
	v_sub_u32_e32 v0, 29, v0
	v_and_b32_e32 v2, 7, v2
	v_cndmask_b32_e32 v0, v5, v0, vcc
	v_bfrev_b32_e32 v3, 60
	v_cndmask_b32_e32 v1, v1, v2, vcc
	v_lshlrev_b32_e32 v2, 16, v4
	v_lshl_add_u32 v0, v0, 23, v3
	v_and_or_b32 v0, v2, s41, v0
	v_lshlrev_b32_e32 v1, 20, v1
	v_or_b32_e32 v1, v0, v1
	v_mov_b32_e32 v0, v22
	buffer_store_dword v0, off, s[0:3], s32 offset:924 ; 4-byte Folded Spill
	s_nop 0
	buffer_store_dword v1, off, s[0:3], s32 offset:928 ; 4-byte Folded Spill
.LBB216_631:                            ;   in Loop: Header=BB216_9 Depth=1
	s_or_b64 exec, exec, s[28:29]
.LBB216_632:                            ;   in Loop: Header=BB216_9 Depth=1
	s_or_b64 exec, exec, s[26:27]
.LBB216_633:                            ;   in Loop: Header=BB216_9 Depth=1
	s_or_b64 exec, exec, s[24:25]
	buffer_load_dword v0, off, s[0:3], s32 offset:76 ; 4-byte Folded Reload
	v_add_co_u32_e32 v10, vcc, 0x1a00, v49
	v_addc_co_u32_e32 v12, vcc, 0, v50, vcc
	s_waitcnt vmcnt(0)
	v_add_co_u32_e32 v0, vcc, v10, v0
	v_addc_co_u32_e32 v1, vcc, 0, v12, vcc
	flat_load_ushort v0, v[0:1]
	s_waitcnt vmcnt(0) lgkmcnt(0)
	v_and_b32_e32 v4, 0xffff, v0
	v_cmp_ne_u16_sdwa s[26:27], v0, v22 src0_sel:BYTE_0 src1_sel:DWORD
	v_mov_b32_e32 v0, 0
	v_mov_b32_e32 v1, 0
	buffer_store_dword v0, off, s[0:3], s32 offset:940 ; 4-byte Folded Spill
	s_nop 0
	buffer_store_dword v1, off, s[0:3], s32 offset:944 ; 4-byte Folded Spill
	v_mov_b32_e32 v0, 0
	v_mov_b32_e32 v1, 0
	buffer_store_dword v0, off, s[0:3], s32 offset:932 ; 4-byte Folded Spill
	s_nop 0
	buffer_store_dword v1, off, s[0:3], s32 offset:936 ; 4-byte Folded Spill
	s_and_saveexec_b64 s[24:25], s[26:27]
	s_cbranch_execz .LBB216_639
; %bb.634:                              ;   in Loop: Header=BB216_9 Depth=1
	v_bfrev_b32_e32 v0, 1
	v_mov_b32_e32 v1, 0
	v_cmp_ne_u16_sdwa s[28:29], v4, s19 src0_sel:BYTE_0 src1_sel:DWORD
	buffer_store_dword v0, off, s[0:3], s32 offset:932 ; 4-byte Folded Spill
	s_nop 0
	buffer_store_dword v1, off, s[0:3], s32 offset:936 ; 4-byte Folded Spill
	s_and_saveexec_b64 s[26:27], s[28:29]
	s_cbranch_execz .LBB216_638
; %bb.635:                              ;   in Loop: Header=BB216_9 Depth=1
	v_and_b32_e32 v0, 0x7f, v4
	v_mov_b32_e32 v1, 0x7f800001
	v_mov_b32_e32 v2, 0
	v_cmp_ne_u32_e32 vcc, s40, v0
	buffer_store_dword v1, off, s[0:3], s32 offset:932 ; 4-byte Folded Spill
	s_nop 0
	buffer_store_dword v2, off, s[0:3], s32 offset:936 ; 4-byte Folded Spill
	s_and_saveexec_b64 s[28:29], vcc
	s_cbranch_execz .LBB216_637
; %bb.636:                              ;   in Loop: Header=BB216_9 Depth=1
	v_and_b32_e32 v2, 7, v4
	v_lshrrev_b32_e32 v3, 3, v0
	v_cmp_gt_u32_e32 vcc, 8, v0
	v_ffbh_u32_e32 v0, v2
	v_min_u32_e32 v5, 32, v0
	v_subrev_u32_e32 v0, 28, v5
	v_lshlrev_b64 v[0:1], v0, v[4:5]
	v_sub_u32_e32 v1, 29, v5
	v_and_b32_e32 v0, 7, v0
	v_cndmask_b32_e32 v1, v3, v1, vcc
	v_cndmask_b32_e32 v0, v2, v0, vcc
	v_bfrev_b32_e32 v3, 60
	v_lshlrev_b32_e32 v0, 20, v0
	v_and_b32_sdwa v2, sext(v4), s41 dst_sel:DWORD dst_unused:UNUSED_PAD src0_sel:BYTE_0 src1_sel:DWORD
	v_lshl_add_u32 v1, v1, 23, v3
	v_or3_b32 v0, v2, v1, v0
	v_mov_b32_e32 v1, v22
	buffer_store_dword v0, off, s[0:3], s32 offset:932 ; 4-byte Folded Spill
	s_nop 0
	buffer_store_dword v1, off, s[0:3], s32 offset:936 ; 4-byte Folded Spill
.LBB216_637:                            ;   in Loop: Header=BB216_9 Depth=1
	s_or_b64 exec, exec, s[28:29]
.LBB216_638:                            ;   in Loop: Header=BB216_9 Depth=1
	s_or_b64 exec, exec, s[26:27]
.LBB216_639:                            ;   in Loop: Header=BB216_9 Depth=1
	s_or_b64 exec, exec, s[24:25]
	v_cmp_ne_u16_sdwa s[26:27], v4, v22 src0_sel:BYTE_1 src1_sel:DWORD
	s_and_saveexec_b64 s[24:25], s[26:27]
	s_cbranch_execz .LBB216_645
; %bb.640:                              ;   in Loop: Header=BB216_9 Depth=1
	v_cmp_ne_u16_sdwa s[28:29], v4, s19 src0_sel:BYTE_1 src1_sel:DWORD
	buffer_store_dword v22, off, s[0:3], s32 offset:940 ; 4-byte Folded Spill
	s_nop 0
	buffer_store_dword v23, off, s[0:3], s32 offset:944 ; 4-byte Folded Spill
	s_and_saveexec_b64 s[26:27], s[28:29]
	s_cbranch_execz .LBB216_644
; %bb.641:                              ;   in Loop: Header=BB216_9 Depth=1
	buffer_load_dword v1, off, s[0:3], s32 offset:64 ; 4-byte Folded Reload
	buffer_load_dword v2, off, s[0:3], s32 offset:68 ; 4-byte Folded Reload
	v_and_b32_sdwa v0, v4, s40 dst_sel:DWORD dst_unused:UNUSED_PAD src0_sel:BYTE_1 src1_sel:DWORD
	v_cmp_ne_u32_e32 vcc, s40, v0
	s_waitcnt vmcnt(1)
	v_mov_b32_e32 v1, v22
	s_waitcnt vmcnt(0)
	v_mov_b32_e32 v3, v2
	buffer_store_dword v2, off, s[0:3], s32 offset:64 ; 4-byte Folded Spill
	s_nop 0
	buffer_store_dword v3, off, s[0:3], s32 offset:68 ; 4-byte Folded Spill
	buffer_store_dword v1, off, s[0:3], s32 offset:940 ; 4-byte Folded Spill
	s_nop 0
	buffer_store_dword v2, off, s[0:3], s32 offset:944 ; 4-byte Folded Spill
	s_and_saveexec_b64 s[28:29], vcc
	s_cbranch_execz .LBB216_643
; %bb.642:                              ;   in Loop: Header=BB216_9 Depth=1
	v_mov_b32_e32 v1, 7
	v_and_b32_sdwa v1, v4, v1 dst_sel:DWORD dst_unused:UNUSED_PAD src0_sel:BYTE_1 src1_sel:DWORD
	v_lshrrev_b32_e32 v5, 3, v0
	v_cmp_gt_u32_e32 vcc, 8, v0
	v_ffbh_u32_e32 v0, v1
	v_min_u32_e32 v0, 32, v0
	v_mov_b32_e32 v2, v22
	v_subrev_u32_e32 v3, 28, v0
	v_lshlrev_b64 v[2:3], v3, v[1:2]
	v_sub_u32_e32 v0, 29, v0
	v_and_b32_e32 v2, 7, v2
	v_cndmask_b32_e32 v0, v5, v0, vcc
	v_bfrev_b32_e32 v3, 60
	v_cndmask_b32_e32 v1, v1, v2, vcc
	v_lshlrev_b32_e32 v2, 16, v4
	v_lshl_add_u32 v0, v0, 23, v3
	v_and_or_b32 v0, v2, s41, v0
	v_lshlrev_b32_e32 v1, 20, v1
	v_or_b32_e32 v1, v0, v1
	v_mov_b32_e32 v0, v22
	buffer_store_dword v0, off, s[0:3], s32 offset:940 ; 4-byte Folded Spill
	s_nop 0
	buffer_store_dword v1, off, s[0:3], s32 offset:944 ; 4-byte Folded Spill
.LBB216_643:                            ;   in Loop: Header=BB216_9 Depth=1
	s_or_b64 exec, exec, s[28:29]
.LBB216_644:                            ;   in Loop: Header=BB216_9 Depth=1
	s_or_b64 exec, exec, s[26:27]
.LBB216_645:                            ;   in Loop: Header=BB216_9 Depth=1
	s_or_b64 exec, exec, s[24:25]
	buffer_load_dword v0, off, s[0:3], s32 offset:80 ; 4-byte Folded Reload
	v_mov_b32_e32 v6, 0
	v_mov_b32_e32 v4, 0
	;; [unrolled: 1-line block ×4, first 2 shown]
	s_waitcnt vmcnt(0)
	v_add_co_u32_e32 v0, vcc, v10, v0
	v_addc_co_u32_e32 v1, vcc, 0, v12, vcc
	flat_load_ushort v0, v[0:1]
	s_waitcnt vmcnt(0) lgkmcnt(0)
	v_and_b32_e32 v8, 0xffff, v0
	v_cmp_ne_u16_sdwa s[26:27], v0, v22 src0_sel:BYTE_0 src1_sel:DWORD
	s_and_saveexec_b64 s[24:25], s[26:27]
	s_cbranch_execz .LBB216_651
; %bb.646:                              ;   in Loop: Header=BB216_9 Depth=1
	v_bfrev_b32_e32 v4, 1
	v_mov_b32_e32 v5, 0
	v_cmp_ne_u16_sdwa s[28:29], v8, s19 src0_sel:BYTE_0 src1_sel:DWORD
	s_and_saveexec_b64 s[26:27], s[28:29]
	s_cbranch_execz .LBB216_650
; %bb.647:                              ;   in Loop: Header=BB216_9 Depth=1
	v_and_b32_e32 v0, 0x7f, v8
	v_mov_b32_e32 v4, 0x7f800001
	v_mov_b32_e32 v5, 0
	v_cmp_ne_u32_e32 vcc, s40, v0
	s_and_saveexec_b64 s[28:29], vcc
	s_cbranch_execz .LBB216_649
; %bb.648:                              ;   in Loop: Header=BB216_9 Depth=1
	v_and_b32_e32 v2, 7, v8
	v_lshrrev_b32_e32 v3, 3, v0
	v_cmp_gt_u32_e32 vcc, 8, v0
	v_ffbh_u32_e32 v0, v2
	v_min_u32_e32 v4, 32, v0
	v_subrev_u32_e32 v0, 28, v4
	v_lshlrev_b64 v[0:1], v0, v[8:9]
	v_sub_u32_e32 v1, 29, v4
	v_and_b32_e32 v0, 7, v0
	v_cndmask_b32_e32 v1, v3, v1, vcc
	v_cndmask_b32_e32 v0, v2, v0, vcc
	v_bfrev_b32_e32 v3, 60
	v_lshlrev_b32_e32 v0, 20, v0
	v_and_b32_sdwa v2, sext(v8), s41 dst_sel:DWORD dst_unused:UNUSED_PAD src0_sel:BYTE_0 src1_sel:DWORD
	v_lshl_add_u32 v1, v1, 23, v3
	v_or3_b32 v4, v2, v1, v0
	v_mov_b32_e32 v5, v22
.LBB216_649:                            ;   in Loop: Header=BB216_9 Depth=1
	s_or_b64 exec, exec, s[28:29]
.LBB216_650:                            ;   in Loop: Header=BB216_9 Depth=1
	s_or_b64 exec, exec, s[26:27]
.LBB216_651:                            ;   in Loop: Header=BB216_9 Depth=1
	s_or_b64 exec, exec, s[24:25]
	v_cmp_ne_u16_sdwa s[26:27], v8, v22 src0_sel:BYTE_1 src1_sel:DWORD
	s_and_saveexec_b64 s[24:25], s[26:27]
	s_cbranch_execz .LBB216_657
; %bb.652:                              ;   in Loop: Header=BB216_9 Depth=1
	v_mov_b32_e32 v6, v22
	v_cmp_ne_u16_sdwa s[28:29], v8, s19 src0_sel:BYTE_1 src1_sel:DWORD
	v_mov_b32_e32 v7, v23
	s_and_saveexec_b64 s[26:27], s[28:29]
	s_cbranch_execz .LBB216_656
; %bb.653:                              ;   in Loop: Header=BB216_9 Depth=1
	buffer_load_dword v6, off, s[0:3], s32 offset:64 ; 4-byte Folded Reload
	buffer_load_dword v7, off, s[0:3], s32 offset:68 ; 4-byte Folded Reload
	v_and_b32_sdwa v0, v8, s40 dst_sel:DWORD dst_unused:UNUSED_PAD src0_sel:BYTE_1 src1_sel:DWORD
	v_cmp_ne_u32_e32 vcc, s40, v0
	s_waitcnt vmcnt(1)
	v_mov_b32_e32 v6, v22
	s_waitcnt vmcnt(0)
	v_mov_b32_e32 v1, v7
	buffer_store_dword v0, off, s[0:3], s32 offset:64 ; 4-byte Folded Spill
	s_nop 0
	buffer_store_dword v1, off, s[0:3], s32 offset:68 ; 4-byte Folded Spill
	s_and_saveexec_b64 s[28:29], vcc
	s_cbranch_execz .LBB216_655
; %bb.654:                              ;   in Loop: Header=BB216_9 Depth=1
	v_mov_b32_e32 v1, 7
	v_and_b32_sdwa v1, v8, v1 dst_sel:DWORD dst_unused:UNUSED_PAD src0_sel:BYTE_1 src1_sel:DWORD
	v_lshrrev_b32_e32 v6, 3, v0
	v_cmp_gt_u32_e32 vcc, 8, v0
	v_ffbh_u32_e32 v0, v1
	v_min_u32_e32 v0, 32, v0
	v_mov_b32_e32 v2, v22
	v_subrev_u32_e32 v3, 28, v0
	v_lshlrev_b64 v[2:3], v3, v[1:2]
	v_sub_u32_e32 v0, 29, v0
	v_and_b32_e32 v2, 7, v2
	v_cndmask_b32_e32 v0, v6, v0, vcc
	v_bfrev_b32_e32 v3, 60
	v_cndmask_b32_e32 v1, v1, v2, vcc
	v_lshlrev_b32_e32 v2, 16, v8
	v_lshl_add_u32 v0, v0, 23, v3
	v_and_or_b32 v0, v2, s41, v0
	v_lshlrev_b32_e32 v1, 20, v1
	v_or_b32_e32 v7, v0, v1
	v_mov_b32_e32 v6, v22
.LBB216_655:                            ;   in Loop: Header=BB216_9 Depth=1
	s_or_b64 exec, exec, s[28:29]
.LBB216_656:                            ;   in Loop: Header=BB216_9 Depth=1
	s_or_b64 exec, exec, s[26:27]
.LBB216_657:                            ;   in Loop: Header=BB216_9 Depth=1
	s_or_b64 exec, exec, s[24:25]
	buffer_load_dword v0, off, s[0:3], s32 offset:84 ; 4-byte Folded Reload
	v_mov_b32_e32 v32, 0
	v_mov_b32_e32 v34, 0
	v_mov_b32_e32 v33, 0
	v_mov_b32_e32 v35, 0
	s_waitcnt vmcnt(0)
	v_add_co_u32_e32 v0, vcc, v10, v0
	v_addc_co_u32_e32 v1, vcc, 0, v12, vcc
	flat_load_ushort v0, v[0:1]
	s_waitcnt vmcnt(0) lgkmcnt(0)
	v_and_b32_e32 v8, 0xffff, v0
	v_cmp_ne_u16_sdwa s[26:27], v0, v22 src0_sel:BYTE_0 src1_sel:DWORD
	s_and_saveexec_b64 s[24:25], s[26:27]
	s_cbranch_execz .LBB216_663
; %bb.658:                              ;   in Loop: Header=BB216_9 Depth=1
	v_bfrev_b32_e32 v34, 1
	v_mov_b32_e32 v35, 0
	v_cmp_ne_u16_sdwa s[28:29], v8, s19 src0_sel:BYTE_0 src1_sel:DWORD
	s_and_saveexec_b64 s[26:27], s[28:29]
	s_cbranch_execz .LBB216_662
; %bb.659:                              ;   in Loop: Header=BB216_9 Depth=1
	v_and_b32_e32 v0, 0x7f, v8
	v_mov_b32_e32 v34, 0x7f800001
	v_mov_b32_e32 v35, 0
	v_cmp_ne_u32_e32 vcc, s40, v0
	s_and_saveexec_b64 s[28:29], vcc
	s_cbranch_execz .LBB216_661
; %bb.660:                              ;   in Loop: Header=BB216_9 Depth=1
	v_and_b32_e32 v2, 7, v8
	v_lshrrev_b32_e32 v3, 3, v0
	v_cmp_gt_u32_e32 vcc, 8, v0
	v_ffbh_u32_e32 v0, v2
	v_min_u32_e32 v11, 32, v0
	v_subrev_u32_e32 v0, 28, v11
	v_lshlrev_b64 v[0:1], v0, v[8:9]
	v_sub_u32_e32 v1, 29, v11
	v_and_b32_e32 v0, 7, v0
	v_cndmask_b32_e32 v1, v3, v1, vcc
	v_cndmask_b32_e32 v0, v2, v0, vcc
	v_bfrev_b32_e32 v3, 60
	v_lshlrev_b32_e32 v0, 20, v0
	v_and_b32_sdwa v2, sext(v8), s41 dst_sel:DWORD dst_unused:UNUSED_PAD src0_sel:BYTE_0 src1_sel:DWORD
	v_lshl_add_u32 v1, v1, 23, v3
	v_or3_b32 v34, v2, v1, v0
	v_mov_b32_e32 v35, v22
.LBB216_661:                            ;   in Loop: Header=BB216_9 Depth=1
	s_or_b64 exec, exec, s[28:29]
.LBB216_662:                            ;   in Loop: Header=BB216_9 Depth=1
	s_or_b64 exec, exec, s[26:27]
.LBB216_663:                            ;   in Loop: Header=BB216_9 Depth=1
	s_or_b64 exec, exec, s[24:25]
	v_cmp_ne_u16_sdwa s[26:27], v8, v22 src0_sel:BYTE_1 src1_sel:DWORD
	s_and_saveexec_b64 s[24:25], s[26:27]
	s_cbranch_execz .LBB216_669
; %bb.664:                              ;   in Loop: Header=BB216_9 Depth=1
	v_mov_b32_e32 v33, v23
	v_cmp_ne_u16_sdwa s[28:29], v8, s19 src0_sel:BYTE_1 src1_sel:DWORD
	v_mov_b32_e32 v32, v22
	s_and_saveexec_b64 s[26:27], s[28:29]
	s_cbranch_execz .LBB216_668
; %bb.665:                              ;   in Loop: Header=BB216_9 Depth=1
	buffer_load_dword v32, off, s[0:3], s32 offset:64 ; 4-byte Folded Reload
	buffer_load_dword v33, off, s[0:3], s32 offset:68 ; 4-byte Folded Reload
	v_and_b32_sdwa v0, v8, s40 dst_sel:DWORD dst_unused:UNUSED_PAD src0_sel:BYTE_1 src1_sel:DWORD
	v_cmp_ne_u32_e32 vcc, s40, v0
	s_waitcnt vmcnt(1)
	v_mov_b32_e32 v32, v22
	s_waitcnt vmcnt(0)
	v_mov_b32_e32 v1, v33
	buffer_store_dword v0, off, s[0:3], s32 offset:64 ; 4-byte Folded Spill
	s_nop 0
	buffer_store_dword v1, off, s[0:3], s32 offset:68 ; 4-byte Folded Spill
	s_and_saveexec_b64 s[28:29], vcc
	s_cbranch_execz .LBB216_667
; %bb.666:                              ;   in Loop: Header=BB216_9 Depth=1
	v_mov_b32_e32 v1, 7
	v_and_b32_sdwa v1, v8, v1 dst_sel:DWORD dst_unused:UNUSED_PAD src0_sel:BYTE_1 src1_sel:DWORD
	v_lshrrev_b32_e32 v11, 3, v0
	v_cmp_gt_u32_e32 vcc, 8, v0
	v_ffbh_u32_e32 v0, v1
	v_min_u32_e32 v0, 32, v0
	v_mov_b32_e32 v2, v22
	v_subrev_u32_e32 v3, 28, v0
	v_lshlrev_b64 v[2:3], v3, v[1:2]
	v_sub_u32_e32 v0, 29, v0
	v_and_b32_e32 v2, 7, v2
	v_cndmask_b32_e32 v0, v11, v0, vcc
	v_bfrev_b32_e32 v3, 60
	v_cndmask_b32_e32 v1, v1, v2, vcc
	v_lshlrev_b32_e32 v2, 16, v8
	v_lshl_add_u32 v0, v0, 23, v3
	v_and_or_b32 v0, v2, s41, v0
	v_lshlrev_b32_e32 v1, 20, v1
	v_or_b32_e32 v33, v0, v1
	v_mov_b32_e32 v32, v22
.LBB216_667:                            ;   in Loop: Header=BB216_9 Depth=1
	s_or_b64 exec, exec, s[28:29]
.LBB216_668:                            ;   in Loop: Header=BB216_9 Depth=1
	s_or_b64 exec, exec, s[26:27]
.LBB216_669:                            ;   in Loop: Header=BB216_9 Depth=1
	s_or_b64 exec, exec, s[24:25]
	buffer_load_dword v0, off, s[0:3], s32 offset:88 ; 4-byte Folded Reload
	v_mov_b32_e32 v38, 0
	v_mov_b32_e32 v59, 0
	v_mov_b32_e32 v39, 0
	v_mov_b32_e32 v60, 0
	s_waitcnt vmcnt(0)
	v_add_co_u32_e32 v0, vcc, v10, v0
	v_addc_co_u32_e32 v1, vcc, 0, v12, vcc
	flat_load_ushort v0, v[0:1]
	s_waitcnt vmcnt(0) lgkmcnt(0)
	v_and_b32_e32 v12, 0xffff, v0
	v_cmp_ne_u16_sdwa s[26:27], v0, v22 src0_sel:BYTE_0 src1_sel:DWORD
	s_and_saveexec_b64 s[24:25], s[26:27]
	s_cbranch_execz .LBB216_675
; %bb.670:                              ;   in Loop: Header=BB216_9 Depth=1
	v_bfrev_b32_e32 v59, 1
	v_mov_b32_e32 v60, 0
	v_cmp_ne_u16_sdwa s[28:29], v12, s19 src0_sel:BYTE_0 src1_sel:DWORD
	s_and_saveexec_b64 s[26:27], s[28:29]
	s_cbranch_execz .LBB216_674
; %bb.671:                              ;   in Loop: Header=BB216_9 Depth=1
	v_and_b32_e32 v0, 0x7f, v12
	v_mov_b32_e32 v59, 0x7f800001
	v_mov_b32_e32 v60, 0
	v_cmp_ne_u32_e32 vcc, s40, v0
	s_and_saveexec_b64 s[28:29], vcc
	s_cbranch_execz .LBB216_673
; %bb.672:                              ;   in Loop: Header=BB216_9 Depth=1
	v_and_b32_e32 v2, 7, v12
	v_lshrrev_b32_e32 v3, 3, v0
	v_cmp_gt_u32_e32 vcc, 8, v0
	v_ffbh_u32_e32 v0, v2
	v_min_u32_e32 v8, 32, v0
	v_subrev_u32_e32 v0, 28, v8
	v_lshlrev_b64 v[0:1], v0, v[12:13]
	v_sub_u32_e32 v1, 29, v8
	v_and_b32_e32 v0, 7, v0
	v_cndmask_b32_e32 v1, v3, v1, vcc
	v_cndmask_b32_e32 v0, v2, v0, vcc
	v_bfrev_b32_e32 v3, 60
	v_lshlrev_b32_e32 v0, 20, v0
	v_and_b32_sdwa v2, sext(v12), s41 dst_sel:DWORD dst_unused:UNUSED_PAD src0_sel:BYTE_0 src1_sel:DWORD
	v_lshl_add_u32 v1, v1, 23, v3
	v_or3_b32 v59, v2, v1, v0
	v_mov_b32_e32 v60, v22
.LBB216_673:                            ;   in Loop: Header=BB216_9 Depth=1
	s_or_b64 exec, exec, s[28:29]
.LBB216_674:                            ;   in Loop: Header=BB216_9 Depth=1
	s_or_b64 exec, exec, s[26:27]
.LBB216_675:                            ;   in Loop: Header=BB216_9 Depth=1
	s_or_b64 exec, exec, s[24:25]
	v_cmp_ne_u16_sdwa s[26:27], v12, v22 src0_sel:BYTE_1 src1_sel:DWORD
	s_and_saveexec_b64 s[24:25], s[26:27]
	s_cbranch_execz .LBB216_681
; %bb.676:                              ;   in Loop: Header=BB216_9 Depth=1
	v_mov_b32_e32 v39, v23
	v_cmp_ne_u16_sdwa s[28:29], v12, s19 src0_sel:BYTE_1 src1_sel:DWORD
	v_mov_b32_e32 v38, v22
	s_and_saveexec_b64 s[26:27], s[28:29]
	s_cbranch_execz .LBB216_680
; %bb.677:                              ;   in Loop: Header=BB216_9 Depth=1
	buffer_load_dword v38, off, s[0:3], s32 offset:64 ; 4-byte Folded Reload
	buffer_load_dword v39, off, s[0:3], s32 offset:68 ; 4-byte Folded Reload
	v_and_b32_sdwa v0, v12, s40 dst_sel:DWORD dst_unused:UNUSED_PAD src0_sel:BYTE_1 src1_sel:DWORD
	v_cmp_ne_u32_e32 vcc, s40, v0
	s_waitcnt vmcnt(1)
	v_mov_b32_e32 v38, v22
	s_waitcnt vmcnt(0)
	v_mov_b32_e32 v1, v39
	buffer_store_dword v0, off, s[0:3], s32 offset:64 ; 4-byte Folded Spill
	s_nop 0
	buffer_store_dword v1, off, s[0:3], s32 offset:68 ; 4-byte Folded Spill
	s_and_saveexec_b64 s[28:29], vcc
	s_cbranch_execz .LBB216_679
; %bb.678:                              ;   in Loop: Header=BB216_9 Depth=1
	v_mov_b32_e32 v1, 7
	v_and_b32_sdwa v1, v12, v1 dst_sel:DWORD dst_unused:UNUSED_PAD src0_sel:BYTE_1 src1_sel:DWORD
	v_lshrrev_b32_e32 v11, 3, v0
	v_cmp_gt_u32_e32 vcc, 8, v0
	v_ffbh_u32_e32 v0, v1
	v_min_u32_e32 v0, 32, v0
	v_mov_b32_e32 v2, v22
	v_subrev_u32_e32 v3, 28, v0
	v_lshlrev_b64 v[2:3], v3, v[1:2]
	v_sub_u32_e32 v0, 29, v0
	v_and_b32_e32 v2, 7, v2
	v_cndmask_b32_e32 v0, v11, v0, vcc
	v_bfrev_b32_e32 v3, 60
	v_cndmask_b32_e32 v1, v1, v2, vcc
	v_lshlrev_b32_e32 v2, 16, v12
	v_lshl_add_u32 v0, v0, 23, v3
	v_and_or_b32 v0, v2, s41, v0
	v_lshlrev_b32_e32 v1, 20, v1
	v_or_b32_e32 v39, v0, v1
	v_mov_b32_e32 v38, v22
.LBB216_679:                            ;   in Loop: Header=BB216_9 Depth=1
	s_or_b64 exec, exec, s[28:29]
.LBB216_680:                            ;   in Loop: Header=BB216_9 Depth=1
	s_or_b64 exec, exec, s[26:27]
.LBB216_681:                            ;   in Loop: Header=BB216_9 Depth=1
	s_or_b64 exec, exec, s[24:25]
	buffer_load_dword v0, off, s[0:3], s32 offset:76 ; 4-byte Folded Reload
	v_add_co_u32_e32 v25, vcc, 0x1c00, v49
	v_addc_co_u32_e32 v36, vcc, 0, v50, vcc
	v_mov_b32_e32 v26, 0
	v_mov_b32_e32 v27, 0
	s_waitcnt vmcnt(0)
	v_add_co_u32_e32 v0, vcc, v25, v0
	v_addc_co_u32_e32 v1, vcc, 0, v36, vcc
	flat_load_ushort v0, v[0:1]
	s_waitcnt vmcnt(0) lgkmcnt(0)
	v_and_b32_e32 v12, 0xffff, v0
	v_cmp_ne_u16_sdwa s[26:27], v0, v22 src0_sel:BYTE_0 src1_sel:DWORD
	v_mov_b32_e32 v0, 0
	v_mov_b32_e32 v1, 0
	s_and_saveexec_b64 s[24:25], s[26:27]
	s_cbranch_execz .LBB216_687
; %bb.682:                              ;   in Loop: Header=BB216_9 Depth=1
	v_bfrev_b32_e32 v0, 1
	v_mov_b32_e32 v1, 0
	v_cmp_ne_u16_sdwa s[28:29], v12, s19 src0_sel:BYTE_0 src1_sel:DWORD
	s_and_saveexec_b64 s[26:27], s[28:29]
	s_cbranch_execz .LBB216_686
; %bb.683:                              ;   in Loop: Header=BB216_9 Depth=1
	v_and_b32_e32 v2, 0x7f, v12
	v_mov_b32_e32 v0, 0x7f800001
	v_mov_b32_e32 v1, 0
	v_cmp_ne_u32_e32 vcc, s40, v2
	s_and_saveexec_b64 s[28:29], vcc
	s_cbranch_execz .LBB216_685
; %bb.684:                              ;   in Loop: Header=BB216_9 Depth=1
	v_and_b32_e32 v3, 7, v12
	v_ffbh_u32_e32 v0, v3
	v_lshrrev_b32_e32 v13, 3, v2
	v_cmp_gt_u32_e32 vcc, 8, v2
	v_min_u32_e32 v2, 32, v0
	v_subrev_u32_e32 v0, 28, v2
	v_lshlrev_b64 v[0:1], v0, v[12:13]
	v_sub_u32_e32 v1, 29, v2
	v_and_b32_e32 v0, 7, v0
	v_cndmask_b32_e32 v1, v13, v1, vcc
	v_cndmask_b32_e32 v0, v3, v0, vcc
	v_bfrev_b32_e32 v3, 60
	v_lshlrev_b32_e32 v0, 20, v0
	v_and_b32_sdwa v2, sext(v12), s41 dst_sel:DWORD dst_unused:UNUSED_PAD src0_sel:BYTE_0 src1_sel:DWORD
	v_lshl_add_u32 v1, v1, 23, v3
	v_or3_b32 v0, v2, v1, v0
	v_mov_b32_e32 v1, v22
.LBB216_685:                            ;   in Loop: Header=BB216_9 Depth=1
	s_or_b64 exec, exec, s[28:29]
.LBB216_686:                            ;   in Loop: Header=BB216_9 Depth=1
	s_or_b64 exec, exec, s[26:27]
.LBB216_687:                            ;   in Loop: Header=BB216_9 Depth=1
	s_or_b64 exec, exec, s[24:25]
	v_cmp_ne_u16_sdwa s[26:27], v12, v22 src0_sel:BYTE_1 src1_sel:DWORD
	s_and_saveexec_b64 s[24:25], s[26:27]
	s_cbranch_execz .LBB216_693
; %bb.688:                              ;   in Loop: Header=BB216_9 Depth=1
	v_mov_b32_e32 v27, v23
	v_cmp_ne_u16_sdwa s[28:29], v12, s19 src0_sel:BYTE_1 src1_sel:DWORD
	v_mov_b32_e32 v26, v22
	s_and_saveexec_b64 s[26:27], s[28:29]
	s_cbranch_execz .LBB216_692
; %bb.689:                              ;   in Loop: Header=BB216_9 Depth=1
	buffer_load_dword v26, off, s[0:3], s32 offset:64 ; 4-byte Folded Reload
	buffer_load_dword v27, off, s[0:3], s32 offset:68 ; 4-byte Folded Reload
	v_and_b32_sdwa v2, v12, s40 dst_sel:DWORD dst_unused:UNUSED_PAD src0_sel:BYTE_1 src1_sel:DWORD
	v_cmp_ne_u32_e32 vcc, s40, v2
	s_waitcnt vmcnt(1)
	v_mov_b32_e32 v26, v22
	s_waitcnt vmcnt(0)
	v_mov_b32_e32 v3, v27
	buffer_store_dword v2, off, s[0:3], s32 offset:64 ; 4-byte Folded Spill
	s_nop 0
	buffer_store_dword v3, off, s[0:3], s32 offset:68 ; 4-byte Folded Spill
	s_and_saveexec_b64 s[28:29], vcc
	s_cbranch_execz .LBB216_691
; %bb.690:                              ;   in Loop: Header=BB216_9 Depth=1
	v_mov_b32_e32 v3, 7
	v_and_b32_sdwa v13, v12, v3 dst_sel:DWORD dst_unused:UNUSED_PAD src0_sel:BYTE_1 src1_sel:DWORD
	v_lshrrev_b32_e32 v15, 3, v2
	v_cmp_gt_u32_e32 vcc, 8, v2
	v_ffbh_u32_e32 v2, v13
	v_min_u32_e32 v16, 32, v2
	v_mov_b32_e32 v14, v22
	v_subrev_u32_e32 v2, 28, v16
	v_lshlrev_b64 v[2:3], v2, v[13:14]
	v_sub_u32_e32 v3, 29, v16
	v_and_b32_e32 v2, 7, v2
	v_cndmask_b32_e32 v3, v15, v3, vcc
	v_bfrev_b32_e32 v8, 60
	v_cndmask_b32_e32 v2, v13, v2, vcc
	v_lshlrev_b32_e32 v12, 16, v12
	v_lshl_add_u32 v3, v3, 23, v8
	v_and_or_b32 v3, v12, s41, v3
	v_lshlrev_b32_e32 v2, 20, v2
	v_or_b32_e32 v27, v3, v2
	v_mov_b32_e32 v26, v22
.LBB216_691:                            ;   in Loop: Header=BB216_9 Depth=1
	s_or_b64 exec, exec, s[28:29]
.LBB216_692:                            ;   in Loop: Header=BB216_9 Depth=1
	s_or_b64 exec, exec, s[26:27]
.LBB216_693:                            ;   in Loop: Header=BB216_9 Depth=1
	s_or_b64 exec, exec, s[24:25]
	buffer_load_dword v2, off, s[0:3], s32 offset:80 ; 4-byte Folded Reload
	v_mov_b32_e32 v29, 0
	v_mov_b32_e32 v17, 0
	;; [unrolled: 1-line block ×4, first 2 shown]
	s_waitcnt vmcnt(0)
	v_add_co_u32_e32 v2, vcc, v25, v2
	v_addc_co_u32_e32 v3, vcc, 0, v36, vcc
	flat_load_ushort v2, v[2:3]
	s_waitcnt vmcnt(0) lgkmcnt(0)
	v_and_b32_e32 v24, 0xffff, v2
	v_cmp_ne_u16_sdwa s[26:27], v2, v22 src0_sel:BYTE_0 src1_sel:DWORD
	s_and_saveexec_b64 s[24:25], s[26:27]
	s_cbranch_execz .LBB216_699
; %bb.694:                              ;   in Loop: Header=BB216_9 Depth=1
	v_bfrev_b32_e32 v17, 1
	v_mov_b32_e32 v18, 0
	v_cmp_ne_u16_sdwa s[28:29], v24, s19 src0_sel:BYTE_0 src1_sel:DWORD
	s_and_saveexec_b64 s[26:27], s[28:29]
	s_cbranch_execz .LBB216_698
; %bb.695:                              ;   in Loop: Header=BB216_9 Depth=1
	v_and_b32_e32 v2, 0x7f, v24
	v_mov_b32_e32 v17, 0x7f800001
	v_mov_b32_e32 v18, 0
	v_cmp_ne_u32_e32 vcc, s40, v2
	s_and_saveexec_b64 s[28:29], vcc
	s_cbranch_execz .LBB216_697
; %bb.696:                              ;   in Loop: Header=BB216_9 Depth=1
	v_and_b32_e32 v12, 7, v24
	v_lshrrev_b32_e32 v13, 3, v2
	v_cmp_gt_u32_e32 vcc, 8, v2
	v_ffbh_u32_e32 v2, v12
	v_min_u32_e32 v14, 32, v2
	v_subrev_u32_e32 v2, 28, v14
	v_lshlrev_b64 v[2:3], v2, v[24:25]
	v_sub_u32_e32 v3, 29, v14
	v_and_b32_e32 v2, 7, v2
	v_cndmask_b32_e32 v3, v13, v3, vcc
	v_cndmask_b32_e32 v2, v12, v2, vcc
	v_bfrev_b32_e32 v8, 60
	v_lshlrev_b32_e32 v2, 20, v2
	v_and_b32_sdwa v12, sext(v24), s41 dst_sel:DWORD dst_unused:UNUSED_PAD src0_sel:BYTE_0 src1_sel:DWORD
	v_lshl_add_u32 v3, v3, 23, v8
	v_or3_b32 v17, v12, v3, v2
	v_mov_b32_e32 v18, v22
.LBB216_697:                            ;   in Loop: Header=BB216_9 Depth=1
	s_or_b64 exec, exec, s[28:29]
.LBB216_698:                            ;   in Loop: Header=BB216_9 Depth=1
	s_or_b64 exec, exec, s[26:27]
.LBB216_699:                            ;   in Loop: Header=BB216_9 Depth=1
	s_or_b64 exec, exec, s[24:25]
	v_cmp_ne_u16_sdwa s[26:27], v24, v22 src0_sel:BYTE_1 src1_sel:DWORD
	s_and_saveexec_b64 s[24:25], s[26:27]
	s_cbranch_execz .LBB216_705
; %bb.700:                              ;   in Loop: Header=BB216_9 Depth=1
	v_mov_b32_e32 v30, v23
	v_cmp_ne_u16_sdwa s[28:29], v24, s19 src0_sel:BYTE_1 src1_sel:DWORD
	v_mov_b32_e32 v29, v22
	s_and_saveexec_b64 s[26:27], s[28:29]
	s_cbranch_execz .LBB216_704
; %bb.701:                              ;   in Loop: Header=BB216_9 Depth=1
	buffer_load_dword v29, off, s[0:3], s32 offset:64 ; 4-byte Folded Reload
	buffer_load_dword v30, off, s[0:3], s32 offset:68 ; 4-byte Folded Reload
	v_and_b32_sdwa v2, v24, s40 dst_sel:DWORD dst_unused:UNUSED_PAD src0_sel:BYTE_1 src1_sel:DWORD
	v_cmp_ne_u32_e32 vcc, s40, v2
	s_waitcnt vmcnt(1)
	v_mov_b32_e32 v29, v22
	s_waitcnt vmcnt(0)
	v_mov_b32_e32 v3, v30
	buffer_store_dword v2, off, s[0:3], s32 offset:64 ; 4-byte Folded Spill
	s_nop 0
	buffer_store_dword v3, off, s[0:3], s32 offset:68 ; 4-byte Folded Spill
	s_and_saveexec_b64 s[28:29], vcc
	s_cbranch_execz .LBB216_703
; %bb.702:                              ;   in Loop: Header=BB216_9 Depth=1
	v_mov_b32_e32 v3, 7
	v_and_b32_sdwa v12, v24, v3 dst_sel:DWORD dst_unused:UNUSED_PAD src0_sel:BYTE_1 src1_sel:DWORD
	v_lshrrev_b32_e32 v14, 3, v2
	v_cmp_gt_u32_e32 vcc, 8, v2
	v_ffbh_u32_e32 v2, v12
	v_min_u32_e32 v15, 32, v2
	v_mov_b32_e32 v13, v22
	v_subrev_u32_e32 v2, 28, v15
	v_lshlrev_b64 v[2:3], v2, v[12:13]
	v_sub_u32_e32 v3, 29, v15
	v_and_b32_e32 v2, 7, v2
	v_cndmask_b32_e32 v3, v14, v3, vcc
	v_bfrev_b32_e32 v8, 60
	v_cndmask_b32_e32 v2, v12, v2, vcc
	v_lshlrev_b32_e32 v12, 16, v24
	v_lshl_add_u32 v3, v3, 23, v8
	v_and_or_b32 v3, v12, s41, v3
	v_lshlrev_b32_e32 v2, 20, v2
	v_or_b32_e32 v30, v3, v2
	v_mov_b32_e32 v29, v22
.LBB216_703:                            ;   in Loop: Header=BB216_9 Depth=1
	s_or_b64 exec, exec, s[28:29]
.LBB216_704:                            ;   in Loop: Header=BB216_9 Depth=1
	s_or_b64 exec, exec, s[26:27]
.LBB216_705:                            ;   in Loop: Header=BB216_9 Depth=1
	s_or_b64 exec, exec, s[24:25]
	buffer_load_dword v2, off, s[0:3], s32 offset:84 ; 4-byte Folded Reload
	v_mov_b32_e32 v51, 0
	v_mov_b32_e32 v52, 0
	s_waitcnt vmcnt(0)
	v_add_co_u32_e32 v2, vcc, v25, v2
	v_addc_co_u32_e32 v3, vcc, 0, v36, vcc
	flat_load_ushort v2, v[2:3]
	s_waitcnt vmcnt(0) lgkmcnt(0)
	v_and_b32_e32 v24, 0xffff, v2
	v_cmp_ne_u16_sdwa s[26:27], v2, v22 src0_sel:BYTE_0 src1_sel:DWORD
	v_mov_b32_e32 v2, 0
	v_mov_b32_e32 v3, 0
	s_and_saveexec_b64 s[24:25], s[26:27]
	s_cbranch_execz .LBB216_711
; %bb.706:                              ;   in Loop: Header=BB216_9 Depth=1
	v_bfrev_b32_e32 v51, 1
	v_mov_b32_e32 v52, 0
	v_cmp_ne_u16_sdwa s[28:29], v24, s19 src0_sel:BYTE_0 src1_sel:DWORD
	s_and_saveexec_b64 s[26:27], s[28:29]
	s_cbranch_execz .LBB216_710
; %bb.707:                              ;   in Loop: Header=BB216_9 Depth=1
	v_and_b32_e32 v12, 0x7f, v24
	v_mov_b32_e32 v51, 0x7f800001
	v_mov_b32_e32 v52, 0
	v_cmp_ne_u32_e32 vcc, s40, v12
	s_and_saveexec_b64 s[28:29], vcc
	s_cbranch_execz .LBB216_709
; %bb.708:                              ;   in Loop: Header=BB216_9 Depth=1
	v_and_b32_e32 v14, 7, v24
	v_lshrrev_b32_e32 v15, 3, v12
	v_cmp_gt_u32_e32 vcc, 8, v12
	v_ffbh_u32_e32 v12, v14
	v_min_u32_e32 v16, 32, v12
	v_subrev_u32_e32 v12, 28, v16
	v_lshlrev_b64 v[12:13], v12, v[24:25]
	v_sub_u32_e32 v13, 29, v16
	v_and_b32_e32 v12, 7, v12
	v_cndmask_b32_e32 v13, v15, v13, vcc
	v_cndmask_b32_e32 v12, v14, v12, vcc
	v_bfrev_b32_e32 v8, 60
	v_lshlrev_b32_e32 v12, 20, v12
	v_and_b32_sdwa v14, sext(v24), s41 dst_sel:DWORD dst_unused:UNUSED_PAD src0_sel:BYTE_0 src1_sel:DWORD
	v_lshl_add_u32 v13, v13, 23, v8
	v_or3_b32 v51, v14, v13, v12
	v_mov_b32_e32 v52, v22
.LBB216_709:                            ;   in Loop: Header=BB216_9 Depth=1
	s_or_b64 exec, exec, s[28:29]
.LBB216_710:                            ;   in Loop: Header=BB216_9 Depth=1
	s_or_b64 exec, exec, s[26:27]
.LBB216_711:                            ;   in Loop: Header=BB216_9 Depth=1
	s_or_b64 exec, exec, s[24:25]
	v_cmp_ne_u16_sdwa s[26:27], v24, v22 src0_sel:BYTE_1 src1_sel:DWORD
	s_and_saveexec_b64 s[24:25], s[26:27]
	s_cbranch_execz .LBB216_717
; %bb.712:                              ;   in Loop: Header=BB216_9 Depth=1
	v_mov_b32_e32 v2, v22
	v_cmp_ne_u16_sdwa s[28:29], v24, s19 src0_sel:BYTE_1 src1_sel:DWORD
	v_mov_b32_e32 v3, v23
	s_and_saveexec_b64 s[26:27], s[28:29]
	s_cbranch_execz .LBB216_716
; %bb.713:                              ;   in Loop: Header=BB216_9 Depth=1
	buffer_load_dword v2, off, s[0:3], s32 offset:64 ; 4-byte Folded Reload
	buffer_load_dword v3, off, s[0:3], s32 offset:68 ; 4-byte Folded Reload
	v_and_b32_sdwa v12, v24, s40 dst_sel:DWORD dst_unused:UNUSED_PAD src0_sel:BYTE_1 src1_sel:DWORD
	v_cmp_ne_u32_e32 vcc, s40, v12
	s_waitcnt vmcnt(1)
	v_mov_b32_e32 v2, v22
	s_waitcnt vmcnt(0)
	v_mov_b32_e32 v8, v3
	buffer_store_dword v7, off, s[0:3], s32 offset:64 ; 4-byte Folded Spill
	s_nop 0
	buffer_store_dword v8, off, s[0:3], s32 offset:68 ; 4-byte Folded Spill
	s_and_saveexec_b64 s[28:29], vcc
	s_cbranch_execz .LBB216_715
; %bb.714:                              ;   in Loop: Header=BB216_9 Depth=1
	v_mov_b32_e32 v2, 7
	v_and_b32_sdwa v2, v24, v2 dst_sel:DWORD dst_unused:UNUSED_PAD src0_sel:BYTE_1 src1_sel:DWORD
	v_lshrrev_b32_e32 v14, 3, v12
	v_cmp_gt_u32_e32 vcc, 8, v12
	v_ffbh_u32_e32 v12, v2
	v_min_u32_e32 v15, 32, v12
	v_mov_b32_e32 v3, v22
	v_subrev_u32_e32 v12, 28, v15
	v_lshlrev_b64 v[12:13], v12, v[2:3]
	v_sub_u32_e32 v3, 29, v15
	v_and_b32_e32 v12, 7, v12
	v_cndmask_b32_e32 v3, v14, v3, vcc
	v_bfrev_b32_e32 v8, 60
	v_cndmask_b32_e32 v2, v2, v12, vcc
	v_lshlrev_b32_e32 v12, 16, v24
	v_lshl_add_u32 v3, v3, 23, v8
	v_and_or_b32 v3, v12, s41, v3
	v_lshlrev_b32_e32 v2, 20, v2
	v_or_b32_e32 v3, v3, v2
	v_mov_b32_e32 v2, v22
.LBB216_715:                            ;   in Loop: Header=BB216_9 Depth=1
	s_or_b64 exec, exec, s[28:29]
.LBB216_716:                            ;   in Loop: Header=BB216_9 Depth=1
	s_or_b64 exec, exec, s[26:27]
.LBB216_717:                            ;   in Loop: Header=BB216_9 Depth=1
	s_or_b64 exec, exec, s[24:25]
	buffer_load_dword v8, off, s[0:3], s32 offset:88 ; 4-byte Folded Reload
	v_mov_b32_e32 v20, 0
	v_mov_b32_e32 v57, 0
	;; [unrolled: 1-line block ×4, first 2 shown]
	s_waitcnt vmcnt(0)
	v_add_co_u32_e32 v12, vcc, v25, v8
	v_addc_co_u32_e32 v13, vcc, 0, v36, vcc
	flat_load_ushort v12, v[12:13]
	s_waitcnt vmcnt(0) lgkmcnt(0)
	v_and_b32_e32 v48, 0xffff, v12
	v_cmp_ne_u16_sdwa s[26:27], v12, v22 src0_sel:BYTE_0 src1_sel:DWORD
	s_and_saveexec_b64 s[24:25], s[26:27]
	s_cbranch_execz .LBB216_723
; %bb.718:                              ;   in Loop: Header=BB216_9 Depth=1
	v_bfrev_b32_e32 v57, 1
	v_mov_b32_e32 v58, 0
	v_cmp_ne_u16_sdwa s[28:29], v48, s19 src0_sel:BYTE_0 src1_sel:DWORD
	s_and_saveexec_b64 s[26:27], s[28:29]
	s_cbranch_execz .LBB216_722
; %bb.719:                              ;   in Loop: Header=BB216_9 Depth=1
	v_and_b32_e32 v12, 0x7f, v48
	v_mov_b32_e32 v57, 0x7f800001
	v_mov_b32_e32 v58, 0
	v_cmp_ne_u32_e32 vcc, s40, v12
	s_and_saveexec_b64 s[28:29], vcc
	s_cbranch_execz .LBB216_721
; %bb.720:                              ;   in Loop: Header=BB216_9 Depth=1
	v_and_b32_e32 v14, 7, v48
	v_lshrrev_b32_e32 v15, 3, v12
	v_cmp_gt_u32_e32 vcc, 8, v12
	v_ffbh_u32_e32 v12, v14
	v_min_u32_e32 v16, 32, v12
	v_subrev_u32_e32 v12, 28, v16
	v_lshlrev_b64 v[12:13], v12, v[48:49]
	v_sub_u32_e32 v13, 29, v16
	v_and_b32_e32 v12, 7, v12
	v_cndmask_b32_e32 v13, v15, v13, vcc
	v_cndmask_b32_e32 v12, v14, v12, vcc
	v_bfrev_b32_e32 v8, 60
	v_lshlrev_b32_e32 v12, 20, v12
	v_and_b32_sdwa v14, sext(v48), s41 dst_sel:DWORD dst_unused:UNUSED_PAD src0_sel:BYTE_0 src1_sel:DWORD
	v_lshl_add_u32 v13, v13, 23, v8
	v_or3_b32 v57, v14, v13, v12
	v_mov_b32_e32 v58, v22
.LBB216_721:                            ;   in Loop: Header=BB216_9 Depth=1
	s_or_b64 exec, exec, s[28:29]
.LBB216_722:                            ;   in Loop: Header=BB216_9 Depth=1
	s_or_b64 exec, exec, s[26:27]
.LBB216_723:                            ;   in Loop: Header=BB216_9 Depth=1
	s_or_b64 exec, exec, s[24:25]
	v_cmp_ne_u16_sdwa s[26:27], v48, v22 src0_sel:BYTE_1 src1_sel:DWORD
	s_and_saveexec_b64 s[24:25], s[26:27]
	s_cbranch_execz .LBB216_729
; %bb.724:                              ;   in Loop: Header=BB216_9 Depth=1
	v_mov_b32_e32 v20, v22
	v_cmp_ne_u16_sdwa s[28:29], v48, s19 src0_sel:BYTE_1 src1_sel:DWORD
	v_mov_b32_e32 v21, v23
	s_and_saveexec_b64 s[26:27], s[28:29]
	s_cbranch_execz .LBB216_728
; %bb.725:                              ;   in Loop: Header=BB216_9 Depth=1
	buffer_load_dword v20, off, s[0:3], s32 offset:64 ; 4-byte Folded Reload
	buffer_load_dword v21, off, s[0:3], s32 offset:68 ; 4-byte Folded Reload
	v_and_b32_sdwa v12, v48, s40 dst_sel:DWORD dst_unused:UNUSED_PAD src0_sel:BYTE_1 src1_sel:DWORD
	v_cmp_ne_u32_e32 vcc, s40, v12
	s_waitcnt vmcnt(1)
	v_mov_b32_e32 v20, v22
	s_waitcnt vmcnt(0)
	v_mov_b32_e32 v8, v21
	buffer_store_dword v7, off, s[0:3], s32 offset:64 ; 4-byte Folded Spill
	s_nop 0
	buffer_store_dword v8, off, s[0:3], s32 offset:68 ; 4-byte Folded Spill
	s_and_saveexec_b64 s[28:29], vcc
	s_cbranch_execz .LBB216_727
; %bb.726:                              ;   in Loop: Header=BB216_9 Depth=1
	v_mov_b32_e32 v8, 7
	v_and_b32_sdwa v13, v48, v8 dst_sel:DWORD dst_unused:UNUSED_PAD src0_sel:BYTE_1 src1_sel:DWORD
	v_lshrrev_b32_e32 v16, 3, v12
	v_cmp_gt_u32_e32 vcc, 8, v12
	v_ffbh_u32_e32 v12, v13
	v_min_u32_e32 v12, 32, v12
	v_mov_b32_e32 v14, v22
	v_subrev_u32_e32 v15, 28, v12
	v_lshlrev_b64 v[14:15], v15, v[13:14]
	v_sub_u32_e32 v12, 29, v12
	v_and_b32_e32 v14, 7, v14
	v_cndmask_b32_e32 v12, v16, v12, vcc
	v_bfrev_b32_e32 v8, 60
	v_cndmask_b32_e32 v13, v13, v14, vcc
	v_lshlrev_b32_e32 v14, 16, v48
	v_lshl_add_u32 v12, v12, 23, v8
	v_and_or_b32 v12, v14, s41, v12
	v_lshlrev_b32_e32 v13, 20, v13
	v_or_b32_e32 v21, v12, v13
	v_mov_b32_e32 v20, v22
.LBB216_727:                            ;   in Loop: Header=BB216_9 Depth=1
	s_or_b64 exec, exec, s[28:29]
.LBB216_728:                            ;   in Loop: Header=BB216_9 Depth=1
	s_or_b64 exec, exec, s[26:27]
.LBB216_729:                            ;   in Loop: Header=BB216_9 Depth=1
	s_or_b64 exec, exec, s[24:25]
	buffer_load_dword v8, off, s[0:3], s32 offset:76 ; 4-byte Folded Reload
	v_add_co_u32_e32 v55, vcc, 0x1e00, v49
	v_addc_co_u32_e32 v40, vcc, 0, v50, vcc
	v_mov_b32_e32 v61, 0
	v_mov_b32_e32 v24, 0
	;; [unrolled: 1-line block ×4, first 2 shown]
	s_waitcnt vmcnt(0)
	v_add_co_u32_e32 v12, vcc, v55, v8
	v_addc_co_u32_e32 v13, vcc, 0, v40, vcc
	flat_load_ushort v12, v[12:13]
	s_waitcnt vmcnt(0) lgkmcnt(0)
	v_and_b32_e32 v50, 0xffff, v12
	v_cmp_ne_u16_sdwa s[26:27], v12, v22 src0_sel:BYTE_0 src1_sel:DWORD
	s_and_saveexec_b64 s[24:25], s[26:27]
	s_cbranch_execz .LBB216_735
; %bb.730:                              ;   in Loop: Header=BB216_9 Depth=1
	v_bfrev_b32_e32 v24, 1
	v_mov_b32_e32 v25, 0
	v_cmp_ne_u16_sdwa s[28:29], v50, s19 src0_sel:BYTE_0 src1_sel:DWORD
	s_and_saveexec_b64 s[26:27], s[28:29]
	s_cbranch_execz .LBB216_734
; %bb.731:                              ;   in Loop: Header=BB216_9 Depth=1
	v_and_b32_e32 v12, 0x7f, v50
	v_mov_b32_e32 v24, 0x7f800001
	v_mov_b32_e32 v25, 0
	v_cmp_ne_u32_e32 vcc, s40, v12
	s_and_saveexec_b64 s[28:29], vcc
	s_cbranch_execz .LBB216_733
; %bb.732:                              ;   in Loop: Header=BB216_9 Depth=1
	v_and_b32_e32 v14, 7, v50
	v_lshrrev_b32_e32 v15, 3, v12
	v_cmp_gt_u32_e32 vcc, 8, v12
	v_ffbh_u32_e32 v12, v14
	v_min_u32_e32 v16, 32, v12
	v_subrev_u32_e32 v12, 28, v16
	v_lshlrev_b64 v[12:13], v12, v[50:51]
	v_sub_u32_e32 v13, 29, v16
	v_and_b32_e32 v12, 7, v12
	v_cndmask_b32_e32 v13, v15, v13, vcc
	v_cndmask_b32_e32 v12, v14, v12, vcc
	v_bfrev_b32_e32 v8, 60
	v_lshlrev_b32_e32 v12, 20, v12
	v_and_b32_sdwa v14, sext(v50), s41 dst_sel:DWORD dst_unused:UNUSED_PAD src0_sel:BYTE_0 src1_sel:DWORD
	v_lshl_add_u32 v13, v13, 23, v8
	v_or3_b32 v24, v14, v13, v12
	v_mov_b32_e32 v25, v22
.LBB216_733:                            ;   in Loop: Header=BB216_9 Depth=1
	s_or_b64 exec, exec, s[28:29]
.LBB216_734:                            ;   in Loop: Header=BB216_9 Depth=1
	s_or_b64 exec, exec, s[26:27]
.LBB216_735:                            ;   in Loop: Header=BB216_9 Depth=1
	s_or_b64 exec, exec, s[24:25]
	v_cmp_ne_u16_sdwa s[26:27], v50, v22 src0_sel:BYTE_1 src1_sel:DWORD
	s_and_saveexec_b64 s[24:25], s[26:27]
	s_cbranch_execz .LBB216_741
; %bb.736:                              ;   in Loop: Header=BB216_9 Depth=1
	v_mov_b32_e32 v62, v23
	v_cmp_ne_u16_sdwa s[28:29], v50, s19 src0_sel:BYTE_1 src1_sel:DWORD
	v_mov_b32_e32 v61, v22
	s_and_saveexec_b64 s[26:27], s[28:29]
	s_cbranch_execz .LBB216_740
; %bb.737:                              ;   in Loop: Header=BB216_9 Depth=1
	buffer_load_dword v61, off, s[0:3], s32 offset:64 ; 4-byte Folded Reload
	buffer_load_dword v62, off, s[0:3], s32 offset:68 ; 4-byte Folded Reload
	v_and_b32_sdwa v12, v50, s40 dst_sel:DWORD dst_unused:UNUSED_PAD src0_sel:BYTE_1 src1_sel:DWORD
	v_cmp_ne_u32_e32 vcc, s40, v12
	s_waitcnt vmcnt(1)
	v_mov_b32_e32 v61, v22
	s_waitcnt vmcnt(0)
	v_mov_b32_e32 v8, v62
	buffer_store_dword v7, off, s[0:3], s32 offset:64 ; 4-byte Folded Spill
	s_nop 0
	buffer_store_dword v8, off, s[0:3], s32 offset:68 ; 4-byte Folded Spill
	s_and_saveexec_b64 s[28:29], vcc
	s_cbranch_execz .LBB216_739
; %bb.738:                              ;   in Loop: Header=BB216_9 Depth=1
	v_mov_b32_e32 v8, 7
	v_and_b32_sdwa v13, v50, v8 dst_sel:DWORD dst_unused:UNUSED_PAD src0_sel:BYTE_1 src1_sel:DWORD
	v_lshrrev_b32_e32 v16, 3, v12
	v_cmp_gt_u32_e32 vcc, 8, v12
	v_ffbh_u32_e32 v12, v13
	v_min_u32_e32 v12, 32, v12
	v_mov_b32_e32 v14, v22
	v_subrev_u32_e32 v15, 28, v12
	v_lshlrev_b64 v[14:15], v15, v[13:14]
	v_sub_u32_e32 v12, 29, v12
	v_and_b32_e32 v14, 7, v14
	v_cndmask_b32_e32 v12, v16, v12, vcc
	v_bfrev_b32_e32 v8, 60
	v_cndmask_b32_e32 v13, v13, v14, vcc
	v_lshlrev_b32_e32 v14, 16, v50
	v_lshl_add_u32 v12, v12, 23, v8
	v_and_or_b32 v12, v14, s41, v12
	v_lshlrev_b32_e32 v13, 20, v13
	v_or_b32_e32 v62, v12, v13
	v_mov_b32_e32 v61, v22
.LBB216_739:                            ;   in Loop: Header=BB216_9 Depth=1
	s_or_b64 exec, exec, s[28:29]
.LBB216_740:                            ;   in Loop: Header=BB216_9 Depth=1
	s_or_b64 exec, exec, s[26:27]
.LBB216_741:                            ;   in Loop: Header=BB216_9 Depth=1
	s_or_b64 exec, exec, s[24:25]
	buffer_load_dword v8, off, s[0:3], s32 offset:80 ; 4-byte Folded Reload
	v_mov_b32_e32 v36, 0
	v_mov_b32_e32 v14, 0
	;; [unrolled: 1-line block ×4, first 2 shown]
	s_waitcnt vmcnt(0)
	v_add_co_u32_e32 v12, vcc, v55, v8
	v_addc_co_u32_e32 v13, vcc, 0, v40, vcc
	flat_load_ushort v12, v[12:13]
	s_waitcnt vmcnt(0) lgkmcnt(0)
	v_and_b32_e32 v54, 0xffff, v12
	v_cmp_ne_u16_sdwa s[26:27], v12, v22 src0_sel:BYTE_0 src1_sel:DWORD
	s_and_saveexec_b64 s[24:25], s[26:27]
	s_cbranch_execz .LBB216_747
; %bb.742:                              ;   in Loop: Header=BB216_9 Depth=1
	v_bfrev_b32_e32 v14, 1
	v_mov_b32_e32 v15, 0
	v_cmp_ne_u16_sdwa s[28:29], v54, s19 src0_sel:BYTE_0 src1_sel:DWORD
	s_and_saveexec_b64 s[26:27], s[28:29]
	s_cbranch_execz .LBB216_746
; %bb.743:                              ;   in Loop: Header=BB216_9 Depth=1
	v_and_b32_e32 v12, 0x7f, v54
	v_mov_b32_e32 v14, 0x7f800001
	v_mov_b32_e32 v15, 0
	v_cmp_ne_u32_e32 vcc, s40, v12
	s_and_saveexec_b64 s[28:29], vcc
	s_cbranch_execz .LBB216_745
; %bb.744:                              ;   in Loop: Header=BB216_9 Depth=1
	v_and_b32_e32 v14, 7, v54
	v_lshrrev_b32_e32 v15, 3, v12
	v_cmp_gt_u32_e32 vcc, 8, v12
	v_ffbh_u32_e32 v12, v14
	v_min_u32_e32 v16, 32, v12
	v_subrev_u32_e32 v12, 28, v16
	v_lshlrev_b64 v[12:13], v12, v[54:55]
	v_sub_u32_e32 v13, 29, v16
	v_and_b32_e32 v12, 7, v12
	v_cndmask_b32_e32 v13, v15, v13, vcc
	v_cndmask_b32_e32 v12, v14, v12, vcc
	v_bfrev_b32_e32 v8, 60
	v_lshlrev_b32_e32 v12, 20, v12
	v_and_b32_sdwa v14, sext(v54), s41 dst_sel:DWORD dst_unused:UNUSED_PAD src0_sel:BYTE_0 src1_sel:DWORD
	v_lshl_add_u32 v13, v13, 23, v8
	v_or3_b32 v14, v14, v13, v12
	v_mov_b32_e32 v15, v22
.LBB216_745:                            ;   in Loop: Header=BB216_9 Depth=1
	s_or_b64 exec, exec, s[28:29]
.LBB216_746:                            ;   in Loop: Header=BB216_9 Depth=1
	s_or_b64 exec, exec, s[26:27]
.LBB216_747:                            ;   in Loop: Header=BB216_9 Depth=1
	s_or_b64 exec, exec, s[24:25]
	v_cmp_ne_u16_sdwa s[26:27], v54, v22 src0_sel:BYTE_1 src1_sel:DWORD
	s_and_saveexec_b64 s[24:25], s[26:27]
	s_cbranch_execz .LBB216_753
; %bb.748:                              ;   in Loop: Header=BB216_9 Depth=1
	v_mov_b32_e32 v37, v23
	v_cmp_ne_u16_sdwa s[28:29], v54, s19 src0_sel:BYTE_1 src1_sel:DWORD
	v_mov_b32_e32 v36, v22
	s_and_saveexec_b64 s[26:27], s[28:29]
	s_cbranch_execz .LBB216_752
; %bb.749:                              ;   in Loop: Header=BB216_9 Depth=1
	buffer_load_dword v36, off, s[0:3], s32 offset:64 ; 4-byte Folded Reload
	buffer_load_dword v37, off, s[0:3], s32 offset:68 ; 4-byte Folded Reload
	v_and_b32_sdwa v12, v54, s40 dst_sel:DWORD dst_unused:UNUSED_PAD src0_sel:BYTE_1 src1_sel:DWORD
	v_cmp_ne_u32_e32 vcc, s40, v12
	s_waitcnt vmcnt(1)
	v_mov_b32_e32 v36, v22
	s_waitcnt vmcnt(0)
	v_mov_b32_e32 v8, v37
	buffer_store_dword v7, off, s[0:3], s32 offset:64 ; 4-byte Folded Spill
	s_nop 0
	buffer_store_dword v8, off, s[0:3], s32 offset:68 ; 4-byte Folded Spill
	s_and_saveexec_b64 s[28:29], vcc
	s_cbranch_execz .LBB216_751
; %bb.750:                              ;   in Loop: Header=BB216_9 Depth=1
	v_mov_b32_e32 v8, 7
	v_and_b32_sdwa v36, v54, v8 dst_sel:DWORD dst_unused:UNUSED_PAD src0_sel:BYTE_1 src1_sel:DWORD
	v_lshrrev_b32_e32 v16, 3, v12
	v_cmp_gt_u32_e32 vcc, 8, v12
	v_ffbh_u32_e32 v12, v36
	v_min_u32_e32 v19, 32, v12
	v_mov_b32_e32 v37, v22
	v_subrev_u32_e32 v12, 28, v19
	v_lshlrev_b64 v[12:13], v12, v[36:37]
	v_sub_u32_e32 v13, 29, v19
	v_and_b32_e32 v12, 7, v12
	v_cndmask_b32_e32 v13, v16, v13, vcc
	v_bfrev_b32_e32 v8, 60
	v_cndmask_b32_e32 v12, v36, v12, vcc
	v_lshlrev_b32_e32 v16, 16, v54
	v_lshl_add_u32 v13, v13, 23, v8
	v_and_or_b32 v13, v16, s41, v13
	v_lshlrev_b32_e32 v12, 20, v12
	v_or_b32_e32 v37, v13, v12
	v_mov_b32_e32 v36, v22
.LBB216_751:                            ;   in Loop: Header=BB216_9 Depth=1
	s_or_b64 exec, exec, s[28:29]
.LBB216_752:                            ;   in Loop: Header=BB216_9 Depth=1
	s_or_b64 exec, exec, s[26:27]
.LBB216_753:                            ;   in Loop: Header=BB216_9 Depth=1
	s_or_b64 exec, exec, s[24:25]
	buffer_load_dword v8, off, s[0:3], s32 offset:84 ; 4-byte Folded Reload
	v_mov_b32_e32 v46, 0
	v_mov_b32_e32 v44, 0
	;; [unrolled: 1-line block ×4, first 2 shown]
	s_waitcnt vmcnt(0)
	v_add_co_u32_e32 v12, vcc, v55, v8
	v_addc_co_u32_e32 v13, vcc, 0, v40, vcc
	flat_load_ushort v12, v[12:13]
	s_waitcnt vmcnt(0) lgkmcnt(0)
	v_and_b32_e32 v54, 0xffff, v12
	v_cmp_ne_u16_sdwa s[26:27], v12, v22 src0_sel:BYTE_0 src1_sel:DWORD
	s_and_saveexec_b64 s[24:25], s[26:27]
	s_cbranch_execz .LBB216_759
; %bb.754:                              ;   in Loop: Header=BB216_9 Depth=1
	v_bfrev_b32_e32 v44, 1
	v_mov_b32_e32 v45, 0
	v_cmp_ne_u16_sdwa s[28:29], v54, s19 src0_sel:BYTE_0 src1_sel:DWORD
	s_and_saveexec_b64 s[26:27], s[28:29]
	s_cbranch_execz .LBB216_758
; %bb.755:                              ;   in Loop: Header=BB216_9 Depth=1
	v_and_b32_e32 v12, 0x7f, v54
	v_mov_b32_e32 v44, 0x7f800001
	v_mov_b32_e32 v45, 0
	v_cmp_ne_u32_e32 vcc, s40, v12
	s_and_saveexec_b64 s[28:29], vcc
	s_cbranch_execz .LBB216_757
; %bb.756:                              ;   in Loop: Header=BB216_9 Depth=1
	v_and_b32_e32 v16, 7, v54
	v_lshrrev_b32_e32 v19, 3, v12
	v_cmp_gt_u32_e32 vcc, 8, v12
	v_ffbh_u32_e32 v12, v16
	v_min_u32_e32 v28, 32, v12
	v_subrev_u32_e32 v12, 28, v28
	v_lshlrev_b64 v[12:13], v12, v[54:55]
	v_sub_u32_e32 v13, 29, v28
	v_and_b32_e32 v12, 7, v12
	v_cndmask_b32_e32 v13, v19, v13, vcc
	v_cndmask_b32_e32 v12, v16, v12, vcc
	v_bfrev_b32_e32 v8, 60
	v_lshlrev_b32_e32 v12, 20, v12
	v_and_b32_sdwa v16, sext(v54), s41 dst_sel:DWORD dst_unused:UNUSED_PAD src0_sel:BYTE_0 src1_sel:DWORD
	v_lshl_add_u32 v13, v13, 23, v8
	v_or3_b32 v44, v16, v13, v12
	v_mov_b32_e32 v45, v22
.LBB216_757:                            ;   in Loop: Header=BB216_9 Depth=1
	s_or_b64 exec, exec, s[28:29]
.LBB216_758:                            ;   in Loop: Header=BB216_9 Depth=1
	s_or_b64 exec, exec, s[26:27]
.LBB216_759:                            ;   in Loop: Header=BB216_9 Depth=1
	s_or_b64 exec, exec, s[24:25]
	v_cmp_ne_u16_sdwa s[26:27], v54, v22 src0_sel:BYTE_1 src1_sel:DWORD
	s_and_saveexec_b64 s[24:25], s[26:27]
	s_cbranch_execz .LBB216_765
; %bb.760:                              ;   in Loop: Header=BB216_9 Depth=1
	v_mov_b32_e32 v47, v23
	v_cmp_ne_u16_sdwa s[28:29], v54, s19 src0_sel:BYTE_1 src1_sel:DWORD
	v_mov_b32_e32 v46, v22
	s_and_saveexec_b64 s[26:27], s[28:29]
	s_cbranch_execz .LBB216_764
; %bb.761:                              ;   in Loop: Header=BB216_9 Depth=1
	buffer_load_dword v46, off, s[0:3], s32 offset:64 ; 4-byte Folded Reload
	buffer_load_dword v47, off, s[0:3], s32 offset:68 ; 4-byte Folded Reload
	v_and_b32_sdwa v12, v54, s40 dst_sel:DWORD dst_unused:UNUSED_PAD src0_sel:BYTE_1 src1_sel:DWORD
	v_cmp_ne_u32_e32 vcc, s40, v12
	s_waitcnt vmcnt(1)
	v_mov_b32_e32 v46, v22
	s_waitcnt vmcnt(0)
	v_mov_b32_e32 v8, v47
	buffer_store_dword v7, off, s[0:3], s32 offset:64 ; 4-byte Folded Spill
	s_nop 0
	buffer_store_dword v8, off, s[0:3], s32 offset:68 ; 4-byte Folded Spill
	s_and_saveexec_b64 s[28:29], vcc
	s_cbranch_execz .LBB216_763
; %bb.762:                              ;   in Loop: Header=BB216_9 Depth=1
	v_mov_b32_e32 v8, 7
	v_and_b32_sdwa v48, v54, v8 dst_sel:DWORD dst_unused:UNUSED_PAD src0_sel:BYTE_1 src1_sel:DWORD
	v_lshrrev_b32_e32 v16, 3, v12
	v_cmp_gt_u32_e32 vcc, 8, v12
	v_ffbh_u32_e32 v12, v48
	v_min_u32_e32 v19, 32, v12
	v_mov_b32_e32 v49, v22
	v_subrev_u32_e32 v12, 28, v19
	v_lshlrev_b64 v[12:13], v12, v[48:49]
	v_sub_u32_e32 v13, 29, v19
	v_and_b32_e32 v12, 7, v12
	v_cndmask_b32_e32 v13, v16, v13, vcc
	v_bfrev_b32_e32 v8, 60
	v_cndmask_b32_e32 v12, v48, v12, vcc
	v_lshlrev_b32_e32 v16, 16, v54
	v_lshl_add_u32 v13, v13, 23, v8
	v_and_or_b32 v13, v16, s41, v13
	v_lshlrev_b32_e32 v12, 20, v12
	v_or_b32_e32 v47, v13, v12
	v_mov_b32_e32 v46, v22
.LBB216_763:                            ;   in Loop: Header=BB216_9 Depth=1
	s_or_b64 exec, exec, s[28:29]
.LBB216_764:                            ;   in Loop: Header=BB216_9 Depth=1
	s_or_b64 exec, exec, s[26:27]
.LBB216_765:                            ;   in Loop: Header=BB216_9 Depth=1
	s_or_b64 exec, exec, s[24:25]
	buffer_load_dword v8, off, s[0:3], s32 offset:88 ; 4-byte Folded Reload
	v_mov_b32_e32 v9, 0
	v_mov_b32_e32 v10, 0
	s_waitcnt vmcnt(0)
	v_add_co_u32_e32 v12, vcc, v55, v8
	v_addc_co_u32_e32 v13, vcc, 0, v40, vcc
	flat_load_ushort v12, v[12:13]
	s_waitcnt vmcnt(0) lgkmcnt(0)
	v_and_b32_e32 v56, 0xffff, v12
	v_cmp_ne_u16_sdwa s[26:27], v12, v22 src0_sel:BYTE_0 src1_sel:DWORD
	v_mov_b32_e32 v11, 0
	v_mov_b32_e32 v12, 0
	s_and_saveexec_b64 s[24:25], s[26:27]
	s_cbranch_execz .LBB216_771
; %bb.766:                              ;   in Loop: Header=BB216_9 Depth=1
	v_bfrev_b32_e32 v11, 1
	v_mov_b32_e32 v12, 0
	v_cmp_ne_u16_sdwa s[28:29], v56, s19 src0_sel:BYTE_0 src1_sel:DWORD
	s_and_saveexec_b64 s[26:27], s[28:29]
	s_cbranch_execz .LBB216_770
; %bb.767:                              ;   in Loop: Header=BB216_9 Depth=1
	v_and_b32_e32 v16, 0x7f, v56
	v_mov_b32_e32 v11, 0x7f800001
	v_mov_b32_e32 v12, 0
	v_cmp_ne_u32_e32 vcc, s40, v16
	s_and_saveexec_b64 s[28:29], vcc
	s_cbranch_execz .LBB216_769
; %bb.768:                              ;   in Loop: Header=BB216_9 Depth=1
	v_and_b32_e32 v19, 7, v56
	v_ffbh_u32_e32 v12, v19
	v_lshrrev_b32_e32 v28, 3, v16
	v_cmp_gt_u32_e32 vcc, 8, v16
	v_min_u32_e32 v16, 32, v12
	v_subrev_u32_e32 v12, 28, v16
	v_lshlrev_b64 v[12:13], v12, v[56:57]
	v_sub_u32_e32 v13, 29, v16
	v_and_b32_e32 v12, 7, v12
	v_cndmask_b32_e32 v13, v28, v13, vcc
	v_cndmask_b32_e32 v12, v19, v12, vcc
	v_bfrev_b32_e32 v8, 60
	v_lshlrev_b32_e32 v12, 20, v12
	v_and_b32_sdwa v16, sext(v56), s41 dst_sel:DWORD dst_unused:UNUSED_PAD src0_sel:BYTE_0 src1_sel:DWORD
	v_lshl_add_u32 v13, v13, 23, v8
	v_or3_b32 v11, v16, v13, v12
	v_mov_b32_e32 v12, v22
.LBB216_769:                            ;   in Loop: Header=BB216_9 Depth=1
	s_or_b64 exec, exec, s[28:29]
.LBB216_770:                            ;   in Loop: Header=BB216_9 Depth=1
	s_or_b64 exec, exec, s[26:27]
.LBB216_771:                            ;   in Loop: Header=BB216_9 Depth=1
	s_or_b64 exec, exec, s[24:25]
	v_cmp_ne_u16_sdwa s[26:27], v56, v22 src0_sel:BYTE_1 src1_sel:DWORD
	buffer_store_dword v11, off, s[0:3], s32 offset:972 ; 4-byte Folded Spill
	s_nop 0
	buffer_store_dword v12, off, s[0:3], s32 offset:976 ; 4-byte Folded Spill
	s_and_saveexec_b64 s[24:25], s[26:27]
	s_cbranch_execz .LBB216_777
; %bb.772:                              ;   in Loop: Header=BB216_9 Depth=1
	v_mov_b32_e32 v9, v22
	v_cmp_ne_u16_sdwa s[28:29], v56, s19 src0_sel:BYTE_1 src1_sel:DWORD
	v_mov_b32_e32 v10, v23
	s_and_saveexec_b64 s[26:27], s[28:29]
	s_cbranch_execz .LBB216_776
; %bb.773:                              ;   in Loop: Header=BB216_9 Depth=1
	buffer_load_dword v9, off, s[0:3], s32 offset:64 ; 4-byte Folded Reload
	buffer_load_dword v10, off, s[0:3], s32 offset:68 ; 4-byte Folded Reload
	v_and_b32_sdwa v16, v56, s40 dst_sel:DWORD dst_unused:UNUSED_PAD src0_sel:BYTE_1 src1_sel:DWORD
	v_cmp_ne_u32_e32 vcc, s40, v16
	s_waitcnt vmcnt(1)
	v_mov_b32_e32 v9, v22
	s_waitcnt vmcnt(0)
	v_mov_b32_e32 v8, v10
	buffer_store_dword v7, off, s[0:3], s32 offset:64 ; 4-byte Folded Spill
	s_nop 0
	buffer_store_dword v8, off, s[0:3], s32 offset:68 ; 4-byte Folded Spill
	s_and_saveexec_b64 s[28:29], vcc
	s_cbranch_execz .LBB216_775
; %bb.774:                              ;   in Loop: Header=BB216_9 Depth=1
	v_mov_b32_e32 v8, 7
	v_and_b32_sdwa v48, v56, v8 dst_sel:DWORD dst_unused:UNUSED_PAD src0_sel:BYTE_1 src1_sel:DWORD
	v_lshrrev_b32_e32 v19, 3, v16
	v_cmp_gt_u32_e32 vcc, 8, v16
	v_ffbh_u32_e32 v16, v48
	v_min_u32_e32 v16, 32, v16
	v_mov_b32_e32 v49, v22
	v_subrev_u32_e32 v28, 28, v16
	v_lshlrev_b64 v[49:50], v28, v[48:49]
	v_sub_u32_e32 v16, 29, v16
	v_and_b32_e32 v28, 7, v49
	v_cndmask_b32_e32 v16, v19, v16, vcc
	v_bfrev_b32_e32 v8, 60
	v_cndmask_b32_e32 v19, v48, v28, vcc
	v_lshlrev_b32_e32 v28, 16, v56
	v_lshl_add_u32 v16, v16, 23, v8
	v_and_or_b32 v16, v28, s41, v16
	v_lshlrev_b32_e32 v19, 20, v19
	v_or_b32_e32 v10, v16, v19
	v_mov_b32_e32 v9, v22
.LBB216_775:                            ;   in Loop: Header=BB216_9 Depth=1
	s_or_b64 exec, exec, s[28:29]
.LBB216_776:                            ;   in Loop: Header=BB216_9 Depth=1
	s_or_b64 exec, exec, s[26:27]
.LBB216_777:                            ;   in Loop: Header=BB216_9 Depth=1
	s_or_b64 exec, exec, s[24:25]
	v_or_b32_e32 v8, v47, v45
	buffer_store_dword v8, off, s[0:3], s32 offset:980 ; 4-byte Folded Spill
	v_or_b32_e32 v8, v46, v44
	v_or_b32_e32 v0, v26, v0
	buffer_store_dword v8, off, s[0:3], s32 offset:984 ; 4-byte Folded Spill
	v_or_b32_e32 v8, v37, v15
	buffer_store_dword v0, off, s[0:3], s32 offset:1036 ; 4-byte Folded Spill
	;; [unrolled: 2-line block ×7, first 2 shown]
	v_or_b32_e32 v8, v61, v24
	v_or_b32_e32 v2, v2, v51
	buffer_store_dword v0, off, s[0:3], s32 offset:1048 ; 4-byte Folded Spill
	v_or_b32_e32 v0, v32, v34
	buffer_store_dword v8, off, s[0:3], s32 offset:1004 ; 4-byte Folded Spill
	v_or_b32_e32 v8, v21, v58
	buffer_store_dword v2, off, s[0:3], s32 offset:1020 ; 4-byte Folded Spill
	v_or_b32_e32 v2, v30, v18
	buffer_store_dword v0, off, s[0:3], s32 offset:1052 ; 4-byte Folded Spill
	v_or_b32_e32 v0, v7, v5
	buffer_store_dword v8, off, s[0:3], s32 offset:1008 ; 4-byte Folded Spill
	v_or_b32_e32 v8, v20, v57
	v_or_b32_e32 v3, v3, v52
	buffer_store_dword v2, off, s[0:3], s32 offset:1024 ; 4-byte Folded Spill
	v_or_b32_e32 v2, v29, v17
	v_or_b32_e32 v1, v27, v1
	buffer_store_dword v0, off, s[0:3], s32 offset:1056 ; 4-byte Folded Spill
	v_or_b32_e32 v0, v6, v4
	buffer_store_dword v8, off, s[0:3], s32 offset:1012 ; 4-byte Folded Spill
	buffer_store_dword v3, off, s[0:3], s32 offset:1016 ; 4-byte Folded Spill
	;; [unrolled: 1-line block ×5, first 2 shown]
	buffer_load_dword v0, off, s[0:3], s32 offset:932 ; 4-byte Folded Reload
	s_nop 0
	buffer_load_dword v1, off, s[0:3], s32 offset:936 ; 4-byte Folded Reload
	buffer_load_dword v2, off, s[0:3], s32 offset:940 ; 4-byte Folded Reload
	buffer_load_dword v3, off, s[0:3], s32 offset:944 ; 4-byte Folded Reload
	s_waitcnt vmcnt(1)
	v_or_b32_e32 v0, v2, v0
	s_waitcnt vmcnt(0)
	v_or_b32_e32 v1, v3, v1
	buffer_store_dword v1, off, s[0:3], s32 offset:1064 ; 4-byte Folded Spill
	buffer_store_dword v0, off, s[0:3], s32 offset:932 ; 4-byte Folded Spill
	buffer_load_dword v0, off, s[0:3], s32 offset:916 ; 4-byte Folded Reload
	s_nop 0
	buffer_load_dword v1, off, s[0:3], s32 offset:920 ; 4-byte Folded Reload
	buffer_load_dword v2, off, s[0:3], s32 offset:924 ; 4-byte Folded Reload
	buffer_load_dword v3, off, s[0:3], s32 offset:928 ; 4-byte Folded Reload
	s_waitcnt vmcnt(1)
	v_or_b32_e32 v0, v2, v0
	s_waitcnt vmcnt(0)
	v_or_b32_e32 v1, v3, v1
	buffer_store_dword v1, off, s[0:3], s32 offset:940 ; 4-byte Folded Spill
	buffer_store_dword v0, off, s[0:3], s32 offset:916 ; 4-byte Folded Spill
	buffer_load_dword v0, off, s[0:3], s32 offset:900 ; 4-byte Folded Reload
	s_nop 0
	buffer_load_dword v1, off, s[0:3], s32 offset:904 ; 4-byte Folded Reload
	buffer_load_dword v2, off, s[0:3], s32 offset:908 ; 4-byte Folded Reload
	buffer_load_dword v3, off, s[0:3], s32 offset:912 ; 4-byte Folded Reload
	s_waitcnt vmcnt(1)
	v_or_b32_e32 v0, v2, v0
	s_waitcnt vmcnt(0)
	v_or_b32_e32 v1, v3, v1
	buffer_store_dword v1, off, s[0:3], s32 offset:924 ; 4-byte Folded Spill
	buffer_store_dword v0, off, s[0:3], s32 offset:900 ; 4-byte Folded Spill
	buffer_load_dword v0, off, s[0:3], s32 offset:884 ; 4-byte Folded Reload
	s_nop 0
	buffer_load_dword v1, off, s[0:3], s32 offset:888 ; 4-byte Folded Reload
	buffer_load_dword v2, off, s[0:3], s32 offset:892 ; 4-byte Folded Reload
	buffer_load_dword v3, off, s[0:3], s32 offset:896 ; 4-byte Folded Reload
	s_waitcnt vmcnt(1)
	v_or_b32_e32 v0, v2, v0
	s_waitcnt vmcnt(0)
	v_or_b32_e32 v1, v3, v1
	buffer_store_dword v1, off, s[0:3], s32 offset:908 ; 4-byte Folded Spill
	buffer_store_dword v0, off, s[0:3], s32 offset:884 ; 4-byte Folded Spill
	buffer_load_dword v0, off, s[0:3], s32 offset:868 ; 4-byte Folded Reload
	s_nop 0
	buffer_load_dword v1, off, s[0:3], s32 offset:872 ; 4-byte Folded Reload
	buffer_load_dword v2, off, s[0:3], s32 offset:876 ; 4-byte Folded Reload
	buffer_load_dword v3, off, s[0:3], s32 offset:880 ; 4-byte Folded Reload
	s_waitcnt vmcnt(1)
	v_or_b32_e32 v0, v2, v0
	s_waitcnt vmcnt(0)
	v_or_b32_e32 v1, v3, v1
	buffer_store_dword v1, off, s[0:3], s32 offset:892 ; 4-byte Folded Spill
	buffer_store_dword v0, off, s[0:3], s32 offset:868 ; 4-byte Folded Spill
	buffer_load_dword v0, off, s[0:3], s32 offset:852 ; 4-byte Folded Reload
	s_nop 0
	buffer_load_dword v1, off, s[0:3], s32 offset:856 ; 4-byte Folded Reload
	buffer_load_dword v2, off, s[0:3], s32 offset:860 ; 4-byte Folded Reload
	buffer_load_dword v3, off, s[0:3], s32 offset:864 ; 4-byte Folded Reload
	s_waitcnt vmcnt(1)
	v_or_b32_e32 v0, v2, v0
	s_waitcnt vmcnt(0)
	v_or_b32_e32 v1, v3, v1
	buffer_store_dword v1, off, s[0:3], s32 offset:876 ; 4-byte Folded Spill
	buffer_store_dword v0, off, s[0:3], s32 offset:852 ; 4-byte Folded Spill
	buffer_load_dword v0, off, s[0:3], s32 offset:836 ; 4-byte Folded Reload
	s_nop 0
	buffer_load_dword v1, off, s[0:3], s32 offset:840 ; 4-byte Folded Reload
	buffer_load_dword v2, off, s[0:3], s32 offset:844 ; 4-byte Folded Reload
	buffer_load_dword v3, off, s[0:3], s32 offset:848 ; 4-byte Folded Reload
	s_waitcnt vmcnt(1)
	v_or_b32_e32 v0, v2, v0
	s_waitcnt vmcnt(0)
	v_or_b32_e32 v1, v3, v1
	buffer_store_dword v1, off, s[0:3], s32 offset:860 ; 4-byte Folded Spill
	buffer_store_dword v0, off, s[0:3], s32 offset:836 ; 4-byte Folded Spill
	buffer_load_dword v0, off, s[0:3], s32 offset:820 ; 4-byte Folded Reload
	s_nop 0
	buffer_load_dword v1, off, s[0:3], s32 offset:824 ; 4-byte Folded Reload
	buffer_load_dword v2, off, s[0:3], s32 offset:828 ; 4-byte Folded Reload
	buffer_load_dword v3, off, s[0:3], s32 offset:832 ; 4-byte Folded Reload
	s_waitcnt vmcnt(1)
	v_or_b32_e32 v0, v2, v0
	s_waitcnt vmcnt(0)
	v_or_b32_e32 v1, v3, v1
	buffer_store_dword v1, off, s[0:3], s32 offset:844 ; 4-byte Folded Spill
	buffer_store_dword v0, off, s[0:3], s32 offset:820 ; 4-byte Folded Spill
	buffer_load_dword v0, off, s[0:3], s32 offset:804 ; 4-byte Folded Reload
	s_nop 0
	buffer_load_dword v1, off, s[0:3], s32 offset:808 ; 4-byte Folded Reload
	buffer_load_dword v2, off, s[0:3], s32 offset:812 ; 4-byte Folded Reload
	buffer_load_dword v3, off, s[0:3], s32 offset:816 ; 4-byte Folded Reload
	s_waitcnt vmcnt(1)
	v_or_b32_e32 v0, v2, v0
	s_waitcnt vmcnt(0)
	v_or_b32_e32 v1, v3, v1
	buffer_store_dword v1, off, s[0:3], s32 offset:828 ; 4-byte Folded Spill
	buffer_store_dword v0, off, s[0:3], s32 offset:804 ; 4-byte Folded Spill
	buffer_load_dword v0, off, s[0:3], s32 offset:788 ; 4-byte Folded Reload
	s_nop 0
	buffer_load_dword v1, off, s[0:3], s32 offset:792 ; 4-byte Folded Reload
	buffer_load_dword v2, off, s[0:3], s32 offset:796 ; 4-byte Folded Reload
	buffer_load_dword v3, off, s[0:3], s32 offset:800 ; 4-byte Folded Reload
	s_waitcnt vmcnt(1)
	v_or_b32_e32 v0, v2, v0
	s_waitcnt vmcnt(0)
	v_or_b32_e32 v1, v3, v1
	buffer_store_dword v1, off, s[0:3], s32 offset:812 ; 4-byte Folded Spill
	buffer_store_dword v0, off, s[0:3], s32 offset:788 ; 4-byte Folded Spill
	buffer_load_dword v0, off, s[0:3], s32 offset:772 ; 4-byte Folded Reload
	s_nop 0
	buffer_load_dword v1, off, s[0:3], s32 offset:776 ; 4-byte Folded Reload
	buffer_load_dword v2, off, s[0:3], s32 offset:780 ; 4-byte Folded Reload
	buffer_load_dword v3, off, s[0:3], s32 offset:784 ; 4-byte Folded Reload
	s_waitcnt vmcnt(1)
	v_or_b32_e32 v0, v2, v0
	s_waitcnt vmcnt(0)
	v_or_b32_e32 v1, v3, v1
	buffer_store_dword v1, off, s[0:3], s32 offset:796 ; 4-byte Folded Spill
	buffer_store_dword v0, off, s[0:3], s32 offset:772 ; 4-byte Folded Spill
	buffer_load_dword v0, off, s[0:3], s32 offset:756 ; 4-byte Folded Reload
	s_nop 0
	buffer_load_dword v1, off, s[0:3], s32 offset:760 ; 4-byte Folded Reload
	buffer_load_dword v2, off, s[0:3], s32 offset:764 ; 4-byte Folded Reload
	buffer_load_dword v3, off, s[0:3], s32 offset:768 ; 4-byte Folded Reload
	s_waitcnt vmcnt(1)
	v_or_b32_e32 v0, v2, v0
	s_waitcnt vmcnt(0)
	v_or_b32_e32 v1, v3, v1
	buffer_store_dword v1, off, s[0:3], s32 offset:780 ; 4-byte Folded Spill
	buffer_store_dword v0, off, s[0:3], s32 offset:756 ; 4-byte Folded Spill
	buffer_load_dword v0, off, s[0:3], s32 offset:740 ; 4-byte Folded Reload
	s_nop 0
	buffer_load_dword v1, off, s[0:3], s32 offset:744 ; 4-byte Folded Reload
	buffer_load_dword v2, off, s[0:3], s32 offset:748 ; 4-byte Folded Reload
	buffer_load_dword v3, off, s[0:3], s32 offset:752 ; 4-byte Folded Reload
	s_waitcnt vmcnt(1)
	v_or_b32_e32 v0, v2, v0
	s_waitcnt vmcnt(0)
	v_or_b32_e32 v1, v3, v1
	buffer_store_dword v1, off, s[0:3], s32 offset:764 ; 4-byte Folded Spill
	buffer_store_dword v0, off, s[0:3], s32 offset:740 ; 4-byte Folded Spill
	buffer_load_dword v0, off, s[0:3], s32 offset:724 ; 4-byte Folded Reload
	s_nop 0
	buffer_load_dword v1, off, s[0:3], s32 offset:728 ; 4-byte Folded Reload
	buffer_load_dword v2, off, s[0:3], s32 offset:732 ; 4-byte Folded Reload
	buffer_load_dword v3, off, s[0:3], s32 offset:736 ; 4-byte Folded Reload
	s_waitcnt vmcnt(1)
	v_or_b32_e32 v0, v2, v0
	s_waitcnt vmcnt(0)
	v_or_b32_e32 v1, v3, v1
	buffer_store_dword v1, off, s[0:3], s32 offset:748 ; 4-byte Folded Spill
	buffer_store_dword v0, off, s[0:3], s32 offset:724 ; 4-byte Folded Spill
	buffer_load_dword v0, off, s[0:3], s32 offset:708 ; 4-byte Folded Reload
	s_nop 0
	buffer_load_dword v1, off, s[0:3], s32 offset:712 ; 4-byte Folded Reload
	buffer_load_dword v2, off, s[0:3], s32 offset:716 ; 4-byte Folded Reload
	buffer_load_dword v3, off, s[0:3], s32 offset:720 ; 4-byte Folded Reload
	s_waitcnt vmcnt(1)
	v_or_b32_e32 v0, v2, v0
	s_waitcnt vmcnt(0)
	v_or_b32_e32 v1, v3, v1
	buffer_store_dword v1, off, s[0:3], s32 offset:732 ; 4-byte Folded Spill
	buffer_store_dword v0, off, s[0:3], s32 offset:708 ; 4-byte Folded Spill
	buffer_load_dword v0, off, s[0:3], s32 offset:692 ; 4-byte Folded Reload
	s_nop 0
	buffer_load_dword v1, off, s[0:3], s32 offset:696 ; 4-byte Folded Reload
	buffer_load_dword v2, off, s[0:3], s32 offset:700 ; 4-byte Folded Reload
	buffer_load_dword v3, off, s[0:3], s32 offset:704 ; 4-byte Folded Reload
	s_waitcnt vmcnt(1)
	v_or_b32_e32 v0, v2, v0
	s_waitcnt vmcnt(0)
	v_or_b32_e32 v1, v3, v1
	buffer_store_dword v1, off, s[0:3], s32 offset:716 ; 4-byte Folded Spill
	buffer_store_dword v0, off, s[0:3], s32 offset:692 ; 4-byte Folded Spill
	buffer_load_dword v0, off, s[0:3], s32 offset:676 ; 4-byte Folded Reload
	s_nop 0
	buffer_load_dword v1, off, s[0:3], s32 offset:680 ; 4-byte Folded Reload
	buffer_load_dword v2, off, s[0:3], s32 offset:684 ; 4-byte Folded Reload
	buffer_load_dword v3, off, s[0:3], s32 offset:688 ; 4-byte Folded Reload
	s_waitcnt vmcnt(1)
	v_or_b32_e32 v0, v2, v0
	s_waitcnt vmcnt(0)
	v_or_b32_e32 v1, v3, v1
	buffer_store_dword v1, off, s[0:3], s32 offset:700 ; 4-byte Folded Spill
	buffer_store_dword v0, off, s[0:3], s32 offset:676 ; 4-byte Folded Spill
	buffer_load_dword v0, off, s[0:3], s32 offset:660 ; 4-byte Folded Reload
	s_nop 0
	buffer_load_dword v1, off, s[0:3], s32 offset:664 ; 4-byte Folded Reload
	buffer_load_dword v2, off, s[0:3], s32 offset:668 ; 4-byte Folded Reload
	buffer_load_dword v3, off, s[0:3], s32 offset:672 ; 4-byte Folded Reload
	s_waitcnt vmcnt(1)
	v_or_b32_e32 v0, v2, v0
	s_waitcnt vmcnt(0)
	v_or_b32_e32 v1, v3, v1
	buffer_store_dword v1, off, s[0:3], s32 offset:684 ; 4-byte Folded Spill
	buffer_store_dword v0, off, s[0:3], s32 offset:660 ; 4-byte Folded Spill
	buffer_load_dword v0, off, s[0:3], s32 offset:644 ; 4-byte Folded Reload
	s_nop 0
	buffer_load_dword v1, off, s[0:3], s32 offset:648 ; 4-byte Folded Reload
	buffer_load_dword v2, off, s[0:3], s32 offset:652 ; 4-byte Folded Reload
	buffer_load_dword v3, off, s[0:3], s32 offset:656 ; 4-byte Folded Reload
	s_waitcnt vmcnt(1)
	v_or_b32_e32 v0, v2, v0
	s_waitcnt vmcnt(0)
	v_or_b32_e32 v1, v3, v1
	buffer_store_dword v1, off, s[0:3], s32 offset:668 ; 4-byte Folded Spill
	buffer_store_dword v0, off, s[0:3], s32 offset:644 ; 4-byte Folded Spill
	buffer_load_dword v0, off, s[0:3], s32 offset:628 ; 4-byte Folded Reload
	s_nop 0
	buffer_load_dword v1, off, s[0:3], s32 offset:632 ; 4-byte Folded Reload
	buffer_load_dword v2, off, s[0:3], s32 offset:636 ; 4-byte Folded Reload
	buffer_load_dword v3, off, s[0:3], s32 offset:640 ; 4-byte Folded Reload
	s_waitcnt vmcnt(1)
	v_or_b32_e32 v0, v2, v0
	s_waitcnt vmcnt(0)
	v_or_b32_e32 v1, v3, v1
	buffer_store_dword v1, off, s[0:3], s32 offset:652 ; 4-byte Folded Spill
	buffer_store_dword v0, off, s[0:3], s32 offset:628 ; 4-byte Folded Spill
	buffer_load_dword v0, off, s[0:3], s32 offset:612 ; 4-byte Folded Reload
	s_nop 0
	buffer_load_dword v1, off, s[0:3], s32 offset:616 ; 4-byte Folded Reload
	buffer_load_dword v2, off, s[0:3], s32 offset:620 ; 4-byte Folded Reload
	buffer_load_dword v3, off, s[0:3], s32 offset:624 ; 4-byte Folded Reload
	s_waitcnt vmcnt(1)
	v_or_b32_e32 v0, v2, v0
	s_waitcnt vmcnt(0)
	v_or_b32_e32 v1, v3, v1
	buffer_store_dword v1, off, s[0:3], s32 offset:636 ; 4-byte Folded Spill
	buffer_store_dword v0, off, s[0:3], s32 offset:612 ; 4-byte Folded Spill
	buffer_load_dword v0, off, s[0:3], s32 offset:596 ; 4-byte Folded Reload
	s_nop 0
	buffer_load_dword v1, off, s[0:3], s32 offset:600 ; 4-byte Folded Reload
	buffer_load_dword v2, off, s[0:3], s32 offset:604 ; 4-byte Folded Reload
	buffer_load_dword v3, off, s[0:3], s32 offset:608 ; 4-byte Folded Reload
	s_waitcnt vmcnt(1)
	v_or_b32_e32 v0, v2, v0
	s_waitcnt vmcnt(0)
	v_or_b32_e32 v1, v3, v1
	buffer_store_dword v1, off, s[0:3], s32 offset:620 ; 4-byte Folded Spill
	buffer_store_dword v0, off, s[0:3], s32 offset:596 ; 4-byte Folded Spill
	buffer_load_dword v0, off, s[0:3], s32 offset:580 ; 4-byte Folded Reload
	s_nop 0
	buffer_load_dword v1, off, s[0:3], s32 offset:584 ; 4-byte Folded Reload
	buffer_load_dword v2, off, s[0:3], s32 offset:588 ; 4-byte Folded Reload
	buffer_load_dword v3, off, s[0:3], s32 offset:592 ; 4-byte Folded Reload
	s_waitcnt vmcnt(1)
	v_or_b32_e32 v0, v2, v0
	s_waitcnt vmcnt(0)
	v_or_b32_e32 v1, v3, v1
	buffer_store_dword v1, off, s[0:3], s32 offset:1068 ; 4-byte Folded Spill
	buffer_store_dword v0, off, s[0:3], s32 offset:1072 ; 4-byte Folded Spill
	buffer_load_dword v0, off, s[0:3], s32 offset:564 ; 4-byte Folded Reload
	s_nop 0
	buffer_load_dword v1, off, s[0:3], s32 offset:568 ; 4-byte Folded Reload
	buffer_load_dword v2, off, s[0:3], s32 offset:572 ; 4-byte Folded Reload
	buffer_load_dword v3, off, s[0:3], s32 offset:576 ; 4-byte Folded Reload
	s_waitcnt vmcnt(1)
	v_or_b32_e32 v0, v2, v0
	s_waitcnt vmcnt(0)
	v_or_b32_e32 v1, v3, v1
	buffer_store_dword v1, off, s[0:3], s32 offset:1076 ; 4-byte Folded Spill
	buffer_store_dword v0, off, s[0:3], s32 offset:1080 ; 4-byte Folded Spill
	buffer_load_dword v0, off, s[0:3], s32 offset:548 ; 4-byte Folded Reload
	s_nop 0
	buffer_load_dword v1, off, s[0:3], s32 offset:552 ; 4-byte Folded Reload
	buffer_load_dword v2, off, s[0:3], s32 offset:556 ; 4-byte Folded Reload
	;; [unrolled: 1-line block ×3, first 2 shown]
	s_waitcnt vmcnt(1)
	v_or_b32_e32 v0, v2, v0
	buffer_store_dword v0, off, s[0:3], s32 offset:1084 ; 4-byte Folded Spill
	s_waitcnt vmcnt(1)
	v_or_b32_e32 v63, v3, v1
	buffer_load_dword v0, off, s[0:3], s32 offset:532 ; 4-byte Folded Reload
	buffer_load_dword v1, off, s[0:3], s32 offset:536 ; 4-byte Folded Reload
	buffer_load_dword v2, off, s[0:3], s32 offset:540 ; 4-byte Folded Reload
	buffer_load_dword v3, off, s[0:3], s32 offset:544 ; 4-byte Folded Reload
	s_waitcnt vmcnt(1)
	v_or_b32_e32 v59, v2, v0
	s_waitcnt vmcnt(0)
	v_or_b32_e32 v16, v3, v1
	buffer_load_dword v0, off, s[0:3], s32 offset:516 ; 4-byte Folded Reload
	buffer_load_dword v1, off, s[0:3], s32 offset:520 ; 4-byte Folded Reload
	;; [unrolled: 1-line block ×4, first 2 shown]
	s_waitcnt vmcnt(1)
	v_or_b32_e32 v0, v2, v0
	buffer_store_dword v0, off, s[0:3], s32 offset:1088 ; 4-byte Folded Spill
	s_waitcnt vmcnt(1)
	v_or_b32_e32 v30, v3, v1
	buffer_load_dword v0, off, s[0:3], s32 offset:500 ; 4-byte Folded Reload
	buffer_load_dword v1, off, s[0:3], s32 offset:504 ; 4-byte Folded Reload
	;; [unrolled: 1-line block ×4, first 2 shown]
	s_waitcnt vmcnt(1)
	v_or_b32_e32 v55, v2, v0
	s_waitcnt vmcnt(0)
	v_or_b32_e32 v28, v3, v1
	buffer_load_dword v0, off, s[0:3], s32 offset:484 ; 4-byte Folded Reload
	buffer_load_dword v1, off, s[0:3], s32 offset:488 ; 4-byte Folded Reload
	;; [unrolled: 1-line block ×4, first 2 shown]
	v_mul_f32_e32 v55, v42, v55
	s_waitcnt vmcnt(1)
	v_or_b32_e32 v21, v2, v0
	s_waitcnt vmcnt(0)
	v_or_b32_e32 v24, v3, v1
	buffer_load_dword v0, off, s[0:3], s32 offset:468 ; 4-byte Folded Reload
	buffer_load_dword v1, off, s[0:3], s32 offset:472 ; 4-byte Folded Reload
	;; [unrolled: 1-line block ×4, first 2 shown]
	s_waitcnt vmcnt(1)
	v_or_b32_e32 v44, v2, v0
	s_waitcnt vmcnt(0)
	v_or_b32_e32 v43, v3, v1
	buffer_load_dword v0, off, s[0:3], s32 offset:452 ; 4-byte Folded Reload
	buffer_load_dword v1, off, s[0:3], s32 offset:456 ; 4-byte Folded Reload
	;; [unrolled: 1-line block ×4, first 2 shown]
	v_mul_f32_e32 v43, v42, v43
	v_mul_f32_e32 v44, v42, v44
	s_waitcnt vmcnt(1)
	v_or_b32_e32 v37, v2, v0
	s_waitcnt vmcnt(0)
	v_or_b32_e32 v35, v3, v1
	buffer_load_dword v0, off, s[0:3], s32 offset:436 ; 4-byte Folded Reload
	buffer_load_dword v1, off, s[0:3], s32 offset:440 ; 4-byte Folded Reload
	;; [unrolled: 1-line block ×4, first 2 shown]
	v_mul_f32_e32 v35, v42, v35
	v_mul_f32_e32 v37, v42, v37
	s_waitcnt vmcnt(1)
	v_or_b32_e32 v0, v2, v0
	buffer_store_dword v0, off, s[0:3], s32 offset:1092 ; 4-byte Folded Spill
	s_waitcnt vmcnt(1)
	v_or_b32_e32 v47, v3, v1
	buffer_load_dword v0, off, s[0:3], s32 offset:420 ; 4-byte Folded Reload
	buffer_load_dword v1, off, s[0:3], s32 offset:424 ; 4-byte Folded Reload
	;; [unrolled: 1-line block ×4, first 2 shown]
	v_mul_f32_e32 v47, v42, v47
	s_waitcnt vmcnt(1)
	v_or_b32_e32 v0, v2, v0
	s_waitcnt vmcnt(0)
	v_or_b32_e32 v1, v3, v1
	buffer_store_dword v1, off, s[0:3], s32 offset:1096 ; 4-byte Folded Spill
	buffer_store_dword v0, off, s[0:3], s32 offset:1100 ; 4-byte Folded Spill
	buffer_load_dword v0, off, s[0:3], s32 offset:404 ; 4-byte Folded Reload
	s_nop 0
	buffer_load_dword v1, off, s[0:3], s32 offset:408 ; 4-byte Folded Reload
	buffer_load_dword v2, off, s[0:3], s32 offset:412 ; 4-byte Folded Reload
	;; [unrolled: 1-line block ×3, first 2 shown]
	s_waitcnt vmcnt(1)
	v_or_b32_e32 v56, v2, v0
	s_waitcnt vmcnt(0)
	v_or_b32_e32 v14, v3, v1
	buffer_load_dword v0, off, s[0:3], s32 offset:388 ; 4-byte Folded Reload
	buffer_load_dword v1, off, s[0:3], s32 offset:392 ; 4-byte Folded Reload
	;; [unrolled: 1-line block ×4, first 2 shown]
	v_mul_f32_e32 v56, v42, v56
	s_waitcnt vmcnt(1)
	v_or_b32_e32 v11, v2, v0
	s_waitcnt vmcnt(0)
	v_or_b32_e32 v8, v3, v1
	buffer_load_dword v0, off, s[0:3], s32 offset:372 ; 4-byte Folded Reload
	buffer_load_dword v1, off, s[0:3], s32 offset:376 ; 4-byte Folded Reload
	buffer_load_dword v2, off, s[0:3], s32 offset:380 ; 4-byte Folded Reload
	buffer_load_dword v3, off, s[0:3], s32 offset:384 ; 4-byte Folded Reload
	s_waitcnt vmcnt(1)
	v_or_b32_e32 v7, v2, v0
	s_waitcnt vmcnt(0)
	v_or_b32_e32 v6, v3, v1
	buffer_load_dword v0, off, s[0:3], s32 offset:356 ; 4-byte Folded Reload
	buffer_load_dword v1, off, s[0:3], s32 offset:360 ; 4-byte Folded Reload
	buffer_load_dword v2, off, s[0:3], s32 offset:364 ; 4-byte Folded Reload
	buffer_load_dword v3, off, s[0:3], s32 offset:368 ; 4-byte Folded Reload
	;; [unrolled: 8-line block ×3, first 2 shown]
	s_waitcnt vmcnt(0)
	v_or_b32_e32 v41, v3, v1
	v_or_b32_e32 v3, v2, v0
	buffer_load_dword v0, off, s[0:3], s32 offset:324 ; 4-byte Folded Reload
	buffer_load_dword v1, off, s[0:3], s32 offset:328 ; 4-byte Folded Reload
	;; [unrolled: 1-line block ×4, first 2 shown]
	v_mul_f32_e32 v41, v42, v41
	s_waitcnt vmcnt(1)
	v_or_b32_e32 v61, v12, v0
	s_waitcnt vmcnt(0)
	v_or_b32_e32 v40, v13, v1
	buffer_load_dword v0, off, s[0:3], s32 offset:308 ; 4-byte Folded Reload
	buffer_load_dword v1, off, s[0:3], s32 offset:312 ; 4-byte Folded Reload
	;; [unrolled: 1-line block ×4, first 2 shown]
	v_mul_f32_e32 v61, v42, v61
	s_waitcnt vmcnt(1)
	v_or_b32_e32 v58, v12, v0
	s_waitcnt vmcnt(0)
	v_or_b32_e32 v62, v13, v1
	buffer_load_dword v0, off, s[0:3], s32 offset:292 ; 4-byte Folded Reload
	buffer_load_dword v1, off, s[0:3], s32 offset:296 ; 4-byte Folded Reload
	buffer_load_dword v12, off, s[0:3], s32 offset:300 ; 4-byte Folded Reload
	buffer_load_dword v13, off, s[0:3], s32 offset:304 ; 4-byte Folded Reload
	v_mul_f32_e32 v62, v42, v62
	v_mul_f32_e32 v58, v42, v58
	s_waitcnt vmcnt(1)
	v_or_b32_e32 v48, v12, v0
	s_waitcnt vmcnt(0)
	v_or_b32_e32 v54, v13, v1
	buffer_load_dword v0, off, s[0:3], s32 offset:276 ; 4-byte Folded Reload
	buffer_load_dword v1, off, s[0:3], s32 offset:280 ; 4-byte Folded Reload
	buffer_load_dword v12, off, s[0:3], s32 offset:284 ; 4-byte Folded Reload
	buffer_load_dword v13, off, s[0:3], s32 offset:288 ; 4-byte Folded Reload
	v_mul_f32_e32 v54, v42, v54
	;; [unrolled: 10-line block ×10, first 2 shown]
	s_waitcnt vmcnt(0)
	v_or_b32_e32 v25, v18, v13
	v_or_b32_e32 v18, v17, v12
	buffer_load_dword v12, off, s[0:3], s32 offset:132 ; 4-byte Folded Reload
	buffer_load_dword v13, off, s[0:3], s32 offset:136 ; 4-byte Folded Reload
	;; [unrolled: 1-line block ×4, first 2 shown]
	v_mul_f32_e32 v25, v42, v25
	v_mul_f32_e32 v18, v42, v18
	s_waitcnt vmcnt(1)
	v_or_b32_e32 v15, v45, v12
	s_waitcnt vmcnt(0)
	v_or_b32_e32 v0, v46, v13
	buffer_load_dword v12, off, s[0:3], s32 offset:116 ; 4-byte Folded Reload
	buffer_load_dword v13, off, s[0:3], s32 offset:120 ; 4-byte Folded Reload
	;; [unrolled: 1-line block ×4, first 2 shown]
	v_mul_f32_e32 v15, v42, v15
	s_waitcnt vmcnt(1)
	v_or_b32_e32 v60, v45, v12
	s_waitcnt vmcnt(0)
	v_or_b32_e32 v17, v46, v13
	buffer_load_dword v45, off, s[0:3], s32 offset:100 ; 4-byte Folded Reload
	buffer_load_dword v46, off, s[0:3], s32 offset:104 ; 4-byte Folded Reload
	;; [unrolled: 1-line block ×4, first 2 shown]
	v_mul_f32_e32 v60, v42, v60
	s_waitcnt vmcnt(1)
	v_or_b32_e32 v57, v12, v45
	s_waitcnt vmcnt(0)
	v_or_b32_e32 v2, v13, v46
	buffer_load_dword v12, off, s[0:3], s32 offset:972 ; 4-byte Folded Reload
	buffer_load_dword v13, off, s[0:3], s32 offset:976 ; 4-byte Folded Reload
	v_mul_f32_e32 v46, v42, v30
	v_mul_f32_e32 v30, v42, v28
	;; [unrolled: 1-line block ×8, first 2 shown]
	s_waitcnt vmcnt(1)
	v_or_b32_e32 v53, v9, v12
	buffer_load_dword v9, off, s[0:3], s32 offset:980 ; 4-byte Folded Reload
	s_waitcnt vmcnt(1)
	v_or_b32_e32 v39, v10, v13
	v_mul_f32_e32 v13, v42, v16
	v_mul_f32_e32 v16, v42, v14
	;; [unrolled: 1-line block ×11, first 2 shown]
	s_waitcnt vmcnt(0)
	v_mul_f32_e32 v9, v42, v9
	buffer_store_dword v9, off, s[0:3], s32 offset:100 ; 4-byte Folded Spill
	buffer_load_dword v9, off, s[0:3], s32 offset:984 ; 4-byte Folded Reload
	s_waitcnt vmcnt(0)
	v_mul_f32_e32 v9, v42, v9
	buffer_store_dword v9, off, s[0:3], s32 offset:108 ; 4-byte Folded Spill
	buffer_load_dword v9, off, s[0:3], s32 offset:992 ; 4-byte Folded Reload
	;; [unrolled: 4-line block ×67, first 2 shown]
	s_waitcnt vmcnt(0)
	v_mul_f32_e32 v9, v42, v9
	buffer_store_dword v9, off, s[0:3], s32 offset:636 ; 4-byte Folded Spill
	v_mul_f32_e32 v9, v42, v63
	buffer_store_dword v9, off, s[0:3], s32 offset:644 ; 4-byte Folded Spill
	buffer_load_dword v9, off, s[0:3], s32 offset:1084 ; 4-byte Folded Reload
	s_waitcnt vmcnt(0)
	v_mul_f32_e32 v9, v42, v9
	buffer_store_dword v9, off, s[0:3], s32 offset:652 ; 4-byte Folded Spill
	v_mul_f32_e32 v9, v42, v59
	buffer_store_dword v9, off, s[0:3], s32 offset:660 ; 4-byte Folded Spill
	buffer_load_dword v9, off, s[0:3], s32 offset:1088 ; 4-byte Folded Reload
	s_waitcnt vmcnt(0)
	v_mul_f32_e32 v45, v42, v9
	buffer_load_dword v9, off, s[0:3], s32 offset:1092 ; 4-byte Folded Reload
	s_waitcnt vmcnt(0)
	v_mul_f32_e32 v63, v42, v9
	;; [unrolled: 3-line block ×4, first 2 shown]
	v_mul_f32_e32 v9, v42, v0
	buffer_load_dword v0, off, s[0:3], s32 offset:1124 ; 4-byte Folded Reload
	buffer_load_dword v1, off, s[0:3], s32 offset:1128 ; 4-byte Folded Reload
	;; [unrolled: 1-line block ×4, first 2 shown]
	v_mul_f32_e32 v42, v42, v53
	s_waitcnt vmcnt(1)
	v_mul_f32_e32 v53, v2, v60
	s_waitcnt vmcnt(0)
	v_mul_f32_e32 v40, v3, v40
	v_fmac_f32_e32 v53, v0, v57
	v_fmac_f32_e32 v40, v1, v17
	buffer_load_dword v0, off, s[0:3], s32 offset:1140 ; 4-byte Folded Reload
	buffer_load_dword v1, off, s[0:3], s32 offset:1144 ; 4-byte Folded Reload
	buffer_load_dword v2, off, s[0:3], s32 offset:1148 ; 4-byte Folded Reload
	buffer_load_dword v3, off, s[0:3], s32 offset:1152 ; 4-byte Folded Reload
	s_waitcnt vmcnt(3)
	v_fmac_f32_e32 v53, v0, v15
	s_waitcnt vmcnt(2)
	v_fmac_f32_e32 v40, v1, v9
	s_waitcnt vmcnt(1)
	v_fmac_f32_e32 v53, v2, v18
	s_waitcnt vmcnt(0)
	v_fmac_f32_e32 v40, v3, v25
	buffer_load_dword v0, off, s[0:3], s32 offset:1156 ; 4-byte Folded Reload
	buffer_load_dword v1, off, s[0:3], s32 offset:1160 ; 4-byte Folded Reload
	buffer_load_dword v2, off, s[0:3], s32 offset:1164 ; 4-byte Folded Reload
	buffer_load_dword v3, off, s[0:3], s32 offset:1168 ; 4-byte Folded Reload
	s_waitcnt vmcnt(3)
	v_fmac_f32_e32 v53, v0, v20
	s_waitcnt vmcnt(2)
	v_fmac_f32_e32 v40, v1, v5
	s_waitcnt vmcnt(1)
	v_fmac_f32_e32 v53, v2, v27
	s_waitcnt vmcnt(0)
	v_fmac_f32_e32 v40, v3, v31
	buffer_load_dword v0, off, s[0:3], s32 offset:1172 ; 4-byte Folded Reload
	buffer_load_dword v1, off, s[0:3], s32 offset:1176 ; 4-byte Folded Reload
	buffer_load_dword v2, off, s[0:3], s32 offset:1180 ; 4-byte Folded Reload
	buffer_load_dword v3, off, s[0:3], s32 offset:1184 ; 4-byte Folded Reload
	s_waitcnt vmcnt(3)
	v_fmac_f32_e32 v53, v0, v29
	s_waitcnt vmcnt(2)
	v_fmac_f32_e32 v40, v1, v26
	s_waitcnt vmcnt(1)
	v_fmac_f32_e32 v53, v2, v19
	s_waitcnt vmcnt(0)
	v_fmac_f32_e32 v40, v3, v34
	buffer_load_dword v0, off, s[0:3], s32 offset:1188 ; 4-byte Folded Reload
	buffer_load_dword v1, off, s[0:3], s32 offset:1192 ; 4-byte Folded Reload
	buffer_load_dword v2, off, s[0:3], s32 offset:1196 ; 4-byte Folded Reload
	buffer_load_dword v3, off, s[0:3], s32 offset:1200 ; 4-byte Folded Reload
	s_waitcnt vmcnt(3)
	v_fmac_f32_e32 v53, v0, v33
	s_waitcnt vmcnt(2)
	v_fmac_f32_e32 v40, v1, v32
	s_waitcnt vmcnt(1)
	v_fmac_f32_e32 v53, v2, v52
	s_waitcnt vmcnt(0)
	v_fmac_f32_e32 v40, v3, v51
	buffer_load_dword v0, off, s[0:3], s32 offset:1204 ; 4-byte Folded Reload
	buffer_load_dword v1, off, s[0:3], s32 offset:1208 ; 4-byte Folded Reload
	buffer_load_dword v2, off, s[0:3], s32 offset:1212 ; 4-byte Folded Reload
	buffer_load_dword v3, off, s[0:3], s32 offset:1216 ; 4-byte Folded Reload
	s_waitcnt vmcnt(3)
	v_fmac_f32_e32 v53, v0, v36
	s_waitcnt vmcnt(2)
	v_fmac_f32_e32 v40, v1, v38
	s_waitcnt vmcnt(1)
	v_fmac_f32_e32 v53, v2, v50
	s_waitcnt vmcnt(0)
	v_fmac_f32_e32 v40, v3, v49
	buffer_load_dword v0, off, s[0:3], s32 offset:1220 ; 4-byte Folded Reload
	buffer_load_dword v1, off, s[0:3], s32 offset:1224 ; 4-byte Folded Reload
	buffer_load_dword v2, off, s[0:3], s32 offset:1228 ; 4-byte Folded Reload
	buffer_load_dword v3, off, s[0:3], s32 offset:1232 ; 4-byte Folded Reload
	s_waitcnt vmcnt(3)
	v_fmac_f32_e32 v53, v0, v48
	s_waitcnt vmcnt(2)
	v_fmac_f32_e32 v40, v1, v54
	s_waitcnt vmcnt(1)
	v_fmac_f32_e32 v53, v2, v58
	s_waitcnt vmcnt(0)
	v_fmac_f32_e32 v40, v3, v62
	buffer_load_dword v0, off, s[0:3], s32 offset:1236 ; 4-byte Folded Reload
	buffer_load_dword v1, off, s[0:3], s32 offset:1240 ; 4-byte Folded Reload
	buffer_load_dword v2, off, s[0:3], s32 offset:1244 ; 4-byte Folded Reload
	buffer_load_dword v3, off, s[0:3], s32 offset:1248 ; 4-byte Folded Reload
	s_waitcnt vmcnt(3)
	v_fmac_f32_e32 v53, v0, v61
	s_waitcnt vmcnt(2)
	v_fmac_f32_e32 v40, v1, v21
	s_waitcnt vmcnt(1)
	v_fmac_f32_e32 v53, v2, v4
	s_waitcnt vmcnt(0)
	v_fmac_f32_e32 v40, v3, v41
	buffer_load_dword v0, off, s[0:3], s32 offset:1252 ; 4-byte Folded Reload
	buffer_load_dword v1, off, s[0:3], s32 offset:1256 ; 4-byte Folded Reload
	buffer_load_dword v2, off, s[0:3], s32 offset:1260 ; 4-byte Folded Reload
	buffer_load_dword v3, off, s[0:3], s32 offset:1264 ; 4-byte Folded Reload
	s_waitcnt vmcnt(3)
	v_fmac_f32_e32 v53, v0, v7
	s_waitcnt vmcnt(2)
	v_fmac_f32_e32 v40, v1, v6
	s_waitcnt vmcnt(1)
	v_fmac_f32_e32 v53, v2, v11
	s_waitcnt vmcnt(0)
	v_fmac_f32_e32 v40, v3, v8
	buffer_load_dword v0, off, s[0:3], s32 offset:1268 ; 4-byte Folded Reload
	buffer_load_dword v1, off, s[0:3], s32 offset:1272 ; 4-byte Folded Reload
	buffer_load_dword v2, off, s[0:3], s32 offset:1276 ; 4-byte Folded Reload
	buffer_load_dword v3, off, s[0:3], s32 offset:1280 ; 4-byte Folded Reload
	s_waitcnt vmcnt(3)
	v_fmac_f32_e32 v53, v0, v14
	s_waitcnt vmcnt(2)
	v_fmac_f32_e32 v40, v1, v10
	s_waitcnt vmcnt(1)
	v_fmac_f32_e32 v53, v2, v56
	s_waitcnt vmcnt(0)
	v_fmac_f32_e32 v40, v3, v16
	buffer_load_dword v0, off, s[0:3], s32 offset:1284 ; 4-byte Folded Reload
	buffer_load_dword v1, off, s[0:3], s32 offset:1288 ; 4-byte Folded Reload
	buffer_load_dword v2, off, s[0:3], s32 offset:1292 ; 4-byte Folded Reload
	buffer_load_dword v3, off, s[0:3], s32 offset:1296 ; 4-byte Folded Reload
	s_waitcnt vmcnt(3)
	v_fmac_f32_e32 v53, v0, v59
	s_waitcnt vmcnt(2)
	v_fmac_f32_e32 v40, v1, v12
	s_waitcnt vmcnt(1)
	v_fmac_f32_e32 v53, v2, v63
	s_waitcnt vmcnt(0)
	v_fmac_f32_e32 v40, v3, v47
	buffer_load_dword v0, off, s[0:3], s32 offset:1300 ; 4-byte Folded Reload
	buffer_load_dword v1, off, s[0:3], s32 offset:1304 ; 4-byte Folded Reload
	buffer_load_dword v2, off, s[0:3], s32 offset:1308 ; 4-byte Folded Reload
	buffer_load_dword v3, off, s[0:3], s32 offset:1312 ; 4-byte Folded Reload
	s_waitcnt vmcnt(3)
	v_fmac_f32_e32 v53, v0, v37
	s_waitcnt vmcnt(2)
	v_fmac_f32_e32 v40, v1, v35
	s_waitcnt vmcnt(1)
	v_fmac_f32_e32 v53, v2, v44
	s_waitcnt vmcnt(0)
	v_fmac_f32_e32 v40, v3, v43
	buffer_load_dword v0, off, s[0:3], s32 offset:1316 ; 4-byte Folded Reload
	buffer_load_dword v1, off, s[0:3], s32 offset:1320 ; 4-byte Folded Reload
	buffer_load_dword v2, off, s[0:3], s32 offset:1324 ; 4-byte Folded Reload
	buffer_load_dword v3, off, s[0:3], s32 offset:1328 ; 4-byte Folded Reload
	s_waitcnt vmcnt(3)
	v_fmac_f32_e32 v53, v0, v24
	s_waitcnt vmcnt(2)
	v_fmac_f32_e32 v40, v1, v28
	s_waitcnt vmcnt(1)
	v_fmac_f32_e32 v53, v2, v55
	s_waitcnt vmcnt(0)
	v_fmac_f32_e32 v40, v3, v30
	buffer_load_dword v0, off, s[0:3], s32 offset:1336 ; 4-byte Folded Reload
	buffer_load_dword v1, off, s[0:3], s32 offset:1340 ; 4-byte Folded Reload
	;; [unrolled: 1-line block ×4, first 2 shown]
	s_waitcnt vmcnt(3)
	v_fmac_f32_e32 v53, v0, v45
	buffer_load_dword v0, off, s[0:3], s32 offset:660 ; 4-byte Folded Reload
	s_waitcnt vmcnt(3)
	v_fmac_f32_e32 v40, v1, v46
	s_waitcnt vmcnt(1)
	v_fmac_f32_e32 v40, v3, v13
	;; [unrolled: 2-line block ×3, first 2 shown]
	buffer_load_dword v0, off, s[0:3], s32 offset:1352 ; 4-byte Folded Reload
	buffer_load_dword v1, off, s[0:3], s32 offset:1356 ; 4-byte Folded Reload
	buffer_load_dword v2, off, s[0:3], s32 offset:1360 ; 4-byte Folded Reload
	buffer_load_dword v3, off, s[0:3], s32 offset:1364 ; 4-byte Folded Reload
	buffer_load_dword v4, off, s[0:3], s32 offset:652 ; 4-byte Folded Reload
	s_waitcnt vmcnt(0)
	v_fmac_f32_e32 v53, v0, v4
	buffer_load_dword v0, off, s[0:3], s32 offset:644 ; 4-byte Folded Reload
	s_waitcnt vmcnt(0)
	v_fmac_f32_e32 v40, v1, v0
	buffer_load_dword v0, off, s[0:3], s32 offset:636 ; 4-byte Folded Reload
	s_waitcnt vmcnt(0)
	v_fmac_f32_e32 v53, v2, v0
	buffer_load_dword v0, off, s[0:3], s32 offset:628 ; 4-byte Folded Reload
	s_waitcnt vmcnt(0)
	v_fmac_f32_e32 v40, v3, v0
	buffer_load_dword v0, off, s[0:3], s32 offset:1368 ; 4-byte Folded Reload
	buffer_load_dword v1, off, s[0:3], s32 offset:1372 ; 4-byte Folded Reload
	buffer_load_dword v2, off, s[0:3], s32 offset:1376 ; 4-byte Folded Reload
	buffer_load_dword v3, off, s[0:3], s32 offset:1380 ; 4-byte Folded Reload
	buffer_load_dword v4, off, s[0:3], s32 offset:620 ; 4-byte Folded Reload
	s_waitcnt vmcnt(0)
	v_fmac_f32_e32 v53, v0, v4
	buffer_load_dword v0, off, s[0:3], s32 offset:612 ; 4-byte Folded Reload
	s_waitcnt vmcnt(0)
	v_fmac_f32_e32 v40, v1, v0
	buffer_load_dword v0, off, s[0:3], s32 offset:596 ; 4-byte Folded Reload
	s_waitcnt vmcnt(0)
	v_fmac_f32_e32 v53, v2, v0
	buffer_load_dword v0, off, s[0:3], s32 offset:604 ; 4-byte Folded Reload
	s_waitcnt vmcnt(0)
	v_fmac_f32_e32 v40, v3, v0
	buffer_load_dword v0, off, s[0:3], s32 offset:1384 ; 4-byte Folded Reload
	buffer_load_dword v1, off, s[0:3], s32 offset:1388 ; 4-byte Folded Reload
	buffer_load_dword v2, off, s[0:3], s32 offset:1392 ; 4-byte Folded Reload
	buffer_load_dword v3, off, s[0:3], s32 offset:1396 ; 4-byte Folded Reload
	buffer_load_dword v4, off, s[0:3], s32 offset:588 ; 4-byte Folded Reload
	s_waitcnt vmcnt(0)
	v_fmac_f32_e32 v53, v0, v4
	buffer_load_dword v0, off, s[0:3], s32 offset:580 ; 4-byte Folded Reload
	s_waitcnt vmcnt(0)
	v_fmac_f32_e32 v40, v1, v0
	buffer_load_dword v0, off, s[0:3], s32 offset:572 ; 4-byte Folded Reload
	s_waitcnt vmcnt(0)
	v_fmac_f32_e32 v53, v2, v0
	buffer_load_dword v0, off, s[0:3], s32 offset:564 ; 4-byte Folded Reload
	s_waitcnt vmcnt(0)
	v_fmac_f32_e32 v40, v3, v0
	buffer_load_dword v0, off, s[0:3], s32 offset:1400 ; 4-byte Folded Reload
	buffer_load_dword v1, off, s[0:3], s32 offset:1404 ; 4-byte Folded Reload
	buffer_load_dword v2, off, s[0:3], s32 offset:1408 ; 4-byte Folded Reload
	buffer_load_dword v3, off, s[0:3], s32 offset:1412 ; 4-byte Folded Reload
	buffer_load_dword v4, off, s[0:3], s32 offset:556 ; 4-byte Folded Reload
	s_waitcnt vmcnt(0)
	v_fmac_f32_e32 v53, v0, v4
	buffer_load_dword v0, off, s[0:3], s32 offset:548 ; 4-byte Folded Reload
	s_waitcnt vmcnt(0)
	v_fmac_f32_e32 v40, v1, v0
	buffer_load_dword v0, off, s[0:3], s32 offset:540 ; 4-byte Folded Reload
	s_waitcnt vmcnt(0)
	v_fmac_f32_e32 v53, v2, v0
	buffer_load_dword v0, off, s[0:3], s32 offset:532 ; 4-byte Folded Reload
	s_waitcnt vmcnt(0)
	v_fmac_f32_e32 v40, v3, v0
	buffer_load_dword v0, off, s[0:3], s32 offset:1416 ; 4-byte Folded Reload
	buffer_load_dword v1, off, s[0:3], s32 offset:1420 ; 4-byte Folded Reload
	buffer_load_dword v2, off, s[0:3], s32 offset:1424 ; 4-byte Folded Reload
	buffer_load_dword v3, off, s[0:3], s32 offset:1428 ; 4-byte Folded Reload
	buffer_load_dword v4, off, s[0:3], s32 offset:524 ; 4-byte Folded Reload
	s_waitcnt vmcnt(0)
	v_fmac_f32_e32 v53, v0, v4
	buffer_load_dword v0, off, s[0:3], s32 offset:516 ; 4-byte Folded Reload
	s_waitcnt vmcnt(0)
	v_fmac_f32_e32 v40, v1, v0
	buffer_load_dword v0, off, s[0:3], s32 offset:508 ; 4-byte Folded Reload
	s_waitcnt vmcnt(0)
	v_fmac_f32_e32 v53, v2, v0
	buffer_load_dword v0, off, s[0:3], s32 offset:500 ; 4-byte Folded Reload
	s_waitcnt vmcnt(0)
	v_fmac_f32_e32 v40, v3, v0
	buffer_load_dword v0, off, s[0:3], s32 offset:1432 ; 4-byte Folded Reload
	buffer_load_dword v1, off, s[0:3], s32 offset:1436 ; 4-byte Folded Reload
	buffer_load_dword v2, off, s[0:3], s32 offset:1440 ; 4-byte Folded Reload
	buffer_load_dword v3, off, s[0:3], s32 offset:1444 ; 4-byte Folded Reload
	buffer_load_dword v4, off, s[0:3], s32 offset:492 ; 4-byte Folded Reload
	s_waitcnt vmcnt(0)
	v_fmac_f32_e32 v53, v0, v4
	buffer_load_dword v0, off, s[0:3], s32 offset:484 ; 4-byte Folded Reload
	s_waitcnt vmcnt(0)
	v_fmac_f32_e32 v40, v1, v0
	buffer_load_dword v0, off, s[0:3], s32 offset:476 ; 4-byte Folded Reload
	s_waitcnt vmcnt(0)
	v_fmac_f32_e32 v53, v2, v0
	buffer_load_dword v0, off, s[0:3], s32 offset:468 ; 4-byte Folded Reload
	s_waitcnt vmcnt(0)
	v_fmac_f32_e32 v40, v3, v0
	buffer_load_dword v0, off, s[0:3], s32 offset:1448 ; 4-byte Folded Reload
	buffer_load_dword v1, off, s[0:3], s32 offset:1452 ; 4-byte Folded Reload
	buffer_load_dword v2, off, s[0:3], s32 offset:1456 ; 4-byte Folded Reload
	buffer_load_dword v3, off, s[0:3], s32 offset:1460 ; 4-byte Folded Reload
	buffer_load_dword v4, off, s[0:3], s32 offset:460 ; 4-byte Folded Reload
	s_waitcnt vmcnt(0)
	v_fmac_f32_e32 v53, v0, v4
	buffer_load_dword v0, off, s[0:3], s32 offset:452 ; 4-byte Folded Reload
	s_waitcnt vmcnt(0)
	v_fmac_f32_e32 v40, v1, v0
	buffer_load_dword v0, off, s[0:3], s32 offset:444 ; 4-byte Folded Reload
	s_waitcnt vmcnt(0)
	v_fmac_f32_e32 v53, v2, v0
	buffer_load_dword v0, off, s[0:3], s32 offset:436 ; 4-byte Folded Reload
	s_waitcnt vmcnt(0)
	v_fmac_f32_e32 v40, v3, v0
	buffer_load_dword v0, off, s[0:3], s32 offset:1464 ; 4-byte Folded Reload
	buffer_load_dword v1, off, s[0:3], s32 offset:1468 ; 4-byte Folded Reload
	buffer_load_dword v2, off, s[0:3], s32 offset:1472 ; 4-byte Folded Reload
	buffer_load_dword v3, off, s[0:3], s32 offset:1476 ; 4-byte Folded Reload
	buffer_load_dword v4, off, s[0:3], s32 offset:428 ; 4-byte Folded Reload
	s_waitcnt vmcnt(0)
	v_fmac_f32_e32 v53, v0, v4
	buffer_load_dword v0, off, s[0:3], s32 offset:420 ; 4-byte Folded Reload
	s_waitcnt vmcnt(0)
	v_fmac_f32_e32 v40, v1, v0
	buffer_load_dword v0, off, s[0:3], s32 offset:412 ; 4-byte Folded Reload
	s_waitcnt vmcnt(0)
	v_fmac_f32_e32 v53, v2, v0
	buffer_load_dword v0, off, s[0:3], s32 offset:404 ; 4-byte Folded Reload
	s_waitcnt vmcnt(0)
	v_fmac_f32_e32 v40, v3, v0
	buffer_load_dword v0, off, s[0:3], s32 offset:1480 ; 4-byte Folded Reload
	buffer_load_dword v1, off, s[0:3], s32 offset:1484 ; 4-byte Folded Reload
	buffer_load_dword v2, off, s[0:3], s32 offset:1488 ; 4-byte Folded Reload
	buffer_load_dword v3, off, s[0:3], s32 offset:1492 ; 4-byte Folded Reload
	buffer_load_dword v4, off, s[0:3], s32 offset:396 ; 4-byte Folded Reload
	s_waitcnt vmcnt(0)
	v_fmac_f32_e32 v53, v0, v4
	buffer_load_dword v0, off, s[0:3], s32 offset:388 ; 4-byte Folded Reload
	s_waitcnt vmcnt(0)
	v_fmac_f32_e32 v40, v1, v0
	buffer_load_dword v0, off, s[0:3], s32 offset:380 ; 4-byte Folded Reload
	s_waitcnt vmcnt(0)
	v_fmac_f32_e32 v53, v2, v0
	buffer_load_dword v0, off, s[0:3], s32 offset:372 ; 4-byte Folded Reload
	s_waitcnt vmcnt(0)
	v_fmac_f32_e32 v40, v3, v0
	buffer_load_dword v0, off, s[0:3], s32 offset:1496 ; 4-byte Folded Reload
	buffer_load_dword v1, off, s[0:3], s32 offset:1500 ; 4-byte Folded Reload
	buffer_load_dword v2, off, s[0:3], s32 offset:1504 ; 4-byte Folded Reload
	buffer_load_dword v3, off, s[0:3], s32 offset:1508 ; 4-byte Folded Reload
	buffer_load_dword v4, off, s[0:3], s32 offset:364 ; 4-byte Folded Reload
	s_waitcnt vmcnt(0)
	v_fmac_f32_e32 v53, v0, v4
	buffer_load_dword v0, off, s[0:3], s32 offset:356 ; 4-byte Folded Reload
	s_waitcnt vmcnt(0)
	v_fmac_f32_e32 v40, v1, v0
	buffer_load_dword v0, off, s[0:3], s32 offset:348 ; 4-byte Folded Reload
	s_waitcnt vmcnt(0)
	v_fmac_f32_e32 v53, v2, v0
	buffer_load_dword v0, off, s[0:3], s32 offset:340 ; 4-byte Folded Reload
	s_waitcnt vmcnt(0)
	v_fmac_f32_e32 v40, v3, v0
	buffer_load_dword v0, off, s[0:3], s32 offset:1512 ; 4-byte Folded Reload
	buffer_load_dword v1, off, s[0:3], s32 offset:1516 ; 4-byte Folded Reload
	buffer_load_dword v2, off, s[0:3], s32 offset:1520 ; 4-byte Folded Reload
	buffer_load_dword v3, off, s[0:3], s32 offset:1524 ; 4-byte Folded Reload
	buffer_load_dword v4, off, s[0:3], s32 offset:332 ; 4-byte Folded Reload
	s_waitcnt vmcnt(0)
	v_fmac_f32_e32 v53, v0, v4
	buffer_load_dword v0, off, s[0:3], s32 offset:324 ; 4-byte Folded Reload
	s_waitcnt vmcnt(0)
	v_fmac_f32_e32 v40, v1, v0
	buffer_load_dword v0, off, s[0:3], s32 offset:316 ; 4-byte Folded Reload
	s_waitcnt vmcnt(0)
	v_fmac_f32_e32 v53, v2, v0
	buffer_load_dword v0, off, s[0:3], s32 offset:308 ; 4-byte Folded Reload
	s_waitcnt vmcnt(0)
	v_fmac_f32_e32 v40, v3, v0
	buffer_load_dword v0, off, s[0:3], s32 offset:1528 ; 4-byte Folded Reload
	buffer_load_dword v1, off, s[0:3], s32 offset:1532 ; 4-byte Folded Reload
	buffer_load_dword v2, off, s[0:3], s32 offset:1536 ; 4-byte Folded Reload
	buffer_load_dword v3, off, s[0:3], s32 offset:1540 ; 4-byte Folded Reload
	buffer_load_dword v4, off, s[0:3], s32 offset:300 ; 4-byte Folded Reload
	s_waitcnt vmcnt(0)
	v_fmac_f32_e32 v53, v0, v4
	buffer_load_dword v0, off, s[0:3], s32 offset:292 ; 4-byte Folded Reload
	s_waitcnt vmcnt(0)
	v_fmac_f32_e32 v40, v1, v0
	buffer_load_dword v0, off, s[0:3], s32 offset:284 ; 4-byte Folded Reload
	s_waitcnt vmcnt(0)
	v_fmac_f32_e32 v53, v2, v0
	buffer_load_dword v0, off, s[0:3], s32 offset:276 ; 4-byte Folded Reload
	s_waitcnt vmcnt(0)
	v_fmac_f32_e32 v40, v3, v0
	buffer_load_dword v0, off, s[0:3], s32 offset:1544 ; 4-byte Folded Reload
	buffer_load_dword v1, off, s[0:3], s32 offset:1548 ; 4-byte Folded Reload
	buffer_load_dword v2, off, s[0:3], s32 offset:1552 ; 4-byte Folded Reload
	buffer_load_dword v3, off, s[0:3], s32 offset:1556 ; 4-byte Folded Reload
	buffer_load_dword v4, off, s[0:3], s32 offset:268 ; 4-byte Folded Reload
	s_waitcnt vmcnt(0)
	v_fmac_f32_e32 v53, v0, v4
	buffer_load_dword v0, off, s[0:3], s32 offset:260 ; 4-byte Folded Reload
	s_waitcnt vmcnt(0)
	v_fmac_f32_e32 v40, v1, v0
	buffer_load_dword v0, off, s[0:3], s32 offset:252 ; 4-byte Folded Reload
	s_waitcnt vmcnt(0)
	v_fmac_f32_e32 v53, v2, v0
	buffer_load_dword v0, off, s[0:3], s32 offset:244 ; 4-byte Folded Reload
	s_waitcnt vmcnt(0)
	v_fmac_f32_e32 v40, v3, v0
	buffer_load_dword v0, off, s[0:3], s32 offset:1560 ; 4-byte Folded Reload
	buffer_load_dword v1, off, s[0:3], s32 offset:1564 ; 4-byte Folded Reload
	buffer_load_dword v2, off, s[0:3], s32 offset:1568 ; 4-byte Folded Reload
	buffer_load_dword v3, off, s[0:3], s32 offset:1572 ; 4-byte Folded Reload
	buffer_load_dword v4, off, s[0:3], s32 offset:236 ; 4-byte Folded Reload
	s_waitcnt vmcnt(0)
	v_fmac_f32_e32 v53, v0, v4
	buffer_load_dword v0, off, s[0:3], s32 offset:228 ; 4-byte Folded Reload
	s_waitcnt vmcnt(0)
	v_fmac_f32_e32 v40, v1, v0
	buffer_load_dword v0, off, s[0:3], s32 offset:220 ; 4-byte Folded Reload
	s_waitcnt vmcnt(0)
	v_fmac_f32_e32 v53, v2, v0
	buffer_load_dword v0, off, s[0:3], s32 offset:212 ; 4-byte Folded Reload
	s_waitcnt vmcnt(0)
	v_fmac_f32_e32 v40, v3, v0
	buffer_load_dword v0, off, s[0:3], s32 offset:1576 ; 4-byte Folded Reload
	buffer_load_dword v1, off, s[0:3], s32 offset:1580 ; 4-byte Folded Reload
	buffer_load_dword v2, off, s[0:3], s32 offset:1584 ; 4-byte Folded Reload
	buffer_load_dword v3, off, s[0:3], s32 offset:1588 ; 4-byte Folded Reload
	buffer_load_dword v4, off, s[0:3], s32 offset:204 ; 4-byte Folded Reload
	s_waitcnt vmcnt(0)
	v_fmac_f32_e32 v53, v0, v4
	buffer_load_dword v0, off, s[0:3], s32 offset:196 ; 4-byte Folded Reload
	s_waitcnt vmcnt(0)
	v_fmac_f32_e32 v40, v1, v0
	buffer_load_dword v0, off, s[0:3], s32 offset:188 ; 4-byte Folded Reload
	s_waitcnt vmcnt(0)
	v_fmac_f32_e32 v53, v2, v0
	buffer_load_dword v0, off, s[0:3], s32 offset:180 ; 4-byte Folded Reload
	s_waitcnt vmcnt(0)
	v_fmac_f32_e32 v40, v3, v0
	buffer_load_dword v0, off, s[0:3], s32 offset:1592 ; 4-byte Folded Reload
	buffer_load_dword v1, off, s[0:3], s32 offset:1596 ; 4-byte Folded Reload
	buffer_load_dword v2, off, s[0:3], s32 offset:1600 ; 4-byte Folded Reload
	buffer_load_dword v3, off, s[0:3], s32 offset:1604 ; 4-byte Folded Reload
	buffer_load_dword v4, off, s[0:3], s32 offset:172 ; 4-byte Folded Reload
	s_waitcnt vmcnt(0)
	v_fmac_f32_e32 v53, v0, v4
	buffer_load_dword v0, off, s[0:3], s32 offset:164 ; 4-byte Folded Reload
	s_waitcnt vmcnt(0)
	v_fmac_f32_e32 v40, v1, v0
	buffer_load_dword v0, off, s[0:3], s32 offset:156 ; 4-byte Folded Reload
	s_waitcnt vmcnt(0)
	v_fmac_f32_e32 v53, v2, v0
	buffer_load_dword v0, off, s[0:3], s32 offset:148 ; 4-byte Folded Reload
	s_waitcnt vmcnt(0)
	v_fmac_f32_e32 v40, v3, v0
	buffer_load_dword v0, off, s[0:3], s32 offset:1608 ; 4-byte Folded Reload
	buffer_load_dword v1, off, s[0:3], s32 offset:1612 ; 4-byte Folded Reload
	buffer_load_dword v2, off, s[0:3], s32 offset:1616 ; 4-byte Folded Reload
	buffer_load_dword v3, off, s[0:3], s32 offset:1620 ; 4-byte Folded Reload
	buffer_load_dword v4, off, s[0:3], s32 offset:140 ; 4-byte Folded Reload
	s_waitcnt vmcnt(0)
	v_fmac_f32_e32 v53, v0, v4
	buffer_load_dword v0, off, s[0:3], s32 offset:132 ; 4-byte Folded Reload
	s_waitcnt vmcnt(0)
	v_fmac_f32_e32 v40, v1, v0
	buffer_load_dword v0, off, s[0:3], s32 offset:124 ; 4-byte Folded Reload
	s_waitcnt vmcnt(0)
	v_fmac_f32_e32 v53, v2, v0
	buffer_load_dword v0, off, s[0:3], s32 offset:116 ; 4-byte Folded Reload
	s_waitcnt vmcnt(0)
	v_fmac_f32_e32 v40, v3, v0
	buffer_load_dword v0, off, s[0:3], s32 offset:1624 ; 4-byte Folded Reload
	buffer_load_dword v1, off, s[0:3], s32 offset:1628 ; 4-byte Folded Reload
	;; [unrolled: 1-line block ×5, first 2 shown]
	s_waitcnt vmcnt(0)
	v_fmac_f32_e32 v53, v0, v4
	buffer_load_dword v0, off, s[0:3], s32 offset:100 ; 4-byte Folded Reload
	v_fmac_f32_e32 v53, v2, v42
	s_waitcnt vmcnt(0)
	v_fmac_f32_e32 v40, v1, v0
	buffer_load_dword v1, off, s[0:3], s32 offset:1332 ; 4-byte Folded Reload
	v_fmac_f32_e32 v40, v3, v39
	v_add_f32_e32 v0, v53, v40
	s_waitcnt vmcnt(0)
	ds_bpermute_b32 v1, v1, v0
	s_mov_b64 s[24:25], exec
	buffer_load_dword v6, off, s[0:3], s32 offset:968 ; 4-byte Folded Reload
	s_and_b64 s[26:27], s[24:25], s[6:7]
	s_mov_b64 exec, s[26:27]
	s_cbranch_execz .LBB216_8
; %bb.778:                              ;   in Loop: Header=BB216_9 Depth=1
	buffer_load_dword v3, off, s[0:3], s32 offset:72 ; 4-byte Folded Reload
	buffer_load_dword v5, off, s[0:3], s32 offset:948 ; 4-byte Folded Reload
	s_waitcnt lgkmcnt(0)
	v_add_f32_e32 v0, v0, v1
	buffer_load_dword v1, off, s[0:3], s32 offset:1640 ; 4-byte Folded Reload
	s_load_dword s26, s[20:21], 0x0
	buffer_load_dword v4, off, s[0:3], s32 offset:1644 ; 4-byte Folded Reload
	s_waitcnt vmcnt(3)
	v_sub_u32_e32 v2, 1, v3
	s_waitcnt vmcnt(2)
	v_add_u32_e32 v2, v2, v5
	v_cvt_f32_i32_e32 v2, v2
	v_cmp_lt_i32_e32 vcc, v5, v3
	s_waitcnt vmcnt(1)
	v_mul_f32_e32 v1, v1, v2
	buffer_load_dword v2, off, s[0:3], s32 offset:952 ; 4-byte Folded Reload
	v_cndmask_b32_e64 v1, 0, v1, s[8:9]
	s_waitcnt vmcnt(1)
	v_fmac_f32_e32 v1, v4, v0
	v_cndmask_b32_e32 v0, 0, v1, vcc
	s_waitcnt vmcnt(0) lgkmcnt(0)
	v_add_u32_e32 v2, s26, v2
	ds_write_b32 v2, v0
	buffer_load_dword v2, off, s[0:3], s32 offset:1104 ; 4-byte Folded Reload
	s_waitcnt vmcnt(0)
	v_max_f32_e32 v0, v2, v2
	v_max_f32_e32 v0, v0, v1
	v_cndmask_b32_e32 v2, v2, v0, vcc
	buffer_store_dword v2, off, s[0:3], s32 offset:1104 ; 4-byte Folded Spill
	s_branch .LBB216_8
.LBB216_779:
	s_or_b64 exec, exec, s[22:23]
	buffer_load_dword v22, off, s[0:3], s32 offset:1712 ; 4-byte Folded Reload
	buffer_load_dword v23, off, s[0:3], s32 offset:1716 ; 4-byte Folded Reload
.LBB216_780:
	s_or_b64 exec, exec, s[10:11]
	buffer_load_dword v6, off, s[0:3], s32 offset:1652 ; 4-byte Folded Reload
	buffer_load_dword v7, off, s[0:3], s32 offset:1656 ; 4-byte Folded Reload
	;; [unrolled: 1-line block ×3, first 2 shown]
	s_waitcnt lgkmcnt(0)
	s_lshr_b32 s17, s17, 16
	s_waitcnt vmcnt(2)
	v_xor_b32_e32 v0, 32, v6
	s_waitcnt vmcnt(1)
	v_cmp_lt_i32_e32 vcc, v0, v7
	v_cndmask_b32_e32 v0, v6, v0, vcc
	v_lshlrev_b32_e32 v1, 2, v0
	s_waitcnt vmcnt(0)
	ds_bpermute_b32 v0, v1, v2
	v_xor_b32_e32 v3, 16, v6
	v_max_f32_e32 v2, v2, v2
	v_cmp_lt_i32_e32 vcc, v3, v7
	v_xor_b32_e32 v4, 8, v6
	s_waitcnt lgkmcnt(0)
	v_max_f32_e32 v0, v0, v0
	v_max_f32_e32 v0, v2, v0
	v_cndmask_b32_e32 v2, v6, v3, vcc
	v_lshlrev_b32_e32 v2, 2, v2
	ds_bpermute_b32 v3, v2, v0
	v_cmp_lt_i32_e32 vcc, v4, v7
	v_xor_b32_e32 v5, 4, v6
	s_waitcnt lgkmcnt(0)
	v_max_f32_e32 v3, v3, v3
	v_max_f32_e32 v0, v0, v3
	v_cndmask_b32_e32 v3, v6, v4, vcc
	v_lshlrev_b32_e32 v3, 2, v3
	ds_bpermute_b32 v4, v3, v0
	v_cmp_lt_i32_e32 vcc, v5, v7
	s_waitcnt lgkmcnt(0)
	v_max_f32_e32 v4, v4, v4
	v_max_f32_e32 v0, v0, v4
	v_cndmask_b32_e32 v4, v6, v5, vcc
	v_lshlrev_b32_e32 v33, 2, v4
	ds_bpermute_b32 v4, v33, v0
	v_xor_b32_e32 v5, 2, v6
	v_cmp_lt_i32_e32 vcc, v5, v7
	s_waitcnt lgkmcnt(0)
	v_max_f32_e32 v4, v4, v4
	v_max_f32_e32 v0, v0, v4
	v_cndmask_b32_e32 v4, v6, v5, vcc
	v_lshlrev_b32_e32 v37, 2, v4
	buffer_load_dword v4, off, s[0:3], s32 offset:1648 ; 4-byte Folded Reload
	ds_bpermute_b32 v5, v37, v0
	s_waitcnt vmcnt(0)
	v_and_b32_e32 v39, 63, v4
	buffer_load_dword v4, off, s[0:3], s32 offset:92 ; 4-byte Folded Reload
	v_cmp_eq_u32_e32 vcc, 0, v39
	s_waitcnt vmcnt(0)
	v_lshlrev_b32_e32 v4, 2, v4
	s_and_saveexec_b64 s[6:7], vcc
	s_cbranch_execz .LBB216_782
; %bb.781:
	s_waitcnt lgkmcnt(0)
	v_max_f32_e32 v5, v5, v5
	v_max_f32_e32 v0, v0, v0
	;; [unrolled: 1-line block ×3, first 2 shown]
	ds_write_b32 v4, v0 offset:1024
.LBB216_782:
	s_or_b64 exec, exec, s[6:7]
	v_cmp_gt_u32_e64 s[6:7], 2, v39
	v_mov_b32_e32 v0, 0xff7fffff
	s_waitcnt lgkmcnt(0)
	v_lshlrev_b32_e32 v5, 2, v39
	s_barrier
	s_and_saveexec_b64 s[8:9], s[6:7]
; %bb.783:
	ds_read_b32 v0, v5 offset:1024
; %bb.784:
	s_or_b64 exec, exec, s[8:9]
	buffer_load_dword v7, off, s[0:3], s32 offset:1652 ; 4-byte Folded Reload
	buffer_load_dword v8, off, s[0:3], s32 offset:1656 ; 4-byte Folded Reload
	s_waitcnt vmcnt(1)
	v_xor_b32_e32 v6, 1, v7
	s_waitcnt vmcnt(0)
	v_cmp_lt_i32_e64 s[8:9], v6, v8
	v_cndmask_b32_e64 v6, v7, v6, s[8:9]
	v_lshlrev_b32_e32 v48, 2, v6
	s_waitcnt lgkmcnt(0)
	ds_bpermute_b32 v6, v48, v0
	v_max_f32_e32 v0, v0, v0
	buffer_load_dword v7, off, s[0:3], s32 offset:72 ; 4-byte Folded Reload
	s_waitcnt lgkmcnt(0)
	v_max_f32_e32 v6, v6, v6
	v_max_f32_e32 v0, v0, v6
	buffer_load_dword v6, off, s[0:3], s32 offset:1688 ; 4-byte Folded Reload
	s_waitcnt vmcnt(0)
	v_lshlrev_b32_e32 v6, 2, v6
	ds_bpermute_b32 v6, v6, v0
	buffer_load_dword v0, off, s[0:3], s32 offset:96 ; 4-byte Folded Reload
	s_waitcnt vmcnt(0)
	v_lshlrev_b32_e32 v0, 5, v0
	v_min_i32_e32 v0, v0, v7
	buffer_load_dword v7, off, s[0:3], s32 offset:1648 ; 4-byte Folded Reload
	s_waitcnt vmcnt(0)
	v_cmp_lt_i32_e64 s[8:9], v7, v0
	v_mov_b32_e32 v7, 0
	s_and_saveexec_b64 s[20:21], s[8:9]
	s_cbranch_execz .LBB216_788
; %bb.785:
	buffer_load_dword v9, off, s[0:3], s32 offset:1648 ; 4-byte Folded Reload
	s_ashr_i32 s19, s18, 31
	s_lshl_b64 s[10:11], s[18:19], 2
	s_getpc_b64 s[22:23]
	s_add_u32 s22, s22, llvm.amdgcn.dynlds.offset.table@rel32@lo+4
	s_addc_u32 s23, s23, llvm.amdgcn.dynlds.offset.table@rel32@hi+12
	s_add_u32 s10, s22, s10
	s_addc_u32 s11, s23, s11
	s_load_dword s10, s[10:11], 0x0
	v_mov_b32_e32 v7, 0
	s_mov_b64 s[22:23], 0
	s_waitcnt vmcnt(0) lgkmcnt(0)
	v_lshl_add_u32 v8, v9, 2, s10
.LBB216_786:                            ; =>This Inner Loop Header: Depth=1
	ds_read_b32 v10, v8
	v_add_u32_e32 v9, 0x80, v9
	v_cmp_ge_i32_e64 s[10:11], v9, v0
	s_or_b64 s[22:23], s[10:11], s[22:23]
	s_waitcnt lgkmcnt(0)
	v_sub_f32_e32 v10, v10, v6
	v_mul_f32_e32 v10, 0x3fb8aa3b, v10
	v_exp_f32_e32 v10, v10
	ds_write_b32 v8, v10
	v_add_f32_e32 v7, v7, v10
	v_add_u32_e32 v8, 0x200, v8
	s_andn2_b64 exec, exec, s[22:23]
	s_cbranch_execnz .LBB216_786
; %bb.787:
	s_or_b64 exec, exec, s[22:23]
.LBB216_788:
	s_or_b64 exec, exec, s[20:21]
	ds_bpermute_b32 v1, v1, v7
	s_waitcnt lgkmcnt(0)
	v_add_f32_e32 v1, v7, v1
	ds_bpermute_b32 v2, v2, v1
	s_waitcnt lgkmcnt(0)
	v_add_f32_e32 v1, v1, v2
	;; [unrolled: 3-line block ×6, first 2 shown]
	s_and_saveexec_b64 s[10:11], vcc
; %bb.789:
	ds_write_b32 v4, v1 offset:1032
; %bb.790:
	s_or_b64 exec, exec, s[10:11]
	s_waitcnt lgkmcnt(0)
	s_barrier
	s_and_saveexec_b64 s[10:11], s[6:7]
; %bb.791:
	ds_read_b32 v1, v5 offset:1032
; %bb.792:
	s_or_b64 exec, exec, s[10:11]
	buffer_load_dword v3, off, s[0:3], s32 offset:1652 ; 4-byte Folded Reload
	s_waitcnt lgkmcnt(0)
	ds_bpermute_b32 v2, v48, v1
	s_waitcnt lgkmcnt(0)
	v_add_f32_e32 v1, v1, v2
	s_waitcnt vmcnt(0)
	v_lshlrev_b32_e32 v3, 2, v3
	v_and_b32_e32 v2, 0xffffff00, v3
	ds_bpermute_b32 v1, v2, v1
	s_and_saveexec_b64 s[6:7], s[8:9]
	s_cbranch_execz .LBB216_795
; %bb.793:
	s_waitcnt lgkmcnt(0)
	v_add_f32_e32 v2, 0x358637bd, v1
	v_div_scale_f32 v1, s[8:9], v2, v2, 1.0
	v_div_scale_f32 v3, vcc, 1.0, v2, 1.0
	s_ashr_i32 s19, s18, 31
	s_getpc_b64 s[8:9]
	s_add_u32 s8, s8, llvm.amdgcn.dynlds.offset.table@rel32@lo+4
	s_addc_u32 s9, s9, llvm.amdgcn.dynlds.offset.table@rel32@hi+12
	s_lshl_b64 s[10:11], s[18:19], 2
	s_add_u32 s8, s8, s10
	s_addc_u32 s9, s9, s11
	s_load_dword s10, s[8:9], 0x0
	s_mov_b64 s[8:9], 0
	v_rcp_f32_e32 v4, v1
	v_fma_f32 v5, -v1, v4, 1.0
	v_fmac_f32_e32 v4, v5, v4
	v_mul_f32_e32 v5, v3, v4
	v_fma_f32 v6, -v1, v5, v3
	v_fmac_f32_e32 v5, v6, v4
	v_fma_f32 v1, -v1, v5, v3
	v_div_fmas_f32 v3, v1, v4, v5
	buffer_load_dword v4, off, s[0:3], s32 offset:1648 ; 4-byte Folded Reload
	v_div_fixup_f32 v2, v3, v2, 1.0
	s_waitcnt vmcnt(0) lgkmcnt(0)
	v_lshl_add_u32 v1, v4, 2, s10
	v_mov_b32_e32 v3, v4
.LBB216_794:                            ; =>This Inner Loop Header: Depth=1
	ds_read_b32 v4, v1
	v_add_u32_e32 v3, 0x80, v3
	v_cmp_ge_i32_e32 vcc, v3, v0
	s_or_b64 s[8:9], vcc, s[8:9]
	s_waitcnt lgkmcnt(0)
	v_mul_f32_e32 v4, v2, v4
	ds_write_b32 v1, v4
	v_add_u32_e32 v1, 0x200, v1
	s_andn2_b64 exec, exec, s[8:9]
	s_cbranch_execnz .LBB216_794
.LBB216_795:
	s_or_b64 exec, exec, s[6:7]
	s_waitcnt lgkmcnt(0)
	s_barrier
	s_and_saveexec_b64 s[6:7], s[4:5]
	s_xor_b64 s[4:5], exec, s[6:7]
; %bb.796:
                                        ; implicit-def: $vgpr0
                                        ; kill: killed $vgpr0
	s_ashr_i32 s19, s18, 31
                                        ; implicit-def: $vgpr0
                                        ; kill: killed $vgpr0
                                        ; implicit-def: $vgpr22_vgpr23
                                        ; implicit-def: $vgpr0
                                        ; kill: killed $vgpr0
                                        ; implicit-def: $vgpr0
                                        ; kill: killed $vgpr0
	;; [unrolled: 2-line block ×9, first 2 shown]
                                        ; implicit-def: $vgpr0_vgpr1
                                        ; kill: killed $vgpr0_vgpr1
                                        ; implicit-def: $vgpr0
                                        ; kill: killed $vgpr0
; %bb.797:
	s_or_saveexec_b64 s[6:7], s[4:5]
	buffer_load_dword v2, off, s[0:3], s32 offset:1648 ; 4-byte Folded Reload
	v_mov_b32_e32 v0, s18
	v_mov_b32_e32 v6, 0
	;; [unrolled: 1-line block ×34, first 2 shown]
	s_waitcnt vmcnt(0)
	v_and_b32_e32 v49, 7, v2
	s_xor_b64 exec, exec, s[6:7]
	s_cbranch_execz .LBB216_1633
; %bb.798:
	buffer_store_dword v48, off, s[0:3], s32 offset:1016 ; 4-byte Folded Spill
	buffer_store_dword v37, off, s[0:3], s32 offset:1012 ; 4-byte Folded Spill
	;; [unrolled: 1-line block ×4, first 2 shown]
	flat_load_dword v26, v[22:23]
	buffer_load_dword v2, off, s[0:3], s32 offset:1708 ; 4-byte Folded Reload
	buffer_load_dword v1, off, s[0:3], s32 offset:1704 ; 4-byte Folded Reload
	buffer_load_dword v3, off, s[0:3], s32 offset:1680 ; 4-byte Folded Reload
	v_mov_b32_e32 v6, 0
	s_ashr_i32 s19, s18, 31
	s_getpc_b64 s[4:5]
	s_add_u32 s4, s4, llvm.amdgcn.dynlds.offset.table@rel32@lo+4
	s_addc_u32 s5, s5, llvm.amdgcn.dynlds.offset.table@rel32@hi+12
	s_lshl_b64 s[10:11], s[18:19], 2
	s_add_u32 s4, s4, s10
	s_addc_u32 s5, s5, s11
	s_mov_b64 s[8:9], 0
	s_movk_i32 s24, 0x80
	s_movk_i32 s25, 0x7f
	s_brev_b32 s26, 1
	s_mov_b32 s27, 0xffffff
	v_bfrev_b32_e32 v7, 1
	v_mov_b32_e32 v9, 0x7f800001
	v_mov_b32_e32 v29, v6
	;; [unrolled: 1-line block ×22, first 2 shown]
	s_waitcnt vmcnt(0) lgkmcnt(0)
	v_mov_b32_e32 v63, v26
	v_and_b32_e32 v0, 28, v2
	v_add_co_u32_e32 v4, vcc, v1, v3
	buffer_load_dword v1, off, s[0:3], s32 offset:1700 ; 4-byte Folded Reload
	buffer_load_dword v3, off, s[0:3], s32 offset:1684 ; 4-byte Folded Reload
	v_and_b32_e32 v35, 0xfc, v2
	v_or_b32_e32 v33, 0xf00, v2
	s_waitcnt vmcnt(0)
	v_addc_co_u32_e32 v5, vcc, v1, v3, vcc
	buffer_store_dword v4, off, s[0:3], s32 offset:984 ; 4-byte Folded Spill
	s_nop 0
	buffer_store_dword v5, off, s[0:3], s32 offset:988 ; 4-byte Folded Spill
	v_or_b32_e32 v1, 0x1f00, v2
	buffer_store_dword v1, off, s[0:3], s32 offset:992 ; 4-byte Folded Spill
	buffer_load_dword v1, off, s[0:3], s32 offset:1676 ; 4-byte Folded Reload
	v_lshlrev_b32_e32 v3, 4, v49
	buffer_load_dword v8, off, s[0:3], s32 offset:92 ; 4-byte Folded Reload
	s_waitcnt vmcnt(1)
	v_and_b32_e32 v1, 60, v1
	buffer_store_dword v49, off, s[0:3], s32 offset:1020 ; 4-byte Folded Spill
	buffer_load_dword v4, off, s[0:3], s32 offset:1668 ; 4-byte Folded Reload
	buffer_load_dword v5, off, s[0:3], s32 offset:1672 ; 4-byte Folded Reload
	s_waitcnt vmcnt(3)
	v_lshlrev_b32_e32 v2, 5, v8
	s_waitcnt vmcnt(1)
	v_add_co_u32_e32 v1, vcc, v1, v4
	s_waitcnt vmcnt(0)
	v_addc_co_u32_e32 v4, vcc, 0, v5, vcc
	v_or3_b32 v5, v2, v0, 3
	v_mov_b32_e32 v2, v6
	buffer_store_dword v2, off, s[0:3], s32 offset:960 ; 4-byte Folded Spill
	buffer_store_dword v2, off, s[0:3], s32 offset:884 ; 4-byte Folded Spill
	;; [unrolled: 1-line block ×10, first 2 shown]
	buffer_load_dword v2, off, s[0:3], s32 offset:1664 ; 4-byte Folded Reload
	s_load_dword s4, s[4:5], 0x0
	v_lshl_or_b32 v0, v8, 7, v3
	s_waitcnt vmcnt(0)
	v_add_co_u32_e32 v2, vcc, v2, v1
	buffer_load_dword v1, off, s[0:3], s32 offset:1660 ; 4-byte Folded Reload
	s_waitcnt vmcnt(0)
	v_addc_co_u32_e32 v3, vcc, v1, v4, vcc
	s_waitcnt lgkmcnt(0)
	v_add_u32_e32 v1, s4, v0
	v_mov_b32_e32 v0, v6
	buffer_store_dword v0, off, s[0:3], s32 offset:952 ; 4-byte Folded Spill
	buffer_store_dword v35, off, s[0:3], s32 offset:1000 ; 4-byte Folded Spill
	;; [unrolled: 1-line block ×3, first 2 shown]
	s_branch .LBB216_800
.LBB216_799:                            ;   in Loop: Header=BB216_800 Depth=1
	s_or_b64 exec, exec, s[10:11]
	v_mul_f32_e32 v15, v1, v28
	v_fmac_f32_e32 v15, v0, v27
	v_fmac_f32_e32 v15, v2, v22
	v_fmac_f32_e32 v15, v3, v21
	v_add_f32_e32 v43, v43, v15
	v_mul_f32_e32 v15, v1, v41
	v_fmac_f32_e32 v15, v0, v40
	v_fmac_f32_e32 v15, v2, v24
	v_fmac_f32_e32 v15, v3, v23
	v_add_f32_e32 v44, v44, v15
	;; [unrolled: 5-line block ×5, first 2 shown]
	buffer_load_dword v15, off, s[0:3], s32 offset:868 ; 4-byte Folded Reload
	v_mul_f32_e32 v4, v1, v37
	v_add_u32_e32 v5, 64, v5
	buffer_load_dword v16, off, s[0:3], s32 offset:324 ; 4-byte Folded Reload
	s_waitcnt vmcnt(1)
	v_fmac_f32_e32 v4, v0, v15
	buffer_load_dword v15, off, s[0:3], s32 offset:876 ; 4-byte Folded Reload
	s_waitcnt vmcnt(0)
	v_fmac_f32_e32 v4, v2, v15
	;; [unrolled: 3-line block ×3, first 2 shown]
	v_add_f32_e32 v56, v56, v4
	buffer_load_dword v4, off, s[0:3], s32 offset:852 ; 4-byte Folded Reload
	buffer_load_dword v15, off, s[0:3], s32 offset:836 ; 4-byte Folded Reload
	s_waitcnt vmcnt(1)
	v_mul_f32_e32 v4, v1, v4
	s_waitcnt vmcnt(0)
	v_fmac_f32_e32 v4, v0, v15
	buffer_load_dword v15, off, s[0:3], s32 offset:844 ; 4-byte Folded Reload
	s_waitcnt vmcnt(0)
	v_fmac_f32_e32 v4, v2, v15
	buffer_load_dword v15, off, s[0:3], s32 offset:828 ; 4-byte Folded Reload
	s_waitcnt vmcnt(0)
	v_fmac_f32_e32 v4, v3, v15
	v_add_f32_e32 v58, v58, v4
	buffer_load_dword v4, off, s[0:3], s32 offset:820 ; 4-byte Folded Reload
	buffer_load_dword v15, off, s[0:3], s32 offset:804 ; 4-byte Folded Reload
	s_waitcnt vmcnt(1)
	v_mul_f32_e32 v4, v1, v4
	s_waitcnt vmcnt(0)
	v_fmac_f32_e32 v4, v0, v15
	buffer_load_dword v15, off, s[0:3], s32 offset:812 ; 4-byte Folded Reload
	s_waitcnt vmcnt(0)
	v_fmac_f32_e32 v4, v2, v15
	buffer_load_dword v15, off, s[0:3], s32 offset:796 ; 4-byte Folded Reload
	s_waitcnt vmcnt(0)
	v_fmac_f32_e32 v4, v3, v15
	;; [unrolled: 13-line block ×6, first 2 shown]
	buffer_load_dword v15, off, s[0:3], s32 offset:960 ; 4-byte Folded Reload
	s_waitcnt vmcnt(0)
	v_add_f32_e32 v15, v15, v4
	buffer_load_dword v4, off, s[0:3], s32 offset:660 ; 4-byte Folded Reload
	s_nop 0
	buffer_store_dword v15, off, s[0:3], s32 offset:960 ; 4-byte Folded Spill
	buffer_load_dword v15, off, s[0:3], s32 offset:644 ; 4-byte Folded Reload
	s_waitcnt vmcnt(2)
	v_mul_f32_e32 v4, v1, v4
	s_waitcnt vmcnt(0)
	v_fmac_f32_e32 v4, v0, v15
	buffer_load_dword v15, off, s[0:3], s32 offset:652 ; 4-byte Folded Reload
	s_waitcnt vmcnt(0)
	v_fmac_f32_e32 v4, v2, v15
	buffer_load_dword v15, off, s[0:3], s32 offset:636 ; 4-byte Folded Reload
	s_waitcnt vmcnt(0)
	v_fmac_f32_e32 v4, v3, v15
	v_add_f32_e32 v10, v10, v4
	buffer_load_dword v4, off, s[0:3], s32 offset:628 ; 4-byte Folded Reload
	buffer_load_dword v15, off, s[0:3], s32 offset:612 ; 4-byte Folded Reload
	s_waitcnt vmcnt(1)
	v_mul_f32_e32 v4, v1, v4
	s_waitcnt vmcnt(0)
	v_fmac_f32_e32 v4, v0, v15
	buffer_load_dword v15, off, s[0:3], s32 offset:620 ; 4-byte Folded Reload
	s_waitcnt vmcnt(0)
	v_fmac_f32_e32 v4, v2, v15
	buffer_load_dword v15, off, s[0:3], s32 offset:604 ; 4-byte Folded Reload
	s_waitcnt vmcnt(0)
	v_fmac_f32_e32 v4, v3, v15
	v_add_f32_e32 v11, v11, v4
	buffer_load_dword v4, off, s[0:3], s32 offset:596 ; 4-byte Folded Reload
	;; [unrolled: 13-line block ×8, first 2 shown]
	buffer_load_dword v15, off, s[0:3], s32 offset:388 ; 4-byte Folded Reload
	s_waitcnt vmcnt(1)
	v_mul_f32_e32 v4, v1, v4
	s_waitcnt vmcnt(0)
	v_fmac_f32_e32 v4, v0, v15
	buffer_load_dword v15, off, s[0:3], s32 offset:396 ; 4-byte Folded Reload
	s_waitcnt vmcnt(0)
	v_fmac_f32_e32 v4, v2, v15
	buffer_load_dword v15, off, s[0:3], s32 offset:380 ; 4-byte Folded Reload
	;; [unrolled: 3-line block ×3, first 2 shown]
	s_waitcnt vmcnt(0)
	v_add_f32_e32 v15, v15, v4
	buffer_load_dword v4, off, s[0:3], s32 offset:372 ; 4-byte Folded Reload
	s_nop 0
	buffer_store_dword v15, off, s[0:3], s32 offset:884 ; 4-byte Folded Spill
	buffer_load_dword v15, off, s[0:3], s32 offset:356 ; 4-byte Folded Reload
	s_waitcnt vmcnt(2)
	v_mul_f32_e32 v4, v1, v4
	s_waitcnt vmcnt(0)
	v_fmac_f32_e32 v4, v0, v15
	buffer_load_dword v15, off, s[0:3], s32 offset:364 ; 4-byte Folded Reload
	s_waitcnt vmcnt(0)
	v_fmac_f32_e32 v4, v2, v15
	buffer_load_dword v15, off, s[0:3], s32 offset:348 ; 4-byte Folded Reload
	;; [unrolled: 3-line block ×3, first 2 shown]
	s_waitcnt vmcnt(0)
	v_add_f32_e32 v15, v15, v4
	buffer_load_dword v4, off, s[0:3], s32 offset:340 ; 4-byte Folded Reload
	s_waitcnt vmcnt(0)
	v_mul_f32_e32 v4, v1, v4
	v_fmac_f32_e32 v4, v0, v16
	buffer_load_dword v16, off, s[0:3], s32 offset:332 ; 4-byte Folded Reload
	s_waitcnt vmcnt(0)
	v_fmac_f32_e32 v4, v2, v16
	buffer_load_dword v16, off, s[0:3], s32 offset:316 ; 4-byte Folded Reload
	s_waitcnt vmcnt(0)
	v_fmac_f32_e32 v4, v3, v16
	buffer_load_dword v16, off, s[0:3], s32 offset:892 ; 4-byte Folded Reload
	s_waitcnt vmcnt(0)
	v_add_f32_e32 v16, v16, v4
	buffer_load_dword v4, off, s[0:3], s32 offset:308 ; 4-byte Folded Reload
	s_nop 0
	buffer_store_dword v16, off, s[0:3], s32 offset:892 ; 4-byte Folded Spill
	buffer_load_dword v16, off, s[0:3], s32 offset:292 ; 4-byte Folded Reload
	s_waitcnt vmcnt(2)
	v_mul_f32_e32 v4, v1, v4
	s_waitcnt vmcnt(0)
	v_fmac_f32_e32 v4, v0, v16
	buffer_load_dword v16, off, s[0:3], s32 offset:300 ; 4-byte Folded Reload
	s_waitcnt vmcnt(0)
	v_fmac_f32_e32 v4, v2, v16
	buffer_load_dword v16, off, s[0:3], s32 offset:284 ; 4-byte Folded Reload
	s_waitcnt vmcnt(0)
	v_fmac_f32_e32 v4, v3, v16
	buffer_load_dword v16, off, s[0:3], s32 offset:900 ; 4-byte Folded Reload
	s_waitcnt vmcnt(0)
	v_add_f32_e32 v16, v16, v4
	buffer_load_dword v4, off, s[0:3], s32 offset:276 ; 4-byte Folded Reload
	s_nop 0
	buffer_store_dword v16, off, s[0:3], s32 offset:900 ; 4-byte Folded Spill
	buffer_load_dword v16, off, s[0:3], s32 offset:260 ; 4-byte Folded Reload
	s_waitcnt vmcnt(2)
	v_mul_f32_e32 v4, v1, v4
	s_waitcnt vmcnt(0)
	;; [unrolled: 17-line block ×7, first 2 shown]
	v_fmac_f32_e32 v4, v0, v16
	buffer_load_dword v16, off, s[0:3], s32 offset:108 ; 4-byte Folded Reload
	s_waitcnt vmcnt(0)
	v_fmac_f32_e32 v4, v2, v16
	buffer_load_dword v16, off, s[0:3], s32 offset:88 ; 4-byte Folded Reload
	s_waitcnt vmcnt(0)
	;; [unrolled: 3-line block ×3, first 2 shown]
	v_add_f32_e32 v16, v16, v4
	buffer_load_dword v4, off, s[0:3], s32 offset:84 ; 4-byte Folded Reload
	s_nop 0
	buffer_store_dword v16, off, s[0:3], s32 offset:948 ; 4-byte Folded Spill
	buffer_load_dword v16, off, s[0:3], s32 offset:76 ; 4-byte Folded Reload
	s_waitcnt vmcnt(2)
	v_mul_f32_e32 v4, v1, v4
	v_mul_f32_e32 v1, v1, v14
	v_fmac_f32_e32 v1, v0, v12
	s_waitcnt vmcnt(0)
	v_fmac_f32_e32 v4, v0, v16
	buffer_load_dword v16, off, s[0:3], s32 offset:80 ; 4-byte Folded Reload
	v_fmac_f32_e32 v1, v2, v13
	v_fmac_f32_e32 v1, v3, v8
	v_add_f32_e32 v29, v29, v1
	buffer_load_dword v1, off, s[0:3], s32 offset:92 ; 4-byte Folded Reload
	s_waitcnt vmcnt(1)
	v_fmac_f32_e32 v4, v2, v16
	buffer_load_dword v16, off, s[0:3], s32 offset:64 ; 4-byte Folded Reload
	s_waitcnt vmcnt(1)
	v_add_u32_e32 v1, 2, v1
	s_waitcnt vmcnt(0)
	v_fmac_f32_e32 v4, v3, v16
	buffer_load_dword v16, off, s[0:3], s32 offset:952 ; 4-byte Folded Reload
	s_waitcnt vmcnt(0)
	v_add_f32_e32 v16, v16, v4
	buffer_store_dword v16, off, s[0:3], s32 offset:952 ; 4-byte Folded Spill
	buffer_load_dword v2, off, s[0:3], s32 offset:972 ; 4-byte Folded Reload
	buffer_load_dword v3, off, s[0:3], s32 offset:976 ; 4-byte Folded Reload
	;; [unrolled: 1-line block ×3, first 2 shown]
	s_waitcnt vmcnt(2)
	v_add_co_u32_e32 v2, vcc, 8, v2
	s_waitcnt vmcnt(1)
	v_addc_co_u32_e32 v3, vcc, 0, v3, vcc
	buffer_store_dword v1, off, s[0:3], s32 offset:92 ; 4-byte Folded Spill
	s_waitcnt vmcnt(1)
	v_cmp_ge_i32_e32 vcc, v1, v0
	buffer_load_dword v1, off, s[0:3], s32 offset:980 ; 4-byte Folded Reload
	s_or_b64 s[8:9], vcc, s[8:9]
	s_waitcnt vmcnt(0)
	v_add_u32_e32 v1, 0x100, v1
	s_andn2_b64 exec, exec, s[8:9]
	s_cbranch_execz .LBB216_1632
.LBB216_800:                            ; =>This Inner Loop Header: Depth=1
	buffer_store_dword v15, off, s[0:3], s32 offset:968 ; 4-byte Folded Spill
	buffer_store_dword v2, off, s[0:3], s32 offset:972 ; 4-byte Folded Spill
	s_nop 0
	buffer_store_dword v3, off, s[0:3], s32 offset:976 ; 4-byte Folded Spill
	v_mov_b32_e32 v4, v1
	v_mov_b32_e32 v19, 0
	;; [unrolled: 1-line block ×5, first 2 shown]
	flat_load_dword v0, v[2:3]
	buffer_load_dword v1, off, s[0:3], s32 offset:956 ; 4-byte Folded Reload
	s_nop 0
	buffer_load_dword v2, off, s[0:3], s32 offset:984 ; 4-byte Folded Reload
	buffer_load_dword v3, off, s[0:3], s32 offset:988 ; 4-byte Folded Reload
	s_waitcnt vmcnt(0) lgkmcnt(0)
	v_mad_i64_i32 v[12:13], s[4:5], v0, v1, v[2:3]
	ds_read_b128 v[0:3], v4
	buffer_store_dword v4, off, s[0:3], s32 offset:980 ; 4-byte Folded Spill
	v_add_co_u32_e32 v14, vcc, v12, v35
	v_addc_co_u32_e32 v15, vcc, 0, v13, vcc
	flat_load_dword v16, v[14:15]
	s_waitcnt vmcnt(0) lgkmcnt(0)
	v_cmp_ne_u16_sdwa s[10:11], v16, v6 src0_sel:BYTE_0 src1_sel:DWORD
	s_and_saveexec_b64 s[4:5], s[10:11]
	s_cbranch_execz .LBB216_806
; %bb.801:                              ;   in Loop: Header=BB216_800 Depth=1
	v_bfrev_b32_e32 v17, 1
	v_mov_b32_e32 v18, 0
	v_cmp_ne_u16_sdwa s[20:21], v16, s24 src0_sel:BYTE_0 src1_sel:DWORD
	s_and_saveexec_b64 s[10:11], s[20:21]
	s_cbranch_execz .LBB216_805
; %bb.802:                              ;   in Loop: Header=BB216_800 Depth=1
	v_and_b32_e32 v4, 0x7f, v16
	v_mov_b32_e32 v17, 0x7f800001
	v_mov_b32_e32 v18, 0
	v_cmp_ne_u32_e32 vcc, s25, v4
	s_and_saveexec_b64 s[20:21], vcc
	s_cbranch_execz .LBB216_804
; %bb.803:                              ;   in Loop: Header=BB216_800 Depth=1
	v_and_b32_e32 v8, 7, v16
	v_lshrrev_b32_e32 v21, 3, v4
	v_cmp_gt_u32_e32 vcc, 8, v4
	v_ffbh_u32_e32 v4, v8
	v_min_u32_e32 v4, 32, v4
	v_subrev_u32_e32 v17, 28, v4
	v_lshlrev_b64 v[17:18], v17, v[16:17]
	v_sub_u32_e32 v4, 29, v4
	v_and_b32_e32 v17, 7, v17
	v_cndmask_b32_e32 v4, v21, v4, vcc
	v_cndmask_b32_e32 v8, v8, v17, vcc
	v_bfrev_b32_e32 v18, 60
	v_lshlrev_b32_e32 v8, 20, v8
	v_and_b32_sdwa v17, sext(v16), s26 dst_sel:DWORD dst_unused:UNUSED_PAD src0_sel:BYTE_0 src1_sel:DWORD
	v_lshl_add_u32 v4, v4, 23, v18
	v_or3_b32 v17, v17, v4, v8
	v_mov_b32_e32 v18, v6
.LBB216_804:                            ;   in Loop: Header=BB216_800 Depth=1
	s_or_b64 exec, exec, s[20:21]
.LBB216_805:                            ;   in Loop: Header=BB216_800 Depth=1
	s_or_b64 exec, exec, s[10:11]
.LBB216_806:                            ;   in Loop: Header=BB216_800 Depth=1
	s_or_b64 exec, exec, s[4:5]
	v_cmp_ne_u16_sdwa s[10:11], v16, v6 src0_sel:BYTE_1 src1_sel:DWORD
	s_and_saveexec_b64 s[4:5], s[10:11]
	s_cbranch_execz .LBB216_812
; %bb.807:                              ;   in Loop: Header=BB216_800 Depth=1
	v_mov_b32_e32 v20, v7
	v_cmp_ne_u16_sdwa s[20:21], v16, s24 src0_sel:BYTE_1 src1_sel:DWORD
	v_mov_b32_e32 v19, v6
	s_and_saveexec_b64 s[10:11], s[20:21]
	s_cbranch_execz .LBB216_811
; %bb.808:                              ;   in Loop: Header=BB216_800 Depth=1
	v_and_b32_sdwa v4, v16, s25 dst_sel:DWORD dst_unused:UNUSED_PAD src0_sel:BYTE_1 src1_sel:DWORD
	v_mov_b32_e32 v8, v6
	v_mov_b32_e32 v20, v9
	v_cmp_ne_u32_e32 vcc, s25, v4
	v_mov_b32_e32 v19, v8
	s_and_saveexec_b64 s[20:21], vcc
	s_cbranch_execz .LBB216_810
; %bb.809:                              ;   in Loop: Header=BB216_800 Depth=1
	v_mov_b32_e32 v8, 7
	v_and_b32_sdwa v19, v16, v8 dst_sel:DWORD dst_unused:UNUSED_PAD src0_sel:BYTE_1 src1_sel:DWORD
	v_lshrrev_b32_e32 v8, 3, v4
	v_cmp_gt_u32_e32 vcc, 8, v4
	v_ffbh_u32_e32 v4, v19
	v_min_u32_e32 v4, 32, v4
	v_mov_b32_e32 v20, v6
	v_subrev_u32_e32 v21, 28, v4
	v_lshlrev_b64 v[20:21], v21, v[19:20]
	v_sub_u32_e32 v4, 29, v4
	v_and_b32_e32 v20, 7, v20
	v_cndmask_b32_e32 v4, v8, v4, vcc
	v_cndmask_b32_e32 v8, v19, v20, vcc
	v_bfrev_b32_e32 v20, 60
	v_lshlrev_b32_e32 v19, 16, v16
	v_lshl_add_u32 v4, v4, 23, v20
	v_and_or_b32 v4, v19, s26, v4
	v_lshlrev_b32_e32 v8, 20, v8
	v_or_b32_e32 v20, v4, v8
	v_mov_b32_e32 v19, v6
.LBB216_810:                            ;   in Loop: Header=BB216_800 Depth=1
	s_or_b64 exec, exec, s[20:21]
.LBB216_811:                            ;   in Loop: Header=BB216_800 Depth=1
	s_or_b64 exec, exec, s[10:11]
.LBB216_812:                            ;   in Loop: Header=BB216_800 Depth=1
	s_or_b64 exec, exec, s[4:5]
	v_lshrrev_b32_e32 v8, 16, v16
	v_mov_b32_e32 v23, 0
	v_mov_b32_e32 v21, 0
	;; [unrolled: 1-line block ×4, first 2 shown]
	v_cmp_ne_u16_sdwa s[10:11], v8, v6 src0_sel:BYTE_0 src1_sel:DWORD
	s_and_saveexec_b64 s[4:5], s[10:11]
	s_cbranch_execz .LBB216_818
; %bb.813:                              ;   in Loop: Header=BB216_800 Depth=1
	v_bfrev_b32_e32 v21, 1
	v_mov_b32_e32 v22, 0
	v_cmp_ne_u16_sdwa s[20:21], v8, s24 src0_sel:BYTE_0 src1_sel:DWORD
	s_and_saveexec_b64 s[10:11], s[20:21]
	s_cbranch_execz .LBB216_817
; %bb.814:                              ;   in Loop: Header=BB216_800 Depth=1
	v_bfe_u32 v4, v16, 16, 7
	v_mov_b32_e32 v21, 0x7f800001
	v_mov_b32_e32 v22, 0
	v_cmp_ne_u32_e32 vcc, s25, v4
	s_and_saveexec_b64 s[20:21], vcc
	s_cbranch_execz .LBB216_816
; %bb.815:                              ;   in Loop: Header=BB216_800 Depth=1
	v_and_b32_e32 v25, 7, v8
	v_lshrrev_b32_e32 v27, 3, v4
	v_cmp_gt_u32_e32 vcc, 8, v4
	v_ffbh_u32_e32 v4, v25
	v_min_u32_e32 v4, 32, v4
	v_subrev_u32_e32 v21, 28, v4
	v_lshlrev_b64 v[21:22], v21, v[8:9]
	v_sub_u32_e32 v4, 29, v4
	v_and_b32_e32 v21, 7, v21
	v_cndmask_b32_e32 v4, v27, v4, vcc
	v_cndmask_b32_e32 v21, v25, v21, vcc
	v_bfrev_b32_e32 v22, 60
	v_lshlrev_b32_e32 v21, 20, v21
	v_and_b32_sdwa v8, sext(v8), s26 dst_sel:DWORD dst_unused:UNUSED_PAD src0_sel:BYTE_0 src1_sel:DWORD
	v_lshl_add_u32 v4, v4, 23, v22
	v_or3_b32 v21, v8, v4, v21
	v_mov_b32_e32 v22, v6
.LBB216_816:                            ;   in Loop: Header=BB216_800 Depth=1
	s_or_b64 exec, exec, s[20:21]
.LBB216_817:                            ;   in Loop: Header=BB216_800 Depth=1
	s_or_b64 exec, exec, s[10:11]
.LBB216_818:                            ;   in Loop: Header=BB216_800 Depth=1
	s_or_b64 exec, exec, s[4:5]
	v_cmp_lt_u32_e32 vcc, s27, v16
	s_and_saveexec_b64 s[4:5], vcc
	s_cbranch_execz .LBB216_824
; %bb.819:                              ;   in Loop: Header=BB216_800 Depth=1
	v_mov_b32_e32 v24, v7
	v_cmp_ne_u32_sdwa s[20:21], v16, s24 src0_sel:BYTE_3 src1_sel:DWORD
	v_mov_b32_e32 v23, v6
	s_and_saveexec_b64 s[10:11], s[20:21]
	s_cbranch_execz .LBB216_823
; %bb.820:                              ;   in Loop: Header=BB216_800 Depth=1
	v_bfe_u32 v4, v16, 24, 7
	v_mov_b32_e32 v8, v6
	v_mov_b32_e32 v24, v9
	v_cmp_ne_u32_e32 vcc, s25, v4
	v_mov_b32_e32 v23, v8
	s_and_saveexec_b64 s[20:21], vcc
	s_cbranch_execz .LBB216_822
; %bb.821:                              ;   in Loop: Header=BB216_800 Depth=1
	v_mov_b32_e32 v8, 7
	v_and_b32_sdwa v23, v16, v8 dst_sel:DWORD dst_unused:UNUSED_PAD src0_sel:BYTE_3 src1_sel:DWORD
	v_lshrrev_b32_e32 v8, 3, v4
	v_cmp_gt_u32_e32 vcc, 8, v4
	v_ffbh_u32_e32 v4, v23
	v_min_u32_e32 v4, 32, v4
	v_mov_b32_e32 v24, v6
	v_subrev_u32_e32 v25, 28, v4
	v_lshlrev_b64 v[24:25], v25, v[23:24]
	v_sub_u32_e32 v4, 29, v4
	v_and_b32_e32 v24, 7, v24
	v_cndmask_b32_e32 v4, v8, v4, vcc
	v_cndmask_b32_e32 v8, v23, v24, vcc
	v_mov_b32_e32 v23, 24
	v_lshlrev_b32_sdwa v16, v23, v16 dst_sel:DWORD dst_unused:UNUSED_PAD src0_sel:DWORD src1_sel:BYTE_3
	v_bfrev_b32_e32 v23, 60
	v_lshl_add_u32 v4, v4, 23, v23
	v_and_or_b32 v4, v16, s26, v4
	v_lshlrev_b32_e32 v8, 20, v8
	v_or_b32_e32 v24, v4, v8
	v_mov_b32_e32 v23, v6
.LBB216_822:                            ;   in Loop: Header=BB216_800 Depth=1
	s_or_b64 exec, exec, s[20:21]
.LBB216_823:                            ;   in Loop: Header=BB216_800 Depth=1
	s_or_b64 exec, exec, s[10:11]
.LBB216_824:                            ;   in Loop: Header=BB216_800 Depth=1
	s_or_b64 exec, exec, s[4:5]
	buffer_load_dword v4, off, s[0:3], s32 offset:96 ; 4-byte Folded Reload
	buffer_load_dword v8, off, s[0:3], s32 offset:92 ; 4-byte Folded Reload
	s_waitcnt vmcnt(1)
	v_add_u32_e32 v4, -1, v4
	s_waitcnt vmcnt(0)
	v_cmp_eq_u32_e64 s[4:5], v4, v8
	v_or_b32_e32 v4, v20, v18
	v_or_b32_e32 v8, v19, v17
	v_mul_f32_e32 v4, v63, v4
	buffer_store_dword v4, off, s[0:3], s32 offset:84 ; 4-byte Folded Spill
	v_mul_f32_e32 v4, v26, v8
	buffer_store_dword v4, off, s[0:3], s32 offset:76 ; 4-byte Folded Spill
	v_or_b32_e32 v4, v24, v22
	v_or_b32_e32 v8, v23, v21
	v_mul_f32_e32 v8, v26, v8
	v_mul_f32_e32 v4, v63, v4
	buffer_store_dword v8, off, s[0:3], s32 offset:80 ; 4-byte Folded Spill
	buffer_store_dword v4, off, s[0:3], s32 offset:64 ; 4-byte Folded Spill
	s_and_saveexec_b64 s[10:11], s[4:5]
	s_cbranch_execz .LBB216_826
; %bb.825:                              ;   in Loop: Header=BB216_800 Depth=1
	buffer_load_dword v4, off, s[0:3], s32 offset:72 ; 4-byte Folded Reload
	v_add_u32_e32 v8, -3, v5
	s_waitcnt vmcnt(0)
	v_cmp_lt_i32_e32 vcc, v8, v4
	buffer_load_dword v8, off, s[0:3], s32 offset:76 ; 4-byte Folded Reload
	s_waitcnt vmcnt(0)
	v_cndmask_b32_e32 v8, 0, v8, vcc
	buffer_store_dword v8, off, s[0:3], s32 offset:76 ; 4-byte Folded Spill
	v_add_u32_e32 v8, -2, v5
	v_cmp_lt_i32_e32 vcc, v8, v4
	buffer_load_dword v8, off, s[0:3], s32 offset:84 ; 4-byte Folded Reload
	s_waitcnt vmcnt(0)
	v_cndmask_b32_e32 v8, 0, v8, vcc
	buffer_store_dword v8, off, s[0:3], s32 offset:84 ; 4-byte Folded Spill
	v_add_u32_e32 v8, -1, v5
	v_cmp_lt_i32_e32 vcc, v8, v4
	buffer_load_dword v8, off, s[0:3], s32 offset:80 ; 4-byte Folded Reload
	s_waitcnt vmcnt(0)
	v_cndmask_b32_e32 v8, 0, v8, vcc
	v_cmp_lt_i32_e32 vcc, v5, v4
	buffer_load_dword v4, off, s[0:3], s32 offset:64 ; 4-byte Folded Reload
	s_waitcnt vmcnt(0)
	v_cndmask_b32_e32 v4, 0, v4, vcc
	buffer_store_dword v8, off, s[0:3], s32 offset:80 ; 4-byte Folded Spill
	buffer_store_dword v4, off, s[0:3], s32 offset:64 ; 4-byte Folded Spill
.LBB216_826:                            ;   in Loop: Header=BB216_800 Depth=1
	s_or_b64 exec, exec, s[10:11]
	flat_load_dword v16, v[14:15] offset:256
	v_mov_b32_e32 v19, 0
	v_mov_b32_e32 v17, 0
	;; [unrolled: 1-line block ×4, first 2 shown]
	s_waitcnt vmcnt(0) lgkmcnt(0)
	v_cmp_ne_u16_sdwa s[20:21], v16, v6 src0_sel:BYTE_0 src1_sel:DWORD
	s_and_saveexec_b64 s[10:11], s[20:21]
	s_cbranch_execz .LBB216_832
; %bb.827:                              ;   in Loop: Header=BB216_800 Depth=1
	v_bfrev_b32_e32 v17, 1
	v_mov_b32_e32 v18, 0
	v_cmp_ne_u16_sdwa s[22:23], v16, s24 src0_sel:BYTE_0 src1_sel:DWORD
	s_and_saveexec_b64 s[20:21], s[22:23]
	s_cbranch_execz .LBB216_831
; %bb.828:                              ;   in Loop: Header=BB216_800 Depth=1
	v_and_b32_e32 v4, 0x7f, v16
	v_mov_b32_e32 v17, 0x7f800001
	v_mov_b32_e32 v18, 0
	v_cmp_ne_u32_e32 vcc, s25, v4
	s_and_saveexec_b64 s[22:23], vcc
	s_cbranch_execz .LBB216_830
; %bb.829:                              ;   in Loop: Header=BB216_800 Depth=1
	v_and_b32_e32 v8, 7, v16
	v_lshrrev_b32_e32 v21, 3, v4
	v_cmp_gt_u32_e32 vcc, 8, v4
	v_ffbh_u32_e32 v4, v8
	v_min_u32_e32 v4, 32, v4
	v_subrev_u32_e32 v17, 28, v4
	v_lshlrev_b64 v[17:18], v17, v[16:17]
	v_sub_u32_e32 v4, 29, v4
	v_and_b32_e32 v17, 7, v17
	v_cndmask_b32_e32 v4, v21, v4, vcc
	v_cndmask_b32_e32 v8, v8, v17, vcc
	v_bfrev_b32_e32 v18, 60
	v_lshlrev_b32_e32 v8, 20, v8
	v_and_b32_sdwa v17, sext(v16), s26 dst_sel:DWORD dst_unused:UNUSED_PAD src0_sel:BYTE_0 src1_sel:DWORD
	v_lshl_add_u32 v4, v4, 23, v18
	v_or3_b32 v17, v17, v4, v8
	v_mov_b32_e32 v18, v6
.LBB216_830:                            ;   in Loop: Header=BB216_800 Depth=1
	s_or_b64 exec, exec, s[22:23]
.LBB216_831:                            ;   in Loop: Header=BB216_800 Depth=1
	s_or_b64 exec, exec, s[20:21]
.LBB216_832:                            ;   in Loop: Header=BB216_800 Depth=1
	s_or_b64 exec, exec, s[10:11]
	v_cmp_ne_u16_sdwa s[20:21], v16, v6 src0_sel:BYTE_1 src1_sel:DWORD
	s_and_saveexec_b64 s[10:11], s[20:21]
	s_cbranch_execz .LBB216_838
; %bb.833:                              ;   in Loop: Header=BB216_800 Depth=1
	v_mov_b32_e32 v20, v7
	v_cmp_ne_u16_sdwa s[22:23], v16, s24 src0_sel:BYTE_1 src1_sel:DWORD
	v_mov_b32_e32 v19, v6
	s_and_saveexec_b64 s[20:21], s[22:23]
	s_cbranch_execz .LBB216_837
; %bb.834:                              ;   in Loop: Header=BB216_800 Depth=1
	v_and_b32_sdwa v4, v16, s25 dst_sel:DWORD dst_unused:UNUSED_PAD src0_sel:BYTE_1 src1_sel:DWORD
	v_mov_b32_e32 v8, v6
	v_mov_b32_e32 v20, v9
	v_cmp_ne_u32_e32 vcc, s25, v4
	v_mov_b32_e32 v19, v8
	s_and_saveexec_b64 s[22:23], vcc
	s_cbranch_execz .LBB216_836
; %bb.835:                              ;   in Loop: Header=BB216_800 Depth=1
	v_mov_b32_e32 v8, 7
	v_and_b32_sdwa v19, v16, v8 dst_sel:DWORD dst_unused:UNUSED_PAD src0_sel:BYTE_1 src1_sel:DWORD
	v_lshrrev_b32_e32 v8, 3, v4
	v_cmp_gt_u32_e32 vcc, 8, v4
	v_ffbh_u32_e32 v4, v19
	v_min_u32_e32 v4, 32, v4
	v_mov_b32_e32 v20, v6
	v_subrev_u32_e32 v21, 28, v4
	v_lshlrev_b64 v[20:21], v21, v[19:20]
	v_sub_u32_e32 v4, 29, v4
	v_and_b32_e32 v20, 7, v20
	v_cndmask_b32_e32 v4, v8, v4, vcc
	v_cndmask_b32_e32 v8, v19, v20, vcc
	v_bfrev_b32_e32 v20, 60
	v_lshlrev_b32_e32 v19, 16, v16
	v_lshl_add_u32 v4, v4, 23, v20
	v_and_or_b32 v4, v19, s26, v4
	v_lshlrev_b32_e32 v8, 20, v8
	v_or_b32_e32 v20, v4, v8
	v_mov_b32_e32 v19, v6
.LBB216_836:                            ;   in Loop: Header=BB216_800 Depth=1
	s_or_b64 exec, exec, s[22:23]
.LBB216_837:                            ;   in Loop: Header=BB216_800 Depth=1
	s_or_b64 exec, exec, s[20:21]
.LBB216_838:                            ;   in Loop: Header=BB216_800 Depth=1
	s_or_b64 exec, exec, s[10:11]
	v_lshrrev_b32_e32 v8, 16, v16
	v_mov_b32_e32 v23, 0
	v_mov_b32_e32 v21, 0
	;; [unrolled: 1-line block ×4, first 2 shown]
	v_cmp_ne_u16_sdwa s[20:21], v8, v6 src0_sel:BYTE_0 src1_sel:DWORD
	s_and_saveexec_b64 s[10:11], s[20:21]
	s_cbranch_execz .LBB216_844
; %bb.839:                              ;   in Loop: Header=BB216_800 Depth=1
	v_bfrev_b32_e32 v21, 1
	v_mov_b32_e32 v22, 0
	v_cmp_ne_u16_sdwa s[22:23], v8, s24 src0_sel:BYTE_0 src1_sel:DWORD
	s_and_saveexec_b64 s[20:21], s[22:23]
	s_cbranch_execz .LBB216_843
; %bb.840:                              ;   in Loop: Header=BB216_800 Depth=1
	v_bfe_u32 v4, v16, 16, 7
	v_mov_b32_e32 v21, 0x7f800001
	v_mov_b32_e32 v22, 0
	v_cmp_ne_u32_e32 vcc, s25, v4
	s_and_saveexec_b64 s[22:23], vcc
	s_cbranch_execz .LBB216_842
; %bb.841:                              ;   in Loop: Header=BB216_800 Depth=1
	v_and_b32_e32 v25, 7, v8
	v_lshrrev_b32_e32 v27, 3, v4
	v_cmp_gt_u32_e32 vcc, 8, v4
	v_ffbh_u32_e32 v4, v25
	v_min_u32_e32 v4, 32, v4
	v_subrev_u32_e32 v21, 28, v4
	v_lshlrev_b64 v[21:22], v21, v[8:9]
	v_sub_u32_e32 v4, 29, v4
	v_and_b32_e32 v21, 7, v21
	v_cndmask_b32_e32 v4, v27, v4, vcc
	v_cndmask_b32_e32 v21, v25, v21, vcc
	v_bfrev_b32_e32 v22, 60
	v_lshlrev_b32_e32 v21, 20, v21
	v_and_b32_sdwa v8, sext(v8), s26 dst_sel:DWORD dst_unused:UNUSED_PAD src0_sel:BYTE_0 src1_sel:DWORD
	v_lshl_add_u32 v4, v4, 23, v22
	v_or3_b32 v21, v8, v4, v21
	v_mov_b32_e32 v22, v6
.LBB216_842:                            ;   in Loop: Header=BB216_800 Depth=1
	s_or_b64 exec, exec, s[22:23]
.LBB216_843:                            ;   in Loop: Header=BB216_800 Depth=1
	s_or_b64 exec, exec, s[20:21]
.LBB216_844:                            ;   in Loop: Header=BB216_800 Depth=1
	s_or_b64 exec, exec, s[10:11]
	v_cmp_lt_u32_e32 vcc, s27, v16
	s_and_saveexec_b64 s[10:11], vcc
	s_cbranch_execz .LBB216_850
; %bb.845:                              ;   in Loop: Header=BB216_800 Depth=1
	v_mov_b32_e32 v24, v7
	v_cmp_ne_u32_sdwa s[22:23], v16, s24 src0_sel:BYTE_3 src1_sel:DWORD
	v_mov_b32_e32 v23, v6
	s_and_saveexec_b64 s[20:21], s[22:23]
	s_cbranch_execz .LBB216_849
; %bb.846:                              ;   in Loop: Header=BB216_800 Depth=1
	v_bfe_u32 v4, v16, 24, 7
	v_mov_b32_e32 v8, v6
	v_mov_b32_e32 v24, v9
	v_cmp_ne_u32_e32 vcc, s25, v4
	v_mov_b32_e32 v23, v8
	s_and_saveexec_b64 s[22:23], vcc
	s_cbranch_execz .LBB216_848
; %bb.847:                              ;   in Loop: Header=BB216_800 Depth=1
	v_mov_b32_e32 v8, 7
	v_and_b32_sdwa v23, v16, v8 dst_sel:DWORD dst_unused:UNUSED_PAD src0_sel:BYTE_3 src1_sel:DWORD
	v_lshrrev_b32_e32 v8, 3, v4
	v_cmp_gt_u32_e32 vcc, 8, v4
	v_ffbh_u32_e32 v4, v23
	v_min_u32_e32 v4, 32, v4
	v_mov_b32_e32 v24, v6
	v_subrev_u32_e32 v25, 28, v4
	v_lshlrev_b64 v[24:25], v25, v[23:24]
	v_sub_u32_e32 v4, 29, v4
	v_and_b32_e32 v24, 7, v24
	v_cndmask_b32_e32 v4, v8, v4, vcc
	v_cndmask_b32_e32 v8, v23, v24, vcc
	v_mov_b32_e32 v23, 24
	v_lshlrev_b32_sdwa v16, v23, v16 dst_sel:DWORD dst_unused:UNUSED_PAD src0_sel:DWORD src1_sel:BYTE_3
	v_bfrev_b32_e32 v23, 60
	v_lshl_add_u32 v4, v4, 23, v23
	v_and_or_b32 v4, v16, s26, v4
	v_lshlrev_b32_e32 v8, 20, v8
	v_or_b32_e32 v24, v4, v8
	v_mov_b32_e32 v23, v6
.LBB216_848:                            ;   in Loop: Header=BB216_800 Depth=1
	s_or_b64 exec, exec, s[22:23]
.LBB216_849:                            ;   in Loop: Header=BB216_800 Depth=1
	s_or_b64 exec, exec, s[20:21]
.LBB216_850:                            ;   in Loop: Header=BB216_800 Depth=1
	s_or_b64 exec, exec, s[10:11]
	v_or_b32_e32 v4, v20, v18
	v_or_b32_e32 v8, v19, v17
	v_mul_f32_e32 v4, v63, v4
	buffer_store_dword v4, off, s[0:3], s32 offset:116 ; 4-byte Folded Spill
	v_mul_f32_e32 v4, v26, v8
	buffer_store_dword v4, off, s[0:3], s32 offset:100 ; 4-byte Folded Spill
	v_or_b32_e32 v4, v24, v22
	v_or_b32_e32 v8, v23, v21
	v_mul_f32_e32 v8, v26, v8
	v_mul_f32_e32 v4, v63, v4
	buffer_store_dword v8, off, s[0:3], s32 offset:108 ; 4-byte Folded Spill
	buffer_store_dword v4, off, s[0:3], s32 offset:88 ; 4-byte Folded Spill
	s_and_saveexec_b64 s[10:11], s[4:5]
	s_cbranch_execz .LBB216_852
; %bb.851:                              ;   in Loop: Header=BB216_800 Depth=1
	buffer_load_dword v4, off, s[0:3], s32 offset:72 ; 4-byte Folded Reload
	v_add_u32_e32 v8, -3, v5
	s_waitcnt vmcnt(0)
	v_cmp_lt_i32_e32 vcc, v8, v4
	buffer_load_dword v8, off, s[0:3], s32 offset:100 ; 4-byte Folded Reload
	s_waitcnt vmcnt(0)
	v_cndmask_b32_e32 v8, 0, v8, vcc
	buffer_store_dword v8, off, s[0:3], s32 offset:100 ; 4-byte Folded Spill
	v_add_u32_e32 v8, -2, v5
	v_cmp_lt_i32_e32 vcc, v8, v4
	buffer_load_dword v8, off, s[0:3], s32 offset:116 ; 4-byte Folded Reload
	s_waitcnt vmcnt(0)
	v_cndmask_b32_e32 v8, 0, v8, vcc
	buffer_store_dword v8, off, s[0:3], s32 offset:116 ; 4-byte Folded Spill
	v_add_u32_e32 v8, -1, v5
	v_cmp_lt_i32_e32 vcc, v8, v4
	buffer_load_dword v8, off, s[0:3], s32 offset:108 ; 4-byte Folded Reload
	s_waitcnt vmcnt(0)
	v_cndmask_b32_e32 v8, 0, v8, vcc
	v_cmp_lt_i32_e32 vcc, v5, v4
	buffer_load_dword v4, off, s[0:3], s32 offset:88 ; 4-byte Folded Reload
	s_waitcnt vmcnt(0)
	v_cndmask_b32_e32 v4, 0, v4, vcc
	buffer_store_dword v8, off, s[0:3], s32 offset:108 ; 4-byte Folded Spill
	buffer_store_dword v4, off, s[0:3], s32 offset:88 ; 4-byte Folded Spill
.LBB216_852:                            ;   in Loop: Header=BB216_800 Depth=1
	s_or_b64 exec, exec, s[10:11]
	flat_load_dword v16, v[14:15] offset:512
	v_mov_b32_e32 v19, 0
	v_mov_b32_e32 v17, 0
	;; [unrolled: 1-line block ×4, first 2 shown]
	s_waitcnt vmcnt(0) lgkmcnt(0)
	v_cmp_ne_u16_sdwa s[20:21], v16, v6 src0_sel:BYTE_0 src1_sel:DWORD
	s_and_saveexec_b64 s[10:11], s[20:21]
	s_cbranch_execz .LBB216_858
; %bb.853:                              ;   in Loop: Header=BB216_800 Depth=1
	v_bfrev_b32_e32 v17, 1
	v_mov_b32_e32 v18, 0
	v_cmp_ne_u16_sdwa s[22:23], v16, s24 src0_sel:BYTE_0 src1_sel:DWORD
	s_and_saveexec_b64 s[20:21], s[22:23]
	s_cbranch_execz .LBB216_857
; %bb.854:                              ;   in Loop: Header=BB216_800 Depth=1
	v_and_b32_e32 v4, 0x7f, v16
	v_mov_b32_e32 v17, 0x7f800001
	v_mov_b32_e32 v18, 0
	v_cmp_ne_u32_e32 vcc, s25, v4
	s_and_saveexec_b64 s[22:23], vcc
	s_cbranch_execz .LBB216_856
; %bb.855:                              ;   in Loop: Header=BB216_800 Depth=1
	v_and_b32_e32 v8, 7, v16
	v_lshrrev_b32_e32 v21, 3, v4
	v_cmp_gt_u32_e32 vcc, 8, v4
	v_ffbh_u32_e32 v4, v8
	v_min_u32_e32 v4, 32, v4
	v_subrev_u32_e32 v17, 28, v4
	v_lshlrev_b64 v[17:18], v17, v[16:17]
	v_sub_u32_e32 v4, 29, v4
	v_and_b32_e32 v17, 7, v17
	v_cndmask_b32_e32 v4, v21, v4, vcc
	v_cndmask_b32_e32 v8, v8, v17, vcc
	v_bfrev_b32_e32 v18, 60
	v_lshlrev_b32_e32 v8, 20, v8
	v_and_b32_sdwa v17, sext(v16), s26 dst_sel:DWORD dst_unused:UNUSED_PAD src0_sel:BYTE_0 src1_sel:DWORD
	v_lshl_add_u32 v4, v4, 23, v18
	v_or3_b32 v17, v17, v4, v8
	v_mov_b32_e32 v18, v6
.LBB216_856:                            ;   in Loop: Header=BB216_800 Depth=1
	s_or_b64 exec, exec, s[22:23]
.LBB216_857:                            ;   in Loop: Header=BB216_800 Depth=1
	s_or_b64 exec, exec, s[20:21]
.LBB216_858:                            ;   in Loop: Header=BB216_800 Depth=1
	s_or_b64 exec, exec, s[10:11]
	v_cmp_ne_u16_sdwa s[20:21], v16, v6 src0_sel:BYTE_1 src1_sel:DWORD
	s_and_saveexec_b64 s[10:11], s[20:21]
	s_cbranch_execz .LBB216_864
; %bb.859:                              ;   in Loop: Header=BB216_800 Depth=1
	v_mov_b32_e32 v20, v7
	v_cmp_ne_u16_sdwa s[22:23], v16, s24 src0_sel:BYTE_1 src1_sel:DWORD
	v_mov_b32_e32 v19, v6
	s_and_saveexec_b64 s[20:21], s[22:23]
	s_cbranch_execz .LBB216_863
; %bb.860:                              ;   in Loop: Header=BB216_800 Depth=1
	v_and_b32_sdwa v4, v16, s25 dst_sel:DWORD dst_unused:UNUSED_PAD src0_sel:BYTE_1 src1_sel:DWORD
	v_mov_b32_e32 v8, v6
	v_mov_b32_e32 v20, v9
	v_cmp_ne_u32_e32 vcc, s25, v4
	v_mov_b32_e32 v19, v8
	s_and_saveexec_b64 s[22:23], vcc
	s_cbranch_execz .LBB216_862
; %bb.861:                              ;   in Loop: Header=BB216_800 Depth=1
	v_mov_b32_e32 v8, 7
	v_and_b32_sdwa v19, v16, v8 dst_sel:DWORD dst_unused:UNUSED_PAD src0_sel:BYTE_1 src1_sel:DWORD
	v_lshrrev_b32_e32 v8, 3, v4
	v_cmp_gt_u32_e32 vcc, 8, v4
	v_ffbh_u32_e32 v4, v19
	v_min_u32_e32 v4, 32, v4
	v_mov_b32_e32 v20, v6
	v_subrev_u32_e32 v21, 28, v4
	v_lshlrev_b64 v[20:21], v21, v[19:20]
	v_sub_u32_e32 v4, 29, v4
	v_and_b32_e32 v20, 7, v20
	v_cndmask_b32_e32 v4, v8, v4, vcc
	v_cndmask_b32_e32 v8, v19, v20, vcc
	v_bfrev_b32_e32 v20, 60
	v_lshlrev_b32_e32 v19, 16, v16
	v_lshl_add_u32 v4, v4, 23, v20
	v_and_or_b32 v4, v19, s26, v4
	v_lshlrev_b32_e32 v8, 20, v8
	v_or_b32_e32 v20, v4, v8
	v_mov_b32_e32 v19, v6
.LBB216_862:                            ;   in Loop: Header=BB216_800 Depth=1
	s_or_b64 exec, exec, s[22:23]
.LBB216_863:                            ;   in Loop: Header=BB216_800 Depth=1
	s_or_b64 exec, exec, s[20:21]
.LBB216_864:                            ;   in Loop: Header=BB216_800 Depth=1
	s_or_b64 exec, exec, s[10:11]
	v_lshrrev_b32_e32 v8, 16, v16
	v_mov_b32_e32 v23, 0
	v_mov_b32_e32 v21, 0
	;; [unrolled: 1-line block ×4, first 2 shown]
	v_cmp_ne_u16_sdwa s[20:21], v8, v6 src0_sel:BYTE_0 src1_sel:DWORD
	s_and_saveexec_b64 s[10:11], s[20:21]
	s_cbranch_execz .LBB216_870
; %bb.865:                              ;   in Loop: Header=BB216_800 Depth=1
	v_bfrev_b32_e32 v21, 1
	v_mov_b32_e32 v22, 0
	v_cmp_ne_u16_sdwa s[22:23], v8, s24 src0_sel:BYTE_0 src1_sel:DWORD
	s_and_saveexec_b64 s[20:21], s[22:23]
	s_cbranch_execz .LBB216_869
; %bb.866:                              ;   in Loop: Header=BB216_800 Depth=1
	v_bfe_u32 v4, v16, 16, 7
	v_mov_b32_e32 v21, 0x7f800001
	v_mov_b32_e32 v22, 0
	v_cmp_ne_u32_e32 vcc, s25, v4
	s_and_saveexec_b64 s[22:23], vcc
	s_cbranch_execz .LBB216_868
; %bb.867:                              ;   in Loop: Header=BB216_800 Depth=1
	v_and_b32_e32 v25, 7, v8
	v_lshrrev_b32_e32 v27, 3, v4
	v_cmp_gt_u32_e32 vcc, 8, v4
	v_ffbh_u32_e32 v4, v25
	v_min_u32_e32 v4, 32, v4
	v_subrev_u32_e32 v21, 28, v4
	v_lshlrev_b64 v[21:22], v21, v[8:9]
	v_sub_u32_e32 v4, 29, v4
	v_and_b32_e32 v21, 7, v21
	v_cndmask_b32_e32 v4, v27, v4, vcc
	v_cndmask_b32_e32 v21, v25, v21, vcc
	v_bfrev_b32_e32 v22, 60
	v_lshlrev_b32_e32 v21, 20, v21
	v_and_b32_sdwa v8, sext(v8), s26 dst_sel:DWORD dst_unused:UNUSED_PAD src0_sel:BYTE_0 src1_sel:DWORD
	v_lshl_add_u32 v4, v4, 23, v22
	v_or3_b32 v21, v8, v4, v21
	v_mov_b32_e32 v22, v6
.LBB216_868:                            ;   in Loop: Header=BB216_800 Depth=1
	s_or_b64 exec, exec, s[22:23]
.LBB216_869:                            ;   in Loop: Header=BB216_800 Depth=1
	s_or_b64 exec, exec, s[20:21]
.LBB216_870:                            ;   in Loop: Header=BB216_800 Depth=1
	s_or_b64 exec, exec, s[10:11]
	v_cmp_lt_u32_e32 vcc, s27, v16
	s_and_saveexec_b64 s[10:11], vcc
	s_cbranch_execz .LBB216_876
; %bb.871:                              ;   in Loop: Header=BB216_800 Depth=1
	v_mov_b32_e32 v24, v7
	v_cmp_ne_u32_sdwa s[22:23], v16, s24 src0_sel:BYTE_3 src1_sel:DWORD
	v_mov_b32_e32 v23, v6
	s_and_saveexec_b64 s[20:21], s[22:23]
	s_cbranch_execz .LBB216_875
; %bb.872:                              ;   in Loop: Header=BB216_800 Depth=1
	v_bfe_u32 v4, v16, 24, 7
	v_mov_b32_e32 v8, v6
	v_mov_b32_e32 v24, v9
	v_cmp_ne_u32_e32 vcc, s25, v4
	v_mov_b32_e32 v23, v8
	s_and_saveexec_b64 s[22:23], vcc
	s_cbranch_execz .LBB216_874
; %bb.873:                              ;   in Loop: Header=BB216_800 Depth=1
	v_mov_b32_e32 v8, 7
	v_and_b32_sdwa v23, v16, v8 dst_sel:DWORD dst_unused:UNUSED_PAD src0_sel:BYTE_3 src1_sel:DWORD
	v_lshrrev_b32_e32 v8, 3, v4
	v_cmp_gt_u32_e32 vcc, 8, v4
	v_ffbh_u32_e32 v4, v23
	v_min_u32_e32 v4, 32, v4
	v_mov_b32_e32 v24, v6
	v_subrev_u32_e32 v25, 28, v4
	v_lshlrev_b64 v[24:25], v25, v[23:24]
	v_sub_u32_e32 v4, 29, v4
	v_and_b32_e32 v24, 7, v24
	v_cndmask_b32_e32 v4, v8, v4, vcc
	v_cndmask_b32_e32 v8, v23, v24, vcc
	v_mov_b32_e32 v23, 24
	v_lshlrev_b32_sdwa v16, v23, v16 dst_sel:DWORD dst_unused:UNUSED_PAD src0_sel:DWORD src1_sel:BYTE_3
	v_bfrev_b32_e32 v23, 60
	v_lshl_add_u32 v4, v4, 23, v23
	v_and_or_b32 v4, v16, s26, v4
	v_lshlrev_b32_e32 v8, 20, v8
	v_or_b32_e32 v24, v4, v8
	v_mov_b32_e32 v23, v6
.LBB216_874:                            ;   in Loop: Header=BB216_800 Depth=1
	s_or_b64 exec, exec, s[22:23]
.LBB216_875:                            ;   in Loop: Header=BB216_800 Depth=1
	s_or_b64 exec, exec, s[20:21]
.LBB216_876:                            ;   in Loop: Header=BB216_800 Depth=1
	s_or_b64 exec, exec, s[10:11]
	v_or_b32_e32 v4, v20, v18
	v_or_b32_e32 v8, v19, v17
	v_mul_f32_e32 v4, v63, v4
	buffer_store_dword v4, off, s[0:3], s32 offset:148 ; 4-byte Folded Spill
	v_mul_f32_e32 v4, v26, v8
	buffer_store_dword v4, off, s[0:3], s32 offset:132 ; 4-byte Folded Spill
	v_or_b32_e32 v4, v24, v22
	v_or_b32_e32 v8, v23, v21
	v_mul_f32_e32 v8, v26, v8
	v_mul_f32_e32 v4, v63, v4
	buffer_store_dword v8, off, s[0:3], s32 offset:140 ; 4-byte Folded Spill
	buffer_store_dword v4, off, s[0:3], s32 offset:124 ; 4-byte Folded Spill
	s_and_saveexec_b64 s[10:11], s[4:5]
	s_cbranch_execz .LBB216_878
; %bb.877:                              ;   in Loop: Header=BB216_800 Depth=1
	buffer_load_dword v4, off, s[0:3], s32 offset:72 ; 4-byte Folded Reload
	v_add_u32_e32 v8, -3, v5
	s_waitcnt vmcnt(0)
	v_cmp_lt_i32_e32 vcc, v8, v4
	buffer_load_dword v8, off, s[0:3], s32 offset:132 ; 4-byte Folded Reload
	s_waitcnt vmcnt(0)
	v_cndmask_b32_e32 v8, 0, v8, vcc
	buffer_store_dword v8, off, s[0:3], s32 offset:132 ; 4-byte Folded Spill
	v_add_u32_e32 v8, -2, v5
	v_cmp_lt_i32_e32 vcc, v8, v4
	buffer_load_dword v8, off, s[0:3], s32 offset:148 ; 4-byte Folded Reload
	s_waitcnt vmcnt(0)
	v_cndmask_b32_e32 v8, 0, v8, vcc
	buffer_store_dword v8, off, s[0:3], s32 offset:148 ; 4-byte Folded Spill
	v_add_u32_e32 v8, -1, v5
	v_cmp_lt_i32_e32 vcc, v8, v4
	buffer_load_dword v8, off, s[0:3], s32 offset:140 ; 4-byte Folded Reload
	s_waitcnt vmcnt(0)
	v_cndmask_b32_e32 v8, 0, v8, vcc
	v_cmp_lt_i32_e32 vcc, v5, v4
	buffer_load_dword v4, off, s[0:3], s32 offset:124 ; 4-byte Folded Reload
	s_waitcnt vmcnt(0)
	v_cndmask_b32_e32 v4, 0, v4, vcc
	buffer_store_dword v8, off, s[0:3], s32 offset:140 ; 4-byte Folded Spill
	buffer_store_dword v4, off, s[0:3], s32 offset:124 ; 4-byte Folded Spill
.LBB216_878:                            ;   in Loop: Header=BB216_800 Depth=1
	s_or_b64 exec, exec, s[10:11]
	flat_load_dword v16, v[14:15] offset:768
	v_mov_b32_e32 v19, 0
	v_mov_b32_e32 v17, 0
	;; [unrolled: 1-line block ×4, first 2 shown]
	s_waitcnt vmcnt(0) lgkmcnt(0)
	v_cmp_ne_u16_sdwa s[20:21], v16, v6 src0_sel:BYTE_0 src1_sel:DWORD
	s_and_saveexec_b64 s[10:11], s[20:21]
	s_cbranch_execz .LBB216_884
; %bb.879:                              ;   in Loop: Header=BB216_800 Depth=1
	v_bfrev_b32_e32 v17, 1
	v_mov_b32_e32 v18, 0
	v_cmp_ne_u16_sdwa s[22:23], v16, s24 src0_sel:BYTE_0 src1_sel:DWORD
	s_and_saveexec_b64 s[20:21], s[22:23]
	s_cbranch_execz .LBB216_883
; %bb.880:                              ;   in Loop: Header=BB216_800 Depth=1
	v_and_b32_e32 v4, 0x7f, v16
	v_mov_b32_e32 v17, 0x7f800001
	v_mov_b32_e32 v18, 0
	v_cmp_ne_u32_e32 vcc, s25, v4
	s_and_saveexec_b64 s[22:23], vcc
	s_cbranch_execz .LBB216_882
; %bb.881:                              ;   in Loop: Header=BB216_800 Depth=1
	v_and_b32_e32 v8, 7, v16
	v_lshrrev_b32_e32 v21, 3, v4
	v_cmp_gt_u32_e32 vcc, 8, v4
	v_ffbh_u32_e32 v4, v8
	v_min_u32_e32 v4, 32, v4
	v_subrev_u32_e32 v17, 28, v4
	v_lshlrev_b64 v[17:18], v17, v[16:17]
	v_sub_u32_e32 v4, 29, v4
	v_and_b32_e32 v17, 7, v17
	v_cndmask_b32_e32 v4, v21, v4, vcc
	v_cndmask_b32_e32 v8, v8, v17, vcc
	v_bfrev_b32_e32 v18, 60
	v_lshlrev_b32_e32 v8, 20, v8
	v_and_b32_sdwa v17, sext(v16), s26 dst_sel:DWORD dst_unused:UNUSED_PAD src0_sel:BYTE_0 src1_sel:DWORD
	v_lshl_add_u32 v4, v4, 23, v18
	v_or3_b32 v17, v17, v4, v8
	v_mov_b32_e32 v18, v6
.LBB216_882:                            ;   in Loop: Header=BB216_800 Depth=1
	s_or_b64 exec, exec, s[22:23]
.LBB216_883:                            ;   in Loop: Header=BB216_800 Depth=1
	s_or_b64 exec, exec, s[20:21]
.LBB216_884:                            ;   in Loop: Header=BB216_800 Depth=1
	s_or_b64 exec, exec, s[10:11]
	v_cmp_ne_u16_sdwa s[20:21], v16, v6 src0_sel:BYTE_1 src1_sel:DWORD
	s_and_saveexec_b64 s[10:11], s[20:21]
	s_cbranch_execz .LBB216_890
; %bb.885:                              ;   in Loop: Header=BB216_800 Depth=1
	v_mov_b32_e32 v20, v7
	v_cmp_ne_u16_sdwa s[22:23], v16, s24 src0_sel:BYTE_1 src1_sel:DWORD
	v_mov_b32_e32 v19, v6
	s_and_saveexec_b64 s[20:21], s[22:23]
	s_cbranch_execz .LBB216_889
; %bb.886:                              ;   in Loop: Header=BB216_800 Depth=1
	v_and_b32_sdwa v4, v16, s25 dst_sel:DWORD dst_unused:UNUSED_PAD src0_sel:BYTE_1 src1_sel:DWORD
	v_mov_b32_e32 v8, v6
	v_mov_b32_e32 v20, v9
	v_cmp_ne_u32_e32 vcc, s25, v4
	v_mov_b32_e32 v19, v8
	s_and_saveexec_b64 s[22:23], vcc
	s_cbranch_execz .LBB216_888
; %bb.887:                              ;   in Loop: Header=BB216_800 Depth=1
	v_mov_b32_e32 v8, 7
	v_and_b32_sdwa v19, v16, v8 dst_sel:DWORD dst_unused:UNUSED_PAD src0_sel:BYTE_1 src1_sel:DWORD
	v_lshrrev_b32_e32 v8, 3, v4
	v_cmp_gt_u32_e32 vcc, 8, v4
	v_ffbh_u32_e32 v4, v19
	v_min_u32_e32 v4, 32, v4
	v_mov_b32_e32 v20, v6
	v_subrev_u32_e32 v21, 28, v4
	v_lshlrev_b64 v[20:21], v21, v[19:20]
	v_sub_u32_e32 v4, 29, v4
	v_and_b32_e32 v20, 7, v20
	v_cndmask_b32_e32 v4, v8, v4, vcc
	v_cndmask_b32_e32 v8, v19, v20, vcc
	v_bfrev_b32_e32 v20, 60
	v_lshlrev_b32_e32 v19, 16, v16
	v_lshl_add_u32 v4, v4, 23, v20
	v_and_or_b32 v4, v19, s26, v4
	v_lshlrev_b32_e32 v8, 20, v8
	v_or_b32_e32 v20, v4, v8
	v_mov_b32_e32 v19, v6
.LBB216_888:                            ;   in Loop: Header=BB216_800 Depth=1
	s_or_b64 exec, exec, s[22:23]
.LBB216_889:                            ;   in Loop: Header=BB216_800 Depth=1
	s_or_b64 exec, exec, s[20:21]
.LBB216_890:                            ;   in Loop: Header=BB216_800 Depth=1
	s_or_b64 exec, exec, s[10:11]
	v_lshrrev_b32_e32 v8, 16, v16
	v_mov_b32_e32 v23, 0
	v_mov_b32_e32 v21, 0
	;; [unrolled: 1-line block ×4, first 2 shown]
	v_cmp_ne_u16_sdwa s[20:21], v8, v6 src0_sel:BYTE_0 src1_sel:DWORD
	s_and_saveexec_b64 s[10:11], s[20:21]
	s_cbranch_execz .LBB216_896
; %bb.891:                              ;   in Loop: Header=BB216_800 Depth=1
	v_bfrev_b32_e32 v21, 1
	v_mov_b32_e32 v22, 0
	v_cmp_ne_u16_sdwa s[22:23], v8, s24 src0_sel:BYTE_0 src1_sel:DWORD
	s_and_saveexec_b64 s[20:21], s[22:23]
	s_cbranch_execz .LBB216_895
; %bb.892:                              ;   in Loop: Header=BB216_800 Depth=1
	v_bfe_u32 v4, v16, 16, 7
	v_mov_b32_e32 v21, 0x7f800001
	v_mov_b32_e32 v22, 0
	v_cmp_ne_u32_e32 vcc, s25, v4
	s_and_saveexec_b64 s[22:23], vcc
	s_cbranch_execz .LBB216_894
; %bb.893:                              ;   in Loop: Header=BB216_800 Depth=1
	v_and_b32_e32 v25, 7, v8
	v_lshrrev_b32_e32 v27, 3, v4
	v_cmp_gt_u32_e32 vcc, 8, v4
	v_ffbh_u32_e32 v4, v25
	v_min_u32_e32 v4, 32, v4
	v_subrev_u32_e32 v21, 28, v4
	v_lshlrev_b64 v[21:22], v21, v[8:9]
	v_sub_u32_e32 v4, 29, v4
	v_and_b32_e32 v21, 7, v21
	v_cndmask_b32_e32 v4, v27, v4, vcc
	v_cndmask_b32_e32 v21, v25, v21, vcc
	v_bfrev_b32_e32 v22, 60
	v_lshlrev_b32_e32 v21, 20, v21
	v_and_b32_sdwa v8, sext(v8), s26 dst_sel:DWORD dst_unused:UNUSED_PAD src0_sel:BYTE_0 src1_sel:DWORD
	v_lshl_add_u32 v4, v4, 23, v22
	v_or3_b32 v21, v8, v4, v21
	v_mov_b32_e32 v22, v6
.LBB216_894:                            ;   in Loop: Header=BB216_800 Depth=1
	s_or_b64 exec, exec, s[22:23]
.LBB216_895:                            ;   in Loop: Header=BB216_800 Depth=1
	s_or_b64 exec, exec, s[20:21]
.LBB216_896:                            ;   in Loop: Header=BB216_800 Depth=1
	s_or_b64 exec, exec, s[10:11]
	v_cmp_lt_u32_e32 vcc, s27, v16
	s_and_saveexec_b64 s[10:11], vcc
	s_cbranch_execz .LBB216_902
; %bb.897:                              ;   in Loop: Header=BB216_800 Depth=1
	v_mov_b32_e32 v24, v7
	v_cmp_ne_u32_sdwa s[22:23], v16, s24 src0_sel:BYTE_3 src1_sel:DWORD
	v_mov_b32_e32 v23, v6
	s_and_saveexec_b64 s[20:21], s[22:23]
	s_cbranch_execz .LBB216_901
; %bb.898:                              ;   in Loop: Header=BB216_800 Depth=1
	v_bfe_u32 v4, v16, 24, 7
	v_mov_b32_e32 v8, v6
	v_mov_b32_e32 v24, v9
	v_cmp_ne_u32_e32 vcc, s25, v4
	v_mov_b32_e32 v23, v8
	s_and_saveexec_b64 s[22:23], vcc
	s_cbranch_execz .LBB216_900
; %bb.899:                              ;   in Loop: Header=BB216_800 Depth=1
	v_mov_b32_e32 v8, 7
	v_and_b32_sdwa v23, v16, v8 dst_sel:DWORD dst_unused:UNUSED_PAD src0_sel:BYTE_3 src1_sel:DWORD
	v_lshrrev_b32_e32 v8, 3, v4
	v_cmp_gt_u32_e32 vcc, 8, v4
	v_ffbh_u32_e32 v4, v23
	v_min_u32_e32 v4, 32, v4
	v_mov_b32_e32 v24, v6
	v_subrev_u32_e32 v25, 28, v4
	v_lshlrev_b64 v[24:25], v25, v[23:24]
	v_sub_u32_e32 v4, 29, v4
	v_and_b32_e32 v24, 7, v24
	v_cndmask_b32_e32 v4, v8, v4, vcc
	v_cndmask_b32_e32 v8, v23, v24, vcc
	v_mov_b32_e32 v23, 24
	v_lshlrev_b32_sdwa v16, v23, v16 dst_sel:DWORD dst_unused:UNUSED_PAD src0_sel:DWORD src1_sel:BYTE_3
	v_bfrev_b32_e32 v23, 60
	v_lshl_add_u32 v4, v4, 23, v23
	v_and_or_b32 v4, v16, s26, v4
	v_lshlrev_b32_e32 v8, 20, v8
	v_or_b32_e32 v24, v4, v8
	v_mov_b32_e32 v23, v6
.LBB216_900:                            ;   in Loop: Header=BB216_800 Depth=1
	s_or_b64 exec, exec, s[22:23]
.LBB216_901:                            ;   in Loop: Header=BB216_800 Depth=1
	s_or_b64 exec, exec, s[20:21]
.LBB216_902:                            ;   in Loop: Header=BB216_800 Depth=1
	s_or_b64 exec, exec, s[10:11]
	v_or_b32_e32 v4, v20, v18
	v_or_b32_e32 v8, v19, v17
	v_mul_f32_e32 v4, v63, v4
	buffer_store_dword v4, off, s[0:3], s32 offset:180 ; 4-byte Folded Spill
	v_mul_f32_e32 v4, v26, v8
	buffer_store_dword v4, off, s[0:3], s32 offset:164 ; 4-byte Folded Spill
	v_or_b32_e32 v4, v24, v22
	v_or_b32_e32 v8, v23, v21
	v_mul_f32_e32 v8, v26, v8
	v_mul_f32_e32 v4, v63, v4
	buffer_store_dword v8, off, s[0:3], s32 offset:172 ; 4-byte Folded Spill
	buffer_store_dword v4, off, s[0:3], s32 offset:156 ; 4-byte Folded Spill
	s_and_saveexec_b64 s[10:11], s[4:5]
	s_cbranch_execz .LBB216_904
; %bb.903:                              ;   in Loop: Header=BB216_800 Depth=1
	buffer_load_dword v4, off, s[0:3], s32 offset:72 ; 4-byte Folded Reload
	v_add_u32_e32 v8, -3, v5
	s_waitcnt vmcnt(0)
	v_cmp_lt_i32_e32 vcc, v8, v4
	buffer_load_dword v8, off, s[0:3], s32 offset:164 ; 4-byte Folded Reload
	s_waitcnt vmcnt(0)
	v_cndmask_b32_e32 v8, 0, v8, vcc
	buffer_store_dword v8, off, s[0:3], s32 offset:164 ; 4-byte Folded Spill
	v_add_u32_e32 v8, -2, v5
	v_cmp_lt_i32_e32 vcc, v8, v4
	buffer_load_dword v8, off, s[0:3], s32 offset:180 ; 4-byte Folded Reload
	s_waitcnt vmcnt(0)
	v_cndmask_b32_e32 v8, 0, v8, vcc
	buffer_store_dword v8, off, s[0:3], s32 offset:180 ; 4-byte Folded Spill
	v_add_u32_e32 v8, -1, v5
	v_cmp_lt_i32_e32 vcc, v8, v4
	buffer_load_dword v8, off, s[0:3], s32 offset:172 ; 4-byte Folded Reload
	s_waitcnt vmcnt(0)
	v_cndmask_b32_e32 v8, 0, v8, vcc
	v_cmp_lt_i32_e32 vcc, v5, v4
	buffer_load_dword v4, off, s[0:3], s32 offset:156 ; 4-byte Folded Reload
	s_waitcnt vmcnt(0)
	v_cndmask_b32_e32 v4, 0, v4, vcc
	buffer_store_dword v8, off, s[0:3], s32 offset:172 ; 4-byte Folded Spill
	buffer_store_dword v4, off, s[0:3], s32 offset:156 ; 4-byte Folded Spill
.LBB216_904:                            ;   in Loop: Header=BB216_800 Depth=1
	s_or_b64 exec, exec, s[10:11]
	flat_load_dword v16, v[14:15] offset:1024
	v_mov_b32_e32 v19, 0
	v_mov_b32_e32 v17, 0
	;; [unrolled: 1-line block ×4, first 2 shown]
	s_waitcnt vmcnt(0) lgkmcnt(0)
	v_cmp_ne_u16_sdwa s[20:21], v16, v6 src0_sel:BYTE_0 src1_sel:DWORD
	s_and_saveexec_b64 s[10:11], s[20:21]
	s_cbranch_execz .LBB216_910
; %bb.905:                              ;   in Loop: Header=BB216_800 Depth=1
	v_bfrev_b32_e32 v17, 1
	v_mov_b32_e32 v18, 0
	v_cmp_ne_u16_sdwa s[22:23], v16, s24 src0_sel:BYTE_0 src1_sel:DWORD
	s_and_saveexec_b64 s[20:21], s[22:23]
	s_cbranch_execz .LBB216_909
; %bb.906:                              ;   in Loop: Header=BB216_800 Depth=1
	v_and_b32_e32 v4, 0x7f, v16
	v_mov_b32_e32 v17, 0x7f800001
	v_mov_b32_e32 v18, 0
	v_cmp_ne_u32_e32 vcc, s25, v4
	s_and_saveexec_b64 s[22:23], vcc
	s_cbranch_execz .LBB216_908
; %bb.907:                              ;   in Loop: Header=BB216_800 Depth=1
	v_and_b32_e32 v8, 7, v16
	v_lshrrev_b32_e32 v21, 3, v4
	v_cmp_gt_u32_e32 vcc, 8, v4
	v_ffbh_u32_e32 v4, v8
	v_min_u32_e32 v4, 32, v4
	v_subrev_u32_e32 v17, 28, v4
	v_lshlrev_b64 v[17:18], v17, v[16:17]
	v_sub_u32_e32 v4, 29, v4
	v_and_b32_e32 v17, 7, v17
	v_cndmask_b32_e32 v4, v21, v4, vcc
	v_cndmask_b32_e32 v8, v8, v17, vcc
	v_bfrev_b32_e32 v18, 60
	v_lshlrev_b32_e32 v8, 20, v8
	v_and_b32_sdwa v17, sext(v16), s26 dst_sel:DWORD dst_unused:UNUSED_PAD src0_sel:BYTE_0 src1_sel:DWORD
	v_lshl_add_u32 v4, v4, 23, v18
	v_or3_b32 v17, v17, v4, v8
	v_mov_b32_e32 v18, v6
.LBB216_908:                            ;   in Loop: Header=BB216_800 Depth=1
	s_or_b64 exec, exec, s[22:23]
.LBB216_909:                            ;   in Loop: Header=BB216_800 Depth=1
	s_or_b64 exec, exec, s[20:21]
.LBB216_910:                            ;   in Loop: Header=BB216_800 Depth=1
	s_or_b64 exec, exec, s[10:11]
	v_cmp_ne_u16_sdwa s[20:21], v16, v6 src0_sel:BYTE_1 src1_sel:DWORD
	s_and_saveexec_b64 s[10:11], s[20:21]
	s_cbranch_execz .LBB216_916
; %bb.911:                              ;   in Loop: Header=BB216_800 Depth=1
	v_mov_b32_e32 v20, v7
	v_cmp_ne_u16_sdwa s[22:23], v16, s24 src0_sel:BYTE_1 src1_sel:DWORD
	v_mov_b32_e32 v19, v6
	s_and_saveexec_b64 s[20:21], s[22:23]
	s_cbranch_execz .LBB216_915
; %bb.912:                              ;   in Loop: Header=BB216_800 Depth=1
	v_and_b32_sdwa v4, v16, s25 dst_sel:DWORD dst_unused:UNUSED_PAD src0_sel:BYTE_1 src1_sel:DWORD
	v_mov_b32_e32 v8, v6
	v_mov_b32_e32 v20, v9
	v_cmp_ne_u32_e32 vcc, s25, v4
	v_mov_b32_e32 v19, v8
	s_and_saveexec_b64 s[22:23], vcc
	s_cbranch_execz .LBB216_914
; %bb.913:                              ;   in Loop: Header=BB216_800 Depth=1
	v_mov_b32_e32 v8, 7
	v_and_b32_sdwa v19, v16, v8 dst_sel:DWORD dst_unused:UNUSED_PAD src0_sel:BYTE_1 src1_sel:DWORD
	v_lshrrev_b32_e32 v8, 3, v4
	v_cmp_gt_u32_e32 vcc, 8, v4
	v_ffbh_u32_e32 v4, v19
	v_min_u32_e32 v4, 32, v4
	v_mov_b32_e32 v20, v6
	v_subrev_u32_e32 v21, 28, v4
	v_lshlrev_b64 v[20:21], v21, v[19:20]
	v_sub_u32_e32 v4, 29, v4
	v_and_b32_e32 v20, 7, v20
	v_cndmask_b32_e32 v4, v8, v4, vcc
	v_cndmask_b32_e32 v8, v19, v20, vcc
	v_bfrev_b32_e32 v20, 60
	v_lshlrev_b32_e32 v19, 16, v16
	v_lshl_add_u32 v4, v4, 23, v20
	v_and_or_b32 v4, v19, s26, v4
	v_lshlrev_b32_e32 v8, 20, v8
	v_or_b32_e32 v20, v4, v8
	v_mov_b32_e32 v19, v6
.LBB216_914:                            ;   in Loop: Header=BB216_800 Depth=1
	s_or_b64 exec, exec, s[22:23]
.LBB216_915:                            ;   in Loop: Header=BB216_800 Depth=1
	s_or_b64 exec, exec, s[20:21]
.LBB216_916:                            ;   in Loop: Header=BB216_800 Depth=1
	s_or_b64 exec, exec, s[10:11]
	v_lshrrev_b32_e32 v8, 16, v16
	v_mov_b32_e32 v23, 0
	v_mov_b32_e32 v21, 0
	;; [unrolled: 1-line block ×4, first 2 shown]
	v_cmp_ne_u16_sdwa s[20:21], v8, v6 src0_sel:BYTE_0 src1_sel:DWORD
	s_and_saveexec_b64 s[10:11], s[20:21]
	s_cbranch_execz .LBB216_922
; %bb.917:                              ;   in Loop: Header=BB216_800 Depth=1
	v_bfrev_b32_e32 v21, 1
	v_mov_b32_e32 v22, 0
	v_cmp_ne_u16_sdwa s[22:23], v8, s24 src0_sel:BYTE_0 src1_sel:DWORD
	s_and_saveexec_b64 s[20:21], s[22:23]
	s_cbranch_execz .LBB216_921
; %bb.918:                              ;   in Loop: Header=BB216_800 Depth=1
	v_bfe_u32 v4, v16, 16, 7
	v_mov_b32_e32 v21, 0x7f800001
	v_mov_b32_e32 v22, 0
	v_cmp_ne_u32_e32 vcc, s25, v4
	s_and_saveexec_b64 s[22:23], vcc
	s_cbranch_execz .LBB216_920
; %bb.919:                              ;   in Loop: Header=BB216_800 Depth=1
	v_and_b32_e32 v25, 7, v8
	v_lshrrev_b32_e32 v27, 3, v4
	v_cmp_gt_u32_e32 vcc, 8, v4
	v_ffbh_u32_e32 v4, v25
	v_min_u32_e32 v4, 32, v4
	v_subrev_u32_e32 v21, 28, v4
	v_lshlrev_b64 v[21:22], v21, v[8:9]
	v_sub_u32_e32 v4, 29, v4
	v_and_b32_e32 v21, 7, v21
	v_cndmask_b32_e32 v4, v27, v4, vcc
	v_cndmask_b32_e32 v21, v25, v21, vcc
	v_bfrev_b32_e32 v22, 60
	v_lshlrev_b32_e32 v21, 20, v21
	v_and_b32_sdwa v8, sext(v8), s26 dst_sel:DWORD dst_unused:UNUSED_PAD src0_sel:BYTE_0 src1_sel:DWORD
	v_lshl_add_u32 v4, v4, 23, v22
	v_or3_b32 v21, v8, v4, v21
	v_mov_b32_e32 v22, v6
.LBB216_920:                            ;   in Loop: Header=BB216_800 Depth=1
	s_or_b64 exec, exec, s[22:23]
.LBB216_921:                            ;   in Loop: Header=BB216_800 Depth=1
	s_or_b64 exec, exec, s[20:21]
.LBB216_922:                            ;   in Loop: Header=BB216_800 Depth=1
	s_or_b64 exec, exec, s[10:11]
	v_cmp_lt_u32_e32 vcc, s27, v16
	s_and_saveexec_b64 s[10:11], vcc
	s_cbranch_execz .LBB216_928
; %bb.923:                              ;   in Loop: Header=BB216_800 Depth=1
	v_mov_b32_e32 v24, v7
	v_cmp_ne_u32_sdwa s[22:23], v16, s24 src0_sel:BYTE_3 src1_sel:DWORD
	v_mov_b32_e32 v23, v6
	s_and_saveexec_b64 s[20:21], s[22:23]
	s_cbranch_execz .LBB216_927
; %bb.924:                              ;   in Loop: Header=BB216_800 Depth=1
	v_bfe_u32 v4, v16, 24, 7
	v_mov_b32_e32 v8, v6
	v_mov_b32_e32 v24, v9
	v_cmp_ne_u32_e32 vcc, s25, v4
	v_mov_b32_e32 v23, v8
	s_and_saveexec_b64 s[22:23], vcc
	s_cbranch_execz .LBB216_926
; %bb.925:                              ;   in Loop: Header=BB216_800 Depth=1
	v_mov_b32_e32 v8, 7
	v_and_b32_sdwa v23, v16, v8 dst_sel:DWORD dst_unused:UNUSED_PAD src0_sel:BYTE_3 src1_sel:DWORD
	v_lshrrev_b32_e32 v8, 3, v4
	v_cmp_gt_u32_e32 vcc, 8, v4
	v_ffbh_u32_e32 v4, v23
	v_min_u32_e32 v4, 32, v4
	v_mov_b32_e32 v24, v6
	v_subrev_u32_e32 v25, 28, v4
	v_lshlrev_b64 v[24:25], v25, v[23:24]
	v_sub_u32_e32 v4, 29, v4
	v_and_b32_e32 v24, 7, v24
	v_cndmask_b32_e32 v4, v8, v4, vcc
	v_cndmask_b32_e32 v8, v23, v24, vcc
	v_mov_b32_e32 v23, 24
	v_lshlrev_b32_sdwa v16, v23, v16 dst_sel:DWORD dst_unused:UNUSED_PAD src0_sel:DWORD src1_sel:BYTE_3
	v_bfrev_b32_e32 v23, 60
	v_lshl_add_u32 v4, v4, 23, v23
	v_and_or_b32 v4, v16, s26, v4
	v_lshlrev_b32_e32 v8, 20, v8
	v_or_b32_e32 v24, v4, v8
	v_mov_b32_e32 v23, v6
.LBB216_926:                            ;   in Loop: Header=BB216_800 Depth=1
	s_or_b64 exec, exec, s[22:23]
.LBB216_927:                            ;   in Loop: Header=BB216_800 Depth=1
	s_or_b64 exec, exec, s[20:21]
.LBB216_928:                            ;   in Loop: Header=BB216_800 Depth=1
	s_or_b64 exec, exec, s[10:11]
	v_or_b32_e32 v4, v20, v18
	v_or_b32_e32 v8, v19, v17
	v_mul_f32_e32 v4, v63, v4
	buffer_store_dword v4, off, s[0:3], s32 offset:212 ; 4-byte Folded Spill
	v_mul_f32_e32 v4, v26, v8
	buffer_store_dword v4, off, s[0:3], s32 offset:196 ; 4-byte Folded Spill
	v_or_b32_e32 v4, v24, v22
	v_or_b32_e32 v8, v23, v21
	v_mul_f32_e32 v8, v26, v8
	v_mul_f32_e32 v4, v63, v4
	buffer_store_dword v8, off, s[0:3], s32 offset:204 ; 4-byte Folded Spill
	buffer_store_dword v4, off, s[0:3], s32 offset:188 ; 4-byte Folded Spill
	s_and_saveexec_b64 s[10:11], s[4:5]
	s_cbranch_execz .LBB216_930
; %bb.929:                              ;   in Loop: Header=BB216_800 Depth=1
	buffer_load_dword v4, off, s[0:3], s32 offset:72 ; 4-byte Folded Reload
	v_add_u32_e32 v8, -3, v5
	s_waitcnt vmcnt(0)
	v_cmp_lt_i32_e32 vcc, v8, v4
	buffer_load_dword v8, off, s[0:3], s32 offset:196 ; 4-byte Folded Reload
	s_waitcnt vmcnt(0)
	v_cndmask_b32_e32 v8, 0, v8, vcc
	buffer_store_dword v8, off, s[0:3], s32 offset:196 ; 4-byte Folded Spill
	v_add_u32_e32 v8, -2, v5
	v_cmp_lt_i32_e32 vcc, v8, v4
	buffer_load_dword v8, off, s[0:3], s32 offset:212 ; 4-byte Folded Reload
	s_waitcnt vmcnt(0)
	v_cndmask_b32_e32 v8, 0, v8, vcc
	buffer_store_dword v8, off, s[0:3], s32 offset:212 ; 4-byte Folded Spill
	v_add_u32_e32 v8, -1, v5
	v_cmp_lt_i32_e32 vcc, v8, v4
	buffer_load_dword v8, off, s[0:3], s32 offset:204 ; 4-byte Folded Reload
	s_waitcnt vmcnt(0)
	v_cndmask_b32_e32 v8, 0, v8, vcc
	v_cmp_lt_i32_e32 vcc, v5, v4
	buffer_load_dword v4, off, s[0:3], s32 offset:188 ; 4-byte Folded Reload
	s_waitcnt vmcnt(0)
	v_cndmask_b32_e32 v4, 0, v4, vcc
	buffer_store_dword v8, off, s[0:3], s32 offset:204 ; 4-byte Folded Spill
	buffer_store_dword v4, off, s[0:3], s32 offset:188 ; 4-byte Folded Spill
.LBB216_930:                            ;   in Loop: Header=BB216_800 Depth=1
	s_or_b64 exec, exec, s[10:11]
	flat_load_dword v16, v[14:15] offset:1280
	v_mov_b32_e32 v19, 0
	v_mov_b32_e32 v17, 0
	;; [unrolled: 1-line block ×4, first 2 shown]
	s_waitcnt vmcnt(0) lgkmcnt(0)
	v_cmp_ne_u16_sdwa s[20:21], v16, v6 src0_sel:BYTE_0 src1_sel:DWORD
	s_and_saveexec_b64 s[10:11], s[20:21]
	s_cbranch_execz .LBB216_936
; %bb.931:                              ;   in Loop: Header=BB216_800 Depth=1
	v_bfrev_b32_e32 v17, 1
	v_mov_b32_e32 v18, 0
	v_cmp_ne_u16_sdwa s[22:23], v16, s24 src0_sel:BYTE_0 src1_sel:DWORD
	s_and_saveexec_b64 s[20:21], s[22:23]
	s_cbranch_execz .LBB216_935
; %bb.932:                              ;   in Loop: Header=BB216_800 Depth=1
	v_and_b32_e32 v4, 0x7f, v16
	v_mov_b32_e32 v17, 0x7f800001
	v_mov_b32_e32 v18, 0
	v_cmp_ne_u32_e32 vcc, s25, v4
	s_and_saveexec_b64 s[22:23], vcc
	s_cbranch_execz .LBB216_934
; %bb.933:                              ;   in Loop: Header=BB216_800 Depth=1
	v_and_b32_e32 v8, 7, v16
	v_lshrrev_b32_e32 v21, 3, v4
	v_cmp_gt_u32_e32 vcc, 8, v4
	v_ffbh_u32_e32 v4, v8
	v_min_u32_e32 v4, 32, v4
	v_subrev_u32_e32 v17, 28, v4
	v_lshlrev_b64 v[17:18], v17, v[16:17]
	v_sub_u32_e32 v4, 29, v4
	v_and_b32_e32 v17, 7, v17
	v_cndmask_b32_e32 v4, v21, v4, vcc
	v_cndmask_b32_e32 v8, v8, v17, vcc
	v_bfrev_b32_e32 v18, 60
	v_lshlrev_b32_e32 v8, 20, v8
	v_and_b32_sdwa v17, sext(v16), s26 dst_sel:DWORD dst_unused:UNUSED_PAD src0_sel:BYTE_0 src1_sel:DWORD
	v_lshl_add_u32 v4, v4, 23, v18
	v_or3_b32 v17, v17, v4, v8
	v_mov_b32_e32 v18, v6
.LBB216_934:                            ;   in Loop: Header=BB216_800 Depth=1
	s_or_b64 exec, exec, s[22:23]
.LBB216_935:                            ;   in Loop: Header=BB216_800 Depth=1
	s_or_b64 exec, exec, s[20:21]
.LBB216_936:                            ;   in Loop: Header=BB216_800 Depth=1
	s_or_b64 exec, exec, s[10:11]
	v_cmp_ne_u16_sdwa s[20:21], v16, v6 src0_sel:BYTE_1 src1_sel:DWORD
	s_and_saveexec_b64 s[10:11], s[20:21]
	s_cbranch_execz .LBB216_942
; %bb.937:                              ;   in Loop: Header=BB216_800 Depth=1
	v_mov_b32_e32 v20, v7
	v_cmp_ne_u16_sdwa s[22:23], v16, s24 src0_sel:BYTE_1 src1_sel:DWORD
	v_mov_b32_e32 v19, v6
	s_and_saveexec_b64 s[20:21], s[22:23]
	s_cbranch_execz .LBB216_941
; %bb.938:                              ;   in Loop: Header=BB216_800 Depth=1
	v_and_b32_sdwa v4, v16, s25 dst_sel:DWORD dst_unused:UNUSED_PAD src0_sel:BYTE_1 src1_sel:DWORD
	v_mov_b32_e32 v8, v6
	v_mov_b32_e32 v20, v9
	v_cmp_ne_u32_e32 vcc, s25, v4
	v_mov_b32_e32 v19, v8
	s_and_saveexec_b64 s[22:23], vcc
	s_cbranch_execz .LBB216_940
; %bb.939:                              ;   in Loop: Header=BB216_800 Depth=1
	v_mov_b32_e32 v8, 7
	v_and_b32_sdwa v19, v16, v8 dst_sel:DWORD dst_unused:UNUSED_PAD src0_sel:BYTE_1 src1_sel:DWORD
	v_lshrrev_b32_e32 v8, 3, v4
	v_cmp_gt_u32_e32 vcc, 8, v4
	v_ffbh_u32_e32 v4, v19
	v_min_u32_e32 v4, 32, v4
	v_mov_b32_e32 v20, v6
	v_subrev_u32_e32 v21, 28, v4
	v_lshlrev_b64 v[20:21], v21, v[19:20]
	v_sub_u32_e32 v4, 29, v4
	v_and_b32_e32 v20, 7, v20
	v_cndmask_b32_e32 v4, v8, v4, vcc
	v_cndmask_b32_e32 v8, v19, v20, vcc
	v_bfrev_b32_e32 v20, 60
	v_lshlrev_b32_e32 v19, 16, v16
	v_lshl_add_u32 v4, v4, 23, v20
	v_and_or_b32 v4, v19, s26, v4
	v_lshlrev_b32_e32 v8, 20, v8
	v_or_b32_e32 v20, v4, v8
	v_mov_b32_e32 v19, v6
.LBB216_940:                            ;   in Loop: Header=BB216_800 Depth=1
	s_or_b64 exec, exec, s[22:23]
.LBB216_941:                            ;   in Loop: Header=BB216_800 Depth=1
	s_or_b64 exec, exec, s[20:21]
.LBB216_942:                            ;   in Loop: Header=BB216_800 Depth=1
	s_or_b64 exec, exec, s[10:11]
	v_lshrrev_b32_e32 v8, 16, v16
	v_mov_b32_e32 v23, 0
	v_mov_b32_e32 v21, 0
	;; [unrolled: 1-line block ×4, first 2 shown]
	v_cmp_ne_u16_sdwa s[20:21], v8, v6 src0_sel:BYTE_0 src1_sel:DWORD
	s_and_saveexec_b64 s[10:11], s[20:21]
	s_cbranch_execz .LBB216_948
; %bb.943:                              ;   in Loop: Header=BB216_800 Depth=1
	v_bfrev_b32_e32 v21, 1
	v_mov_b32_e32 v22, 0
	v_cmp_ne_u16_sdwa s[22:23], v8, s24 src0_sel:BYTE_0 src1_sel:DWORD
	s_and_saveexec_b64 s[20:21], s[22:23]
	s_cbranch_execz .LBB216_947
; %bb.944:                              ;   in Loop: Header=BB216_800 Depth=1
	v_bfe_u32 v4, v16, 16, 7
	v_mov_b32_e32 v21, 0x7f800001
	v_mov_b32_e32 v22, 0
	v_cmp_ne_u32_e32 vcc, s25, v4
	s_and_saveexec_b64 s[22:23], vcc
	s_cbranch_execz .LBB216_946
; %bb.945:                              ;   in Loop: Header=BB216_800 Depth=1
	v_and_b32_e32 v25, 7, v8
	v_lshrrev_b32_e32 v27, 3, v4
	v_cmp_gt_u32_e32 vcc, 8, v4
	v_ffbh_u32_e32 v4, v25
	v_min_u32_e32 v4, 32, v4
	v_subrev_u32_e32 v21, 28, v4
	v_lshlrev_b64 v[21:22], v21, v[8:9]
	v_sub_u32_e32 v4, 29, v4
	v_and_b32_e32 v21, 7, v21
	v_cndmask_b32_e32 v4, v27, v4, vcc
	v_cndmask_b32_e32 v21, v25, v21, vcc
	v_bfrev_b32_e32 v22, 60
	v_lshlrev_b32_e32 v21, 20, v21
	v_and_b32_sdwa v8, sext(v8), s26 dst_sel:DWORD dst_unused:UNUSED_PAD src0_sel:BYTE_0 src1_sel:DWORD
	v_lshl_add_u32 v4, v4, 23, v22
	v_or3_b32 v21, v8, v4, v21
	v_mov_b32_e32 v22, v6
.LBB216_946:                            ;   in Loop: Header=BB216_800 Depth=1
	s_or_b64 exec, exec, s[22:23]
.LBB216_947:                            ;   in Loop: Header=BB216_800 Depth=1
	s_or_b64 exec, exec, s[20:21]
.LBB216_948:                            ;   in Loop: Header=BB216_800 Depth=1
	s_or_b64 exec, exec, s[10:11]
	v_cmp_lt_u32_e32 vcc, s27, v16
	s_and_saveexec_b64 s[10:11], vcc
	s_cbranch_execz .LBB216_954
; %bb.949:                              ;   in Loop: Header=BB216_800 Depth=1
	v_mov_b32_e32 v24, v7
	v_cmp_ne_u32_sdwa s[22:23], v16, s24 src0_sel:BYTE_3 src1_sel:DWORD
	v_mov_b32_e32 v23, v6
	s_and_saveexec_b64 s[20:21], s[22:23]
	s_cbranch_execz .LBB216_953
; %bb.950:                              ;   in Loop: Header=BB216_800 Depth=1
	v_bfe_u32 v4, v16, 24, 7
	v_mov_b32_e32 v8, v6
	v_mov_b32_e32 v24, v9
	v_cmp_ne_u32_e32 vcc, s25, v4
	v_mov_b32_e32 v23, v8
	s_and_saveexec_b64 s[22:23], vcc
	s_cbranch_execz .LBB216_952
; %bb.951:                              ;   in Loop: Header=BB216_800 Depth=1
	v_mov_b32_e32 v8, 7
	v_and_b32_sdwa v23, v16, v8 dst_sel:DWORD dst_unused:UNUSED_PAD src0_sel:BYTE_3 src1_sel:DWORD
	v_lshrrev_b32_e32 v8, 3, v4
	v_cmp_gt_u32_e32 vcc, 8, v4
	v_ffbh_u32_e32 v4, v23
	v_min_u32_e32 v4, 32, v4
	v_mov_b32_e32 v24, v6
	v_subrev_u32_e32 v25, 28, v4
	v_lshlrev_b64 v[24:25], v25, v[23:24]
	v_sub_u32_e32 v4, 29, v4
	v_and_b32_e32 v24, 7, v24
	v_cndmask_b32_e32 v4, v8, v4, vcc
	v_cndmask_b32_e32 v8, v23, v24, vcc
	v_mov_b32_e32 v23, 24
	v_lshlrev_b32_sdwa v16, v23, v16 dst_sel:DWORD dst_unused:UNUSED_PAD src0_sel:DWORD src1_sel:BYTE_3
	v_bfrev_b32_e32 v23, 60
	v_lshl_add_u32 v4, v4, 23, v23
	v_and_or_b32 v4, v16, s26, v4
	v_lshlrev_b32_e32 v8, 20, v8
	v_or_b32_e32 v24, v4, v8
	v_mov_b32_e32 v23, v6
.LBB216_952:                            ;   in Loop: Header=BB216_800 Depth=1
	s_or_b64 exec, exec, s[22:23]
.LBB216_953:                            ;   in Loop: Header=BB216_800 Depth=1
	s_or_b64 exec, exec, s[20:21]
.LBB216_954:                            ;   in Loop: Header=BB216_800 Depth=1
	s_or_b64 exec, exec, s[10:11]
	v_or_b32_e32 v4, v20, v18
	v_or_b32_e32 v8, v19, v17
	v_mul_f32_e32 v4, v63, v4
	buffer_store_dword v4, off, s[0:3], s32 offset:244 ; 4-byte Folded Spill
	v_mul_f32_e32 v4, v26, v8
	buffer_store_dword v4, off, s[0:3], s32 offset:228 ; 4-byte Folded Spill
	v_or_b32_e32 v4, v24, v22
	v_or_b32_e32 v8, v23, v21
	v_mul_f32_e32 v8, v26, v8
	v_mul_f32_e32 v4, v63, v4
	buffer_store_dword v8, off, s[0:3], s32 offset:236 ; 4-byte Folded Spill
	buffer_store_dword v4, off, s[0:3], s32 offset:220 ; 4-byte Folded Spill
	s_and_saveexec_b64 s[10:11], s[4:5]
	s_cbranch_execz .LBB216_956
; %bb.955:                              ;   in Loop: Header=BB216_800 Depth=1
	buffer_load_dword v4, off, s[0:3], s32 offset:72 ; 4-byte Folded Reload
	v_add_u32_e32 v8, -3, v5
	s_waitcnt vmcnt(0)
	v_cmp_lt_i32_e32 vcc, v8, v4
	buffer_load_dword v8, off, s[0:3], s32 offset:228 ; 4-byte Folded Reload
	s_waitcnt vmcnt(0)
	v_cndmask_b32_e32 v8, 0, v8, vcc
	buffer_store_dword v8, off, s[0:3], s32 offset:228 ; 4-byte Folded Spill
	v_add_u32_e32 v8, -2, v5
	v_cmp_lt_i32_e32 vcc, v8, v4
	buffer_load_dword v8, off, s[0:3], s32 offset:244 ; 4-byte Folded Reload
	s_waitcnt vmcnt(0)
	v_cndmask_b32_e32 v8, 0, v8, vcc
	buffer_store_dword v8, off, s[0:3], s32 offset:244 ; 4-byte Folded Spill
	v_add_u32_e32 v8, -1, v5
	v_cmp_lt_i32_e32 vcc, v8, v4
	buffer_load_dword v8, off, s[0:3], s32 offset:236 ; 4-byte Folded Reload
	s_waitcnt vmcnt(0)
	v_cndmask_b32_e32 v8, 0, v8, vcc
	v_cmp_lt_i32_e32 vcc, v5, v4
	buffer_load_dword v4, off, s[0:3], s32 offset:220 ; 4-byte Folded Reload
	s_waitcnt vmcnt(0)
	v_cndmask_b32_e32 v4, 0, v4, vcc
	buffer_store_dword v8, off, s[0:3], s32 offset:236 ; 4-byte Folded Spill
	buffer_store_dword v4, off, s[0:3], s32 offset:220 ; 4-byte Folded Spill
.LBB216_956:                            ;   in Loop: Header=BB216_800 Depth=1
	s_or_b64 exec, exec, s[10:11]
	flat_load_dword v16, v[14:15] offset:1536
	v_mov_b32_e32 v19, 0
	v_mov_b32_e32 v17, 0
	v_mov_b32_e32 v20, 0
	v_mov_b32_e32 v18, 0
	s_waitcnt vmcnt(0) lgkmcnt(0)
	v_cmp_ne_u16_sdwa s[20:21], v16, v6 src0_sel:BYTE_0 src1_sel:DWORD
	s_and_saveexec_b64 s[10:11], s[20:21]
	s_cbranch_execz .LBB216_962
; %bb.957:                              ;   in Loop: Header=BB216_800 Depth=1
	v_bfrev_b32_e32 v17, 1
	v_mov_b32_e32 v18, 0
	v_cmp_ne_u16_sdwa s[22:23], v16, s24 src0_sel:BYTE_0 src1_sel:DWORD
	s_and_saveexec_b64 s[20:21], s[22:23]
	s_cbranch_execz .LBB216_961
; %bb.958:                              ;   in Loop: Header=BB216_800 Depth=1
	v_and_b32_e32 v4, 0x7f, v16
	v_mov_b32_e32 v17, 0x7f800001
	v_mov_b32_e32 v18, 0
	v_cmp_ne_u32_e32 vcc, s25, v4
	s_and_saveexec_b64 s[22:23], vcc
	s_cbranch_execz .LBB216_960
; %bb.959:                              ;   in Loop: Header=BB216_800 Depth=1
	v_and_b32_e32 v8, 7, v16
	v_lshrrev_b32_e32 v21, 3, v4
	v_cmp_gt_u32_e32 vcc, 8, v4
	v_ffbh_u32_e32 v4, v8
	v_min_u32_e32 v4, 32, v4
	v_subrev_u32_e32 v17, 28, v4
	v_lshlrev_b64 v[17:18], v17, v[16:17]
	v_sub_u32_e32 v4, 29, v4
	v_and_b32_e32 v17, 7, v17
	v_cndmask_b32_e32 v4, v21, v4, vcc
	v_cndmask_b32_e32 v8, v8, v17, vcc
	v_bfrev_b32_e32 v18, 60
	v_lshlrev_b32_e32 v8, 20, v8
	v_and_b32_sdwa v17, sext(v16), s26 dst_sel:DWORD dst_unused:UNUSED_PAD src0_sel:BYTE_0 src1_sel:DWORD
	v_lshl_add_u32 v4, v4, 23, v18
	v_or3_b32 v17, v17, v4, v8
	v_mov_b32_e32 v18, v6
.LBB216_960:                            ;   in Loop: Header=BB216_800 Depth=1
	s_or_b64 exec, exec, s[22:23]
.LBB216_961:                            ;   in Loop: Header=BB216_800 Depth=1
	s_or_b64 exec, exec, s[20:21]
.LBB216_962:                            ;   in Loop: Header=BB216_800 Depth=1
	s_or_b64 exec, exec, s[10:11]
	v_cmp_ne_u16_sdwa s[20:21], v16, v6 src0_sel:BYTE_1 src1_sel:DWORD
	s_and_saveexec_b64 s[10:11], s[20:21]
	s_cbranch_execz .LBB216_968
; %bb.963:                              ;   in Loop: Header=BB216_800 Depth=1
	v_mov_b32_e32 v20, v7
	v_cmp_ne_u16_sdwa s[22:23], v16, s24 src0_sel:BYTE_1 src1_sel:DWORD
	v_mov_b32_e32 v19, v6
	s_and_saveexec_b64 s[20:21], s[22:23]
	s_cbranch_execz .LBB216_967
; %bb.964:                              ;   in Loop: Header=BB216_800 Depth=1
	v_and_b32_sdwa v4, v16, s25 dst_sel:DWORD dst_unused:UNUSED_PAD src0_sel:BYTE_1 src1_sel:DWORD
	v_mov_b32_e32 v8, v6
	v_mov_b32_e32 v20, v9
	v_cmp_ne_u32_e32 vcc, s25, v4
	v_mov_b32_e32 v19, v8
	s_and_saveexec_b64 s[22:23], vcc
	s_cbranch_execz .LBB216_966
; %bb.965:                              ;   in Loop: Header=BB216_800 Depth=1
	v_mov_b32_e32 v8, 7
	v_and_b32_sdwa v19, v16, v8 dst_sel:DWORD dst_unused:UNUSED_PAD src0_sel:BYTE_1 src1_sel:DWORD
	v_lshrrev_b32_e32 v8, 3, v4
	v_cmp_gt_u32_e32 vcc, 8, v4
	v_ffbh_u32_e32 v4, v19
	v_min_u32_e32 v4, 32, v4
	v_mov_b32_e32 v20, v6
	v_subrev_u32_e32 v21, 28, v4
	v_lshlrev_b64 v[20:21], v21, v[19:20]
	v_sub_u32_e32 v4, 29, v4
	v_and_b32_e32 v20, 7, v20
	v_cndmask_b32_e32 v4, v8, v4, vcc
	v_cndmask_b32_e32 v8, v19, v20, vcc
	v_bfrev_b32_e32 v20, 60
	v_lshlrev_b32_e32 v19, 16, v16
	v_lshl_add_u32 v4, v4, 23, v20
	v_and_or_b32 v4, v19, s26, v4
	v_lshlrev_b32_e32 v8, 20, v8
	v_or_b32_e32 v20, v4, v8
	v_mov_b32_e32 v19, v6
.LBB216_966:                            ;   in Loop: Header=BB216_800 Depth=1
	s_or_b64 exec, exec, s[22:23]
.LBB216_967:                            ;   in Loop: Header=BB216_800 Depth=1
	s_or_b64 exec, exec, s[20:21]
.LBB216_968:                            ;   in Loop: Header=BB216_800 Depth=1
	s_or_b64 exec, exec, s[10:11]
	v_lshrrev_b32_e32 v8, 16, v16
	v_mov_b32_e32 v23, 0
	v_mov_b32_e32 v21, 0
	v_mov_b32_e32 v24, 0
	v_mov_b32_e32 v22, 0
	v_cmp_ne_u16_sdwa s[20:21], v8, v6 src0_sel:BYTE_0 src1_sel:DWORD
	s_and_saveexec_b64 s[10:11], s[20:21]
	s_cbranch_execz .LBB216_974
; %bb.969:                              ;   in Loop: Header=BB216_800 Depth=1
	v_bfrev_b32_e32 v21, 1
	v_mov_b32_e32 v22, 0
	v_cmp_ne_u16_sdwa s[22:23], v8, s24 src0_sel:BYTE_0 src1_sel:DWORD
	s_and_saveexec_b64 s[20:21], s[22:23]
	s_cbranch_execz .LBB216_973
; %bb.970:                              ;   in Loop: Header=BB216_800 Depth=1
	v_bfe_u32 v4, v16, 16, 7
	v_mov_b32_e32 v21, 0x7f800001
	v_mov_b32_e32 v22, 0
	v_cmp_ne_u32_e32 vcc, s25, v4
	s_and_saveexec_b64 s[22:23], vcc
	s_cbranch_execz .LBB216_972
; %bb.971:                              ;   in Loop: Header=BB216_800 Depth=1
	v_and_b32_e32 v25, 7, v8
	v_lshrrev_b32_e32 v27, 3, v4
	v_cmp_gt_u32_e32 vcc, 8, v4
	v_ffbh_u32_e32 v4, v25
	v_min_u32_e32 v4, 32, v4
	v_subrev_u32_e32 v21, 28, v4
	v_lshlrev_b64 v[21:22], v21, v[8:9]
	v_sub_u32_e32 v4, 29, v4
	v_and_b32_e32 v21, 7, v21
	v_cndmask_b32_e32 v4, v27, v4, vcc
	v_cndmask_b32_e32 v21, v25, v21, vcc
	v_bfrev_b32_e32 v22, 60
	v_lshlrev_b32_e32 v21, 20, v21
	v_and_b32_sdwa v8, sext(v8), s26 dst_sel:DWORD dst_unused:UNUSED_PAD src0_sel:BYTE_0 src1_sel:DWORD
	v_lshl_add_u32 v4, v4, 23, v22
	v_or3_b32 v21, v8, v4, v21
	v_mov_b32_e32 v22, v6
.LBB216_972:                            ;   in Loop: Header=BB216_800 Depth=1
	s_or_b64 exec, exec, s[22:23]
.LBB216_973:                            ;   in Loop: Header=BB216_800 Depth=1
	s_or_b64 exec, exec, s[20:21]
.LBB216_974:                            ;   in Loop: Header=BB216_800 Depth=1
	s_or_b64 exec, exec, s[10:11]
	v_cmp_lt_u32_e32 vcc, s27, v16
	s_and_saveexec_b64 s[10:11], vcc
	s_cbranch_execz .LBB216_980
; %bb.975:                              ;   in Loop: Header=BB216_800 Depth=1
	v_mov_b32_e32 v24, v7
	v_cmp_ne_u32_sdwa s[22:23], v16, s24 src0_sel:BYTE_3 src1_sel:DWORD
	v_mov_b32_e32 v23, v6
	s_and_saveexec_b64 s[20:21], s[22:23]
	s_cbranch_execz .LBB216_979
; %bb.976:                              ;   in Loop: Header=BB216_800 Depth=1
	v_bfe_u32 v4, v16, 24, 7
	v_mov_b32_e32 v8, v6
	v_mov_b32_e32 v24, v9
	v_cmp_ne_u32_e32 vcc, s25, v4
	v_mov_b32_e32 v23, v8
	s_and_saveexec_b64 s[22:23], vcc
	s_cbranch_execz .LBB216_978
; %bb.977:                              ;   in Loop: Header=BB216_800 Depth=1
	v_mov_b32_e32 v8, 7
	v_and_b32_sdwa v23, v16, v8 dst_sel:DWORD dst_unused:UNUSED_PAD src0_sel:BYTE_3 src1_sel:DWORD
	v_lshrrev_b32_e32 v8, 3, v4
	v_cmp_gt_u32_e32 vcc, 8, v4
	v_ffbh_u32_e32 v4, v23
	v_min_u32_e32 v4, 32, v4
	v_mov_b32_e32 v24, v6
	v_subrev_u32_e32 v25, 28, v4
	v_lshlrev_b64 v[24:25], v25, v[23:24]
	v_sub_u32_e32 v4, 29, v4
	v_and_b32_e32 v24, 7, v24
	v_cndmask_b32_e32 v4, v8, v4, vcc
	v_cndmask_b32_e32 v8, v23, v24, vcc
	v_mov_b32_e32 v23, 24
	v_lshlrev_b32_sdwa v16, v23, v16 dst_sel:DWORD dst_unused:UNUSED_PAD src0_sel:DWORD src1_sel:BYTE_3
	v_bfrev_b32_e32 v23, 60
	v_lshl_add_u32 v4, v4, 23, v23
	v_and_or_b32 v4, v16, s26, v4
	v_lshlrev_b32_e32 v8, 20, v8
	v_or_b32_e32 v24, v4, v8
	v_mov_b32_e32 v23, v6
.LBB216_978:                            ;   in Loop: Header=BB216_800 Depth=1
	s_or_b64 exec, exec, s[22:23]
.LBB216_979:                            ;   in Loop: Header=BB216_800 Depth=1
	s_or_b64 exec, exec, s[20:21]
.LBB216_980:                            ;   in Loop: Header=BB216_800 Depth=1
	s_or_b64 exec, exec, s[10:11]
	v_or_b32_e32 v4, v20, v18
	v_or_b32_e32 v8, v19, v17
	v_mul_f32_e32 v4, v63, v4
	buffer_store_dword v4, off, s[0:3], s32 offset:276 ; 4-byte Folded Spill
	v_mul_f32_e32 v4, v26, v8
	buffer_store_dword v4, off, s[0:3], s32 offset:260 ; 4-byte Folded Spill
	v_or_b32_e32 v4, v24, v22
	v_or_b32_e32 v8, v23, v21
	v_mul_f32_e32 v8, v26, v8
	v_mul_f32_e32 v4, v63, v4
	buffer_store_dword v8, off, s[0:3], s32 offset:268 ; 4-byte Folded Spill
	buffer_store_dword v4, off, s[0:3], s32 offset:252 ; 4-byte Folded Spill
	s_and_saveexec_b64 s[10:11], s[4:5]
	s_cbranch_execz .LBB216_982
; %bb.981:                              ;   in Loop: Header=BB216_800 Depth=1
	buffer_load_dword v4, off, s[0:3], s32 offset:72 ; 4-byte Folded Reload
	v_add_u32_e32 v8, -3, v5
	s_waitcnt vmcnt(0)
	v_cmp_lt_i32_e32 vcc, v8, v4
	buffer_load_dword v8, off, s[0:3], s32 offset:260 ; 4-byte Folded Reload
	s_waitcnt vmcnt(0)
	v_cndmask_b32_e32 v8, 0, v8, vcc
	buffer_store_dword v8, off, s[0:3], s32 offset:260 ; 4-byte Folded Spill
	v_add_u32_e32 v8, -2, v5
	v_cmp_lt_i32_e32 vcc, v8, v4
	buffer_load_dword v8, off, s[0:3], s32 offset:276 ; 4-byte Folded Reload
	s_waitcnt vmcnt(0)
	v_cndmask_b32_e32 v8, 0, v8, vcc
	buffer_store_dword v8, off, s[0:3], s32 offset:276 ; 4-byte Folded Spill
	v_add_u32_e32 v8, -1, v5
	v_cmp_lt_i32_e32 vcc, v8, v4
	buffer_load_dword v8, off, s[0:3], s32 offset:268 ; 4-byte Folded Reload
	s_waitcnt vmcnt(0)
	v_cndmask_b32_e32 v8, 0, v8, vcc
	v_cmp_lt_i32_e32 vcc, v5, v4
	buffer_load_dword v4, off, s[0:3], s32 offset:252 ; 4-byte Folded Reload
	s_waitcnt vmcnt(0)
	v_cndmask_b32_e32 v4, 0, v4, vcc
	buffer_store_dword v8, off, s[0:3], s32 offset:268 ; 4-byte Folded Spill
	buffer_store_dword v4, off, s[0:3], s32 offset:252 ; 4-byte Folded Spill
.LBB216_982:                            ;   in Loop: Header=BB216_800 Depth=1
	s_or_b64 exec, exec, s[10:11]
	flat_load_dword v16, v[14:15] offset:1792
	v_mov_b32_e32 v19, 0
	v_mov_b32_e32 v17, 0
	;; [unrolled: 1-line block ×4, first 2 shown]
	s_waitcnt vmcnt(0) lgkmcnt(0)
	v_cmp_ne_u16_sdwa s[20:21], v16, v6 src0_sel:BYTE_0 src1_sel:DWORD
	s_and_saveexec_b64 s[10:11], s[20:21]
	s_cbranch_execz .LBB216_988
; %bb.983:                              ;   in Loop: Header=BB216_800 Depth=1
	v_bfrev_b32_e32 v17, 1
	v_mov_b32_e32 v18, 0
	v_cmp_ne_u16_sdwa s[22:23], v16, s24 src0_sel:BYTE_0 src1_sel:DWORD
	s_and_saveexec_b64 s[20:21], s[22:23]
	s_cbranch_execz .LBB216_987
; %bb.984:                              ;   in Loop: Header=BB216_800 Depth=1
	v_and_b32_e32 v4, 0x7f, v16
	v_mov_b32_e32 v17, 0x7f800001
	v_mov_b32_e32 v18, 0
	v_cmp_ne_u32_e32 vcc, s25, v4
	s_and_saveexec_b64 s[22:23], vcc
	s_cbranch_execz .LBB216_986
; %bb.985:                              ;   in Loop: Header=BB216_800 Depth=1
	v_and_b32_e32 v8, 7, v16
	v_lshrrev_b32_e32 v21, 3, v4
	v_cmp_gt_u32_e32 vcc, 8, v4
	v_ffbh_u32_e32 v4, v8
	v_min_u32_e32 v4, 32, v4
	v_subrev_u32_e32 v17, 28, v4
	v_lshlrev_b64 v[17:18], v17, v[16:17]
	v_sub_u32_e32 v4, 29, v4
	v_and_b32_e32 v17, 7, v17
	v_cndmask_b32_e32 v4, v21, v4, vcc
	v_cndmask_b32_e32 v8, v8, v17, vcc
	v_bfrev_b32_e32 v18, 60
	v_lshlrev_b32_e32 v8, 20, v8
	v_and_b32_sdwa v17, sext(v16), s26 dst_sel:DWORD dst_unused:UNUSED_PAD src0_sel:BYTE_0 src1_sel:DWORD
	v_lshl_add_u32 v4, v4, 23, v18
	v_or3_b32 v17, v17, v4, v8
	v_mov_b32_e32 v18, v6
.LBB216_986:                            ;   in Loop: Header=BB216_800 Depth=1
	s_or_b64 exec, exec, s[22:23]
.LBB216_987:                            ;   in Loop: Header=BB216_800 Depth=1
	s_or_b64 exec, exec, s[20:21]
.LBB216_988:                            ;   in Loop: Header=BB216_800 Depth=1
	s_or_b64 exec, exec, s[10:11]
	v_cmp_ne_u16_sdwa s[20:21], v16, v6 src0_sel:BYTE_1 src1_sel:DWORD
	s_and_saveexec_b64 s[10:11], s[20:21]
	s_cbranch_execz .LBB216_994
; %bb.989:                              ;   in Loop: Header=BB216_800 Depth=1
	v_mov_b32_e32 v20, v7
	v_cmp_ne_u16_sdwa s[22:23], v16, s24 src0_sel:BYTE_1 src1_sel:DWORD
	v_mov_b32_e32 v19, v6
	s_and_saveexec_b64 s[20:21], s[22:23]
	s_cbranch_execz .LBB216_993
; %bb.990:                              ;   in Loop: Header=BB216_800 Depth=1
	v_and_b32_sdwa v4, v16, s25 dst_sel:DWORD dst_unused:UNUSED_PAD src0_sel:BYTE_1 src1_sel:DWORD
	v_mov_b32_e32 v8, v6
	v_mov_b32_e32 v20, v9
	v_cmp_ne_u32_e32 vcc, s25, v4
	v_mov_b32_e32 v19, v8
	s_and_saveexec_b64 s[22:23], vcc
	s_cbranch_execz .LBB216_992
; %bb.991:                              ;   in Loop: Header=BB216_800 Depth=1
	v_mov_b32_e32 v8, 7
	v_and_b32_sdwa v19, v16, v8 dst_sel:DWORD dst_unused:UNUSED_PAD src0_sel:BYTE_1 src1_sel:DWORD
	v_lshrrev_b32_e32 v8, 3, v4
	v_cmp_gt_u32_e32 vcc, 8, v4
	v_ffbh_u32_e32 v4, v19
	v_min_u32_e32 v4, 32, v4
	v_mov_b32_e32 v20, v6
	v_subrev_u32_e32 v21, 28, v4
	v_lshlrev_b64 v[20:21], v21, v[19:20]
	v_sub_u32_e32 v4, 29, v4
	v_and_b32_e32 v20, 7, v20
	v_cndmask_b32_e32 v4, v8, v4, vcc
	v_cndmask_b32_e32 v8, v19, v20, vcc
	v_bfrev_b32_e32 v20, 60
	v_lshlrev_b32_e32 v19, 16, v16
	v_lshl_add_u32 v4, v4, 23, v20
	v_and_or_b32 v4, v19, s26, v4
	v_lshlrev_b32_e32 v8, 20, v8
	v_or_b32_e32 v20, v4, v8
	v_mov_b32_e32 v19, v6
.LBB216_992:                            ;   in Loop: Header=BB216_800 Depth=1
	s_or_b64 exec, exec, s[22:23]
.LBB216_993:                            ;   in Loop: Header=BB216_800 Depth=1
	s_or_b64 exec, exec, s[20:21]
.LBB216_994:                            ;   in Loop: Header=BB216_800 Depth=1
	s_or_b64 exec, exec, s[10:11]
	v_lshrrev_b32_e32 v8, 16, v16
	v_mov_b32_e32 v23, 0
	v_mov_b32_e32 v21, 0
	;; [unrolled: 1-line block ×4, first 2 shown]
	v_cmp_ne_u16_sdwa s[20:21], v8, v6 src0_sel:BYTE_0 src1_sel:DWORD
	s_and_saveexec_b64 s[10:11], s[20:21]
	s_cbranch_execz .LBB216_1000
; %bb.995:                              ;   in Loop: Header=BB216_800 Depth=1
	v_bfrev_b32_e32 v21, 1
	v_mov_b32_e32 v22, 0
	v_cmp_ne_u16_sdwa s[22:23], v8, s24 src0_sel:BYTE_0 src1_sel:DWORD
	s_and_saveexec_b64 s[20:21], s[22:23]
	s_cbranch_execz .LBB216_999
; %bb.996:                              ;   in Loop: Header=BB216_800 Depth=1
	v_bfe_u32 v4, v16, 16, 7
	v_mov_b32_e32 v21, 0x7f800001
	v_mov_b32_e32 v22, 0
	v_cmp_ne_u32_e32 vcc, s25, v4
	s_and_saveexec_b64 s[22:23], vcc
	s_cbranch_execz .LBB216_998
; %bb.997:                              ;   in Loop: Header=BB216_800 Depth=1
	v_and_b32_e32 v25, 7, v8
	v_lshrrev_b32_e32 v27, 3, v4
	v_cmp_gt_u32_e32 vcc, 8, v4
	v_ffbh_u32_e32 v4, v25
	v_min_u32_e32 v4, 32, v4
	v_subrev_u32_e32 v21, 28, v4
	v_lshlrev_b64 v[21:22], v21, v[8:9]
	v_sub_u32_e32 v4, 29, v4
	v_and_b32_e32 v21, 7, v21
	v_cndmask_b32_e32 v4, v27, v4, vcc
	v_cndmask_b32_e32 v21, v25, v21, vcc
	v_bfrev_b32_e32 v22, 60
	v_lshlrev_b32_e32 v21, 20, v21
	v_and_b32_sdwa v8, sext(v8), s26 dst_sel:DWORD dst_unused:UNUSED_PAD src0_sel:BYTE_0 src1_sel:DWORD
	v_lshl_add_u32 v4, v4, 23, v22
	v_or3_b32 v21, v8, v4, v21
	v_mov_b32_e32 v22, v6
.LBB216_998:                            ;   in Loop: Header=BB216_800 Depth=1
	s_or_b64 exec, exec, s[22:23]
.LBB216_999:                            ;   in Loop: Header=BB216_800 Depth=1
	s_or_b64 exec, exec, s[20:21]
.LBB216_1000:                           ;   in Loop: Header=BB216_800 Depth=1
	s_or_b64 exec, exec, s[10:11]
	v_cmp_lt_u32_e32 vcc, s27, v16
	s_and_saveexec_b64 s[10:11], vcc
	s_cbranch_execz .LBB216_1006
; %bb.1001:                             ;   in Loop: Header=BB216_800 Depth=1
	v_mov_b32_e32 v24, v7
	v_cmp_ne_u32_sdwa s[22:23], v16, s24 src0_sel:BYTE_3 src1_sel:DWORD
	v_mov_b32_e32 v23, v6
	s_and_saveexec_b64 s[20:21], s[22:23]
	s_cbranch_execz .LBB216_1005
; %bb.1002:                             ;   in Loop: Header=BB216_800 Depth=1
	v_bfe_u32 v4, v16, 24, 7
	v_mov_b32_e32 v8, v6
	v_mov_b32_e32 v24, v9
	v_cmp_ne_u32_e32 vcc, s25, v4
	v_mov_b32_e32 v23, v8
	s_and_saveexec_b64 s[22:23], vcc
	s_cbranch_execz .LBB216_1004
; %bb.1003:                             ;   in Loop: Header=BB216_800 Depth=1
	v_mov_b32_e32 v8, 7
	v_and_b32_sdwa v23, v16, v8 dst_sel:DWORD dst_unused:UNUSED_PAD src0_sel:BYTE_3 src1_sel:DWORD
	v_lshrrev_b32_e32 v8, 3, v4
	v_cmp_gt_u32_e32 vcc, 8, v4
	v_ffbh_u32_e32 v4, v23
	v_min_u32_e32 v4, 32, v4
	v_mov_b32_e32 v24, v6
	v_subrev_u32_e32 v25, 28, v4
	v_lshlrev_b64 v[24:25], v25, v[23:24]
	v_sub_u32_e32 v4, 29, v4
	v_and_b32_e32 v24, 7, v24
	v_cndmask_b32_e32 v4, v8, v4, vcc
	v_cndmask_b32_e32 v8, v23, v24, vcc
	v_mov_b32_e32 v23, 24
	v_lshlrev_b32_sdwa v16, v23, v16 dst_sel:DWORD dst_unused:UNUSED_PAD src0_sel:DWORD src1_sel:BYTE_3
	v_bfrev_b32_e32 v23, 60
	v_lshl_add_u32 v4, v4, 23, v23
	v_and_or_b32 v4, v16, s26, v4
	v_lshlrev_b32_e32 v8, 20, v8
	v_or_b32_e32 v24, v4, v8
	v_mov_b32_e32 v23, v6
.LBB216_1004:                           ;   in Loop: Header=BB216_800 Depth=1
	s_or_b64 exec, exec, s[22:23]
.LBB216_1005:                           ;   in Loop: Header=BB216_800 Depth=1
	s_or_b64 exec, exec, s[20:21]
.LBB216_1006:                           ;   in Loop: Header=BB216_800 Depth=1
	s_or_b64 exec, exec, s[10:11]
	v_or_b32_e32 v4, v20, v18
	v_or_b32_e32 v8, v19, v17
	v_mul_f32_e32 v4, v63, v4
	buffer_store_dword v4, off, s[0:3], s32 offset:308 ; 4-byte Folded Spill
	v_mul_f32_e32 v4, v26, v8
	buffer_store_dword v4, off, s[0:3], s32 offset:292 ; 4-byte Folded Spill
	v_or_b32_e32 v4, v24, v22
	v_or_b32_e32 v8, v23, v21
	v_mul_f32_e32 v8, v26, v8
	v_mul_f32_e32 v4, v63, v4
	buffer_store_dword v8, off, s[0:3], s32 offset:300 ; 4-byte Folded Spill
	buffer_store_dword v4, off, s[0:3], s32 offset:284 ; 4-byte Folded Spill
	s_and_saveexec_b64 s[10:11], s[4:5]
	s_cbranch_execz .LBB216_1008
; %bb.1007:                             ;   in Loop: Header=BB216_800 Depth=1
	buffer_load_dword v4, off, s[0:3], s32 offset:72 ; 4-byte Folded Reload
	v_add_u32_e32 v8, -3, v5
	s_waitcnt vmcnt(0)
	v_cmp_lt_i32_e32 vcc, v8, v4
	buffer_load_dword v8, off, s[0:3], s32 offset:292 ; 4-byte Folded Reload
	s_waitcnt vmcnt(0)
	v_cndmask_b32_e32 v8, 0, v8, vcc
	buffer_store_dword v8, off, s[0:3], s32 offset:292 ; 4-byte Folded Spill
	v_add_u32_e32 v8, -2, v5
	v_cmp_lt_i32_e32 vcc, v8, v4
	buffer_load_dword v8, off, s[0:3], s32 offset:308 ; 4-byte Folded Reload
	s_waitcnt vmcnt(0)
	v_cndmask_b32_e32 v8, 0, v8, vcc
	buffer_store_dword v8, off, s[0:3], s32 offset:308 ; 4-byte Folded Spill
	v_add_u32_e32 v8, -1, v5
	v_cmp_lt_i32_e32 vcc, v8, v4
	buffer_load_dword v8, off, s[0:3], s32 offset:300 ; 4-byte Folded Reload
	s_waitcnt vmcnt(0)
	v_cndmask_b32_e32 v8, 0, v8, vcc
	v_cmp_lt_i32_e32 vcc, v5, v4
	buffer_load_dword v4, off, s[0:3], s32 offset:284 ; 4-byte Folded Reload
	s_waitcnt vmcnt(0)
	v_cndmask_b32_e32 v4, 0, v4, vcc
	buffer_store_dword v8, off, s[0:3], s32 offset:300 ; 4-byte Folded Spill
	buffer_store_dword v4, off, s[0:3], s32 offset:284 ; 4-byte Folded Spill
.LBB216_1008:                           ;   in Loop: Header=BB216_800 Depth=1
	s_or_b64 exec, exec, s[10:11]
	flat_load_dword v16, v[14:15] offset:2048
	v_mov_b32_e32 v19, 0
	v_mov_b32_e32 v17, 0
	;; [unrolled: 1-line block ×4, first 2 shown]
	s_waitcnt vmcnt(0) lgkmcnt(0)
	v_cmp_ne_u16_sdwa s[20:21], v16, v6 src0_sel:BYTE_0 src1_sel:DWORD
	s_and_saveexec_b64 s[10:11], s[20:21]
	s_cbranch_execz .LBB216_1014
; %bb.1009:                             ;   in Loop: Header=BB216_800 Depth=1
	v_bfrev_b32_e32 v17, 1
	v_mov_b32_e32 v18, 0
	v_cmp_ne_u16_sdwa s[22:23], v16, s24 src0_sel:BYTE_0 src1_sel:DWORD
	s_and_saveexec_b64 s[20:21], s[22:23]
	s_cbranch_execz .LBB216_1013
; %bb.1010:                             ;   in Loop: Header=BB216_800 Depth=1
	v_and_b32_e32 v4, 0x7f, v16
	v_mov_b32_e32 v17, 0x7f800001
	v_mov_b32_e32 v18, 0
	v_cmp_ne_u32_e32 vcc, s25, v4
	s_and_saveexec_b64 s[22:23], vcc
	s_cbranch_execz .LBB216_1012
; %bb.1011:                             ;   in Loop: Header=BB216_800 Depth=1
	v_and_b32_e32 v8, 7, v16
	v_lshrrev_b32_e32 v21, 3, v4
	v_cmp_gt_u32_e32 vcc, 8, v4
	v_ffbh_u32_e32 v4, v8
	v_min_u32_e32 v4, 32, v4
	v_subrev_u32_e32 v17, 28, v4
	v_lshlrev_b64 v[17:18], v17, v[16:17]
	v_sub_u32_e32 v4, 29, v4
	v_and_b32_e32 v17, 7, v17
	v_cndmask_b32_e32 v4, v21, v4, vcc
	v_cndmask_b32_e32 v8, v8, v17, vcc
	v_bfrev_b32_e32 v18, 60
	v_lshlrev_b32_e32 v8, 20, v8
	v_and_b32_sdwa v17, sext(v16), s26 dst_sel:DWORD dst_unused:UNUSED_PAD src0_sel:BYTE_0 src1_sel:DWORD
	v_lshl_add_u32 v4, v4, 23, v18
	v_or3_b32 v17, v17, v4, v8
	v_mov_b32_e32 v18, v6
.LBB216_1012:                           ;   in Loop: Header=BB216_800 Depth=1
	s_or_b64 exec, exec, s[22:23]
.LBB216_1013:                           ;   in Loop: Header=BB216_800 Depth=1
	s_or_b64 exec, exec, s[20:21]
.LBB216_1014:                           ;   in Loop: Header=BB216_800 Depth=1
	s_or_b64 exec, exec, s[10:11]
	v_cmp_ne_u16_sdwa s[20:21], v16, v6 src0_sel:BYTE_1 src1_sel:DWORD
	s_and_saveexec_b64 s[10:11], s[20:21]
	s_cbranch_execz .LBB216_1020
; %bb.1015:                             ;   in Loop: Header=BB216_800 Depth=1
	v_mov_b32_e32 v20, v7
	v_cmp_ne_u16_sdwa s[22:23], v16, s24 src0_sel:BYTE_1 src1_sel:DWORD
	v_mov_b32_e32 v19, v6
	s_and_saveexec_b64 s[20:21], s[22:23]
	s_cbranch_execz .LBB216_1019
; %bb.1016:                             ;   in Loop: Header=BB216_800 Depth=1
	v_and_b32_sdwa v4, v16, s25 dst_sel:DWORD dst_unused:UNUSED_PAD src0_sel:BYTE_1 src1_sel:DWORD
	v_mov_b32_e32 v8, v6
	v_mov_b32_e32 v20, v9
	v_cmp_ne_u32_e32 vcc, s25, v4
	v_mov_b32_e32 v19, v8
	s_and_saveexec_b64 s[22:23], vcc
	s_cbranch_execz .LBB216_1018
; %bb.1017:                             ;   in Loop: Header=BB216_800 Depth=1
	v_mov_b32_e32 v8, 7
	v_and_b32_sdwa v19, v16, v8 dst_sel:DWORD dst_unused:UNUSED_PAD src0_sel:BYTE_1 src1_sel:DWORD
	v_lshrrev_b32_e32 v8, 3, v4
	v_cmp_gt_u32_e32 vcc, 8, v4
	v_ffbh_u32_e32 v4, v19
	v_min_u32_e32 v4, 32, v4
	v_mov_b32_e32 v20, v6
	v_subrev_u32_e32 v21, 28, v4
	v_lshlrev_b64 v[20:21], v21, v[19:20]
	v_sub_u32_e32 v4, 29, v4
	v_and_b32_e32 v20, 7, v20
	v_cndmask_b32_e32 v4, v8, v4, vcc
	v_cndmask_b32_e32 v8, v19, v20, vcc
	v_bfrev_b32_e32 v20, 60
	v_lshlrev_b32_e32 v19, 16, v16
	v_lshl_add_u32 v4, v4, 23, v20
	v_and_or_b32 v4, v19, s26, v4
	v_lshlrev_b32_e32 v8, 20, v8
	v_or_b32_e32 v20, v4, v8
	v_mov_b32_e32 v19, v6
.LBB216_1018:                           ;   in Loop: Header=BB216_800 Depth=1
	s_or_b64 exec, exec, s[22:23]
.LBB216_1019:                           ;   in Loop: Header=BB216_800 Depth=1
	s_or_b64 exec, exec, s[20:21]
.LBB216_1020:                           ;   in Loop: Header=BB216_800 Depth=1
	s_or_b64 exec, exec, s[10:11]
	v_lshrrev_b32_e32 v8, 16, v16
	v_mov_b32_e32 v23, 0
	v_mov_b32_e32 v21, 0
	;; [unrolled: 1-line block ×4, first 2 shown]
	v_cmp_ne_u16_sdwa s[20:21], v8, v6 src0_sel:BYTE_0 src1_sel:DWORD
	s_and_saveexec_b64 s[10:11], s[20:21]
	s_cbranch_execz .LBB216_1026
; %bb.1021:                             ;   in Loop: Header=BB216_800 Depth=1
	v_bfrev_b32_e32 v21, 1
	v_mov_b32_e32 v22, 0
	v_cmp_ne_u16_sdwa s[22:23], v8, s24 src0_sel:BYTE_0 src1_sel:DWORD
	s_and_saveexec_b64 s[20:21], s[22:23]
	s_cbranch_execz .LBB216_1025
; %bb.1022:                             ;   in Loop: Header=BB216_800 Depth=1
	v_bfe_u32 v4, v16, 16, 7
	v_mov_b32_e32 v21, 0x7f800001
	v_mov_b32_e32 v22, 0
	v_cmp_ne_u32_e32 vcc, s25, v4
	s_and_saveexec_b64 s[22:23], vcc
	s_cbranch_execz .LBB216_1024
; %bb.1023:                             ;   in Loop: Header=BB216_800 Depth=1
	v_and_b32_e32 v25, 7, v8
	v_lshrrev_b32_e32 v27, 3, v4
	v_cmp_gt_u32_e32 vcc, 8, v4
	v_ffbh_u32_e32 v4, v25
	v_min_u32_e32 v4, 32, v4
	v_subrev_u32_e32 v21, 28, v4
	v_lshlrev_b64 v[21:22], v21, v[8:9]
	v_sub_u32_e32 v4, 29, v4
	v_and_b32_e32 v21, 7, v21
	v_cndmask_b32_e32 v4, v27, v4, vcc
	v_cndmask_b32_e32 v21, v25, v21, vcc
	v_bfrev_b32_e32 v22, 60
	v_lshlrev_b32_e32 v21, 20, v21
	v_and_b32_sdwa v8, sext(v8), s26 dst_sel:DWORD dst_unused:UNUSED_PAD src0_sel:BYTE_0 src1_sel:DWORD
	v_lshl_add_u32 v4, v4, 23, v22
	v_or3_b32 v21, v8, v4, v21
	v_mov_b32_e32 v22, v6
.LBB216_1024:                           ;   in Loop: Header=BB216_800 Depth=1
	s_or_b64 exec, exec, s[22:23]
.LBB216_1025:                           ;   in Loop: Header=BB216_800 Depth=1
	s_or_b64 exec, exec, s[20:21]
.LBB216_1026:                           ;   in Loop: Header=BB216_800 Depth=1
	s_or_b64 exec, exec, s[10:11]
	v_cmp_lt_u32_e32 vcc, s27, v16
	s_and_saveexec_b64 s[10:11], vcc
	s_cbranch_execz .LBB216_1032
; %bb.1027:                             ;   in Loop: Header=BB216_800 Depth=1
	v_mov_b32_e32 v24, v7
	v_cmp_ne_u32_sdwa s[22:23], v16, s24 src0_sel:BYTE_3 src1_sel:DWORD
	v_mov_b32_e32 v23, v6
	s_and_saveexec_b64 s[20:21], s[22:23]
	s_cbranch_execz .LBB216_1031
; %bb.1028:                             ;   in Loop: Header=BB216_800 Depth=1
	v_bfe_u32 v4, v16, 24, 7
	v_mov_b32_e32 v8, v6
	v_mov_b32_e32 v24, v9
	v_cmp_ne_u32_e32 vcc, s25, v4
	v_mov_b32_e32 v23, v8
	s_and_saveexec_b64 s[22:23], vcc
	s_cbranch_execz .LBB216_1030
; %bb.1029:                             ;   in Loop: Header=BB216_800 Depth=1
	v_mov_b32_e32 v8, 7
	v_and_b32_sdwa v23, v16, v8 dst_sel:DWORD dst_unused:UNUSED_PAD src0_sel:BYTE_3 src1_sel:DWORD
	v_lshrrev_b32_e32 v8, 3, v4
	v_cmp_gt_u32_e32 vcc, 8, v4
	v_ffbh_u32_e32 v4, v23
	v_min_u32_e32 v4, 32, v4
	v_mov_b32_e32 v24, v6
	v_subrev_u32_e32 v25, 28, v4
	v_lshlrev_b64 v[24:25], v25, v[23:24]
	v_sub_u32_e32 v4, 29, v4
	v_and_b32_e32 v24, 7, v24
	v_cndmask_b32_e32 v4, v8, v4, vcc
	v_cndmask_b32_e32 v8, v23, v24, vcc
	v_mov_b32_e32 v23, 24
	v_lshlrev_b32_sdwa v16, v23, v16 dst_sel:DWORD dst_unused:UNUSED_PAD src0_sel:DWORD src1_sel:BYTE_3
	v_bfrev_b32_e32 v23, 60
	v_lshl_add_u32 v4, v4, 23, v23
	v_and_or_b32 v4, v16, s26, v4
	v_lshlrev_b32_e32 v8, 20, v8
	v_or_b32_e32 v24, v4, v8
	v_mov_b32_e32 v23, v6
.LBB216_1030:                           ;   in Loop: Header=BB216_800 Depth=1
	s_or_b64 exec, exec, s[22:23]
.LBB216_1031:                           ;   in Loop: Header=BB216_800 Depth=1
	s_or_b64 exec, exec, s[20:21]
.LBB216_1032:                           ;   in Loop: Header=BB216_800 Depth=1
	s_or_b64 exec, exec, s[10:11]
	v_or_b32_e32 v4, v20, v18
	v_or_b32_e32 v8, v19, v17
	v_mul_f32_e32 v4, v63, v4
	buffer_store_dword v4, off, s[0:3], s32 offset:340 ; 4-byte Folded Spill
	v_mul_f32_e32 v4, v26, v8
	buffer_store_dword v4, off, s[0:3], s32 offset:324 ; 4-byte Folded Spill
	v_or_b32_e32 v4, v24, v22
	v_or_b32_e32 v8, v23, v21
	v_mul_f32_e32 v8, v26, v8
	v_mul_f32_e32 v4, v63, v4
	buffer_store_dword v8, off, s[0:3], s32 offset:332 ; 4-byte Folded Spill
	buffer_store_dword v4, off, s[0:3], s32 offset:316 ; 4-byte Folded Spill
	s_and_saveexec_b64 s[10:11], s[4:5]
	s_cbranch_execz .LBB216_1034
; %bb.1033:                             ;   in Loop: Header=BB216_800 Depth=1
	buffer_load_dword v4, off, s[0:3], s32 offset:72 ; 4-byte Folded Reload
	v_add_u32_e32 v8, -3, v5
	s_waitcnt vmcnt(0)
	v_cmp_lt_i32_e32 vcc, v8, v4
	buffer_load_dword v8, off, s[0:3], s32 offset:324 ; 4-byte Folded Reload
	s_waitcnt vmcnt(0)
	v_cndmask_b32_e32 v8, 0, v8, vcc
	buffer_store_dword v8, off, s[0:3], s32 offset:324 ; 4-byte Folded Spill
	v_add_u32_e32 v8, -2, v5
	v_cmp_lt_i32_e32 vcc, v8, v4
	buffer_load_dword v8, off, s[0:3], s32 offset:340 ; 4-byte Folded Reload
	s_waitcnt vmcnt(0)
	v_cndmask_b32_e32 v8, 0, v8, vcc
	buffer_store_dword v8, off, s[0:3], s32 offset:340 ; 4-byte Folded Spill
	v_add_u32_e32 v8, -1, v5
	v_cmp_lt_i32_e32 vcc, v8, v4
	buffer_load_dword v8, off, s[0:3], s32 offset:332 ; 4-byte Folded Reload
	s_waitcnt vmcnt(0)
	v_cndmask_b32_e32 v8, 0, v8, vcc
	v_cmp_lt_i32_e32 vcc, v5, v4
	buffer_load_dword v4, off, s[0:3], s32 offset:316 ; 4-byte Folded Reload
	s_waitcnt vmcnt(0)
	v_cndmask_b32_e32 v4, 0, v4, vcc
	buffer_store_dword v8, off, s[0:3], s32 offset:332 ; 4-byte Folded Spill
	buffer_store_dword v4, off, s[0:3], s32 offset:316 ; 4-byte Folded Spill
.LBB216_1034:                           ;   in Loop: Header=BB216_800 Depth=1
	s_or_b64 exec, exec, s[10:11]
	flat_load_dword v16, v[14:15] offset:2304
	v_mov_b32_e32 v19, 0
	v_mov_b32_e32 v17, 0
	v_mov_b32_e32 v20, 0
	v_mov_b32_e32 v18, 0
	s_waitcnt vmcnt(0) lgkmcnt(0)
	v_cmp_ne_u16_sdwa s[20:21], v16, v6 src0_sel:BYTE_0 src1_sel:DWORD
	s_and_saveexec_b64 s[10:11], s[20:21]
	s_cbranch_execz .LBB216_1040
; %bb.1035:                             ;   in Loop: Header=BB216_800 Depth=1
	v_bfrev_b32_e32 v17, 1
	v_mov_b32_e32 v18, 0
	v_cmp_ne_u16_sdwa s[22:23], v16, s24 src0_sel:BYTE_0 src1_sel:DWORD
	s_and_saveexec_b64 s[20:21], s[22:23]
	s_cbranch_execz .LBB216_1039
; %bb.1036:                             ;   in Loop: Header=BB216_800 Depth=1
	v_and_b32_e32 v4, 0x7f, v16
	v_mov_b32_e32 v17, 0x7f800001
	v_mov_b32_e32 v18, 0
	v_cmp_ne_u32_e32 vcc, s25, v4
	s_and_saveexec_b64 s[22:23], vcc
	s_cbranch_execz .LBB216_1038
; %bb.1037:                             ;   in Loop: Header=BB216_800 Depth=1
	v_and_b32_e32 v8, 7, v16
	v_lshrrev_b32_e32 v21, 3, v4
	v_cmp_gt_u32_e32 vcc, 8, v4
	v_ffbh_u32_e32 v4, v8
	v_min_u32_e32 v4, 32, v4
	v_subrev_u32_e32 v17, 28, v4
	v_lshlrev_b64 v[17:18], v17, v[16:17]
	v_sub_u32_e32 v4, 29, v4
	v_and_b32_e32 v17, 7, v17
	v_cndmask_b32_e32 v4, v21, v4, vcc
	v_cndmask_b32_e32 v8, v8, v17, vcc
	v_bfrev_b32_e32 v18, 60
	v_lshlrev_b32_e32 v8, 20, v8
	v_and_b32_sdwa v17, sext(v16), s26 dst_sel:DWORD dst_unused:UNUSED_PAD src0_sel:BYTE_0 src1_sel:DWORD
	v_lshl_add_u32 v4, v4, 23, v18
	v_or3_b32 v17, v17, v4, v8
	v_mov_b32_e32 v18, v6
.LBB216_1038:                           ;   in Loop: Header=BB216_800 Depth=1
	s_or_b64 exec, exec, s[22:23]
.LBB216_1039:                           ;   in Loop: Header=BB216_800 Depth=1
	s_or_b64 exec, exec, s[20:21]
.LBB216_1040:                           ;   in Loop: Header=BB216_800 Depth=1
	s_or_b64 exec, exec, s[10:11]
	v_cmp_ne_u16_sdwa s[20:21], v16, v6 src0_sel:BYTE_1 src1_sel:DWORD
	s_and_saveexec_b64 s[10:11], s[20:21]
	s_cbranch_execz .LBB216_1046
; %bb.1041:                             ;   in Loop: Header=BB216_800 Depth=1
	v_mov_b32_e32 v20, v7
	v_cmp_ne_u16_sdwa s[22:23], v16, s24 src0_sel:BYTE_1 src1_sel:DWORD
	v_mov_b32_e32 v19, v6
	s_and_saveexec_b64 s[20:21], s[22:23]
	s_cbranch_execz .LBB216_1045
; %bb.1042:                             ;   in Loop: Header=BB216_800 Depth=1
	v_and_b32_sdwa v4, v16, s25 dst_sel:DWORD dst_unused:UNUSED_PAD src0_sel:BYTE_1 src1_sel:DWORD
	v_mov_b32_e32 v8, v6
	v_mov_b32_e32 v20, v9
	v_cmp_ne_u32_e32 vcc, s25, v4
	v_mov_b32_e32 v19, v8
	s_and_saveexec_b64 s[22:23], vcc
	s_cbranch_execz .LBB216_1044
; %bb.1043:                             ;   in Loop: Header=BB216_800 Depth=1
	v_mov_b32_e32 v8, 7
	v_and_b32_sdwa v19, v16, v8 dst_sel:DWORD dst_unused:UNUSED_PAD src0_sel:BYTE_1 src1_sel:DWORD
	v_lshrrev_b32_e32 v8, 3, v4
	v_cmp_gt_u32_e32 vcc, 8, v4
	v_ffbh_u32_e32 v4, v19
	v_min_u32_e32 v4, 32, v4
	v_mov_b32_e32 v20, v6
	v_subrev_u32_e32 v21, 28, v4
	v_lshlrev_b64 v[20:21], v21, v[19:20]
	v_sub_u32_e32 v4, 29, v4
	v_and_b32_e32 v20, 7, v20
	v_cndmask_b32_e32 v4, v8, v4, vcc
	v_cndmask_b32_e32 v8, v19, v20, vcc
	v_bfrev_b32_e32 v20, 60
	v_lshlrev_b32_e32 v19, 16, v16
	v_lshl_add_u32 v4, v4, 23, v20
	v_and_or_b32 v4, v19, s26, v4
	v_lshlrev_b32_e32 v8, 20, v8
	v_or_b32_e32 v20, v4, v8
	v_mov_b32_e32 v19, v6
.LBB216_1044:                           ;   in Loop: Header=BB216_800 Depth=1
	s_or_b64 exec, exec, s[22:23]
.LBB216_1045:                           ;   in Loop: Header=BB216_800 Depth=1
	s_or_b64 exec, exec, s[20:21]
.LBB216_1046:                           ;   in Loop: Header=BB216_800 Depth=1
	s_or_b64 exec, exec, s[10:11]
	v_lshrrev_b32_e32 v8, 16, v16
	v_mov_b32_e32 v23, 0
	v_mov_b32_e32 v21, 0
	v_mov_b32_e32 v24, 0
	v_mov_b32_e32 v22, 0
	v_cmp_ne_u16_sdwa s[20:21], v8, v6 src0_sel:BYTE_0 src1_sel:DWORD
	s_and_saveexec_b64 s[10:11], s[20:21]
	s_cbranch_execz .LBB216_1052
; %bb.1047:                             ;   in Loop: Header=BB216_800 Depth=1
	v_bfrev_b32_e32 v21, 1
	v_mov_b32_e32 v22, 0
	v_cmp_ne_u16_sdwa s[22:23], v8, s24 src0_sel:BYTE_0 src1_sel:DWORD
	s_and_saveexec_b64 s[20:21], s[22:23]
	s_cbranch_execz .LBB216_1051
; %bb.1048:                             ;   in Loop: Header=BB216_800 Depth=1
	v_bfe_u32 v4, v16, 16, 7
	v_mov_b32_e32 v21, 0x7f800001
	v_mov_b32_e32 v22, 0
	v_cmp_ne_u32_e32 vcc, s25, v4
	s_and_saveexec_b64 s[22:23], vcc
	s_cbranch_execz .LBB216_1050
; %bb.1049:                             ;   in Loop: Header=BB216_800 Depth=1
	v_and_b32_e32 v25, 7, v8
	v_lshrrev_b32_e32 v27, 3, v4
	v_cmp_gt_u32_e32 vcc, 8, v4
	v_ffbh_u32_e32 v4, v25
	v_min_u32_e32 v4, 32, v4
	v_subrev_u32_e32 v21, 28, v4
	v_lshlrev_b64 v[21:22], v21, v[8:9]
	v_sub_u32_e32 v4, 29, v4
	v_and_b32_e32 v21, 7, v21
	v_cndmask_b32_e32 v4, v27, v4, vcc
	v_cndmask_b32_e32 v21, v25, v21, vcc
	v_bfrev_b32_e32 v22, 60
	v_lshlrev_b32_e32 v21, 20, v21
	v_and_b32_sdwa v8, sext(v8), s26 dst_sel:DWORD dst_unused:UNUSED_PAD src0_sel:BYTE_0 src1_sel:DWORD
	v_lshl_add_u32 v4, v4, 23, v22
	v_or3_b32 v21, v8, v4, v21
	v_mov_b32_e32 v22, v6
.LBB216_1050:                           ;   in Loop: Header=BB216_800 Depth=1
	s_or_b64 exec, exec, s[22:23]
.LBB216_1051:                           ;   in Loop: Header=BB216_800 Depth=1
	s_or_b64 exec, exec, s[20:21]
.LBB216_1052:                           ;   in Loop: Header=BB216_800 Depth=1
	s_or_b64 exec, exec, s[10:11]
	v_cmp_lt_u32_e32 vcc, s27, v16
	s_and_saveexec_b64 s[10:11], vcc
	s_cbranch_execz .LBB216_1058
; %bb.1053:                             ;   in Loop: Header=BB216_800 Depth=1
	v_mov_b32_e32 v24, v7
	v_cmp_ne_u32_sdwa s[22:23], v16, s24 src0_sel:BYTE_3 src1_sel:DWORD
	v_mov_b32_e32 v23, v6
	s_and_saveexec_b64 s[20:21], s[22:23]
	s_cbranch_execz .LBB216_1057
; %bb.1054:                             ;   in Loop: Header=BB216_800 Depth=1
	v_bfe_u32 v4, v16, 24, 7
	v_mov_b32_e32 v8, v6
	v_mov_b32_e32 v24, v9
	v_cmp_ne_u32_e32 vcc, s25, v4
	v_mov_b32_e32 v23, v8
	s_and_saveexec_b64 s[22:23], vcc
	s_cbranch_execz .LBB216_1056
; %bb.1055:                             ;   in Loop: Header=BB216_800 Depth=1
	v_mov_b32_e32 v8, 7
	v_and_b32_sdwa v23, v16, v8 dst_sel:DWORD dst_unused:UNUSED_PAD src0_sel:BYTE_3 src1_sel:DWORD
	v_lshrrev_b32_e32 v8, 3, v4
	v_cmp_gt_u32_e32 vcc, 8, v4
	v_ffbh_u32_e32 v4, v23
	v_min_u32_e32 v4, 32, v4
	v_mov_b32_e32 v24, v6
	v_subrev_u32_e32 v25, 28, v4
	v_lshlrev_b64 v[24:25], v25, v[23:24]
	v_sub_u32_e32 v4, 29, v4
	v_and_b32_e32 v24, 7, v24
	v_cndmask_b32_e32 v4, v8, v4, vcc
	v_cndmask_b32_e32 v8, v23, v24, vcc
	v_mov_b32_e32 v23, 24
	v_lshlrev_b32_sdwa v16, v23, v16 dst_sel:DWORD dst_unused:UNUSED_PAD src0_sel:DWORD src1_sel:BYTE_3
	v_bfrev_b32_e32 v23, 60
	v_lshl_add_u32 v4, v4, 23, v23
	v_and_or_b32 v4, v16, s26, v4
	v_lshlrev_b32_e32 v8, 20, v8
	v_or_b32_e32 v24, v4, v8
	v_mov_b32_e32 v23, v6
.LBB216_1056:                           ;   in Loop: Header=BB216_800 Depth=1
	s_or_b64 exec, exec, s[22:23]
.LBB216_1057:                           ;   in Loop: Header=BB216_800 Depth=1
	s_or_b64 exec, exec, s[20:21]
.LBB216_1058:                           ;   in Loop: Header=BB216_800 Depth=1
	s_or_b64 exec, exec, s[10:11]
	v_or_b32_e32 v4, v20, v18
	v_or_b32_e32 v8, v19, v17
	v_mul_f32_e32 v4, v63, v4
	buffer_store_dword v4, off, s[0:3], s32 offset:372 ; 4-byte Folded Spill
	v_mul_f32_e32 v4, v26, v8
	buffer_store_dword v4, off, s[0:3], s32 offset:356 ; 4-byte Folded Spill
	v_or_b32_e32 v4, v24, v22
	v_or_b32_e32 v8, v23, v21
	v_mul_f32_e32 v8, v26, v8
	v_mul_f32_e32 v4, v63, v4
	buffer_store_dword v8, off, s[0:3], s32 offset:364 ; 4-byte Folded Spill
	buffer_store_dword v4, off, s[0:3], s32 offset:348 ; 4-byte Folded Spill
	s_and_saveexec_b64 s[10:11], s[4:5]
	s_cbranch_execz .LBB216_1060
; %bb.1059:                             ;   in Loop: Header=BB216_800 Depth=1
	buffer_load_dword v4, off, s[0:3], s32 offset:72 ; 4-byte Folded Reload
	v_add_u32_e32 v8, -3, v5
	s_waitcnt vmcnt(0)
	v_cmp_lt_i32_e32 vcc, v8, v4
	buffer_load_dword v8, off, s[0:3], s32 offset:356 ; 4-byte Folded Reload
	s_waitcnt vmcnt(0)
	v_cndmask_b32_e32 v8, 0, v8, vcc
	buffer_store_dword v8, off, s[0:3], s32 offset:356 ; 4-byte Folded Spill
	v_add_u32_e32 v8, -2, v5
	v_cmp_lt_i32_e32 vcc, v8, v4
	buffer_load_dword v8, off, s[0:3], s32 offset:372 ; 4-byte Folded Reload
	s_waitcnt vmcnt(0)
	v_cndmask_b32_e32 v8, 0, v8, vcc
	buffer_store_dword v8, off, s[0:3], s32 offset:372 ; 4-byte Folded Spill
	v_add_u32_e32 v8, -1, v5
	v_cmp_lt_i32_e32 vcc, v8, v4
	buffer_load_dword v8, off, s[0:3], s32 offset:364 ; 4-byte Folded Reload
	s_waitcnt vmcnt(0)
	v_cndmask_b32_e32 v8, 0, v8, vcc
	v_cmp_lt_i32_e32 vcc, v5, v4
	buffer_load_dword v4, off, s[0:3], s32 offset:348 ; 4-byte Folded Reload
	s_waitcnt vmcnt(0)
	v_cndmask_b32_e32 v4, 0, v4, vcc
	buffer_store_dword v8, off, s[0:3], s32 offset:364 ; 4-byte Folded Spill
	buffer_store_dword v4, off, s[0:3], s32 offset:348 ; 4-byte Folded Spill
.LBB216_1060:                           ;   in Loop: Header=BB216_800 Depth=1
	s_or_b64 exec, exec, s[10:11]
	flat_load_dword v16, v[14:15] offset:2560
	v_mov_b32_e32 v19, 0
	v_mov_b32_e32 v17, 0
	;; [unrolled: 1-line block ×4, first 2 shown]
	s_waitcnt vmcnt(0) lgkmcnt(0)
	v_cmp_ne_u16_sdwa s[20:21], v16, v6 src0_sel:BYTE_0 src1_sel:DWORD
	s_and_saveexec_b64 s[10:11], s[20:21]
	s_cbranch_execz .LBB216_1066
; %bb.1061:                             ;   in Loop: Header=BB216_800 Depth=1
	v_bfrev_b32_e32 v17, 1
	v_mov_b32_e32 v18, 0
	v_cmp_ne_u16_sdwa s[22:23], v16, s24 src0_sel:BYTE_0 src1_sel:DWORD
	s_and_saveexec_b64 s[20:21], s[22:23]
	s_cbranch_execz .LBB216_1065
; %bb.1062:                             ;   in Loop: Header=BB216_800 Depth=1
	v_and_b32_e32 v4, 0x7f, v16
	v_mov_b32_e32 v17, 0x7f800001
	v_mov_b32_e32 v18, 0
	v_cmp_ne_u32_e32 vcc, s25, v4
	s_and_saveexec_b64 s[22:23], vcc
	s_cbranch_execz .LBB216_1064
; %bb.1063:                             ;   in Loop: Header=BB216_800 Depth=1
	v_and_b32_e32 v8, 7, v16
	v_lshrrev_b32_e32 v21, 3, v4
	v_cmp_gt_u32_e32 vcc, 8, v4
	v_ffbh_u32_e32 v4, v8
	v_min_u32_e32 v4, 32, v4
	v_subrev_u32_e32 v17, 28, v4
	v_lshlrev_b64 v[17:18], v17, v[16:17]
	v_sub_u32_e32 v4, 29, v4
	v_and_b32_e32 v17, 7, v17
	v_cndmask_b32_e32 v4, v21, v4, vcc
	v_cndmask_b32_e32 v8, v8, v17, vcc
	v_bfrev_b32_e32 v18, 60
	v_lshlrev_b32_e32 v8, 20, v8
	v_and_b32_sdwa v17, sext(v16), s26 dst_sel:DWORD dst_unused:UNUSED_PAD src0_sel:BYTE_0 src1_sel:DWORD
	v_lshl_add_u32 v4, v4, 23, v18
	v_or3_b32 v17, v17, v4, v8
	v_mov_b32_e32 v18, v6
.LBB216_1064:                           ;   in Loop: Header=BB216_800 Depth=1
	s_or_b64 exec, exec, s[22:23]
.LBB216_1065:                           ;   in Loop: Header=BB216_800 Depth=1
	s_or_b64 exec, exec, s[20:21]
.LBB216_1066:                           ;   in Loop: Header=BB216_800 Depth=1
	s_or_b64 exec, exec, s[10:11]
	v_cmp_ne_u16_sdwa s[20:21], v16, v6 src0_sel:BYTE_1 src1_sel:DWORD
	s_and_saveexec_b64 s[10:11], s[20:21]
	s_cbranch_execz .LBB216_1072
; %bb.1067:                             ;   in Loop: Header=BB216_800 Depth=1
	v_mov_b32_e32 v20, v7
	v_cmp_ne_u16_sdwa s[22:23], v16, s24 src0_sel:BYTE_1 src1_sel:DWORD
	v_mov_b32_e32 v19, v6
	s_and_saveexec_b64 s[20:21], s[22:23]
	s_cbranch_execz .LBB216_1071
; %bb.1068:                             ;   in Loop: Header=BB216_800 Depth=1
	v_and_b32_sdwa v4, v16, s25 dst_sel:DWORD dst_unused:UNUSED_PAD src0_sel:BYTE_1 src1_sel:DWORD
	v_mov_b32_e32 v8, v6
	v_mov_b32_e32 v20, v9
	v_cmp_ne_u32_e32 vcc, s25, v4
	v_mov_b32_e32 v19, v8
	s_and_saveexec_b64 s[22:23], vcc
	s_cbranch_execz .LBB216_1070
; %bb.1069:                             ;   in Loop: Header=BB216_800 Depth=1
	v_mov_b32_e32 v8, 7
	v_and_b32_sdwa v19, v16, v8 dst_sel:DWORD dst_unused:UNUSED_PAD src0_sel:BYTE_1 src1_sel:DWORD
	v_lshrrev_b32_e32 v8, 3, v4
	v_cmp_gt_u32_e32 vcc, 8, v4
	v_ffbh_u32_e32 v4, v19
	v_min_u32_e32 v4, 32, v4
	v_mov_b32_e32 v20, v6
	v_subrev_u32_e32 v21, 28, v4
	v_lshlrev_b64 v[20:21], v21, v[19:20]
	v_sub_u32_e32 v4, 29, v4
	v_and_b32_e32 v20, 7, v20
	v_cndmask_b32_e32 v4, v8, v4, vcc
	v_cndmask_b32_e32 v8, v19, v20, vcc
	v_bfrev_b32_e32 v20, 60
	v_lshlrev_b32_e32 v19, 16, v16
	v_lshl_add_u32 v4, v4, 23, v20
	v_and_or_b32 v4, v19, s26, v4
	v_lshlrev_b32_e32 v8, 20, v8
	v_or_b32_e32 v20, v4, v8
	v_mov_b32_e32 v19, v6
.LBB216_1070:                           ;   in Loop: Header=BB216_800 Depth=1
	s_or_b64 exec, exec, s[22:23]
.LBB216_1071:                           ;   in Loop: Header=BB216_800 Depth=1
	s_or_b64 exec, exec, s[20:21]
.LBB216_1072:                           ;   in Loop: Header=BB216_800 Depth=1
	s_or_b64 exec, exec, s[10:11]
	v_lshrrev_b32_e32 v8, 16, v16
	v_mov_b32_e32 v23, 0
	v_mov_b32_e32 v21, 0
	;; [unrolled: 1-line block ×4, first 2 shown]
	v_cmp_ne_u16_sdwa s[20:21], v8, v6 src0_sel:BYTE_0 src1_sel:DWORD
	s_and_saveexec_b64 s[10:11], s[20:21]
	s_cbranch_execz .LBB216_1078
; %bb.1073:                             ;   in Loop: Header=BB216_800 Depth=1
	v_bfrev_b32_e32 v21, 1
	v_mov_b32_e32 v22, 0
	v_cmp_ne_u16_sdwa s[22:23], v8, s24 src0_sel:BYTE_0 src1_sel:DWORD
	s_and_saveexec_b64 s[20:21], s[22:23]
	s_cbranch_execz .LBB216_1077
; %bb.1074:                             ;   in Loop: Header=BB216_800 Depth=1
	v_bfe_u32 v4, v16, 16, 7
	v_mov_b32_e32 v21, 0x7f800001
	v_mov_b32_e32 v22, 0
	v_cmp_ne_u32_e32 vcc, s25, v4
	s_and_saveexec_b64 s[22:23], vcc
	s_cbranch_execz .LBB216_1076
; %bb.1075:                             ;   in Loop: Header=BB216_800 Depth=1
	v_and_b32_e32 v25, 7, v8
	v_lshrrev_b32_e32 v27, 3, v4
	v_cmp_gt_u32_e32 vcc, 8, v4
	v_ffbh_u32_e32 v4, v25
	v_min_u32_e32 v4, 32, v4
	v_subrev_u32_e32 v21, 28, v4
	v_lshlrev_b64 v[21:22], v21, v[8:9]
	v_sub_u32_e32 v4, 29, v4
	v_and_b32_e32 v21, 7, v21
	v_cndmask_b32_e32 v4, v27, v4, vcc
	v_cndmask_b32_e32 v21, v25, v21, vcc
	v_bfrev_b32_e32 v22, 60
	v_lshlrev_b32_e32 v21, 20, v21
	v_and_b32_sdwa v8, sext(v8), s26 dst_sel:DWORD dst_unused:UNUSED_PAD src0_sel:BYTE_0 src1_sel:DWORD
	v_lshl_add_u32 v4, v4, 23, v22
	v_or3_b32 v21, v8, v4, v21
	v_mov_b32_e32 v22, v6
.LBB216_1076:                           ;   in Loop: Header=BB216_800 Depth=1
	s_or_b64 exec, exec, s[22:23]
.LBB216_1077:                           ;   in Loop: Header=BB216_800 Depth=1
	s_or_b64 exec, exec, s[20:21]
.LBB216_1078:                           ;   in Loop: Header=BB216_800 Depth=1
	s_or_b64 exec, exec, s[10:11]
	v_cmp_lt_u32_e32 vcc, s27, v16
	s_and_saveexec_b64 s[10:11], vcc
	s_cbranch_execz .LBB216_1084
; %bb.1079:                             ;   in Loop: Header=BB216_800 Depth=1
	v_mov_b32_e32 v24, v7
	v_cmp_ne_u32_sdwa s[22:23], v16, s24 src0_sel:BYTE_3 src1_sel:DWORD
	v_mov_b32_e32 v23, v6
	s_and_saveexec_b64 s[20:21], s[22:23]
	s_cbranch_execz .LBB216_1083
; %bb.1080:                             ;   in Loop: Header=BB216_800 Depth=1
	v_bfe_u32 v4, v16, 24, 7
	v_mov_b32_e32 v8, v6
	v_mov_b32_e32 v24, v9
	v_cmp_ne_u32_e32 vcc, s25, v4
	v_mov_b32_e32 v23, v8
	s_and_saveexec_b64 s[22:23], vcc
	s_cbranch_execz .LBB216_1082
; %bb.1081:                             ;   in Loop: Header=BB216_800 Depth=1
	v_mov_b32_e32 v8, 7
	v_and_b32_sdwa v23, v16, v8 dst_sel:DWORD dst_unused:UNUSED_PAD src0_sel:BYTE_3 src1_sel:DWORD
	v_lshrrev_b32_e32 v8, 3, v4
	v_cmp_gt_u32_e32 vcc, 8, v4
	v_ffbh_u32_e32 v4, v23
	v_min_u32_e32 v4, 32, v4
	v_mov_b32_e32 v24, v6
	v_subrev_u32_e32 v25, 28, v4
	v_lshlrev_b64 v[24:25], v25, v[23:24]
	v_sub_u32_e32 v4, 29, v4
	v_and_b32_e32 v24, 7, v24
	v_cndmask_b32_e32 v4, v8, v4, vcc
	v_cndmask_b32_e32 v8, v23, v24, vcc
	v_mov_b32_e32 v23, 24
	v_lshlrev_b32_sdwa v16, v23, v16 dst_sel:DWORD dst_unused:UNUSED_PAD src0_sel:DWORD src1_sel:BYTE_3
	v_bfrev_b32_e32 v23, 60
	v_lshl_add_u32 v4, v4, 23, v23
	v_and_or_b32 v4, v16, s26, v4
	v_lshlrev_b32_e32 v8, 20, v8
	v_or_b32_e32 v24, v4, v8
	v_mov_b32_e32 v23, v6
.LBB216_1082:                           ;   in Loop: Header=BB216_800 Depth=1
	s_or_b64 exec, exec, s[22:23]
.LBB216_1083:                           ;   in Loop: Header=BB216_800 Depth=1
	s_or_b64 exec, exec, s[20:21]
.LBB216_1084:                           ;   in Loop: Header=BB216_800 Depth=1
	s_or_b64 exec, exec, s[10:11]
	v_or_b32_e32 v4, v20, v18
	v_or_b32_e32 v8, v19, v17
	v_mul_f32_e32 v4, v63, v4
	buffer_store_dword v4, off, s[0:3], s32 offset:404 ; 4-byte Folded Spill
	v_mul_f32_e32 v4, v26, v8
	buffer_store_dword v4, off, s[0:3], s32 offset:388 ; 4-byte Folded Spill
	v_or_b32_e32 v4, v24, v22
	v_or_b32_e32 v8, v23, v21
	v_mul_f32_e32 v8, v26, v8
	v_mul_f32_e32 v4, v63, v4
	buffer_store_dword v8, off, s[0:3], s32 offset:396 ; 4-byte Folded Spill
	buffer_store_dword v4, off, s[0:3], s32 offset:380 ; 4-byte Folded Spill
	s_and_saveexec_b64 s[10:11], s[4:5]
	s_cbranch_execz .LBB216_1086
; %bb.1085:                             ;   in Loop: Header=BB216_800 Depth=1
	buffer_load_dword v4, off, s[0:3], s32 offset:72 ; 4-byte Folded Reload
	v_add_u32_e32 v8, -3, v5
	s_waitcnt vmcnt(0)
	v_cmp_lt_i32_e32 vcc, v8, v4
	buffer_load_dword v8, off, s[0:3], s32 offset:388 ; 4-byte Folded Reload
	s_waitcnt vmcnt(0)
	v_cndmask_b32_e32 v8, 0, v8, vcc
	buffer_store_dword v8, off, s[0:3], s32 offset:388 ; 4-byte Folded Spill
	v_add_u32_e32 v8, -2, v5
	v_cmp_lt_i32_e32 vcc, v8, v4
	buffer_load_dword v8, off, s[0:3], s32 offset:404 ; 4-byte Folded Reload
	s_waitcnt vmcnt(0)
	v_cndmask_b32_e32 v8, 0, v8, vcc
	buffer_store_dword v8, off, s[0:3], s32 offset:404 ; 4-byte Folded Spill
	v_add_u32_e32 v8, -1, v5
	v_cmp_lt_i32_e32 vcc, v8, v4
	buffer_load_dword v8, off, s[0:3], s32 offset:396 ; 4-byte Folded Reload
	s_waitcnt vmcnt(0)
	v_cndmask_b32_e32 v8, 0, v8, vcc
	v_cmp_lt_i32_e32 vcc, v5, v4
	buffer_load_dword v4, off, s[0:3], s32 offset:380 ; 4-byte Folded Reload
	s_waitcnt vmcnt(0)
	v_cndmask_b32_e32 v4, 0, v4, vcc
	buffer_store_dword v8, off, s[0:3], s32 offset:396 ; 4-byte Folded Spill
	buffer_store_dword v4, off, s[0:3], s32 offset:380 ; 4-byte Folded Spill
.LBB216_1086:                           ;   in Loop: Header=BB216_800 Depth=1
	s_or_b64 exec, exec, s[10:11]
	flat_load_dword v16, v[14:15] offset:2816
	v_mov_b32_e32 v19, 0
	v_mov_b32_e32 v17, 0
	;; [unrolled: 1-line block ×4, first 2 shown]
	s_waitcnt vmcnt(0) lgkmcnt(0)
	v_cmp_ne_u16_sdwa s[20:21], v16, v6 src0_sel:BYTE_0 src1_sel:DWORD
	s_and_saveexec_b64 s[10:11], s[20:21]
	s_cbranch_execz .LBB216_1092
; %bb.1087:                             ;   in Loop: Header=BB216_800 Depth=1
	v_bfrev_b32_e32 v17, 1
	v_mov_b32_e32 v18, 0
	v_cmp_ne_u16_sdwa s[22:23], v16, s24 src0_sel:BYTE_0 src1_sel:DWORD
	s_and_saveexec_b64 s[20:21], s[22:23]
	s_cbranch_execz .LBB216_1091
; %bb.1088:                             ;   in Loop: Header=BB216_800 Depth=1
	v_and_b32_e32 v4, 0x7f, v16
	v_mov_b32_e32 v17, 0x7f800001
	v_mov_b32_e32 v18, 0
	v_cmp_ne_u32_e32 vcc, s25, v4
	s_and_saveexec_b64 s[22:23], vcc
	s_cbranch_execz .LBB216_1090
; %bb.1089:                             ;   in Loop: Header=BB216_800 Depth=1
	v_and_b32_e32 v8, 7, v16
	v_lshrrev_b32_e32 v21, 3, v4
	v_cmp_gt_u32_e32 vcc, 8, v4
	v_ffbh_u32_e32 v4, v8
	v_min_u32_e32 v4, 32, v4
	v_subrev_u32_e32 v17, 28, v4
	v_lshlrev_b64 v[17:18], v17, v[16:17]
	v_sub_u32_e32 v4, 29, v4
	v_and_b32_e32 v17, 7, v17
	v_cndmask_b32_e32 v4, v21, v4, vcc
	v_cndmask_b32_e32 v8, v8, v17, vcc
	v_bfrev_b32_e32 v18, 60
	v_lshlrev_b32_e32 v8, 20, v8
	v_and_b32_sdwa v17, sext(v16), s26 dst_sel:DWORD dst_unused:UNUSED_PAD src0_sel:BYTE_0 src1_sel:DWORD
	v_lshl_add_u32 v4, v4, 23, v18
	v_or3_b32 v17, v17, v4, v8
	v_mov_b32_e32 v18, v6
.LBB216_1090:                           ;   in Loop: Header=BB216_800 Depth=1
	s_or_b64 exec, exec, s[22:23]
.LBB216_1091:                           ;   in Loop: Header=BB216_800 Depth=1
	s_or_b64 exec, exec, s[20:21]
.LBB216_1092:                           ;   in Loop: Header=BB216_800 Depth=1
	s_or_b64 exec, exec, s[10:11]
	v_cmp_ne_u16_sdwa s[20:21], v16, v6 src0_sel:BYTE_1 src1_sel:DWORD
	s_and_saveexec_b64 s[10:11], s[20:21]
	s_cbranch_execz .LBB216_1098
; %bb.1093:                             ;   in Loop: Header=BB216_800 Depth=1
	v_mov_b32_e32 v20, v7
	v_cmp_ne_u16_sdwa s[22:23], v16, s24 src0_sel:BYTE_1 src1_sel:DWORD
	v_mov_b32_e32 v19, v6
	s_and_saveexec_b64 s[20:21], s[22:23]
	s_cbranch_execz .LBB216_1097
; %bb.1094:                             ;   in Loop: Header=BB216_800 Depth=1
	v_and_b32_sdwa v4, v16, s25 dst_sel:DWORD dst_unused:UNUSED_PAD src0_sel:BYTE_1 src1_sel:DWORD
	v_mov_b32_e32 v8, v6
	v_mov_b32_e32 v20, v9
	v_cmp_ne_u32_e32 vcc, s25, v4
	v_mov_b32_e32 v19, v8
	s_and_saveexec_b64 s[22:23], vcc
	s_cbranch_execz .LBB216_1096
; %bb.1095:                             ;   in Loop: Header=BB216_800 Depth=1
	v_mov_b32_e32 v8, 7
	v_and_b32_sdwa v19, v16, v8 dst_sel:DWORD dst_unused:UNUSED_PAD src0_sel:BYTE_1 src1_sel:DWORD
	v_lshrrev_b32_e32 v8, 3, v4
	v_cmp_gt_u32_e32 vcc, 8, v4
	v_ffbh_u32_e32 v4, v19
	v_min_u32_e32 v4, 32, v4
	v_mov_b32_e32 v20, v6
	v_subrev_u32_e32 v21, 28, v4
	v_lshlrev_b64 v[20:21], v21, v[19:20]
	v_sub_u32_e32 v4, 29, v4
	v_and_b32_e32 v20, 7, v20
	v_cndmask_b32_e32 v4, v8, v4, vcc
	v_cndmask_b32_e32 v8, v19, v20, vcc
	v_bfrev_b32_e32 v20, 60
	v_lshlrev_b32_e32 v19, 16, v16
	v_lshl_add_u32 v4, v4, 23, v20
	v_and_or_b32 v4, v19, s26, v4
	v_lshlrev_b32_e32 v8, 20, v8
	v_or_b32_e32 v20, v4, v8
	v_mov_b32_e32 v19, v6
.LBB216_1096:                           ;   in Loop: Header=BB216_800 Depth=1
	s_or_b64 exec, exec, s[22:23]
.LBB216_1097:                           ;   in Loop: Header=BB216_800 Depth=1
	s_or_b64 exec, exec, s[20:21]
.LBB216_1098:                           ;   in Loop: Header=BB216_800 Depth=1
	s_or_b64 exec, exec, s[10:11]
	v_lshrrev_b32_e32 v8, 16, v16
	v_mov_b32_e32 v23, 0
	v_mov_b32_e32 v21, 0
	;; [unrolled: 1-line block ×4, first 2 shown]
	v_cmp_ne_u16_sdwa s[20:21], v8, v6 src0_sel:BYTE_0 src1_sel:DWORD
	s_and_saveexec_b64 s[10:11], s[20:21]
	s_cbranch_execz .LBB216_1104
; %bb.1099:                             ;   in Loop: Header=BB216_800 Depth=1
	v_bfrev_b32_e32 v21, 1
	v_mov_b32_e32 v22, 0
	v_cmp_ne_u16_sdwa s[22:23], v8, s24 src0_sel:BYTE_0 src1_sel:DWORD
	s_and_saveexec_b64 s[20:21], s[22:23]
	s_cbranch_execz .LBB216_1103
; %bb.1100:                             ;   in Loop: Header=BB216_800 Depth=1
	v_bfe_u32 v4, v16, 16, 7
	v_mov_b32_e32 v21, 0x7f800001
	v_mov_b32_e32 v22, 0
	v_cmp_ne_u32_e32 vcc, s25, v4
	s_and_saveexec_b64 s[22:23], vcc
	s_cbranch_execz .LBB216_1102
; %bb.1101:                             ;   in Loop: Header=BB216_800 Depth=1
	v_and_b32_e32 v25, 7, v8
	v_lshrrev_b32_e32 v27, 3, v4
	v_cmp_gt_u32_e32 vcc, 8, v4
	v_ffbh_u32_e32 v4, v25
	v_min_u32_e32 v4, 32, v4
	v_subrev_u32_e32 v21, 28, v4
	v_lshlrev_b64 v[21:22], v21, v[8:9]
	v_sub_u32_e32 v4, 29, v4
	v_and_b32_e32 v21, 7, v21
	v_cndmask_b32_e32 v4, v27, v4, vcc
	v_cndmask_b32_e32 v21, v25, v21, vcc
	v_bfrev_b32_e32 v22, 60
	v_lshlrev_b32_e32 v21, 20, v21
	v_and_b32_sdwa v8, sext(v8), s26 dst_sel:DWORD dst_unused:UNUSED_PAD src0_sel:BYTE_0 src1_sel:DWORD
	v_lshl_add_u32 v4, v4, 23, v22
	v_or3_b32 v21, v8, v4, v21
	v_mov_b32_e32 v22, v6
.LBB216_1102:                           ;   in Loop: Header=BB216_800 Depth=1
	s_or_b64 exec, exec, s[22:23]
.LBB216_1103:                           ;   in Loop: Header=BB216_800 Depth=1
	s_or_b64 exec, exec, s[20:21]
.LBB216_1104:                           ;   in Loop: Header=BB216_800 Depth=1
	s_or_b64 exec, exec, s[10:11]
	v_cmp_lt_u32_e32 vcc, s27, v16
	s_and_saveexec_b64 s[10:11], vcc
	s_cbranch_execz .LBB216_1110
; %bb.1105:                             ;   in Loop: Header=BB216_800 Depth=1
	v_mov_b32_e32 v24, v7
	v_cmp_ne_u32_sdwa s[22:23], v16, s24 src0_sel:BYTE_3 src1_sel:DWORD
	v_mov_b32_e32 v23, v6
	s_and_saveexec_b64 s[20:21], s[22:23]
	s_cbranch_execz .LBB216_1109
; %bb.1106:                             ;   in Loop: Header=BB216_800 Depth=1
	v_bfe_u32 v4, v16, 24, 7
	v_mov_b32_e32 v8, v6
	v_mov_b32_e32 v24, v9
	v_cmp_ne_u32_e32 vcc, s25, v4
	v_mov_b32_e32 v23, v8
	s_and_saveexec_b64 s[22:23], vcc
	s_cbranch_execz .LBB216_1108
; %bb.1107:                             ;   in Loop: Header=BB216_800 Depth=1
	v_mov_b32_e32 v8, 7
	v_and_b32_sdwa v23, v16, v8 dst_sel:DWORD dst_unused:UNUSED_PAD src0_sel:BYTE_3 src1_sel:DWORD
	v_lshrrev_b32_e32 v8, 3, v4
	v_cmp_gt_u32_e32 vcc, 8, v4
	v_ffbh_u32_e32 v4, v23
	v_min_u32_e32 v4, 32, v4
	v_mov_b32_e32 v24, v6
	v_subrev_u32_e32 v25, 28, v4
	v_lshlrev_b64 v[24:25], v25, v[23:24]
	v_sub_u32_e32 v4, 29, v4
	v_and_b32_e32 v24, 7, v24
	v_cndmask_b32_e32 v4, v8, v4, vcc
	v_cndmask_b32_e32 v8, v23, v24, vcc
	v_mov_b32_e32 v23, 24
	v_lshlrev_b32_sdwa v16, v23, v16 dst_sel:DWORD dst_unused:UNUSED_PAD src0_sel:DWORD src1_sel:BYTE_3
	v_bfrev_b32_e32 v23, 60
	v_lshl_add_u32 v4, v4, 23, v23
	v_and_or_b32 v4, v16, s26, v4
	v_lshlrev_b32_e32 v8, 20, v8
	v_or_b32_e32 v24, v4, v8
	v_mov_b32_e32 v23, v6
.LBB216_1108:                           ;   in Loop: Header=BB216_800 Depth=1
	s_or_b64 exec, exec, s[22:23]
.LBB216_1109:                           ;   in Loop: Header=BB216_800 Depth=1
	s_or_b64 exec, exec, s[20:21]
.LBB216_1110:                           ;   in Loop: Header=BB216_800 Depth=1
	s_or_b64 exec, exec, s[10:11]
	v_or_b32_e32 v4, v20, v18
	v_or_b32_e32 v8, v19, v17
	v_mul_f32_e32 v4, v63, v4
	buffer_store_dword v4, off, s[0:3], s32 offset:436 ; 4-byte Folded Spill
	v_mul_f32_e32 v4, v26, v8
	buffer_store_dword v4, off, s[0:3], s32 offset:420 ; 4-byte Folded Spill
	v_or_b32_e32 v4, v24, v22
	v_or_b32_e32 v8, v23, v21
	v_mul_f32_e32 v8, v26, v8
	v_mul_f32_e32 v4, v63, v4
	buffer_store_dword v8, off, s[0:3], s32 offset:428 ; 4-byte Folded Spill
	buffer_store_dword v4, off, s[0:3], s32 offset:412 ; 4-byte Folded Spill
	s_and_saveexec_b64 s[10:11], s[4:5]
	s_cbranch_execz .LBB216_1112
; %bb.1111:                             ;   in Loop: Header=BB216_800 Depth=1
	buffer_load_dword v4, off, s[0:3], s32 offset:72 ; 4-byte Folded Reload
	v_add_u32_e32 v8, -3, v5
	s_waitcnt vmcnt(0)
	v_cmp_lt_i32_e32 vcc, v8, v4
	buffer_load_dword v8, off, s[0:3], s32 offset:420 ; 4-byte Folded Reload
	s_waitcnt vmcnt(0)
	v_cndmask_b32_e32 v8, 0, v8, vcc
	buffer_store_dword v8, off, s[0:3], s32 offset:420 ; 4-byte Folded Spill
	v_add_u32_e32 v8, -2, v5
	v_cmp_lt_i32_e32 vcc, v8, v4
	buffer_load_dword v8, off, s[0:3], s32 offset:436 ; 4-byte Folded Reload
	s_waitcnt vmcnt(0)
	v_cndmask_b32_e32 v8, 0, v8, vcc
	buffer_store_dword v8, off, s[0:3], s32 offset:436 ; 4-byte Folded Spill
	v_add_u32_e32 v8, -1, v5
	v_cmp_lt_i32_e32 vcc, v8, v4
	buffer_load_dword v8, off, s[0:3], s32 offset:428 ; 4-byte Folded Reload
	s_waitcnt vmcnt(0)
	v_cndmask_b32_e32 v8, 0, v8, vcc
	v_cmp_lt_i32_e32 vcc, v5, v4
	buffer_load_dword v4, off, s[0:3], s32 offset:412 ; 4-byte Folded Reload
	s_waitcnt vmcnt(0)
	v_cndmask_b32_e32 v4, 0, v4, vcc
	buffer_store_dword v8, off, s[0:3], s32 offset:428 ; 4-byte Folded Spill
	buffer_store_dword v4, off, s[0:3], s32 offset:412 ; 4-byte Folded Spill
.LBB216_1112:                           ;   in Loop: Header=BB216_800 Depth=1
	s_or_b64 exec, exec, s[10:11]
	flat_load_dword v16, v[14:15] offset:3072
	v_mov_b32_e32 v19, 0
	v_mov_b32_e32 v17, 0
	;; [unrolled: 1-line block ×4, first 2 shown]
	s_waitcnt vmcnt(0) lgkmcnt(0)
	v_cmp_ne_u16_sdwa s[20:21], v16, v6 src0_sel:BYTE_0 src1_sel:DWORD
	s_and_saveexec_b64 s[10:11], s[20:21]
	s_cbranch_execz .LBB216_1118
; %bb.1113:                             ;   in Loop: Header=BB216_800 Depth=1
	v_bfrev_b32_e32 v17, 1
	v_mov_b32_e32 v18, 0
	v_cmp_ne_u16_sdwa s[22:23], v16, s24 src0_sel:BYTE_0 src1_sel:DWORD
	s_and_saveexec_b64 s[20:21], s[22:23]
	s_cbranch_execz .LBB216_1117
; %bb.1114:                             ;   in Loop: Header=BB216_800 Depth=1
	v_and_b32_e32 v4, 0x7f, v16
	v_mov_b32_e32 v17, 0x7f800001
	v_mov_b32_e32 v18, 0
	v_cmp_ne_u32_e32 vcc, s25, v4
	s_and_saveexec_b64 s[22:23], vcc
	s_cbranch_execz .LBB216_1116
; %bb.1115:                             ;   in Loop: Header=BB216_800 Depth=1
	v_and_b32_e32 v8, 7, v16
	v_lshrrev_b32_e32 v21, 3, v4
	v_cmp_gt_u32_e32 vcc, 8, v4
	v_ffbh_u32_e32 v4, v8
	v_min_u32_e32 v4, 32, v4
	v_subrev_u32_e32 v17, 28, v4
	v_lshlrev_b64 v[17:18], v17, v[16:17]
	v_sub_u32_e32 v4, 29, v4
	v_and_b32_e32 v17, 7, v17
	v_cndmask_b32_e32 v4, v21, v4, vcc
	v_cndmask_b32_e32 v8, v8, v17, vcc
	v_bfrev_b32_e32 v18, 60
	v_lshlrev_b32_e32 v8, 20, v8
	v_and_b32_sdwa v17, sext(v16), s26 dst_sel:DWORD dst_unused:UNUSED_PAD src0_sel:BYTE_0 src1_sel:DWORD
	v_lshl_add_u32 v4, v4, 23, v18
	v_or3_b32 v17, v17, v4, v8
	v_mov_b32_e32 v18, v6
.LBB216_1116:                           ;   in Loop: Header=BB216_800 Depth=1
	s_or_b64 exec, exec, s[22:23]
.LBB216_1117:                           ;   in Loop: Header=BB216_800 Depth=1
	s_or_b64 exec, exec, s[20:21]
.LBB216_1118:                           ;   in Loop: Header=BB216_800 Depth=1
	s_or_b64 exec, exec, s[10:11]
	v_cmp_ne_u16_sdwa s[20:21], v16, v6 src0_sel:BYTE_1 src1_sel:DWORD
	s_and_saveexec_b64 s[10:11], s[20:21]
	s_cbranch_execz .LBB216_1124
; %bb.1119:                             ;   in Loop: Header=BB216_800 Depth=1
	v_mov_b32_e32 v20, v7
	v_cmp_ne_u16_sdwa s[22:23], v16, s24 src0_sel:BYTE_1 src1_sel:DWORD
	v_mov_b32_e32 v19, v6
	s_and_saveexec_b64 s[20:21], s[22:23]
	s_cbranch_execz .LBB216_1123
; %bb.1120:                             ;   in Loop: Header=BB216_800 Depth=1
	v_and_b32_sdwa v4, v16, s25 dst_sel:DWORD dst_unused:UNUSED_PAD src0_sel:BYTE_1 src1_sel:DWORD
	v_mov_b32_e32 v8, v6
	v_mov_b32_e32 v20, v9
	v_cmp_ne_u32_e32 vcc, s25, v4
	v_mov_b32_e32 v19, v8
	s_and_saveexec_b64 s[22:23], vcc
	s_cbranch_execz .LBB216_1122
; %bb.1121:                             ;   in Loop: Header=BB216_800 Depth=1
	v_mov_b32_e32 v8, 7
	v_and_b32_sdwa v19, v16, v8 dst_sel:DWORD dst_unused:UNUSED_PAD src0_sel:BYTE_1 src1_sel:DWORD
	v_lshrrev_b32_e32 v8, 3, v4
	v_cmp_gt_u32_e32 vcc, 8, v4
	v_ffbh_u32_e32 v4, v19
	v_min_u32_e32 v4, 32, v4
	v_mov_b32_e32 v20, v6
	v_subrev_u32_e32 v21, 28, v4
	v_lshlrev_b64 v[20:21], v21, v[19:20]
	v_sub_u32_e32 v4, 29, v4
	v_and_b32_e32 v20, 7, v20
	v_cndmask_b32_e32 v4, v8, v4, vcc
	v_cndmask_b32_e32 v8, v19, v20, vcc
	v_bfrev_b32_e32 v20, 60
	v_lshlrev_b32_e32 v19, 16, v16
	v_lshl_add_u32 v4, v4, 23, v20
	v_and_or_b32 v4, v19, s26, v4
	v_lshlrev_b32_e32 v8, 20, v8
	v_or_b32_e32 v20, v4, v8
	v_mov_b32_e32 v19, v6
.LBB216_1122:                           ;   in Loop: Header=BB216_800 Depth=1
	s_or_b64 exec, exec, s[22:23]
.LBB216_1123:                           ;   in Loop: Header=BB216_800 Depth=1
	s_or_b64 exec, exec, s[20:21]
.LBB216_1124:                           ;   in Loop: Header=BB216_800 Depth=1
	s_or_b64 exec, exec, s[10:11]
	v_lshrrev_b32_e32 v8, 16, v16
	v_mov_b32_e32 v23, 0
	v_mov_b32_e32 v21, 0
	;; [unrolled: 1-line block ×4, first 2 shown]
	v_cmp_ne_u16_sdwa s[20:21], v8, v6 src0_sel:BYTE_0 src1_sel:DWORD
	s_and_saveexec_b64 s[10:11], s[20:21]
	s_cbranch_execz .LBB216_1130
; %bb.1125:                             ;   in Loop: Header=BB216_800 Depth=1
	v_bfrev_b32_e32 v21, 1
	v_mov_b32_e32 v22, 0
	v_cmp_ne_u16_sdwa s[22:23], v8, s24 src0_sel:BYTE_0 src1_sel:DWORD
	s_and_saveexec_b64 s[20:21], s[22:23]
	s_cbranch_execz .LBB216_1129
; %bb.1126:                             ;   in Loop: Header=BB216_800 Depth=1
	v_bfe_u32 v4, v16, 16, 7
	v_mov_b32_e32 v21, 0x7f800001
	v_mov_b32_e32 v22, 0
	v_cmp_ne_u32_e32 vcc, s25, v4
	s_and_saveexec_b64 s[22:23], vcc
	s_cbranch_execz .LBB216_1128
; %bb.1127:                             ;   in Loop: Header=BB216_800 Depth=1
	v_and_b32_e32 v25, 7, v8
	v_lshrrev_b32_e32 v27, 3, v4
	v_cmp_gt_u32_e32 vcc, 8, v4
	v_ffbh_u32_e32 v4, v25
	v_min_u32_e32 v4, 32, v4
	v_subrev_u32_e32 v21, 28, v4
	v_lshlrev_b64 v[21:22], v21, v[8:9]
	v_sub_u32_e32 v4, 29, v4
	v_and_b32_e32 v21, 7, v21
	v_cndmask_b32_e32 v4, v27, v4, vcc
	v_cndmask_b32_e32 v21, v25, v21, vcc
	v_bfrev_b32_e32 v22, 60
	v_lshlrev_b32_e32 v21, 20, v21
	v_and_b32_sdwa v8, sext(v8), s26 dst_sel:DWORD dst_unused:UNUSED_PAD src0_sel:BYTE_0 src1_sel:DWORD
	v_lshl_add_u32 v4, v4, 23, v22
	v_or3_b32 v21, v8, v4, v21
	v_mov_b32_e32 v22, v6
.LBB216_1128:                           ;   in Loop: Header=BB216_800 Depth=1
	s_or_b64 exec, exec, s[22:23]
.LBB216_1129:                           ;   in Loop: Header=BB216_800 Depth=1
	s_or_b64 exec, exec, s[20:21]
.LBB216_1130:                           ;   in Loop: Header=BB216_800 Depth=1
	s_or_b64 exec, exec, s[10:11]
	v_cmp_lt_u32_e32 vcc, s27, v16
	s_and_saveexec_b64 s[10:11], vcc
	s_cbranch_execz .LBB216_1136
; %bb.1131:                             ;   in Loop: Header=BB216_800 Depth=1
	v_mov_b32_e32 v24, v7
	v_cmp_ne_u32_sdwa s[22:23], v16, s24 src0_sel:BYTE_3 src1_sel:DWORD
	v_mov_b32_e32 v23, v6
	s_and_saveexec_b64 s[20:21], s[22:23]
	s_cbranch_execz .LBB216_1135
; %bb.1132:                             ;   in Loop: Header=BB216_800 Depth=1
	v_bfe_u32 v4, v16, 24, 7
	v_mov_b32_e32 v8, v6
	v_mov_b32_e32 v24, v9
	v_cmp_ne_u32_e32 vcc, s25, v4
	v_mov_b32_e32 v23, v8
	s_and_saveexec_b64 s[22:23], vcc
	s_cbranch_execz .LBB216_1134
; %bb.1133:                             ;   in Loop: Header=BB216_800 Depth=1
	v_mov_b32_e32 v8, 7
	v_and_b32_sdwa v23, v16, v8 dst_sel:DWORD dst_unused:UNUSED_PAD src0_sel:BYTE_3 src1_sel:DWORD
	v_lshrrev_b32_e32 v8, 3, v4
	v_cmp_gt_u32_e32 vcc, 8, v4
	v_ffbh_u32_e32 v4, v23
	v_min_u32_e32 v4, 32, v4
	v_mov_b32_e32 v24, v6
	v_subrev_u32_e32 v25, 28, v4
	v_lshlrev_b64 v[24:25], v25, v[23:24]
	v_sub_u32_e32 v4, 29, v4
	v_and_b32_e32 v24, 7, v24
	v_cndmask_b32_e32 v4, v8, v4, vcc
	v_cndmask_b32_e32 v8, v23, v24, vcc
	v_mov_b32_e32 v23, 24
	v_lshlrev_b32_sdwa v16, v23, v16 dst_sel:DWORD dst_unused:UNUSED_PAD src0_sel:DWORD src1_sel:BYTE_3
	v_bfrev_b32_e32 v23, 60
	v_lshl_add_u32 v4, v4, 23, v23
	v_and_or_b32 v4, v16, s26, v4
	v_lshlrev_b32_e32 v8, 20, v8
	v_or_b32_e32 v24, v4, v8
	v_mov_b32_e32 v23, v6
.LBB216_1134:                           ;   in Loop: Header=BB216_800 Depth=1
	s_or_b64 exec, exec, s[22:23]
.LBB216_1135:                           ;   in Loop: Header=BB216_800 Depth=1
	s_or_b64 exec, exec, s[20:21]
.LBB216_1136:                           ;   in Loop: Header=BB216_800 Depth=1
	s_or_b64 exec, exec, s[10:11]
	v_or_b32_e32 v4, v20, v18
	v_or_b32_e32 v8, v19, v17
	v_mul_f32_e32 v4, v63, v4
	buffer_store_dword v4, off, s[0:3], s32 offset:468 ; 4-byte Folded Spill
	v_mul_f32_e32 v4, v26, v8
	buffer_store_dword v4, off, s[0:3], s32 offset:452 ; 4-byte Folded Spill
	v_or_b32_e32 v4, v24, v22
	v_or_b32_e32 v8, v23, v21
	v_mul_f32_e32 v8, v26, v8
	v_mul_f32_e32 v4, v63, v4
	buffer_store_dword v8, off, s[0:3], s32 offset:460 ; 4-byte Folded Spill
	buffer_store_dword v4, off, s[0:3], s32 offset:444 ; 4-byte Folded Spill
	s_and_saveexec_b64 s[10:11], s[4:5]
	s_cbranch_execz .LBB216_1138
; %bb.1137:                             ;   in Loop: Header=BB216_800 Depth=1
	buffer_load_dword v4, off, s[0:3], s32 offset:72 ; 4-byte Folded Reload
	v_add_u32_e32 v8, -3, v5
	s_waitcnt vmcnt(0)
	v_cmp_lt_i32_e32 vcc, v8, v4
	buffer_load_dword v8, off, s[0:3], s32 offset:452 ; 4-byte Folded Reload
	s_waitcnt vmcnt(0)
	v_cndmask_b32_e32 v8, 0, v8, vcc
	buffer_store_dword v8, off, s[0:3], s32 offset:452 ; 4-byte Folded Spill
	v_add_u32_e32 v8, -2, v5
	v_cmp_lt_i32_e32 vcc, v8, v4
	buffer_load_dword v8, off, s[0:3], s32 offset:468 ; 4-byte Folded Reload
	s_waitcnt vmcnt(0)
	v_cndmask_b32_e32 v8, 0, v8, vcc
	buffer_store_dword v8, off, s[0:3], s32 offset:468 ; 4-byte Folded Spill
	v_add_u32_e32 v8, -1, v5
	v_cmp_lt_i32_e32 vcc, v8, v4
	buffer_load_dword v8, off, s[0:3], s32 offset:460 ; 4-byte Folded Reload
	s_waitcnt vmcnt(0)
	v_cndmask_b32_e32 v8, 0, v8, vcc
	v_cmp_lt_i32_e32 vcc, v5, v4
	buffer_load_dword v4, off, s[0:3], s32 offset:444 ; 4-byte Folded Reload
	s_waitcnt vmcnt(0)
	v_cndmask_b32_e32 v4, 0, v4, vcc
	buffer_store_dword v8, off, s[0:3], s32 offset:460 ; 4-byte Folded Spill
	buffer_store_dword v4, off, s[0:3], s32 offset:444 ; 4-byte Folded Spill
.LBB216_1138:                           ;   in Loop: Header=BB216_800 Depth=1
	s_or_b64 exec, exec, s[10:11]
	flat_load_dword v16, v[14:15] offset:3328
	v_mov_b32_e32 v19, 0
	v_mov_b32_e32 v17, 0
	v_mov_b32_e32 v20, 0
	v_mov_b32_e32 v18, 0
	s_waitcnt vmcnt(0) lgkmcnt(0)
	v_cmp_ne_u16_sdwa s[20:21], v16, v6 src0_sel:BYTE_0 src1_sel:DWORD
	s_and_saveexec_b64 s[10:11], s[20:21]
	s_cbranch_execz .LBB216_1144
; %bb.1139:                             ;   in Loop: Header=BB216_800 Depth=1
	v_bfrev_b32_e32 v17, 1
	v_mov_b32_e32 v18, 0
	v_cmp_ne_u16_sdwa s[22:23], v16, s24 src0_sel:BYTE_0 src1_sel:DWORD
	s_and_saveexec_b64 s[20:21], s[22:23]
	s_cbranch_execz .LBB216_1143
; %bb.1140:                             ;   in Loop: Header=BB216_800 Depth=1
	v_and_b32_e32 v4, 0x7f, v16
	v_mov_b32_e32 v17, 0x7f800001
	v_mov_b32_e32 v18, 0
	v_cmp_ne_u32_e32 vcc, s25, v4
	s_and_saveexec_b64 s[22:23], vcc
	s_cbranch_execz .LBB216_1142
; %bb.1141:                             ;   in Loop: Header=BB216_800 Depth=1
	v_and_b32_e32 v8, 7, v16
	v_lshrrev_b32_e32 v21, 3, v4
	v_cmp_gt_u32_e32 vcc, 8, v4
	v_ffbh_u32_e32 v4, v8
	v_min_u32_e32 v4, 32, v4
	v_subrev_u32_e32 v17, 28, v4
	v_lshlrev_b64 v[17:18], v17, v[16:17]
	v_sub_u32_e32 v4, 29, v4
	v_and_b32_e32 v17, 7, v17
	v_cndmask_b32_e32 v4, v21, v4, vcc
	v_cndmask_b32_e32 v8, v8, v17, vcc
	v_bfrev_b32_e32 v18, 60
	v_lshlrev_b32_e32 v8, 20, v8
	v_and_b32_sdwa v17, sext(v16), s26 dst_sel:DWORD dst_unused:UNUSED_PAD src0_sel:BYTE_0 src1_sel:DWORD
	v_lshl_add_u32 v4, v4, 23, v18
	v_or3_b32 v17, v17, v4, v8
	v_mov_b32_e32 v18, v6
.LBB216_1142:                           ;   in Loop: Header=BB216_800 Depth=1
	s_or_b64 exec, exec, s[22:23]
.LBB216_1143:                           ;   in Loop: Header=BB216_800 Depth=1
	s_or_b64 exec, exec, s[20:21]
.LBB216_1144:                           ;   in Loop: Header=BB216_800 Depth=1
	s_or_b64 exec, exec, s[10:11]
	v_cmp_ne_u16_sdwa s[20:21], v16, v6 src0_sel:BYTE_1 src1_sel:DWORD
	s_and_saveexec_b64 s[10:11], s[20:21]
	s_cbranch_execz .LBB216_1150
; %bb.1145:                             ;   in Loop: Header=BB216_800 Depth=1
	v_mov_b32_e32 v20, v7
	v_cmp_ne_u16_sdwa s[22:23], v16, s24 src0_sel:BYTE_1 src1_sel:DWORD
	v_mov_b32_e32 v19, v6
	s_and_saveexec_b64 s[20:21], s[22:23]
	s_cbranch_execz .LBB216_1149
; %bb.1146:                             ;   in Loop: Header=BB216_800 Depth=1
	v_and_b32_sdwa v4, v16, s25 dst_sel:DWORD dst_unused:UNUSED_PAD src0_sel:BYTE_1 src1_sel:DWORD
	v_mov_b32_e32 v8, v6
	v_mov_b32_e32 v20, v9
	v_cmp_ne_u32_e32 vcc, s25, v4
	v_mov_b32_e32 v19, v8
	s_and_saveexec_b64 s[22:23], vcc
	s_cbranch_execz .LBB216_1148
; %bb.1147:                             ;   in Loop: Header=BB216_800 Depth=1
	v_mov_b32_e32 v8, 7
	v_and_b32_sdwa v19, v16, v8 dst_sel:DWORD dst_unused:UNUSED_PAD src0_sel:BYTE_1 src1_sel:DWORD
	v_lshrrev_b32_e32 v8, 3, v4
	v_cmp_gt_u32_e32 vcc, 8, v4
	v_ffbh_u32_e32 v4, v19
	v_min_u32_e32 v4, 32, v4
	v_mov_b32_e32 v20, v6
	v_subrev_u32_e32 v21, 28, v4
	v_lshlrev_b64 v[20:21], v21, v[19:20]
	v_sub_u32_e32 v4, 29, v4
	v_and_b32_e32 v20, 7, v20
	v_cndmask_b32_e32 v4, v8, v4, vcc
	v_cndmask_b32_e32 v8, v19, v20, vcc
	v_bfrev_b32_e32 v20, 60
	v_lshlrev_b32_e32 v19, 16, v16
	v_lshl_add_u32 v4, v4, 23, v20
	v_and_or_b32 v4, v19, s26, v4
	v_lshlrev_b32_e32 v8, 20, v8
	v_or_b32_e32 v20, v4, v8
	v_mov_b32_e32 v19, v6
.LBB216_1148:                           ;   in Loop: Header=BB216_800 Depth=1
	s_or_b64 exec, exec, s[22:23]
.LBB216_1149:                           ;   in Loop: Header=BB216_800 Depth=1
	s_or_b64 exec, exec, s[20:21]
.LBB216_1150:                           ;   in Loop: Header=BB216_800 Depth=1
	s_or_b64 exec, exec, s[10:11]
	v_lshrrev_b32_e32 v8, 16, v16
	v_mov_b32_e32 v23, 0
	v_mov_b32_e32 v21, 0
	;; [unrolled: 1-line block ×4, first 2 shown]
	v_cmp_ne_u16_sdwa s[20:21], v8, v6 src0_sel:BYTE_0 src1_sel:DWORD
	s_and_saveexec_b64 s[10:11], s[20:21]
	s_cbranch_execz .LBB216_1156
; %bb.1151:                             ;   in Loop: Header=BB216_800 Depth=1
	v_bfrev_b32_e32 v21, 1
	v_mov_b32_e32 v22, 0
	v_cmp_ne_u16_sdwa s[22:23], v8, s24 src0_sel:BYTE_0 src1_sel:DWORD
	s_and_saveexec_b64 s[20:21], s[22:23]
	s_cbranch_execz .LBB216_1155
; %bb.1152:                             ;   in Loop: Header=BB216_800 Depth=1
	v_bfe_u32 v4, v16, 16, 7
	v_mov_b32_e32 v21, 0x7f800001
	v_mov_b32_e32 v22, 0
	v_cmp_ne_u32_e32 vcc, s25, v4
	s_and_saveexec_b64 s[22:23], vcc
	s_cbranch_execz .LBB216_1154
; %bb.1153:                             ;   in Loop: Header=BB216_800 Depth=1
	v_and_b32_e32 v25, 7, v8
	v_lshrrev_b32_e32 v27, 3, v4
	v_cmp_gt_u32_e32 vcc, 8, v4
	v_ffbh_u32_e32 v4, v25
	v_min_u32_e32 v4, 32, v4
	v_subrev_u32_e32 v21, 28, v4
	v_lshlrev_b64 v[21:22], v21, v[8:9]
	v_sub_u32_e32 v4, 29, v4
	v_and_b32_e32 v21, 7, v21
	v_cndmask_b32_e32 v4, v27, v4, vcc
	v_cndmask_b32_e32 v21, v25, v21, vcc
	v_bfrev_b32_e32 v22, 60
	v_lshlrev_b32_e32 v21, 20, v21
	v_and_b32_sdwa v8, sext(v8), s26 dst_sel:DWORD dst_unused:UNUSED_PAD src0_sel:BYTE_0 src1_sel:DWORD
	v_lshl_add_u32 v4, v4, 23, v22
	v_or3_b32 v21, v8, v4, v21
	v_mov_b32_e32 v22, v6
.LBB216_1154:                           ;   in Loop: Header=BB216_800 Depth=1
	s_or_b64 exec, exec, s[22:23]
.LBB216_1155:                           ;   in Loop: Header=BB216_800 Depth=1
	s_or_b64 exec, exec, s[20:21]
.LBB216_1156:                           ;   in Loop: Header=BB216_800 Depth=1
	s_or_b64 exec, exec, s[10:11]
	v_cmp_lt_u32_e32 vcc, s27, v16
	s_and_saveexec_b64 s[10:11], vcc
	s_cbranch_execz .LBB216_1162
; %bb.1157:                             ;   in Loop: Header=BB216_800 Depth=1
	v_mov_b32_e32 v24, v7
	v_cmp_ne_u32_sdwa s[22:23], v16, s24 src0_sel:BYTE_3 src1_sel:DWORD
	v_mov_b32_e32 v23, v6
	s_and_saveexec_b64 s[20:21], s[22:23]
	s_cbranch_execz .LBB216_1161
; %bb.1158:                             ;   in Loop: Header=BB216_800 Depth=1
	v_bfe_u32 v4, v16, 24, 7
	v_mov_b32_e32 v8, v6
	v_mov_b32_e32 v24, v9
	v_cmp_ne_u32_e32 vcc, s25, v4
	v_mov_b32_e32 v23, v8
	s_and_saveexec_b64 s[22:23], vcc
	s_cbranch_execz .LBB216_1160
; %bb.1159:                             ;   in Loop: Header=BB216_800 Depth=1
	v_mov_b32_e32 v8, 7
	v_and_b32_sdwa v23, v16, v8 dst_sel:DWORD dst_unused:UNUSED_PAD src0_sel:BYTE_3 src1_sel:DWORD
	v_lshrrev_b32_e32 v8, 3, v4
	v_cmp_gt_u32_e32 vcc, 8, v4
	v_ffbh_u32_e32 v4, v23
	v_min_u32_e32 v4, 32, v4
	v_mov_b32_e32 v24, v6
	v_subrev_u32_e32 v25, 28, v4
	v_lshlrev_b64 v[24:25], v25, v[23:24]
	v_sub_u32_e32 v4, 29, v4
	v_and_b32_e32 v24, 7, v24
	v_cndmask_b32_e32 v4, v8, v4, vcc
	v_cndmask_b32_e32 v8, v23, v24, vcc
	v_mov_b32_e32 v23, 24
	v_lshlrev_b32_sdwa v16, v23, v16 dst_sel:DWORD dst_unused:UNUSED_PAD src0_sel:DWORD src1_sel:BYTE_3
	v_bfrev_b32_e32 v23, 60
	v_lshl_add_u32 v4, v4, 23, v23
	v_and_or_b32 v4, v16, s26, v4
	v_lshlrev_b32_e32 v8, 20, v8
	v_or_b32_e32 v24, v4, v8
	v_mov_b32_e32 v23, v6
.LBB216_1160:                           ;   in Loop: Header=BB216_800 Depth=1
	s_or_b64 exec, exec, s[22:23]
.LBB216_1161:                           ;   in Loop: Header=BB216_800 Depth=1
	s_or_b64 exec, exec, s[20:21]
.LBB216_1162:                           ;   in Loop: Header=BB216_800 Depth=1
	s_or_b64 exec, exec, s[10:11]
	v_or_b32_e32 v4, v20, v18
	v_or_b32_e32 v8, v19, v17
	v_mul_f32_e32 v4, v63, v4
	buffer_store_dword v4, off, s[0:3], s32 offset:500 ; 4-byte Folded Spill
	v_mul_f32_e32 v4, v26, v8
	buffer_store_dword v4, off, s[0:3], s32 offset:484 ; 4-byte Folded Spill
	v_or_b32_e32 v4, v24, v22
	v_or_b32_e32 v8, v23, v21
	v_mul_f32_e32 v8, v26, v8
	v_mul_f32_e32 v4, v63, v4
	buffer_store_dword v8, off, s[0:3], s32 offset:492 ; 4-byte Folded Spill
	buffer_store_dword v4, off, s[0:3], s32 offset:476 ; 4-byte Folded Spill
	s_and_saveexec_b64 s[10:11], s[4:5]
	s_cbranch_execz .LBB216_1164
; %bb.1163:                             ;   in Loop: Header=BB216_800 Depth=1
	buffer_load_dword v4, off, s[0:3], s32 offset:72 ; 4-byte Folded Reload
	v_add_u32_e32 v8, -3, v5
	s_waitcnt vmcnt(0)
	v_cmp_lt_i32_e32 vcc, v8, v4
	buffer_load_dword v8, off, s[0:3], s32 offset:484 ; 4-byte Folded Reload
	s_waitcnt vmcnt(0)
	v_cndmask_b32_e32 v8, 0, v8, vcc
	buffer_store_dword v8, off, s[0:3], s32 offset:484 ; 4-byte Folded Spill
	v_add_u32_e32 v8, -2, v5
	v_cmp_lt_i32_e32 vcc, v8, v4
	buffer_load_dword v8, off, s[0:3], s32 offset:500 ; 4-byte Folded Reload
	s_waitcnt vmcnt(0)
	v_cndmask_b32_e32 v8, 0, v8, vcc
	buffer_store_dword v8, off, s[0:3], s32 offset:500 ; 4-byte Folded Spill
	v_add_u32_e32 v8, -1, v5
	v_cmp_lt_i32_e32 vcc, v8, v4
	buffer_load_dword v8, off, s[0:3], s32 offset:492 ; 4-byte Folded Reload
	s_waitcnt vmcnt(0)
	v_cndmask_b32_e32 v8, 0, v8, vcc
	v_cmp_lt_i32_e32 vcc, v5, v4
	buffer_load_dword v4, off, s[0:3], s32 offset:476 ; 4-byte Folded Reload
	s_waitcnt vmcnt(0)
	v_cndmask_b32_e32 v4, 0, v4, vcc
	buffer_store_dword v8, off, s[0:3], s32 offset:492 ; 4-byte Folded Spill
	buffer_store_dword v4, off, s[0:3], s32 offset:476 ; 4-byte Folded Spill
.LBB216_1164:                           ;   in Loop: Header=BB216_800 Depth=1
	s_or_b64 exec, exec, s[10:11]
	flat_load_dword v16, v[14:15] offset:3584
	v_mov_b32_e32 v19, 0
	v_mov_b32_e32 v17, 0
	;; [unrolled: 1-line block ×4, first 2 shown]
	s_waitcnt vmcnt(0) lgkmcnt(0)
	v_cmp_ne_u16_sdwa s[20:21], v16, v6 src0_sel:BYTE_0 src1_sel:DWORD
	s_and_saveexec_b64 s[10:11], s[20:21]
	s_cbranch_execz .LBB216_1170
; %bb.1165:                             ;   in Loop: Header=BB216_800 Depth=1
	v_bfrev_b32_e32 v17, 1
	v_mov_b32_e32 v18, 0
	v_cmp_ne_u16_sdwa s[22:23], v16, s24 src0_sel:BYTE_0 src1_sel:DWORD
	s_and_saveexec_b64 s[20:21], s[22:23]
	s_cbranch_execz .LBB216_1169
; %bb.1166:                             ;   in Loop: Header=BB216_800 Depth=1
	v_and_b32_e32 v4, 0x7f, v16
	v_mov_b32_e32 v17, 0x7f800001
	v_mov_b32_e32 v18, 0
	v_cmp_ne_u32_e32 vcc, s25, v4
	s_and_saveexec_b64 s[22:23], vcc
	s_cbranch_execz .LBB216_1168
; %bb.1167:                             ;   in Loop: Header=BB216_800 Depth=1
	v_and_b32_e32 v8, 7, v16
	v_lshrrev_b32_e32 v21, 3, v4
	v_cmp_gt_u32_e32 vcc, 8, v4
	v_ffbh_u32_e32 v4, v8
	v_min_u32_e32 v4, 32, v4
	v_subrev_u32_e32 v17, 28, v4
	v_lshlrev_b64 v[17:18], v17, v[16:17]
	v_sub_u32_e32 v4, 29, v4
	v_and_b32_e32 v17, 7, v17
	v_cndmask_b32_e32 v4, v21, v4, vcc
	v_cndmask_b32_e32 v8, v8, v17, vcc
	v_bfrev_b32_e32 v18, 60
	v_lshlrev_b32_e32 v8, 20, v8
	v_and_b32_sdwa v17, sext(v16), s26 dst_sel:DWORD dst_unused:UNUSED_PAD src0_sel:BYTE_0 src1_sel:DWORD
	v_lshl_add_u32 v4, v4, 23, v18
	v_or3_b32 v17, v17, v4, v8
	v_mov_b32_e32 v18, v6
.LBB216_1168:                           ;   in Loop: Header=BB216_800 Depth=1
	s_or_b64 exec, exec, s[22:23]
.LBB216_1169:                           ;   in Loop: Header=BB216_800 Depth=1
	s_or_b64 exec, exec, s[20:21]
.LBB216_1170:                           ;   in Loop: Header=BB216_800 Depth=1
	s_or_b64 exec, exec, s[10:11]
	v_cmp_ne_u16_sdwa s[20:21], v16, v6 src0_sel:BYTE_1 src1_sel:DWORD
	s_and_saveexec_b64 s[10:11], s[20:21]
	s_cbranch_execz .LBB216_1176
; %bb.1171:                             ;   in Loop: Header=BB216_800 Depth=1
	v_mov_b32_e32 v20, v7
	v_cmp_ne_u16_sdwa s[22:23], v16, s24 src0_sel:BYTE_1 src1_sel:DWORD
	v_mov_b32_e32 v19, v6
	s_and_saveexec_b64 s[20:21], s[22:23]
	s_cbranch_execz .LBB216_1175
; %bb.1172:                             ;   in Loop: Header=BB216_800 Depth=1
	v_and_b32_sdwa v4, v16, s25 dst_sel:DWORD dst_unused:UNUSED_PAD src0_sel:BYTE_1 src1_sel:DWORD
	v_mov_b32_e32 v8, v6
	v_mov_b32_e32 v20, v9
	v_cmp_ne_u32_e32 vcc, s25, v4
	v_mov_b32_e32 v19, v8
	s_and_saveexec_b64 s[22:23], vcc
	s_cbranch_execz .LBB216_1174
; %bb.1173:                             ;   in Loop: Header=BB216_800 Depth=1
	v_mov_b32_e32 v8, 7
	v_and_b32_sdwa v19, v16, v8 dst_sel:DWORD dst_unused:UNUSED_PAD src0_sel:BYTE_1 src1_sel:DWORD
	v_lshrrev_b32_e32 v8, 3, v4
	v_cmp_gt_u32_e32 vcc, 8, v4
	v_ffbh_u32_e32 v4, v19
	v_min_u32_e32 v4, 32, v4
	v_mov_b32_e32 v20, v6
	v_subrev_u32_e32 v21, 28, v4
	v_lshlrev_b64 v[20:21], v21, v[19:20]
	v_sub_u32_e32 v4, 29, v4
	v_and_b32_e32 v20, 7, v20
	v_cndmask_b32_e32 v4, v8, v4, vcc
	v_cndmask_b32_e32 v8, v19, v20, vcc
	v_bfrev_b32_e32 v20, 60
	v_lshlrev_b32_e32 v19, 16, v16
	v_lshl_add_u32 v4, v4, 23, v20
	v_and_or_b32 v4, v19, s26, v4
	v_lshlrev_b32_e32 v8, 20, v8
	v_or_b32_e32 v20, v4, v8
	v_mov_b32_e32 v19, v6
.LBB216_1174:                           ;   in Loop: Header=BB216_800 Depth=1
	s_or_b64 exec, exec, s[22:23]
.LBB216_1175:                           ;   in Loop: Header=BB216_800 Depth=1
	s_or_b64 exec, exec, s[20:21]
.LBB216_1176:                           ;   in Loop: Header=BB216_800 Depth=1
	s_or_b64 exec, exec, s[10:11]
	v_lshrrev_b32_e32 v8, 16, v16
	v_mov_b32_e32 v23, 0
	v_mov_b32_e32 v21, 0
	;; [unrolled: 1-line block ×4, first 2 shown]
	v_cmp_ne_u16_sdwa s[20:21], v8, v6 src0_sel:BYTE_0 src1_sel:DWORD
	s_and_saveexec_b64 s[10:11], s[20:21]
	s_cbranch_execz .LBB216_1182
; %bb.1177:                             ;   in Loop: Header=BB216_800 Depth=1
	v_bfrev_b32_e32 v21, 1
	v_mov_b32_e32 v22, 0
	v_cmp_ne_u16_sdwa s[22:23], v8, s24 src0_sel:BYTE_0 src1_sel:DWORD
	s_and_saveexec_b64 s[20:21], s[22:23]
	s_cbranch_execz .LBB216_1181
; %bb.1178:                             ;   in Loop: Header=BB216_800 Depth=1
	v_bfe_u32 v4, v16, 16, 7
	v_mov_b32_e32 v21, 0x7f800001
	v_mov_b32_e32 v22, 0
	v_cmp_ne_u32_e32 vcc, s25, v4
	s_and_saveexec_b64 s[22:23], vcc
	s_cbranch_execz .LBB216_1180
; %bb.1179:                             ;   in Loop: Header=BB216_800 Depth=1
	v_and_b32_e32 v25, 7, v8
	v_lshrrev_b32_e32 v27, 3, v4
	v_cmp_gt_u32_e32 vcc, 8, v4
	v_ffbh_u32_e32 v4, v25
	v_min_u32_e32 v4, 32, v4
	v_subrev_u32_e32 v21, 28, v4
	v_lshlrev_b64 v[21:22], v21, v[8:9]
	v_sub_u32_e32 v4, 29, v4
	v_and_b32_e32 v21, 7, v21
	v_cndmask_b32_e32 v4, v27, v4, vcc
	v_cndmask_b32_e32 v21, v25, v21, vcc
	v_bfrev_b32_e32 v22, 60
	v_lshlrev_b32_e32 v21, 20, v21
	v_and_b32_sdwa v8, sext(v8), s26 dst_sel:DWORD dst_unused:UNUSED_PAD src0_sel:BYTE_0 src1_sel:DWORD
	v_lshl_add_u32 v4, v4, 23, v22
	v_or3_b32 v21, v8, v4, v21
	v_mov_b32_e32 v22, v6
.LBB216_1180:                           ;   in Loop: Header=BB216_800 Depth=1
	s_or_b64 exec, exec, s[22:23]
.LBB216_1181:                           ;   in Loop: Header=BB216_800 Depth=1
	s_or_b64 exec, exec, s[20:21]
.LBB216_1182:                           ;   in Loop: Header=BB216_800 Depth=1
	s_or_b64 exec, exec, s[10:11]
	v_cmp_lt_u32_e32 vcc, s27, v16
	s_and_saveexec_b64 s[10:11], vcc
	s_cbranch_execz .LBB216_1188
; %bb.1183:                             ;   in Loop: Header=BB216_800 Depth=1
	v_mov_b32_e32 v24, v7
	v_cmp_ne_u32_sdwa s[22:23], v16, s24 src0_sel:BYTE_3 src1_sel:DWORD
	v_mov_b32_e32 v23, v6
	s_and_saveexec_b64 s[20:21], s[22:23]
	s_cbranch_execz .LBB216_1187
; %bb.1184:                             ;   in Loop: Header=BB216_800 Depth=1
	v_bfe_u32 v4, v16, 24, 7
	v_mov_b32_e32 v8, v6
	v_mov_b32_e32 v24, v9
	v_cmp_ne_u32_e32 vcc, s25, v4
	v_mov_b32_e32 v23, v8
	s_and_saveexec_b64 s[22:23], vcc
	s_cbranch_execz .LBB216_1186
; %bb.1185:                             ;   in Loop: Header=BB216_800 Depth=1
	v_mov_b32_e32 v8, 7
	v_and_b32_sdwa v23, v16, v8 dst_sel:DWORD dst_unused:UNUSED_PAD src0_sel:BYTE_3 src1_sel:DWORD
	v_lshrrev_b32_e32 v8, 3, v4
	v_cmp_gt_u32_e32 vcc, 8, v4
	v_ffbh_u32_e32 v4, v23
	v_min_u32_e32 v4, 32, v4
	v_mov_b32_e32 v24, v6
	v_subrev_u32_e32 v25, 28, v4
	v_lshlrev_b64 v[24:25], v25, v[23:24]
	v_sub_u32_e32 v4, 29, v4
	v_and_b32_e32 v24, 7, v24
	v_cndmask_b32_e32 v4, v8, v4, vcc
	v_cndmask_b32_e32 v8, v23, v24, vcc
	v_mov_b32_e32 v23, 24
	v_lshlrev_b32_sdwa v16, v23, v16 dst_sel:DWORD dst_unused:UNUSED_PAD src0_sel:DWORD src1_sel:BYTE_3
	v_bfrev_b32_e32 v23, 60
	v_lshl_add_u32 v4, v4, 23, v23
	v_and_or_b32 v4, v16, s26, v4
	v_lshlrev_b32_e32 v8, 20, v8
	v_or_b32_e32 v24, v4, v8
	v_mov_b32_e32 v23, v6
.LBB216_1186:                           ;   in Loop: Header=BB216_800 Depth=1
	s_or_b64 exec, exec, s[22:23]
.LBB216_1187:                           ;   in Loop: Header=BB216_800 Depth=1
	s_or_b64 exec, exec, s[20:21]
.LBB216_1188:                           ;   in Loop: Header=BB216_800 Depth=1
	s_or_b64 exec, exec, s[10:11]
	v_or_b32_e32 v4, v20, v18
	v_or_b32_e32 v8, v19, v17
	v_mul_f32_e32 v4, v63, v4
	buffer_store_dword v4, off, s[0:3], s32 offset:532 ; 4-byte Folded Spill
	v_mul_f32_e32 v4, v26, v8
	buffer_store_dword v4, off, s[0:3], s32 offset:516 ; 4-byte Folded Spill
	v_or_b32_e32 v4, v24, v22
	v_or_b32_e32 v8, v23, v21
	v_mul_f32_e32 v8, v26, v8
	v_mul_f32_e32 v4, v63, v4
	buffer_store_dword v8, off, s[0:3], s32 offset:524 ; 4-byte Folded Spill
	buffer_store_dword v4, off, s[0:3], s32 offset:508 ; 4-byte Folded Spill
	s_and_saveexec_b64 s[10:11], s[4:5]
	s_cbranch_execz .LBB216_1190
; %bb.1189:                             ;   in Loop: Header=BB216_800 Depth=1
	buffer_load_dword v4, off, s[0:3], s32 offset:72 ; 4-byte Folded Reload
	v_add_u32_e32 v8, -3, v5
	s_waitcnt vmcnt(0)
	v_cmp_lt_i32_e32 vcc, v8, v4
	buffer_load_dword v8, off, s[0:3], s32 offset:516 ; 4-byte Folded Reload
	s_waitcnt vmcnt(0)
	v_cndmask_b32_e32 v8, 0, v8, vcc
	buffer_store_dword v8, off, s[0:3], s32 offset:516 ; 4-byte Folded Spill
	v_add_u32_e32 v8, -2, v5
	v_cmp_lt_i32_e32 vcc, v8, v4
	buffer_load_dword v8, off, s[0:3], s32 offset:532 ; 4-byte Folded Reload
	s_waitcnt vmcnt(0)
	v_cndmask_b32_e32 v8, 0, v8, vcc
	buffer_store_dword v8, off, s[0:3], s32 offset:532 ; 4-byte Folded Spill
	v_add_u32_e32 v8, -1, v5
	v_cmp_lt_i32_e32 vcc, v8, v4
	buffer_load_dword v8, off, s[0:3], s32 offset:524 ; 4-byte Folded Reload
	s_waitcnt vmcnt(0)
	v_cndmask_b32_e32 v8, 0, v8, vcc
	v_cmp_lt_i32_e32 vcc, v5, v4
	buffer_load_dword v4, off, s[0:3], s32 offset:508 ; 4-byte Folded Reload
	s_waitcnt vmcnt(0)
	v_cndmask_b32_e32 v4, 0, v4, vcc
	buffer_store_dword v8, off, s[0:3], s32 offset:524 ; 4-byte Folded Spill
	buffer_store_dword v4, off, s[0:3], s32 offset:508 ; 4-byte Folded Spill
.LBB216_1190:                           ;   in Loop: Header=BB216_800 Depth=1
	s_or_b64 exec, exec, s[10:11]
	v_add_co_u32_e32 v16, vcc, v12, v33
	v_addc_co_u32_e32 v17, vcc, 0, v13, vcc
	flat_load_dword v16, v[16:17]
	v_mov_b32_e32 v19, 0
	v_mov_b32_e32 v17, 0
	;; [unrolled: 1-line block ×4, first 2 shown]
	s_waitcnt vmcnt(0) lgkmcnt(0)
	v_cmp_ne_u16_sdwa s[20:21], v16, v6 src0_sel:BYTE_0 src1_sel:DWORD
	s_and_saveexec_b64 s[10:11], s[20:21]
	s_cbranch_execz .LBB216_1196
; %bb.1191:                             ;   in Loop: Header=BB216_800 Depth=1
	v_bfrev_b32_e32 v17, 1
	v_mov_b32_e32 v18, 0
	v_cmp_ne_u16_sdwa s[22:23], v16, s24 src0_sel:BYTE_0 src1_sel:DWORD
	s_and_saveexec_b64 s[20:21], s[22:23]
	s_cbranch_execz .LBB216_1195
; %bb.1192:                             ;   in Loop: Header=BB216_800 Depth=1
	v_and_b32_e32 v4, 0x7f, v16
	v_mov_b32_e32 v17, 0x7f800001
	v_mov_b32_e32 v18, 0
	v_cmp_ne_u32_e32 vcc, s25, v4
	s_and_saveexec_b64 s[22:23], vcc
	s_cbranch_execz .LBB216_1194
; %bb.1193:                             ;   in Loop: Header=BB216_800 Depth=1
	v_and_b32_e32 v8, 7, v16
	v_lshrrev_b32_e32 v21, 3, v4
	v_cmp_gt_u32_e32 vcc, 8, v4
	v_ffbh_u32_e32 v4, v8
	v_min_u32_e32 v4, 32, v4
	v_subrev_u32_e32 v17, 28, v4
	v_lshlrev_b64 v[17:18], v17, v[16:17]
	v_sub_u32_e32 v4, 29, v4
	v_and_b32_e32 v17, 7, v17
	v_cndmask_b32_e32 v4, v21, v4, vcc
	v_cndmask_b32_e32 v8, v8, v17, vcc
	v_bfrev_b32_e32 v18, 60
	v_lshlrev_b32_e32 v8, 20, v8
	v_and_b32_sdwa v17, sext(v16), s26 dst_sel:DWORD dst_unused:UNUSED_PAD src0_sel:BYTE_0 src1_sel:DWORD
	v_lshl_add_u32 v4, v4, 23, v18
	v_or3_b32 v17, v17, v4, v8
	v_mov_b32_e32 v18, v6
.LBB216_1194:                           ;   in Loop: Header=BB216_800 Depth=1
	s_or_b64 exec, exec, s[22:23]
.LBB216_1195:                           ;   in Loop: Header=BB216_800 Depth=1
	s_or_b64 exec, exec, s[20:21]
.LBB216_1196:                           ;   in Loop: Header=BB216_800 Depth=1
	s_or_b64 exec, exec, s[10:11]
	v_cmp_ne_u16_sdwa s[20:21], v16, v6 src0_sel:BYTE_1 src1_sel:DWORD
	s_and_saveexec_b64 s[10:11], s[20:21]
	s_cbranch_execz .LBB216_1202
; %bb.1197:                             ;   in Loop: Header=BB216_800 Depth=1
	v_mov_b32_e32 v20, v7
	v_cmp_ne_u16_sdwa s[22:23], v16, s24 src0_sel:BYTE_1 src1_sel:DWORD
	v_mov_b32_e32 v19, v6
	s_and_saveexec_b64 s[20:21], s[22:23]
	s_cbranch_execz .LBB216_1201
; %bb.1198:                             ;   in Loop: Header=BB216_800 Depth=1
	v_and_b32_sdwa v4, v16, s25 dst_sel:DWORD dst_unused:UNUSED_PAD src0_sel:BYTE_1 src1_sel:DWORD
	v_mov_b32_e32 v8, v6
	v_mov_b32_e32 v20, v9
	v_cmp_ne_u32_e32 vcc, s25, v4
	v_mov_b32_e32 v19, v8
	s_and_saveexec_b64 s[22:23], vcc
	s_cbranch_execz .LBB216_1200
; %bb.1199:                             ;   in Loop: Header=BB216_800 Depth=1
	v_mov_b32_e32 v8, 7
	v_and_b32_sdwa v19, v16, v8 dst_sel:DWORD dst_unused:UNUSED_PAD src0_sel:BYTE_1 src1_sel:DWORD
	v_lshrrev_b32_e32 v8, 3, v4
	v_cmp_gt_u32_e32 vcc, 8, v4
	v_ffbh_u32_e32 v4, v19
	v_min_u32_e32 v4, 32, v4
	v_mov_b32_e32 v20, v6
	v_subrev_u32_e32 v21, 28, v4
	v_lshlrev_b64 v[20:21], v21, v[19:20]
	v_sub_u32_e32 v4, 29, v4
	v_and_b32_e32 v20, 7, v20
	v_cndmask_b32_e32 v4, v8, v4, vcc
	v_cndmask_b32_e32 v8, v19, v20, vcc
	v_bfrev_b32_e32 v20, 60
	v_lshlrev_b32_e32 v19, 16, v16
	v_lshl_add_u32 v4, v4, 23, v20
	v_and_or_b32 v4, v19, s26, v4
	v_lshlrev_b32_e32 v8, 20, v8
	v_or_b32_e32 v20, v4, v8
	v_mov_b32_e32 v19, v6
.LBB216_1200:                           ;   in Loop: Header=BB216_800 Depth=1
	s_or_b64 exec, exec, s[22:23]
.LBB216_1201:                           ;   in Loop: Header=BB216_800 Depth=1
	s_or_b64 exec, exec, s[20:21]
.LBB216_1202:                           ;   in Loop: Header=BB216_800 Depth=1
	s_or_b64 exec, exec, s[10:11]
	v_lshrrev_b32_e32 v8, 16, v16
	v_mov_b32_e32 v23, 0
	v_mov_b32_e32 v21, 0
	v_mov_b32_e32 v24, 0
	v_mov_b32_e32 v22, 0
	v_cmp_ne_u16_sdwa s[20:21], v8, v6 src0_sel:BYTE_0 src1_sel:DWORD
	s_and_saveexec_b64 s[10:11], s[20:21]
	s_cbranch_execz .LBB216_1208
; %bb.1203:                             ;   in Loop: Header=BB216_800 Depth=1
	v_bfrev_b32_e32 v21, 1
	v_mov_b32_e32 v22, 0
	v_cmp_ne_u16_sdwa s[22:23], v8, s24 src0_sel:BYTE_0 src1_sel:DWORD
	s_and_saveexec_b64 s[20:21], s[22:23]
	s_cbranch_execz .LBB216_1207
; %bb.1204:                             ;   in Loop: Header=BB216_800 Depth=1
	v_bfe_u32 v4, v16, 16, 7
	v_mov_b32_e32 v21, 0x7f800001
	v_mov_b32_e32 v22, 0
	v_cmp_ne_u32_e32 vcc, s25, v4
	s_and_saveexec_b64 s[22:23], vcc
	s_cbranch_execz .LBB216_1206
; %bb.1205:                             ;   in Loop: Header=BB216_800 Depth=1
	v_and_b32_e32 v25, 7, v8
	v_lshrrev_b32_e32 v27, 3, v4
	v_cmp_gt_u32_e32 vcc, 8, v4
	v_ffbh_u32_e32 v4, v25
	v_min_u32_e32 v4, 32, v4
	v_subrev_u32_e32 v21, 28, v4
	v_lshlrev_b64 v[21:22], v21, v[8:9]
	v_sub_u32_e32 v4, 29, v4
	v_and_b32_e32 v21, 7, v21
	v_cndmask_b32_e32 v4, v27, v4, vcc
	v_cndmask_b32_e32 v21, v25, v21, vcc
	v_bfrev_b32_e32 v22, 60
	v_lshlrev_b32_e32 v21, 20, v21
	v_and_b32_sdwa v8, sext(v8), s26 dst_sel:DWORD dst_unused:UNUSED_PAD src0_sel:BYTE_0 src1_sel:DWORD
	v_lshl_add_u32 v4, v4, 23, v22
	v_or3_b32 v21, v8, v4, v21
	v_mov_b32_e32 v22, v6
.LBB216_1206:                           ;   in Loop: Header=BB216_800 Depth=1
	s_or_b64 exec, exec, s[22:23]
.LBB216_1207:                           ;   in Loop: Header=BB216_800 Depth=1
	s_or_b64 exec, exec, s[20:21]
.LBB216_1208:                           ;   in Loop: Header=BB216_800 Depth=1
	s_or_b64 exec, exec, s[10:11]
	v_cmp_lt_u32_e32 vcc, s27, v16
	s_and_saveexec_b64 s[10:11], vcc
	s_cbranch_execz .LBB216_1214
; %bb.1209:                             ;   in Loop: Header=BB216_800 Depth=1
	v_mov_b32_e32 v24, v7
	v_cmp_ne_u32_sdwa s[22:23], v16, s24 src0_sel:BYTE_3 src1_sel:DWORD
	v_mov_b32_e32 v23, v6
	s_and_saveexec_b64 s[20:21], s[22:23]
	s_cbranch_execz .LBB216_1213
; %bb.1210:                             ;   in Loop: Header=BB216_800 Depth=1
	v_bfe_u32 v4, v16, 24, 7
	v_mov_b32_e32 v8, v6
	v_mov_b32_e32 v24, v9
	v_cmp_ne_u32_e32 vcc, s25, v4
	v_mov_b32_e32 v23, v8
	s_and_saveexec_b64 s[22:23], vcc
	s_cbranch_execz .LBB216_1212
; %bb.1211:                             ;   in Loop: Header=BB216_800 Depth=1
	v_mov_b32_e32 v8, 7
	v_and_b32_sdwa v23, v16, v8 dst_sel:DWORD dst_unused:UNUSED_PAD src0_sel:BYTE_3 src1_sel:DWORD
	v_lshrrev_b32_e32 v8, 3, v4
	v_cmp_gt_u32_e32 vcc, 8, v4
	v_ffbh_u32_e32 v4, v23
	v_min_u32_e32 v4, 32, v4
	v_mov_b32_e32 v24, v6
	v_subrev_u32_e32 v25, 28, v4
	v_lshlrev_b64 v[24:25], v25, v[23:24]
	v_sub_u32_e32 v4, 29, v4
	v_and_b32_e32 v24, 7, v24
	v_cndmask_b32_e32 v4, v8, v4, vcc
	v_cndmask_b32_e32 v8, v23, v24, vcc
	v_mov_b32_e32 v23, 24
	v_lshlrev_b32_sdwa v16, v23, v16 dst_sel:DWORD dst_unused:UNUSED_PAD src0_sel:DWORD src1_sel:BYTE_3
	v_bfrev_b32_e32 v23, 60
	v_lshl_add_u32 v4, v4, 23, v23
	v_and_or_b32 v4, v16, s26, v4
	v_lshlrev_b32_e32 v8, 20, v8
	v_or_b32_e32 v24, v4, v8
	v_mov_b32_e32 v23, v6
.LBB216_1212:                           ;   in Loop: Header=BB216_800 Depth=1
	s_or_b64 exec, exec, s[22:23]
.LBB216_1213:                           ;   in Loop: Header=BB216_800 Depth=1
	s_or_b64 exec, exec, s[20:21]
.LBB216_1214:                           ;   in Loop: Header=BB216_800 Depth=1
	s_or_b64 exec, exec, s[10:11]
	v_or_b32_e32 v4, v20, v18
	v_or_b32_e32 v8, v19, v17
	v_mul_f32_e32 v4, v63, v4
	buffer_store_dword v4, off, s[0:3], s32 offset:564 ; 4-byte Folded Spill
	v_mul_f32_e32 v4, v26, v8
	buffer_store_dword v4, off, s[0:3], s32 offset:548 ; 4-byte Folded Spill
	v_or_b32_e32 v4, v24, v22
	v_or_b32_e32 v8, v23, v21
	v_mul_f32_e32 v8, v26, v8
	v_mul_f32_e32 v4, v63, v4
	buffer_store_dword v8, off, s[0:3], s32 offset:556 ; 4-byte Folded Spill
	buffer_store_dword v4, off, s[0:3], s32 offset:540 ; 4-byte Folded Spill
	s_and_saveexec_b64 s[10:11], s[4:5]
	s_cbranch_execz .LBB216_1216
; %bb.1215:                             ;   in Loop: Header=BB216_800 Depth=1
	buffer_load_dword v4, off, s[0:3], s32 offset:72 ; 4-byte Folded Reload
	v_add_u32_e32 v8, -3, v5
	s_waitcnt vmcnt(0)
	v_cmp_lt_i32_e32 vcc, v8, v4
	buffer_load_dword v8, off, s[0:3], s32 offset:548 ; 4-byte Folded Reload
	s_waitcnt vmcnt(0)
	v_cndmask_b32_e32 v8, 0, v8, vcc
	buffer_store_dword v8, off, s[0:3], s32 offset:548 ; 4-byte Folded Spill
	v_add_u32_e32 v8, -2, v5
	v_cmp_lt_i32_e32 vcc, v8, v4
	buffer_load_dword v8, off, s[0:3], s32 offset:564 ; 4-byte Folded Reload
	s_waitcnt vmcnt(0)
	v_cndmask_b32_e32 v8, 0, v8, vcc
	buffer_store_dword v8, off, s[0:3], s32 offset:564 ; 4-byte Folded Spill
	v_add_u32_e32 v8, -1, v5
	v_cmp_lt_i32_e32 vcc, v8, v4
	buffer_load_dword v8, off, s[0:3], s32 offset:556 ; 4-byte Folded Reload
	s_waitcnt vmcnt(0)
	v_cndmask_b32_e32 v8, 0, v8, vcc
	v_cmp_lt_i32_e32 vcc, v5, v4
	buffer_load_dword v4, off, s[0:3], s32 offset:540 ; 4-byte Folded Reload
	s_waitcnt vmcnt(0)
	v_cndmask_b32_e32 v4, 0, v4, vcc
	buffer_store_dword v8, off, s[0:3], s32 offset:556 ; 4-byte Folded Spill
	buffer_store_dword v4, off, s[0:3], s32 offset:540 ; 4-byte Folded Spill
.LBB216_1216:                           ;   in Loop: Header=BB216_800 Depth=1
	s_or_b64 exec, exec, s[10:11]
	v_add_co_u32_e32 v16, vcc, 0x1000, v14
	v_addc_co_u32_e32 v17, vcc, 0, v15, vcc
	flat_load_dword v16, v[16:17]
	v_mov_b32_e32 v19, 0
	v_mov_b32_e32 v17, 0
	;; [unrolled: 1-line block ×4, first 2 shown]
	s_waitcnt vmcnt(0) lgkmcnt(0)
	v_cmp_ne_u16_sdwa s[20:21], v16, v6 src0_sel:BYTE_0 src1_sel:DWORD
	s_and_saveexec_b64 s[10:11], s[20:21]
	s_cbranch_execz .LBB216_1222
; %bb.1217:                             ;   in Loop: Header=BB216_800 Depth=1
	v_bfrev_b32_e32 v17, 1
	v_mov_b32_e32 v18, 0
	v_cmp_ne_u16_sdwa s[22:23], v16, s24 src0_sel:BYTE_0 src1_sel:DWORD
	s_and_saveexec_b64 s[20:21], s[22:23]
	s_cbranch_execz .LBB216_1221
; %bb.1218:                             ;   in Loop: Header=BB216_800 Depth=1
	v_and_b32_e32 v4, 0x7f, v16
	v_mov_b32_e32 v17, 0x7f800001
	v_mov_b32_e32 v18, 0
	v_cmp_ne_u32_e32 vcc, s25, v4
	s_and_saveexec_b64 s[22:23], vcc
	s_cbranch_execz .LBB216_1220
; %bb.1219:                             ;   in Loop: Header=BB216_800 Depth=1
	v_and_b32_e32 v8, 7, v16
	v_lshrrev_b32_e32 v21, 3, v4
	v_cmp_gt_u32_e32 vcc, 8, v4
	v_ffbh_u32_e32 v4, v8
	v_min_u32_e32 v4, 32, v4
	v_subrev_u32_e32 v17, 28, v4
	v_lshlrev_b64 v[17:18], v17, v[16:17]
	v_sub_u32_e32 v4, 29, v4
	v_and_b32_e32 v17, 7, v17
	v_cndmask_b32_e32 v4, v21, v4, vcc
	v_cndmask_b32_e32 v8, v8, v17, vcc
	v_bfrev_b32_e32 v18, 60
	v_lshlrev_b32_e32 v8, 20, v8
	v_and_b32_sdwa v17, sext(v16), s26 dst_sel:DWORD dst_unused:UNUSED_PAD src0_sel:BYTE_0 src1_sel:DWORD
	v_lshl_add_u32 v4, v4, 23, v18
	v_or3_b32 v17, v17, v4, v8
	v_mov_b32_e32 v18, v6
.LBB216_1220:                           ;   in Loop: Header=BB216_800 Depth=1
	s_or_b64 exec, exec, s[22:23]
.LBB216_1221:                           ;   in Loop: Header=BB216_800 Depth=1
	s_or_b64 exec, exec, s[20:21]
.LBB216_1222:                           ;   in Loop: Header=BB216_800 Depth=1
	s_or_b64 exec, exec, s[10:11]
	v_cmp_ne_u16_sdwa s[20:21], v16, v6 src0_sel:BYTE_1 src1_sel:DWORD
	s_and_saveexec_b64 s[10:11], s[20:21]
	s_cbranch_execz .LBB216_1228
; %bb.1223:                             ;   in Loop: Header=BB216_800 Depth=1
	v_mov_b32_e32 v20, v7
	v_cmp_ne_u16_sdwa s[22:23], v16, s24 src0_sel:BYTE_1 src1_sel:DWORD
	v_mov_b32_e32 v19, v6
	s_and_saveexec_b64 s[20:21], s[22:23]
	s_cbranch_execz .LBB216_1227
; %bb.1224:                             ;   in Loop: Header=BB216_800 Depth=1
	v_and_b32_sdwa v4, v16, s25 dst_sel:DWORD dst_unused:UNUSED_PAD src0_sel:BYTE_1 src1_sel:DWORD
	v_mov_b32_e32 v8, v6
	v_mov_b32_e32 v20, v9
	v_cmp_ne_u32_e32 vcc, s25, v4
	v_mov_b32_e32 v19, v8
	s_and_saveexec_b64 s[22:23], vcc
	s_cbranch_execz .LBB216_1226
; %bb.1225:                             ;   in Loop: Header=BB216_800 Depth=1
	v_mov_b32_e32 v8, 7
	v_and_b32_sdwa v19, v16, v8 dst_sel:DWORD dst_unused:UNUSED_PAD src0_sel:BYTE_1 src1_sel:DWORD
	v_lshrrev_b32_e32 v8, 3, v4
	v_cmp_gt_u32_e32 vcc, 8, v4
	v_ffbh_u32_e32 v4, v19
	v_min_u32_e32 v4, 32, v4
	v_mov_b32_e32 v20, v6
	v_subrev_u32_e32 v21, 28, v4
	v_lshlrev_b64 v[20:21], v21, v[19:20]
	v_sub_u32_e32 v4, 29, v4
	v_and_b32_e32 v20, 7, v20
	v_cndmask_b32_e32 v4, v8, v4, vcc
	v_cndmask_b32_e32 v8, v19, v20, vcc
	v_bfrev_b32_e32 v20, 60
	v_lshlrev_b32_e32 v19, 16, v16
	v_lshl_add_u32 v4, v4, 23, v20
	v_and_or_b32 v4, v19, s26, v4
	v_lshlrev_b32_e32 v8, 20, v8
	v_or_b32_e32 v20, v4, v8
	v_mov_b32_e32 v19, v6
.LBB216_1226:                           ;   in Loop: Header=BB216_800 Depth=1
	s_or_b64 exec, exec, s[22:23]
.LBB216_1227:                           ;   in Loop: Header=BB216_800 Depth=1
	s_or_b64 exec, exec, s[20:21]
.LBB216_1228:                           ;   in Loop: Header=BB216_800 Depth=1
	s_or_b64 exec, exec, s[10:11]
	v_lshrrev_b32_e32 v8, 16, v16
	v_mov_b32_e32 v23, 0
	v_mov_b32_e32 v21, 0
	;; [unrolled: 1-line block ×4, first 2 shown]
	v_cmp_ne_u16_sdwa s[20:21], v8, v6 src0_sel:BYTE_0 src1_sel:DWORD
	s_and_saveexec_b64 s[10:11], s[20:21]
	s_cbranch_execz .LBB216_1234
; %bb.1229:                             ;   in Loop: Header=BB216_800 Depth=1
	v_bfrev_b32_e32 v21, 1
	v_mov_b32_e32 v22, 0
	v_cmp_ne_u16_sdwa s[22:23], v8, s24 src0_sel:BYTE_0 src1_sel:DWORD
	s_and_saveexec_b64 s[20:21], s[22:23]
	s_cbranch_execz .LBB216_1233
; %bb.1230:                             ;   in Loop: Header=BB216_800 Depth=1
	v_bfe_u32 v4, v16, 16, 7
	v_mov_b32_e32 v21, 0x7f800001
	v_mov_b32_e32 v22, 0
	v_cmp_ne_u32_e32 vcc, s25, v4
	s_and_saveexec_b64 s[22:23], vcc
	s_cbranch_execz .LBB216_1232
; %bb.1231:                             ;   in Loop: Header=BB216_800 Depth=1
	v_and_b32_e32 v25, 7, v8
	v_lshrrev_b32_e32 v27, 3, v4
	v_cmp_gt_u32_e32 vcc, 8, v4
	v_ffbh_u32_e32 v4, v25
	v_min_u32_e32 v4, 32, v4
	v_subrev_u32_e32 v21, 28, v4
	v_lshlrev_b64 v[21:22], v21, v[8:9]
	v_sub_u32_e32 v4, 29, v4
	v_and_b32_e32 v21, 7, v21
	v_cndmask_b32_e32 v4, v27, v4, vcc
	v_cndmask_b32_e32 v21, v25, v21, vcc
	v_bfrev_b32_e32 v22, 60
	v_lshlrev_b32_e32 v21, 20, v21
	v_and_b32_sdwa v8, sext(v8), s26 dst_sel:DWORD dst_unused:UNUSED_PAD src0_sel:BYTE_0 src1_sel:DWORD
	v_lshl_add_u32 v4, v4, 23, v22
	v_or3_b32 v21, v8, v4, v21
	v_mov_b32_e32 v22, v6
.LBB216_1232:                           ;   in Loop: Header=BB216_800 Depth=1
	s_or_b64 exec, exec, s[22:23]
.LBB216_1233:                           ;   in Loop: Header=BB216_800 Depth=1
	s_or_b64 exec, exec, s[20:21]
.LBB216_1234:                           ;   in Loop: Header=BB216_800 Depth=1
	s_or_b64 exec, exec, s[10:11]
	v_cmp_lt_u32_e32 vcc, s27, v16
	s_and_saveexec_b64 s[10:11], vcc
	s_cbranch_execz .LBB216_1240
; %bb.1235:                             ;   in Loop: Header=BB216_800 Depth=1
	v_mov_b32_e32 v24, v7
	v_cmp_ne_u32_sdwa s[22:23], v16, s24 src0_sel:BYTE_3 src1_sel:DWORD
	v_mov_b32_e32 v23, v6
	s_and_saveexec_b64 s[20:21], s[22:23]
	s_cbranch_execz .LBB216_1239
; %bb.1236:                             ;   in Loop: Header=BB216_800 Depth=1
	v_bfe_u32 v4, v16, 24, 7
	v_mov_b32_e32 v8, v6
	v_mov_b32_e32 v24, v9
	v_cmp_ne_u32_e32 vcc, s25, v4
	v_mov_b32_e32 v23, v8
	s_and_saveexec_b64 s[22:23], vcc
	s_cbranch_execz .LBB216_1238
; %bb.1237:                             ;   in Loop: Header=BB216_800 Depth=1
	v_mov_b32_e32 v8, 7
	v_and_b32_sdwa v23, v16, v8 dst_sel:DWORD dst_unused:UNUSED_PAD src0_sel:BYTE_3 src1_sel:DWORD
	v_lshrrev_b32_e32 v8, 3, v4
	v_cmp_gt_u32_e32 vcc, 8, v4
	v_ffbh_u32_e32 v4, v23
	v_min_u32_e32 v4, 32, v4
	v_mov_b32_e32 v24, v6
	v_subrev_u32_e32 v25, 28, v4
	v_lshlrev_b64 v[24:25], v25, v[23:24]
	v_sub_u32_e32 v4, 29, v4
	v_and_b32_e32 v24, 7, v24
	v_cndmask_b32_e32 v4, v8, v4, vcc
	v_cndmask_b32_e32 v8, v23, v24, vcc
	v_mov_b32_e32 v23, 24
	v_lshlrev_b32_sdwa v16, v23, v16 dst_sel:DWORD dst_unused:UNUSED_PAD src0_sel:DWORD src1_sel:BYTE_3
	v_bfrev_b32_e32 v23, 60
	v_lshl_add_u32 v4, v4, 23, v23
	v_and_or_b32 v4, v16, s26, v4
	v_lshlrev_b32_e32 v8, 20, v8
	v_or_b32_e32 v24, v4, v8
	v_mov_b32_e32 v23, v6
.LBB216_1238:                           ;   in Loop: Header=BB216_800 Depth=1
	s_or_b64 exec, exec, s[22:23]
.LBB216_1239:                           ;   in Loop: Header=BB216_800 Depth=1
	s_or_b64 exec, exec, s[20:21]
.LBB216_1240:                           ;   in Loop: Header=BB216_800 Depth=1
	s_or_b64 exec, exec, s[10:11]
	v_or_b32_e32 v4, v20, v18
	v_or_b32_e32 v8, v19, v17
	v_mul_f32_e32 v4, v63, v4
	buffer_store_dword v4, off, s[0:3], s32 offset:596 ; 4-byte Folded Spill
	v_mul_f32_e32 v4, v26, v8
	buffer_store_dword v4, off, s[0:3], s32 offset:580 ; 4-byte Folded Spill
	v_or_b32_e32 v4, v24, v22
	v_or_b32_e32 v8, v23, v21
	v_mul_f32_e32 v8, v26, v8
	v_mul_f32_e32 v4, v63, v4
	buffer_store_dword v8, off, s[0:3], s32 offset:588 ; 4-byte Folded Spill
	buffer_store_dword v4, off, s[0:3], s32 offset:572 ; 4-byte Folded Spill
	s_and_saveexec_b64 s[10:11], s[4:5]
	s_cbranch_execz .LBB216_1242
; %bb.1241:                             ;   in Loop: Header=BB216_800 Depth=1
	buffer_load_dword v4, off, s[0:3], s32 offset:72 ; 4-byte Folded Reload
	v_add_u32_e32 v8, -3, v5
	s_waitcnt vmcnt(0)
	v_cmp_lt_i32_e32 vcc, v8, v4
	buffer_load_dword v8, off, s[0:3], s32 offset:580 ; 4-byte Folded Reload
	s_waitcnt vmcnt(0)
	v_cndmask_b32_e32 v8, 0, v8, vcc
	buffer_store_dword v8, off, s[0:3], s32 offset:580 ; 4-byte Folded Spill
	v_add_u32_e32 v8, -2, v5
	v_cmp_lt_i32_e32 vcc, v8, v4
	buffer_load_dword v8, off, s[0:3], s32 offset:596 ; 4-byte Folded Reload
	s_waitcnt vmcnt(0)
	v_cndmask_b32_e32 v8, 0, v8, vcc
	buffer_store_dword v8, off, s[0:3], s32 offset:596 ; 4-byte Folded Spill
	v_add_u32_e32 v8, -1, v5
	v_cmp_lt_i32_e32 vcc, v8, v4
	buffer_load_dword v8, off, s[0:3], s32 offset:588 ; 4-byte Folded Reload
	s_waitcnt vmcnt(0)
	v_cndmask_b32_e32 v8, 0, v8, vcc
	v_cmp_lt_i32_e32 vcc, v5, v4
	buffer_load_dword v4, off, s[0:3], s32 offset:572 ; 4-byte Folded Reload
	s_waitcnt vmcnt(0)
	v_cndmask_b32_e32 v4, 0, v4, vcc
	buffer_store_dword v8, off, s[0:3], s32 offset:588 ; 4-byte Folded Spill
	buffer_store_dword v4, off, s[0:3], s32 offset:572 ; 4-byte Folded Spill
.LBB216_1242:                           ;   in Loop: Header=BB216_800 Depth=1
	s_or_b64 exec, exec, s[10:11]
	v_add_co_u32_e32 v16, vcc, 0x1000, v14
	v_addc_co_u32_e32 v17, vcc, 0, v15, vcc
	flat_load_dword v16, v[16:17] offset:256
	v_mov_b32_e32 v19, 0
	v_mov_b32_e32 v17, 0
	;; [unrolled: 1-line block ×4, first 2 shown]
	s_waitcnt vmcnt(0) lgkmcnt(0)
	v_cmp_ne_u16_sdwa s[20:21], v16, v6 src0_sel:BYTE_0 src1_sel:DWORD
	s_and_saveexec_b64 s[10:11], s[20:21]
	s_cbranch_execz .LBB216_1248
; %bb.1243:                             ;   in Loop: Header=BB216_800 Depth=1
	v_bfrev_b32_e32 v17, 1
	v_mov_b32_e32 v18, 0
	v_cmp_ne_u16_sdwa s[22:23], v16, s24 src0_sel:BYTE_0 src1_sel:DWORD
	s_and_saveexec_b64 s[20:21], s[22:23]
	s_cbranch_execz .LBB216_1247
; %bb.1244:                             ;   in Loop: Header=BB216_800 Depth=1
	v_and_b32_e32 v4, 0x7f, v16
	v_mov_b32_e32 v17, 0x7f800001
	v_mov_b32_e32 v18, 0
	v_cmp_ne_u32_e32 vcc, s25, v4
	s_and_saveexec_b64 s[22:23], vcc
	s_cbranch_execz .LBB216_1246
; %bb.1245:                             ;   in Loop: Header=BB216_800 Depth=1
	v_and_b32_e32 v8, 7, v16
	v_lshrrev_b32_e32 v21, 3, v4
	v_cmp_gt_u32_e32 vcc, 8, v4
	v_ffbh_u32_e32 v4, v8
	v_min_u32_e32 v4, 32, v4
	v_subrev_u32_e32 v17, 28, v4
	v_lshlrev_b64 v[17:18], v17, v[16:17]
	v_sub_u32_e32 v4, 29, v4
	v_and_b32_e32 v17, 7, v17
	v_cndmask_b32_e32 v4, v21, v4, vcc
	v_cndmask_b32_e32 v8, v8, v17, vcc
	v_bfrev_b32_e32 v18, 60
	v_lshlrev_b32_e32 v8, 20, v8
	v_and_b32_sdwa v17, sext(v16), s26 dst_sel:DWORD dst_unused:UNUSED_PAD src0_sel:BYTE_0 src1_sel:DWORD
	v_lshl_add_u32 v4, v4, 23, v18
	v_or3_b32 v17, v17, v4, v8
	v_mov_b32_e32 v18, v6
.LBB216_1246:                           ;   in Loop: Header=BB216_800 Depth=1
	s_or_b64 exec, exec, s[22:23]
.LBB216_1247:                           ;   in Loop: Header=BB216_800 Depth=1
	s_or_b64 exec, exec, s[20:21]
.LBB216_1248:                           ;   in Loop: Header=BB216_800 Depth=1
	s_or_b64 exec, exec, s[10:11]
	v_cmp_ne_u16_sdwa s[20:21], v16, v6 src0_sel:BYTE_1 src1_sel:DWORD
	s_and_saveexec_b64 s[10:11], s[20:21]
	s_cbranch_execz .LBB216_1254
; %bb.1249:                             ;   in Loop: Header=BB216_800 Depth=1
	v_mov_b32_e32 v20, v7
	v_cmp_ne_u16_sdwa s[22:23], v16, s24 src0_sel:BYTE_1 src1_sel:DWORD
	v_mov_b32_e32 v19, v6
	s_and_saveexec_b64 s[20:21], s[22:23]
	s_cbranch_execz .LBB216_1253
; %bb.1250:                             ;   in Loop: Header=BB216_800 Depth=1
	v_and_b32_sdwa v4, v16, s25 dst_sel:DWORD dst_unused:UNUSED_PAD src0_sel:BYTE_1 src1_sel:DWORD
	v_mov_b32_e32 v8, v6
	v_mov_b32_e32 v20, v9
	v_cmp_ne_u32_e32 vcc, s25, v4
	v_mov_b32_e32 v19, v8
	s_and_saveexec_b64 s[22:23], vcc
	s_cbranch_execz .LBB216_1252
; %bb.1251:                             ;   in Loop: Header=BB216_800 Depth=1
	v_mov_b32_e32 v8, 7
	v_and_b32_sdwa v19, v16, v8 dst_sel:DWORD dst_unused:UNUSED_PAD src0_sel:BYTE_1 src1_sel:DWORD
	v_lshrrev_b32_e32 v8, 3, v4
	v_cmp_gt_u32_e32 vcc, 8, v4
	v_ffbh_u32_e32 v4, v19
	v_min_u32_e32 v4, 32, v4
	v_mov_b32_e32 v20, v6
	v_subrev_u32_e32 v21, 28, v4
	v_lshlrev_b64 v[20:21], v21, v[19:20]
	v_sub_u32_e32 v4, 29, v4
	v_and_b32_e32 v20, 7, v20
	v_cndmask_b32_e32 v4, v8, v4, vcc
	v_cndmask_b32_e32 v8, v19, v20, vcc
	v_bfrev_b32_e32 v20, 60
	v_lshlrev_b32_e32 v19, 16, v16
	v_lshl_add_u32 v4, v4, 23, v20
	v_and_or_b32 v4, v19, s26, v4
	v_lshlrev_b32_e32 v8, 20, v8
	v_or_b32_e32 v20, v4, v8
	v_mov_b32_e32 v19, v6
.LBB216_1252:                           ;   in Loop: Header=BB216_800 Depth=1
	s_or_b64 exec, exec, s[22:23]
.LBB216_1253:                           ;   in Loop: Header=BB216_800 Depth=1
	s_or_b64 exec, exec, s[20:21]
.LBB216_1254:                           ;   in Loop: Header=BB216_800 Depth=1
	s_or_b64 exec, exec, s[10:11]
	v_lshrrev_b32_e32 v8, 16, v16
	v_mov_b32_e32 v23, 0
	v_mov_b32_e32 v21, 0
	;; [unrolled: 1-line block ×4, first 2 shown]
	v_cmp_ne_u16_sdwa s[20:21], v8, v6 src0_sel:BYTE_0 src1_sel:DWORD
	s_and_saveexec_b64 s[10:11], s[20:21]
	s_cbranch_execz .LBB216_1260
; %bb.1255:                             ;   in Loop: Header=BB216_800 Depth=1
	v_bfrev_b32_e32 v21, 1
	v_mov_b32_e32 v22, 0
	v_cmp_ne_u16_sdwa s[22:23], v8, s24 src0_sel:BYTE_0 src1_sel:DWORD
	s_and_saveexec_b64 s[20:21], s[22:23]
	s_cbranch_execz .LBB216_1259
; %bb.1256:                             ;   in Loop: Header=BB216_800 Depth=1
	v_bfe_u32 v4, v16, 16, 7
	v_mov_b32_e32 v21, 0x7f800001
	v_mov_b32_e32 v22, 0
	v_cmp_ne_u32_e32 vcc, s25, v4
	s_and_saveexec_b64 s[22:23], vcc
	s_cbranch_execz .LBB216_1258
; %bb.1257:                             ;   in Loop: Header=BB216_800 Depth=1
	v_and_b32_e32 v25, 7, v8
	v_lshrrev_b32_e32 v27, 3, v4
	v_cmp_gt_u32_e32 vcc, 8, v4
	v_ffbh_u32_e32 v4, v25
	v_min_u32_e32 v4, 32, v4
	v_subrev_u32_e32 v21, 28, v4
	v_lshlrev_b64 v[21:22], v21, v[8:9]
	v_sub_u32_e32 v4, 29, v4
	v_and_b32_e32 v21, 7, v21
	v_cndmask_b32_e32 v4, v27, v4, vcc
	v_cndmask_b32_e32 v21, v25, v21, vcc
	v_bfrev_b32_e32 v22, 60
	v_lshlrev_b32_e32 v21, 20, v21
	v_and_b32_sdwa v8, sext(v8), s26 dst_sel:DWORD dst_unused:UNUSED_PAD src0_sel:BYTE_0 src1_sel:DWORD
	v_lshl_add_u32 v4, v4, 23, v22
	v_or3_b32 v21, v8, v4, v21
	v_mov_b32_e32 v22, v6
.LBB216_1258:                           ;   in Loop: Header=BB216_800 Depth=1
	s_or_b64 exec, exec, s[22:23]
.LBB216_1259:                           ;   in Loop: Header=BB216_800 Depth=1
	s_or_b64 exec, exec, s[20:21]
.LBB216_1260:                           ;   in Loop: Header=BB216_800 Depth=1
	s_or_b64 exec, exec, s[10:11]
	v_cmp_lt_u32_e32 vcc, s27, v16
	s_and_saveexec_b64 s[10:11], vcc
	s_cbranch_execz .LBB216_1266
; %bb.1261:                             ;   in Loop: Header=BB216_800 Depth=1
	v_mov_b32_e32 v24, v7
	v_cmp_ne_u32_sdwa s[22:23], v16, s24 src0_sel:BYTE_3 src1_sel:DWORD
	v_mov_b32_e32 v23, v6
	s_and_saveexec_b64 s[20:21], s[22:23]
	s_cbranch_execz .LBB216_1265
; %bb.1262:                             ;   in Loop: Header=BB216_800 Depth=1
	v_bfe_u32 v4, v16, 24, 7
	v_mov_b32_e32 v8, v6
	v_mov_b32_e32 v24, v9
	v_cmp_ne_u32_e32 vcc, s25, v4
	v_mov_b32_e32 v23, v8
	s_and_saveexec_b64 s[22:23], vcc
	s_cbranch_execz .LBB216_1264
; %bb.1263:                             ;   in Loop: Header=BB216_800 Depth=1
	v_mov_b32_e32 v8, 7
	v_and_b32_sdwa v23, v16, v8 dst_sel:DWORD dst_unused:UNUSED_PAD src0_sel:BYTE_3 src1_sel:DWORD
	v_lshrrev_b32_e32 v8, 3, v4
	v_cmp_gt_u32_e32 vcc, 8, v4
	v_ffbh_u32_e32 v4, v23
	v_min_u32_e32 v4, 32, v4
	v_mov_b32_e32 v24, v6
	v_subrev_u32_e32 v25, 28, v4
	v_lshlrev_b64 v[24:25], v25, v[23:24]
	v_sub_u32_e32 v4, 29, v4
	v_and_b32_e32 v24, 7, v24
	v_cndmask_b32_e32 v4, v8, v4, vcc
	v_cndmask_b32_e32 v8, v23, v24, vcc
	v_mov_b32_e32 v23, 24
	v_lshlrev_b32_sdwa v16, v23, v16 dst_sel:DWORD dst_unused:UNUSED_PAD src0_sel:DWORD src1_sel:BYTE_3
	v_bfrev_b32_e32 v23, 60
	v_lshl_add_u32 v4, v4, 23, v23
	v_and_or_b32 v4, v16, s26, v4
	v_lshlrev_b32_e32 v8, 20, v8
	v_or_b32_e32 v24, v4, v8
	v_mov_b32_e32 v23, v6
.LBB216_1264:                           ;   in Loop: Header=BB216_800 Depth=1
	s_or_b64 exec, exec, s[22:23]
.LBB216_1265:                           ;   in Loop: Header=BB216_800 Depth=1
	s_or_b64 exec, exec, s[20:21]
.LBB216_1266:                           ;   in Loop: Header=BB216_800 Depth=1
	s_or_b64 exec, exec, s[10:11]
	v_or_b32_e32 v4, v20, v18
	v_or_b32_e32 v8, v19, v17
	v_mul_f32_e32 v4, v63, v4
	buffer_store_dword v4, off, s[0:3], s32 offset:628 ; 4-byte Folded Spill
	v_mul_f32_e32 v4, v26, v8
	buffer_store_dword v4, off, s[0:3], s32 offset:612 ; 4-byte Folded Spill
	v_or_b32_e32 v4, v24, v22
	v_or_b32_e32 v8, v23, v21
	v_mul_f32_e32 v8, v26, v8
	v_mul_f32_e32 v4, v63, v4
	buffer_store_dword v8, off, s[0:3], s32 offset:620 ; 4-byte Folded Spill
	buffer_store_dword v4, off, s[0:3], s32 offset:604 ; 4-byte Folded Spill
	s_and_saveexec_b64 s[10:11], s[4:5]
	s_cbranch_execz .LBB216_1268
; %bb.1267:                             ;   in Loop: Header=BB216_800 Depth=1
	buffer_load_dword v4, off, s[0:3], s32 offset:72 ; 4-byte Folded Reload
	v_add_u32_e32 v8, -3, v5
	s_waitcnt vmcnt(0)
	v_cmp_lt_i32_e32 vcc, v8, v4
	buffer_load_dword v8, off, s[0:3], s32 offset:612 ; 4-byte Folded Reload
	s_waitcnt vmcnt(0)
	v_cndmask_b32_e32 v8, 0, v8, vcc
	buffer_store_dword v8, off, s[0:3], s32 offset:612 ; 4-byte Folded Spill
	v_add_u32_e32 v8, -2, v5
	v_cmp_lt_i32_e32 vcc, v8, v4
	buffer_load_dword v8, off, s[0:3], s32 offset:628 ; 4-byte Folded Reload
	s_waitcnt vmcnt(0)
	v_cndmask_b32_e32 v8, 0, v8, vcc
	buffer_store_dword v8, off, s[0:3], s32 offset:628 ; 4-byte Folded Spill
	v_add_u32_e32 v8, -1, v5
	v_cmp_lt_i32_e32 vcc, v8, v4
	buffer_load_dword v8, off, s[0:3], s32 offset:620 ; 4-byte Folded Reload
	s_waitcnt vmcnt(0)
	v_cndmask_b32_e32 v8, 0, v8, vcc
	v_cmp_lt_i32_e32 vcc, v5, v4
	buffer_load_dword v4, off, s[0:3], s32 offset:604 ; 4-byte Folded Reload
	s_waitcnt vmcnt(0)
	v_cndmask_b32_e32 v4, 0, v4, vcc
	buffer_store_dword v8, off, s[0:3], s32 offset:620 ; 4-byte Folded Spill
	buffer_store_dword v4, off, s[0:3], s32 offset:604 ; 4-byte Folded Spill
.LBB216_1268:                           ;   in Loop: Header=BB216_800 Depth=1
	s_or_b64 exec, exec, s[10:11]
	v_add_co_u32_e32 v16, vcc, 0x1000, v14
	v_addc_co_u32_e32 v17, vcc, 0, v15, vcc
	flat_load_dword v16, v[16:17] offset:512
	v_mov_b32_e32 v19, 0
	v_mov_b32_e32 v17, 0
	;; [unrolled: 1-line block ×4, first 2 shown]
	s_waitcnt vmcnt(0) lgkmcnt(0)
	v_cmp_ne_u16_sdwa s[20:21], v16, v6 src0_sel:BYTE_0 src1_sel:DWORD
	s_and_saveexec_b64 s[10:11], s[20:21]
	s_cbranch_execz .LBB216_1274
; %bb.1269:                             ;   in Loop: Header=BB216_800 Depth=1
	v_bfrev_b32_e32 v17, 1
	v_mov_b32_e32 v18, 0
	v_cmp_ne_u16_sdwa s[22:23], v16, s24 src0_sel:BYTE_0 src1_sel:DWORD
	s_and_saveexec_b64 s[20:21], s[22:23]
	s_cbranch_execz .LBB216_1273
; %bb.1270:                             ;   in Loop: Header=BB216_800 Depth=1
	v_and_b32_e32 v4, 0x7f, v16
	v_mov_b32_e32 v17, 0x7f800001
	v_mov_b32_e32 v18, 0
	v_cmp_ne_u32_e32 vcc, s25, v4
	s_and_saveexec_b64 s[22:23], vcc
	s_cbranch_execz .LBB216_1272
; %bb.1271:                             ;   in Loop: Header=BB216_800 Depth=1
	v_and_b32_e32 v8, 7, v16
	v_lshrrev_b32_e32 v21, 3, v4
	v_cmp_gt_u32_e32 vcc, 8, v4
	v_ffbh_u32_e32 v4, v8
	v_min_u32_e32 v4, 32, v4
	v_subrev_u32_e32 v17, 28, v4
	v_lshlrev_b64 v[17:18], v17, v[16:17]
	v_sub_u32_e32 v4, 29, v4
	v_and_b32_e32 v17, 7, v17
	v_cndmask_b32_e32 v4, v21, v4, vcc
	v_cndmask_b32_e32 v8, v8, v17, vcc
	v_bfrev_b32_e32 v18, 60
	v_lshlrev_b32_e32 v8, 20, v8
	v_and_b32_sdwa v17, sext(v16), s26 dst_sel:DWORD dst_unused:UNUSED_PAD src0_sel:BYTE_0 src1_sel:DWORD
	v_lshl_add_u32 v4, v4, 23, v18
	v_or3_b32 v17, v17, v4, v8
	v_mov_b32_e32 v18, v6
.LBB216_1272:                           ;   in Loop: Header=BB216_800 Depth=1
	s_or_b64 exec, exec, s[22:23]
.LBB216_1273:                           ;   in Loop: Header=BB216_800 Depth=1
	s_or_b64 exec, exec, s[20:21]
.LBB216_1274:                           ;   in Loop: Header=BB216_800 Depth=1
	s_or_b64 exec, exec, s[10:11]
	v_cmp_ne_u16_sdwa s[20:21], v16, v6 src0_sel:BYTE_1 src1_sel:DWORD
	s_and_saveexec_b64 s[10:11], s[20:21]
	s_cbranch_execz .LBB216_1280
; %bb.1275:                             ;   in Loop: Header=BB216_800 Depth=1
	v_mov_b32_e32 v20, v7
	v_cmp_ne_u16_sdwa s[22:23], v16, s24 src0_sel:BYTE_1 src1_sel:DWORD
	v_mov_b32_e32 v19, v6
	s_and_saveexec_b64 s[20:21], s[22:23]
	s_cbranch_execz .LBB216_1279
; %bb.1276:                             ;   in Loop: Header=BB216_800 Depth=1
	v_and_b32_sdwa v4, v16, s25 dst_sel:DWORD dst_unused:UNUSED_PAD src0_sel:BYTE_1 src1_sel:DWORD
	v_mov_b32_e32 v8, v6
	v_mov_b32_e32 v20, v9
	v_cmp_ne_u32_e32 vcc, s25, v4
	v_mov_b32_e32 v19, v8
	s_and_saveexec_b64 s[22:23], vcc
	s_cbranch_execz .LBB216_1278
; %bb.1277:                             ;   in Loop: Header=BB216_800 Depth=1
	v_mov_b32_e32 v8, 7
	v_and_b32_sdwa v19, v16, v8 dst_sel:DWORD dst_unused:UNUSED_PAD src0_sel:BYTE_1 src1_sel:DWORD
	v_lshrrev_b32_e32 v8, 3, v4
	v_cmp_gt_u32_e32 vcc, 8, v4
	v_ffbh_u32_e32 v4, v19
	v_min_u32_e32 v4, 32, v4
	v_mov_b32_e32 v20, v6
	v_subrev_u32_e32 v21, 28, v4
	v_lshlrev_b64 v[20:21], v21, v[19:20]
	v_sub_u32_e32 v4, 29, v4
	v_and_b32_e32 v20, 7, v20
	v_cndmask_b32_e32 v4, v8, v4, vcc
	v_cndmask_b32_e32 v8, v19, v20, vcc
	v_bfrev_b32_e32 v20, 60
	v_lshlrev_b32_e32 v19, 16, v16
	v_lshl_add_u32 v4, v4, 23, v20
	v_and_or_b32 v4, v19, s26, v4
	v_lshlrev_b32_e32 v8, 20, v8
	v_or_b32_e32 v20, v4, v8
	v_mov_b32_e32 v19, v6
.LBB216_1278:                           ;   in Loop: Header=BB216_800 Depth=1
	s_or_b64 exec, exec, s[22:23]
.LBB216_1279:                           ;   in Loop: Header=BB216_800 Depth=1
	s_or_b64 exec, exec, s[20:21]
.LBB216_1280:                           ;   in Loop: Header=BB216_800 Depth=1
	s_or_b64 exec, exec, s[10:11]
	v_lshrrev_b32_e32 v8, 16, v16
	v_mov_b32_e32 v23, 0
	v_mov_b32_e32 v21, 0
	;; [unrolled: 1-line block ×4, first 2 shown]
	v_cmp_ne_u16_sdwa s[20:21], v8, v6 src0_sel:BYTE_0 src1_sel:DWORD
	s_and_saveexec_b64 s[10:11], s[20:21]
	s_cbranch_execz .LBB216_1286
; %bb.1281:                             ;   in Loop: Header=BB216_800 Depth=1
	v_bfrev_b32_e32 v21, 1
	v_mov_b32_e32 v22, 0
	v_cmp_ne_u16_sdwa s[22:23], v8, s24 src0_sel:BYTE_0 src1_sel:DWORD
	s_and_saveexec_b64 s[20:21], s[22:23]
	s_cbranch_execz .LBB216_1285
; %bb.1282:                             ;   in Loop: Header=BB216_800 Depth=1
	v_bfe_u32 v4, v16, 16, 7
	v_mov_b32_e32 v21, 0x7f800001
	v_mov_b32_e32 v22, 0
	v_cmp_ne_u32_e32 vcc, s25, v4
	s_and_saveexec_b64 s[22:23], vcc
	s_cbranch_execz .LBB216_1284
; %bb.1283:                             ;   in Loop: Header=BB216_800 Depth=1
	v_and_b32_e32 v25, 7, v8
	v_lshrrev_b32_e32 v27, 3, v4
	v_cmp_gt_u32_e32 vcc, 8, v4
	v_ffbh_u32_e32 v4, v25
	v_min_u32_e32 v4, 32, v4
	v_subrev_u32_e32 v21, 28, v4
	v_lshlrev_b64 v[21:22], v21, v[8:9]
	v_sub_u32_e32 v4, 29, v4
	v_and_b32_e32 v21, 7, v21
	v_cndmask_b32_e32 v4, v27, v4, vcc
	v_cndmask_b32_e32 v21, v25, v21, vcc
	v_bfrev_b32_e32 v22, 60
	v_lshlrev_b32_e32 v21, 20, v21
	v_and_b32_sdwa v8, sext(v8), s26 dst_sel:DWORD dst_unused:UNUSED_PAD src0_sel:BYTE_0 src1_sel:DWORD
	v_lshl_add_u32 v4, v4, 23, v22
	v_or3_b32 v21, v8, v4, v21
	v_mov_b32_e32 v22, v6
.LBB216_1284:                           ;   in Loop: Header=BB216_800 Depth=1
	s_or_b64 exec, exec, s[22:23]
.LBB216_1285:                           ;   in Loop: Header=BB216_800 Depth=1
	s_or_b64 exec, exec, s[20:21]
.LBB216_1286:                           ;   in Loop: Header=BB216_800 Depth=1
	s_or_b64 exec, exec, s[10:11]
	v_cmp_lt_u32_e32 vcc, s27, v16
	s_and_saveexec_b64 s[10:11], vcc
	s_cbranch_execz .LBB216_1292
; %bb.1287:                             ;   in Loop: Header=BB216_800 Depth=1
	v_mov_b32_e32 v24, v7
	v_cmp_ne_u32_sdwa s[22:23], v16, s24 src0_sel:BYTE_3 src1_sel:DWORD
	v_mov_b32_e32 v23, v6
	s_and_saveexec_b64 s[20:21], s[22:23]
	s_cbranch_execz .LBB216_1291
; %bb.1288:                             ;   in Loop: Header=BB216_800 Depth=1
	v_bfe_u32 v4, v16, 24, 7
	v_mov_b32_e32 v8, v6
	v_mov_b32_e32 v24, v9
	v_cmp_ne_u32_e32 vcc, s25, v4
	v_mov_b32_e32 v23, v8
	s_and_saveexec_b64 s[22:23], vcc
	s_cbranch_execz .LBB216_1290
; %bb.1289:                             ;   in Loop: Header=BB216_800 Depth=1
	v_mov_b32_e32 v8, 7
	v_and_b32_sdwa v23, v16, v8 dst_sel:DWORD dst_unused:UNUSED_PAD src0_sel:BYTE_3 src1_sel:DWORD
	v_lshrrev_b32_e32 v8, 3, v4
	v_cmp_gt_u32_e32 vcc, 8, v4
	v_ffbh_u32_e32 v4, v23
	v_min_u32_e32 v4, 32, v4
	v_mov_b32_e32 v24, v6
	v_subrev_u32_e32 v25, 28, v4
	v_lshlrev_b64 v[24:25], v25, v[23:24]
	v_sub_u32_e32 v4, 29, v4
	v_and_b32_e32 v24, 7, v24
	v_cndmask_b32_e32 v4, v8, v4, vcc
	v_cndmask_b32_e32 v8, v23, v24, vcc
	v_mov_b32_e32 v23, 24
	v_lshlrev_b32_sdwa v16, v23, v16 dst_sel:DWORD dst_unused:UNUSED_PAD src0_sel:DWORD src1_sel:BYTE_3
	v_bfrev_b32_e32 v23, 60
	v_lshl_add_u32 v4, v4, 23, v23
	v_and_or_b32 v4, v16, s26, v4
	v_lshlrev_b32_e32 v8, 20, v8
	v_or_b32_e32 v24, v4, v8
	v_mov_b32_e32 v23, v6
.LBB216_1290:                           ;   in Loop: Header=BB216_800 Depth=1
	s_or_b64 exec, exec, s[22:23]
.LBB216_1291:                           ;   in Loop: Header=BB216_800 Depth=1
	s_or_b64 exec, exec, s[20:21]
.LBB216_1292:                           ;   in Loop: Header=BB216_800 Depth=1
	s_or_b64 exec, exec, s[10:11]
	v_or_b32_e32 v4, v20, v18
	v_or_b32_e32 v8, v19, v17
	v_mul_f32_e32 v4, v63, v4
	buffer_store_dword v4, off, s[0:3], s32 offset:660 ; 4-byte Folded Spill
	v_mul_f32_e32 v4, v26, v8
	buffer_store_dword v4, off, s[0:3], s32 offset:644 ; 4-byte Folded Spill
	v_or_b32_e32 v4, v24, v22
	v_or_b32_e32 v8, v23, v21
	v_mul_f32_e32 v8, v26, v8
	v_mul_f32_e32 v4, v63, v4
	buffer_store_dword v8, off, s[0:3], s32 offset:652 ; 4-byte Folded Spill
	buffer_store_dword v4, off, s[0:3], s32 offset:636 ; 4-byte Folded Spill
	s_and_saveexec_b64 s[10:11], s[4:5]
	s_cbranch_execz .LBB216_1294
; %bb.1293:                             ;   in Loop: Header=BB216_800 Depth=1
	buffer_load_dword v4, off, s[0:3], s32 offset:72 ; 4-byte Folded Reload
	v_add_u32_e32 v8, -3, v5
	s_waitcnt vmcnt(0)
	v_cmp_lt_i32_e32 vcc, v8, v4
	buffer_load_dword v8, off, s[0:3], s32 offset:644 ; 4-byte Folded Reload
	s_waitcnt vmcnt(0)
	v_cndmask_b32_e32 v8, 0, v8, vcc
	buffer_store_dword v8, off, s[0:3], s32 offset:644 ; 4-byte Folded Spill
	v_add_u32_e32 v8, -2, v5
	v_cmp_lt_i32_e32 vcc, v8, v4
	buffer_load_dword v8, off, s[0:3], s32 offset:660 ; 4-byte Folded Reload
	s_waitcnt vmcnt(0)
	v_cndmask_b32_e32 v8, 0, v8, vcc
	buffer_store_dword v8, off, s[0:3], s32 offset:660 ; 4-byte Folded Spill
	v_add_u32_e32 v8, -1, v5
	v_cmp_lt_i32_e32 vcc, v8, v4
	buffer_load_dword v8, off, s[0:3], s32 offset:652 ; 4-byte Folded Reload
	s_waitcnt vmcnt(0)
	v_cndmask_b32_e32 v8, 0, v8, vcc
	v_cmp_lt_i32_e32 vcc, v5, v4
	buffer_load_dword v4, off, s[0:3], s32 offset:636 ; 4-byte Folded Reload
	s_waitcnt vmcnt(0)
	v_cndmask_b32_e32 v4, 0, v4, vcc
	buffer_store_dword v8, off, s[0:3], s32 offset:652 ; 4-byte Folded Spill
	buffer_store_dword v4, off, s[0:3], s32 offset:636 ; 4-byte Folded Spill
.LBB216_1294:                           ;   in Loop: Header=BB216_800 Depth=1
	s_or_b64 exec, exec, s[10:11]
	v_add_co_u32_e32 v16, vcc, 0x1000, v14
	v_addc_co_u32_e32 v17, vcc, 0, v15, vcc
	flat_load_dword v16, v[16:17] offset:768
	v_mov_b32_e32 v19, 0
	v_mov_b32_e32 v17, 0
	;; [unrolled: 1-line block ×4, first 2 shown]
	s_waitcnt vmcnt(0) lgkmcnt(0)
	v_cmp_ne_u16_sdwa s[20:21], v16, v6 src0_sel:BYTE_0 src1_sel:DWORD
	s_and_saveexec_b64 s[10:11], s[20:21]
	s_cbranch_execz .LBB216_1300
; %bb.1295:                             ;   in Loop: Header=BB216_800 Depth=1
	v_bfrev_b32_e32 v17, 1
	v_mov_b32_e32 v18, 0
	v_cmp_ne_u16_sdwa s[22:23], v16, s24 src0_sel:BYTE_0 src1_sel:DWORD
	s_and_saveexec_b64 s[20:21], s[22:23]
	s_cbranch_execz .LBB216_1299
; %bb.1296:                             ;   in Loop: Header=BB216_800 Depth=1
	v_and_b32_e32 v4, 0x7f, v16
	v_mov_b32_e32 v17, 0x7f800001
	v_mov_b32_e32 v18, 0
	v_cmp_ne_u32_e32 vcc, s25, v4
	s_and_saveexec_b64 s[22:23], vcc
	s_cbranch_execz .LBB216_1298
; %bb.1297:                             ;   in Loop: Header=BB216_800 Depth=1
	v_and_b32_e32 v8, 7, v16
	v_lshrrev_b32_e32 v21, 3, v4
	v_cmp_gt_u32_e32 vcc, 8, v4
	v_ffbh_u32_e32 v4, v8
	v_min_u32_e32 v4, 32, v4
	v_subrev_u32_e32 v17, 28, v4
	v_lshlrev_b64 v[17:18], v17, v[16:17]
	v_sub_u32_e32 v4, 29, v4
	v_and_b32_e32 v17, 7, v17
	v_cndmask_b32_e32 v4, v21, v4, vcc
	v_cndmask_b32_e32 v8, v8, v17, vcc
	v_bfrev_b32_e32 v18, 60
	v_lshlrev_b32_e32 v8, 20, v8
	v_and_b32_sdwa v17, sext(v16), s26 dst_sel:DWORD dst_unused:UNUSED_PAD src0_sel:BYTE_0 src1_sel:DWORD
	v_lshl_add_u32 v4, v4, 23, v18
	v_or3_b32 v17, v17, v4, v8
	v_mov_b32_e32 v18, v6
.LBB216_1298:                           ;   in Loop: Header=BB216_800 Depth=1
	s_or_b64 exec, exec, s[22:23]
.LBB216_1299:                           ;   in Loop: Header=BB216_800 Depth=1
	s_or_b64 exec, exec, s[20:21]
.LBB216_1300:                           ;   in Loop: Header=BB216_800 Depth=1
	s_or_b64 exec, exec, s[10:11]
	v_cmp_ne_u16_sdwa s[20:21], v16, v6 src0_sel:BYTE_1 src1_sel:DWORD
	s_and_saveexec_b64 s[10:11], s[20:21]
	s_cbranch_execz .LBB216_1306
; %bb.1301:                             ;   in Loop: Header=BB216_800 Depth=1
	v_mov_b32_e32 v20, v7
	v_cmp_ne_u16_sdwa s[22:23], v16, s24 src0_sel:BYTE_1 src1_sel:DWORD
	v_mov_b32_e32 v19, v6
	s_and_saveexec_b64 s[20:21], s[22:23]
	s_cbranch_execz .LBB216_1305
; %bb.1302:                             ;   in Loop: Header=BB216_800 Depth=1
	v_and_b32_sdwa v4, v16, s25 dst_sel:DWORD dst_unused:UNUSED_PAD src0_sel:BYTE_1 src1_sel:DWORD
	v_mov_b32_e32 v8, v6
	v_mov_b32_e32 v20, v9
	v_cmp_ne_u32_e32 vcc, s25, v4
	v_mov_b32_e32 v19, v8
	s_and_saveexec_b64 s[22:23], vcc
	s_cbranch_execz .LBB216_1304
; %bb.1303:                             ;   in Loop: Header=BB216_800 Depth=1
	v_mov_b32_e32 v8, 7
	v_and_b32_sdwa v19, v16, v8 dst_sel:DWORD dst_unused:UNUSED_PAD src0_sel:BYTE_1 src1_sel:DWORD
	v_lshrrev_b32_e32 v8, 3, v4
	v_cmp_gt_u32_e32 vcc, 8, v4
	v_ffbh_u32_e32 v4, v19
	v_min_u32_e32 v4, 32, v4
	v_mov_b32_e32 v20, v6
	v_subrev_u32_e32 v21, 28, v4
	v_lshlrev_b64 v[20:21], v21, v[19:20]
	v_sub_u32_e32 v4, 29, v4
	v_and_b32_e32 v20, 7, v20
	v_cndmask_b32_e32 v4, v8, v4, vcc
	v_cndmask_b32_e32 v8, v19, v20, vcc
	v_bfrev_b32_e32 v20, 60
	v_lshlrev_b32_e32 v19, 16, v16
	v_lshl_add_u32 v4, v4, 23, v20
	v_and_or_b32 v4, v19, s26, v4
	v_lshlrev_b32_e32 v8, 20, v8
	v_or_b32_e32 v20, v4, v8
	v_mov_b32_e32 v19, v6
.LBB216_1304:                           ;   in Loop: Header=BB216_800 Depth=1
	s_or_b64 exec, exec, s[22:23]
.LBB216_1305:                           ;   in Loop: Header=BB216_800 Depth=1
	s_or_b64 exec, exec, s[20:21]
.LBB216_1306:                           ;   in Loop: Header=BB216_800 Depth=1
	s_or_b64 exec, exec, s[10:11]
	v_lshrrev_b32_e32 v8, 16, v16
	v_mov_b32_e32 v23, 0
	v_mov_b32_e32 v21, 0
	;; [unrolled: 1-line block ×4, first 2 shown]
	v_cmp_ne_u16_sdwa s[20:21], v8, v6 src0_sel:BYTE_0 src1_sel:DWORD
	s_and_saveexec_b64 s[10:11], s[20:21]
	s_cbranch_execz .LBB216_1312
; %bb.1307:                             ;   in Loop: Header=BB216_800 Depth=1
	v_bfrev_b32_e32 v21, 1
	v_mov_b32_e32 v22, 0
	v_cmp_ne_u16_sdwa s[22:23], v8, s24 src0_sel:BYTE_0 src1_sel:DWORD
	s_and_saveexec_b64 s[20:21], s[22:23]
	s_cbranch_execz .LBB216_1311
; %bb.1308:                             ;   in Loop: Header=BB216_800 Depth=1
	v_bfe_u32 v4, v16, 16, 7
	v_mov_b32_e32 v21, 0x7f800001
	v_mov_b32_e32 v22, 0
	v_cmp_ne_u32_e32 vcc, s25, v4
	s_and_saveexec_b64 s[22:23], vcc
	s_cbranch_execz .LBB216_1310
; %bb.1309:                             ;   in Loop: Header=BB216_800 Depth=1
	v_and_b32_e32 v25, 7, v8
	v_lshrrev_b32_e32 v27, 3, v4
	v_cmp_gt_u32_e32 vcc, 8, v4
	v_ffbh_u32_e32 v4, v25
	v_min_u32_e32 v4, 32, v4
	v_subrev_u32_e32 v21, 28, v4
	v_lshlrev_b64 v[21:22], v21, v[8:9]
	v_sub_u32_e32 v4, 29, v4
	v_and_b32_e32 v21, 7, v21
	v_cndmask_b32_e32 v4, v27, v4, vcc
	v_cndmask_b32_e32 v21, v25, v21, vcc
	v_bfrev_b32_e32 v22, 60
	v_lshlrev_b32_e32 v21, 20, v21
	v_and_b32_sdwa v8, sext(v8), s26 dst_sel:DWORD dst_unused:UNUSED_PAD src0_sel:BYTE_0 src1_sel:DWORD
	v_lshl_add_u32 v4, v4, 23, v22
	v_or3_b32 v21, v8, v4, v21
	v_mov_b32_e32 v22, v6
.LBB216_1310:                           ;   in Loop: Header=BB216_800 Depth=1
	s_or_b64 exec, exec, s[22:23]
.LBB216_1311:                           ;   in Loop: Header=BB216_800 Depth=1
	s_or_b64 exec, exec, s[20:21]
.LBB216_1312:                           ;   in Loop: Header=BB216_800 Depth=1
	s_or_b64 exec, exec, s[10:11]
	v_cmp_lt_u32_e32 vcc, s27, v16
	s_and_saveexec_b64 s[10:11], vcc
	s_cbranch_execz .LBB216_1318
; %bb.1313:                             ;   in Loop: Header=BB216_800 Depth=1
	v_mov_b32_e32 v24, v7
	v_cmp_ne_u32_sdwa s[22:23], v16, s24 src0_sel:BYTE_3 src1_sel:DWORD
	v_mov_b32_e32 v23, v6
	s_and_saveexec_b64 s[20:21], s[22:23]
	s_cbranch_execz .LBB216_1317
; %bb.1314:                             ;   in Loop: Header=BB216_800 Depth=1
	v_bfe_u32 v4, v16, 24, 7
	v_mov_b32_e32 v8, v6
	v_mov_b32_e32 v24, v9
	v_cmp_ne_u32_e32 vcc, s25, v4
	v_mov_b32_e32 v23, v8
	s_and_saveexec_b64 s[22:23], vcc
	s_cbranch_execz .LBB216_1316
; %bb.1315:                             ;   in Loop: Header=BB216_800 Depth=1
	v_mov_b32_e32 v8, 7
	v_and_b32_sdwa v23, v16, v8 dst_sel:DWORD dst_unused:UNUSED_PAD src0_sel:BYTE_3 src1_sel:DWORD
	v_lshrrev_b32_e32 v8, 3, v4
	v_cmp_gt_u32_e32 vcc, 8, v4
	v_ffbh_u32_e32 v4, v23
	v_min_u32_e32 v4, 32, v4
	v_mov_b32_e32 v24, v6
	v_subrev_u32_e32 v25, 28, v4
	v_lshlrev_b64 v[24:25], v25, v[23:24]
	v_sub_u32_e32 v4, 29, v4
	v_and_b32_e32 v24, 7, v24
	v_cndmask_b32_e32 v4, v8, v4, vcc
	v_cndmask_b32_e32 v8, v23, v24, vcc
	v_mov_b32_e32 v23, 24
	v_lshlrev_b32_sdwa v16, v23, v16 dst_sel:DWORD dst_unused:UNUSED_PAD src0_sel:DWORD src1_sel:BYTE_3
	v_bfrev_b32_e32 v23, 60
	v_lshl_add_u32 v4, v4, 23, v23
	v_and_or_b32 v4, v16, s26, v4
	v_lshlrev_b32_e32 v8, 20, v8
	v_or_b32_e32 v24, v4, v8
	v_mov_b32_e32 v23, v6
.LBB216_1316:                           ;   in Loop: Header=BB216_800 Depth=1
	s_or_b64 exec, exec, s[22:23]
.LBB216_1317:                           ;   in Loop: Header=BB216_800 Depth=1
	s_or_b64 exec, exec, s[20:21]
.LBB216_1318:                           ;   in Loop: Header=BB216_800 Depth=1
	s_or_b64 exec, exec, s[10:11]
	v_or_b32_e32 v4, v20, v18
	v_or_b32_e32 v8, v19, v17
	v_mul_f32_e32 v4, v63, v4
	buffer_store_dword v4, off, s[0:3], s32 offset:692 ; 4-byte Folded Spill
	v_mul_f32_e32 v4, v26, v8
	buffer_store_dword v4, off, s[0:3], s32 offset:676 ; 4-byte Folded Spill
	v_or_b32_e32 v4, v24, v22
	v_or_b32_e32 v8, v23, v21
	v_mul_f32_e32 v8, v26, v8
	v_mul_f32_e32 v4, v63, v4
	buffer_store_dword v8, off, s[0:3], s32 offset:684 ; 4-byte Folded Spill
	buffer_store_dword v4, off, s[0:3], s32 offset:668 ; 4-byte Folded Spill
	s_and_saveexec_b64 s[10:11], s[4:5]
	s_cbranch_execz .LBB216_1320
; %bb.1319:                             ;   in Loop: Header=BB216_800 Depth=1
	buffer_load_dword v4, off, s[0:3], s32 offset:72 ; 4-byte Folded Reload
	v_add_u32_e32 v8, -3, v5
	s_waitcnt vmcnt(0)
	v_cmp_lt_i32_e32 vcc, v8, v4
	buffer_load_dword v8, off, s[0:3], s32 offset:676 ; 4-byte Folded Reload
	s_waitcnt vmcnt(0)
	v_cndmask_b32_e32 v8, 0, v8, vcc
	buffer_store_dword v8, off, s[0:3], s32 offset:676 ; 4-byte Folded Spill
	v_add_u32_e32 v8, -2, v5
	v_cmp_lt_i32_e32 vcc, v8, v4
	buffer_load_dword v8, off, s[0:3], s32 offset:692 ; 4-byte Folded Reload
	s_waitcnt vmcnt(0)
	v_cndmask_b32_e32 v8, 0, v8, vcc
	buffer_store_dword v8, off, s[0:3], s32 offset:692 ; 4-byte Folded Spill
	v_add_u32_e32 v8, -1, v5
	v_cmp_lt_i32_e32 vcc, v8, v4
	buffer_load_dword v8, off, s[0:3], s32 offset:684 ; 4-byte Folded Reload
	s_waitcnt vmcnt(0)
	v_cndmask_b32_e32 v8, 0, v8, vcc
	v_cmp_lt_i32_e32 vcc, v5, v4
	buffer_load_dword v4, off, s[0:3], s32 offset:668 ; 4-byte Folded Reload
	s_waitcnt vmcnt(0)
	v_cndmask_b32_e32 v4, 0, v4, vcc
	buffer_store_dword v8, off, s[0:3], s32 offset:684 ; 4-byte Folded Spill
	buffer_store_dword v4, off, s[0:3], s32 offset:668 ; 4-byte Folded Spill
.LBB216_1320:                           ;   in Loop: Header=BB216_800 Depth=1
	s_or_b64 exec, exec, s[10:11]
	v_add_co_u32_e32 v16, vcc, 0x1000, v14
	v_addc_co_u32_e32 v17, vcc, 0, v15, vcc
	flat_load_dword v16, v[16:17] offset:1024
	v_mov_b32_e32 v19, 0
	v_mov_b32_e32 v17, 0
	;; [unrolled: 1-line block ×4, first 2 shown]
	s_waitcnt vmcnt(0) lgkmcnt(0)
	v_cmp_ne_u16_sdwa s[20:21], v16, v6 src0_sel:BYTE_0 src1_sel:DWORD
	s_and_saveexec_b64 s[10:11], s[20:21]
	s_cbranch_execz .LBB216_1326
; %bb.1321:                             ;   in Loop: Header=BB216_800 Depth=1
	v_bfrev_b32_e32 v17, 1
	v_mov_b32_e32 v18, 0
	v_cmp_ne_u16_sdwa s[22:23], v16, s24 src0_sel:BYTE_0 src1_sel:DWORD
	s_and_saveexec_b64 s[20:21], s[22:23]
	s_cbranch_execz .LBB216_1325
; %bb.1322:                             ;   in Loop: Header=BB216_800 Depth=1
	v_and_b32_e32 v4, 0x7f, v16
	v_mov_b32_e32 v17, 0x7f800001
	v_mov_b32_e32 v18, 0
	v_cmp_ne_u32_e32 vcc, s25, v4
	s_and_saveexec_b64 s[22:23], vcc
	s_cbranch_execz .LBB216_1324
; %bb.1323:                             ;   in Loop: Header=BB216_800 Depth=1
	v_and_b32_e32 v8, 7, v16
	v_lshrrev_b32_e32 v21, 3, v4
	v_cmp_gt_u32_e32 vcc, 8, v4
	v_ffbh_u32_e32 v4, v8
	v_min_u32_e32 v4, 32, v4
	v_subrev_u32_e32 v17, 28, v4
	v_lshlrev_b64 v[17:18], v17, v[16:17]
	v_sub_u32_e32 v4, 29, v4
	v_and_b32_e32 v17, 7, v17
	v_cndmask_b32_e32 v4, v21, v4, vcc
	v_cndmask_b32_e32 v8, v8, v17, vcc
	v_bfrev_b32_e32 v18, 60
	v_lshlrev_b32_e32 v8, 20, v8
	v_and_b32_sdwa v17, sext(v16), s26 dst_sel:DWORD dst_unused:UNUSED_PAD src0_sel:BYTE_0 src1_sel:DWORD
	v_lshl_add_u32 v4, v4, 23, v18
	v_or3_b32 v17, v17, v4, v8
	v_mov_b32_e32 v18, v6
.LBB216_1324:                           ;   in Loop: Header=BB216_800 Depth=1
	s_or_b64 exec, exec, s[22:23]
.LBB216_1325:                           ;   in Loop: Header=BB216_800 Depth=1
	s_or_b64 exec, exec, s[20:21]
.LBB216_1326:                           ;   in Loop: Header=BB216_800 Depth=1
	s_or_b64 exec, exec, s[10:11]
	v_cmp_ne_u16_sdwa s[20:21], v16, v6 src0_sel:BYTE_1 src1_sel:DWORD
	s_and_saveexec_b64 s[10:11], s[20:21]
	s_cbranch_execz .LBB216_1332
; %bb.1327:                             ;   in Loop: Header=BB216_800 Depth=1
	v_mov_b32_e32 v20, v7
	v_cmp_ne_u16_sdwa s[22:23], v16, s24 src0_sel:BYTE_1 src1_sel:DWORD
	v_mov_b32_e32 v19, v6
	s_and_saveexec_b64 s[20:21], s[22:23]
	s_cbranch_execz .LBB216_1331
; %bb.1328:                             ;   in Loop: Header=BB216_800 Depth=1
	v_and_b32_sdwa v4, v16, s25 dst_sel:DWORD dst_unused:UNUSED_PAD src0_sel:BYTE_1 src1_sel:DWORD
	v_mov_b32_e32 v8, v6
	v_mov_b32_e32 v20, v9
	v_cmp_ne_u32_e32 vcc, s25, v4
	v_mov_b32_e32 v19, v8
	s_and_saveexec_b64 s[22:23], vcc
	s_cbranch_execz .LBB216_1330
; %bb.1329:                             ;   in Loop: Header=BB216_800 Depth=1
	v_mov_b32_e32 v8, 7
	v_and_b32_sdwa v19, v16, v8 dst_sel:DWORD dst_unused:UNUSED_PAD src0_sel:BYTE_1 src1_sel:DWORD
	v_lshrrev_b32_e32 v8, 3, v4
	v_cmp_gt_u32_e32 vcc, 8, v4
	v_ffbh_u32_e32 v4, v19
	v_min_u32_e32 v4, 32, v4
	v_mov_b32_e32 v20, v6
	v_subrev_u32_e32 v21, 28, v4
	v_lshlrev_b64 v[20:21], v21, v[19:20]
	v_sub_u32_e32 v4, 29, v4
	v_and_b32_e32 v20, 7, v20
	v_cndmask_b32_e32 v4, v8, v4, vcc
	v_cndmask_b32_e32 v8, v19, v20, vcc
	v_bfrev_b32_e32 v20, 60
	v_lshlrev_b32_e32 v19, 16, v16
	v_lshl_add_u32 v4, v4, 23, v20
	v_and_or_b32 v4, v19, s26, v4
	v_lshlrev_b32_e32 v8, 20, v8
	v_or_b32_e32 v20, v4, v8
	v_mov_b32_e32 v19, v6
.LBB216_1330:                           ;   in Loop: Header=BB216_800 Depth=1
	s_or_b64 exec, exec, s[22:23]
.LBB216_1331:                           ;   in Loop: Header=BB216_800 Depth=1
	s_or_b64 exec, exec, s[20:21]
.LBB216_1332:                           ;   in Loop: Header=BB216_800 Depth=1
	s_or_b64 exec, exec, s[10:11]
	v_lshrrev_b32_e32 v8, 16, v16
	v_mov_b32_e32 v23, 0
	v_mov_b32_e32 v21, 0
	;; [unrolled: 1-line block ×4, first 2 shown]
	v_cmp_ne_u16_sdwa s[20:21], v8, v6 src0_sel:BYTE_0 src1_sel:DWORD
	s_and_saveexec_b64 s[10:11], s[20:21]
	s_cbranch_execz .LBB216_1338
; %bb.1333:                             ;   in Loop: Header=BB216_800 Depth=1
	v_bfrev_b32_e32 v21, 1
	v_mov_b32_e32 v22, 0
	v_cmp_ne_u16_sdwa s[22:23], v8, s24 src0_sel:BYTE_0 src1_sel:DWORD
	s_and_saveexec_b64 s[20:21], s[22:23]
	s_cbranch_execz .LBB216_1337
; %bb.1334:                             ;   in Loop: Header=BB216_800 Depth=1
	v_bfe_u32 v4, v16, 16, 7
	v_mov_b32_e32 v21, 0x7f800001
	v_mov_b32_e32 v22, 0
	v_cmp_ne_u32_e32 vcc, s25, v4
	s_and_saveexec_b64 s[22:23], vcc
	s_cbranch_execz .LBB216_1336
; %bb.1335:                             ;   in Loop: Header=BB216_800 Depth=1
	v_and_b32_e32 v25, 7, v8
	v_lshrrev_b32_e32 v27, 3, v4
	v_cmp_gt_u32_e32 vcc, 8, v4
	v_ffbh_u32_e32 v4, v25
	v_min_u32_e32 v4, 32, v4
	v_subrev_u32_e32 v21, 28, v4
	v_lshlrev_b64 v[21:22], v21, v[8:9]
	v_sub_u32_e32 v4, 29, v4
	v_and_b32_e32 v21, 7, v21
	v_cndmask_b32_e32 v4, v27, v4, vcc
	v_cndmask_b32_e32 v21, v25, v21, vcc
	v_bfrev_b32_e32 v22, 60
	v_lshlrev_b32_e32 v21, 20, v21
	v_and_b32_sdwa v8, sext(v8), s26 dst_sel:DWORD dst_unused:UNUSED_PAD src0_sel:BYTE_0 src1_sel:DWORD
	v_lshl_add_u32 v4, v4, 23, v22
	v_or3_b32 v21, v8, v4, v21
	v_mov_b32_e32 v22, v6
.LBB216_1336:                           ;   in Loop: Header=BB216_800 Depth=1
	s_or_b64 exec, exec, s[22:23]
.LBB216_1337:                           ;   in Loop: Header=BB216_800 Depth=1
	s_or_b64 exec, exec, s[20:21]
.LBB216_1338:                           ;   in Loop: Header=BB216_800 Depth=1
	s_or_b64 exec, exec, s[10:11]
	v_cmp_lt_u32_e32 vcc, s27, v16
	s_and_saveexec_b64 s[10:11], vcc
	s_cbranch_execz .LBB216_1344
; %bb.1339:                             ;   in Loop: Header=BB216_800 Depth=1
	v_mov_b32_e32 v24, v7
	v_cmp_ne_u32_sdwa s[22:23], v16, s24 src0_sel:BYTE_3 src1_sel:DWORD
	v_mov_b32_e32 v23, v6
	s_and_saveexec_b64 s[20:21], s[22:23]
	s_cbranch_execz .LBB216_1343
; %bb.1340:                             ;   in Loop: Header=BB216_800 Depth=1
	v_bfe_u32 v4, v16, 24, 7
	v_mov_b32_e32 v8, v6
	v_mov_b32_e32 v24, v9
	v_cmp_ne_u32_e32 vcc, s25, v4
	v_mov_b32_e32 v23, v8
	s_and_saveexec_b64 s[22:23], vcc
	s_cbranch_execz .LBB216_1342
; %bb.1341:                             ;   in Loop: Header=BB216_800 Depth=1
	v_mov_b32_e32 v8, 7
	v_and_b32_sdwa v23, v16, v8 dst_sel:DWORD dst_unused:UNUSED_PAD src0_sel:BYTE_3 src1_sel:DWORD
	v_lshrrev_b32_e32 v8, 3, v4
	v_cmp_gt_u32_e32 vcc, 8, v4
	v_ffbh_u32_e32 v4, v23
	v_min_u32_e32 v4, 32, v4
	v_mov_b32_e32 v24, v6
	v_subrev_u32_e32 v25, 28, v4
	v_lshlrev_b64 v[24:25], v25, v[23:24]
	v_sub_u32_e32 v4, 29, v4
	v_and_b32_e32 v24, 7, v24
	v_cndmask_b32_e32 v4, v8, v4, vcc
	v_cndmask_b32_e32 v8, v23, v24, vcc
	v_mov_b32_e32 v23, 24
	v_lshlrev_b32_sdwa v16, v23, v16 dst_sel:DWORD dst_unused:UNUSED_PAD src0_sel:DWORD src1_sel:BYTE_3
	v_bfrev_b32_e32 v23, 60
	v_lshl_add_u32 v4, v4, 23, v23
	v_and_or_b32 v4, v16, s26, v4
	v_lshlrev_b32_e32 v8, 20, v8
	v_or_b32_e32 v24, v4, v8
	v_mov_b32_e32 v23, v6
.LBB216_1342:                           ;   in Loop: Header=BB216_800 Depth=1
	s_or_b64 exec, exec, s[22:23]
.LBB216_1343:                           ;   in Loop: Header=BB216_800 Depth=1
	s_or_b64 exec, exec, s[20:21]
.LBB216_1344:                           ;   in Loop: Header=BB216_800 Depth=1
	s_or_b64 exec, exec, s[10:11]
	v_or_b32_e32 v4, v20, v18
	v_or_b32_e32 v8, v19, v17
	v_mul_f32_e32 v4, v63, v4
	buffer_store_dword v4, off, s[0:3], s32 offset:724 ; 4-byte Folded Spill
	v_mul_f32_e32 v4, v26, v8
	buffer_store_dword v4, off, s[0:3], s32 offset:708 ; 4-byte Folded Spill
	v_or_b32_e32 v4, v24, v22
	v_or_b32_e32 v8, v23, v21
	v_mul_f32_e32 v8, v26, v8
	v_mul_f32_e32 v4, v63, v4
	buffer_store_dword v8, off, s[0:3], s32 offset:716 ; 4-byte Folded Spill
	buffer_store_dword v4, off, s[0:3], s32 offset:700 ; 4-byte Folded Spill
	s_and_saveexec_b64 s[10:11], s[4:5]
	s_cbranch_execz .LBB216_1346
; %bb.1345:                             ;   in Loop: Header=BB216_800 Depth=1
	buffer_load_dword v4, off, s[0:3], s32 offset:72 ; 4-byte Folded Reload
	v_add_u32_e32 v8, -3, v5
	s_waitcnt vmcnt(0)
	v_cmp_lt_i32_e32 vcc, v8, v4
	buffer_load_dword v8, off, s[0:3], s32 offset:708 ; 4-byte Folded Reload
	s_waitcnt vmcnt(0)
	v_cndmask_b32_e32 v8, 0, v8, vcc
	buffer_store_dword v8, off, s[0:3], s32 offset:708 ; 4-byte Folded Spill
	v_add_u32_e32 v8, -2, v5
	v_cmp_lt_i32_e32 vcc, v8, v4
	buffer_load_dword v8, off, s[0:3], s32 offset:724 ; 4-byte Folded Reload
	s_waitcnt vmcnt(0)
	v_cndmask_b32_e32 v8, 0, v8, vcc
	buffer_store_dword v8, off, s[0:3], s32 offset:724 ; 4-byte Folded Spill
	v_add_u32_e32 v8, -1, v5
	v_cmp_lt_i32_e32 vcc, v8, v4
	buffer_load_dword v8, off, s[0:3], s32 offset:716 ; 4-byte Folded Reload
	s_waitcnt vmcnt(0)
	v_cndmask_b32_e32 v8, 0, v8, vcc
	v_cmp_lt_i32_e32 vcc, v5, v4
	buffer_load_dword v4, off, s[0:3], s32 offset:700 ; 4-byte Folded Reload
	s_waitcnt vmcnt(0)
	v_cndmask_b32_e32 v4, 0, v4, vcc
	buffer_store_dword v8, off, s[0:3], s32 offset:716 ; 4-byte Folded Spill
	buffer_store_dword v4, off, s[0:3], s32 offset:700 ; 4-byte Folded Spill
.LBB216_1346:                           ;   in Loop: Header=BB216_800 Depth=1
	s_or_b64 exec, exec, s[10:11]
	v_add_co_u32_e32 v16, vcc, 0x1000, v14
	v_addc_co_u32_e32 v17, vcc, 0, v15, vcc
	flat_load_dword v16, v[16:17] offset:1280
	v_mov_b32_e32 v19, 0
	v_mov_b32_e32 v17, 0
	;; [unrolled: 1-line block ×4, first 2 shown]
	s_waitcnt vmcnt(0) lgkmcnt(0)
	v_cmp_ne_u16_sdwa s[20:21], v16, v6 src0_sel:BYTE_0 src1_sel:DWORD
	s_and_saveexec_b64 s[10:11], s[20:21]
	s_cbranch_execz .LBB216_1352
; %bb.1347:                             ;   in Loop: Header=BB216_800 Depth=1
	v_bfrev_b32_e32 v17, 1
	v_mov_b32_e32 v18, 0
	v_cmp_ne_u16_sdwa s[22:23], v16, s24 src0_sel:BYTE_0 src1_sel:DWORD
	s_and_saveexec_b64 s[20:21], s[22:23]
	s_cbranch_execz .LBB216_1351
; %bb.1348:                             ;   in Loop: Header=BB216_800 Depth=1
	v_and_b32_e32 v4, 0x7f, v16
	v_mov_b32_e32 v17, 0x7f800001
	v_mov_b32_e32 v18, 0
	v_cmp_ne_u32_e32 vcc, s25, v4
	s_and_saveexec_b64 s[22:23], vcc
	s_cbranch_execz .LBB216_1350
; %bb.1349:                             ;   in Loop: Header=BB216_800 Depth=1
	v_and_b32_e32 v8, 7, v16
	v_lshrrev_b32_e32 v21, 3, v4
	v_cmp_gt_u32_e32 vcc, 8, v4
	v_ffbh_u32_e32 v4, v8
	v_min_u32_e32 v4, 32, v4
	v_subrev_u32_e32 v17, 28, v4
	v_lshlrev_b64 v[17:18], v17, v[16:17]
	v_sub_u32_e32 v4, 29, v4
	v_and_b32_e32 v17, 7, v17
	v_cndmask_b32_e32 v4, v21, v4, vcc
	v_cndmask_b32_e32 v8, v8, v17, vcc
	v_bfrev_b32_e32 v18, 60
	v_lshlrev_b32_e32 v8, 20, v8
	v_and_b32_sdwa v17, sext(v16), s26 dst_sel:DWORD dst_unused:UNUSED_PAD src0_sel:BYTE_0 src1_sel:DWORD
	v_lshl_add_u32 v4, v4, 23, v18
	v_or3_b32 v17, v17, v4, v8
	v_mov_b32_e32 v18, v6
.LBB216_1350:                           ;   in Loop: Header=BB216_800 Depth=1
	s_or_b64 exec, exec, s[22:23]
.LBB216_1351:                           ;   in Loop: Header=BB216_800 Depth=1
	s_or_b64 exec, exec, s[20:21]
.LBB216_1352:                           ;   in Loop: Header=BB216_800 Depth=1
	s_or_b64 exec, exec, s[10:11]
	v_cmp_ne_u16_sdwa s[20:21], v16, v6 src0_sel:BYTE_1 src1_sel:DWORD
	s_and_saveexec_b64 s[10:11], s[20:21]
	s_cbranch_execz .LBB216_1358
; %bb.1353:                             ;   in Loop: Header=BB216_800 Depth=1
	v_mov_b32_e32 v20, v7
	v_cmp_ne_u16_sdwa s[22:23], v16, s24 src0_sel:BYTE_1 src1_sel:DWORD
	v_mov_b32_e32 v19, v6
	s_and_saveexec_b64 s[20:21], s[22:23]
	s_cbranch_execz .LBB216_1357
; %bb.1354:                             ;   in Loop: Header=BB216_800 Depth=1
	v_and_b32_sdwa v4, v16, s25 dst_sel:DWORD dst_unused:UNUSED_PAD src0_sel:BYTE_1 src1_sel:DWORD
	v_mov_b32_e32 v8, v6
	v_mov_b32_e32 v20, v9
	v_cmp_ne_u32_e32 vcc, s25, v4
	v_mov_b32_e32 v19, v8
	s_and_saveexec_b64 s[22:23], vcc
	s_cbranch_execz .LBB216_1356
; %bb.1355:                             ;   in Loop: Header=BB216_800 Depth=1
	v_mov_b32_e32 v8, 7
	v_and_b32_sdwa v19, v16, v8 dst_sel:DWORD dst_unused:UNUSED_PAD src0_sel:BYTE_1 src1_sel:DWORD
	v_lshrrev_b32_e32 v8, 3, v4
	v_cmp_gt_u32_e32 vcc, 8, v4
	v_ffbh_u32_e32 v4, v19
	v_min_u32_e32 v4, 32, v4
	v_mov_b32_e32 v20, v6
	v_subrev_u32_e32 v21, 28, v4
	v_lshlrev_b64 v[20:21], v21, v[19:20]
	v_sub_u32_e32 v4, 29, v4
	v_and_b32_e32 v20, 7, v20
	v_cndmask_b32_e32 v4, v8, v4, vcc
	v_cndmask_b32_e32 v8, v19, v20, vcc
	v_bfrev_b32_e32 v20, 60
	v_lshlrev_b32_e32 v19, 16, v16
	v_lshl_add_u32 v4, v4, 23, v20
	v_and_or_b32 v4, v19, s26, v4
	v_lshlrev_b32_e32 v8, 20, v8
	v_or_b32_e32 v20, v4, v8
	v_mov_b32_e32 v19, v6
.LBB216_1356:                           ;   in Loop: Header=BB216_800 Depth=1
	s_or_b64 exec, exec, s[22:23]
.LBB216_1357:                           ;   in Loop: Header=BB216_800 Depth=1
	s_or_b64 exec, exec, s[20:21]
.LBB216_1358:                           ;   in Loop: Header=BB216_800 Depth=1
	s_or_b64 exec, exec, s[10:11]
	v_lshrrev_b32_e32 v8, 16, v16
	v_mov_b32_e32 v23, 0
	v_mov_b32_e32 v21, 0
	;; [unrolled: 1-line block ×4, first 2 shown]
	v_cmp_ne_u16_sdwa s[20:21], v8, v6 src0_sel:BYTE_0 src1_sel:DWORD
	s_and_saveexec_b64 s[10:11], s[20:21]
	s_cbranch_execz .LBB216_1364
; %bb.1359:                             ;   in Loop: Header=BB216_800 Depth=1
	v_bfrev_b32_e32 v21, 1
	v_mov_b32_e32 v22, 0
	v_cmp_ne_u16_sdwa s[22:23], v8, s24 src0_sel:BYTE_0 src1_sel:DWORD
	s_and_saveexec_b64 s[20:21], s[22:23]
	s_cbranch_execz .LBB216_1363
; %bb.1360:                             ;   in Loop: Header=BB216_800 Depth=1
	v_bfe_u32 v4, v16, 16, 7
	v_mov_b32_e32 v21, 0x7f800001
	v_mov_b32_e32 v22, 0
	v_cmp_ne_u32_e32 vcc, s25, v4
	s_and_saveexec_b64 s[22:23], vcc
	s_cbranch_execz .LBB216_1362
; %bb.1361:                             ;   in Loop: Header=BB216_800 Depth=1
	v_and_b32_e32 v25, 7, v8
	v_lshrrev_b32_e32 v27, 3, v4
	v_cmp_gt_u32_e32 vcc, 8, v4
	v_ffbh_u32_e32 v4, v25
	v_min_u32_e32 v4, 32, v4
	v_subrev_u32_e32 v21, 28, v4
	v_lshlrev_b64 v[21:22], v21, v[8:9]
	v_sub_u32_e32 v4, 29, v4
	v_and_b32_e32 v21, 7, v21
	v_cndmask_b32_e32 v4, v27, v4, vcc
	v_cndmask_b32_e32 v21, v25, v21, vcc
	v_bfrev_b32_e32 v22, 60
	v_lshlrev_b32_e32 v21, 20, v21
	v_and_b32_sdwa v8, sext(v8), s26 dst_sel:DWORD dst_unused:UNUSED_PAD src0_sel:BYTE_0 src1_sel:DWORD
	v_lshl_add_u32 v4, v4, 23, v22
	v_or3_b32 v21, v8, v4, v21
	v_mov_b32_e32 v22, v6
.LBB216_1362:                           ;   in Loop: Header=BB216_800 Depth=1
	s_or_b64 exec, exec, s[22:23]
.LBB216_1363:                           ;   in Loop: Header=BB216_800 Depth=1
	s_or_b64 exec, exec, s[20:21]
.LBB216_1364:                           ;   in Loop: Header=BB216_800 Depth=1
	s_or_b64 exec, exec, s[10:11]
	v_cmp_lt_u32_e32 vcc, s27, v16
	s_and_saveexec_b64 s[10:11], vcc
	s_cbranch_execz .LBB216_1370
; %bb.1365:                             ;   in Loop: Header=BB216_800 Depth=1
	v_mov_b32_e32 v24, v7
	v_cmp_ne_u32_sdwa s[22:23], v16, s24 src0_sel:BYTE_3 src1_sel:DWORD
	v_mov_b32_e32 v23, v6
	s_and_saveexec_b64 s[20:21], s[22:23]
	s_cbranch_execz .LBB216_1369
; %bb.1366:                             ;   in Loop: Header=BB216_800 Depth=1
	v_bfe_u32 v4, v16, 24, 7
	v_mov_b32_e32 v8, v6
	v_mov_b32_e32 v24, v9
	v_cmp_ne_u32_e32 vcc, s25, v4
	v_mov_b32_e32 v23, v8
	s_and_saveexec_b64 s[22:23], vcc
	s_cbranch_execz .LBB216_1368
; %bb.1367:                             ;   in Loop: Header=BB216_800 Depth=1
	v_mov_b32_e32 v8, 7
	v_and_b32_sdwa v23, v16, v8 dst_sel:DWORD dst_unused:UNUSED_PAD src0_sel:BYTE_3 src1_sel:DWORD
	v_lshrrev_b32_e32 v8, 3, v4
	v_cmp_gt_u32_e32 vcc, 8, v4
	v_ffbh_u32_e32 v4, v23
	v_min_u32_e32 v4, 32, v4
	v_mov_b32_e32 v24, v6
	v_subrev_u32_e32 v25, 28, v4
	v_lshlrev_b64 v[24:25], v25, v[23:24]
	v_sub_u32_e32 v4, 29, v4
	v_and_b32_e32 v24, 7, v24
	v_cndmask_b32_e32 v4, v8, v4, vcc
	v_cndmask_b32_e32 v8, v23, v24, vcc
	v_mov_b32_e32 v23, 24
	v_lshlrev_b32_sdwa v16, v23, v16 dst_sel:DWORD dst_unused:UNUSED_PAD src0_sel:DWORD src1_sel:BYTE_3
	v_bfrev_b32_e32 v23, 60
	v_lshl_add_u32 v4, v4, 23, v23
	v_and_or_b32 v4, v16, s26, v4
	v_lshlrev_b32_e32 v8, 20, v8
	v_or_b32_e32 v24, v4, v8
	v_mov_b32_e32 v23, v6
.LBB216_1368:                           ;   in Loop: Header=BB216_800 Depth=1
	s_or_b64 exec, exec, s[22:23]
.LBB216_1369:                           ;   in Loop: Header=BB216_800 Depth=1
	s_or_b64 exec, exec, s[20:21]
.LBB216_1370:                           ;   in Loop: Header=BB216_800 Depth=1
	s_or_b64 exec, exec, s[10:11]
	v_or_b32_e32 v4, v20, v18
	v_or_b32_e32 v8, v19, v17
	v_mul_f32_e32 v4, v63, v4
	buffer_store_dword v4, off, s[0:3], s32 offset:756 ; 4-byte Folded Spill
	v_mul_f32_e32 v4, v26, v8
	buffer_store_dword v4, off, s[0:3], s32 offset:740 ; 4-byte Folded Spill
	v_or_b32_e32 v4, v24, v22
	v_or_b32_e32 v8, v23, v21
	v_mul_f32_e32 v8, v26, v8
	v_mul_f32_e32 v4, v63, v4
	buffer_store_dword v8, off, s[0:3], s32 offset:748 ; 4-byte Folded Spill
	buffer_store_dword v4, off, s[0:3], s32 offset:732 ; 4-byte Folded Spill
	s_and_saveexec_b64 s[10:11], s[4:5]
	s_cbranch_execz .LBB216_1372
; %bb.1371:                             ;   in Loop: Header=BB216_800 Depth=1
	buffer_load_dword v4, off, s[0:3], s32 offset:72 ; 4-byte Folded Reload
	v_add_u32_e32 v8, -3, v5
	s_waitcnt vmcnt(0)
	v_cmp_lt_i32_e32 vcc, v8, v4
	buffer_load_dword v8, off, s[0:3], s32 offset:740 ; 4-byte Folded Reload
	s_waitcnt vmcnt(0)
	v_cndmask_b32_e32 v8, 0, v8, vcc
	buffer_store_dword v8, off, s[0:3], s32 offset:740 ; 4-byte Folded Spill
	v_add_u32_e32 v8, -2, v5
	v_cmp_lt_i32_e32 vcc, v8, v4
	buffer_load_dword v8, off, s[0:3], s32 offset:756 ; 4-byte Folded Reload
	s_waitcnt vmcnt(0)
	v_cndmask_b32_e32 v8, 0, v8, vcc
	buffer_store_dword v8, off, s[0:3], s32 offset:756 ; 4-byte Folded Spill
	v_add_u32_e32 v8, -1, v5
	v_cmp_lt_i32_e32 vcc, v8, v4
	buffer_load_dword v8, off, s[0:3], s32 offset:748 ; 4-byte Folded Reload
	s_waitcnt vmcnt(0)
	v_cndmask_b32_e32 v8, 0, v8, vcc
	v_cmp_lt_i32_e32 vcc, v5, v4
	buffer_load_dword v4, off, s[0:3], s32 offset:732 ; 4-byte Folded Reload
	s_waitcnt vmcnt(0)
	v_cndmask_b32_e32 v4, 0, v4, vcc
	buffer_store_dword v8, off, s[0:3], s32 offset:748 ; 4-byte Folded Spill
	buffer_store_dword v4, off, s[0:3], s32 offset:732 ; 4-byte Folded Spill
.LBB216_1372:                           ;   in Loop: Header=BB216_800 Depth=1
	s_or_b64 exec, exec, s[10:11]
	v_add_co_u32_e32 v16, vcc, 0x1000, v14
	v_addc_co_u32_e32 v17, vcc, 0, v15, vcc
	flat_load_dword v16, v[16:17] offset:1536
	v_mov_b32_e32 v19, 0
	v_mov_b32_e32 v17, 0
	;; [unrolled: 1-line block ×4, first 2 shown]
	s_waitcnt vmcnt(0) lgkmcnt(0)
	v_cmp_ne_u16_sdwa s[20:21], v16, v6 src0_sel:BYTE_0 src1_sel:DWORD
	s_and_saveexec_b64 s[10:11], s[20:21]
	s_cbranch_execz .LBB216_1378
; %bb.1373:                             ;   in Loop: Header=BB216_800 Depth=1
	v_bfrev_b32_e32 v17, 1
	v_mov_b32_e32 v18, 0
	v_cmp_ne_u16_sdwa s[22:23], v16, s24 src0_sel:BYTE_0 src1_sel:DWORD
	s_and_saveexec_b64 s[20:21], s[22:23]
	s_cbranch_execz .LBB216_1377
; %bb.1374:                             ;   in Loop: Header=BB216_800 Depth=1
	v_and_b32_e32 v4, 0x7f, v16
	v_mov_b32_e32 v17, 0x7f800001
	v_mov_b32_e32 v18, 0
	v_cmp_ne_u32_e32 vcc, s25, v4
	s_and_saveexec_b64 s[22:23], vcc
	s_cbranch_execz .LBB216_1376
; %bb.1375:                             ;   in Loop: Header=BB216_800 Depth=1
	v_and_b32_e32 v8, 7, v16
	v_lshrrev_b32_e32 v21, 3, v4
	v_cmp_gt_u32_e32 vcc, 8, v4
	v_ffbh_u32_e32 v4, v8
	v_min_u32_e32 v4, 32, v4
	v_subrev_u32_e32 v17, 28, v4
	v_lshlrev_b64 v[17:18], v17, v[16:17]
	v_sub_u32_e32 v4, 29, v4
	v_and_b32_e32 v17, 7, v17
	v_cndmask_b32_e32 v4, v21, v4, vcc
	v_cndmask_b32_e32 v8, v8, v17, vcc
	v_bfrev_b32_e32 v18, 60
	v_lshlrev_b32_e32 v8, 20, v8
	v_and_b32_sdwa v17, sext(v16), s26 dst_sel:DWORD dst_unused:UNUSED_PAD src0_sel:BYTE_0 src1_sel:DWORD
	v_lshl_add_u32 v4, v4, 23, v18
	v_or3_b32 v17, v17, v4, v8
	v_mov_b32_e32 v18, v6
.LBB216_1376:                           ;   in Loop: Header=BB216_800 Depth=1
	s_or_b64 exec, exec, s[22:23]
.LBB216_1377:                           ;   in Loop: Header=BB216_800 Depth=1
	s_or_b64 exec, exec, s[20:21]
.LBB216_1378:                           ;   in Loop: Header=BB216_800 Depth=1
	s_or_b64 exec, exec, s[10:11]
	v_cmp_ne_u16_sdwa s[20:21], v16, v6 src0_sel:BYTE_1 src1_sel:DWORD
	s_and_saveexec_b64 s[10:11], s[20:21]
	s_cbranch_execz .LBB216_1384
; %bb.1379:                             ;   in Loop: Header=BB216_800 Depth=1
	v_mov_b32_e32 v20, v7
	v_cmp_ne_u16_sdwa s[22:23], v16, s24 src0_sel:BYTE_1 src1_sel:DWORD
	v_mov_b32_e32 v19, v6
	s_and_saveexec_b64 s[20:21], s[22:23]
	s_cbranch_execz .LBB216_1383
; %bb.1380:                             ;   in Loop: Header=BB216_800 Depth=1
	v_and_b32_sdwa v4, v16, s25 dst_sel:DWORD dst_unused:UNUSED_PAD src0_sel:BYTE_1 src1_sel:DWORD
	v_mov_b32_e32 v8, v6
	v_mov_b32_e32 v20, v9
	v_cmp_ne_u32_e32 vcc, s25, v4
	v_mov_b32_e32 v19, v8
	s_and_saveexec_b64 s[22:23], vcc
	s_cbranch_execz .LBB216_1382
; %bb.1381:                             ;   in Loop: Header=BB216_800 Depth=1
	v_mov_b32_e32 v8, 7
	v_and_b32_sdwa v19, v16, v8 dst_sel:DWORD dst_unused:UNUSED_PAD src0_sel:BYTE_1 src1_sel:DWORD
	v_lshrrev_b32_e32 v8, 3, v4
	v_cmp_gt_u32_e32 vcc, 8, v4
	v_ffbh_u32_e32 v4, v19
	v_min_u32_e32 v4, 32, v4
	v_mov_b32_e32 v20, v6
	v_subrev_u32_e32 v21, 28, v4
	v_lshlrev_b64 v[20:21], v21, v[19:20]
	v_sub_u32_e32 v4, 29, v4
	v_and_b32_e32 v20, 7, v20
	v_cndmask_b32_e32 v4, v8, v4, vcc
	v_cndmask_b32_e32 v8, v19, v20, vcc
	v_bfrev_b32_e32 v20, 60
	v_lshlrev_b32_e32 v19, 16, v16
	v_lshl_add_u32 v4, v4, 23, v20
	v_and_or_b32 v4, v19, s26, v4
	v_lshlrev_b32_e32 v8, 20, v8
	v_or_b32_e32 v20, v4, v8
	v_mov_b32_e32 v19, v6
.LBB216_1382:                           ;   in Loop: Header=BB216_800 Depth=1
	s_or_b64 exec, exec, s[22:23]
.LBB216_1383:                           ;   in Loop: Header=BB216_800 Depth=1
	s_or_b64 exec, exec, s[20:21]
.LBB216_1384:                           ;   in Loop: Header=BB216_800 Depth=1
	s_or_b64 exec, exec, s[10:11]
	v_lshrrev_b32_e32 v8, 16, v16
	v_mov_b32_e32 v23, 0
	v_mov_b32_e32 v21, 0
	;; [unrolled: 1-line block ×4, first 2 shown]
	v_cmp_ne_u16_sdwa s[20:21], v8, v6 src0_sel:BYTE_0 src1_sel:DWORD
	s_and_saveexec_b64 s[10:11], s[20:21]
	s_cbranch_execz .LBB216_1390
; %bb.1385:                             ;   in Loop: Header=BB216_800 Depth=1
	v_bfrev_b32_e32 v21, 1
	v_mov_b32_e32 v22, 0
	v_cmp_ne_u16_sdwa s[22:23], v8, s24 src0_sel:BYTE_0 src1_sel:DWORD
	s_and_saveexec_b64 s[20:21], s[22:23]
	s_cbranch_execz .LBB216_1389
; %bb.1386:                             ;   in Loop: Header=BB216_800 Depth=1
	v_bfe_u32 v4, v16, 16, 7
	v_mov_b32_e32 v21, 0x7f800001
	v_mov_b32_e32 v22, 0
	v_cmp_ne_u32_e32 vcc, s25, v4
	s_and_saveexec_b64 s[22:23], vcc
	s_cbranch_execz .LBB216_1388
; %bb.1387:                             ;   in Loop: Header=BB216_800 Depth=1
	v_and_b32_e32 v25, 7, v8
	v_lshrrev_b32_e32 v27, 3, v4
	v_cmp_gt_u32_e32 vcc, 8, v4
	v_ffbh_u32_e32 v4, v25
	v_min_u32_e32 v4, 32, v4
	v_subrev_u32_e32 v21, 28, v4
	v_lshlrev_b64 v[21:22], v21, v[8:9]
	v_sub_u32_e32 v4, 29, v4
	v_and_b32_e32 v21, 7, v21
	v_cndmask_b32_e32 v4, v27, v4, vcc
	v_cndmask_b32_e32 v21, v25, v21, vcc
	v_bfrev_b32_e32 v22, 60
	v_lshlrev_b32_e32 v21, 20, v21
	v_and_b32_sdwa v8, sext(v8), s26 dst_sel:DWORD dst_unused:UNUSED_PAD src0_sel:BYTE_0 src1_sel:DWORD
	v_lshl_add_u32 v4, v4, 23, v22
	v_or3_b32 v21, v8, v4, v21
	v_mov_b32_e32 v22, v6
.LBB216_1388:                           ;   in Loop: Header=BB216_800 Depth=1
	s_or_b64 exec, exec, s[22:23]
.LBB216_1389:                           ;   in Loop: Header=BB216_800 Depth=1
	s_or_b64 exec, exec, s[20:21]
.LBB216_1390:                           ;   in Loop: Header=BB216_800 Depth=1
	s_or_b64 exec, exec, s[10:11]
	v_cmp_lt_u32_e32 vcc, s27, v16
	s_and_saveexec_b64 s[10:11], vcc
	s_cbranch_execz .LBB216_1396
; %bb.1391:                             ;   in Loop: Header=BB216_800 Depth=1
	v_mov_b32_e32 v24, v7
	v_cmp_ne_u32_sdwa s[22:23], v16, s24 src0_sel:BYTE_3 src1_sel:DWORD
	v_mov_b32_e32 v23, v6
	s_and_saveexec_b64 s[20:21], s[22:23]
	s_cbranch_execz .LBB216_1395
; %bb.1392:                             ;   in Loop: Header=BB216_800 Depth=1
	v_bfe_u32 v4, v16, 24, 7
	v_mov_b32_e32 v8, v6
	v_mov_b32_e32 v24, v9
	v_cmp_ne_u32_e32 vcc, s25, v4
	v_mov_b32_e32 v23, v8
	s_and_saveexec_b64 s[22:23], vcc
	s_cbranch_execz .LBB216_1394
; %bb.1393:                             ;   in Loop: Header=BB216_800 Depth=1
	v_mov_b32_e32 v8, 7
	v_and_b32_sdwa v23, v16, v8 dst_sel:DWORD dst_unused:UNUSED_PAD src0_sel:BYTE_3 src1_sel:DWORD
	v_lshrrev_b32_e32 v8, 3, v4
	v_cmp_gt_u32_e32 vcc, 8, v4
	v_ffbh_u32_e32 v4, v23
	v_min_u32_e32 v4, 32, v4
	v_mov_b32_e32 v24, v6
	v_subrev_u32_e32 v25, 28, v4
	v_lshlrev_b64 v[24:25], v25, v[23:24]
	v_sub_u32_e32 v4, 29, v4
	v_and_b32_e32 v24, 7, v24
	v_cndmask_b32_e32 v4, v8, v4, vcc
	v_cndmask_b32_e32 v8, v23, v24, vcc
	v_mov_b32_e32 v23, 24
	v_lshlrev_b32_sdwa v16, v23, v16 dst_sel:DWORD dst_unused:UNUSED_PAD src0_sel:DWORD src1_sel:BYTE_3
	v_bfrev_b32_e32 v23, 60
	v_lshl_add_u32 v4, v4, 23, v23
	v_and_or_b32 v4, v16, s26, v4
	v_lshlrev_b32_e32 v8, 20, v8
	v_or_b32_e32 v24, v4, v8
	v_mov_b32_e32 v23, v6
.LBB216_1394:                           ;   in Loop: Header=BB216_800 Depth=1
	s_or_b64 exec, exec, s[22:23]
.LBB216_1395:                           ;   in Loop: Header=BB216_800 Depth=1
	s_or_b64 exec, exec, s[20:21]
.LBB216_1396:                           ;   in Loop: Header=BB216_800 Depth=1
	s_or_b64 exec, exec, s[10:11]
	v_or_b32_e32 v4, v20, v18
	v_or_b32_e32 v8, v19, v17
	v_mul_f32_e32 v4, v63, v4
	buffer_store_dword v4, off, s[0:3], s32 offset:788 ; 4-byte Folded Spill
	v_mul_f32_e32 v4, v26, v8
	buffer_store_dword v4, off, s[0:3], s32 offset:772 ; 4-byte Folded Spill
	v_or_b32_e32 v4, v24, v22
	v_or_b32_e32 v8, v23, v21
	v_mul_f32_e32 v8, v26, v8
	v_mul_f32_e32 v4, v63, v4
	buffer_store_dword v8, off, s[0:3], s32 offset:780 ; 4-byte Folded Spill
	buffer_store_dword v4, off, s[0:3], s32 offset:764 ; 4-byte Folded Spill
	s_and_saveexec_b64 s[10:11], s[4:5]
	s_cbranch_execz .LBB216_1398
; %bb.1397:                             ;   in Loop: Header=BB216_800 Depth=1
	buffer_load_dword v4, off, s[0:3], s32 offset:72 ; 4-byte Folded Reload
	v_add_u32_e32 v8, -3, v5
	s_waitcnt vmcnt(0)
	v_cmp_lt_i32_e32 vcc, v8, v4
	buffer_load_dword v8, off, s[0:3], s32 offset:772 ; 4-byte Folded Reload
	s_waitcnt vmcnt(0)
	v_cndmask_b32_e32 v8, 0, v8, vcc
	buffer_store_dword v8, off, s[0:3], s32 offset:772 ; 4-byte Folded Spill
	v_add_u32_e32 v8, -2, v5
	v_cmp_lt_i32_e32 vcc, v8, v4
	buffer_load_dword v8, off, s[0:3], s32 offset:788 ; 4-byte Folded Reload
	s_waitcnt vmcnt(0)
	v_cndmask_b32_e32 v8, 0, v8, vcc
	buffer_store_dword v8, off, s[0:3], s32 offset:788 ; 4-byte Folded Spill
	v_add_u32_e32 v8, -1, v5
	v_cmp_lt_i32_e32 vcc, v8, v4
	buffer_load_dword v8, off, s[0:3], s32 offset:780 ; 4-byte Folded Reload
	s_waitcnt vmcnt(0)
	v_cndmask_b32_e32 v8, 0, v8, vcc
	v_cmp_lt_i32_e32 vcc, v5, v4
	buffer_load_dword v4, off, s[0:3], s32 offset:764 ; 4-byte Folded Reload
	s_waitcnt vmcnt(0)
	v_cndmask_b32_e32 v4, 0, v4, vcc
	buffer_store_dword v8, off, s[0:3], s32 offset:780 ; 4-byte Folded Spill
	buffer_store_dword v4, off, s[0:3], s32 offset:764 ; 4-byte Folded Spill
.LBB216_1398:                           ;   in Loop: Header=BB216_800 Depth=1
	s_or_b64 exec, exec, s[10:11]
	v_add_co_u32_e32 v16, vcc, 0x1000, v14
	v_addc_co_u32_e32 v17, vcc, 0, v15, vcc
	flat_load_dword v16, v[16:17] offset:1792
	v_mov_b32_e32 v19, 0
	v_mov_b32_e32 v17, 0
	;; [unrolled: 1-line block ×4, first 2 shown]
	s_waitcnt vmcnt(0) lgkmcnt(0)
	v_cmp_ne_u16_sdwa s[20:21], v16, v6 src0_sel:BYTE_0 src1_sel:DWORD
	s_and_saveexec_b64 s[10:11], s[20:21]
	s_cbranch_execz .LBB216_1404
; %bb.1399:                             ;   in Loop: Header=BB216_800 Depth=1
	v_bfrev_b32_e32 v17, 1
	v_mov_b32_e32 v18, 0
	v_cmp_ne_u16_sdwa s[22:23], v16, s24 src0_sel:BYTE_0 src1_sel:DWORD
	s_and_saveexec_b64 s[20:21], s[22:23]
	s_cbranch_execz .LBB216_1403
; %bb.1400:                             ;   in Loop: Header=BB216_800 Depth=1
	v_and_b32_e32 v4, 0x7f, v16
	v_mov_b32_e32 v17, 0x7f800001
	v_mov_b32_e32 v18, 0
	v_cmp_ne_u32_e32 vcc, s25, v4
	s_and_saveexec_b64 s[22:23], vcc
	s_cbranch_execz .LBB216_1402
; %bb.1401:                             ;   in Loop: Header=BB216_800 Depth=1
	v_and_b32_e32 v8, 7, v16
	v_lshrrev_b32_e32 v21, 3, v4
	v_cmp_gt_u32_e32 vcc, 8, v4
	v_ffbh_u32_e32 v4, v8
	v_min_u32_e32 v4, 32, v4
	v_subrev_u32_e32 v17, 28, v4
	v_lshlrev_b64 v[17:18], v17, v[16:17]
	v_sub_u32_e32 v4, 29, v4
	v_and_b32_e32 v17, 7, v17
	v_cndmask_b32_e32 v4, v21, v4, vcc
	v_cndmask_b32_e32 v8, v8, v17, vcc
	v_bfrev_b32_e32 v18, 60
	v_lshlrev_b32_e32 v8, 20, v8
	v_and_b32_sdwa v17, sext(v16), s26 dst_sel:DWORD dst_unused:UNUSED_PAD src0_sel:BYTE_0 src1_sel:DWORD
	v_lshl_add_u32 v4, v4, 23, v18
	v_or3_b32 v17, v17, v4, v8
	v_mov_b32_e32 v18, v6
.LBB216_1402:                           ;   in Loop: Header=BB216_800 Depth=1
	s_or_b64 exec, exec, s[22:23]
.LBB216_1403:                           ;   in Loop: Header=BB216_800 Depth=1
	s_or_b64 exec, exec, s[20:21]
.LBB216_1404:                           ;   in Loop: Header=BB216_800 Depth=1
	s_or_b64 exec, exec, s[10:11]
	v_cmp_ne_u16_sdwa s[20:21], v16, v6 src0_sel:BYTE_1 src1_sel:DWORD
	s_and_saveexec_b64 s[10:11], s[20:21]
	s_cbranch_execz .LBB216_1410
; %bb.1405:                             ;   in Loop: Header=BB216_800 Depth=1
	v_mov_b32_e32 v20, v7
	v_cmp_ne_u16_sdwa s[22:23], v16, s24 src0_sel:BYTE_1 src1_sel:DWORD
	v_mov_b32_e32 v19, v6
	s_and_saveexec_b64 s[20:21], s[22:23]
	s_cbranch_execz .LBB216_1409
; %bb.1406:                             ;   in Loop: Header=BB216_800 Depth=1
	v_and_b32_sdwa v4, v16, s25 dst_sel:DWORD dst_unused:UNUSED_PAD src0_sel:BYTE_1 src1_sel:DWORD
	v_mov_b32_e32 v8, v6
	v_mov_b32_e32 v20, v9
	v_cmp_ne_u32_e32 vcc, s25, v4
	v_mov_b32_e32 v19, v8
	s_and_saveexec_b64 s[22:23], vcc
	s_cbranch_execz .LBB216_1408
; %bb.1407:                             ;   in Loop: Header=BB216_800 Depth=1
	v_mov_b32_e32 v8, 7
	v_and_b32_sdwa v19, v16, v8 dst_sel:DWORD dst_unused:UNUSED_PAD src0_sel:BYTE_1 src1_sel:DWORD
	v_lshrrev_b32_e32 v8, 3, v4
	v_cmp_gt_u32_e32 vcc, 8, v4
	v_ffbh_u32_e32 v4, v19
	v_min_u32_e32 v4, 32, v4
	v_mov_b32_e32 v20, v6
	v_subrev_u32_e32 v21, 28, v4
	v_lshlrev_b64 v[20:21], v21, v[19:20]
	v_sub_u32_e32 v4, 29, v4
	v_and_b32_e32 v20, 7, v20
	v_cndmask_b32_e32 v4, v8, v4, vcc
	v_cndmask_b32_e32 v8, v19, v20, vcc
	v_bfrev_b32_e32 v20, 60
	v_lshlrev_b32_e32 v19, 16, v16
	v_lshl_add_u32 v4, v4, 23, v20
	v_and_or_b32 v4, v19, s26, v4
	v_lshlrev_b32_e32 v8, 20, v8
	v_or_b32_e32 v20, v4, v8
	v_mov_b32_e32 v19, v6
.LBB216_1408:                           ;   in Loop: Header=BB216_800 Depth=1
	s_or_b64 exec, exec, s[22:23]
.LBB216_1409:                           ;   in Loop: Header=BB216_800 Depth=1
	s_or_b64 exec, exec, s[20:21]
.LBB216_1410:                           ;   in Loop: Header=BB216_800 Depth=1
	s_or_b64 exec, exec, s[10:11]
	v_lshrrev_b32_e32 v8, 16, v16
	v_mov_b32_e32 v23, 0
	v_mov_b32_e32 v21, 0
	;; [unrolled: 1-line block ×4, first 2 shown]
	v_cmp_ne_u16_sdwa s[20:21], v8, v6 src0_sel:BYTE_0 src1_sel:DWORD
	s_and_saveexec_b64 s[10:11], s[20:21]
	s_cbranch_execz .LBB216_1416
; %bb.1411:                             ;   in Loop: Header=BB216_800 Depth=1
	v_bfrev_b32_e32 v21, 1
	v_mov_b32_e32 v22, 0
	v_cmp_ne_u16_sdwa s[22:23], v8, s24 src0_sel:BYTE_0 src1_sel:DWORD
	s_and_saveexec_b64 s[20:21], s[22:23]
	s_cbranch_execz .LBB216_1415
; %bb.1412:                             ;   in Loop: Header=BB216_800 Depth=1
	v_bfe_u32 v4, v16, 16, 7
	v_mov_b32_e32 v21, 0x7f800001
	v_mov_b32_e32 v22, 0
	v_cmp_ne_u32_e32 vcc, s25, v4
	s_and_saveexec_b64 s[22:23], vcc
	s_cbranch_execz .LBB216_1414
; %bb.1413:                             ;   in Loop: Header=BB216_800 Depth=1
	v_and_b32_e32 v25, 7, v8
	v_lshrrev_b32_e32 v27, 3, v4
	v_cmp_gt_u32_e32 vcc, 8, v4
	v_ffbh_u32_e32 v4, v25
	v_min_u32_e32 v4, 32, v4
	v_subrev_u32_e32 v21, 28, v4
	v_lshlrev_b64 v[21:22], v21, v[8:9]
	v_sub_u32_e32 v4, 29, v4
	v_and_b32_e32 v21, 7, v21
	v_cndmask_b32_e32 v4, v27, v4, vcc
	v_cndmask_b32_e32 v21, v25, v21, vcc
	v_bfrev_b32_e32 v22, 60
	v_lshlrev_b32_e32 v21, 20, v21
	v_and_b32_sdwa v8, sext(v8), s26 dst_sel:DWORD dst_unused:UNUSED_PAD src0_sel:BYTE_0 src1_sel:DWORD
	v_lshl_add_u32 v4, v4, 23, v22
	v_or3_b32 v21, v8, v4, v21
	v_mov_b32_e32 v22, v6
.LBB216_1414:                           ;   in Loop: Header=BB216_800 Depth=1
	s_or_b64 exec, exec, s[22:23]
.LBB216_1415:                           ;   in Loop: Header=BB216_800 Depth=1
	s_or_b64 exec, exec, s[20:21]
.LBB216_1416:                           ;   in Loop: Header=BB216_800 Depth=1
	s_or_b64 exec, exec, s[10:11]
	v_cmp_lt_u32_e32 vcc, s27, v16
	s_and_saveexec_b64 s[10:11], vcc
	s_cbranch_execz .LBB216_1422
; %bb.1417:                             ;   in Loop: Header=BB216_800 Depth=1
	v_mov_b32_e32 v24, v7
	v_cmp_ne_u32_sdwa s[22:23], v16, s24 src0_sel:BYTE_3 src1_sel:DWORD
	v_mov_b32_e32 v23, v6
	s_and_saveexec_b64 s[20:21], s[22:23]
	s_cbranch_execz .LBB216_1421
; %bb.1418:                             ;   in Loop: Header=BB216_800 Depth=1
	v_bfe_u32 v4, v16, 24, 7
	v_mov_b32_e32 v8, v6
	v_mov_b32_e32 v24, v9
	v_cmp_ne_u32_e32 vcc, s25, v4
	v_mov_b32_e32 v23, v8
	s_and_saveexec_b64 s[22:23], vcc
	s_cbranch_execz .LBB216_1420
; %bb.1419:                             ;   in Loop: Header=BB216_800 Depth=1
	v_mov_b32_e32 v8, 7
	v_and_b32_sdwa v23, v16, v8 dst_sel:DWORD dst_unused:UNUSED_PAD src0_sel:BYTE_3 src1_sel:DWORD
	v_lshrrev_b32_e32 v8, 3, v4
	v_cmp_gt_u32_e32 vcc, 8, v4
	v_ffbh_u32_e32 v4, v23
	v_min_u32_e32 v4, 32, v4
	v_mov_b32_e32 v24, v6
	v_subrev_u32_e32 v25, 28, v4
	v_lshlrev_b64 v[24:25], v25, v[23:24]
	v_sub_u32_e32 v4, 29, v4
	v_and_b32_e32 v24, 7, v24
	v_cndmask_b32_e32 v4, v8, v4, vcc
	v_cndmask_b32_e32 v8, v23, v24, vcc
	v_mov_b32_e32 v23, 24
	v_lshlrev_b32_sdwa v16, v23, v16 dst_sel:DWORD dst_unused:UNUSED_PAD src0_sel:DWORD src1_sel:BYTE_3
	v_bfrev_b32_e32 v23, 60
	v_lshl_add_u32 v4, v4, 23, v23
	v_and_or_b32 v4, v16, s26, v4
	v_lshlrev_b32_e32 v8, 20, v8
	v_or_b32_e32 v24, v4, v8
	v_mov_b32_e32 v23, v6
.LBB216_1420:                           ;   in Loop: Header=BB216_800 Depth=1
	s_or_b64 exec, exec, s[22:23]
.LBB216_1421:                           ;   in Loop: Header=BB216_800 Depth=1
	s_or_b64 exec, exec, s[20:21]
.LBB216_1422:                           ;   in Loop: Header=BB216_800 Depth=1
	s_or_b64 exec, exec, s[10:11]
	v_or_b32_e32 v4, v20, v18
	v_or_b32_e32 v8, v19, v17
	v_mul_f32_e32 v4, v63, v4
	buffer_store_dword v4, off, s[0:3], s32 offset:820 ; 4-byte Folded Spill
	v_mul_f32_e32 v4, v26, v8
	buffer_store_dword v4, off, s[0:3], s32 offset:804 ; 4-byte Folded Spill
	v_or_b32_e32 v4, v24, v22
	v_or_b32_e32 v8, v23, v21
	v_mul_f32_e32 v8, v26, v8
	v_mul_f32_e32 v4, v63, v4
	buffer_store_dword v8, off, s[0:3], s32 offset:812 ; 4-byte Folded Spill
	buffer_store_dword v4, off, s[0:3], s32 offset:796 ; 4-byte Folded Spill
	s_and_saveexec_b64 s[10:11], s[4:5]
	s_cbranch_execz .LBB216_1424
; %bb.1423:                             ;   in Loop: Header=BB216_800 Depth=1
	buffer_load_dword v4, off, s[0:3], s32 offset:72 ; 4-byte Folded Reload
	v_add_u32_e32 v8, -3, v5
	s_waitcnt vmcnt(0)
	v_cmp_lt_i32_e32 vcc, v8, v4
	buffer_load_dword v8, off, s[0:3], s32 offset:804 ; 4-byte Folded Reload
	s_waitcnt vmcnt(0)
	v_cndmask_b32_e32 v8, 0, v8, vcc
	buffer_store_dword v8, off, s[0:3], s32 offset:804 ; 4-byte Folded Spill
	v_add_u32_e32 v8, -2, v5
	v_cmp_lt_i32_e32 vcc, v8, v4
	buffer_load_dword v8, off, s[0:3], s32 offset:820 ; 4-byte Folded Reload
	s_waitcnt vmcnt(0)
	v_cndmask_b32_e32 v8, 0, v8, vcc
	buffer_store_dword v8, off, s[0:3], s32 offset:820 ; 4-byte Folded Spill
	v_add_u32_e32 v8, -1, v5
	v_cmp_lt_i32_e32 vcc, v8, v4
	buffer_load_dword v8, off, s[0:3], s32 offset:812 ; 4-byte Folded Reload
	s_waitcnt vmcnt(0)
	v_cndmask_b32_e32 v8, 0, v8, vcc
	v_cmp_lt_i32_e32 vcc, v5, v4
	buffer_load_dword v4, off, s[0:3], s32 offset:796 ; 4-byte Folded Reload
	s_waitcnt vmcnt(0)
	v_cndmask_b32_e32 v4, 0, v4, vcc
	buffer_store_dword v8, off, s[0:3], s32 offset:812 ; 4-byte Folded Spill
	buffer_store_dword v4, off, s[0:3], s32 offset:796 ; 4-byte Folded Spill
.LBB216_1424:                           ;   in Loop: Header=BB216_800 Depth=1
	s_or_b64 exec, exec, s[10:11]
	v_add_co_u32_e32 v16, vcc, 0x1000, v14
	v_addc_co_u32_e32 v17, vcc, 0, v15, vcc
	flat_load_dword v16, v[16:17] offset:2048
	v_mov_b32_e32 v19, 0
	v_mov_b32_e32 v17, 0
	;; [unrolled: 1-line block ×4, first 2 shown]
	s_waitcnt vmcnt(0) lgkmcnt(0)
	v_cmp_ne_u16_sdwa s[20:21], v16, v6 src0_sel:BYTE_0 src1_sel:DWORD
	s_and_saveexec_b64 s[10:11], s[20:21]
	s_cbranch_execz .LBB216_1430
; %bb.1425:                             ;   in Loop: Header=BB216_800 Depth=1
	v_bfrev_b32_e32 v17, 1
	v_mov_b32_e32 v18, 0
	v_cmp_ne_u16_sdwa s[22:23], v16, s24 src0_sel:BYTE_0 src1_sel:DWORD
	s_and_saveexec_b64 s[20:21], s[22:23]
	s_cbranch_execz .LBB216_1429
; %bb.1426:                             ;   in Loop: Header=BB216_800 Depth=1
	v_and_b32_e32 v4, 0x7f, v16
	v_mov_b32_e32 v17, 0x7f800001
	v_mov_b32_e32 v18, 0
	v_cmp_ne_u32_e32 vcc, s25, v4
	s_and_saveexec_b64 s[22:23], vcc
	s_cbranch_execz .LBB216_1428
; %bb.1427:                             ;   in Loop: Header=BB216_800 Depth=1
	v_and_b32_e32 v8, 7, v16
	v_lshrrev_b32_e32 v21, 3, v4
	v_cmp_gt_u32_e32 vcc, 8, v4
	v_ffbh_u32_e32 v4, v8
	v_min_u32_e32 v4, 32, v4
	v_subrev_u32_e32 v17, 28, v4
	v_lshlrev_b64 v[17:18], v17, v[16:17]
	v_sub_u32_e32 v4, 29, v4
	v_and_b32_e32 v17, 7, v17
	v_cndmask_b32_e32 v4, v21, v4, vcc
	v_cndmask_b32_e32 v8, v8, v17, vcc
	v_bfrev_b32_e32 v18, 60
	v_lshlrev_b32_e32 v8, 20, v8
	v_and_b32_sdwa v17, sext(v16), s26 dst_sel:DWORD dst_unused:UNUSED_PAD src0_sel:BYTE_0 src1_sel:DWORD
	v_lshl_add_u32 v4, v4, 23, v18
	v_or3_b32 v17, v17, v4, v8
	v_mov_b32_e32 v18, v6
.LBB216_1428:                           ;   in Loop: Header=BB216_800 Depth=1
	s_or_b64 exec, exec, s[22:23]
.LBB216_1429:                           ;   in Loop: Header=BB216_800 Depth=1
	s_or_b64 exec, exec, s[20:21]
.LBB216_1430:                           ;   in Loop: Header=BB216_800 Depth=1
	s_or_b64 exec, exec, s[10:11]
	v_cmp_ne_u16_sdwa s[20:21], v16, v6 src0_sel:BYTE_1 src1_sel:DWORD
	s_and_saveexec_b64 s[10:11], s[20:21]
	s_cbranch_execz .LBB216_1436
; %bb.1431:                             ;   in Loop: Header=BB216_800 Depth=1
	v_mov_b32_e32 v20, v7
	v_cmp_ne_u16_sdwa s[22:23], v16, s24 src0_sel:BYTE_1 src1_sel:DWORD
	v_mov_b32_e32 v19, v6
	s_and_saveexec_b64 s[20:21], s[22:23]
	s_cbranch_execz .LBB216_1435
; %bb.1432:                             ;   in Loop: Header=BB216_800 Depth=1
	v_and_b32_sdwa v4, v16, s25 dst_sel:DWORD dst_unused:UNUSED_PAD src0_sel:BYTE_1 src1_sel:DWORD
	v_mov_b32_e32 v8, v6
	v_mov_b32_e32 v20, v9
	v_cmp_ne_u32_e32 vcc, s25, v4
	v_mov_b32_e32 v19, v8
	s_and_saveexec_b64 s[22:23], vcc
	s_cbranch_execz .LBB216_1434
; %bb.1433:                             ;   in Loop: Header=BB216_800 Depth=1
	v_mov_b32_e32 v8, 7
	v_and_b32_sdwa v19, v16, v8 dst_sel:DWORD dst_unused:UNUSED_PAD src0_sel:BYTE_1 src1_sel:DWORD
	v_lshrrev_b32_e32 v8, 3, v4
	v_cmp_gt_u32_e32 vcc, 8, v4
	v_ffbh_u32_e32 v4, v19
	v_min_u32_e32 v4, 32, v4
	v_mov_b32_e32 v20, v6
	v_subrev_u32_e32 v21, 28, v4
	v_lshlrev_b64 v[20:21], v21, v[19:20]
	v_sub_u32_e32 v4, 29, v4
	v_and_b32_e32 v20, 7, v20
	v_cndmask_b32_e32 v4, v8, v4, vcc
	v_cndmask_b32_e32 v8, v19, v20, vcc
	v_bfrev_b32_e32 v20, 60
	v_lshlrev_b32_e32 v19, 16, v16
	v_lshl_add_u32 v4, v4, 23, v20
	v_and_or_b32 v4, v19, s26, v4
	v_lshlrev_b32_e32 v8, 20, v8
	v_or_b32_e32 v20, v4, v8
	v_mov_b32_e32 v19, v6
.LBB216_1434:                           ;   in Loop: Header=BB216_800 Depth=1
	s_or_b64 exec, exec, s[22:23]
.LBB216_1435:                           ;   in Loop: Header=BB216_800 Depth=1
	s_or_b64 exec, exec, s[20:21]
.LBB216_1436:                           ;   in Loop: Header=BB216_800 Depth=1
	s_or_b64 exec, exec, s[10:11]
	v_lshrrev_b32_e32 v8, 16, v16
	v_mov_b32_e32 v23, 0
	v_mov_b32_e32 v21, 0
	;; [unrolled: 1-line block ×4, first 2 shown]
	v_cmp_ne_u16_sdwa s[20:21], v8, v6 src0_sel:BYTE_0 src1_sel:DWORD
	s_and_saveexec_b64 s[10:11], s[20:21]
	s_cbranch_execz .LBB216_1442
; %bb.1437:                             ;   in Loop: Header=BB216_800 Depth=1
	v_bfrev_b32_e32 v21, 1
	v_mov_b32_e32 v22, 0
	v_cmp_ne_u16_sdwa s[22:23], v8, s24 src0_sel:BYTE_0 src1_sel:DWORD
	s_and_saveexec_b64 s[20:21], s[22:23]
	s_cbranch_execz .LBB216_1441
; %bb.1438:                             ;   in Loop: Header=BB216_800 Depth=1
	v_bfe_u32 v4, v16, 16, 7
	v_mov_b32_e32 v21, 0x7f800001
	v_mov_b32_e32 v22, 0
	v_cmp_ne_u32_e32 vcc, s25, v4
	s_and_saveexec_b64 s[22:23], vcc
	s_cbranch_execz .LBB216_1440
; %bb.1439:                             ;   in Loop: Header=BB216_800 Depth=1
	v_and_b32_e32 v25, 7, v8
	v_lshrrev_b32_e32 v27, 3, v4
	v_cmp_gt_u32_e32 vcc, 8, v4
	v_ffbh_u32_e32 v4, v25
	v_min_u32_e32 v4, 32, v4
	v_subrev_u32_e32 v21, 28, v4
	v_lshlrev_b64 v[21:22], v21, v[8:9]
	v_sub_u32_e32 v4, 29, v4
	v_and_b32_e32 v21, 7, v21
	v_cndmask_b32_e32 v4, v27, v4, vcc
	v_cndmask_b32_e32 v21, v25, v21, vcc
	v_bfrev_b32_e32 v22, 60
	v_lshlrev_b32_e32 v21, 20, v21
	v_and_b32_sdwa v8, sext(v8), s26 dst_sel:DWORD dst_unused:UNUSED_PAD src0_sel:BYTE_0 src1_sel:DWORD
	v_lshl_add_u32 v4, v4, 23, v22
	v_or3_b32 v21, v8, v4, v21
	v_mov_b32_e32 v22, v6
.LBB216_1440:                           ;   in Loop: Header=BB216_800 Depth=1
	s_or_b64 exec, exec, s[22:23]
.LBB216_1441:                           ;   in Loop: Header=BB216_800 Depth=1
	s_or_b64 exec, exec, s[20:21]
.LBB216_1442:                           ;   in Loop: Header=BB216_800 Depth=1
	s_or_b64 exec, exec, s[10:11]
	v_cmp_lt_u32_e32 vcc, s27, v16
	s_and_saveexec_b64 s[10:11], vcc
	s_cbranch_execz .LBB216_1448
; %bb.1443:                             ;   in Loop: Header=BB216_800 Depth=1
	v_mov_b32_e32 v24, v7
	v_cmp_ne_u32_sdwa s[22:23], v16, s24 src0_sel:BYTE_3 src1_sel:DWORD
	v_mov_b32_e32 v23, v6
	s_and_saveexec_b64 s[20:21], s[22:23]
	s_cbranch_execz .LBB216_1447
; %bb.1444:                             ;   in Loop: Header=BB216_800 Depth=1
	v_bfe_u32 v4, v16, 24, 7
	v_mov_b32_e32 v8, v6
	v_mov_b32_e32 v24, v9
	v_cmp_ne_u32_e32 vcc, s25, v4
	v_mov_b32_e32 v23, v8
	s_and_saveexec_b64 s[22:23], vcc
	s_cbranch_execz .LBB216_1446
; %bb.1445:                             ;   in Loop: Header=BB216_800 Depth=1
	v_mov_b32_e32 v8, 7
	v_and_b32_sdwa v23, v16, v8 dst_sel:DWORD dst_unused:UNUSED_PAD src0_sel:BYTE_3 src1_sel:DWORD
	v_lshrrev_b32_e32 v8, 3, v4
	v_cmp_gt_u32_e32 vcc, 8, v4
	v_ffbh_u32_e32 v4, v23
	v_min_u32_e32 v4, 32, v4
	v_mov_b32_e32 v24, v6
	v_subrev_u32_e32 v25, 28, v4
	v_lshlrev_b64 v[24:25], v25, v[23:24]
	v_sub_u32_e32 v4, 29, v4
	v_and_b32_e32 v24, 7, v24
	v_cndmask_b32_e32 v4, v8, v4, vcc
	v_cndmask_b32_e32 v8, v23, v24, vcc
	v_mov_b32_e32 v23, 24
	v_lshlrev_b32_sdwa v16, v23, v16 dst_sel:DWORD dst_unused:UNUSED_PAD src0_sel:DWORD src1_sel:BYTE_3
	v_bfrev_b32_e32 v23, 60
	v_lshl_add_u32 v4, v4, 23, v23
	v_and_or_b32 v4, v16, s26, v4
	v_lshlrev_b32_e32 v8, 20, v8
	v_or_b32_e32 v24, v4, v8
	v_mov_b32_e32 v23, v6
.LBB216_1446:                           ;   in Loop: Header=BB216_800 Depth=1
	s_or_b64 exec, exec, s[22:23]
.LBB216_1447:                           ;   in Loop: Header=BB216_800 Depth=1
	s_or_b64 exec, exec, s[20:21]
.LBB216_1448:                           ;   in Loop: Header=BB216_800 Depth=1
	s_or_b64 exec, exec, s[10:11]
	v_or_b32_e32 v4, v20, v18
	v_or_b32_e32 v8, v19, v17
	v_mul_f32_e32 v4, v63, v4
	buffer_store_dword v4, off, s[0:3], s32 offset:852 ; 4-byte Folded Spill
	v_mul_f32_e32 v4, v26, v8
	buffer_store_dword v4, off, s[0:3], s32 offset:836 ; 4-byte Folded Spill
	v_or_b32_e32 v4, v24, v22
	v_or_b32_e32 v8, v23, v21
	v_mul_f32_e32 v8, v26, v8
	v_mul_f32_e32 v4, v63, v4
	buffer_store_dword v8, off, s[0:3], s32 offset:844 ; 4-byte Folded Spill
	buffer_store_dword v4, off, s[0:3], s32 offset:828 ; 4-byte Folded Spill
	s_and_saveexec_b64 s[10:11], s[4:5]
	s_cbranch_execz .LBB216_1450
; %bb.1449:                             ;   in Loop: Header=BB216_800 Depth=1
	buffer_load_dword v4, off, s[0:3], s32 offset:72 ; 4-byte Folded Reload
	v_add_u32_e32 v8, -3, v5
	s_waitcnt vmcnt(0)
	v_cmp_lt_i32_e32 vcc, v8, v4
	buffer_load_dword v8, off, s[0:3], s32 offset:836 ; 4-byte Folded Reload
	s_waitcnt vmcnt(0)
	v_cndmask_b32_e32 v8, 0, v8, vcc
	buffer_store_dword v8, off, s[0:3], s32 offset:836 ; 4-byte Folded Spill
	v_add_u32_e32 v8, -2, v5
	v_cmp_lt_i32_e32 vcc, v8, v4
	buffer_load_dword v8, off, s[0:3], s32 offset:852 ; 4-byte Folded Reload
	s_waitcnt vmcnt(0)
	v_cndmask_b32_e32 v8, 0, v8, vcc
	buffer_store_dword v8, off, s[0:3], s32 offset:852 ; 4-byte Folded Spill
	v_add_u32_e32 v8, -1, v5
	v_cmp_lt_i32_e32 vcc, v8, v4
	buffer_load_dword v8, off, s[0:3], s32 offset:844 ; 4-byte Folded Reload
	s_waitcnt vmcnt(0)
	v_cndmask_b32_e32 v8, 0, v8, vcc
	v_cmp_lt_i32_e32 vcc, v5, v4
	buffer_load_dword v4, off, s[0:3], s32 offset:828 ; 4-byte Folded Reload
	s_waitcnt vmcnt(0)
	v_cndmask_b32_e32 v4, 0, v4, vcc
	buffer_store_dword v8, off, s[0:3], s32 offset:844 ; 4-byte Folded Spill
	buffer_store_dword v4, off, s[0:3], s32 offset:828 ; 4-byte Folded Spill
.LBB216_1450:                           ;   in Loop: Header=BB216_800 Depth=1
	s_or_b64 exec, exec, s[10:11]
	v_add_co_u32_e32 v16, vcc, 0x1000, v14
	v_addc_co_u32_e32 v17, vcc, 0, v15, vcc
	flat_load_dword v16, v[16:17] offset:2304
	v_mov_b32_e32 v19, 0
	v_mov_b32_e32 v17, 0
	;; [unrolled: 1-line block ×4, first 2 shown]
	s_waitcnt vmcnt(0) lgkmcnt(0)
	v_cmp_ne_u16_sdwa s[20:21], v16, v6 src0_sel:BYTE_0 src1_sel:DWORD
	s_and_saveexec_b64 s[10:11], s[20:21]
	s_cbranch_execz .LBB216_1456
; %bb.1451:                             ;   in Loop: Header=BB216_800 Depth=1
	v_bfrev_b32_e32 v17, 1
	v_mov_b32_e32 v18, 0
	v_cmp_ne_u16_sdwa s[22:23], v16, s24 src0_sel:BYTE_0 src1_sel:DWORD
	s_and_saveexec_b64 s[20:21], s[22:23]
	s_cbranch_execz .LBB216_1455
; %bb.1452:                             ;   in Loop: Header=BB216_800 Depth=1
	v_and_b32_e32 v4, 0x7f, v16
	v_mov_b32_e32 v17, 0x7f800001
	v_mov_b32_e32 v18, 0
	v_cmp_ne_u32_e32 vcc, s25, v4
	s_and_saveexec_b64 s[22:23], vcc
	s_cbranch_execz .LBB216_1454
; %bb.1453:                             ;   in Loop: Header=BB216_800 Depth=1
	v_and_b32_e32 v8, 7, v16
	v_lshrrev_b32_e32 v21, 3, v4
	v_cmp_gt_u32_e32 vcc, 8, v4
	v_ffbh_u32_e32 v4, v8
	v_min_u32_e32 v4, 32, v4
	v_subrev_u32_e32 v17, 28, v4
	v_lshlrev_b64 v[17:18], v17, v[16:17]
	v_sub_u32_e32 v4, 29, v4
	v_and_b32_e32 v17, 7, v17
	v_cndmask_b32_e32 v4, v21, v4, vcc
	v_cndmask_b32_e32 v8, v8, v17, vcc
	v_bfrev_b32_e32 v18, 60
	v_lshlrev_b32_e32 v8, 20, v8
	v_and_b32_sdwa v17, sext(v16), s26 dst_sel:DWORD dst_unused:UNUSED_PAD src0_sel:BYTE_0 src1_sel:DWORD
	v_lshl_add_u32 v4, v4, 23, v18
	v_or3_b32 v17, v17, v4, v8
	v_mov_b32_e32 v18, v6
.LBB216_1454:                           ;   in Loop: Header=BB216_800 Depth=1
	s_or_b64 exec, exec, s[22:23]
.LBB216_1455:                           ;   in Loop: Header=BB216_800 Depth=1
	s_or_b64 exec, exec, s[20:21]
.LBB216_1456:                           ;   in Loop: Header=BB216_800 Depth=1
	s_or_b64 exec, exec, s[10:11]
	v_cmp_ne_u16_sdwa s[20:21], v16, v6 src0_sel:BYTE_1 src1_sel:DWORD
	s_and_saveexec_b64 s[10:11], s[20:21]
	s_cbranch_execz .LBB216_1462
; %bb.1457:                             ;   in Loop: Header=BB216_800 Depth=1
	v_mov_b32_e32 v20, v7
	v_cmp_ne_u16_sdwa s[22:23], v16, s24 src0_sel:BYTE_1 src1_sel:DWORD
	v_mov_b32_e32 v19, v6
	s_and_saveexec_b64 s[20:21], s[22:23]
	s_cbranch_execz .LBB216_1461
; %bb.1458:                             ;   in Loop: Header=BB216_800 Depth=1
	v_and_b32_sdwa v4, v16, s25 dst_sel:DWORD dst_unused:UNUSED_PAD src0_sel:BYTE_1 src1_sel:DWORD
	v_mov_b32_e32 v8, v6
	v_mov_b32_e32 v20, v9
	v_cmp_ne_u32_e32 vcc, s25, v4
	v_mov_b32_e32 v19, v8
	s_and_saveexec_b64 s[22:23], vcc
	s_cbranch_execz .LBB216_1460
; %bb.1459:                             ;   in Loop: Header=BB216_800 Depth=1
	v_mov_b32_e32 v8, 7
	v_and_b32_sdwa v19, v16, v8 dst_sel:DWORD dst_unused:UNUSED_PAD src0_sel:BYTE_1 src1_sel:DWORD
	v_lshrrev_b32_e32 v8, 3, v4
	v_cmp_gt_u32_e32 vcc, 8, v4
	v_ffbh_u32_e32 v4, v19
	v_min_u32_e32 v4, 32, v4
	v_mov_b32_e32 v20, v6
	v_subrev_u32_e32 v21, 28, v4
	v_lshlrev_b64 v[20:21], v21, v[19:20]
	v_sub_u32_e32 v4, 29, v4
	v_and_b32_e32 v20, 7, v20
	v_cndmask_b32_e32 v4, v8, v4, vcc
	v_cndmask_b32_e32 v8, v19, v20, vcc
	v_bfrev_b32_e32 v20, 60
	v_lshlrev_b32_e32 v19, 16, v16
	v_lshl_add_u32 v4, v4, 23, v20
	v_and_or_b32 v4, v19, s26, v4
	v_lshlrev_b32_e32 v8, 20, v8
	v_or_b32_e32 v20, v4, v8
	v_mov_b32_e32 v19, v6
.LBB216_1460:                           ;   in Loop: Header=BB216_800 Depth=1
	s_or_b64 exec, exec, s[22:23]
.LBB216_1461:                           ;   in Loop: Header=BB216_800 Depth=1
	s_or_b64 exec, exec, s[20:21]
.LBB216_1462:                           ;   in Loop: Header=BB216_800 Depth=1
	s_or_b64 exec, exec, s[10:11]
	v_lshrrev_b32_e32 v8, 16, v16
	v_mov_b32_e32 v23, 0
	v_mov_b32_e32 v21, 0
	;; [unrolled: 1-line block ×4, first 2 shown]
	v_cmp_ne_u16_sdwa s[20:21], v8, v6 src0_sel:BYTE_0 src1_sel:DWORD
	s_and_saveexec_b64 s[10:11], s[20:21]
	s_cbranch_execz .LBB216_1468
; %bb.1463:                             ;   in Loop: Header=BB216_800 Depth=1
	v_bfrev_b32_e32 v21, 1
	v_mov_b32_e32 v22, 0
	v_cmp_ne_u16_sdwa s[22:23], v8, s24 src0_sel:BYTE_0 src1_sel:DWORD
	s_and_saveexec_b64 s[20:21], s[22:23]
	s_cbranch_execz .LBB216_1467
; %bb.1464:                             ;   in Loop: Header=BB216_800 Depth=1
	v_bfe_u32 v4, v16, 16, 7
	v_mov_b32_e32 v21, 0x7f800001
	v_mov_b32_e32 v22, 0
	v_cmp_ne_u32_e32 vcc, s25, v4
	s_and_saveexec_b64 s[22:23], vcc
	s_cbranch_execz .LBB216_1466
; %bb.1465:                             ;   in Loop: Header=BB216_800 Depth=1
	v_and_b32_e32 v25, 7, v8
	v_lshrrev_b32_e32 v27, 3, v4
	v_cmp_gt_u32_e32 vcc, 8, v4
	v_ffbh_u32_e32 v4, v25
	v_min_u32_e32 v4, 32, v4
	v_subrev_u32_e32 v21, 28, v4
	v_lshlrev_b64 v[21:22], v21, v[8:9]
	v_sub_u32_e32 v4, 29, v4
	v_and_b32_e32 v21, 7, v21
	v_cndmask_b32_e32 v4, v27, v4, vcc
	v_cndmask_b32_e32 v21, v25, v21, vcc
	v_bfrev_b32_e32 v22, 60
	v_lshlrev_b32_e32 v21, 20, v21
	v_and_b32_sdwa v8, sext(v8), s26 dst_sel:DWORD dst_unused:UNUSED_PAD src0_sel:BYTE_0 src1_sel:DWORD
	v_lshl_add_u32 v4, v4, 23, v22
	v_or3_b32 v21, v8, v4, v21
	v_mov_b32_e32 v22, v6
.LBB216_1466:                           ;   in Loop: Header=BB216_800 Depth=1
	s_or_b64 exec, exec, s[22:23]
.LBB216_1467:                           ;   in Loop: Header=BB216_800 Depth=1
	s_or_b64 exec, exec, s[20:21]
.LBB216_1468:                           ;   in Loop: Header=BB216_800 Depth=1
	s_or_b64 exec, exec, s[10:11]
	v_cmp_lt_u32_e32 vcc, s27, v16
	s_and_saveexec_b64 s[10:11], vcc
	s_cbranch_execz .LBB216_1474
; %bb.1469:                             ;   in Loop: Header=BB216_800 Depth=1
	v_mov_b32_e32 v24, v7
	v_cmp_ne_u32_sdwa s[22:23], v16, s24 src0_sel:BYTE_3 src1_sel:DWORD
	v_mov_b32_e32 v23, v6
	s_and_saveexec_b64 s[20:21], s[22:23]
	s_cbranch_execz .LBB216_1473
; %bb.1470:                             ;   in Loop: Header=BB216_800 Depth=1
	v_bfe_u32 v4, v16, 24, 7
	v_mov_b32_e32 v8, v6
	v_mov_b32_e32 v24, v9
	v_cmp_ne_u32_e32 vcc, s25, v4
	v_mov_b32_e32 v23, v8
	s_and_saveexec_b64 s[22:23], vcc
	s_cbranch_execz .LBB216_1472
; %bb.1471:                             ;   in Loop: Header=BB216_800 Depth=1
	v_mov_b32_e32 v8, 7
	v_and_b32_sdwa v23, v16, v8 dst_sel:DWORD dst_unused:UNUSED_PAD src0_sel:BYTE_3 src1_sel:DWORD
	v_lshrrev_b32_e32 v8, 3, v4
	v_cmp_gt_u32_e32 vcc, 8, v4
	v_ffbh_u32_e32 v4, v23
	v_min_u32_e32 v4, 32, v4
	v_mov_b32_e32 v24, v6
	v_subrev_u32_e32 v25, 28, v4
	v_lshlrev_b64 v[24:25], v25, v[23:24]
	v_sub_u32_e32 v4, 29, v4
	v_and_b32_e32 v24, 7, v24
	v_cndmask_b32_e32 v4, v8, v4, vcc
	v_cndmask_b32_e32 v8, v23, v24, vcc
	v_mov_b32_e32 v23, 24
	v_lshlrev_b32_sdwa v16, v23, v16 dst_sel:DWORD dst_unused:UNUSED_PAD src0_sel:DWORD src1_sel:BYTE_3
	v_bfrev_b32_e32 v23, 60
	v_lshl_add_u32 v4, v4, 23, v23
	v_and_or_b32 v4, v16, s26, v4
	v_lshlrev_b32_e32 v8, 20, v8
	v_or_b32_e32 v24, v4, v8
	v_mov_b32_e32 v23, v6
.LBB216_1472:                           ;   in Loop: Header=BB216_800 Depth=1
	s_or_b64 exec, exec, s[22:23]
.LBB216_1473:                           ;   in Loop: Header=BB216_800 Depth=1
	s_or_b64 exec, exec, s[20:21]
.LBB216_1474:                           ;   in Loop: Header=BB216_800 Depth=1
	s_or_b64 exec, exec, s[10:11]
	v_or_b32_e32 v4, v20, v18
	v_or_b32_e32 v8, v19, v17
	v_mul_f32_e32 v37, v63, v4
	v_mul_f32_e32 v4, v26, v8
	buffer_store_dword v4, off, s[0:3], s32 offset:868 ; 4-byte Folded Spill
	v_or_b32_e32 v4, v24, v22
	v_or_b32_e32 v8, v23, v21
	v_mul_f32_e32 v8, v26, v8
	v_mul_f32_e32 v4, v63, v4
	buffer_store_dword v8, off, s[0:3], s32 offset:876 ; 4-byte Folded Spill
	buffer_store_dword v4, off, s[0:3], s32 offset:860 ; 4-byte Folded Spill
	s_and_saveexec_b64 s[10:11], s[4:5]
	s_cbranch_execz .LBB216_1476
; %bb.1475:                             ;   in Loop: Header=BB216_800 Depth=1
	buffer_load_dword v4, off, s[0:3], s32 offset:72 ; 4-byte Folded Reload
	v_add_u32_e32 v8, -3, v5
	s_waitcnt vmcnt(0)
	v_cmp_lt_i32_e32 vcc, v8, v4
	buffer_load_dword v8, off, s[0:3], s32 offset:868 ; 4-byte Folded Reload
	s_waitcnt vmcnt(0)
	v_cndmask_b32_e32 v8, 0, v8, vcc
	buffer_store_dword v8, off, s[0:3], s32 offset:868 ; 4-byte Folded Spill
	v_add_u32_e32 v8, -2, v5
	v_cmp_lt_i32_e32 vcc, v8, v4
	v_add_u32_e32 v8, -1, v5
	v_cndmask_b32_e32 v37, 0, v37, vcc
	v_cmp_lt_i32_e32 vcc, v8, v4
	buffer_load_dword v8, off, s[0:3], s32 offset:876 ; 4-byte Folded Reload
	s_waitcnt vmcnt(0)
	v_cndmask_b32_e32 v8, 0, v8, vcc
	v_cmp_lt_i32_e32 vcc, v5, v4
	buffer_load_dword v4, off, s[0:3], s32 offset:860 ; 4-byte Folded Reload
	s_waitcnt vmcnt(0)
	v_cndmask_b32_e32 v4, 0, v4, vcc
	buffer_store_dword v8, off, s[0:3], s32 offset:876 ; 4-byte Folded Spill
	buffer_store_dword v4, off, s[0:3], s32 offset:860 ; 4-byte Folded Spill
.LBB216_1476:                           ;   in Loop: Header=BB216_800 Depth=1
	s_or_b64 exec, exec, s[10:11]
	v_add_co_u32_e32 v16, vcc, 0x1000, v14
	v_addc_co_u32_e32 v17, vcc, 0, v15, vcc
	flat_load_dword v16, v[16:17] offset:2560
	v_mov_b32_e32 v19, 0
	v_mov_b32_e32 v17, 0
	;; [unrolled: 1-line block ×4, first 2 shown]
	s_waitcnt vmcnt(0) lgkmcnt(0)
	v_cmp_ne_u16_sdwa s[20:21], v16, v6 src0_sel:BYTE_0 src1_sel:DWORD
	s_and_saveexec_b64 s[10:11], s[20:21]
	s_cbranch_execz .LBB216_1482
; %bb.1477:                             ;   in Loop: Header=BB216_800 Depth=1
	v_bfrev_b32_e32 v17, 1
	v_mov_b32_e32 v18, 0
	v_cmp_ne_u16_sdwa s[22:23], v16, s24 src0_sel:BYTE_0 src1_sel:DWORD
	s_and_saveexec_b64 s[20:21], s[22:23]
	s_cbranch_execz .LBB216_1481
; %bb.1478:                             ;   in Loop: Header=BB216_800 Depth=1
	v_and_b32_e32 v4, 0x7f, v16
	v_mov_b32_e32 v17, 0x7f800001
	v_mov_b32_e32 v18, 0
	v_cmp_ne_u32_e32 vcc, s25, v4
	s_and_saveexec_b64 s[22:23], vcc
	s_cbranch_execz .LBB216_1480
; %bb.1479:                             ;   in Loop: Header=BB216_800 Depth=1
	v_and_b32_e32 v8, 7, v16
	v_lshrrev_b32_e32 v21, 3, v4
	v_cmp_gt_u32_e32 vcc, 8, v4
	v_ffbh_u32_e32 v4, v8
	v_min_u32_e32 v4, 32, v4
	v_subrev_u32_e32 v17, 28, v4
	v_lshlrev_b64 v[17:18], v17, v[16:17]
	v_sub_u32_e32 v4, 29, v4
	v_and_b32_e32 v17, 7, v17
	v_cndmask_b32_e32 v4, v21, v4, vcc
	v_cndmask_b32_e32 v8, v8, v17, vcc
	v_bfrev_b32_e32 v18, 60
	v_lshlrev_b32_e32 v8, 20, v8
	v_and_b32_sdwa v17, sext(v16), s26 dst_sel:DWORD dst_unused:UNUSED_PAD src0_sel:BYTE_0 src1_sel:DWORD
	v_lshl_add_u32 v4, v4, 23, v18
	v_or3_b32 v17, v17, v4, v8
	v_mov_b32_e32 v18, v6
.LBB216_1480:                           ;   in Loop: Header=BB216_800 Depth=1
	s_or_b64 exec, exec, s[22:23]
.LBB216_1481:                           ;   in Loop: Header=BB216_800 Depth=1
	s_or_b64 exec, exec, s[20:21]
.LBB216_1482:                           ;   in Loop: Header=BB216_800 Depth=1
	s_or_b64 exec, exec, s[10:11]
	v_cmp_ne_u16_sdwa s[20:21], v16, v6 src0_sel:BYTE_1 src1_sel:DWORD
	s_and_saveexec_b64 s[10:11], s[20:21]
	s_cbranch_execz .LBB216_1488
; %bb.1483:                             ;   in Loop: Header=BB216_800 Depth=1
	v_mov_b32_e32 v20, v7
	v_cmp_ne_u16_sdwa s[22:23], v16, s24 src0_sel:BYTE_1 src1_sel:DWORD
	v_mov_b32_e32 v19, v6
	s_and_saveexec_b64 s[20:21], s[22:23]
	s_cbranch_execz .LBB216_1487
; %bb.1484:                             ;   in Loop: Header=BB216_800 Depth=1
	v_and_b32_sdwa v4, v16, s25 dst_sel:DWORD dst_unused:UNUSED_PAD src0_sel:BYTE_1 src1_sel:DWORD
	v_mov_b32_e32 v8, v6
	v_mov_b32_e32 v20, v9
	v_cmp_ne_u32_e32 vcc, s25, v4
	v_mov_b32_e32 v19, v8
	s_and_saveexec_b64 s[22:23], vcc
	s_cbranch_execz .LBB216_1486
; %bb.1485:                             ;   in Loop: Header=BB216_800 Depth=1
	v_mov_b32_e32 v8, 7
	v_and_b32_sdwa v19, v16, v8 dst_sel:DWORD dst_unused:UNUSED_PAD src0_sel:BYTE_1 src1_sel:DWORD
	v_lshrrev_b32_e32 v8, 3, v4
	v_cmp_gt_u32_e32 vcc, 8, v4
	v_ffbh_u32_e32 v4, v19
	v_min_u32_e32 v4, 32, v4
	v_mov_b32_e32 v20, v6
	v_subrev_u32_e32 v21, 28, v4
	v_lshlrev_b64 v[20:21], v21, v[19:20]
	v_sub_u32_e32 v4, 29, v4
	v_and_b32_e32 v20, 7, v20
	v_cndmask_b32_e32 v4, v8, v4, vcc
	v_cndmask_b32_e32 v8, v19, v20, vcc
	v_bfrev_b32_e32 v20, 60
	v_lshlrev_b32_e32 v19, 16, v16
	v_lshl_add_u32 v4, v4, 23, v20
	v_and_or_b32 v4, v19, s26, v4
	v_lshlrev_b32_e32 v8, 20, v8
	v_or_b32_e32 v20, v4, v8
	v_mov_b32_e32 v19, v6
.LBB216_1486:                           ;   in Loop: Header=BB216_800 Depth=1
	s_or_b64 exec, exec, s[22:23]
.LBB216_1487:                           ;   in Loop: Header=BB216_800 Depth=1
	s_or_b64 exec, exec, s[20:21]
.LBB216_1488:                           ;   in Loop: Header=BB216_800 Depth=1
	s_or_b64 exec, exec, s[10:11]
	v_lshrrev_b32_e32 v8, 16, v16
	v_mov_b32_e32 v23, 0
	v_mov_b32_e32 v21, 0
	;; [unrolled: 1-line block ×4, first 2 shown]
	v_cmp_ne_u16_sdwa s[20:21], v8, v6 src0_sel:BYTE_0 src1_sel:DWORD
	s_and_saveexec_b64 s[10:11], s[20:21]
	s_cbranch_execz .LBB216_1494
; %bb.1489:                             ;   in Loop: Header=BB216_800 Depth=1
	v_bfrev_b32_e32 v21, 1
	v_mov_b32_e32 v22, 0
	v_cmp_ne_u16_sdwa s[22:23], v8, s24 src0_sel:BYTE_0 src1_sel:DWORD
	s_and_saveexec_b64 s[20:21], s[22:23]
	s_cbranch_execz .LBB216_1493
; %bb.1490:                             ;   in Loop: Header=BB216_800 Depth=1
	v_bfe_u32 v4, v16, 16, 7
	v_mov_b32_e32 v21, 0x7f800001
	v_mov_b32_e32 v22, 0
	v_cmp_ne_u32_e32 vcc, s25, v4
	s_and_saveexec_b64 s[22:23], vcc
	s_cbranch_execz .LBB216_1492
; %bb.1491:                             ;   in Loop: Header=BB216_800 Depth=1
	v_and_b32_e32 v25, 7, v8
	v_lshrrev_b32_e32 v27, 3, v4
	v_cmp_gt_u32_e32 vcc, 8, v4
	v_ffbh_u32_e32 v4, v25
	v_min_u32_e32 v4, 32, v4
	v_subrev_u32_e32 v21, 28, v4
	v_lshlrev_b64 v[21:22], v21, v[8:9]
	v_sub_u32_e32 v4, 29, v4
	v_and_b32_e32 v21, 7, v21
	v_cndmask_b32_e32 v4, v27, v4, vcc
	v_cndmask_b32_e32 v21, v25, v21, vcc
	v_bfrev_b32_e32 v22, 60
	v_lshlrev_b32_e32 v21, 20, v21
	v_and_b32_sdwa v8, sext(v8), s26 dst_sel:DWORD dst_unused:UNUSED_PAD src0_sel:BYTE_0 src1_sel:DWORD
	v_lshl_add_u32 v4, v4, 23, v22
	v_or3_b32 v21, v8, v4, v21
	v_mov_b32_e32 v22, v6
.LBB216_1492:                           ;   in Loop: Header=BB216_800 Depth=1
	s_or_b64 exec, exec, s[22:23]
.LBB216_1493:                           ;   in Loop: Header=BB216_800 Depth=1
	s_or_b64 exec, exec, s[20:21]
.LBB216_1494:                           ;   in Loop: Header=BB216_800 Depth=1
	s_or_b64 exec, exec, s[10:11]
	v_cmp_lt_u32_e32 vcc, s27, v16
	s_and_saveexec_b64 s[10:11], vcc
	s_cbranch_execz .LBB216_1500
; %bb.1495:                             ;   in Loop: Header=BB216_800 Depth=1
	v_mov_b32_e32 v24, v7
	v_cmp_ne_u32_sdwa s[22:23], v16, s24 src0_sel:BYTE_3 src1_sel:DWORD
	v_mov_b32_e32 v23, v6
	s_and_saveexec_b64 s[20:21], s[22:23]
	s_cbranch_execz .LBB216_1499
; %bb.1496:                             ;   in Loop: Header=BB216_800 Depth=1
	v_bfe_u32 v4, v16, 24, 7
	v_mov_b32_e32 v8, v6
	v_mov_b32_e32 v24, v9
	v_cmp_ne_u32_e32 vcc, s25, v4
	v_mov_b32_e32 v23, v8
	s_and_saveexec_b64 s[22:23], vcc
	s_cbranch_execz .LBB216_1498
; %bb.1497:                             ;   in Loop: Header=BB216_800 Depth=1
	v_mov_b32_e32 v8, 7
	v_and_b32_sdwa v23, v16, v8 dst_sel:DWORD dst_unused:UNUSED_PAD src0_sel:BYTE_3 src1_sel:DWORD
	v_lshrrev_b32_e32 v8, 3, v4
	v_cmp_gt_u32_e32 vcc, 8, v4
	v_ffbh_u32_e32 v4, v23
	v_min_u32_e32 v4, 32, v4
	v_mov_b32_e32 v24, v6
	v_subrev_u32_e32 v25, 28, v4
	v_lshlrev_b64 v[24:25], v25, v[23:24]
	v_sub_u32_e32 v4, 29, v4
	v_and_b32_e32 v24, 7, v24
	v_cndmask_b32_e32 v4, v8, v4, vcc
	v_cndmask_b32_e32 v8, v23, v24, vcc
	v_mov_b32_e32 v23, 24
	v_lshlrev_b32_sdwa v16, v23, v16 dst_sel:DWORD dst_unused:UNUSED_PAD src0_sel:DWORD src1_sel:BYTE_3
	v_bfrev_b32_e32 v23, 60
	v_lshl_add_u32 v4, v4, 23, v23
	v_and_or_b32 v4, v16, s26, v4
	v_lshlrev_b32_e32 v8, 20, v8
	v_or_b32_e32 v24, v4, v8
	v_mov_b32_e32 v23, v6
.LBB216_1498:                           ;   in Loop: Header=BB216_800 Depth=1
	s_or_b64 exec, exec, s[22:23]
.LBB216_1499:                           ;   in Loop: Header=BB216_800 Depth=1
	s_or_b64 exec, exec, s[20:21]
.LBB216_1500:                           ;   in Loop: Header=BB216_800 Depth=1
	s_or_b64 exec, exec, s[10:11]
	v_or_b32_e32 v4, v20, v18
	v_or_b32_e32 v8, v19, v17
	v_mul_f32_e32 v48, v63, v4
	v_mul_f32_e32 v38, v26, v8
	v_or_b32_e32 v4, v24, v22
	v_or_b32_e32 v8, v23, v21
	v_mul_f32_e32 v39, v26, v8
	v_mul_f32_e32 v4, v63, v4
	s_and_saveexec_b64 s[10:11], s[4:5]
	s_cbranch_execz .LBB216_1502
; %bb.1501:                             ;   in Loop: Header=BB216_800 Depth=1
	buffer_load_dword v8, off, s[0:3], s32 offset:72 ; 4-byte Folded Reload
	v_add_u32_e32 v16, -3, v5
	s_waitcnt vmcnt(0)
	v_cmp_lt_i32_e32 vcc, v16, v8
	v_add_u32_e32 v16, -2, v5
	v_cndmask_b32_e32 v38, 0, v38, vcc
	v_cmp_lt_i32_e32 vcc, v16, v8
	v_add_u32_e32 v16, -1, v5
	v_cndmask_b32_e32 v48, 0, v48, vcc
	v_cmp_lt_i32_e32 vcc, v16, v8
	v_cndmask_b32_e32 v39, 0, v39, vcc
	v_cmp_lt_i32_e32 vcc, v5, v8
	v_cndmask_b32_e32 v4, 0, v4, vcc
.LBB216_1502:                           ;   in Loop: Header=BB216_800 Depth=1
	s_or_b64 exec, exec, s[10:11]
	v_add_co_u32_e32 v16, vcc, 0x1000, v14
	v_addc_co_u32_e32 v17, vcc, 0, v15, vcc
	flat_load_dword v16, v[16:17] offset:2816
	v_mov_b32_e32 v19, 0
	v_mov_b32_e32 v17, 0
	;; [unrolled: 1-line block ×4, first 2 shown]
	s_waitcnt vmcnt(0) lgkmcnt(0)
	v_cmp_ne_u16_sdwa s[20:21], v16, v6 src0_sel:BYTE_0 src1_sel:DWORD
	s_and_saveexec_b64 s[10:11], s[20:21]
	s_cbranch_execz .LBB216_1508
; %bb.1503:                             ;   in Loop: Header=BB216_800 Depth=1
	v_bfrev_b32_e32 v17, 1
	v_mov_b32_e32 v18, 0
	v_cmp_ne_u16_sdwa s[22:23], v16, s24 src0_sel:BYTE_0 src1_sel:DWORD
	s_and_saveexec_b64 s[20:21], s[22:23]
	s_cbranch_execz .LBB216_1507
; %bb.1504:                             ;   in Loop: Header=BB216_800 Depth=1
	v_and_b32_e32 v8, 0x7f, v16
	v_mov_b32_e32 v17, 0x7f800001
	v_mov_b32_e32 v18, 0
	v_cmp_ne_u32_e32 vcc, s25, v8
	s_and_saveexec_b64 s[22:23], vcc
	s_cbranch_execz .LBB216_1506
; %bb.1505:                             ;   in Loop: Header=BB216_800 Depth=1
	v_and_b32_e32 v21, 7, v16
	v_lshrrev_b32_e32 v22, 3, v8
	v_cmp_gt_u32_e32 vcc, 8, v8
	v_ffbh_u32_e32 v8, v21
	v_min_u32_e32 v8, 32, v8
	v_subrev_u32_e32 v17, 28, v8
	v_lshlrev_b64 v[17:18], v17, v[16:17]
	v_sub_u32_e32 v8, 29, v8
	v_and_b32_e32 v17, 7, v17
	v_cndmask_b32_e32 v8, v22, v8, vcc
	v_cndmask_b32_e32 v17, v21, v17, vcc
	v_bfrev_b32_e32 v21, 60
	v_lshlrev_b32_e32 v17, 20, v17
	v_and_b32_sdwa v18, sext(v16), s26 dst_sel:DWORD dst_unused:UNUSED_PAD src0_sel:BYTE_0 src1_sel:DWORD
	v_lshl_add_u32 v8, v8, 23, v21
	v_or3_b32 v17, v18, v8, v17
	v_mov_b32_e32 v18, v6
.LBB216_1506:                           ;   in Loop: Header=BB216_800 Depth=1
	s_or_b64 exec, exec, s[22:23]
.LBB216_1507:                           ;   in Loop: Header=BB216_800 Depth=1
	s_or_b64 exec, exec, s[20:21]
.LBB216_1508:                           ;   in Loop: Header=BB216_800 Depth=1
	s_or_b64 exec, exec, s[10:11]
	v_cmp_ne_u16_sdwa s[20:21], v16, v6 src0_sel:BYTE_1 src1_sel:DWORD
	s_and_saveexec_b64 s[10:11], s[20:21]
	s_cbranch_execz .LBB216_1514
; %bb.1509:                             ;   in Loop: Header=BB216_800 Depth=1
	v_mov_b32_e32 v20, v7
	v_cmp_ne_u16_sdwa s[22:23], v16, s24 src0_sel:BYTE_1 src1_sel:DWORD
	v_mov_b32_e32 v19, v6
	s_and_saveexec_b64 s[20:21], s[22:23]
	s_cbranch_execz .LBB216_1513
; %bb.1510:                             ;   in Loop: Header=BB216_800 Depth=1
	v_and_b32_sdwa v21, v16, s25 dst_sel:DWORD dst_unused:UNUSED_PAD src0_sel:BYTE_1 src1_sel:DWORD
	v_mov_b32_e32 v8, v6
	v_mov_b32_e32 v20, v9
	v_cmp_ne_u32_e32 vcc, s25, v21
	v_mov_b32_e32 v19, v8
	s_and_saveexec_b64 s[22:23], vcc
	s_cbranch_execz .LBB216_1512
; %bb.1511:                             ;   in Loop: Header=BB216_800 Depth=1
	v_mov_b32_e32 v8, 7
	v_and_b32_sdwa v19, v16, v8 dst_sel:DWORD dst_unused:UNUSED_PAD src0_sel:BYTE_1 src1_sel:DWORD
	v_lshrrev_b32_e32 v8, 3, v21
	v_cmp_gt_u32_e32 vcc, 8, v21
	v_ffbh_u32_e32 v21, v19
	v_min_u32_e32 v22, 32, v21
	v_mov_b32_e32 v20, v6
	v_subrev_u32_e32 v21, 28, v22
	v_lshlrev_b64 v[20:21], v21, v[19:20]
	v_sub_u32_e32 v21, 29, v22
	v_and_b32_e32 v20, 7, v20
	v_cndmask_b32_e32 v8, v8, v21, vcc
	v_bfrev_b32_e32 v21, 60
	v_cndmask_b32_e32 v19, v19, v20, vcc
	v_lshlrev_b32_e32 v20, 16, v16
	v_lshl_add_u32 v8, v8, 23, v21
	v_and_or_b32 v8, v20, s26, v8
	v_lshlrev_b32_e32 v19, 20, v19
	v_or_b32_e32 v20, v8, v19
	v_mov_b32_e32 v19, v6
.LBB216_1512:                           ;   in Loop: Header=BB216_800 Depth=1
	s_or_b64 exec, exec, s[22:23]
.LBB216_1513:                           ;   in Loop: Header=BB216_800 Depth=1
	s_or_b64 exec, exec, s[20:21]
.LBB216_1514:                           ;   in Loop: Header=BB216_800 Depth=1
	s_or_b64 exec, exec, s[10:11]
	v_lshrrev_b32_e32 v8, 16, v16
	v_mov_b32_e32 v23, 0
	v_mov_b32_e32 v21, 0
	;; [unrolled: 1-line block ×4, first 2 shown]
	v_cmp_ne_u16_sdwa s[20:21], v8, v6 src0_sel:BYTE_0 src1_sel:DWORD
	s_and_saveexec_b64 s[10:11], s[20:21]
	s_cbranch_execz .LBB216_1520
; %bb.1515:                             ;   in Loop: Header=BB216_800 Depth=1
	v_bfrev_b32_e32 v21, 1
	v_mov_b32_e32 v22, 0
	v_cmp_ne_u16_sdwa s[22:23], v8, s24 src0_sel:BYTE_0 src1_sel:DWORD
	s_and_saveexec_b64 s[20:21], s[22:23]
	s_cbranch_execz .LBB216_1519
; %bb.1516:                             ;   in Loop: Header=BB216_800 Depth=1
	v_bfe_u32 v25, v16, 16, 7
	v_mov_b32_e32 v21, 0x7f800001
	v_mov_b32_e32 v22, 0
	v_cmp_ne_u32_e32 vcc, s25, v25
	s_and_saveexec_b64 s[22:23], vcc
	s_cbranch_execz .LBB216_1518
; %bb.1517:                             ;   in Loop: Header=BB216_800 Depth=1
	v_and_b32_e32 v27, 7, v8
	v_ffbh_u32_e32 v21, v27
	v_lshrrev_b32_e32 v28, 3, v25
	v_cmp_gt_u32_e32 vcc, 8, v25
	v_min_u32_e32 v25, 32, v21
	v_subrev_u32_e32 v21, 28, v25
	v_lshlrev_b64 v[21:22], v21, v[8:9]
	v_sub_u32_e32 v22, 29, v25
	v_and_b32_e32 v21, 7, v21
	v_cndmask_b32_e32 v22, v28, v22, vcc
	v_cndmask_b32_e32 v21, v27, v21, vcc
	v_bfrev_b32_e32 v25, 60
	v_lshlrev_b32_e32 v21, 20, v21
	v_and_b32_sdwa v8, sext(v8), s26 dst_sel:DWORD dst_unused:UNUSED_PAD src0_sel:BYTE_0 src1_sel:DWORD
	v_lshl_add_u32 v22, v22, 23, v25
	v_or3_b32 v21, v8, v22, v21
	v_mov_b32_e32 v22, v6
.LBB216_1518:                           ;   in Loop: Header=BB216_800 Depth=1
	s_or_b64 exec, exec, s[22:23]
.LBB216_1519:                           ;   in Loop: Header=BB216_800 Depth=1
	s_or_b64 exec, exec, s[20:21]
.LBB216_1520:                           ;   in Loop: Header=BB216_800 Depth=1
	s_or_b64 exec, exec, s[10:11]
	v_cmp_lt_u32_e32 vcc, s27, v16
	s_and_saveexec_b64 s[10:11], vcc
	s_cbranch_execz .LBB216_1526
; %bb.1521:                             ;   in Loop: Header=BB216_800 Depth=1
	v_mov_b32_e32 v24, v7
	v_cmp_ne_u32_sdwa s[22:23], v16, s24 src0_sel:BYTE_3 src1_sel:DWORD
	v_mov_b32_e32 v23, v6
	s_and_saveexec_b64 s[20:21], s[22:23]
	s_cbranch_execz .LBB216_1525
; %bb.1522:                             ;   in Loop: Header=BB216_800 Depth=1
	v_bfe_u32 v25, v16, 24, 7
	v_mov_b32_e32 v8, v6
	v_mov_b32_e32 v24, v9
	v_cmp_ne_u32_e32 vcc, s25, v25
	v_mov_b32_e32 v23, v8
	s_and_saveexec_b64 s[22:23], vcc
	s_cbranch_execz .LBB216_1524
; %bb.1523:                             ;   in Loop: Header=BB216_800 Depth=1
	v_mov_b32_e32 v8, 7
	v_and_b32_sdwa v23, v16, v8 dst_sel:DWORD dst_unused:UNUSED_PAD src0_sel:BYTE_3 src1_sel:DWORD
	v_lshrrev_b32_e32 v8, 3, v25
	v_cmp_gt_u32_e32 vcc, 8, v25
	v_ffbh_u32_e32 v25, v23
	v_min_u32_e32 v27, 32, v25
	v_mov_b32_e32 v24, v6
	v_subrev_u32_e32 v25, 28, v27
	v_lshlrev_b64 v[24:25], v25, v[23:24]
	v_sub_u32_e32 v25, 29, v27
	v_and_b32_e32 v24, 7, v24
	v_cndmask_b32_e32 v23, v23, v24, vcc
	v_mov_b32_e32 v24, 24
	v_cndmask_b32_e32 v8, v8, v25, vcc
	v_lshlrev_b32_sdwa v16, v24, v16 dst_sel:DWORD dst_unused:UNUSED_PAD src0_sel:DWORD src1_sel:BYTE_3
	v_bfrev_b32_e32 v24, 60
	v_lshl_add_u32 v8, v8, 23, v24
	v_and_or_b32 v8, v16, s26, v8
	v_lshlrev_b32_e32 v16, 20, v23
	v_or_b32_e32 v24, v8, v16
	v_mov_b32_e32 v23, v6
.LBB216_1524:                           ;   in Loop: Header=BB216_800 Depth=1
	s_or_b64 exec, exec, s[22:23]
.LBB216_1525:                           ;   in Loop: Header=BB216_800 Depth=1
	s_or_b64 exec, exec, s[20:21]
.LBB216_1526:                           ;   in Loop: Header=BB216_800 Depth=1
	s_or_b64 exec, exec, s[10:11]
	v_or_b32_e32 v8, v20, v18
	v_or_b32_e32 v16, v19, v17
	v_mul_f32_e32 v52, v63, v8
	v_mul_f32_e32 v50, v26, v16
	v_or_b32_e32 v8, v24, v22
	v_or_b32_e32 v16, v23, v21
	v_mul_f32_e32 v51, v26, v16
	v_mul_f32_e32 v49, v63, v8
	s_and_saveexec_b64 s[10:11], s[4:5]
	s_cbranch_execz .LBB216_1528
; %bb.1527:                             ;   in Loop: Header=BB216_800 Depth=1
	buffer_load_dword v8, off, s[0:3], s32 offset:72 ; 4-byte Folded Reload
	v_add_u32_e32 v16, -3, v5
	s_waitcnt vmcnt(0)
	v_cmp_lt_i32_e32 vcc, v16, v8
	v_add_u32_e32 v16, -2, v5
	v_cndmask_b32_e32 v50, 0, v50, vcc
	v_cmp_lt_i32_e32 vcc, v16, v8
	v_add_u32_e32 v16, -1, v5
	v_cndmask_b32_e32 v52, 0, v52, vcc
	v_cmp_lt_i32_e32 vcc, v16, v8
	v_cndmask_b32_e32 v51, 0, v51, vcc
	v_cmp_lt_i32_e32 vcc, v5, v8
	v_cndmask_b32_e32 v49, 0, v49, vcc
.LBB216_1528:                           ;   in Loop: Header=BB216_800 Depth=1
	s_or_b64 exec, exec, s[10:11]
	v_add_co_u32_e32 v16, vcc, 0x1000, v14
	v_addc_co_u32_e32 v17, vcc, 0, v15, vcc
	flat_load_dword v16, v[16:17] offset:3072
	v_mov_b32_e32 v19, 0
	v_mov_b32_e32 v17, 0
	;; [unrolled: 1-line block ×4, first 2 shown]
	s_waitcnt vmcnt(0) lgkmcnt(0)
	v_cmp_ne_u16_sdwa s[20:21], v16, v6 src0_sel:BYTE_0 src1_sel:DWORD
	s_and_saveexec_b64 s[10:11], s[20:21]
	s_cbranch_execz .LBB216_1534
; %bb.1529:                             ;   in Loop: Header=BB216_800 Depth=1
	v_bfrev_b32_e32 v17, 1
	v_mov_b32_e32 v18, 0
	v_cmp_ne_u16_sdwa s[22:23], v16, s24 src0_sel:BYTE_0 src1_sel:DWORD
	s_and_saveexec_b64 s[20:21], s[22:23]
	s_cbranch_execz .LBB216_1533
; %bb.1530:                             ;   in Loop: Header=BB216_800 Depth=1
	v_and_b32_e32 v8, 0x7f, v16
	v_mov_b32_e32 v17, 0x7f800001
	v_mov_b32_e32 v18, 0
	v_cmp_ne_u32_e32 vcc, s25, v8
	s_and_saveexec_b64 s[22:23], vcc
	s_cbranch_execz .LBB216_1532
; %bb.1531:                             ;   in Loop: Header=BB216_800 Depth=1
	v_and_b32_e32 v21, 7, v16
	v_lshrrev_b32_e32 v22, 3, v8
	v_cmp_gt_u32_e32 vcc, 8, v8
	v_ffbh_u32_e32 v8, v21
	v_min_u32_e32 v8, 32, v8
	v_subrev_u32_e32 v17, 28, v8
	v_lshlrev_b64 v[17:18], v17, v[16:17]
	v_sub_u32_e32 v8, 29, v8
	v_and_b32_e32 v17, 7, v17
	v_cndmask_b32_e32 v8, v22, v8, vcc
	v_cndmask_b32_e32 v17, v21, v17, vcc
	v_bfrev_b32_e32 v21, 60
	v_lshlrev_b32_e32 v17, 20, v17
	v_and_b32_sdwa v18, sext(v16), s26 dst_sel:DWORD dst_unused:UNUSED_PAD src0_sel:BYTE_0 src1_sel:DWORD
	v_lshl_add_u32 v8, v8, 23, v21
	v_or3_b32 v17, v18, v8, v17
	v_mov_b32_e32 v18, v6
.LBB216_1532:                           ;   in Loop: Header=BB216_800 Depth=1
	s_or_b64 exec, exec, s[22:23]
.LBB216_1533:                           ;   in Loop: Header=BB216_800 Depth=1
	s_or_b64 exec, exec, s[20:21]
.LBB216_1534:                           ;   in Loop: Header=BB216_800 Depth=1
	s_or_b64 exec, exec, s[10:11]
	v_cmp_ne_u16_sdwa s[20:21], v16, v6 src0_sel:BYTE_1 src1_sel:DWORD
	s_and_saveexec_b64 s[10:11], s[20:21]
	s_cbranch_execz .LBB216_1540
; %bb.1535:                             ;   in Loop: Header=BB216_800 Depth=1
	v_mov_b32_e32 v20, v7
	v_cmp_ne_u16_sdwa s[22:23], v16, s24 src0_sel:BYTE_1 src1_sel:DWORD
	v_mov_b32_e32 v19, v6
	s_and_saveexec_b64 s[20:21], s[22:23]
	s_cbranch_execz .LBB216_1539
; %bb.1536:                             ;   in Loop: Header=BB216_800 Depth=1
	v_and_b32_sdwa v21, v16, s25 dst_sel:DWORD dst_unused:UNUSED_PAD src0_sel:BYTE_1 src1_sel:DWORD
	v_mov_b32_e32 v8, v6
	v_mov_b32_e32 v20, v9
	v_cmp_ne_u32_e32 vcc, s25, v21
	v_mov_b32_e32 v19, v8
	s_and_saveexec_b64 s[22:23], vcc
	s_cbranch_execz .LBB216_1538
; %bb.1537:                             ;   in Loop: Header=BB216_800 Depth=1
	v_mov_b32_e32 v8, 7
	v_and_b32_sdwa v19, v16, v8 dst_sel:DWORD dst_unused:UNUSED_PAD src0_sel:BYTE_1 src1_sel:DWORD
	v_lshrrev_b32_e32 v8, 3, v21
	v_cmp_gt_u32_e32 vcc, 8, v21
	v_ffbh_u32_e32 v21, v19
	v_min_u32_e32 v22, 32, v21
	v_mov_b32_e32 v20, v6
	v_subrev_u32_e32 v21, 28, v22
	v_lshlrev_b64 v[20:21], v21, v[19:20]
	v_sub_u32_e32 v21, 29, v22
	v_and_b32_e32 v20, 7, v20
	v_cndmask_b32_e32 v8, v8, v21, vcc
	v_bfrev_b32_e32 v21, 60
	v_cndmask_b32_e32 v19, v19, v20, vcc
	v_lshlrev_b32_e32 v20, 16, v16
	v_lshl_add_u32 v8, v8, 23, v21
	v_and_or_b32 v8, v20, s26, v8
	v_lshlrev_b32_e32 v19, 20, v19
	v_or_b32_e32 v20, v8, v19
	v_mov_b32_e32 v19, v6
.LBB216_1538:                           ;   in Loop: Header=BB216_800 Depth=1
	s_or_b64 exec, exec, s[22:23]
.LBB216_1539:                           ;   in Loop: Header=BB216_800 Depth=1
	s_or_b64 exec, exec, s[20:21]
.LBB216_1540:                           ;   in Loop: Header=BB216_800 Depth=1
	s_or_b64 exec, exec, s[10:11]
	v_lshrrev_b32_e32 v8, 16, v16
	v_mov_b32_e32 v23, 0
	v_mov_b32_e32 v21, 0
	;; [unrolled: 1-line block ×4, first 2 shown]
	v_cmp_ne_u16_sdwa s[20:21], v8, v6 src0_sel:BYTE_0 src1_sel:DWORD
	s_and_saveexec_b64 s[10:11], s[20:21]
	s_cbranch_execz .LBB216_1546
; %bb.1541:                             ;   in Loop: Header=BB216_800 Depth=1
	v_bfrev_b32_e32 v21, 1
	v_mov_b32_e32 v22, 0
	v_cmp_ne_u16_sdwa s[22:23], v8, s24 src0_sel:BYTE_0 src1_sel:DWORD
	s_and_saveexec_b64 s[20:21], s[22:23]
	s_cbranch_execz .LBB216_1545
; %bb.1542:                             ;   in Loop: Header=BB216_800 Depth=1
	v_bfe_u32 v25, v16, 16, 7
	v_mov_b32_e32 v21, 0x7f800001
	v_mov_b32_e32 v22, 0
	v_cmp_ne_u32_e32 vcc, s25, v25
	s_and_saveexec_b64 s[22:23], vcc
	s_cbranch_execz .LBB216_1544
; %bb.1543:                             ;   in Loop: Header=BB216_800 Depth=1
	v_and_b32_e32 v27, 7, v8
	v_ffbh_u32_e32 v21, v27
	v_lshrrev_b32_e32 v28, 3, v25
	v_cmp_gt_u32_e32 vcc, 8, v25
	v_min_u32_e32 v25, 32, v21
	v_subrev_u32_e32 v21, 28, v25
	v_lshlrev_b64 v[21:22], v21, v[8:9]
	v_sub_u32_e32 v22, 29, v25
	v_and_b32_e32 v21, 7, v21
	v_cndmask_b32_e32 v22, v28, v22, vcc
	v_cndmask_b32_e32 v21, v27, v21, vcc
	v_bfrev_b32_e32 v25, 60
	v_lshlrev_b32_e32 v21, 20, v21
	v_and_b32_sdwa v8, sext(v8), s26 dst_sel:DWORD dst_unused:UNUSED_PAD src0_sel:BYTE_0 src1_sel:DWORD
	v_lshl_add_u32 v22, v22, 23, v25
	v_or3_b32 v21, v8, v22, v21
	v_mov_b32_e32 v22, v6
.LBB216_1544:                           ;   in Loop: Header=BB216_800 Depth=1
	s_or_b64 exec, exec, s[22:23]
.LBB216_1545:                           ;   in Loop: Header=BB216_800 Depth=1
	s_or_b64 exec, exec, s[20:21]
.LBB216_1546:                           ;   in Loop: Header=BB216_800 Depth=1
	s_or_b64 exec, exec, s[10:11]
	v_cmp_lt_u32_e32 vcc, s27, v16
	s_and_saveexec_b64 s[10:11], vcc
	s_cbranch_execz .LBB216_1552
; %bb.1547:                             ;   in Loop: Header=BB216_800 Depth=1
	v_mov_b32_e32 v24, v7
	v_cmp_ne_u32_sdwa s[22:23], v16, s24 src0_sel:BYTE_3 src1_sel:DWORD
	v_mov_b32_e32 v23, v6
	s_and_saveexec_b64 s[20:21], s[22:23]
	s_cbranch_execz .LBB216_1551
; %bb.1548:                             ;   in Loop: Header=BB216_800 Depth=1
	v_bfe_u32 v25, v16, 24, 7
	v_mov_b32_e32 v8, v6
	v_mov_b32_e32 v24, v9
	v_cmp_ne_u32_e32 vcc, s25, v25
	v_mov_b32_e32 v23, v8
	s_and_saveexec_b64 s[22:23], vcc
	s_cbranch_execz .LBB216_1550
; %bb.1549:                             ;   in Loop: Header=BB216_800 Depth=1
	v_mov_b32_e32 v8, 7
	v_and_b32_sdwa v23, v16, v8 dst_sel:DWORD dst_unused:UNUSED_PAD src0_sel:BYTE_3 src1_sel:DWORD
	v_lshrrev_b32_e32 v8, 3, v25
	v_cmp_gt_u32_e32 vcc, 8, v25
	v_ffbh_u32_e32 v25, v23
	v_min_u32_e32 v27, 32, v25
	v_mov_b32_e32 v24, v6
	v_subrev_u32_e32 v25, 28, v27
	v_lshlrev_b64 v[24:25], v25, v[23:24]
	v_sub_u32_e32 v25, 29, v27
	v_and_b32_e32 v24, 7, v24
	v_cndmask_b32_e32 v23, v23, v24, vcc
	v_mov_b32_e32 v24, 24
	v_cndmask_b32_e32 v8, v8, v25, vcc
	v_lshlrev_b32_sdwa v16, v24, v16 dst_sel:DWORD dst_unused:UNUSED_PAD src0_sel:DWORD src1_sel:BYTE_3
	v_bfrev_b32_e32 v24, 60
	v_lshl_add_u32 v8, v8, 23, v24
	v_and_or_b32 v8, v16, s26, v8
	v_lshlrev_b32_e32 v16, 20, v23
	v_or_b32_e32 v24, v8, v16
	v_mov_b32_e32 v23, v6
.LBB216_1550:                           ;   in Loop: Header=BB216_800 Depth=1
	s_or_b64 exec, exec, s[22:23]
.LBB216_1551:                           ;   in Loop: Header=BB216_800 Depth=1
	s_or_b64 exec, exec, s[20:21]
.LBB216_1552:                           ;   in Loop: Header=BB216_800 Depth=1
	s_or_b64 exec, exec, s[10:11]
	v_or_b32_e32 v8, v20, v18
	v_or_b32_e32 v16, v19, v17
	v_mul_f32_e32 v55, v63, v8
	v_mul_f32_e32 v25, v26, v16
	v_or_b32_e32 v8, v24, v22
	v_or_b32_e32 v16, v23, v21
	v_mul_f32_e32 v54, v26, v16
	v_mul_f32_e32 v53, v63, v8
	s_and_saveexec_b64 s[10:11], s[4:5]
	s_cbranch_execz .LBB216_1554
; %bb.1553:                             ;   in Loop: Header=BB216_800 Depth=1
	buffer_load_dword v8, off, s[0:3], s32 offset:72 ; 4-byte Folded Reload
	v_add_u32_e32 v16, -3, v5
	s_waitcnt vmcnt(0)
	v_cmp_lt_i32_e32 vcc, v16, v8
	v_add_u32_e32 v16, -2, v5
	v_cndmask_b32_e32 v25, 0, v25, vcc
	v_cmp_lt_i32_e32 vcc, v16, v8
	v_add_u32_e32 v16, -1, v5
	v_cndmask_b32_e32 v55, 0, v55, vcc
	v_cmp_lt_i32_e32 vcc, v16, v8
	v_cndmask_b32_e32 v54, 0, v54, vcc
	v_cmp_lt_i32_e32 vcc, v5, v8
	v_cndmask_b32_e32 v53, 0, v53, vcc
.LBB216_1554:                           ;   in Loop: Header=BB216_800 Depth=1
	s_or_b64 exec, exec, s[10:11]
	v_add_co_u32_e32 v16, vcc, 0x1000, v14
	v_addc_co_u32_e32 v17, vcc, 0, v15, vcc
	flat_load_dword v16, v[16:17] offset:3328
	v_mov_b32_e32 v19, 0
	v_mov_b32_e32 v17, 0
	v_mov_b32_e32 v20, 0
	v_mov_b32_e32 v18, 0
	s_waitcnt vmcnt(0) lgkmcnt(0)
	v_cmp_ne_u16_sdwa s[20:21], v16, v6 src0_sel:BYTE_0 src1_sel:DWORD
	s_and_saveexec_b64 s[10:11], s[20:21]
	s_cbranch_execz .LBB216_1560
; %bb.1555:                             ;   in Loop: Header=BB216_800 Depth=1
	v_bfrev_b32_e32 v17, 1
	v_mov_b32_e32 v18, 0
	v_cmp_ne_u16_sdwa s[22:23], v16, s24 src0_sel:BYTE_0 src1_sel:DWORD
	s_and_saveexec_b64 s[20:21], s[22:23]
	s_cbranch_execz .LBB216_1559
; %bb.1556:                             ;   in Loop: Header=BB216_800 Depth=1
	v_and_b32_e32 v8, 0x7f, v16
	v_mov_b32_e32 v17, 0x7f800001
	v_mov_b32_e32 v18, 0
	v_cmp_ne_u32_e32 vcc, s25, v8
	s_and_saveexec_b64 s[22:23], vcc
	s_cbranch_execz .LBB216_1558
; %bb.1557:                             ;   in Loop: Header=BB216_800 Depth=1
	v_and_b32_e32 v21, 7, v16
	v_lshrrev_b32_e32 v22, 3, v8
	v_cmp_gt_u32_e32 vcc, 8, v8
	v_ffbh_u32_e32 v8, v21
	v_min_u32_e32 v8, 32, v8
	v_subrev_u32_e32 v17, 28, v8
	v_lshlrev_b64 v[17:18], v17, v[16:17]
	v_sub_u32_e32 v8, 29, v8
	v_and_b32_e32 v17, 7, v17
	v_cndmask_b32_e32 v8, v22, v8, vcc
	v_cndmask_b32_e32 v17, v21, v17, vcc
	v_bfrev_b32_e32 v21, 60
	v_lshlrev_b32_e32 v17, 20, v17
	v_and_b32_sdwa v18, sext(v16), s26 dst_sel:DWORD dst_unused:UNUSED_PAD src0_sel:BYTE_0 src1_sel:DWORD
	v_lshl_add_u32 v8, v8, 23, v21
	v_or3_b32 v17, v18, v8, v17
	v_mov_b32_e32 v18, v6
.LBB216_1558:                           ;   in Loop: Header=BB216_800 Depth=1
	s_or_b64 exec, exec, s[22:23]
.LBB216_1559:                           ;   in Loop: Header=BB216_800 Depth=1
	s_or_b64 exec, exec, s[20:21]
.LBB216_1560:                           ;   in Loop: Header=BB216_800 Depth=1
	s_or_b64 exec, exec, s[10:11]
	v_cmp_ne_u16_sdwa s[20:21], v16, v6 src0_sel:BYTE_1 src1_sel:DWORD
	s_and_saveexec_b64 s[10:11], s[20:21]
	s_cbranch_execz .LBB216_1566
; %bb.1561:                             ;   in Loop: Header=BB216_800 Depth=1
	v_mov_b32_e32 v20, v7
	v_cmp_ne_u16_sdwa s[22:23], v16, s24 src0_sel:BYTE_1 src1_sel:DWORD
	v_mov_b32_e32 v19, v6
	s_and_saveexec_b64 s[20:21], s[22:23]
	s_cbranch_execz .LBB216_1565
; %bb.1562:                             ;   in Loop: Header=BB216_800 Depth=1
	v_and_b32_sdwa v21, v16, s25 dst_sel:DWORD dst_unused:UNUSED_PAD src0_sel:BYTE_1 src1_sel:DWORD
	v_mov_b32_e32 v8, v6
	v_mov_b32_e32 v20, v9
	v_cmp_ne_u32_e32 vcc, s25, v21
	v_mov_b32_e32 v19, v8
	s_and_saveexec_b64 s[22:23], vcc
	s_cbranch_execz .LBB216_1564
; %bb.1563:                             ;   in Loop: Header=BB216_800 Depth=1
	v_mov_b32_e32 v8, 7
	v_and_b32_sdwa v19, v16, v8 dst_sel:DWORD dst_unused:UNUSED_PAD src0_sel:BYTE_1 src1_sel:DWORD
	v_lshrrev_b32_e32 v8, 3, v21
	v_cmp_gt_u32_e32 vcc, 8, v21
	v_ffbh_u32_e32 v21, v19
	v_min_u32_e32 v22, 32, v21
	v_mov_b32_e32 v20, v6
	v_subrev_u32_e32 v21, 28, v22
	v_lshlrev_b64 v[20:21], v21, v[19:20]
	v_sub_u32_e32 v21, 29, v22
	v_and_b32_e32 v20, 7, v20
	v_cndmask_b32_e32 v8, v8, v21, vcc
	v_bfrev_b32_e32 v21, 60
	v_cndmask_b32_e32 v19, v19, v20, vcc
	v_lshlrev_b32_e32 v20, 16, v16
	v_lshl_add_u32 v8, v8, 23, v21
	v_and_or_b32 v8, v20, s26, v8
	v_lshlrev_b32_e32 v19, 20, v19
	v_or_b32_e32 v20, v8, v19
	v_mov_b32_e32 v19, v6
.LBB216_1564:                           ;   in Loop: Header=BB216_800 Depth=1
	s_or_b64 exec, exec, s[22:23]
.LBB216_1565:                           ;   in Loop: Header=BB216_800 Depth=1
	s_or_b64 exec, exec, s[20:21]
.LBB216_1566:                           ;   in Loop: Header=BB216_800 Depth=1
	s_or_b64 exec, exec, s[10:11]
	v_lshrrev_b32_e32 v8, 16, v16
	v_mov_b32_e32 v23, 0
	v_mov_b32_e32 v21, 0
	;; [unrolled: 1-line block ×4, first 2 shown]
	v_cmp_ne_u16_sdwa s[20:21], v8, v6 src0_sel:BYTE_0 src1_sel:DWORD
	s_and_saveexec_b64 s[10:11], s[20:21]
	s_cbranch_execz .LBB216_1572
; %bb.1567:                             ;   in Loop: Header=BB216_800 Depth=1
	v_bfrev_b32_e32 v21, 1
	v_mov_b32_e32 v22, 0
	v_cmp_ne_u16_sdwa s[22:23], v8, s24 src0_sel:BYTE_0 src1_sel:DWORD
	s_and_saveexec_b64 s[20:21], s[22:23]
	s_cbranch_execz .LBB216_1571
; %bb.1568:                             ;   in Loop: Header=BB216_800 Depth=1
	v_bfe_u32 v27, v16, 16, 7
	v_mov_b32_e32 v21, 0x7f800001
	v_mov_b32_e32 v22, 0
	v_cmp_ne_u32_e32 vcc, s25, v27
	s_and_saveexec_b64 s[22:23], vcc
	s_cbranch_execz .LBB216_1570
; %bb.1569:                             ;   in Loop: Header=BB216_800 Depth=1
	v_and_b32_e32 v28, 7, v8
	v_ffbh_u32_e32 v21, v28
	v_lshrrev_b32_e32 v40, 3, v27
	v_cmp_gt_u32_e32 vcc, 8, v27
	v_min_u32_e32 v27, 32, v21
	v_subrev_u32_e32 v21, 28, v27
	v_lshlrev_b64 v[21:22], v21, v[8:9]
	v_sub_u32_e32 v22, 29, v27
	v_and_b32_e32 v21, 7, v21
	v_cndmask_b32_e32 v22, v40, v22, vcc
	v_cndmask_b32_e32 v21, v28, v21, vcc
	v_bfrev_b32_e32 v27, 60
	v_lshlrev_b32_e32 v21, 20, v21
	v_and_b32_sdwa v8, sext(v8), s26 dst_sel:DWORD dst_unused:UNUSED_PAD src0_sel:BYTE_0 src1_sel:DWORD
	v_lshl_add_u32 v22, v22, 23, v27
	v_or3_b32 v21, v8, v22, v21
	v_mov_b32_e32 v22, v6
.LBB216_1570:                           ;   in Loop: Header=BB216_800 Depth=1
	s_or_b64 exec, exec, s[22:23]
.LBB216_1571:                           ;   in Loop: Header=BB216_800 Depth=1
	s_or_b64 exec, exec, s[20:21]
.LBB216_1572:                           ;   in Loop: Header=BB216_800 Depth=1
	s_or_b64 exec, exec, s[10:11]
	v_cmp_lt_u32_e32 vcc, s27, v16
	s_and_saveexec_b64 s[10:11], vcc
	s_cbranch_execz .LBB216_1578
; %bb.1573:                             ;   in Loop: Header=BB216_800 Depth=1
	v_mov_b32_e32 v24, v7
	v_cmp_ne_u32_sdwa s[22:23], v16, s24 src0_sel:BYTE_3 src1_sel:DWORD
	v_mov_b32_e32 v23, v6
	s_and_saveexec_b64 s[20:21], s[22:23]
	s_cbranch_execz .LBB216_1577
; %bb.1574:                             ;   in Loop: Header=BB216_800 Depth=1
	v_bfe_u32 v27, v16, 24, 7
	v_mov_b32_e32 v8, v6
	v_mov_b32_e32 v24, v9
	v_cmp_ne_u32_e32 vcc, s25, v27
	v_mov_b32_e32 v23, v8
	s_and_saveexec_b64 s[22:23], vcc
	s_cbranch_execz .LBB216_1576
; %bb.1575:                             ;   in Loop: Header=BB216_800 Depth=1
	v_mov_b32_e32 v8, 7
	v_and_b32_sdwa v23, v16, v8 dst_sel:DWORD dst_unused:UNUSED_PAD src0_sel:BYTE_3 src1_sel:DWORD
	v_lshrrev_b32_e32 v8, 3, v27
	v_cmp_gt_u32_e32 vcc, 8, v27
	v_ffbh_u32_e32 v27, v23
	v_min_u32_e32 v40, 32, v27
	v_mov_b32_e32 v24, v6
	v_subrev_u32_e32 v27, 28, v40
	v_lshlrev_b64 v[27:28], v27, v[23:24]
	v_sub_u32_e32 v24, 29, v40
	v_cndmask_b32_e32 v8, v8, v24, vcc
	v_mov_b32_e32 v24, 24
	v_and_b32_e32 v27, 7, v27
	v_lshlrev_b32_sdwa v16, v24, v16 dst_sel:DWORD dst_unused:UNUSED_PAD src0_sel:DWORD src1_sel:BYTE_3
	v_bfrev_b32_e32 v24, 60
	v_cndmask_b32_e32 v23, v23, v27, vcc
	v_lshl_add_u32 v8, v8, 23, v24
	v_and_or_b32 v8, v16, s26, v8
	v_lshlrev_b32_e32 v16, 20, v23
	v_or_b32_e32 v24, v8, v16
	v_mov_b32_e32 v23, v6
.LBB216_1576:                           ;   in Loop: Header=BB216_800 Depth=1
	s_or_b64 exec, exec, s[22:23]
.LBB216_1577:                           ;   in Loop: Header=BB216_800 Depth=1
	s_or_b64 exec, exec, s[20:21]
.LBB216_1578:                           ;   in Loop: Header=BB216_800 Depth=1
	s_or_b64 exec, exec, s[10:11]
	v_or_b32_e32 v8, v20, v18
	v_or_b32_e32 v16, v19, v17
	v_mul_f32_e32 v41, v63, v8
	v_mul_f32_e32 v40, v26, v16
	v_or_b32_e32 v8, v24, v22
	v_or_b32_e32 v16, v23, v21
	v_mul_f32_e32 v24, v26, v16
	v_mul_f32_e32 v23, v63, v8
	s_and_saveexec_b64 s[10:11], s[4:5]
	s_cbranch_execz .LBB216_1580
; %bb.1579:                             ;   in Loop: Header=BB216_800 Depth=1
	buffer_load_dword v8, off, s[0:3], s32 offset:72 ; 4-byte Folded Reload
	v_add_u32_e32 v16, -3, v5
	s_waitcnt vmcnt(0)
	v_cmp_lt_i32_e32 vcc, v16, v8
	v_add_u32_e32 v16, -2, v5
	v_cndmask_b32_e32 v40, 0, v40, vcc
	v_cmp_lt_i32_e32 vcc, v16, v8
	v_add_u32_e32 v16, -1, v5
	v_cndmask_b32_e32 v41, 0, v41, vcc
	v_cmp_lt_i32_e32 vcc, v16, v8
	v_cndmask_b32_e32 v24, 0, v24, vcc
	v_cmp_lt_i32_e32 vcc, v5, v8
	v_cndmask_b32_e32 v23, 0, v23, vcc
.LBB216_1580:                           ;   in Loop: Header=BB216_800 Depth=1
	s_or_b64 exec, exec, s[10:11]
	v_add_co_u32_e32 v14, vcc, 0x1000, v14
	v_addc_co_u32_e32 v15, vcc, 0, v15, vcc
	flat_load_dword v14, v[14:15] offset:3584
	v_mov_b32_e32 v17, 0
	v_mov_b32_e32 v15, 0
	;; [unrolled: 1-line block ×4, first 2 shown]
	s_waitcnt vmcnt(0) lgkmcnt(0)
	v_cmp_ne_u16_sdwa s[20:21], v14, v6 src0_sel:BYTE_0 src1_sel:DWORD
	s_and_saveexec_b64 s[10:11], s[20:21]
	s_cbranch_execz .LBB216_1586
; %bb.1581:                             ;   in Loop: Header=BB216_800 Depth=1
	v_bfrev_b32_e32 v15, 1
	v_mov_b32_e32 v16, 0
	v_cmp_ne_u16_sdwa s[22:23], v14, s24 src0_sel:BYTE_0 src1_sel:DWORD
	s_and_saveexec_b64 s[20:21], s[22:23]
	s_cbranch_execz .LBB216_1585
; %bb.1582:                             ;   in Loop: Header=BB216_800 Depth=1
	v_and_b32_e32 v8, 0x7f, v14
	v_mov_b32_e32 v15, 0x7f800001
	v_mov_b32_e32 v16, 0
	v_cmp_ne_u32_e32 vcc, s25, v8
	s_and_saveexec_b64 s[22:23], vcc
	s_cbranch_execz .LBB216_1584
; %bb.1583:                             ;   in Loop: Header=BB216_800 Depth=1
	v_and_b32_e32 v19, 7, v14
	v_lshrrev_b32_e32 v20, 3, v8
	v_cmp_gt_u32_e32 vcc, 8, v8
	v_ffbh_u32_e32 v8, v19
	v_min_u32_e32 v8, 32, v8
	v_subrev_u32_e32 v15, 28, v8
	v_lshlrev_b64 v[15:16], v15, v[14:15]
	v_sub_u32_e32 v8, 29, v8
	v_and_b32_e32 v15, 7, v15
	v_cndmask_b32_e32 v8, v20, v8, vcc
	v_cndmask_b32_e32 v15, v19, v15, vcc
	v_bfrev_b32_e32 v19, 60
	v_lshlrev_b32_e32 v15, 20, v15
	v_and_b32_sdwa v16, sext(v14), s26 dst_sel:DWORD dst_unused:UNUSED_PAD src0_sel:BYTE_0 src1_sel:DWORD
	v_lshl_add_u32 v8, v8, 23, v19
	v_or3_b32 v15, v16, v8, v15
	v_mov_b32_e32 v16, v6
.LBB216_1584:                           ;   in Loop: Header=BB216_800 Depth=1
	s_or_b64 exec, exec, s[22:23]
.LBB216_1585:                           ;   in Loop: Header=BB216_800 Depth=1
	s_or_b64 exec, exec, s[20:21]
.LBB216_1586:                           ;   in Loop: Header=BB216_800 Depth=1
	s_or_b64 exec, exec, s[10:11]
	v_cmp_ne_u16_sdwa s[20:21], v14, v6 src0_sel:BYTE_1 src1_sel:DWORD
	s_and_saveexec_b64 s[10:11], s[20:21]
	s_cbranch_execz .LBB216_1592
; %bb.1587:                             ;   in Loop: Header=BB216_800 Depth=1
	v_mov_b32_e32 v18, v7
	v_cmp_ne_u16_sdwa s[22:23], v14, s24 src0_sel:BYTE_1 src1_sel:DWORD
	v_mov_b32_e32 v17, v6
	s_and_saveexec_b64 s[20:21], s[22:23]
	s_cbranch_execz .LBB216_1591
; %bb.1588:                             ;   in Loop: Header=BB216_800 Depth=1
	v_and_b32_sdwa v19, v14, s25 dst_sel:DWORD dst_unused:UNUSED_PAD src0_sel:BYTE_1 src1_sel:DWORD
	v_mov_b32_e32 v8, v6
	v_mov_b32_e32 v18, v9
	v_cmp_ne_u32_e32 vcc, s25, v19
	v_mov_b32_e32 v17, v8
	s_and_saveexec_b64 s[22:23], vcc
	s_cbranch_execz .LBB216_1590
; %bb.1589:                             ;   in Loop: Header=BB216_800 Depth=1
	v_mov_b32_e32 v8, 7
	v_and_b32_sdwa v17, v14, v8 dst_sel:DWORD dst_unused:UNUSED_PAD src0_sel:BYTE_1 src1_sel:DWORD
	v_lshrrev_b32_e32 v8, 3, v19
	v_cmp_gt_u32_e32 vcc, 8, v19
	v_ffbh_u32_e32 v19, v17
	v_min_u32_e32 v20, 32, v19
	v_mov_b32_e32 v18, v6
	v_subrev_u32_e32 v19, 28, v20
	v_lshlrev_b64 v[18:19], v19, v[17:18]
	v_sub_u32_e32 v19, 29, v20
	v_and_b32_e32 v18, 7, v18
	v_cndmask_b32_e32 v8, v8, v19, vcc
	v_bfrev_b32_e32 v19, 60
	v_cndmask_b32_e32 v17, v17, v18, vcc
	v_lshlrev_b32_e32 v18, 16, v14
	v_lshl_add_u32 v8, v8, 23, v19
	v_and_or_b32 v8, v18, s26, v8
	v_lshlrev_b32_e32 v17, 20, v17
	v_or_b32_e32 v18, v8, v17
	v_mov_b32_e32 v17, v6
.LBB216_1590:                           ;   in Loop: Header=BB216_800 Depth=1
	s_or_b64 exec, exec, s[22:23]
.LBB216_1591:                           ;   in Loop: Header=BB216_800 Depth=1
	s_or_b64 exec, exec, s[20:21]
.LBB216_1592:                           ;   in Loop: Header=BB216_800 Depth=1
	s_or_b64 exec, exec, s[10:11]
	v_lshrrev_b32_e32 v8, 16, v14
	v_mov_b32_e32 v21, 0
	v_mov_b32_e32 v19, 0
	;; [unrolled: 1-line block ×4, first 2 shown]
	v_cmp_ne_u16_sdwa s[20:21], v8, v6 src0_sel:BYTE_0 src1_sel:DWORD
	s_and_saveexec_b64 s[10:11], s[20:21]
	s_cbranch_execz .LBB216_1598
; %bb.1593:                             ;   in Loop: Header=BB216_800 Depth=1
	v_bfrev_b32_e32 v19, 1
	v_mov_b32_e32 v20, 0
	v_cmp_ne_u16_sdwa s[22:23], v8, s24 src0_sel:BYTE_0 src1_sel:DWORD
	s_and_saveexec_b64 s[20:21], s[22:23]
	s_cbranch_execz .LBB216_1597
; %bb.1594:                             ;   in Loop: Header=BB216_800 Depth=1
	v_bfe_u32 v27, v14, 16, 7
	v_mov_b32_e32 v19, 0x7f800001
	v_mov_b32_e32 v20, 0
	v_cmp_ne_u32_e32 vcc, s25, v27
	s_and_saveexec_b64 s[22:23], vcc
	s_cbranch_execz .LBB216_1596
; %bb.1595:                             ;   in Loop: Header=BB216_800 Depth=1
	v_and_b32_e32 v28, 7, v8
	v_ffbh_u32_e32 v19, v28
	v_mov_b32_e32 v33, v42
	v_lshrrev_b32_e32 v42, 3, v27
	v_cmp_gt_u32_e32 vcc, 8, v27
	v_min_u32_e32 v27, 32, v19
	v_subrev_u32_e32 v19, 28, v27
	v_lshlrev_b64 v[19:20], v19, v[8:9]
	v_sub_u32_e32 v20, 29, v27
	v_cndmask_b32_e32 v20, v42, v20, vcc
	v_mov_b32_e32 v42, v33
	buffer_load_dword v33, off, s[0:3], s32 offset:996 ; 4-byte Folded Reload
	v_and_b32_e32 v19, 7, v19
	v_cndmask_b32_e32 v19, v28, v19, vcc
	v_bfrev_b32_e32 v27, 60
	v_lshlrev_b32_e32 v19, 20, v19
	v_and_b32_sdwa v8, sext(v8), s26 dst_sel:DWORD dst_unused:UNUSED_PAD src0_sel:BYTE_0 src1_sel:DWORD
	v_lshl_add_u32 v20, v20, 23, v27
	v_or3_b32 v19, v8, v20, v19
	v_mov_b32_e32 v20, v6
.LBB216_1596:                           ;   in Loop: Header=BB216_800 Depth=1
	s_or_b64 exec, exec, s[22:23]
.LBB216_1597:                           ;   in Loop: Header=BB216_800 Depth=1
	s_or_b64 exec, exec, s[20:21]
.LBB216_1598:                           ;   in Loop: Header=BB216_800 Depth=1
	s_or_b64 exec, exec, s[10:11]
	v_cmp_lt_u32_e32 vcc, s27, v14
	s_and_saveexec_b64 s[10:11], vcc
	s_cbranch_execz .LBB216_1604
; %bb.1599:                             ;   in Loop: Header=BB216_800 Depth=1
	v_mov_b32_e32 v22, v7
	v_cmp_ne_u32_sdwa s[22:23], v14, s24 src0_sel:BYTE_3 src1_sel:DWORD
	v_mov_b32_e32 v21, v6
	s_and_saveexec_b64 s[20:21], s[22:23]
	s_cbranch_execz .LBB216_1603
; %bb.1600:                             ;   in Loop: Header=BB216_800 Depth=1
	v_bfe_u32 v27, v14, 24, 7
	v_mov_b32_e32 v8, v6
	v_mov_b32_e32 v22, v9
	v_cmp_ne_u32_e32 vcc, s25, v27
	v_mov_b32_e32 v21, v8
	s_and_saveexec_b64 s[22:23], vcc
	s_cbranch_execz .LBB216_1602
; %bb.1601:                             ;   in Loop: Header=BB216_800 Depth=1
	v_mov_b32_e32 v8, 7
	v_and_b32_sdwa v21, v14, v8 dst_sel:DWORD dst_unused:UNUSED_PAD src0_sel:BYTE_3 src1_sel:DWORD
	v_lshrrev_b32_e32 v8, 3, v27
	v_cmp_gt_u32_e32 vcc, 8, v27
	v_ffbh_u32_e32 v27, v21
	s_waitcnt vmcnt(0)
	v_mov_b32_e32 v33, v42
	v_min_u32_e32 v42, 32, v27
	v_mov_b32_e32 v22, v6
	v_subrev_u32_e32 v27, 28, v42
	v_lshlrev_b64 v[27:28], v27, v[21:22]
	v_sub_u32_e32 v22, 29, v42
	v_mov_b32_e32 v42, v33
	buffer_load_dword v33, off, s[0:3], s32 offset:996 ; 4-byte Folded Reload
	v_cndmask_b32_e32 v8, v8, v22, vcc
	v_mov_b32_e32 v22, 24
	v_and_b32_e32 v27, 7, v27
	v_lshlrev_b32_sdwa v14, v22, v14 dst_sel:DWORD dst_unused:UNUSED_PAD src0_sel:DWORD src1_sel:BYTE_3
	v_bfrev_b32_e32 v22, 60
	v_cndmask_b32_e32 v21, v21, v27, vcc
	v_lshl_add_u32 v8, v8, 23, v22
	v_and_or_b32 v8, v14, s26, v8
	v_lshlrev_b32_e32 v14, 20, v21
	v_or_b32_e32 v22, v8, v14
	v_mov_b32_e32 v21, v6
.LBB216_1602:                           ;   in Loop: Header=BB216_800 Depth=1
	s_or_b64 exec, exec, s[22:23]
.LBB216_1603:                           ;   in Loop: Header=BB216_800 Depth=1
	s_or_b64 exec, exec, s[20:21]
.LBB216_1604:                           ;   in Loop: Header=BB216_800 Depth=1
	s_or_b64 exec, exec, s[10:11]
	v_or_b32_e32 v8, v18, v16
	v_or_b32_e32 v14, v17, v15
	v_mul_f32_e32 v28, v63, v8
	v_mul_f32_e32 v27, v26, v14
	v_or_b32_e32 v8, v22, v20
	v_or_b32_e32 v14, v21, v19
	v_mul_f32_e32 v22, v26, v14
	v_mul_f32_e32 v21, v63, v8
	s_and_saveexec_b64 s[10:11], s[4:5]
	s_cbranch_execz .LBB216_1606
; %bb.1605:                             ;   in Loop: Header=BB216_800 Depth=1
	buffer_load_dword v8, off, s[0:3], s32 offset:72 ; 4-byte Folded Reload
	v_add_u32_e32 v14, -3, v5
	s_waitcnt vmcnt(0)
	v_cmp_lt_i32_e32 vcc, v14, v8
	v_add_u32_e32 v14, -2, v5
	v_cndmask_b32_e32 v27, 0, v27, vcc
	v_cmp_lt_i32_e32 vcc, v14, v8
	v_add_u32_e32 v14, -1, v5
	v_cndmask_b32_e32 v28, 0, v28, vcc
	v_cmp_lt_i32_e32 vcc, v14, v8
	v_cndmask_b32_e32 v22, 0, v22, vcc
	v_cmp_lt_i32_e32 vcc, v5, v8
	v_cndmask_b32_e32 v21, 0, v21, vcc
.LBB216_1606:                           ;   in Loop: Header=BB216_800 Depth=1
	s_or_b64 exec, exec, s[10:11]
	buffer_load_dword v8, off, s[0:3], s32 offset:992 ; 4-byte Folded Reload
	v_mov_b32_e32 v15, 0
	v_mov_b32_e32 v16, 0
	s_waitcnt vmcnt(0)
	v_add_co_u32_e32 v12, vcc, v12, v8
	v_addc_co_u32_e32 v13, vcc, 0, v13, vcc
	flat_load_dword v12, v[12:13]
	v_mov_b32_e32 v13, 0
	v_mov_b32_e32 v14, 0
	s_waitcnt vmcnt(0) lgkmcnt(0)
	v_cmp_ne_u16_sdwa s[20:21], v12, v6 src0_sel:BYTE_0 src1_sel:DWORD
	s_and_saveexec_b64 s[10:11], s[20:21]
	s_cbranch_execz .LBB216_1612
; %bb.1607:                             ;   in Loop: Header=BB216_800 Depth=1
	v_bfrev_b32_e32 v13, 1
	v_mov_b32_e32 v14, 0
	v_cmp_ne_u16_sdwa s[22:23], v12, s24 src0_sel:BYTE_0 src1_sel:DWORD
	s_and_saveexec_b64 s[20:21], s[22:23]
	s_cbranch_execz .LBB216_1611
; %bb.1608:                             ;   in Loop: Header=BB216_800 Depth=1
	v_and_b32_e32 v8, 0x7f, v12
	v_mov_b32_e32 v13, 0x7f800001
	v_mov_b32_e32 v14, 0
	v_cmp_ne_u32_e32 vcc, s25, v8
	s_and_saveexec_b64 s[22:23], vcc
	s_cbranch_execz .LBB216_1610
; %bb.1609:                             ;   in Loop: Header=BB216_800 Depth=1
	v_and_b32_e32 v17, 7, v12
	v_lshrrev_b32_e32 v18, 3, v8
	v_cmp_gt_u32_e32 vcc, 8, v8
	v_ffbh_u32_e32 v8, v17
	v_min_u32_e32 v8, 32, v8
	v_subrev_u32_e32 v13, 28, v8
	v_lshlrev_b64 v[13:14], v13, v[12:13]
	v_sub_u32_e32 v8, 29, v8
	v_and_b32_e32 v13, 7, v13
	v_cndmask_b32_e32 v8, v18, v8, vcc
	v_cndmask_b32_e32 v13, v17, v13, vcc
	v_bfrev_b32_e32 v17, 60
	v_lshlrev_b32_e32 v13, 20, v13
	v_and_b32_sdwa v14, sext(v12), s26 dst_sel:DWORD dst_unused:UNUSED_PAD src0_sel:BYTE_0 src1_sel:DWORD
	v_lshl_add_u32 v8, v8, 23, v17
	v_or3_b32 v13, v14, v8, v13
	v_mov_b32_e32 v14, v6
.LBB216_1610:                           ;   in Loop: Header=BB216_800 Depth=1
	s_or_b64 exec, exec, s[22:23]
.LBB216_1611:                           ;   in Loop: Header=BB216_800 Depth=1
	s_or_b64 exec, exec, s[20:21]
.LBB216_1612:                           ;   in Loop: Header=BB216_800 Depth=1
	s_or_b64 exec, exec, s[10:11]
	v_cmp_ne_u16_sdwa s[20:21], v12, v6 src0_sel:BYTE_1 src1_sel:DWORD
	s_and_saveexec_b64 s[10:11], s[20:21]
	s_cbranch_execz .LBB216_1618
; %bb.1613:                             ;   in Loop: Header=BB216_800 Depth=1
	v_mov_b32_e32 v16, v7
	v_cmp_ne_u16_sdwa s[22:23], v12, s24 src0_sel:BYTE_1 src1_sel:DWORD
	v_mov_b32_e32 v15, v6
	s_and_saveexec_b64 s[20:21], s[22:23]
	s_cbranch_execz .LBB216_1617
; %bb.1614:                             ;   in Loop: Header=BB216_800 Depth=1
	v_and_b32_sdwa v17, v12, s25 dst_sel:DWORD dst_unused:UNUSED_PAD src0_sel:BYTE_1 src1_sel:DWORD
	v_mov_b32_e32 v8, v6
	v_mov_b32_e32 v16, v9
	v_cmp_ne_u32_e32 vcc, s25, v17
	v_mov_b32_e32 v15, v8
	s_and_saveexec_b64 s[22:23], vcc
	s_cbranch_execz .LBB216_1616
; %bb.1615:                             ;   in Loop: Header=BB216_800 Depth=1
	v_mov_b32_e32 v8, 7
	v_and_b32_sdwa v15, v12, v8 dst_sel:DWORD dst_unused:UNUSED_PAD src0_sel:BYTE_1 src1_sel:DWORD
	v_lshrrev_b32_e32 v8, 3, v17
	v_cmp_gt_u32_e32 vcc, 8, v17
	v_ffbh_u32_e32 v17, v15
	v_min_u32_e32 v18, 32, v17
	v_mov_b32_e32 v16, v6
	v_subrev_u32_e32 v17, 28, v18
	v_lshlrev_b64 v[16:17], v17, v[15:16]
	v_sub_u32_e32 v17, 29, v18
	v_and_b32_e32 v16, 7, v16
	v_cndmask_b32_e32 v8, v8, v17, vcc
	v_bfrev_b32_e32 v17, 60
	v_cndmask_b32_e32 v15, v15, v16, vcc
	v_lshlrev_b32_e32 v16, 16, v12
	v_lshl_add_u32 v8, v8, 23, v17
	v_and_or_b32 v8, v16, s26, v8
	v_lshlrev_b32_e32 v15, 20, v15
	v_or_b32_e32 v16, v8, v15
	v_mov_b32_e32 v15, v6
.LBB216_1616:                           ;   in Loop: Header=BB216_800 Depth=1
	s_or_b64 exec, exec, s[22:23]
.LBB216_1617:                           ;   in Loop: Header=BB216_800 Depth=1
	s_or_b64 exec, exec, s[20:21]
.LBB216_1618:                           ;   in Loop: Header=BB216_800 Depth=1
	s_or_b64 exec, exec, s[10:11]
	v_lshrrev_b32_e32 v8, 16, v12
	v_mov_b32_e32 v19, 0
	v_mov_b32_e32 v17, 0
	;; [unrolled: 1-line block ×4, first 2 shown]
	v_cmp_ne_u16_sdwa s[20:21], v8, v6 src0_sel:BYTE_0 src1_sel:DWORD
	s_and_saveexec_b64 s[10:11], s[20:21]
	s_cbranch_execz .LBB216_1624
; %bb.1619:                             ;   in Loop: Header=BB216_800 Depth=1
	v_bfrev_b32_e32 v17, 1
	v_mov_b32_e32 v18, 0
	v_cmp_ne_u16_sdwa s[22:23], v8, s24 src0_sel:BYTE_0 src1_sel:DWORD
	s_and_saveexec_b64 s[20:21], s[22:23]
	s_cbranch_execz .LBB216_1623
; %bb.1620:                             ;   in Loop: Header=BB216_800 Depth=1
	v_bfe_u32 v57, v12, 16, 7
	v_mov_b32_e32 v17, 0x7f800001
	v_mov_b32_e32 v18, 0
	v_cmp_ne_u32_e32 vcc, s25, v57
	s_and_saveexec_b64 s[22:23], vcc
	s_cbranch_execz .LBB216_1622
; %bb.1621:                             ;   in Loop: Header=BB216_800 Depth=1
	v_mov_b32_e32 v35, v34
	v_mov_b32_e32 v34, v42
	v_and_b32_e32 v42, 7, v8
	v_ffbh_u32_e32 v17, v42
	v_mov_b32_e32 v33, v32
	v_mov_b32_e32 v32, v31
	v_mov_b32_e32 v31, v30
	v_mov_b32_e32 v30, v11
	v_mov_b32_e32 v11, v10
	v_mov_b32_e32 v10, v62
	v_mov_b32_e32 v62, v61
	v_mov_b32_e32 v61, v60
	v_mov_b32_e32 v60, v59
	v_mov_b32_e32 v59, v58
	v_mov_b32_e32 v58, v56
	v_mov_b32_e32 v56, v47
	v_mov_b32_e32 v47, v46
	v_mov_b32_e32 v46, v45
	v_mov_b32_e32 v45, v44
	v_mov_b32_e32 v44, v29
	v_mov_b32_e32 v29, v43
	v_lshrrev_b32_e32 v43, 3, v57
	v_cmp_gt_u32_e32 vcc, 8, v57
	v_min_u32_e32 v57, 32, v17
	v_subrev_u32_e32 v17, 28, v57
	v_lshlrev_b64 v[17:18], v17, v[8:9]
	v_sub_u32_e32 v18, 29, v57
	v_and_b32_e32 v17, 7, v17
	v_cndmask_b32_e32 v18, v43, v18, vcc
	v_mov_b32_e32 v43, v29
	v_mov_b32_e32 v29, v44
	;; [unrolled: 1-line block ×17, first 2 shown]
	buffer_load_dword v33, off, s[0:3], s32 offset:996 ; 4-byte Folded Reload
	v_cndmask_b32_e32 v17, v42, v17, vcc
	v_mov_b32_e32 v42, v34
	v_mov_b32_e32 v34, v35
	buffer_load_dword v35, off, s[0:3], s32 offset:1000 ; 4-byte Folded Reload
	v_bfrev_b32_e32 v57, 60
	v_lshlrev_b32_e32 v17, 20, v17
	v_and_b32_sdwa v8, sext(v8), s26 dst_sel:DWORD dst_unused:UNUSED_PAD src0_sel:BYTE_0 src1_sel:DWORD
	v_lshl_add_u32 v18, v18, 23, v57
	v_or3_b32 v17, v8, v18, v17
	v_mov_b32_e32 v18, v6
.LBB216_1622:                           ;   in Loop: Header=BB216_800 Depth=1
	s_or_b64 exec, exec, s[22:23]
.LBB216_1623:                           ;   in Loop: Header=BB216_800 Depth=1
	s_or_b64 exec, exec, s[20:21]
.LBB216_1624:                           ;   in Loop: Header=BB216_800 Depth=1
	s_or_b64 exec, exec, s[10:11]
	v_cmp_lt_u32_e32 vcc, s27, v12
	s_and_saveexec_b64 s[10:11], vcc
	s_cbranch_execz .LBB216_1630
; %bb.1625:                             ;   in Loop: Header=BB216_800 Depth=1
	v_mov_b32_e32 v20, v7
	v_cmp_ne_u32_sdwa s[22:23], v12, s24 src0_sel:BYTE_3 src1_sel:DWORD
	v_mov_b32_e32 v19, v6
	s_and_saveexec_b64 s[20:21], s[22:23]
	s_cbranch_execz .LBB216_1629
; %bb.1626:                             ;   in Loop: Header=BB216_800 Depth=1
	v_bfe_u32 v57, v12, 24, 7
	v_mov_b32_e32 v8, v6
	v_mov_b32_e32 v20, v9
	v_cmp_ne_u32_e32 vcc, s25, v57
	v_mov_b32_e32 v19, v8
	s_and_saveexec_b64 s[22:23], vcc
	s_cbranch_execz .LBB216_1628
; %bb.1627:                             ;   in Loop: Header=BB216_800 Depth=1
	v_mov_b32_e32 v8, 7
	v_and_b32_sdwa v19, v12, v8 dst_sel:DWORD dst_unused:UNUSED_PAD src0_sel:BYTE_3 src1_sel:DWORD
	s_waitcnt vmcnt(0)
	v_mov_b32_e32 v35, v34
	v_mov_b32_e32 v34, v42
	v_ffbh_u32_e32 v42, v19
	v_lshrrev_b32_e32 v8, 3, v57
	v_cmp_gt_u32_e32 vcc, 8, v57
	v_min_u32_e32 v57, 32, v42
	v_mov_b32_e32 v20, v6
	v_subrev_u32_e32 v42, 28, v57
	v_mov_b32_e32 v33, v32
	v_mov_b32_e32 v32, v31
	v_mov_b32_e32 v31, v30
	v_mov_b32_e32 v30, v11
	v_mov_b32_e32 v11, v10
	v_mov_b32_e32 v10, v62
	v_mov_b32_e32 v62, v61
	v_mov_b32_e32 v61, v60
	v_mov_b32_e32 v60, v59
	v_mov_b32_e32 v59, v58
	v_mov_b32_e32 v58, v56
	v_mov_b32_e32 v56, v47
	v_mov_b32_e32 v47, v46
	v_mov_b32_e32 v46, v45
	v_mov_b32_e32 v45, v44
	v_mov_b32_e32 v44, v29
	v_mov_b32_e32 v29, v43
	v_lshlrev_b64 v[42:43], v42, v[19:20]
	v_mov_b32_e32 v43, v29
	v_and_b32_e32 v42, 7, v42
	v_mov_b32_e32 v29, v44
	v_mov_b32_e32 v44, v45
	v_mov_b32_e32 v45, v46
	v_mov_b32_e32 v46, v47
	v_mov_b32_e32 v47, v56
	v_mov_b32_e32 v56, v58
	v_mov_b32_e32 v58, v59
	v_mov_b32_e32 v59, v60
	v_mov_b32_e32 v60, v61
	v_mov_b32_e32 v61, v62
	v_mov_b32_e32 v62, v10
	v_mov_b32_e32 v10, v11
	v_mov_b32_e32 v11, v30
	v_mov_b32_e32 v30, v31
	v_mov_b32_e32 v31, v32
	v_mov_b32_e32 v32, v33
	buffer_load_dword v33, off, s[0:3], s32 offset:996 ; 4-byte Folded Reload
	v_cndmask_b32_e32 v19, v19, v42, vcc
	v_mov_b32_e32 v42, v34
	v_mov_b32_e32 v34, v35
	buffer_load_dword v35, off, s[0:3], s32 offset:1000 ; 4-byte Folded Reload
	v_sub_u32_e32 v20, 29, v57
	v_cndmask_b32_e32 v8, v8, v20, vcc
	v_mov_b32_e32 v20, 24
	v_lshlrev_b32_sdwa v12, v20, v12 dst_sel:DWORD dst_unused:UNUSED_PAD src0_sel:DWORD src1_sel:BYTE_3
	v_bfrev_b32_e32 v20, 60
	v_lshl_add_u32 v8, v8, 23, v20
	v_and_or_b32 v8, v12, s26, v8
	v_lshlrev_b32_e32 v12, 20, v19
	v_or_b32_e32 v20, v8, v12
	v_mov_b32_e32 v19, v6
.LBB216_1628:                           ;   in Loop: Header=BB216_800 Depth=1
	s_or_b64 exec, exec, s[22:23]
.LBB216_1629:                           ;   in Loop: Header=BB216_800 Depth=1
	s_or_b64 exec, exec, s[20:21]
.LBB216_1630:                           ;   in Loop: Header=BB216_800 Depth=1
	s_or_b64 exec, exec, s[10:11]
	v_or_b32_e32 v8, v16, v14
	v_or_b32_e32 v12, v15, v13
	v_mul_f32_e32 v14, v63, v8
	v_or_b32_e32 v8, v20, v18
	v_or_b32_e32 v13, v19, v17
	v_mul_f32_e32 v12, v26, v12
	v_mul_f32_e32 v13, v26, v13
	;; [unrolled: 1-line block ×3, first 2 shown]
	s_and_saveexec_b64 s[10:11], s[4:5]
	s_cbranch_execz .LBB216_799
; %bb.1631:                             ;   in Loop: Header=BB216_800 Depth=1
	buffer_load_dword v15, off, s[0:3], s32 offset:72 ; 4-byte Folded Reload
	v_add_u32_e32 v16, -3, v5
	s_waitcnt vmcnt(0)
	v_cmp_lt_i32_e32 vcc, v16, v15
	v_add_u32_e32 v16, -2, v5
	v_cndmask_b32_e32 v12, 0, v12, vcc
	v_cmp_lt_i32_e32 vcc, v16, v15
	v_add_u32_e32 v16, -1, v5
	v_cndmask_b32_e32 v14, 0, v14, vcc
	v_cmp_lt_i32_e32 vcc, v16, v15
	v_cndmask_b32_e32 v13, 0, v13, vcc
	v_cmp_lt_i32_e32 vcc, v5, v15
	v_cndmask_b32_e32 v8, 0, v8, vcc
	s_branch .LBB216_799
.LBB216_1632:
	s_or_b64 exec, exec, s[8:9]
	buffer_load_dword v39, off, s[0:3], s32 offset:1004 ; 4-byte Folded Reload
	buffer_load_dword v33, off, s[0:3], s32 offset:1008 ; 4-byte Folded Reload
	;; [unrolled: 1-line block ×16, first 2 shown]
	v_mov_b32_e32 v0, s18
	v_mov_b32_e32 v1, s19
.LBB216_1633:
	s_or_b64 exec, exec, s[6:7]
	s_waitcnt vmcnt(1)
	ds_bpermute_b32 v2, v33, v6
	ds_bpermute_b32 v3, v33, v5
	;; [unrolled: 1-line block ×4, first 2 shown]
	v_mov_b32_e32 v24, v10
	s_waitcnt lgkmcnt(3)
	v_add_f32_e32 v2, v6, v2
	s_waitcnt lgkmcnt(2)
	v_add_f32_e32 v3, v5, v3
	ds_bpermute_b32 v5, v37, v2
	ds_bpermute_b32 v6, v37, v3
	s_waitcnt lgkmcnt(3)
	v_add_f32_e32 v4, v9, v4
	s_waitcnt lgkmcnt(2)
	v_add_f32_e32 v7, v8, v7
	ds_bpermute_b32 v8, v37, v4
	s_waitcnt lgkmcnt(2)
	v_add_f32_e32 v2, v2, v5
	ds_bpermute_b32 v5, v48, v2
	s_waitcnt lgkmcnt(2)
	v_add_f32_e32 v3, v3, v6
	ds_bpermute_b32 v6, v48, v3
	ds_bpermute_b32 v9, v37, v7
	s_waitcnt lgkmcnt(3)
	v_add_f32_e32 v4, v4, v8
	s_waitcnt lgkmcnt(2)
	v_add_f32_e32 v2, v2, v5
	ds_bpermute_b32 v5, v33, v18
	s_waitcnt lgkmcnt(2)
	v_add_f32_e32 v3, v3, v6
	ds_bpermute_b32 v6, v48, v4
	;; [unrolled: 3-line block ×7, first 2 shown]
	s_waitcnt lgkmcnt(2)
	v_add_f32_e32 v10, v14, v6
	v_mov_b32_e32 v26, v11
	ds_bpermute_b32 v11, v37, v10
	s_waitcnt lgkmcnt(2)
	v_add_f32_e32 v7, v12, v7
	ds_bpermute_b32 v12, v37, v7
	s_waitcnt lgkmcnt(2)
	v_add_f32_e32 v6, v8, v9
	;; [unrolled: 3-line block ×33, first 2 shown]
	ds_bpermute_b32 v18, v33, v26
	ds_bpermute_b32 v19, v33, v24
	s_waitcnt lgkmcnt(3)
	v_add_f32_e32 v17, v20, v21
	s_waitcnt lgkmcnt(2)
	v_add_f32_e32 v20, v22, v23
	ds_bpermute_b32 v21, v48, v20
	s_waitcnt lgkmcnt(2)
	v_add_f32_e32 v22, v26, v18
	ds_bpermute_b32 v23, v37, v22
	;; [unrolled: 3-line block ×3, first 2 shown]
	s_waitcnt lgkmcnt(2)
	v_add_f32_e32 v18, v20, v21
	s_waitcnt vmcnt(0)
	ds_bpermute_b32 v20, v33, v25
	s_waitcnt lgkmcnt(2)
	v_add_f32_e32 v21, v22, v23
	ds_bpermute_b32 v22, v48, v21
	s_waitcnt lgkmcnt(2)
	v_add_f32_e32 v19, v19, v24
	ds_bpermute_b32 v24, v33, v62
	v_lshlrev_b64 v[0:1], 2, v[0:1]
	s_getpc_b64 s[4:5]
	s_add_u32 s4, s4, llvm.amdgcn.dynlds.offset.table@rel32@lo+4
	s_addc_u32 s5, s5, llvm.amdgcn.dynlds.offset.table@rel32@hi+12
	s_waitcnt lgkmcnt(2)
	v_add_f32_e32 v20, v25, v20
	v_mov_b32_e32 v25, s5
	v_add_co_u32_e32 v0, vcc, s4, v0
	v_addc_co_u32_e32 v1, vcc, v25, v1, vcc
	s_waitcnt lgkmcnt(0)
	s_barrier
	global_load_dword v34, v[0:1], off
	v_add_f32_e32 v0, v21, v22
	v_add_f32_e32 v21, v62, v24
	ds_bpermute_b32 v22, v37, v21
	ds_bpermute_b32 v23, v48, v19
	;; [unrolled: 1-line block ×4, first 2 shown]
	v_mov_b32_e32 v35, v29
	s_waitcnt lgkmcnt(3)
	v_add_f32_e32 v21, v21, v22
	s_waitcnt lgkmcnt(2)
	v_add_f32_e32 v1, v19, v23
	;; [unrolled: 2-line block ×3, first 2 shown]
	ds_bpermute_b32 v20, v33, v61
	ds_bpermute_b32 v22, v33, v60
	;; [unrolled: 1-line block ×4, first 2 shown]
	v_mov_b32_e32 v38, v35
	s_waitcnt lgkmcnt(3)
	v_add_f32_e32 v25, v61, v20
	s_waitcnt lgkmcnt(2)
	v_add_f32_e32 v22, v60, v22
	;; [unrolled: 2-line block ×3, first 2 shown]
	ds_bpermute_b32 v24, v33, v59
	ds_bpermute_b32 v26, v37, v25
	s_waitcnt lgkmcnt(2)
	v_add_f32_e32 v19, v19, v23
	ds_bpermute_b32 v23, v37, v22
	s_waitcnt lgkmcnt(2)
	v_add_f32_e32 v24, v59, v24
	s_waitcnt lgkmcnt(1)
	v_add_f32_e32 v21, v25, v26
	ds_bpermute_b32 v27, v37, v24
	s_waitcnt lgkmcnt(1)
	v_add_f32_e32 v22, v22, v23
	ds_bpermute_b32 v23, v33, v58
	ds_bpermute_b32 v25, v48, v21
	;; [unrolled: 1-line block ×3, first 2 shown]
	s_waitcnt lgkmcnt(3)
	v_add_f32_e32 v24, v24, v27
	ds_bpermute_b32 v27, v48, v24
	s_waitcnt lgkmcnt(3)
	v_add_f32_e32 v23, v58, v23
	s_waitcnt lgkmcnt(2)
	v_add_f32_e32 v21, v21, v25
	ds_bpermute_b32 v25, v37, v23
	s_waitcnt lgkmcnt(2)
	v_add_f32_e32 v22, v22, v26
	ds_bpermute_b32 v26, v33, v56
	s_waitcnt lgkmcnt(1)
	v_add_f32_e32 v25, v23, v25
	v_add_f32_e32 v23, v24, v27
	s_waitcnt lgkmcnt(0)
	v_add_f32_e32 v26, v56, v26
	v_add_f32_e32 v27, v47, v28
	ds_bpermute_b32 v29, v48, v25
	ds_bpermute_b32 v30, v37, v26
	;; [unrolled: 1-line block ×3, first 2 shown]
	s_waitcnt lgkmcnt(2)
	v_add_f32_e32 v24, v25, v29
	s_waitcnt lgkmcnt(1)
	v_add_f32_e32 v25, v26, v30
	;; [unrolled: 2-line block ×3, first 2 shown]
	ds_bpermute_b32 v28, v33, v45
	ds_bpermute_b32 v26, v33, v46
	;; [unrolled: 1-line block ×4, first 2 shown]
	s_waitcnt lgkmcnt(3)
	v_add_f32_e32 v28, v45, v28
	s_waitcnt lgkmcnt(2)
	v_add_f32_e32 v31, v46, v26
	;; [unrolled: 2-line block ×3, first 2 shown]
	ds_bpermute_b32 v29, v37, v28
	ds_bpermute_b32 v32, v37, v31
	s_waitcnt lgkmcnt(2)
	v_add_f32_e32 v26, v27, v30
	s_waitcnt lgkmcnt(1)
	v_add_f32_e32 v28, v28, v29
	;; [unrolled: 2-line block ×3, first 2 shown]
	ds_bpermute_b32 v32, v48, v28
	ds_bpermute_b32 v31, v33, v44
	;; [unrolled: 1-line block ×5, first 2 shown]
	s_waitcnt lgkmcnt(4)
	v_add_f32_e32 v28, v28, v32
	buffer_load_dword v32, off, s[0:3], s32 offset:1648 ; 4-byte Folded Reload
	s_waitcnt lgkmcnt(3)
	v_add_f32_e32 v31, v44, v31
	s_waitcnt lgkmcnt(2)
	v_add_f32_e32 v29, v43, v29
	s_waitcnt lgkmcnt(1)
	v_add_f32_e32 v33, v38, v33
	ds_bpermute_b32 v35, v37, v31
	ds_bpermute_b32 v36, v37, v29
	;; [unrolled: 1-line block ×3, first 2 shown]
	s_waitcnt lgkmcnt(3)
	v_add_f32_e32 v27, v27, v30
	s_waitcnt lgkmcnt(2)
	v_add_f32_e32 v31, v31, v35
	ds_bpermute_b32 v35, v48, v31
	s_waitcnt lgkmcnt(1)
	v_add_f32_e32 v33, v33, v37
	v_add_f32_e32 v36, v29, v36
	ds_bpermute_b32 v37, v48, v33
	ds_bpermute_b32 v38, v48, v36
	s_waitcnt lgkmcnt(2)
	v_add_f32_e32 v29, v31, v35
	s_waitcnt lgkmcnt(1)
	v_add_f32_e32 v31, v33, v37
	;; [unrolled: 2-line block ×3, first 2 shown]
	s_waitcnt vmcnt(0)
	v_and_b32_e32 v33, 0x3c7, v32
	v_cmp_eq_u32_e32 vcc, 64, v33
	s_and_saveexec_b64 s[4:5], vcc
	s_cbranch_execz .LBB216_1635
; %bb.1634:
	v_lshrrev_b32_e32 v32, 1, v39
	v_add_u32_e32 v32, v34, v32
	ds_write2_b32 v32, v2, v3 offset1:8
	ds_write2_b32 v32, v4, v5 offset0:16 offset1:24
	ds_write2_b32 v32, v6, v7 offset0:32 offset1:40
	;; [unrolled: 1-line block ×15, first 2 shown]
.LBB216_1635:
	s_or_b64 exec, exec, s[4:5]
	buffer_load_dword v32, off, s[0:3], s32 offset:1648 ; 4-byte Folded Reload
	s_waitcnt vmcnt(0) lgkmcnt(0)
	s_barrier
	v_cmp_gt_u32_e32 vcc, 64, v32
	v_lshrrev_b32_e32 v32, 3, v32
	s_and_saveexec_b64 s[4:5], vcc
	s_cbranch_execz .LBB216_1670
; %bb.1636:
	v_cmp_eq_u32_e32 vcc, 0, v49
	v_lshl_add_u32 v34, v32, 2, v34
	s_and_saveexec_b64 s[6:7], vcc
	s_cbranch_execnz .LBB216_1673
; %bb.1637:
	s_or_b64 exec, exec, s[6:7]
	s_and_saveexec_b64 s[6:7], vcc
	s_cbranch_execnz .LBB216_1674
.LBB216_1638:
	s_or_b64 exec, exec, s[6:7]
	s_and_saveexec_b64 s[6:7], vcc
	s_cbranch_execnz .LBB216_1675
.LBB216_1639:
	s_or_b64 exec, exec, s[6:7]
	s_and_saveexec_b64 s[6:7], vcc
	s_cbranch_execnz .LBB216_1676
.LBB216_1640:
	s_or_b64 exec, exec, s[6:7]
	s_and_saveexec_b64 s[6:7], vcc
	s_cbranch_execnz .LBB216_1677
.LBB216_1641:
	s_or_b64 exec, exec, s[6:7]
	s_and_saveexec_b64 s[6:7], vcc
	s_cbranch_execnz .LBB216_1678
.LBB216_1642:
	s_or_b64 exec, exec, s[6:7]
	s_and_saveexec_b64 s[6:7], vcc
	s_cbranch_execnz .LBB216_1679
.LBB216_1643:
	s_or_b64 exec, exec, s[6:7]
	s_and_saveexec_b64 s[6:7], vcc
	s_cbranch_execnz .LBB216_1680
.LBB216_1644:
	s_or_b64 exec, exec, s[6:7]
	s_and_saveexec_b64 s[6:7], vcc
	s_cbranch_execnz .LBB216_1681
.LBB216_1645:
	s_or_b64 exec, exec, s[6:7]
	s_and_saveexec_b64 s[6:7], vcc
	s_cbranch_execnz .LBB216_1682
.LBB216_1646:
	s_or_b64 exec, exec, s[6:7]
	s_and_saveexec_b64 s[6:7], vcc
	s_cbranch_execnz .LBB216_1683
.LBB216_1647:
	s_or_b64 exec, exec, s[6:7]
	s_and_saveexec_b64 s[6:7], vcc
	s_cbranch_execnz .LBB216_1684
.LBB216_1648:
	s_or_b64 exec, exec, s[6:7]
	s_and_saveexec_b64 s[6:7], vcc
	s_cbranch_execnz .LBB216_1685
.LBB216_1649:
	s_or_b64 exec, exec, s[6:7]
	s_and_saveexec_b64 s[6:7], vcc
	s_cbranch_execnz .LBB216_1686
.LBB216_1650:
	s_or_b64 exec, exec, s[6:7]
	s_and_saveexec_b64 s[6:7], vcc
	s_cbranch_execnz .LBB216_1687
.LBB216_1651:
	s_or_b64 exec, exec, s[6:7]
	s_and_saveexec_b64 s[6:7], vcc
	s_cbranch_execnz .LBB216_1688
.LBB216_1652:
	s_or_b64 exec, exec, s[6:7]
	s_and_saveexec_b64 s[6:7], vcc
	s_cbranch_execnz .LBB216_1689
.LBB216_1653:
	s_or_b64 exec, exec, s[6:7]
	s_and_saveexec_b64 s[6:7], vcc
	s_cbranch_execnz .LBB216_1690
.LBB216_1654:
	s_or_b64 exec, exec, s[6:7]
	s_and_saveexec_b64 s[6:7], vcc
	s_cbranch_execnz .LBB216_1691
.LBB216_1655:
	s_or_b64 exec, exec, s[6:7]
	s_and_saveexec_b64 s[6:7], vcc
	s_cbranch_execnz .LBB216_1692
.LBB216_1656:
	s_or_b64 exec, exec, s[6:7]
	s_and_saveexec_b64 s[6:7], vcc
	s_cbranch_execnz .LBB216_1693
.LBB216_1657:
	s_or_b64 exec, exec, s[6:7]
	s_and_saveexec_b64 s[6:7], vcc
	s_cbranch_execnz .LBB216_1694
.LBB216_1658:
	s_or_b64 exec, exec, s[6:7]
	s_and_saveexec_b64 s[6:7], vcc
	s_cbranch_execnz .LBB216_1695
.LBB216_1659:
	s_or_b64 exec, exec, s[6:7]
	s_and_saveexec_b64 s[6:7], vcc
	s_cbranch_execnz .LBB216_1696
.LBB216_1660:
	s_or_b64 exec, exec, s[6:7]
	s_and_saveexec_b64 s[6:7], vcc
	s_cbranch_execnz .LBB216_1697
.LBB216_1661:
	s_or_b64 exec, exec, s[6:7]
	s_and_saveexec_b64 s[6:7], vcc
	s_cbranch_execnz .LBB216_1698
.LBB216_1662:
	s_or_b64 exec, exec, s[6:7]
	s_and_saveexec_b64 s[6:7], vcc
	s_cbranch_execnz .LBB216_1699
.LBB216_1663:
	s_or_b64 exec, exec, s[6:7]
	s_and_saveexec_b64 s[6:7], vcc
	s_cbranch_execnz .LBB216_1700
.LBB216_1664:
	s_or_b64 exec, exec, s[6:7]
	s_and_saveexec_b64 s[6:7], vcc
	s_cbranch_execnz .LBB216_1701
.LBB216_1665:
	s_or_b64 exec, exec, s[6:7]
	s_and_saveexec_b64 s[6:7], vcc
	s_cbranch_execnz .LBB216_1702
.LBB216_1666:
	s_or_b64 exec, exec, s[6:7]
	s_and_saveexec_b64 s[6:7], vcc
	s_cbranch_execnz .LBB216_1703
.LBB216_1667:
	s_or_b64 exec, exec, s[6:7]
	s_and_saveexec_b64 s[6:7], vcc
	s_cbranch_execz .LBB216_1669
.LBB216_1668:
	ds_read_b32 v34, v34 offset:992
	s_waitcnt lgkmcnt(0)
	v_add_f32_e32 v31, v34, v31
.LBB216_1669:
	s_or_b64 exec, exec, s[6:7]
.LBB216_1670:
	s_or_b64 exec, exec, s[4:5]
	v_cmp_eq_u32_e32 vcc, 0, v33
	s_barrier
	s_and_saveexec_b64 s[4:5], vcc
	s_cbranch_execz .LBB216_1672
; %bb.1671:
	buffer_load_dword v34, off, s[0:3], s32 offset:1696 ; 4-byte Folded Reload
	buffer_load_dword v35, off, s[0:3], s32 offset:1692 ; 4-byte Folded Reload
	s_and_b32 s6, 0xffff, s17
	s_cmp_lg_u32 s6, 0
	s_cselect_b64 s[6:7], -1, 0
	s_cmp_lg_u64 s[6:7], 0
	s_addc_u32 s8, s13, 0
	s_mul_i32 s6, s16, s8
	s_mul_i32 s6, s6, s15
	s_lshl_b32 s6, s6, 8
	s_ashr_i32 s7, s6, 31
	s_lshl_b64 s[6:7], s[6:7], 2
	v_mov_b32_e32 v33, s7
	v_lshlrev_b32_e32 v32, 2, v32
	s_waitcnt vmcnt(1)
	v_add_co_u32_e32 v34, vcc, s6, v34
	s_mul_i32 s6, s12, s8
	s_ashr_i32 s7, s6, 31
	s_waitcnt vmcnt(0)
	v_addc_co_u32_e32 v33, vcc, v35, v33, vcc
	s_lshl_b64 s[6:7], s[6:7], 2
	v_add_co_u32_e32 v34, vcc, s6, v34
	s_lshl_b32 s6, s14, 8
	v_mov_b32_e32 v35, s7
	s_ashr_i32 s7, s6, 31
	v_addc_co_u32_e32 v33, vcc, v33, v35, vcc
	s_lshl_b64 s[6:7], s[6:7], 2
	v_mov_b32_e32 v35, s7
	v_add_co_u32_e32 v34, vcc, s6, v34
	v_addc_co_u32_e32 v33, vcc, v33, v35, vcc
	v_add_co_u32_e32 v32, vcc, v34, v32
	v_addc_co_u32_e32 v33, vcc, 0, v33, vcc
	flat_store_dword v[32:33], v2
	flat_store_dword v[32:33], v3 offset:32
	flat_store_dword v[32:33], v4 offset:64
	;; [unrolled: 1-line block ×31, first 2 shown]
.LBB216_1672:
	s_or_b64 exec, exec, s[4:5]
	buffer_load_dword v63, off, s[0:3], s32 ; 4-byte Folded Reload
	buffer_load_dword v62, off, s[0:3], s32 offset:4 ; 4-byte Folded Reload
	buffer_load_dword v61, off, s[0:3], s32 offset:8 ; 4-byte Folded Reload
	;; [unrolled: 1-line block ×15, first 2 shown]
	s_waitcnt vmcnt(0) lgkmcnt(0)
	s_setpc_b64 s[30:31]
.LBB216_1673:
	ds_read_b32 v35, v34
	s_waitcnt lgkmcnt(0)
	v_add_f32_e32 v2, v35, v2
	s_or_b64 exec, exec, s[6:7]
	s_and_saveexec_b64 s[6:7], vcc
	s_cbranch_execz .LBB216_1638
.LBB216_1674:
	ds_read_b32 v35, v34 offset:32
	s_waitcnt lgkmcnt(0)
	v_add_f32_e32 v3, v35, v3
	s_or_b64 exec, exec, s[6:7]
	s_and_saveexec_b64 s[6:7], vcc
	s_cbranch_execz .LBB216_1639
.LBB216_1675:
	ds_read_b32 v35, v34 offset:64
	s_waitcnt lgkmcnt(0)
	v_add_f32_e32 v4, v35, v4
	s_or_b64 exec, exec, s[6:7]
	s_and_saveexec_b64 s[6:7], vcc
	s_cbranch_execz .LBB216_1640
.LBB216_1676:
	ds_read_b32 v35, v34 offset:96
	s_waitcnt lgkmcnt(0)
	v_add_f32_e32 v5, v35, v5
	s_or_b64 exec, exec, s[6:7]
	s_and_saveexec_b64 s[6:7], vcc
	s_cbranch_execz .LBB216_1641
.LBB216_1677:
	ds_read_b32 v35, v34 offset:128
	s_waitcnt lgkmcnt(0)
	v_add_f32_e32 v6, v35, v6
	s_or_b64 exec, exec, s[6:7]
	s_and_saveexec_b64 s[6:7], vcc
	s_cbranch_execz .LBB216_1642
.LBB216_1678:
	ds_read_b32 v35, v34 offset:160
	s_waitcnt lgkmcnt(0)
	v_add_f32_e32 v7, v35, v7
	s_or_b64 exec, exec, s[6:7]
	s_and_saveexec_b64 s[6:7], vcc
	s_cbranch_execz .LBB216_1643
.LBB216_1679:
	ds_read_b32 v35, v34 offset:192
	s_waitcnt lgkmcnt(0)
	v_add_f32_e32 v8, v35, v8
	s_or_b64 exec, exec, s[6:7]
	s_and_saveexec_b64 s[6:7], vcc
	s_cbranch_execz .LBB216_1644
.LBB216_1680:
	ds_read_b32 v35, v34 offset:224
	s_waitcnt lgkmcnt(0)
	v_add_f32_e32 v9, v35, v9
	s_or_b64 exec, exec, s[6:7]
	s_and_saveexec_b64 s[6:7], vcc
	s_cbranch_execz .LBB216_1645
.LBB216_1681:
	ds_read_b32 v35, v34 offset:256
	s_waitcnt lgkmcnt(0)
	v_add_f32_e32 v10, v35, v10
	s_or_b64 exec, exec, s[6:7]
	s_and_saveexec_b64 s[6:7], vcc
	s_cbranch_execz .LBB216_1646
.LBB216_1682:
	ds_read_b32 v35, v34 offset:288
	s_waitcnt lgkmcnt(0)
	v_add_f32_e32 v11, v35, v11
	s_or_b64 exec, exec, s[6:7]
	s_and_saveexec_b64 s[6:7], vcc
	s_cbranch_execz .LBB216_1647
.LBB216_1683:
	ds_read_b32 v35, v34 offset:320
	s_waitcnt lgkmcnt(0)
	v_add_f32_e32 v12, v35, v12
	s_or_b64 exec, exec, s[6:7]
	s_and_saveexec_b64 s[6:7], vcc
	s_cbranch_execz .LBB216_1648
.LBB216_1684:
	ds_read_b32 v35, v34 offset:352
	s_waitcnt lgkmcnt(0)
	v_add_f32_e32 v13, v35, v13
	s_or_b64 exec, exec, s[6:7]
	s_and_saveexec_b64 s[6:7], vcc
	s_cbranch_execz .LBB216_1649
.LBB216_1685:
	ds_read_b32 v35, v34 offset:384
	s_waitcnt lgkmcnt(0)
	v_add_f32_e32 v14, v35, v14
	s_or_b64 exec, exec, s[6:7]
	s_and_saveexec_b64 s[6:7], vcc
	s_cbranch_execz .LBB216_1650
.LBB216_1686:
	ds_read_b32 v35, v34 offset:416
	s_waitcnt lgkmcnt(0)
	v_add_f32_e32 v15, v35, v15
	s_or_b64 exec, exec, s[6:7]
	s_and_saveexec_b64 s[6:7], vcc
	s_cbranch_execz .LBB216_1651
.LBB216_1687:
	ds_read_b32 v35, v34 offset:448
	s_waitcnt lgkmcnt(0)
	v_add_f32_e32 v16, v35, v16
	s_or_b64 exec, exec, s[6:7]
	s_and_saveexec_b64 s[6:7], vcc
	s_cbranch_execz .LBB216_1652
.LBB216_1688:
	ds_read_b32 v35, v34 offset:480
	s_waitcnt lgkmcnt(0)
	v_add_f32_e32 v17, v35, v17
	s_or_b64 exec, exec, s[6:7]
	s_and_saveexec_b64 s[6:7], vcc
	s_cbranch_execz .LBB216_1653
.LBB216_1689:
	ds_read_b32 v35, v34 offset:512
	s_waitcnt lgkmcnt(0)
	v_add_f32_e32 v18, v35, v18
	s_or_b64 exec, exec, s[6:7]
	s_and_saveexec_b64 s[6:7], vcc
	s_cbranch_execz .LBB216_1654
.LBB216_1690:
	ds_read_b32 v35, v34 offset:544
	s_waitcnt lgkmcnt(0)
	v_add_f32_e32 v0, v35, v0
	s_or_b64 exec, exec, s[6:7]
	s_and_saveexec_b64 s[6:7], vcc
	s_cbranch_execz .LBB216_1655
.LBB216_1691:
	ds_read_b32 v35, v34 offset:576
	s_waitcnt lgkmcnt(0)
	v_add_f32_e32 v1, v35, v1
	s_or_b64 exec, exec, s[6:7]
	s_and_saveexec_b64 s[6:7], vcc
	s_cbranch_execz .LBB216_1656
.LBB216_1692:
	ds_read_b32 v35, v34 offset:608
	s_waitcnt lgkmcnt(0)
	v_add_f32_e32 v19, v35, v19
	s_or_b64 exec, exec, s[6:7]
	s_and_saveexec_b64 s[6:7], vcc
	s_cbranch_execz .LBB216_1657
.LBB216_1693:
	ds_read_b32 v35, v34 offset:640
	s_waitcnt lgkmcnt(0)
	v_add_f32_e32 v20, v35, v20
	s_or_b64 exec, exec, s[6:7]
	s_and_saveexec_b64 s[6:7], vcc
	s_cbranch_execz .LBB216_1658
.LBB216_1694:
	ds_read_b32 v35, v34 offset:672
	s_waitcnt lgkmcnt(0)
	v_add_f32_e32 v21, v35, v21
	s_or_b64 exec, exec, s[6:7]
	s_and_saveexec_b64 s[6:7], vcc
	s_cbranch_execz .LBB216_1659
.LBB216_1695:
	ds_read_b32 v35, v34 offset:704
	s_waitcnt lgkmcnt(0)
	v_add_f32_e32 v22, v35, v22
	s_or_b64 exec, exec, s[6:7]
	s_and_saveexec_b64 s[6:7], vcc
	s_cbranch_execz .LBB216_1660
.LBB216_1696:
	ds_read_b32 v35, v34 offset:736
	s_waitcnt lgkmcnt(0)
	v_add_f32_e32 v23, v35, v23
	s_or_b64 exec, exec, s[6:7]
	s_and_saveexec_b64 s[6:7], vcc
	s_cbranch_execz .LBB216_1661
.LBB216_1697:
	ds_read_b32 v35, v34 offset:768
	s_waitcnt lgkmcnt(0)
	v_add_f32_e32 v24, v35, v24
	s_or_b64 exec, exec, s[6:7]
	s_and_saveexec_b64 s[6:7], vcc
	s_cbranch_execz .LBB216_1662
.LBB216_1698:
	ds_read_b32 v35, v34 offset:800
	s_waitcnt lgkmcnt(0)
	v_add_f32_e32 v25, v35, v25
	s_or_b64 exec, exec, s[6:7]
	s_and_saveexec_b64 s[6:7], vcc
	s_cbranch_execz .LBB216_1663
.LBB216_1699:
	ds_read_b32 v35, v34 offset:832
	s_waitcnt lgkmcnt(0)
	v_add_f32_e32 v26, v35, v26
	s_or_b64 exec, exec, s[6:7]
	s_and_saveexec_b64 s[6:7], vcc
	s_cbranch_execz .LBB216_1664
.LBB216_1700:
	ds_read_b32 v35, v34 offset:864
	s_waitcnt lgkmcnt(0)
	v_add_f32_e32 v27, v35, v27
	s_or_b64 exec, exec, s[6:7]
	s_and_saveexec_b64 s[6:7], vcc
	s_cbranch_execz .LBB216_1665
.LBB216_1701:
	ds_read_b32 v35, v34 offset:896
	s_waitcnt lgkmcnt(0)
	v_add_f32_e32 v28, v35, v28
	s_or_b64 exec, exec, s[6:7]
	s_and_saveexec_b64 s[6:7], vcc
	s_cbranch_execz .LBB216_1666
.LBB216_1702:
	ds_read_b32 v35, v34 offset:928
	s_waitcnt lgkmcnt(0)
	v_add_f32_e32 v29, v35, v29
	s_or_b64 exec, exec, s[6:7]
	s_and_saveexec_b64 s[6:7], vcc
	s_cbranch_execz .LBB216_1667
.LBB216_1703:
	ds_read_b32 v35, v34 offset:960
	s_waitcnt lgkmcnt(0)
	v_add_f32_e32 v30, v35, v30
	s_or_b64 exec, exec, s[6:7]
	s_and_saveexec_b64 s[6:7], vcc
	s_cbranch_execnz .LBB216_1668
	s_branch .LBB216_1669
.Lfunc_end216:
	.size	_ZN4vllm22paged_attention_kernelIfhLi256ELi32ELi128ELNS_18Fp8KVCacheDataTypeE1ELb0ELi0EEEvPfS2_PT_PKS3_PKT0_S9_ifPKiSB_iPKfiiiSD_SD_iiiii, .Lfunc_end216-_ZN4vllm22paged_attention_kernelIfhLi256ELi32ELi128ELNS_18Fp8KVCacheDataTypeE1ELb0ELi0EEEvPfS2_PT_PKS3_PKT0_S9_ifPKiSB_iPKfiiiSD_SD_iiiii
                                        ; -- End function
	.set .L_ZN4vllm22paged_attention_kernelIfhLi256ELi32ELi128ELNS_18Fp8KVCacheDataTypeE1ELb0ELi0EEEvPfS2_PT_PKS3_PKT0_S9_ifPKiSB_iPKfiiiSD_SD_iiiii.num_vgpr, 64
	.set .L_ZN4vllm22paged_attention_kernelIfhLi256ELi32ELi128ELNS_18Fp8KVCacheDataTypeE1ELb0ELi0EEEvPfS2_PT_PKS3_PKT0_S9_ifPKiSB_iPKfiiiSD_SD_iiiii.num_agpr, 0
	.set .L_ZN4vllm22paged_attention_kernelIfhLi256ELi32ELi128ELNS_18Fp8KVCacheDataTypeE1ELb0ELi0EEEvPfS2_PT_PKS3_PKT0_S9_ifPKiSB_iPKfiiiSD_SD_iiiii.numbered_sgpr, 42
	.set .L_ZN4vllm22paged_attention_kernelIfhLi256ELi32ELi128ELNS_18Fp8KVCacheDataTypeE1ELb0ELi0EEEvPfS2_PT_PKS3_PKT0_S9_ifPKiSB_iPKfiiiSD_SD_iiiii.num_named_barrier, 0
	.set .L_ZN4vllm22paged_attention_kernelIfhLi256ELi32ELi128ELNS_18Fp8KVCacheDataTypeE1ELb0ELi0EEEvPfS2_PT_PKS3_PKT0_S9_ifPKiSB_iPKfiiiSD_SD_iiiii.private_seg_size, 1724
	.set .L_ZN4vllm22paged_attention_kernelIfhLi256ELi32ELi128ELNS_18Fp8KVCacheDataTypeE1ELb0ELi0EEEvPfS2_PT_PKS3_PKT0_S9_ifPKiSB_iPKfiiiSD_SD_iiiii.uses_vcc, 1
	.set .L_ZN4vllm22paged_attention_kernelIfhLi256ELi32ELi128ELNS_18Fp8KVCacheDataTypeE1ELb0ELi0EEEvPfS2_PT_PKS3_PKT0_S9_ifPKiSB_iPKfiiiSD_SD_iiiii.uses_flat_scratch, 0
	.set .L_ZN4vllm22paged_attention_kernelIfhLi256ELi32ELi128ELNS_18Fp8KVCacheDataTypeE1ELb0ELi0EEEvPfS2_PT_PKS3_PKT0_S9_ifPKiSB_iPKfiiiSD_SD_iiiii.has_dyn_sized_stack, 0
	.set .L_ZN4vllm22paged_attention_kernelIfhLi256ELi32ELi128ELNS_18Fp8KVCacheDataTypeE1ELb0ELi0EEEvPfS2_PT_PKS3_PKT0_S9_ifPKiSB_iPKfiiiSD_SD_iiiii.has_recursion, 0
	.set .L_ZN4vllm22paged_attention_kernelIfhLi256ELi32ELi128ELNS_18Fp8KVCacheDataTypeE1ELb0ELi0EEEvPfS2_PT_PKS3_PKT0_S9_ifPKiSB_iPKfiiiSD_SD_iiiii.has_indirect_call, 0
	.section	.AMDGPU.csdata,"",@progbits
; Function info:
; codeLenInByte = 85996
; TotalNumSgprs: 46
; NumVgprs: 64
; ScratchSize: 1724
; MemoryBound: 0
	.section	.text._ZN4vllm25paged_attention_v1_kernelIfhLi256ELi32ELi128ELNS_18Fp8KVCacheDataTypeE1ELb0EEEvPT_PKS2_PKT0_S8_ifPKiSA_iPKfiiiSC_SC_iiiii,"axG",@progbits,_ZN4vllm25paged_attention_v1_kernelIfhLi256ELi32ELi128ELNS_18Fp8KVCacheDataTypeE1ELb0EEEvPT_PKS2_PKT0_S8_ifPKiSA_iPKfiiiSC_SC_iiiii,comdat
	.protected	_ZN4vllm25paged_attention_v1_kernelIfhLi256ELi32ELi128ELNS_18Fp8KVCacheDataTypeE1ELb0EEEvPT_PKS2_PKT0_S8_ifPKiSA_iPKfiiiSC_SC_iiiii ; -- Begin function _ZN4vllm25paged_attention_v1_kernelIfhLi256ELi32ELi128ELNS_18Fp8KVCacheDataTypeE1ELb0EEEvPT_PKS2_PKT0_S8_ifPKiSA_iPKfiiiSC_SC_iiiii
	.globl	_ZN4vllm25paged_attention_v1_kernelIfhLi256ELi32ELi128ELNS_18Fp8KVCacheDataTypeE1ELb0EEEvPT_PKS2_PKT0_S8_ifPKiSA_iPKfiiiSC_SC_iiiii
	.p2align	8
	.type	_ZN4vllm25paged_attention_v1_kernelIfhLi256ELi32ELi128ELNS_18Fp8KVCacheDataTypeE1ELb0EEEvPT_PKS2_PKT0_S8_ifPKiSA_iPKfiiiSC_SC_iiiii,@function
_ZN4vllm25paged_attention_v1_kernelIfhLi256ELi32ELi128ELNS_18Fp8KVCacheDataTypeE1ELb0EEEvPT_PKS2_PKT0_S8_ifPKiSA_iPKfiiiSC_SC_iiiii: ; @_ZN4vllm25paged_attention_v1_kernelIfhLi256ELi32ELi128ELNS_18Fp8KVCacheDataTypeE1ELb0EEEvPT_PKS2_PKT0_S8_ifPKiSA_iPKfiiiSC_SC_iiiii
; %bb.0:
	s_load_dwordx8 s[16:23], s[4:5], 0x0
	s_load_dwordx4 s[36:39], s[4:5], 0x20
	s_load_dwordx2 s[10:11], s[4:5], 0x30
	s_load_dword s33, s[4:5], 0x38
	s_load_dwordx2 s[34:35], s[4:5], 0x40
	s_load_dwordx8 s[24:31], s[4:5], 0x48
	s_add_u32 s0, s0, s9
	s_addc_u32 s1, s1, 0
	s_mov_b32 s14, s8
	s_add_u32 s8, s4, 0x80
	s_addc_u32 s9, s5, 0
	s_getpc_b64 s[4:5]
	s_add_u32 s4, s4, _ZN4vllm22paged_attention_kernelIfhLi256ELi32ELi128ELNS_18Fp8KVCacheDataTypeE1ELb0ELi0EEEvPfS2_PT_PKS3_PKT0_S9_ifPKiSB_iPKfiiiSD_SD_iiiii@rel32@lo+4
	s_addc_u32 s5, s5, _ZN4vllm22paged_attention_kernelIfhLi256ELi32ELi128ELNS_18Fp8KVCacheDataTypeE1ELb0ELi0EEEvPfS2_PT_PKS3_PKT0_S9_ifPKiSB_iPKfiiiSD_SD_iiiii@rel32@hi+12
	s_mov_b32 s12, s6
	s_mov_b32 s13, s7
	;; [unrolled: 1-line block ×3, first 2 shown]
	v_mov_b32_e32 v31, v0
	s_waitcnt lgkmcnt(0)
	v_mov_b32_e32 v0, s16
	v_mov_b32_e32 v1, s17
	;; [unrolled: 1-line block ×24, first 2 shown]
	s_mov_b32 s32, 0
	s_swappc_b64 s[30:31], s[4:5]
	s_endpgm
	.section	.rodata,"a",@progbits
	.p2align	6, 0x0
	.amdhsa_kernel _ZN4vllm25paged_attention_v1_kernelIfhLi256ELi32ELi128ELNS_18Fp8KVCacheDataTypeE1ELb0EEEvPT_PKS2_PKT0_S8_ifPKiSA_iPKfiiiSC_SC_iiiii
		.amdhsa_group_segment_fixed_size 1040
		.amdhsa_private_segment_fixed_size 1724
		.amdhsa_kernarg_size 384
		.amdhsa_user_sgpr_count 6
		.amdhsa_user_sgpr_private_segment_buffer 1
		.amdhsa_user_sgpr_dispatch_ptr 0
		.amdhsa_user_sgpr_queue_ptr 0
		.amdhsa_user_sgpr_kernarg_segment_ptr 1
		.amdhsa_user_sgpr_dispatch_id 0
		.amdhsa_user_sgpr_flat_scratch_init 0
		.amdhsa_user_sgpr_private_segment_size 0
		.amdhsa_uses_dynamic_stack 0
		.amdhsa_system_sgpr_private_segment_wavefront_offset 1
		.amdhsa_system_sgpr_workgroup_id_x 1
		.amdhsa_system_sgpr_workgroup_id_y 1
		.amdhsa_system_sgpr_workgroup_id_z 1
		.amdhsa_system_sgpr_workgroup_info 0
		.amdhsa_system_vgpr_workitem_id 0
		.amdhsa_next_free_vgpr 64
		.amdhsa_next_free_sgpr 42
		.amdhsa_reserve_vcc 1
		.amdhsa_reserve_flat_scratch 0
		.amdhsa_float_round_mode_32 0
		.amdhsa_float_round_mode_16_64 0
		.amdhsa_float_denorm_mode_32 3
		.amdhsa_float_denorm_mode_16_64 3
		.amdhsa_dx10_clamp 1
		.amdhsa_ieee_mode 1
		.amdhsa_fp16_overflow 0
		.amdhsa_exception_fp_ieee_invalid_op 0
		.amdhsa_exception_fp_denorm_src 0
		.amdhsa_exception_fp_ieee_div_zero 0
		.amdhsa_exception_fp_ieee_overflow 0
		.amdhsa_exception_fp_ieee_underflow 0
		.amdhsa_exception_fp_ieee_inexact 0
		.amdhsa_exception_int_div_zero 0
	.end_amdhsa_kernel
	.section	.text._ZN4vllm25paged_attention_v1_kernelIfhLi256ELi32ELi128ELNS_18Fp8KVCacheDataTypeE1ELb0EEEvPT_PKS2_PKT0_S8_ifPKiSA_iPKfiiiSC_SC_iiiii,"axG",@progbits,_ZN4vllm25paged_attention_v1_kernelIfhLi256ELi32ELi128ELNS_18Fp8KVCacheDataTypeE1ELb0EEEvPT_PKS2_PKT0_S8_ifPKiSA_iPKfiiiSC_SC_iiiii,comdat
.Lfunc_end217:
	.size	_ZN4vllm25paged_attention_v1_kernelIfhLi256ELi32ELi128ELNS_18Fp8KVCacheDataTypeE1ELb0EEEvPT_PKS2_PKT0_S8_ifPKiSA_iPKfiiiSC_SC_iiiii, .Lfunc_end217-_ZN4vllm25paged_attention_v1_kernelIfhLi256ELi32ELi128ELNS_18Fp8KVCacheDataTypeE1ELb0EEEvPT_PKS2_PKT0_S8_ifPKiSA_iPKfiiiSC_SC_iiiii
                                        ; -- End function
	.set _ZN4vllm25paged_attention_v1_kernelIfhLi256ELi32ELi128ELNS_18Fp8KVCacheDataTypeE1ELb0EEEvPT_PKS2_PKT0_S8_ifPKiSA_iPKfiiiSC_SC_iiiii.num_vgpr, max(32, .L_ZN4vllm22paged_attention_kernelIfhLi256ELi32ELi128ELNS_18Fp8KVCacheDataTypeE1ELb0ELi0EEEvPfS2_PT_PKS3_PKT0_S9_ifPKiSB_iPKfiiiSD_SD_iiiii.num_vgpr)
	.set _ZN4vllm25paged_attention_v1_kernelIfhLi256ELi32ELi128ELNS_18Fp8KVCacheDataTypeE1ELb0EEEvPT_PKS2_PKT0_S8_ifPKiSA_iPKfiiiSC_SC_iiiii.num_agpr, max(0, .L_ZN4vllm22paged_attention_kernelIfhLi256ELi32ELi128ELNS_18Fp8KVCacheDataTypeE1ELb0ELi0EEEvPfS2_PT_PKS3_PKT0_S9_ifPKiSB_iPKfiiiSD_SD_iiiii.num_agpr)
	.set _ZN4vllm25paged_attention_v1_kernelIfhLi256ELi32ELi128ELNS_18Fp8KVCacheDataTypeE1ELb0EEEvPT_PKS2_PKT0_S8_ifPKiSA_iPKfiiiSC_SC_iiiii.numbered_sgpr, max(40, .L_ZN4vllm22paged_attention_kernelIfhLi256ELi32ELi128ELNS_18Fp8KVCacheDataTypeE1ELb0ELi0EEEvPfS2_PT_PKS3_PKT0_S9_ifPKiSB_iPKfiiiSD_SD_iiiii.numbered_sgpr)
	.set _ZN4vllm25paged_attention_v1_kernelIfhLi256ELi32ELi128ELNS_18Fp8KVCacheDataTypeE1ELb0EEEvPT_PKS2_PKT0_S8_ifPKiSA_iPKfiiiSC_SC_iiiii.num_named_barrier, max(0, .L_ZN4vllm22paged_attention_kernelIfhLi256ELi32ELi128ELNS_18Fp8KVCacheDataTypeE1ELb0ELi0EEEvPfS2_PT_PKS3_PKT0_S9_ifPKiSB_iPKfiiiSD_SD_iiiii.num_named_barrier)
	.set _ZN4vllm25paged_attention_v1_kernelIfhLi256ELi32ELi128ELNS_18Fp8KVCacheDataTypeE1ELb0EEEvPT_PKS2_PKT0_S8_ifPKiSA_iPKfiiiSC_SC_iiiii.private_seg_size, 0+max(.L_ZN4vllm22paged_attention_kernelIfhLi256ELi32ELi128ELNS_18Fp8KVCacheDataTypeE1ELb0ELi0EEEvPfS2_PT_PKS3_PKT0_S9_ifPKiSB_iPKfiiiSD_SD_iiiii.private_seg_size)
	.set _ZN4vllm25paged_attention_v1_kernelIfhLi256ELi32ELi128ELNS_18Fp8KVCacheDataTypeE1ELb0EEEvPT_PKS2_PKT0_S8_ifPKiSA_iPKfiiiSC_SC_iiiii.uses_vcc, or(1, .L_ZN4vllm22paged_attention_kernelIfhLi256ELi32ELi128ELNS_18Fp8KVCacheDataTypeE1ELb0ELi0EEEvPfS2_PT_PKS3_PKT0_S9_ifPKiSB_iPKfiiiSD_SD_iiiii.uses_vcc)
	.set _ZN4vllm25paged_attention_v1_kernelIfhLi256ELi32ELi128ELNS_18Fp8KVCacheDataTypeE1ELb0EEEvPT_PKS2_PKT0_S8_ifPKiSA_iPKfiiiSC_SC_iiiii.uses_flat_scratch, or(0, .L_ZN4vllm22paged_attention_kernelIfhLi256ELi32ELi128ELNS_18Fp8KVCacheDataTypeE1ELb0ELi0EEEvPfS2_PT_PKS3_PKT0_S9_ifPKiSB_iPKfiiiSD_SD_iiiii.uses_flat_scratch)
	.set _ZN4vllm25paged_attention_v1_kernelIfhLi256ELi32ELi128ELNS_18Fp8KVCacheDataTypeE1ELb0EEEvPT_PKS2_PKT0_S8_ifPKiSA_iPKfiiiSC_SC_iiiii.has_dyn_sized_stack, or(0, .L_ZN4vllm22paged_attention_kernelIfhLi256ELi32ELi128ELNS_18Fp8KVCacheDataTypeE1ELb0ELi0EEEvPfS2_PT_PKS3_PKT0_S9_ifPKiSB_iPKfiiiSD_SD_iiiii.has_dyn_sized_stack)
	.set _ZN4vllm25paged_attention_v1_kernelIfhLi256ELi32ELi128ELNS_18Fp8KVCacheDataTypeE1ELb0EEEvPT_PKS2_PKT0_S8_ifPKiSA_iPKfiiiSC_SC_iiiii.has_recursion, or(0, .L_ZN4vllm22paged_attention_kernelIfhLi256ELi32ELi128ELNS_18Fp8KVCacheDataTypeE1ELb0ELi0EEEvPfS2_PT_PKS3_PKT0_S9_ifPKiSB_iPKfiiiSD_SD_iiiii.has_recursion)
	.set _ZN4vllm25paged_attention_v1_kernelIfhLi256ELi32ELi128ELNS_18Fp8KVCacheDataTypeE1ELb0EEEvPT_PKS2_PKT0_S8_ifPKiSA_iPKfiiiSC_SC_iiiii.has_indirect_call, or(0, .L_ZN4vllm22paged_attention_kernelIfhLi256ELi32ELi128ELNS_18Fp8KVCacheDataTypeE1ELb0ELi0EEEvPfS2_PT_PKS3_PKT0_S9_ifPKiSB_iPKfiiiSD_SD_iiiii.has_indirect_call)
	.section	.AMDGPU.csdata,"",@progbits
; Kernel info:
; codeLenInByte = 220
; TotalNumSgprs: 46
; NumVgprs: 64
; ScratchSize: 1724
; MemoryBound: 0
; FloatMode: 240
; IeeeMode: 1
; LDSByteSize: 1040 bytes/workgroup (compile time only)
; SGPRBlocks: 5
; VGPRBlocks: 15
; NumSGPRsForWavesPerEU: 46
; NumVGPRsForWavesPerEU: 64
; Occupancy: 4
; WaveLimiterHint : 1
; COMPUTE_PGM_RSRC2:SCRATCH_EN: 1
; COMPUTE_PGM_RSRC2:USER_SGPR: 6
; COMPUTE_PGM_RSRC2:TRAP_HANDLER: 0
; COMPUTE_PGM_RSRC2:TGID_X_EN: 1
; COMPUTE_PGM_RSRC2:TGID_Y_EN: 1
; COMPUTE_PGM_RSRC2:TGID_Z_EN: 1
; COMPUTE_PGM_RSRC2:TIDIG_COMP_CNT: 0
	.section	.text._ZN4vllm25paged_attention_v1_kernelIthLi32ELi8ELi128ELNS_18Fp8KVCacheDataTypeE1ELb1EEEvPT_PKS2_PKT0_S8_ifPKiSA_iPKfiiiSC_SC_iiiii,"axG",@progbits,_ZN4vllm25paged_attention_v1_kernelIthLi32ELi8ELi128ELNS_18Fp8KVCacheDataTypeE1ELb1EEEvPT_PKS2_PKT0_S8_ifPKiSA_iPKfiiiSC_SC_iiiii,comdat
	.protected	_ZN4vllm25paged_attention_v1_kernelIthLi32ELi8ELi128ELNS_18Fp8KVCacheDataTypeE1ELb1EEEvPT_PKS2_PKT0_S8_ifPKiSA_iPKfiiiSC_SC_iiiii ; -- Begin function _ZN4vllm25paged_attention_v1_kernelIthLi32ELi8ELi128ELNS_18Fp8KVCacheDataTypeE1ELb1EEEvPT_PKS2_PKT0_S8_ifPKiSA_iPKfiiiSC_SC_iiiii
	.globl	_ZN4vllm25paged_attention_v1_kernelIthLi32ELi8ELi128ELNS_18Fp8KVCacheDataTypeE1ELb1EEEvPT_PKS2_PKT0_S8_ifPKiSA_iPKfiiiSC_SC_iiiii
	.p2align	8
	.type	_ZN4vllm25paged_attention_v1_kernelIthLi32ELi8ELi128ELNS_18Fp8KVCacheDataTypeE1ELb1EEEvPT_PKS2_PKT0_S8_ifPKiSA_iPKfiiiSC_SC_iiiii,@function
_ZN4vllm25paged_attention_v1_kernelIthLi32ELi8ELi128ELNS_18Fp8KVCacheDataTypeE1ELb1EEEvPT_PKS2_PKT0_S8_ifPKiSA_iPKfiiiSC_SC_iiiii: ; @_ZN4vllm25paged_attention_v1_kernelIthLi32ELi8ELi128ELNS_18Fp8KVCacheDataTypeE1ELb1EEEvPT_PKS2_PKT0_S8_ifPKiSA_iPKfiiiSC_SC_iiiii
; %bb.0:
	s_load_dword s9, s[4:5], 0x80
	s_load_dwordx2 s[0:1], s[4:5], 0x30
	s_load_dwordx2 s[36:37], s[4:5], 0x20
	s_mov_b32 s10, s7
	s_ashr_i32 s11, s7, 31
	s_lshl_b64 s[2:3], s[10:11], 2
	s_waitcnt lgkmcnt(0)
	s_add_u32 s0, s0, s2
	s_addc_u32 s1, s1, s3
	s_abs_i32 s2, s36
	v_cvt_f32_u32_e32 v1, s2
	s_sub_i32 s11, 0, s2
	s_abs_i32 s7, s9
	s_xor_b32 s3, s9, s36
	v_rcp_iflag_f32_e32 v1, v1
	s_ashr_i32 s3, s3, 31
	s_mov_b32 s49, 0
	v_mul_f32_e32 v1, 0x4f7ffffe, v1
	v_cvt_u32_f32_e32 v1, v1
	v_readfirstlane_b32 s12, v1
	s_mul_i32 s11, s11, s12
	s_mul_hi_u32 s11, s12, s11
	s_add_i32 s12, s12, s11
	s_mul_hi_u32 s11, s7, s12
	s_mul_i32 s12, s11, s2
	s_sub_i32 s7, s7, s12
	s_add_i32 s12, s11, 1
	s_sub_i32 s13, s7, s2
	s_cmp_ge_u32 s7, s2
	s_cselect_b32 s11, s12, s11
	s_cselect_b32 s7, s13, s7
	s_add_i32 s12, s11, 1
	s_cmp_ge_u32 s7, s2
	s_cselect_b32 s2, s12, s11
	s_xor_b32 s2, s2, s3
	s_sub_i32 s15, s2, s3
	s_abs_i32 s12, s15
	v_cvt_f32_u32_e32 v1, s12
	s_load_dwordx2 s[2:3], s[4:5], 0x40
	s_sub_i32 s7, 0, s12
	s_abs_i32 s13, s6
	v_rcp_iflag_f32_e32 v1, v1
	v_mul_f32_e32 v1, 0x4f7ffffe, v1
	v_cvt_u32_f32_e32 v1, v1
	v_readfirstlane_b32 s11, v1
	s_mul_i32 s7, s7, s11
	s_mul_hi_u32 s7, s11, s7
	s_add_i32 s11, s11, s7
	s_waitcnt lgkmcnt(0)
	s_cmp_eq_u64 s[2:3], 0
	s_mul_hi_u32 s14, s13, s11
	s_cbranch_scc1 .LBB218_2
; %bb.1:
	s_ashr_i32 s7, s6, 31
	s_lshl_b64 s[16:17], s[6:7], 2
	s_add_u32 s2, s2, s16
	s_addc_u32 s3, s3, s17
	s_load_dword s49, s[2:3], 0x0
.LBB218_2:
	s_load_dword s11, s[0:1], 0x0
	s_load_dwordx4 s[16:19], s[4:5], 0x48
	s_ashr_i32 s2, s6, 31
	s_ashr_i32 s7, s15, 31
	v_and_b32_e32 v1, 7, v0
	s_lshl_b32 s24, s6, 5
	v_cmp_gt_u32_e32 vcc, 32, v0
	s_and_saveexec_b64 s[0:1], vcc
	s_cbranch_execz .LBB218_4
; %bb.3:
	s_load_dwordx2 s[20:21], s[4:5], 0x8
	s_waitcnt lgkmcnt(0)
	s_mul_i32 s22, s16, s10
	s_ashr_i32 s23, s22, 31
	s_lshl_b64 s[22:23], s[22:23], 1
	v_lshlrev_b32_e32 v2, 1, v0
	s_add_u32 s3, s20, s22
	s_addc_u32 s15, s21, s23
	s_ashr_i32 s25, s24, 31
	s_lshl_b64 s[20:21], s[24:25], 1
	s_add_u32 s20, s3, s20
	s_addc_u32 s21, s15, s21
	global_load_ushort v2, v2, s[20:21]
	v_lshrrev_b32_e32 v3, 2, v0
	v_and_b32_e32 v3, 0xfe, v3
	v_lshl_add_u32 v3, v1, 3, v3
	s_waitcnt vmcnt(0)
	ds_write_b16 v3, v2
.LBB218_4:
	s_or_b64 exec, exec, s[0:1]
	s_mul_i32 s1, s14, s12
	s_sub_i32 s1, s13, s1
	s_xor_b32 s0, s2, s7
	s_add_i32 s2, s14, 1
	s_sub_i32 s7, s1, s12
	s_load_dwordx4 s[20:23], s[4:5], 0x68
	s_load_dword s3, s[4:5], 0x78
	s_cmp_ge_u32 s1, s12
	s_cselect_b32 s2, s2, s14
	s_cselect_b32 s1, s7, s1
	s_add_i32 s7, s2, 1
	s_cmp_ge_u32 s1, s12
	s_cselect_b32 s1, s7, s2
	s_waitcnt lgkmcnt(0)
	s_abs_i32 s33, s23
	v_cvt_f32_u32_e32 v2, s33
	s_xor_b32 s1, s1, s0
	s_sub_i32 s2, s1, s0
	s_sub_i32 s0, 0, s33
	v_rcp_iflag_f32_e32 v2, v2
	s_add_i32 s12, s11, -1
	s_abs_i32 s7, s12
	v_mul_f32_e32 v2, 0x4f7ffffe, v2
	v_cvt_u32_f32_e32 v2, v2
	s_barrier
	v_readfirstlane_b32 s46, v2
	s_mul_i32 s0, s0, s46
	s_mul_hi_u32 s0, s46, s0
	s_add_i32 s46, s46, s0
	s_cmp_lt_i32 s3, 0
	s_mul_hi_u32 s16, s7, s46
	s_cbranch_scc0 .LBB218_6
; %bb.5:
	s_mul_i32 s0, s20, s36
	s_add_i32 s0, s2, s0
	s_mul_i32 s0, s0, s3
	s_sub_i32 s36, 1, s0
	s_mov_b64 s[0:1], 0
	s_branch .LBB218_7
.LBB218_6:
	s_mov_b64 s[0:1], -1
                                        ; implicit-def: $sgpr36
.LBB218_7:
	s_load_dwordx2 s[28:29], s[4:5], 0x28
	s_ashr_i32 s19, s12, 31
	s_andn2_b64 vcc, exec, s[0:1]
	s_ashr_i32 s47, s23, 31
	s_cbranch_vccnz .LBB218_9
; %bb.8:
	s_mul_i32 s0, s9, s20
	s_add_i32 s0, s0, s6
	s_mul_i32 s0, s0, s3
	s_add_i32 s36, s0, 1
.LBB218_9:
	s_load_dword s0, s[4:5], 0x38
	s_load_dwordx2 s[26:27], s[4:5], 0x0
	s_load_dwordx2 s[34:35], s[4:5], 0x18
	s_load_dword s25, s[4:5], 0x88
	s_load_dwordx4 s[12:15], s[4:5], 0x58
	s_mul_i32 s1, s16, s33
	s_waitcnt lgkmcnt(0)
	s_mul_i32 s30, s0, s10
	s_sub_i32 s1, s7, s1
	s_ashr_i32 s31, s30, 31
	s_xor_b32 s0, s19, s47
	s_add_i32 s3, s16, 1
	s_sub_i32 s6, s1, s33
	s_cmp_ge_u32 s1, s33
	s_cselect_b32 s3, s3, s16
	s_cselect_b32 s1, s6, s1
	s_add_i32 s6, s3, 1
	s_cmp_ge_u32 s1, s33
	s_cselect_b32 s1, s6, s3
	s_xor_b32 s1, s1, s0
	s_sub_i32 s16, s1, s0
	s_add_i32 s0, s11, 7
	s_ashr_i32 s1, s0, 31
	s_lshr_b32 s1, s1, 29
	s_add_i32 s0, s0, s1
	s_ashr_i32 s48, s0, 3
	v_lshrrev_b32_e32 v9, 6, v0
	v_cmp_gt_i32_e64 s[0:1], s48, v9
	v_mov_b32_e32 v15, 0xff7fffff
	s_mul_i32 s20, s2, s18
	v_lshrrev_b32_e32 v8, 4, v0
	v_lshlrev_b32_e32 v10, 3, v9
	v_mbcnt_lo_u32_b32 v11, -1, 0
	s_and_saveexec_b64 s[18:19], s[0:1]
	s_cbranch_execz .LBB218_45
; %bb.10:
	s_load_dwordx2 s[2:3], s[4:5], 0x10
	s_sub_i32 s23, s16, s21
	s_ashr_i32 s4, s20, 31
	v_bfe_u32 v12, v0, 3, 3
	v_lshlrev_b32_e32 v4, 4, v12
	s_waitcnt lgkmcnt(0)
	s_add_u32 s5, s2, s20
	s_addc_u32 s4, s3, s4
	s_abs_i32 s50, s22
	v_cvt_f32_u32_e32 v2, s50
	s_sub_i32 s2, 0, s50
	v_mov_b32_e32 v5, s4
	v_add_co_u32_e64 v4, s[4:5], s5, v4
	v_rcp_iflag_f32_e32 v2, v2
	v_addc_co_u32_e64 v5, s[4:5], 0, v5, s[4:5]
	v_cmp_eq_u32_e32 vcc, 0, v1
	v_mul_f32_e32 v2, 0x4f7ffffe, v2
	v_cvt_u32_f32_e32 v2, v2
	v_lshlrev_b32_e32 v14, 3, v1
	v_add_co_u32_e64 v1, s[4:5], v4, v1
	v_mul_lo_u32 v3, s2, v2
	s_mov_b32 s51, s17
	v_mov_b32_e32 v13, 0
	v_cmp_neq_f32_e64 s[2:3], s49, 0
	v_mul_hi_u32 v3, v2, v3
	v_lshlrev_b32_e32 v17, 3, v9
	v_mov_b32_e32 v20, 0xff7fffff
	s_mov_b64 s[38:39], 0
	v_add_u32_e32 v16, v2, v3
	v_addc_co_u32_e64 v2, s[4:5], 0, v5, s[4:5]
	s_lshl_b64 s[4:5], s[30:31], 2
	s_add_u32 s4, s28, s4
	v_subrev_u32_e32 v5, s11, v12
	v_and_b32_e32 v3, 60, v8
	s_addc_u32 s5, s29, s5
	v_add_u32_e32 v18, 1, v5
	v_lshlrev_b32_e32 v5, 2, v12
	v_mov_b32_e32 v4, s5
	v_add_co_u32_e64 v3, s[4:5], s4, v3
	v_lshl_or_b32 v5, v9, 5, v5
	v_addc_co_u32_e64 v4, s[4:5], 0, v4, s[4:5]
	v_add_u32_e32 v19, 0x50, v5
	s_movk_i32 s52, 0x80
	s_movk_i32 s53, 0x7f
	v_bfrev_b32_e32 v21, 60
	v_mbcnt_hi_u32_b32 v22, -1, v11
	v_mov_b32_e32 v15, 0xff7fffff
	v_mov_b32_e32 v23, v9
	s_branch .LBB218_13
.LBB218_11:                             ;   in Loop: Header=BB218_13 Depth=1
	s_or_b64 exec, exec, s[40:41]
.LBB218_12:                             ;   in Loop: Header=BB218_13 Depth=1
	s_or_b64 exec, exec, s[6:7]
	v_add_co_u32_e64 v3, s[4:5], 8, v3
	v_add_u32_e32 v23, 2, v23
	v_addc_co_u32_e64 v4, s[4:5], 0, v4, s[4:5]
	v_cmp_le_i32_e64 s[4:5], s48, v23
	v_add_u32_e32 v17, 16, v17
	s_or_b64 s[38:39], s[4:5], s[38:39]
	v_add_u32_e32 v19, 64, v19
	s_andn2_b64 exec, exec, s[38:39]
	s_cbranch_execz .LBB218_44
.LBB218_13:                             ; =>This Inner Loop Header: Depth=1
	v_mul_hi_u32 v5, v17, s46
	s_waitcnt lgkmcnt(0)
	v_mul_lo_u32 v6, v5, s33
	v_add_u32_e32 v7, 1, v5
	v_sub_u32_e32 v6, v17, v6
	v_cmp_le_u32_e64 s[4:5], s33, v6
	v_cndmask_b32_e64 v5, v5, v7, s[4:5]
	v_subrev_u32_e32 v7, s33, v6
	v_cndmask_b32_e64 v6, v6, v7, s[4:5]
	v_add_u32_e32 v7, 1, v5
	v_cmp_le_u32_e64 s[4:5], s33, v6
	v_cndmask_b32_e64 v5, v5, v7, s[4:5]
	v_xor_b32_e32 v5, s47, v5
	v_subrev_u32_e32 v5, s47, v5
	v_add_u32_e32 v6, s36, v5
	v_sub_u32_e32 v7, 0, v6
	v_max_i32_e32 v7, v6, v7
	v_mul_hi_u32 v24, v7, v16
	v_ashrrev_i32_e32 v6, 31, v6
	v_cmp_ge_i32_e64 s[6:7], s23, v5
	v_mul_lo_u32 v24, v24, s50
	v_sub_u32_e32 v7, v7, v24
	v_subrev_u32_e32 v24, s50, v7
	v_cmp_le_u32_e64 s[4:5], s50, v7
	v_cndmask_b32_e64 v7, v7, v24, s[4:5]
	v_subrev_u32_e32 v24, s50, v7
	v_cmp_le_u32_e64 s[4:5], s50, v7
	v_cndmask_b32_e64 v7, v7, v24, s[4:5]
	v_xor_b32_e32 v7, v7, v6
	v_sub_u32_e32 v6, v7, v6
	v_cmp_ne_u32_e64 s[4:5], 0, v6
	s_and_b64 s[4:5], s[4:5], s[6:7]
	s_and_saveexec_b64 s[6:7], s[4:5]
	s_xor_b64 s[4:5], exec, s[6:7]
	s_cbranch_execz .LBB218_17
; %bb.14:                               ;   in Loop: Header=BB218_13 Depth=1
	s_and_saveexec_b64 s[6:7], vcc
; %bb.15:                               ;   in Loop: Header=BB218_13 Depth=1
	ds_write_b32 v19, v20
; %bb.16:                               ;   in Loop: Header=BB218_13 Depth=1
	s_or_b64 exec, exec, s[6:7]
.LBB218_17:                             ;   in Loop: Header=BB218_13 Depth=1
	s_andn2_saveexec_b64 s[6:7], s[4:5]
	s_cbranch_execz .LBB218_12
; %bb.18:                               ;   in Loop: Header=BB218_13 Depth=1
	global_load_dword v5, v[3:4], off
	v_mov_b32_e32 v25, 0
	v_mov_b32_e32 v26, 0
	s_waitcnt vmcnt(0)
	v_mad_i64_i32 v[5:6], s[4:5], v5, s51, v[1:2]
	global_load_ubyte v27, v[5:6], off
	global_load_dword v24, v13, s[12:13]
	s_waitcnt vmcnt(1)
	v_cmp_ne_u16_e64 s[4:5], 0, v27
	s_and_saveexec_b64 s[40:41], s[4:5]
	s_cbranch_execz .LBB218_24
; %bb.19:                               ;   in Loop: Header=BB218_13 Depth=1
	v_cmp_ne_u16_e64 s[4:5], s52, v27
	v_bfrev_b32_e32 v26, 1
	s_and_saveexec_b64 s[42:43], s[4:5]
	s_cbranch_execz .LBB218_23
; %bb.20:                               ;   in Loop: Header=BB218_13 Depth=1
	v_and_b32_e32 v7, 0xffff, v27
	v_and_b32_e32 v28, 0x7f, v7
	v_cmp_ne_u32_e64 s[4:5], s53, v28
	v_mov_b32_e32 v26, 0x7f800001
	s_and_saveexec_b64 s[44:45], s[4:5]
	s_cbranch_execz .LBB218_22
; %bb.21:                               ;   in Loop: Header=BB218_13 Depth=1
	v_and_b32_e32 v26, 7, v7
	v_ffbh_u32_e32 v29, v26
	v_min_u32_e32 v32, 32, v29
	v_subrev_u32_e32 v29, 28, v32
	v_lshlrev_b64 v[29:30], v29, v[7:8]
	v_lshrrev_b32_e32 v31, 3, v28
	v_sub_u32_e32 v7, 29, v32
	v_and_b32_e32 v29, 7, v29
	v_cmp_gt_u32_e64 s[4:5], 8, v28
	v_cndmask_b32_e64 v7, v31, v7, s[4:5]
	v_cndmask_b32_e64 v26, v26, v29, s[4:5]
	v_lshlrev_b32_e32 v27, 24, v27
	v_lshlrev_b32_e32 v26, 20, v26
	v_and_b32_e32 v27, 0x80000000, v27
	v_lshl_add_u32 v7, v7, 23, v21
	v_or3_b32 v26, v27, v7, v26
.LBB218_22:                             ;   in Loop: Header=BB218_13 Depth=1
	s_or_b64 exec, exec, s[44:45]
.LBB218_23:                             ;   in Loop: Header=BB218_13 Depth=1
	s_or_b64 exec, exec, s[42:43]
.LBB218_24:                             ;   in Loop: Header=BB218_13 Depth=1
	s_or_b64 exec, exec, s[40:41]
	global_load_ubyte v27, v[5:6], off offset:8
	s_waitcnt vmcnt(0)
	v_cmp_ne_u16_e64 s[4:5], 0, v27
	s_and_saveexec_b64 s[40:41], s[4:5]
	s_cbranch_execz .LBB218_30
; %bb.25:                               ;   in Loop: Header=BB218_13 Depth=1
	v_cmp_ne_u16_e64 s[4:5], s52, v27
	v_bfrev_b32_e32 v25, 1
	s_and_saveexec_b64 s[42:43], s[4:5]
	s_cbranch_execz .LBB218_29
; %bb.26:                               ;   in Loop: Header=BB218_13 Depth=1
	v_and_b32_e32 v7, 0xffff, v27
	v_and_b32_e32 v28, 0x7f, v7
	v_cmp_ne_u32_e64 s[4:5], s53, v28
	v_mov_b32_e32 v25, 0x7f800001
	s_and_saveexec_b64 s[44:45], s[4:5]
	s_cbranch_execz .LBB218_28
; %bb.27:                               ;   in Loop: Header=BB218_13 Depth=1
	v_and_b32_e32 v25, 7, v7
	v_ffbh_u32_e32 v29, v25
	v_min_u32_e32 v32, 32, v29
	v_subrev_u32_e32 v29, 28, v32
	v_lshlrev_b64 v[29:30], v29, v[7:8]
	v_lshrrev_b32_e32 v31, 3, v28
	v_sub_u32_e32 v7, 29, v32
	v_and_b32_e32 v29, 7, v29
	v_cmp_gt_u32_e64 s[4:5], 8, v28
	v_cndmask_b32_e64 v7, v31, v7, s[4:5]
	v_cndmask_b32_e64 v25, v25, v29, s[4:5]
	v_lshlrev_b32_e32 v27, 24, v27
	v_lshlrev_b32_e32 v25, 20, v25
	v_and_b32_e32 v27, 0x80000000, v27
	v_lshl_add_u32 v7, v7, 23, v21
	v_or3_b32 v25, v27, v7, v25
.LBB218_28:                             ;   in Loop: Header=BB218_13 Depth=1
	s_or_b64 exec, exec, s[44:45]
.LBB218_29:                             ;   in Loop: Header=BB218_13 Depth=1
	s_or_b64 exec, exec, s[42:43]
.LBB218_30:                             ;   in Loop: Header=BB218_13 Depth=1
	s_or_b64 exec, exec, s[40:41]
	global_load_ubyte v29, v[5:6], off offset:128
	v_mov_b32_e32 v27, 0
	v_mov_b32_e32 v28, 0
	s_waitcnt vmcnt(0)
	v_cmp_ne_u16_e64 s[4:5], 0, v29
	s_and_saveexec_b64 s[40:41], s[4:5]
	s_cbranch_execz .LBB218_36
; %bb.31:                               ;   in Loop: Header=BB218_13 Depth=1
	v_cmp_ne_u16_e64 s[4:5], s52, v29
	v_bfrev_b32_e32 v28, 1
	s_and_saveexec_b64 s[42:43], s[4:5]
	s_cbranch_execz .LBB218_35
; %bb.32:                               ;   in Loop: Header=BB218_13 Depth=1
	v_and_b32_e32 v7, 0xffff, v29
	v_and_b32_e32 v30, 0x7f, v7
	v_cmp_ne_u32_e64 s[4:5], s53, v30
	v_mov_b32_e32 v28, 0x7f800001
	s_and_saveexec_b64 s[44:45], s[4:5]
	s_cbranch_execz .LBB218_34
; %bb.33:                               ;   in Loop: Header=BB218_13 Depth=1
	v_and_b32_e32 v28, 7, v7
	v_ffbh_u32_e32 v31, v28
	v_min_u32_e32 v34, 32, v31
	v_subrev_u32_e32 v31, 28, v34
	v_lshlrev_b64 v[31:32], v31, v[7:8]
	v_lshrrev_b32_e32 v33, 3, v30
	v_sub_u32_e32 v7, 29, v34
	v_and_b32_e32 v31, 7, v31
	v_cmp_gt_u32_e64 s[4:5], 8, v30
	v_cndmask_b32_e64 v7, v33, v7, s[4:5]
	v_cndmask_b32_e64 v28, v28, v31, s[4:5]
	v_lshlrev_b32_e32 v29, 24, v29
	v_lshlrev_b32_e32 v28, 20, v28
	v_and_b32_e32 v29, 0x80000000, v29
	v_lshl_add_u32 v7, v7, 23, v21
	v_or3_b32 v28, v29, v7, v28
.LBB218_34:                             ;   in Loop: Header=BB218_13 Depth=1
	s_or_b64 exec, exec, s[44:45]
.LBB218_35:                             ;   in Loop: Header=BB218_13 Depth=1
	s_or_b64 exec, exec, s[42:43]
.LBB218_36:                             ;   in Loop: Header=BB218_13 Depth=1
	s_or_b64 exec, exec, s[40:41]
	global_load_ubyte v6, v[5:6], off offset:136
	s_waitcnt vmcnt(0)
	v_cmp_ne_u16_e64 s[4:5], 0, v6
	s_and_saveexec_b64 s[40:41], s[4:5]
	s_cbranch_execz .LBB218_42
; %bb.37:                               ;   in Loop: Header=BB218_13 Depth=1
	v_cmp_ne_u16_e64 s[4:5], s52, v6
	v_bfrev_b32_e32 v27, 1
	s_and_saveexec_b64 s[42:43], s[4:5]
	s_cbranch_execz .LBB218_41
; %bb.38:                               ;   in Loop: Header=BB218_13 Depth=1
	v_and_b32_e32 v5, 0xffff, v6
	v_and_b32_e32 v7, 0x7f, v5
	v_cmp_ne_u32_e64 s[4:5], s53, v7
	v_mov_b32_e32 v27, 0x7f800001
	s_and_saveexec_b64 s[44:45], s[4:5]
	s_cbranch_execz .LBB218_40
; %bb.39:                               ;   in Loop: Header=BB218_13 Depth=1
	v_and_b32_e32 v27, 7, v5
	v_ffbh_u32_e32 v29, v27
	v_min_u32_e32 v32, 32, v29
	v_subrev_u32_e32 v29, 28, v32
	v_lshlrev_b64 v[29:30], v29, v[5:6]
	v_lshrrev_b32_e32 v31, 3, v7
	v_sub_u32_e32 v5, 29, v32
	v_and_b32_e32 v29, 7, v29
	v_cmp_gt_u32_e64 s[4:5], 8, v7
	v_cndmask_b32_e64 v5, v31, v5, s[4:5]
	v_cndmask_b32_e64 v7, v27, v29, s[4:5]
	v_lshlrev_b32_e32 v6, 24, v6
	v_lshlrev_b32_e32 v7, 20, v7
	v_and_b32_e32 v6, 0x80000000, v6
	v_lshl_add_u32 v5, v5, 23, v21
	v_or3_b32 v27, v6, v5, v7
.LBB218_40:                             ;   in Loop: Header=BB218_13 Depth=1
	s_or_b64 exec, exec, s[44:45]
.LBB218_41:                             ;   in Loop: Header=BB218_13 Depth=1
	s_or_b64 exec, exec, s[42:43]
.LBB218_42:                             ;   in Loop: Header=BB218_13 Depth=1
	s_or_b64 exec, exec, s[40:41]
	ds_read_u16 v6, v14
	v_fma_mixlo_f16 v5, v24, v26, 0
	v_and_b32_e32 v7, 0xffff, v5
	s_waitcnt lgkmcnt(0)
	;;#ASMSTART
	v_cvt_f32_f16 v5, v6;
	;;#ASMEND
	;;#ASMSTART
	v_cvt_f32_f16 v6, v7;
	;;#ASMEND
	ds_read_u16 v26, v14 offset:2
	v_fma_mixlo_f16 v7, v24, v25, 0
	v_and_b32_e32 v25, 0xffff, v7
	s_waitcnt lgkmcnt(0)
	;;#ASMSTART
	v_cvt_f32_f16 v7, v26;
	;;#ASMEND
	;;#ASMSTART
	v_cvt_f32_f16 v25, v25;
	;;#ASMEND
	v_fma_mixlo_f16 v26, v24, v28, 0
	v_mul_f32_e32 v7, v7, v25
	ds_read_u16 v29, v14 offset:4
	v_and_b32_e32 v28, 0xffff, v26
	v_fma_mixlo_f16 v24, v24, v27, 0
	v_fmac_f32_e32 v7, v5, v6
	s_waitcnt lgkmcnt(0)
	;;#ASMSTART
	v_cvt_f32_f16 v26, v29;
	;;#ASMEND
	;;#ASMSTART
	v_cvt_f32_f16 v28, v28;
	;;#ASMEND
	ds_read_u16 v29, v14 offset:6
	v_fmac_f32_e32 v7, v26, v28
	s_waitcnt lgkmcnt(0)
	;;#ASMSTART
	v_cvt_f32_f16 v5, v29;
	;;#ASMEND
	v_and_b32_e32 v6, 0xffff, v24
	;;#ASMSTART
	v_cvt_f32_f16 v6, v6;
	;;#ASMEND
	v_fmac_f32_e32 v7, v5, v6
	v_and_b32_e32 v5, 64, v22
	v_add_u32_e32 v6, 64, v5
	v_xor_b32_e32 v5, 4, v22
	v_cmp_lt_i32_e64 s[4:5], v5, v6
	v_cndmask_b32_e64 v5, v22, v5, s[4:5]
	v_lshlrev_b32_e32 v5, 2, v5
	ds_bpermute_b32 v5, v5, v7
	s_waitcnt lgkmcnt(0)
	v_add_f32_e32 v5, v7, v5
	v_xor_b32_e32 v7, 2, v22
	v_cmp_lt_i32_e64 s[4:5], v7, v6
	v_cndmask_b32_e64 v7, v22, v7, s[4:5]
	v_lshlrev_b32_e32 v7, 2, v7
	ds_bpermute_b32 v7, v7, v5
	s_waitcnt lgkmcnt(0)
	v_add_f32_e32 v5, v5, v7
	v_xor_b32_e32 v7, 1, v22
	v_cmp_lt_i32_e64 s[4:5], v7, v6
	v_cndmask_b32_e64 v6, v22, v7, s[4:5]
	v_lshlrev_b32_e32 v6, 2, v6
	ds_bpermute_b32 v6, v6, v5
	s_and_saveexec_b64 s[40:41], vcc
	s_cbranch_execz .LBB218_11
; %bb.43:                               ;   in Loop: Header=BB218_13 Depth=1
	v_add_u32_e32 v7, v18, v17
	v_cvt_f32_i32_e32 v7, v7
	s_waitcnt lgkmcnt(0)
	v_add_f32_e32 v5, v5, v6
	v_add_u32_e32 v24, v12, v17
	v_cmp_gt_i32_e64 s[4:5], s11, v24
	v_mul_f32_e32 v6, s49, v7
	v_cndmask_b32_e64 v6, 0, v6, s[2:3]
	v_fmac_f32_e32 v6, s37, v5
	v_cndmask_b32_e64 v5, 0, v6, s[4:5]
	ds_write_b32 v19, v5
	v_max_f32_e32 v5, v15, v15
	v_max_f32_e32 v5, v5, v6
	v_cndmask_b32_e64 v15, v15, v5, s[4:5]
	s_branch .LBB218_11
.LBB218_44:
	s_or_b64 exec, exec, s[38:39]
.LBB218_45:
	s_or_b64 exec, exec, s[18:19]
	v_mbcnt_hi_u32_b32 v1, -1, v11
	v_and_b32_e32 v13, 64, v1
	v_add_u32_e32 v2, 64, v13
	v_xor_b32_e32 v3, 32, v1
	v_cmp_lt_i32_e32 vcc, v3, v2
	v_cndmask_b32_e32 v3, v1, v3, vcc
	v_lshlrev_b32_e32 v4, 2, v3
	ds_bpermute_b32 v3, v4, v15
	s_waitcnt lgkmcnt(1)
	v_xor_b32_e32 v6, 16, v1
	v_max_f32_e32 v5, v15, v15
	v_cmp_lt_i32_e32 vcc, v6, v2
	v_xor_b32_e32 v7, 8, v1
	s_waitcnt lgkmcnt(0)
	v_max_f32_e32 v3, v3, v3
	v_max_f32_e32 v3, v5, v3
	v_cndmask_b32_e32 v5, v1, v6, vcc
	v_lshlrev_b32_e32 v6, 2, v5
	ds_bpermute_b32 v5, v6, v3
	v_cmp_lt_i32_e32 vcc, v7, v2
	v_and_b32_e32 v11, 63, v0
	s_waitcnt lgkmcnt(0)
	v_max_f32_e32 v5, v5, v5
	v_max_f32_e32 v5, v3, v5
	v_cndmask_b32_e32 v3, v1, v7, vcc
	v_lshlrev_b32_e32 v12, 2, v3
	ds_bpermute_b32 v7, v12, v5
	v_cmp_eq_u32_e32 vcc, 0, v11
	v_lshlrev_b32_e32 v3, 2, v9
	s_and_saveexec_b64 s[2:3], vcc
	s_cbranch_execz .LBB218_47
; %bb.46:
	s_waitcnt lgkmcnt(0)
	v_max_f32_e32 v7, v7, v7
	v_max_f32_e32 v5, v5, v5
	;; [unrolled: 1-line block ×3, first 2 shown]
	ds_write_b32 v3, v5 offset:64
.LBB218_47:
	s_or_b64 exec, exec, s[2:3]
	v_cmp_gt_u32_e64 s[2:3], 2, v11
	v_mov_b32_e32 v14, 0xff7fffff
	v_lshlrev_b32_e32 v5, 2, v11
	s_waitcnt lgkmcnt(0)
	s_barrier
	s_and_saveexec_b64 s[4:5], s[2:3]
; %bb.48:
	ds_read_b32 v14, v5 offset:64
; %bb.49:
	s_or_b64 exec, exec, s[4:5]
	v_xor_b32_e32 v7, 1, v1
	v_cmp_lt_i32_e64 s[4:5], v7, v2
	v_cndmask_b32_e64 v7, v1, v7, s[4:5]
	v_lshlrev_b32_e32 v7, 2, v7
	s_waitcnt lgkmcnt(0)
	ds_bpermute_b32 v15, v7, v14
	v_max_f32_e32 v14, v14, v14
	v_lshlrev_b32_e32 v13, 2, v13
	s_lshl_b32 s4, s48, 3
	s_min_i32 s23, s4, s11
	s_waitcnt lgkmcnt(0)
	v_max_f32_e32 v15, v15, v15
	v_max_f32_e32 v14, v14, v15
	ds_bpermute_b32 v14, v13, v14
	v_cmp_gt_i32_e64 s[4:5], s23, v0
	v_mov_b32_e32 v13, 0
	s_and_saveexec_b64 s[12:13], s[4:5]
	s_cbranch_execz .LBB218_53
; %bb.50:
	v_mov_b32_e32 v13, 0x50
	v_lshl_add_u32 v15, v0, 2, v13
	v_mov_b32_e32 v13, 0
	s_mov_b64 s[18:19], 0
	v_mov_b32_e32 v16, v0
.LBB218_51:                             ; =>This Inner Loop Header: Depth=1
	ds_read_b32 v17, v15
	v_add_u32_e32 v16, 0x80, v16
	v_cmp_le_i32_e64 s[6:7], s23, v16
	s_or_b64 s[18:19], s[6:7], s[18:19]
	s_waitcnt lgkmcnt(0)
	v_sub_f32_e32 v17, v17, v14
	v_mul_f32_e32 v17, 0x3fb8aa3b, v17
	v_exp_f32_e32 v17, v17
	ds_write_b32 v15, v17
	v_add_f32_e32 v13, v13, v17
	v_add_u32_e32 v15, 0x200, v15
	s_andn2_b64 exec, exec, s[18:19]
	s_cbranch_execnz .LBB218_51
; %bb.52:
	s_or_b64 exec, exec, s[18:19]
.LBB218_53:
	s_or_b64 exec, exec, s[12:13]
	ds_bpermute_b32 v4, v4, v13
	s_waitcnt lgkmcnt(0)
	v_add_f32_e32 v4, v13, v4
	ds_bpermute_b32 v6, v6, v4
	s_waitcnt lgkmcnt(0)
	v_add_f32_e32 v4, v4, v6
	ds_bpermute_b32 v6, v12, v4
	v_xor_b32_e32 v12, 4, v1
	v_cmp_lt_i32_e64 s[6:7], v12, v2
	v_cndmask_b32_e64 v12, v1, v12, s[6:7]
	v_lshlrev_b32_e32 v12, 2, v12
	s_waitcnt lgkmcnt(0)
	v_add_f32_e32 v4, v4, v6
	ds_bpermute_b32 v6, v12, v4
	v_xor_b32_e32 v12, 2, v1
	v_cmp_lt_i32_e64 s[6:7], v12, v2
	v_cndmask_b32_e64 v2, v1, v12, s[6:7]
	v_lshlrev_b32_e32 v2, 2, v2
	s_waitcnt lgkmcnt(0)
	v_add_f32_e32 v4, v4, v6
	ds_bpermute_b32 v2, v2, v4
	s_waitcnt lgkmcnt(0)
	v_add_f32_e32 v2, v4, v2
	ds_bpermute_b32 v4, v7, v2
	s_waitcnt lgkmcnt(0)
	v_add_f32_e32 v2, v2, v4
	s_and_saveexec_b64 s[6:7], vcc
; %bb.54:
	ds_write_b32 v3, v2 offset:72
; %bb.55:
	s_or_b64 exec, exec, s[6:7]
	s_waitcnt lgkmcnt(0)
	s_barrier
	s_and_saveexec_b64 s[6:7], s[2:3]
; %bb.56:
	ds_read_b32 v2, v5 offset:72
; %bb.57:
	s_or_b64 exec, exec, s[6:7]
	s_waitcnt lgkmcnt(0)
	ds_bpermute_b32 v3, v7, v2
	v_lshlrev_b32_e32 v1, 2, v1
	v_and_b32_e32 v1, 0x100, v1
	s_waitcnt lgkmcnt(0)
	v_add_f32_e32 v2, v2, v3
	ds_bpermute_b32 v1, v1, v2
	s_and_saveexec_b64 s[2:3], s[4:5]
	s_cbranch_execz .LBB218_60
; %bb.58:
	s_waitcnt lgkmcnt(0)
	v_add_f32_e32 v2, 0x358637bd, v1
	v_div_scale_f32 v1, s[4:5], v2, v2, 1.0
	v_div_scale_f32 v3, vcc, 1.0, v2, 1.0
	s_mov_b64 s[4:5], 0
	v_rcp_f32_e32 v4, v1
	v_fma_f32 v5, -v1, v4, 1.0
	v_fmac_f32_e32 v4, v5, v4
	v_mul_f32_e32 v5, v3, v4
	v_fma_f32 v6, -v1, v5, v3
	v_fmac_f32_e32 v5, v6, v4
	v_fma_f32 v1, -v1, v5, v3
	v_div_fmas_f32 v3, v1, v4, v5
	v_mov_b32_e32 v1, 0x50
	v_lshl_add_u32 v1, v0, 2, v1
	v_div_fixup_f32 v2, v3, v2, 1.0
	v_mov_b32_e32 v3, v0
.LBB218_59:                             ; =>This Inner Loop Header: Depth=1
	ds_read_b32 v4, v1
	v_add_u32_e32 v3, 0x80, v3
	v_cmp_le_i32_e32 vcc, s23, v3
	s_or_b64 s[4:5], vcc, s[4:5]
	s_waitcnt lgkmcnt(0)
	v_mul_f32_e32 v4, v2, v4
	ds_write_b32 v1, v4
	v_add_u32_e32 v1, 0x200, v1
	s_andn2_b64 exec, exec, s[4:5]
	s_cbranch_execnz .LBB218_59
.LBB218_60:
	s_or_b64 exec, exec, s[2:3]
	v_mov_b32_e32 v12, 0
	s_waitcnt lgkmcnt(0)
	s_barrier
	s_and_saveexec_b64 s[4:5], s[0:1]
	s_cbranch_execz .LBB218_118
; %bb.61:
	s_sub_i32 s37, s16, s21
	s_ashr_i32 s0, s20, 31
	s_add_u32 s1, s34, s20
	s_addc_u32 s0, s35, s0
	s_abs_i32 s34, s22
	v_cvt_f32_u32_e32 v1, s34
	s_sub_i32 s2, 0, s34
	v_lshlrev_b32_e32 v3, 3, v11
	v_mov_b32_e32 v6, s0
	v_rcp_iflag_f32_e32 v1, v1
	v_add_co_u32_e64 v3, s[0:1], s1, v3
	s_add_i32 s38, s48, -1
	v_mul_f32_e32 v1, 0x4f7ffffe, v1
	v_cvt_u32_f32_e32 v1, v1
	v_and_b32_e32 v5, 60, v8
	s_mov_b32 s6, -1
	s_mov_b32 s35, s17
	v_mul_lo_u32 v4, s2, v1
	v_cmp_gt_u32_e32 vcc, 32, v11
	v_mov_b32_e32 v2, 0
	s_mov_b32 s7, 0xffffff
	v_mul_hi_u32 v7, v1, v4
	v_addc_co_u32_e64 v4, s[0:1], 0, v6, s[0:1]
	s_lshl_b64 s[0:1], s[30:31], 2
	s_add_u32 s0, s28, s0
	s_addc_u32 s1, s29, s1
	v_add_u32_e32 v13, v1, v7
	v_mov_b32_e32 v1, s1
	v_add_co_u32_e64 v5, s[0:1], s0, v5
	v_addc_co_u32_e64 v6, s[0:1], 0, v1, s[0:1]
	v_mov_b32_e32 v1, 0x50
	v_lshl_add_u32 v14, v9, 5, v1
	s_mov_b64 s[12:13], 0
	s_movk_i32 s28, 0x80
	s_movk_i32 s29, 0x7f
	s_mov_b32 s30, 0x8000
	v_mov_b32_e32 v15, 0x2000
	v_mov_b32_e32 v12, 0
	s_branch .LBB218_65
.LBB218_62:                             ;   in Loop: Header=BB218_65 Depth=1
	s_or_b64 exec, exec, s[18:19]
	v_and_b32_e32 v16, 0xffff, v16
	v_lshl_or_b32 v16, v17, 16, v16
	v_and_b32_e32 v17, 0xffff, v18
	v_lshl_or_b32 v17, v19, 16, v17
	v_and_b32_e32 v18, 0xffff, v20
	v_and_b32_e32 v19, 0xffff, v22
	;;#ASMSTART
	v_pk_mul_f16 v7, v16, v7;

	;;#ASMEND
	;;#ASMSTART
	v_pk_mul_f16 v1, v17, v1;

	;;#ASMEND
	v_lshl_or_b32 v18, v21, 16, v18
	v_lshl_or_b32 v19, v23, 16, v19
	;;#ASMSTART
	v_pk_mul_f16 v8, v18, v8;

	;;#ASMEND
	;;#ASMSTART
	v_pk_mul_f16 v16, v19, v26;

	;;#ASMEND
	;;#ASMSTART
	v_pk_add_f16 v1, v7, v1;

	;;#ASMEND
	;;#ASMSTART
	v_pk_add_f16 v1, v1, v8;

	;;#ASMEND
	;;#ASMSTART
	v_pk_add_f16 v1, v1, v16;

	;;#ASMEND
	v_lshrrev_b32_e32 v7, 16, v1
	v_and_b32_e32 v1, 0xffff, v1
	;;#ASMSTART
	v_cvt_f32_f16 v1, v1;
	;;#ASMEND
	;;#ASMSTART
	v_cvt_f32_f16 v7, v7;
	;;#ASMEND
	v_add_f32_e32 v1, v1, v7
	v_add_f32_e32 v12, v12, v1
.LBB218_63:                             ;   in Loop: Header=BB218_65 Depth=1
	s_or_b64 exec, exec, s[16:17]
.LBB218_64:                             ;   in Loop: Header=BB218_65 Depth=1
	s_or_b64 exec, exec, s[2:3]
	v_add_co_u32_e64 v5, s[0:1], 8, v5
	v_add_u32_e32 v9, 2, v9
	v_addc_co_u32_e64 v6, s[0:1], 0, v6, s[0:1]
	v_cmp_le_i32_e64 s[0:1], s48, v9
	v_add_u32_e32 v10, 16, v10
	s_or_b64 s[12:13], s[0:1], s[12:13]
	v_add_u32_e32 v14, 64, v14
	s_andn2_b64 exec, exec, s[12:13]
	s_cbranch_execz .LBB218_117
.LBB218_65:                             ; =>This Inner Loop Header: Depth=1
	v_mul_hi_u32 v1, v10, s46
	v_mul_lo_u32 v7, v1, s33
	v_add_u32_e32 v8, 1, v1
	v_sub_u32_e32 v7, v10, v7
	v_cmp_le_u32_e64 s[0:1], s33, v7
	v_cndmask_b32_e64 v1, v1, v8, s[0:1]
	v_subrev_u32_e32 v8, s33, v7
	v_cndmask_b32_e64 v7, v7, v8, s[0:1]
	v_add_u32_e32 v8, 1, v1
	v_cmp_le_u32_e64 s[0:1], s33, v7
	v_cndmask_b32_e64 v1, v1, v8, s[0:1]
	v_xor_b32_e32 v1, s47, v1
	v_subrev_u32_e32 v1, s47, v1
	v_add_u32_e32 v7, s36, v1
	v_sub_u32_e32 v8, 0, v7
	v_max_i32_e32 v8, v7, v8
	v_mul_hi_u32 v16, v8, v13
	v_ashrrev_i32_e32 v7, 31, v7
	v_cmp_lt_i32_e64 s[2:3], s37, v1
	v_mul_lo_u32 v16, v16, s34
	v_sub_u32_e32 v8, v8, v16
	v_subrev_u32_e32 v16, s34, v8
	v_cmp_le_u32_e64 s[0:1], s34, v8
	v_cndmask_b32_e64 v8, v8, v16, s[0:1]
	v_subrev_u32_e32 v16, s34, v8
	v_cmp_le_u32_e64 s[0:1], s34, v8
	v_cndmask_b32_e64 v8, v8, v16, s[0:1]
	v_xor_b32_e32 v8, v8, v7
	v_sub_u32_e32 v7, v8, v7
	v_cmp_eq_u32_e64 s[0:1], 0, v7
	s_or_b64 s[0:1], s[0:1], s[2:3]
	s_and_saveexec_b64 s[2:3], s[0:1]
	s_cbranch_execz .LBB218_64
; %bb.66:                               ;   in Loop: Header=BB218_65 Depth=1
	ds_read2_b64 v[16:19], v14 offset1:1
	ds_read2_b64 v[20:23], v14 offset0:2 offset1:3
	s_waitcnt lgkmcnt(1)
	;;#ASMSTART
	v_cvt_f16_f32 v16, v16;

	;;#ASMEND
	;;#ASMSTART
	v_cvt_f16_f32 v17, v17;

	;;#ASMEND
	;;#ASMSTART
	v_cvt_f16_f32 v18, v18;

	;;#ASMEND
	;;#ASMSTART
	v_cvt_f16_f32 v19, v19;

	;;#ASMEND
	s_waitcnt lgkmcnt(0)
	;;#ASMSTART
	v_cvt_f16_f32 v20, v20;

	;;#ASMEND
	;;#ASMSTART
	v_cvt_f16_f32 v21, v21;

	;;#ASMEND
	;; [unrolled: 4-line block ×4, first 2 shown]
	s_and_saveexec_b64 s[16:17], vcc
	s_cbranch_execz .LBB218_63
; %bb.67:                               ;   in Loop: Header=BB218_65 Depth=1
	global_load_dword v1, v[5:6], off
	v_mov_b32_e32 v25, 0
	global_load_dword v24, v25, s[14:15]
	v_mov_b32_e32 v26, 0
	s_waitcnt vmcnt(1)
	v_mad_i64_i32 v[7:8], s[0:1], v1, s35, v[3:4]
	global_load_dwordx2 v[7:8], v[7:8], off
	s_waitcnt vmcnt(0)
	v_cmp_ne_u16_sdwa s[0:1], v7, v2 src0_sel:BYTE_0 src1_sel:DWORD
	s_and_saveexec_b64 s[18:19], s[0:1]
	s_cbranch_execz .LBB218_73
; %bb.68:                               ;   in Loop: Header=BB218_65 Depth=1
	v_cmp_ne_u16_sdwa s[0:1], v7, s28 src0_sel:BYTE_0 src1_sel:DWORD
	v_mov_b32_e32 v26, 0x8000
	s_and_saveexec_b64 s[20:21], s[0:1]
	s_cbranch_execz .LBB218_72
; %bb.69:                               ;   in Loop: Header=BB218_65 Depth=1
	v_and_b32_e32 v1, 0x7f, v7
	v_cmp_ne_u32_e64 s[0:1], s29, v1
	v_mov_b32_e32 v26, 0x7c01
	s_and_saveexec_b64 s[22:23], s[0:1]
	s_cbranch_execz .LBB218_71
; %bb.70:                               ;   in Loop: Header=BB218_65 Depth=1
	v_and_b32_e32 v28, 7, v7
	v_ffbh_u32_e32 v26, v28
	v_min_u32_e32 v30, 32, v26
	v_subrev_u32_e32 v26, 28, v30
	v_lshlrev_b64 v[26:27], v26, v[7:8]
	v_lshrrev_b32_e32 v29, 3, v1
	v_sub_u32_e32 v27, 29, v30
	v_cmp_gt_u32_e64 s[0:1], 8, v1
	v_cndmask_b32_e64 v1, v29, v27, s[0:1]
	v_lshl_add_u32 v1, v1, 10, v15
	v_lshlrev_b32_e32 v27, 8, v7
	v_and_b32_e32 v26, 7, v26
	v_and_b32_e32 v1, 0xfc00, v1
	v_cndmask_b32_e64 v26, v28, v26, s[0:1]
	v_and_or_b32 v1, v27, s30, v1
	v_lshl_or_b32 v26, v26, 7, v1
.LBB218_71:                             ;   in Loop: Header=BB218_65 Depth=1
	s_or_b64 exec, exec, s[22:23]
.LBB218_72:                             ;   in Loop: Header=BB218_65 Depth=1
	s_or_b64 exec, exec, s[20:21]
.LBB218_73:                             ;   in Loop: Header=BB218_65 Depth=1
	s_or_b64 exec, exec, s[18:19]
	v_lshrrev_b16_e32 v1, 8, v7
	v_cmp_ne_u16_e64 s[0:1], 0, v1
	s_and_saveexec_b64 s[18:19], s[0:1]
	s_cbranch_execz .LBB218_79
; %bb.74:                               ;   in Loop: Header=BB218_65 Depth=1
	v_cmp_ne_u16_e64 s[0:1], s28, v1
	v_bfrev_b32_e32 v25, 1
	s_and_saveexec_b64 s[20:21], s[0:1]
	s_cbranch_execz .LBB218_78
; %bb.75:                               ;   in Loop: Header=BB218_65 Depth=1
	v_and_b32_e32 v27, 0x7f, v1
	v_cmp_ne_u32_e64 s[0:1], s29, v27
	v_mov_b32_e32 v25, 0x7c010000
	s_and_saveexec_b64 s[22:23], s[0:1]
	s_cbranch_execz .LBB218_77
; %bb.76:                               ;   in Loop: Header=BB218_65 Depth=1
	v_and_b32_e32 v25, 7, v1
	v_ffbh_u32_e32 v28, v25
	v_min_u32_e32 v31, 32, v28
	v_subrev_u32_e32 v28, 28, v31
	v_lshlrev_b64 v[28:29], v28, v[1:2]
	v_lshrrev_b32_e32 v30, 3, v27
	v_sub_u32_e32 v29, 29, v31
	v_cmp_gt_u32_e64 s[0:1], 8, v27
	v_cndmask_b32_e64 v27, v30, v29, s[0:1]
	v_lshlrev_b32_e32 v1, 8, v1
	v_lshl_add_u32 v27, v27, 10, v15
	v_and_b32_e32 v28, 7, v28
	v_and_or_b32 v1, v1, s30, v27
	v_cndmask_b32_e64 v25, v25, v28, s[0:1]
	v_lshlrev_b32_e32 v1, 16, v1
	v_lshl_or_b32 v25, v25, 23, v1
.LBB218_77:                             ;   in Loop: Header=BB218_65 Depth=1
	s_or_b64 exec, exec, s[22:23]
.LBB218_78:                             ;   in Loop: Header=BB218_65 Depth=1
	s_or_b64 exec, exec, s[20:21]
.LBB218_79:                             ;   in Loop: Header=BB218_65 Depth=1
	s_or_b64 exec, exec, s[18:19]
	v_lshrrev_b32_e32 v1, 16, v7
	v_cmp_ne_u16_sdwa s[0:1], v1, v2 src0_sel:BYTE_0 src1_sel:DWORD
	v_mov_b32_e32 v27, 0
	v_mov_b32_e32 v28, 0
	s_and_saveexec_b64 s[18:19], s[0:1]
	s_cbranch_execz .LBB218_85
; %bb.80:                               ;   in Loop: Header=BB218_65 Depth=1
	v_cmp_ne_u16_sdwa s[0:1], v1, s28 src0_sel:BYTE_0 src1_sel:DWORD
	v_mov_b32_e32 v28, 0x8000
	s_and_saveexec_b64 s[20:21], s[0:1]
	s_cbranch_execz .LBB218_84
; %bb.81:                               ;   in Loop: Header=BB218_65 Depth=1
	v_bfe_u32 v29, v7, 16, 7
	v_cmp_ne_u32_e64 s[0:1], s29, v29
	v_mov_b32_e32 v28, 0x7c01
	s_and_saveexec_b64 s[22:23], s[0:1]
	s_cbranch_execz .LBB218_83
; %bb.82:                               ;   in Loop: Header=BB218_65 Depth=1
	v_and_b32_e32 v28, 7, v1
	v_ffbh_u32_e32 v30, v28
	v_min_u32_e32 v33, 32, v30
	v_subrev_u32_e32 v30, 28, v33
	v_lshlrev_b64 v[30:31], v30, v[1:2]
	v_lshrrev_b32_e32 v32, 3, v29
	v_sub_u32_e32 v31, 29, v33
	v_cmp_gt_u32_e64 s[0:1], 8, v29
	v_cndmask_b32_e64 v29, v32, v31, s[0:1]
	v_lshl_add_u32 v29, v29, 10, v15
	v_lshlrev_b32_e32 v1, 8, v1
	v_and_b32_e32 v30, 7, v30
	v_and_b32_e32 v29, 0xfc00, v29
	v_cndmask_b32_e64 v28, v28, v30, s[0:1]
	v_and_or_b32 v1, v1, s30, v29
	v_lshl_or_b32 v28, v28, 7, v1
.LBB218_83:                             ;   in Loop: Header=BB218_65 Depth=1
	s_or_b64 exec, exec, s[22:23]
.LBB218_84:                             ;   in Loop: Header=BB218_65 Depth=1
	s_or_b64 exec, exec, s[20:21]
.LBB218_85:                             ;   in Loop: Header=BB218_65 Depth=1
	s_or_b64 exec, exec, s[18:19]
	v_cmp_lt_u32_e64 s[0:1], s7, v7
	s_and_saveexec_b64 s[18:19], s[0:1]
	s_cbranch_execz .LBB218_91
; %bb.86:                               ;   in Loop: Header=BB218_65 Depth=1
	v_lshrrev_b32_e32 v1, 24, v7
	v_cmp_ne_u32_e64 s[0:1], s28, v1
	v_bfrev_b32_e32 v27, 1
	s_and_saveexec_b64 s[20:21], s[0:1]
	s_cbranch_execz .LBB218_90
; %bb.87:                               ;   in Loop: Header=BB218_65 Depth=1
	v_and_b32_e32 v29, 0x7f, v1
	v_cmp_ne_u32_e64 s[0:1], s29, v29
	v_mov_b32_e32 v27, 0x7c010000
	s_and_saveexec_b64 s[22:23], s[0:1]
	s_cbranch_execz .LBB218_89
; %bb.88:                               ;   in Loop: Header=BB218_65 Depth=1
	v_and_b32_e32 v27, 7, v1
	v_ffbh_u32_e32 v30, v27
	v_min_u32_e32 v33, 32, v30
	v_subrev_u32_e32 v30, 28, v33
	v_lshlrev_b64 v[30:31], v30, v[1:2]
	v_lshrrev_b32_e32 v32, 3, v29
	v_sub_u32_e32 v31, 29, v33
	v_cmp_gt_u32_e64 s[0:1], 8, v29
	v_cndmask_b32_e64 v29, v32, v31, s[0:1]
	v_lshlrev_b32_e32 v1, 8, v1
	v_lshl_add_u32 v29, v29, 10, v15
	v_and_b32_e32 v30, 7, v30
	v_and_or_b32 v1, v1, s30, v29
	v_cndmask_b32_e64 v27, v27, v30, s[0:1]
	v_lshlrev_b32_e32 v1, 16, v1
	v_lshl_or_b32 v27, v27, 23, v1
.LBB218_89:                             ;   in Loop: Header=BB218_65 Depth=1
	s_or_b64 exec, exec, s[22:23]
.LBB218_90:                             ;   in Loop: Header=BB218_65 Depth=1
	s_or_b64 exec, exec, s[20:21]
.LBB218_91:                             ;   in Loop: Header=BB218_65 Depth=1
	s_or_b64 exec, exec, s[18:19]
	v_mov_b32_e32 v1, v8
	v_cmp_ne_u16_sdwa s[0:1], v8, v2 src0_sel:BYTE_0 src1_sel:DWORD
	v_mov_b32_e32 v29, 0
	v_mov_b32_e32 v30, 0
	s_and_saveexec_b64 s[18:19], s[0:1]
	s_cbranch_execz .LBB218_97
; %bb.92:                               ;   in Loop: Header=BB218_65 Depth=1
	v_cmp_ne_u16_sdwa s[0:1], v8, s28 src0_sel:BYTE_0 src1_sel:DWORD
	v_mov_b32_e32 v30, 0x8000
	s_and_saveexec_b64 s[20:21], s[0:1]
	s_cbranch_execz .LBB218_96
; %bb.93:                               ;   in Loop: Header=BB218_65 Depth=1
	v_and_b32_e32 v31, 0x7f, v8
	v_cmp_ne_u32_e64 s[0:1], s29, v31
	v_mov_b32_e32 v30, 0x7c01
	s_and_saveexec_b64 s[22:23], s[0:1]
	s_cbranch_execz .LBB218_95
; %bb.94:                               ;   in Loop: Header=BB218_65 Depth=1
	v_and_b32_e32 v30, 7, v8
	v_ffbh_u32_e32 v32, v30
	v_min_u32_e32 v35, 32, v32
	v_subrev_u32_e32 v32, 28, v35
	v_lshlrev_b64 v[32:33], v32, v[1:2]
	v_lshrrev_b32_e32 v34, 3, v31
	v_sub_u32_e32 v33, 29, v35
	v_cmp_gt_u32_e64 s[0:1], 8, v31
	v_cndmask_b32_e64 v31, v34, v33, s[0:1]
	v_lshl_add_u32 v31, v31, 10, v15
	v_lshlrev_b32_e32 v33, 8, v8
	v_and_b32_e32 v32, 7, v32
	v_and_b32_e32 v31, 0xfc00, v31
	v_cndmask_b32_e64 v30, v30, v32, s[0:1]
	v_and_or_b32 v31, v33, s30, v31
	v_lshl_or_b32 v30, v30, 7, v31
.LBB218_95:                             ;   in Loop: Header=BB218_65 Depth=1
	s_or_b64 exec, exec, s[22:23]
.LBB218_96:                             ;   in Loop: Header=BB218_65 Depth=1
	s_or_b64 exec, exec, s[20:21]
.LBB218_97:                             ;   in Loop: Header=BB218_65 Depth=1
	s_or_b64 exec, exec, s[18:19]
	v_lshrrev_b16_e32 v1, 8, v1
	v_cmp_ne_u16_e64 s[0:1], 0, v1
	v_mov_b32_e32 v31, 0
	s_and_saveexec_b64 s[18:19], s[0:1]
	s_cbranch_execz .LBB218_103
; %bb.98:                               ;   in Loop: Header=BB218_65 Depth=1
	v_cmp_ne_u16_e64 s[0:1], s28, v1
	v_bfrev_b32_e32 v31, 1
	s_and_saveexec_b64 s[20:21], s[0:1]
	s_cbranch_execz .LBB218_102
; %bb.99:                               ;   in Loop: Header=BB218_65 Depth=1
	v_and_b32_e32 v32, 0x7f, v1
	v_cmp_ne_u32_e64 s[0:1], s29, v32
	v_mov_b32_e32 v31, 0x7c010000
	s_and_saveexec_b64 s[22:23], s[0:1]
	s_cbranch_execz .LBB218_101
; %bb.100:                              ;   in Loop: Header=BB218_65 Depth=1
	v_and_b32_e32 v31, 7, v1
	v_ffbh_u32_e32 v33, v31
	v_min_u32_e32 v36, 32, v33
	v_subrev_u32_e32 v33, 28, v36
	v_lshlrev_b64 v[33:34], v33, v[1:2]
	v_lshrrev_b32_e32 v35, 3, v32
	v_sub_u32_e32 v34, 29, v36
	v_cmp_gt_u32_e64 s[0:1], 8, v32
	v_cndmask_b32_e64 v32, v35, v34, s[0:1]
	v_lshlrev_b32_e32 v1, 8, v1
	v_lshl_add_u32 v32, v32, 10, v15
	v_and_b32_e32 v33, 7, v33
	v_and_or_b32 v1, v1, s30, v32
	v_cndmask_b32_e64 v31, v31, v33, s[0:1]
	v_lshlrev_b32_e32 v1, 16, v1
	v_lshl_or_b32 v31, v31, 23, v1
.LBB218_101:                            ;   in Loop: Header=BB218_65 Depth=1
	s_or_b64 exec, exec, s[22:23]
.LBB218_102:                            ;   in Loop: Header=BB218_65 Depth=1
	s_or_b64 exec, exec, s[20:21]
.LBB218_103:                            ;   in Loop: Header=BB218_65 Depth=1
	s_or_b64 exec, exec, s[18:19]
	v_lshrrev_b32_e32 v1, 16, v8
	v_cmp_ne_u16_sdwa s[0:1], v1, v2 src0_sel:BYTE_0 src1_sel:DWORD
	s_and_saveexec_b64 s[18:19], s[0:1]
	s_cbranch_execz .LBB218_109
; %bb.104:                              ;   in Loop: Header=BB218_65 Depth=1
	v_cmp_ne_u16_sdwa s[0:1], v1, s28 src0_sel:BYTE_0 src1_sel:DWORD
	v_mov_b32_e32 v29, 0x8000
	s_and_saveexec_b64 s[20:21], s[0:1]
	s_cbranch_execz .LBB218_108
; %bb.105:                              ;   in Loop: Header=BB218_65 Depth=1
	v_bfe_u32 v32, v8, 16, 7
	v_cmp_ne_u32_e64 s[0:1], s29, v32
	v_mov_b32_e32 v29, 0x7c01
	s_and_saveexec_b64 s[22:23], s[0:1]
	s_cbranch_execz .LBB218_107
; %bb.106:                              ;   in Loop: Header=BB218_65 Depth=1
	v_and_b32_e32 v29, 7, v1
	v_ffbh_u32_e32 v33, v29
	v_min_u32_e32 v36, 32, v33
	v_subrev_u32_e32 v33, 28, v36
	v_lshlrev_b64 v[33:34], v33, v[1:2]
	v_lshrrev_b32_e32 v35, 3, v32
	v_sub_u32_e32 v34, 29, v36
	v_cmp_gt_u32_e64 s[0:1], 8, v32
	v_cndmask_b32_e64 v32, v35, v34, s[0:1]
	v_lshl_add_u32 v32, v32, 10, v15
	v_lshlrev_b32_e32 v1, 8, v1
	v_and_b32_e32 v33, 7, v33
	v_and_b32_e32 v32, 0xfc00, v32
	v_cndmask_b32_e64 v29, v29, v33, s[0:1]
	v_and_or_b32 v1, v1, s30, v32
	v_lshl_or_b32 v29, v29, 7, v1
.LBB218_107:                            ;   in Loop: Header=BB218_65 Depth=1
	s_or_b64 exec, exec, s[22:23]
.LBB218_108:                            ;   in Loop: Header=BB218_65 Depth=1
	s_or_b64 exec, exec, s[20:21]
.LBB218_109:                            ;   in Loop: Header=BB218_65 Depth=1
	s_or_b64 exec, exec, s[18:19]
	v_cmp_lt_u64_e64 s[0:1], s[6:7], v[7:8]
	v_mov_b32_e32 v32, 0
	s_and_saveexec_b64 s[18:19], s[0:1]
	s_cbranch_execz .LBB218_115
; %bb.110:                              ;   in Loop: Header=BB218_65 Depth=1
	v_lshrrev_b32_e32 v1, 24, v8
	v_cmp_ne_u32_e64 s[0:1], s28, v1
	v_bfrev_b32_e32 v32, 1
	s_and_saveexec_b64 s[20:21], s[0:1]
	s_cbranch_execz .LBB218_114
; %bb.111:                              ;   in Loop: Header=BB218_65 Depth=1
	v_and_b32_e32 v7, 0x7f, v1
	v_cmp_ne_u32_e64 s[0:1], s29, v7
	v_mov_b32_e32 v32, 0x7c010000
	s_and_saveexec_b64 s[22:23], s[0:1]
	s_cbranch_execz .LBB218_113
; %bb.112:                              ;   in Loop: Header=BB218_65 Depth=1
	v_and_b32_e32 v8, 7, v1
	v_ffbh_u32_e32 v32, v8
	v_min_u32_e32 v35, 32, v32
	v_subrev_u32_e32 v32, 28, v35
	v_lshlrev_b64 v[32:33], v32, v[1:2]
	v_lshrrev_b32_e32 v34, 3, v7
	v_sub_u32_e32 v33, 29, v35
	v_cmp_gt_u32_e64 s[0:1], 8, v7
	v_cndmask_b32_e64 v7, v34, v33, s[0:1]
	v_lshlrev_b32_e32 v1, 8, v1
	v_lshl_add_u32 v7, v7, 10, v15
	v_and_b32_e32 v32, 7, v32
	v_and_or_b32 v1, v1, s30, v7
	v_cndmask_b32_e64 v8, v8, v32, s[0:1]
	v_lshlrev_b32_e32 v1, 16, v1
	v_lshl_or_b32 v32, v8, 23, v1
.LBB218_113:                            ;   in Loop: Header=BB218_65 Depth=1
	s_or_b64 exec, exec, s[22:23]
.LBB218_114:                            ;   in Loop: Header=BB218_65 Depth=1
	s_or_b64 exec, exec, s[20:21]
.LBB218_115:                            ;   in Loop: Header=BB218_65 Depth=1
	s_or_b64 exec, exec, s[18:19]
	v_fma_mixlo_f16 v7, v24, v27, 0 op_sel:[0,1,0] op_sel_hi:[0,1,0]
	v_fma_mixlo_f16 v8, v24, v25, 0 op_sel:[0,1,0] op_sel_hi:[0,1,0]
	v_or_b32_e32 v1, v27, v28
	v_lshlrev_b32_e32 v27, 16, v7
	v_or_b32_e32 v7, v25, v26
	v_lshlrev_b32_e32 v33, 16, v8
	v_or_b32_e32 v8, v31, v30
	v_or_b32_e32 v26, v32, v29
	v_fma_mixlo_f16 v1, v24, v1, 0 op_sel_hi:[0,1,0]
	v_fma_mixlo_f16 v7, v24, v7, 0 op_sel_hi:[0,1,0]
	v_fma_mixlo_f16 v25, v24, v31, 0 op_sel:[0,1,0] op_sel_hi:[0,1,0]
	v_fma_mixlo_f16 v8, v24, v8, 0 op_sel_hi:[0,1,0]
	v_fma_mixlo_f16 v26, v24, v26, 0 op_sel_hi:[0,1,0]
	v_fma_mixlo_f16 v24, v24, v32, 0 op_sel:[0,1,0] op_sel_hi:[0,1,0]
	v_and_b32_e32 v28, 0xffff, v1
	v_and_b32_e32 v34, 0xffff, v7
	v_lshlrev_b32_e32 v25, 16, v25
	v_and_b32_e32 v30, 0xffff, v8
	v_lshlrev_b32_e32 v24, 16, v24
	v_and_b32_e32 v29, 0xffff, v26
	v_cmp_eq_u32_e64 s[0:1], s38, v9
	v_or_b32_e32 v1, v27, v28
	v_or_b32_e32 v7, v33, v34
	;; [unrolled: 1-line block ×4, first 2 shown]
	s_and_saveexec_b64 s[18:19], s[0:1]
	s_cbranch_execz .LBB218_62
; %bb.116:                              ;   in Loop: Header=BB218_65 Depth=1
	v_cmp_gt_i32_e64 s[0:1], s11, v10
	v_add_u32_e32 v7, 1, v10
	v_cndmask_b32_e64 v1, 0, v34, s[0:1]
	v_cmp_gt_i32_e64 s[0:1], s11, v7
	v_cndmask_b32_e64 v7, 0, v33, s[0:1]
	v_or_b32_e32 v7, v7, v1
	v_add_u32_e32 v1, 2, v10
	v_cmp_gt_i32_e64 s[0:1], s11, v1
	v_add_u32_e32 v8, 3, v10
	v_cndmask_b32_e64 v1, 0, v28, s[0:1]
	v_cmp_gt_i32_e64 s[0:1], s11, v8
	v_cndmask_b32_e64 v8, 0, v27, s[0:1]
	v_or_b32_e32 v1, v8, v1
	v_add_u32_e32 v8, 4, v10
	;; [unrolled: 7-line block ×3, first 2 shown]
	v_cmp_gt_i32_e64 s[0:1], s11, v25
	v_add_u32_e32 v26, 7, v10
	v_cndmask_b32_e64 v25, 0, v29, s[0:1]
	v_cmp_gt_i32_e64 s[0:1], s11, v26
	v_cndmask_b32_e64 v24, 0, v24, s[0:1]
	v_or_b32_e32 v26, v24, v25
	s_branch .LBB218_62
.LBB218_117:
	s_or_b64 exec, exec, s[12:13]
.LBB218_118:
	s_or_b64 exec, exec, s[4:5]
	v_and_b32_e32 v1, 0x3c0, v0
	v_cmp_eq_u32_e64 s[0:1], 64, v1
	v_cmp_gt_u32_e64 s[2:3], 32, v11
	v_mov_b32_e32 v1, 0x50
	v_cmp_lt_u32_e32 vcc, 31, v11
	v_lshl_add_u32 v1, v11, 2, v1
	s_and_b64 s[2:3], s[0:1], s[2:3]
	s_barrier
	s_and_saveexec_b64 s[0:1], s[2:3]
; %bb.119:
	ds_write_b32 v1, v12
; %bb.120:
	s_or_b64 exec, exec, s[0:1]
	v_cmp_gt_u32_e64 s[0:1], 64, v0
	s_xor_b64 s[2:3], vcc, -1
	s_and_b64 s[2:3], s[0:1], s[2:3]
	s_waitcnt lgkmcnt(0)
	s_barrier
	s_and_saveexec_b64 s[0:1], s[2:3]
	s_cbranch_execz .LBB218_122
; %bb.121:
	ds_read_b32 v1, v1
	s_waitcnt lgkmcnt(0)
	v_add_f32_e32 v12, v12, v1
.LBB218_122:
	s_or_b64 exec, exec, s[0:1]
	v_cmp_gt_u32_e32 vcc, 64, v0
	v_cmp_gt_u32_e64 s[0:1], 32, v11
	s_and_b64 s[0:1], vcc, s[0:1]
	s_barrier
	s_and_saveexec_b64 s[2:3], s[0:1]
	s_cbranch_execz .LBB218_124
; %bb.123:
	s_mul_i32 s0, s10, s25
	s_mul_i32 s0, s0, s9
	s_lshl_b32 s0, s0, 5
	s_ashr_i32 s1, s0, 31
	s_lshl_b64 s[0:1], s[0:1], 1
	s_add_u32 s2, s26, s0
	s_mul_i32 s0, s25, s24
	s_addc_u32 s3, s27, s1
	s_ashr_i32 s1, s0, 31
	s_lshl_b64 s[0:1], s[0:1], 1
	s_add_u32 s2, s2, s0
	s_addc_u32 s3, s3, s1
	s_lshl_b32 s0, s8, 5
	s_ashr_i32 s1, s0, 31
	s_lshl_b64 s[0:1], s[0:1], 1
	s_add_u32 s0, s2, s0
	s_addc_u32 s1, s3, s1
	v_lshlrev_b32_e32 v0, 1, v11
	;;#ASMSTART
	v_cvt_f16_f32 v1, v12;

	;;#ASMEND
	global_store_short v0, v1, s[0:1]
.LBB218_124:
	s_endpgm
	.section	.rodata,"a",@progbits
	.p2align	6, 0x0
	.amdhsa_kernel _ZN4vllm25paged_attention_v1_kernelIthLi32ELi8ELi128ELNS_18Fp8KVCacheDataTypeE1ELb1EEEvPT_PKS2_PKT0_S8_ifPKiSA_iPKfiiiSC_SC_iiiii
		.amdhsa_group_segment_fixed_size 80
		.amdhsa_private_segment_fixed_size 0
		.amdhsa_kernarg_size 384
		.amdhsa_user_sgpr_count 6
		.amdhsa_user_sgpr_private_segment_buffer 1
		.amdhsa_user_sgpr_dispatch_ptr 0
		.amdhsa_user_sgpr_queue_ptr 0
		.amdhsa_user_sgpr_kernarg_segment_ptr 1
		.amdhsa_user_sgpr_dispatch_id 0
		.amdhsa_user_sgpr_flat_scratch_init 0
		.amdhsa_user_sgpr_private_segment_size 0
		.amdhsa_uses_dynamic_stack 0
		.amdhsa_system_sgpr_private_segment_wavefront_offset 0
		.amdhsa_system_sgpr_workgroup_id_x 1
		.amdhsa_system_sgpr_workgroup_id_y 1
		.amdhsa_system_sgpr_workgroup_id_z 1
		.amdhsa_system_sgpr_workgroup_info 0
		.amdhsa_system_vgpr_workitem_id 0
		.amdhsa_next_free_vgpr 37
		.amdhsa_next_free_sgpr 54
		.amdhsa_reserve_vcc 1
		.amdhsa_reserve_flat_scratch 0
		.amdhsa_float_round_mode_32 0
		.amdhsa_float_round_mode_16_64 0
		.amdhsa_float_denorm_mode_32 3
		.amdhsa_float_denorm_mode_16_64 3
		.amdhsa_dx10_clamp 1
		.amdhsa_ieee_mode 1
		.amdhsa_fp16_overflow 0
		.amdhsa_exception_fp_ieee_invalid_op 0
		.amdhsa_exception_fp_denorm_src 0
		.amdhsa_exception_fp_ieee_div_zero 0
		.amdhsa_exception_fp_ieee_overflow 0
		.amdhsa_exception_fp_ieee_underflow 0
		.amdhsa_exception_fp_ieee_inexact 0
		.amdhsa_exception_int_div_zero 0
	.end_amdhsa_kernel
	.section	.text._ZN4vllm25paged_attention_v1_kernelIthLi32ELi8ELi128ELNS_18Fp8KVCacheDataTypeE1ELb1EEEvPT_PKS2_PKT0_S8_ifPKiSA_iPKfiiiSC_SC_iiiii,"axG",@progbits,_ZN4vllm25paged_attention_v1_kernelIthLi32ELi8ELi128ELNS_18Fp8KVCacheDataTypeE1ELb1EEEvPT_PKS2_PKT0_S8_ifPKiSA_iPKfiiiSC_SC_iiiii,comdat
.Lfunc_end218:
	.size	_ZN4vllm25paged_attention_v1_kernelIthLi32ELi8ELi128ELNS_18Fp8KVCacheDataTypeE1ELb1EEEvPT_PKS2_PKT0_S8_ifPKiSA_iPKfiiiSC_SC_iiiii, .Lfunc_end218-_ZN4vllm25paged_attention_v1_kernelIthLi32ELi8ELi128ELNS_18Fp8KVCacheDataTypeE1ELb1EEEvPT_PKS2_PKT0_S8_ifPKiSA_iPKfiiiSC_SC_iiiii
                                        ; -- End function
	.set _ZN4vllm25paged_attention_v1_kernelIthLi32ELi8ELi128ELNS_18Fp8KVCacheDataTypeE1ELb1EEEvPT_PKS2_PKT0_S8_ifPKiSA_iPKfiiiSC_SC_iiiii.num_vgpr, 37
	.set _ZN4vllm25paged_attention_v1_kernelIthLi32ELi8ELi128ELNS_18Fp8KVCacheDataTypeE1ELb1EEEvPT_PKS2_PKT0_S8_ifPKiSA_iPKfiiiSC_SC_iiiii.num_agpr, 0
	.set _ZN4vllm25paged_attention_v1_kernelIthLi32ELi8ELi128ELNS_18Fp8KVCacheDataTypeE1ELb1EEEvPT_PKS2_PKT0_S8_ifPKiSA_iPKfiiiSC_SC_iiiii.numbered_sgpr, 54
	.set _ZN4vllm25paged_attention_v1_kernelIthLi32ELi8ELi128ELNS_18Fp8KVCacheDataTypeE1ELb1EEEvPT_PKS2_PKT0_S8_ifPKiSA_iPKfiiiSC_SC_iiiii.num_named_barrier, 0
	.set _ZN4vllm25paged_attention_v1_kernelIthLi32ELi8ELi128ELNS_18Fp8KVCacheDataTypeE1ELb1EEEvPT_PKS2_PKT0_S8_ifPKiSA_iPKfiiiSC_SC_iiiii.private_seg_size, 0
	.set _ZN4vllm25paged_attention_v1_kernelIthLi32ELi8ELi128ELNS_18Fp8KVCacheDataTypeE1ELb1EEEvPT_PKS2_PKT0_S8_ifPKiSA_iPKfiiiSC_SC_iiiii.uses_vcc, 1
	.set _ZN4vllm25paged_attention_v1_kernelIthLi32ELi8ELi128ELNS_18Fp8KVCacheDataTypeE1ELb1EEEvPT_PKS2_PKT0_S8_ifPKiSA_iPKfiiiSC_SC_iiiii.uses_flat_scratch, 0
	.set _ZN4vllm25paged_attention_v1_kernelIthLi32ELi8ELi128ELNS_18Fp8KVCacheDataTypeE1ELb1EEEvPT_PKS2_PKT0_S8_ifPKiSA_iPKfiiiSC_SC_iiiii.has_dyn_sized_stack, 0
	.set _ZN4vllm25paged_attention_v1_kernelIthLi32ELi8ELi128ELNS_18Fp8KVCacheDataTypeE1ELb1EEEvPT_PKS2_PKT0_S8_ifPKiSA_iPKfiiiSC_SC_iiiii.has_recursion, 0
	.set _ZN4vllm25paged_attention_v1_kernelIthLi32ELi8ELi128ELNS_18Fp8KVCacheDataTypeE1ELb1EEEvPT_PKS2_PKT0_S8_ifPKiSA_iPKfiiiSC_SC_iiiii.has_indirect_call, 0
	.section	.AMDGPU.csdata,"",@progbits
; Kernel info:
; codeLenInByte = 6176
; TotalNumSgprs: 58
; NumVgprs: 37
; ScratchSize: 0
; MemoryBound: 0
; FloatMode: 240
; IeeeMode: 1
; LDSByteSize: 80 bytes/workgroup (compile time only)
; SGPRBlocks: 7
; VGPRBlocks: 9
; NumSGPRsForWavesPerEU: 58
; NumVGPRsForWavesPerEU: 37
; Occupancy: 6
; WaveLimiterHint : 1
; COMPUTE_PGM_RSRC2:SCRATCH_EN: 0
; COMPUTE_PGM_RSRC2:USER_SGPR: 6
; COMPUTE_PGM_RSRC2:TRAP_HANDLER: 0
; COMPUTE_PGM_RSRC2:TGID_X_EN: 1
; COMPUTE_PGM_RSRC2:TGID_Y_EN: 1
; COMPUTE_PGM_RSRC2:TGID_Z_EN: 1
; COMPUTE_PGM_RSRC2:TIDIG_COMP_CNT: 0
	.section	.text._ZN4vllm25paged_attention_v1_kernelIthLi64ELi8ELi128ELNS_18Fp8KVCacheDataTypeE1ELb1EEEvPT_PKS2_PKT0_S8_ifPKiSA_iPKfiiiSC_SC_iiiii,"axG",@progbits,_ZN4vllm25paged_attention_v1_kernelIthLi64ELi8ELi128ELNS_18Fp8KVCacheDataTypeE1ELb1EEEvPT_PKS2_PKT0_S8_ifPKiSA_iPKfiiiSC_SC_iiiii,comdat
	.protected	_ZN4vllm25paged_attention_v1_kernelIthLi64ELi8ELi128ELNS_18Fp8KVCacheDataTypeE1ELb1EEEvPT_PKS2_PKT0_S8_ifPKiSA_iPKfiiiSC_SC_iiiii ; -- Begin function _ZN4vllm25paged_attention_v1_kernelIthLi64ELi8ELi128ELNS_18Fp8KVCacheDataTypeE1ELb1EEEvPT_PKS2_PKT0_S8_ifPKiSA_iPKfiiiSC_SC_iiiii
	.globl	_ZN4vllm25paged_attention_v1_kernelIthLi64ELi8ELi128ELNS_18Fp8KVCacheDataTypeE1ELb1EEEvPT_PKS2_PKT0_S8_ifPKiSA_iPKfiiiSC_SC_iiiii
	.p2align	8
	.type	_ZN4vllm25paged_attention_v1_kernelIthLi64ELi8ELi128ELNS_18Fp8KVCacheDataTypeE1ELb1EEEvPT_PKS2_PKT0_S8_ifPKiSA_iPKfiiiSC_SC_iiiii,@function
_ZN4vllm25paged_attention_v1_kernelIthLi64ELi8ELi128ELNS_18Fp8KVCacheDataTypeE1ELb1EEEvPT_PKS2_PKT0_S8_ifPKiSA_iPKfiiiSC_SC_iiiii: ; @_ZN4vllm25paged_attention_v1_kernelIthLi64ELi8ELi128ELNS_18Fp8KVCacheDataTypeE1ELb1EEEvPT_PKS2_PKT0_S8_ifPKiSA_iPKfiiiSC_SC_iiiii
; %bb.0:
	s_load_dword s9, s[4:5], 0x80
	s_load_dwordx2 s[0:1], s[4:5], 0x30
	s_load_dwordx2 s[38:39], s[4:5], 0x20
	s_mov_b32 s24, s7
	s_ashr_i32 s25, s7, 31
	s_lshl_b64 s[2:3], s[24:25], 2
	s_waitcnt lgkmcnt(0)
	s_add_u32 s0, s0, s2
	s_addc_u32 s1, s1, s3
	s_abs_i32 s2, s38
	v_cvt_f32_u32_e32 v1, s2
	s_sub_i32 s10, 0, s2
	s_abs_i32 s7, s9
	s_xor_b32 s3, s9, s38
	v_rcp_iflag_f32_e32 v1, v1
	s_ashr_i32 s3, s3, 31
	s_mov_b32 s50, 0
	v_mul_f32_e32 v1, 0x4f7ffffe, v1
	v_cvt_u32_f32_e32 v1, v1
	v_readfirstlane_b32 s11, v1
	s_mul_i32 s10, s10, s11
	s_mul_hi_u32 s10, s11, s10
	s_add_i32 s11, s11, s10
	s_mul_hi_u32 s10, s7, s11
	s_mul_i32 s11, s10, s2
	s_sub_i32 s7, s7, s11
	s_add_i32 s11, s10, 1
	s_sub_i32 s12, s7, s2
	s_cmp_ge_u32 s7, s2
	s_cselect_b32 s10, s11, s10
	s_cselect_b32 s7, s12, s7
	s_add_i32 s11, s10, 1
	s_cmp_ge_u32 s7, s2
	s_cselect_b32 s2, s11, s10
	s_xor_b32 s2, s2, s3
	s_sub_i32 s14, s2, s3
	s_abs_i32 s10, s14
	v_cvt_f32_u32_e32 v1, s10
	s_load_dwordx2 s[2:3], s[4:5], 0x40
	s_sub_i32 s7, 0, s10
	s_abs_i32 s11, s6
	v_rcp_iflag_f32_e32 v1, v1
	v_mul_f32_e32 v1, 0x4f7ffffe, v1
	v_cvt_u32_f32_e32 v1, v1
	v_readfirstlane_b32 s12, v1
	s_mul_i32 s7, s7, s12
	s_mul_hi_u32 s7, s12, s7
	s_add_i32 s12, s12, s7
	s_waitcnt lgkmcnt(0)
	s_cmp_eq_u64 s[2:3], 0
	s_mul_hi_u32 s12, s11, s12
	s_cbranch_scc1 .LBB219_2
; %bb.1:
	s_ashr_i32 s7, s6, 31
	s_lshl_b64 s[16:17], s[6:7], 2
	s_add_u32 s2, s2, s16
	s_addc_u32 s3, s3, s17
	s_load_dword s50, s[2:3], 0x0
.LBB219_2:
	s_load_dword s25, s[0:1], 0x0
	s_load_dwordx4 s[16:19], s[4:5], 0x48
	s_ashr_i32 s13, s6, 31
	s_ashr_i32 s14, s14, 31
	v_and_b32_e32 v1, 7, v0
	s_lshl_b32 s26, s6, 6
	v_cmp_gt_u32_e64 s[0:1], 64, v0
	s_and_saveexec_b64 s[2:3], s[0:1]
	s_cbranch_execz .LBB219_4
; %bb.3:
	s_load_dwordx2 s[20:21], s[4:5], 0x8
	s_waitcnt lgkmcnt(0)
	s_mul_i32 s22, s16, s24
	s_ashr_i32 s23, s22, 31
	s_lshl_b64 s[22:23], s[22:23], 1
	v_lshlrev_b32_e32 v2, 1, v0
	s_add_u32 s7, s20, s22
	s_addc_u32 s15, s21, s23
	s_ashr_i32 s27, s26, 31
	s_lshl_b64 s[20:21], s[26:27], 1
	s_add_u32 s20, s7, s20
	s_addc_u32 s21, s15, s21
	global_load_ushort v2, v2, s[20:21]
	v_lshrrev_b32_e32 v3, 2, v0
	v_and_b32_e32 v3, 0xfe, v3
	v_lshl_add_u32 v3, v1, 4, v3
	s_waitcnt vmcnt(0)
	ds_write_b16 v3, v2
.LBB219_4:
	s_or_b64 exec, exec, s[2:3]
	s_mul_i32 s3, s12, s10
	s_sub_i32 s3, s11, s3
	s_xor_b32 s2, s13, s14
	s_add_i32 s11, s12, 1
	s_sub_i32 s13, s3, s10
	s_load_dwordx4 s[20:23], s[4:5], 0x68
	s_load_dword s7, s[4:5], 0x78
	s_cmp_ge_u32 s3, s10
	s_cselect_b32 s11, s11, s12
	s_cselect_b32 s3, s13, s3
	s_add_i32 s12, s11, 1
	s_cmp_ge_u32 s3, s10
	s_cselect_b32 s3, s12, s11
	s_waitcnt lgkmcnt(0)
	s_abs_i32 s27, s23
	v_cvt_f32_u32_e32 v2, s27
	s_xor_b32 s3, s3, s2
	s_sub_i32 s49, s3, s2
	s_sub_i32 s2, 0, s27
	v_rcp_iflag_f32_e32 v2, v2
	s_add_i32 s12, s25, -1
	s_abs_i32 s10, s12
	v_mul_f32_e32 v2, 0x4f7ffffe, v2
	v_cvt_u32_f32_e32 v2, v2
	s_barrier
	v_readfirstlane_b32 s33, v2
	s_mul_i32 s2, s2, s33
	s_mul_hi_u32 s2, s33, s2
	s_add_i32 s33, s33, s2
	s_cmp_lt_i32 s7, 0
	s_mul_hi_u32 s11, s10, s33
	s_cbranch_scc0 .LBB219_6
; %bb.5:
	s_mul_i32 s2, s20, s38
	s_add_i32 s2, s49, s2
	s_mul_i32 s2, s2, s7
	s_sub_i32 s38, 1, s2
	s_mov_b64 s[2:3], 0
	s_branch .LBB219_7
.LBB219_6:
	s_mov_b64 s[2:3], -1
                                        ; implicit-def: $sgpr38
.LBB219_7:
	s_load_dwordx2 s[30:31], s[4:5], 0x28
	s_ashr_i32 s16, s12, 31
	s_andn2_b64 vcc, exec, s[2:3]
	s_ashr_i32 s23, s23, 31
	s_cbranch_vccnz .LBB219_9
; %bb.8:
	s_mul_i32 s2, s9, s20
	s_add_i32 s2, s2, s6
	s_mul_i32 s2, s2, s7
	s_add_i32 s38, s2, 1
.LBB219_9:
	s_load_dword s2, s[4:5], 0x38
	s_load_dwordx2 s[28:29], s[4:5], 0x0
	s_load_dwordx2 s[36:37], s[4:5], 0x18
	s_load_dword s20, s[4:5], 0x88
	s_load_dwordx4 s[12:15], s[4:5], 0x58
	s_mul_i32 s3, s11, s27
	s_waitcnt lgkmcnt(0)
	s_mul_i32 s34, s2, s24
	s_sub_i32 s3, s10, s3
	s_ashr_i32 s35, s34, 31
	s_xor_b32 s2, s16, s23
	s_add_i32 s6, s11, 1
	s_sub_i32 s7, s3, s27
	s_cmp_ge_u32 s3, s27
	s_cselect_b32 s6, s6, s11
	s_cselect_b32 s3, s7, s3
	s_add_i32 s7, s6, 1
	s_cmp_ge_u32 s3, s27
	s_cselect_b32 s3, s7, s6
	s_xor_b32 s3, s3, s2
	s_sub_i32 s16, s3, s2
	s_add_i32 s2, s25, 7
	s_ashr_i32 s3, s2, 31
	s_lshr_b32 s3, s3, 29
	s_add_i32 s2, s2, s3
	s_ashr_i32 s48, s2, 3
	v_lshrrev_b32_e32 v10, 6, v0
	v_cmp_gt_i32_e64 s[2:3], s48, v10
	v_mov_b32_e32 v15, 0xff7fffff
	s_mul_i32 s49, s49, s18
	v_lshrrev_b32_e32 v8, 4, v0
	v_lshlrev_b32_e32 v11, 3, v10
	v_mbcnt_lo_u32_b32 v9, -1, 0
	s_and_saveexec_b64 s[18:19], s[2:3]
	s_cbranch_execz .LBB219_69
; %bb.10:
	s_load_dwordx2 s[4:5], s[4:5], 0x10
	s_sub_i32 s51, s16, s21
	s_ashr_i32 s6, s49, 31
	v_bfe_u32 v12, v0, 3, 3
	v_lshlrev_b32_e32 v4, 4, v12
	s_waitcnt lgkmcnt(0)
	s_add_u32 s7, s4, s49
	s_addc_u32 s6, s5, s6
	s_abs_i32 s52, s22
	v_cvt_f32_u32_e32 v2, s52
	s_sub_i32 s4, 0, s52
	v_mov_b32_e32 v5, s6
	v_add_co_u32_e64 v4, s[6:7], s7, v4
	v_rcp_iflag_f32_e32 v2, v2
	v_addc_co_u32_e64 v5, s[6:7], 0, v5, s[6:7]
	v_cmp_eq_u32_e32 vcc, 0, v1
	v_mul_f32_e32 v2, 0x4f7ffffe, v2
	v_cvt_u32_f32_e32 v2, v2
	v_lshlrev_b32_e32 v14, 4, v1
	v_add_co_u32_e64 v1, s[6:7], v4, v1
	v_mul_lo_u32 v3, s4, v2
	s_mov_b32 s53, s17
	v_mov_b32_e32 v13, 0
	v_cmp_neq_f32_e64 s[4:5], s50, 0
	v_mul_hi_u32 v3, v2, v3
	v_lshlrev_b32_e32 v17, 3, v10
	v_mov_b32_e32 v20, 0xff7fffff
	s_mov_b64 s[40:41], 0
	v_add_u32_e32 v16, v2, v3
	v_addc_co_u32_e64 v2, s[6:7], 0, v5, s[6:7]
	s_lshl_b64 s[6:7], s[34:35], 2
	s_add_u32 s6, s30, s6
	v_subrev_u32_e32 v5, s25, v12
	v_and_b32_e32 v3, 60, v8
	s_addc_u32 s7, s31, s7
	v_add_u32_e32 v18, 1, v5
	v_lshlrev_b32_e32 v5, 2, v12
	v_mov_b32_e32 v4, s7
	v_add_co_u32_e64 v3, s[6:7], s6, v3
	v_lshl_or_b32 v5, v10, 5, v5
	v_addc_co_u32_e64 v4, s[6:7], 0, v4, s[6:7]
	v_add_u32_e32 v19, 0x90, v5
	s_movk_i32 s54, 0x80
	s_movk_i32 s55, 0x7f
	v_bfrev_b32_e32 v21, 60
	v_mbcnt_hi_u32_b32 v22, -1, v9
	v_mov_b32_e32 v15, 0xff7fffff
	v_mov_b32_e32 v23, v10
	s_branch .LBB219_13
.LBB219_11:                             ;   in Loop: Header=BB219_13 Depth=1
	s_or_b64 exec, exec, s[42:43]
.LBB219_12:                             ;   in Loop: Header=BB219_13 Depth=1
	s_or_b64 exec, exec, s[10:11]
	v_add_co_u32_e64 v3, s[6:7], 8, v3
	v_add_u32_e32 v23, 2, v23
	v_addc_co_u32_e64 v4, s[6:7], 0, v4, s[6:7]
	v_cmp_le_i32_e64 s[6:7], s48, v23
	v_add_u32_e32 v17, 16, v17
	s_or_b64 s[40:41], s[6:7], s[40:41]
	v_add_u32_e32 v19, 64, v19
	s_andn2_b64 exec, exec, s[40:41]
	s_cbranch_execz .LBB219_68
.LBB219_13:                             ; =>This Inner Loop Header: Depth=1
	v_mul_hi_u32 v5, v17, s33
	s_waitcnt lgkmcnt(0)
	v_mul_lo_u32 v6, v5, s27
	v_add_u32_e32 v7, 1, v5
	v_sub_u32_e32 v6, v17, v6
	v_cmp_le_u32_e64 s[6:7], s27, v6
	v_cndmask_b32_e64 v5, v5, v7, s[6:7]
	v_subrev_u32_e32 v7, s27, v6
	v_cndmask_b32_e64 v6, v6, v7, s[6:7]
	v_add_u32_e32 v7, 1, v5
	v_cmp_le_u32_e64 s[6:7], s27, v6
	v_cndmask_b32_e64 v5, v5, v7, s[6:7]
	v_xor_b32_e32 v5, s23, v5
	v_subrev_u32_e32 v5, s23, v5
	v_add_u32_e32 v6, s38, v5
	v_sub_u32_e32 v7, 0, v6
	v_max_i32_e32 v7, v6, v7
	v_mul_hi_u32 v24, v7, v16
	v_ashrrev_i32_e32 v6, 31, v6
	v_cmp_ge_i32_e64 s[10:11], s51, v5
	v_mul_lo_u32 v24, v24, s52
	v_sub_u32_e32 v7, v7, v24
	v_subrev_u32_e32 v24, s52, v7
	v_cmp_le_u32_e64 s[6:7], s52, v7
	v_cndmask_b32_e64 v7, v7, v24, s[6:7]
	v_subrev_u32_e32 v24, s52, v7
	v_cmp_le_u32_e64 s[6:7], s52, v7
	v_cndmask_b32_e64 v7, v7, v24, s[6:7]
	v_xor_b32_e32 v7, v7, v6
	v_sub_u32_e32 v6, v7, v6
	v_cmp_ne_u32_e64 s[6:7], 0, v6
	s_and_b64 s[6:7], s[6:7], s[10:11]
	s_and_saveexec_b64 s[10:11], s[6:7]
	s_xor_b64 s[6:7], exec, s[10:11]
	s_cbranch_execz .LBB219_17
; %bb.14:                               ;   in Loop: Header=BB219_13 Depth=1
	s_and_saveexec_b64 s[10:11], vcc
; %bb.15:                               ;   in Loop: Header=BB219_13 Depth=1
	ds_write_b32 v19, v20
; %bb.16:                               ;   in Loop: Header=BB219_13 Depth=1
	s_or_b64 exec, exec, s[10:11]
.LBB219_17:                             ;   in Loop: Header=BB219_13 Depth=1
	s_andn2_saveexec_b64 s[10:11], s[6:7]
	s_cbranch_execz .LBB219_12
; %bb.18:                               ;   in Loop: Header=BB219_13 Depth=1
	global_load_dword v5, v[3:4], off
	v_mov_b32_e32 v25, 0
	v_mov_b32_e32 v26, 0
	s_waitcnt vmcnt(0)
	v_mad_i64_i32 v[5:6], s[6:7], v5, s53, v[1:2]
	global_load_ubyte v27, v[5:6], off
	global_load_dword v24, v13, s[12:13]
	s_waitcnt vmcnt(1)
	v_cmp_ne_u16_e64 s[6:7], 0, v27
	s_and_saveexec_b64 s[42:43], s[6:7]
	s_cbranch_execz .LBB219_24
; %bb.19:                               ;   in Loop: Header=BB219_13 Depth=1
	v_cmp_ne_u16_e64 s[6:7], s54, v27
	v_bfrev_b32_e32 v26, 1
	s_and_saveexec_b64 s[44:45], s[6:7]
	s_cbranch_execz .LBB219_23
; %bb.20:                               ;   in Loop: Header=BB219_13 Depth=1
	v_and_b32_e32 v7, 0xffff, v27
	v_and_b32_e32 v28, 0x7f, v7
	v_cmp_ne_u32_e64 s[6:7], s55, v28
	v_mov_b32_e32 v26, 0x7f800001
	s_and_saveexec_b64 s[46:47], s[6:7]
	s_cbranch_execz .LBB219_22
; %bb.21:                               ;   in Loop: Header=BB219_13 Depth=1
	v_and_b32_e32 v26, 7, v7
	v_ffbh_u32_e32 v29, v26
	v_min_u32_e32 v32, 32, v29
	v_subrev_u32_e32 v29, 28, v32
	v_lshlrev_b64 v[29:30], v29, v[7:8]
	v_lshrrev_b32_e32 v31, 3, v28
	v_sub_u32_e32 v7, 29, v32
	v_and_b32_e32 v29, 7, v29
	v_cmp_gt_u32_e64 s[6:7], 8, v28
	v_cndmask_b32_e64 v7, v31, v7, s[6:7]
	v_cndmask_b32_e64 v26, v26, v29, s[6:7]
	v_lshlrev_b32_e32 v27, 24, v27
	v_lshlrev_b32_e32 v26, 20, v26
	v_and_b32_e32 v27, 0x80000000, v27
	v_lshl_add_u32 v7, v7, 23, v21
	v_or3_b32 v26, v27, v7, v26
.LBB219_22:                             ;   in Loop: Header=BB219_13 Depth=1
	s_or_b64 exec, exec, s[46:47]
.LBB219_23:                             ;   in Loop: Header=BB219_13 Depth=1
	s_or_b64 exec, exec, s[44:45]
.LBB219_24:                             ;   in Loop: Header=BB219_13 Depth=1
	s_or_b64 exec, exec, s[42:43]
	global_load_ubyte v27, v[5:6], off offset:8
	s_waitcnt vmcnt(0)
	v_cmp_ne_u16_e64 s[6:7], 0, v27
	s_and_saveexec_b64 s[42:43], s[6:7]
	s_cbranch_execz .LBB219_30
; %bb.25:                               ;   in Loop: Header=BB219_13 Depth=1
	v_cmp_ne_u16_e64 s[6:7], s54, v27
	v_bfrev_b32_e32 v25, 1
	s_and_saveexec_b64 s[44:45], s[6:7]
	s_cbranch_execz .LBB219_29
; %bb.26:                               ;   in Loop: Header=BB219_13 Depth=1
	v_and_b32_e32 v7, 0xffff, v27
	v_and_b32_e32 v28, 0x7f, v7
	v_cmp_ne_u32_e64 s[6:7], s55, v28
	v_mov_b32_e32 v25, 0x7f800001
	s_and_saveexec_b64 s[46:47], s[6:7]
	s_cbranch_execz .LBB219_28
; %bb.27:                               ;   in Loop: Header=BB219_13 Depth=1
	v_and_b32_e32 v25, 7, v7
	v_ffbh_u32_e32 v29, v25
	v_min_u32_e32 v32, 32, v29
	v_subrev_u32_e32 v29, 28, v32
	v_lshlrev_b64 v[29:30], v29, v[7:8]
	v_lshrrev_b32_e32 v31, 3, v28
	v_sub_u32_e32 v7, 29, v32
	v_and_b32_e32 v29, 7, v29
	v_cmp_gt_u32_e64 s[6:7], 8, v28
	v_cndmask_b32_e64 v7, v31, v7, s[6:7]
	v_cndmask_b32_e64 v25, v25, v29, s[6:7]
	v_lshlrev_b32_e32 v27, 24, v27
	v_lshlrev_b32_e32 v25, 20, v25
	v_and_b32_e32 v27, 0x80000000, v27
	v_lshl_add_u32 v7, v7, 23, v21
	v_or3_b32 v25, v27, v7, v25
.LBB219_28:                             ;   in Loop: Header=BB219_13 Depth=1
	s_or_b64 exec, exec, s[46:47]
.LBB219_29:                             ;   in Loop: Header=BB219_13 Depth=1
	s_or_b64 exec, exec, s[44:45]
.LBB219_30:                             ;   in Loop: Header=BB219_13 Depth=1
	s_or_b64 exec, exec, s[42:43]
	global_load_ubyte v29, v[5:6], off offset:128
	v_mov_b32_e32 v27, 0
	v_mov_b32_e32 v28, 0
	s_waitcnt vmcnt(0)
	v_cmp_ne_u16_e64 s[6:7], 0, v29
	s_and_saveexec_b64 s[42:43], s[6:7]
	s_cbranch_execz .LBB219_36
; %bb.31:                               ;   in Loop: Header=BB219_13 Depth=1
	v_cmp_ne_u16_e64 s[6:7], s54, v29
	v_bfrev_b32_e32 v28, 1
	s_and_saveexec_b64 s[44:45], s[6:7]
	s_cbranch_execz .LBB219_35
; %bb.32:                               ;   in Loop: Header=BB219_13 Depth=1
	v_and_b32_e32 v7, 0xffff, v29
	v_and_b32_e32 v30, 0x7f, v7
	v_cmp_ne_u32_e64 s[6:7], s55, v30
	v_mov_b32_e32 v28, 0x7f800001
	s_and_saveexec_b64 s[46:47], s[6:7]
	s_cbranch_execz .LBB219_34
; %bb.33:                               ;   in Loop: Header=BB219_13 Depth=1
	v_and_b32_e32 v28, 7, v7
	v_ffbh_u32_e32 v31, v28
	v_min_u32_e32 v34, 32, v31
	v_subrev_u32_e32 v31, 28, v34
	v_lshlrev_b64 v[31:32], v31, v[7:8]
	v_lshrrev_b32_e32 v33, 3, v30
	v_sub_u32_e32 v7, 29, v34
	v_and_b32_e32 v31, 7, v31
	v_cmp_gt_u32_e64 s[6:7], 8, v30
	v_cndmask_b32_e64 v7, v33, v7, s[6:7]
	v_cndmask_b32_e64 v28, v28, v31, s[6:7]
	v_lshlrev_b32_e32 v29, 24, v29
	v_lshlrev_b32_e32 v28, 20, v28
	v_and_b32_e32 v29, 0x80000000, v29
	v_lshl_add_u32 v7, v7, 23, v21
	v_or3_b32 v28, v29, v7, v28
.LBB219_34:                             ;   in Loop: Header=BB219_13 Depth=1
	s_or_b64 exec, exec, s[46:47]
.LBB219_35:                             ;   in Loop: Header=BB219_13 Depth=1
	s_or_b64 exec, exec, s[44:45]
.LBB219_36:                             ;   in Loop: Header=BB219_13 Depth=1
	s_or_b64 exec, exec, s[42:43]
	global_load_ubyte v29, v[5:6], off offset:136
	s_waitcnt vmcnt(0)
	v_cmp_ne_u16_e64 s[6:7], 0, v29
	s_and_saveexec_b64 s[42:43], s[6:7]
	s_cbranch_execz .LBB219_42
; %bb.37:                               ;   in Loop: Header=BB219_13 Depth=1
	v_cmp_ne_u16_e64 s[6:7], s54, v29
	v_bfrev_b32_e32 v27, 1
	s_and_saveexec_b64 s[44:45], s[6:7]
	s_cbranch_execz .LBB219_41
; %bb.38:                               ;   in Loop: Header=BB219_13 Depth=1
	v_and_b32_e32 v7, 0xffff, v29
	v_and_b32_e32 v30, 0x7f, v7
	v_cmp_ne_u32_e64 s[6:7], s55, v30
	v_mov_b32_e32 v27, 0x7f800001
	s_and_saveexec_b64 s[46:47], s[6:7]
	s_cbranch_execz .LBB219_40
; %bb.39:                               ;   in Loop: Header=BB219_13 Depth=1
	v_and_b32_e32 v27, 7, v7
	v_ffbh_u32_e32 v31, v27
	v_min_u32_e32 v34, 32, v31
	v_subrev_u32_e32 v31, 28, v34
	v_lshlrev_b64 v[31:32], v31, v[7:8]
	v_lshrrev_b32_e32 v33, 3, v30
	v_sub_u32_e32 v7, 29, v34
	v_and_b32_e32 v31, 7, v31
	v_cmp_gt_u32_e64 s[6:7], 8, v30
	v_cndmask_b32_e64 v7, v33, v7, s[6:7]
	v_cndmask_b32_e64 v27, v27, v31, s[6:7]
	v_lshlrev_b32_e32 v29, 24, v29
	v_lshlrev_b32_e32 v27, 20, v27
	v_and_b32_e32 v29, 0x80000000, v29
	v_lshl_add_u32 v7, v7, 23, v21
	v_or3_b32 v27, v29, v7, v27
.LBB219_40:                             ;   in Loop: Header=BB219_13 Depth=1
	s_or_b64 exec, exec, s[46:47]
.LBB219_41:                             ;   in Loop: Header=BB219_13 Depth=1
	s_or_b64 exec, exec, s[44:45]
.LBB219_42:                             ;   in Loop: Header=BB219_13 Depth=1
	s_or_b64 exec, exec, s[42:43]
	global_load_ubyte v31, v[5:6], off offset:256
	v_mov_b32_e32 v29, 0
	v_mov_b32_e32 v30, 0
	s_waitcnt vmcnt(0)
	v_cmp_ne_u16_e64 s[6:7], 0, v31
	s_and_saveexec_b64 s[42:43], s[6:7]
	s_cbranch_execz .LBB219_48
; %bb.43:                               ;   in Loop: Header=BB219_13 Depth=1
	v_cmp_ne_u16_e64 s[6:7], s54, v31
	v_bfrev_b32_e32 v30, 1
	s_and_saveexec_b64 s[44:45], s[6:7]
	s_cbranch_execz .LBB219_47
; %bb.44:                               ;   in Loop: Header=BB219_13 Depth=1
	v_and_b32_e32 v7, 0xffff, v31
	v_and_b32_e32 v32, 0x7f, v7
	v_cmp_ne_u32_e64 s[6:7], s55, v32
	v_mov_b32_e32 v30, 0x7f800001
	s_and_saveexec_b64 s[46:47], s[6:7]
	s_cbranch_execz .LBB219_46
; %bb.45:                               ;   in Loop: Header=BB219_13 Depth=1
	v_and_b32_e32 v30, 7, v7
	v_ffbh_u32_e32 v33, v30
	v_min_u32_e32 v36, 32, v33
	v_subrev_u32_e32 v33, 28, v36
	v_lshlrev_b64 v[33:34], v33, v[7:8]
	v_lshrrev_b32_e32 v35, 3, v32
	v_sub_u32_e32 v7, 29, v36
	v_and_b32_e32 v33, 7, v33
	v_cmp_gt_u32_e64 s[6:7], 8, v32
	v_cndmask_b32_e64 v7, v35, v7, s[6:7]
	v_cndmask_b32_e64 v30, v30, v33, s[6:7]
	v_lshlrev_b32_e32 v31, 24, v31
	v_lshlrev_b32_e32 v30, 20, v30
	v_and_b32_e32 v31, 0x80000000, v31
	v_lshl_add_u32 v7, v7, 23, v21
	v_or3_b32 v30, v31, v7, v30
.LBB219_46:                             ;   in Loop: Header=BB219_13 Depth=1
	s_or_b64 exec, exec, s[46:47]
.LBB219_47:                             ;   in Loop: Header=BB219_13 Depth=1
	s_or_b64 exec, exec, s[44:45]
.LBB219_48:                             ;   in Loop: Header=BB219_13 Depth=1
	s_or_b64 exec, exec, s[42:43]
	global_load_ubyte v31, v[5:6], off offset:264
	s_waitcnt vmcnt(0)
	v_cmp_ne_u16_e64 s[6:7], 0, v31
	s_and_saveexec_b64 s[42:43], s[6:7]
	s_cbranch_execz .LBB219_54
; %bb.49:                               ;   in Loop: Header=BB219_13 Depth=1
	v_cmp_ne_u16_e64 s[6:7], s54, v31
	v_bfrev_b32_e32 v29, 1
	s_and_saveexec_b64 s[44:45], s[6:7]
	s_cbranch_execz .LBB219_53
; %bb.50:                               ;   in Loop: Header=BB219_13 Depth=1
	v_and_b32_e32 v7, 0xffff, v31
	v_and_b32_e32 v32, 0x7f, v7
	v_cmp_ne_u32_e64 s[6:7], s55, v32
	v_mov_b32_e32 v29, 0x7f800001
	s_and_saveexec_b64 s[46:47], s[6:7]
	s_cbranch_execz .LBB219_52
; %bb.51:                               ;   in Loop: Header=BB219_13 Depth=1
	v_and_b32_e32 v29, 7, v7
	v_ffbh_u32_e32 v33, v29
	v_min_u32_e32 v36, 32, v33
	v_subrev_u32_e32 v33, 28, v36
	v_lshlrev_b64 v[33:34], v33, v[7:8]
	v_lshrrev_b32_e32 v35, 3, v32
	v_sub_u32_e32 v7, 29, v36
	v_and_b32_e32 v33, 7, v33
	v_cmp_gt_u32_e64 s[6:7], 8, v32
	v_cndmask_b32_e64 v7, v35, v7, s[6:7]
	v_cndmask_b32_e64 v29, v29, v33, s[6:7]
	v_lshlrev_b32_e32 v31, 24, v31
	v_lshlrev_b32_e32 v29, 20, v29
	v_and_b32_e32 v31, 0x80000000, v31
	v_lshl_add_u32 v7, v7, 23, v21
	v_or3_b32 v29, v31, v7, v29
.LBB219_52:                             ;   in Loop: Header=BB219_13 Depth=1
	s_or_b64 exec, exec, s[46:47]
.LBB219_53:                             ;   in Loop: Header=BB219_13 Depth=1
	s_or_b64 exec, exec, s[44:45]
.LBB219_54:                             ;   in Loop: Header=BB219_13 Depth=1
	s_or_b64 exec, exec, s[42:43]
	global_load_ubyte v33, v[5:6], off offset:384
	v_mov_b32_e32 v31, 0
	v_mov_b32_e32 v32, 0
	s_waitcnt vmcnt(0)
	v_cmp_ne_u16_e64 s[6:7], 0, v33
	s_and_saveexec_b64 s[42:43], s[6:7]
	s_cbranch_execz .LBB219_60
; %bb.55:                               ;   in Loop: Header=BB219_13 Depth=1
	v_cmp_ne_u16_e64 s[6:7], s54, v33
	v_bfrev_b32_e32 v32, 1
	s_and_saveexec_b64 s[44:45], s[6:7]
	s_cbranch_execz .LBB219_59
; %bb.56:                               ;   in Loop: Header=BB219_13 Depth=1
	v_and_b32_e32 v7, 0xffff, v33
	v_and_b32_e32 v34, 0x7f, v7
	v_cmp_ne_u32_e64 s[6:7], s55, v34
	v_mov_b32_e32 v32, 0x7f800001
	s_and_saveexec_b64 s[46:47], s[6:7]
	s_cbranch_execz .LBB219_58
; %bb.57:                               ;   in Loop: Header=BB219_13 Depth=1
	v_and_b32_e32 v32, 7, v7
	v_ffbh_u32_e32 v35, v32
	v_min_u32_e32 v38, 32, v35
	v_subrev_u32_e32 v35, 28, v38
	v_lshlrev_b64 v[35:36], v35, v[7:8]
	v_lshrrev_b32_e32 v37, 3, v34
	v_sub_u32_e32 v7, 29, v38
	v_and_b32_e32 v35, 7, v35
	v_cmp_gt_u32_e64 s[6:7], 8, v34
	v_cndmask_b32_e64 v7, v37, v7, s[6:7]
	v_cndmask_b32_e64 v32, v32, v35, s[6:7]
	v_lshlrev_b32_e32 v33, 24, v33
	v_lshlrev_b32_e32 v32, 20, v32
	v_and_b32_e32 v33, 0x80000000, v33
	v_lshl_add_u32 v7, v7, 23, v21
	v_or3_b32 v32, v33, v7, v32
.LBB219_58:                             ;   in Loop: Header=BB219_13 Depth=1
	s_or_b64 exec, exec, s[46:47]
.LBB219_59:                             ;   in Loop: Header=BB219_13 Depth=1
	s_or_b64 exec, exec, s[44:45]
.LBB219_60:                             ;   in Loop: Header=BB219_13 Depth=1
	s_or_b64 exec, exec, s[42:43]
	global_load_ubyte v6, v[5:6], off offset:392
	s_waitcnt vmcnt(0)
	v_cmp_ne_u16_e64 s[6:7], 0, v6
	s_and_saveexec_b64 s[42:43], s[6:7]
	s_cbranch_execz .LBB219_66
; %bb.61:                               ;   in Loop: Header=BB219_13 Depth=1
	v_cmp_ne_u16_e64 s[6:7], s54, v6
	v_bfrev_b32_e32 v31, 1
	s_and_saveexec_b64 s[44:45], s[6:7]
	s_cbranch_execz .LBB219_65
; %bb.62:                               ;   in Loop: Header=BB219_13 Depth=1
	v_and_b32_e32 v5, 0xffff, v6
	v_and_b32_e32 v7, 0x7f, v5
	v_cmp_ne_u32_e64 s[6:7], s55, v7
	v_mov_b32_e32 v31, 0x7f800001
	s_and_saveexec_b64 s[46:47], s[6:7]
	s_cbranch_execz .LBB219_64
; %bb.63:                               ;   in Loop: Header=BB219_13 Depth=1
	v_and_b32_e32 v31, 7, v5
	v_ffbh_u32_e32 v33, v31
	v_min_u32_e32 v36, 32, v33
	v_subrev_u32_e32 v33, 28, v36
	v_lshlrev_b64 v[33:34], v33, v[5:6]
	v_lshrrev_b32_e32 v35, 3, v7
	v_sub_u32_e32 v5, 29, v36
	v_and_b32_e32 v33, 7, v33
	v_cmp_gt_u32_e64 s[6:7], 8, v7
	v_cndmask_b32_e64 v5, v35, v5, s[6:7]
	v_cndmask_b32_e64 v7, v31, v33, s[6:7]
	v_lshlrev_b32_e32 v6, 24, v6
	v_lshlrev_b32_e32 v7, 20, v7
	v_and_b32_e32 v6, 0x80000000, v6
	v_lshl_add_u32 v5, v5, 23, v21
	v_or3_b32 v31, v6, v5, v7
.LBB219_64:                             ;   in Loop: Header=BB219_13 Depth=1
	s_or_b64 exec, exec, s[46:47]
.LBB219_65:                             ;   in Loop: Header=BB219_13 Depth=1
	s_or_b64 exec, exec, s[44:45]
.LBB219_66:                             ;   in Loop: Header=BB219_13 Depth=1
	s_or_b64 exec, exec, s[42:43]
	ds_read_u16 v6, v14
	v_fma_mixlo_f16 v5, v24, v26, 0
	v_and_b32_e32 v7, 0xffff, v5
	s_waitcnt lgkmcnt(0)
	;;#ASMSTART
	v_cvt_f32_f16 v5, v6;
	;;#ASMEND
	;;#ASMSTART
	v_cvt_f32_f16 v6, v7;
	;;#ASMEND
	ds_read_u16 v26, v14 offset:2
	v_fma_mixlo_f16 v7, v24, v25, 0
	v_and_b32_e32 v25, 0xffff, v7
	s_waitcnt lgkmcnt(0)
	;;#ASMSTART
	v_cvt_f32_f16 v7, v26;
	;;#ASMEND
	;;#ASMSTART
	v_cvt_f32_f16 v25, v25;
	;;#ASMEND
	v_fma_mixlo_f16 v26, v24, v28, 0
	v_mul_f32_e32 v7, v7, v25
	ds_read_u16 v33, v14 offset:4
	v_and_b32_e32 v28, 0xffff, v26
	v_fma_mixlo_f16 v27, v24, v27, 0
	v_fmac_f32_e32 v7, v5, v6
	s_waitcnt lgkmcnt(0)
	;;#ASMSTART
	v_cvt_f32_f16 v26, v33;
	;;#ASMEND
	;;#ASMSTART
	v_cvt_f32_f16 v28, v28;
	;;#ASMEND
	ds_read_u16 v33, v14 offset:6
	v_and_b32_e32 v34, 0xffff, v27
	v_fma_mixlo_f16 v30, v24, v30, 0
	v_fmac_f32_e32 v7, v26, v28
	s_waitcnt lgkmcnt(0)
	;;#ASMSTART
	v_cvt_f32_f16 v27, v33;
	;;#ASMEND
	;;#ASMSTART
	v_cvt_f32_f16 v33, v34;
	;;#ASMEND
	ds_read_u16 v34, v14 offset:8
	v_and_b32_e32 v35, 0xffff, v30
	v_fma_mixlo_f16 v32, v24, v32, 0
	v_fma_mixlo_f16 v29, v24, v29, 0
	v_fmac_f32_e32 v7, v27, v33
	s_waitcnt lgkmcnt(0)
	;;#ASMSTART
	v_cvt_f32_f16 v30, v34;
	;;#ASMEND
	;;#ASMSTART
	v_cvt_f32_f16 v34, v35;
	;;#ASMEND
	ds_read_u16 v35, v14 offset:10
	v_and_b32_e32 v36, 0xffff, v29
	v_and_b32_e32 v6, 0xffff, v32
	v_fmac_f32_e32 v7, v30, v34
	s_waitcnt lgkmcnt(0)
	;;#ASMSTART
	v_cvt_f32_f16 v29, v35;
	;;#ASMEND
	;;#ASMSTART
	v_cvt_f32_f16 v35, v36;
	;;#ASMEND
	ds_read_u16 v36, v14 offset:12
	v_fma_mixlo_f16 v24, v24, v31, 0
	s_waitcnt lgkmcnt(0)
	;;#ASMSTART
	v_cvt_f32_f16 v5, v36;
	;;#ASMEND
	;;#ASMSTART
	v_cvt_f32_f16 v6, v6;
	;;#ASMEND
	v_fmac_f32_e32 v7, v29, v35
	ds_read_u16 v25, v14 offset:14
	v_fmac_f32_e32 v7, v5, v6
	s_waitcnt lgkmcnt(0)
	;;#ASMSTART
	v_cvt_f32_f16 v5, v25;
	;;#ASMEND
	v_and_b32_e32 v6, 0xffff, v24
	;;#ASMSTART
	v_cvt_f32_f16 v6, v6;
	;;#ASMEND
	v_fmac_f32_e32 v7, v5, v6
	v_and_b32_e32 v5, 64, v22
	v_add_u32_e32 v6, 64, v5
	v_xor_b32_e32 v5, 4, v22
	v_cmp_lt_i32_e64 s[6:7], v5, v6
	v_cndmask_b32_e64 v5, v22, v5, s[6:7]
	v_lshlrev_b32_e32 v5, 2, v5
	ds_bpermute_b32 v5, v5, v7
	s_waitcnt lgkmcnt(0)
	v_add_f32_e32 v5, v7, v5
	v_xor_b32_e32 v7, 2, v22
	v_cmp_lt_i32_e64 s[6:7], v7, v6
	v_cndmask_b32_e64 v7, v22, v7, s[6:7]
	v_lshlrev_b32_e32 v7, 2, v7
	ds_bpermute_b32 v7, v7, v5
	s_waitcnt lgkmcnt(0)
	v_add_f32_e32 v5, v5, v7
	v_xor_b32_e32 v7, 1, v22
	v_cmp_lt_i32_e64 s[6:7], v7, v6
	v_cndmask_b32_e64 v6, v22, v7, s[6:7]
	v_lshlrev_b32_e32 v6, 2, v6
	ds_bpermute_b32 v6, v6, v5
	s_and_saveexec_b64 s[42:43], vcc
	s_cbranch_execz .LBB219_11
; %bb.67:                               ;   in Loop: Header=BB219_13 Depth=1
	v_add_u32_e32 v7, v18, v17
	v_cvt_f32_i32_e32 v7, v7
	s_waitcnt lgkmcnt(0)
	v_add_f32_e32 v5, v5, v6
	v_add_u32_e32 v24, v12, v17
	v_cmp_gt_i32_e64 s[6:7], s25, v24
	v_mul_f32_e32 v6, s50, v7
	v_cndmask_b32_e64 v6, 0, v6, s[4:5]
	v_fmac_f32_e32 v6, s39, v5
	v_cndmask_b32_e64 v5, 0, v6, s[6:7]
	ds_write_b32 v19, v5
	v_max_f32_e32 v5, v15, v15
	v_max_f32_e32 v5, v5, v6
	v_cndmask_b32_e64 v15, v15, v5, s[6:7]
	s_branch .LBB219_11
.LBB219_68:
	s_or_b64 exec, exec, s[40:41]
.LBB219_69:
	s_or_b64 exec, exec, s[18:19]
	v_mbcnt_hi_u32_b32 v1, -1, v9
	v_and_b32_e32 v13, 64, v1
	v_add_u32_e32 v2, 64, v13
	v_xor_b32_e32 v3, 32, v1
	v_cmp_lt_i32_e32 vcc, v3, v2
	v_cndmask_b32_e32 v3, v1, v3, vcc
	v_lshlrev_b32_e32 v4, 2, v3
	ds_bpermute_b32 v3, v4, v15
	s_waitcnt lgkmcnt(1)
	v_xor_b32_e32 v6, 16, v1
	v_max_f32_e32 v5, v15, v15
	v_cmp_lt_i32_e32 vcc, v6, v2
	v_xor_b32_e32 v7, 8, v1
	s_waitcnt lgkmcnt(0)
	v_max_f32_e32 v3, v3, v3
	v_max_f32_e32 v3, v5, v3
	v_cndmask_b32_e32 v5, v1, v6, vcc
	v_lshlrev_b32_e32 v6, 2, v5
	ds_bpermute_b32 v5, v6, v3
	v_cmp_lt_i32_e32 vcc, v7, v2
	v_and_b32_e32 v12, 63, v0
	s_waitcnt lgkmcnt(0)
	v_max_f32_e32 v5, v5, v5
	v_max_f32_e32 v5, v3, v5
	v_cndmask_b32_e32 v3, v1, v7, vcc
	v_lshlrev_b32_e32 v9, 2, v3
	ds_bpermute_b32 v7, v9, v5
	v_cmp_eq_u32_e32 vcc, 0, v12
	v_lshlrev_b32_e32 v3, 2, v10
	s_and_saveexec_b64 s[4:5], vcc
	s_cbranch_execz .LBB219_71
; %bb.70:
	s_waitcnt lgkmcnt(0)
	v_max_f32_e32 v7, v7, v7
	v_max_f32_e32 v5, v5, v5
	;; [unrolled: 1-line block ×3, first 2 shown]
	ds_write_b32 v3, v5 offset:128
.LBB219_71:
	s_or_b64 exec, exec, s[4:5]
	v_cmp_gt_u32_e64 s[4:5], 2, v12
	v_mov_b32_e32 v14, 0xff7fffff
	v_lshlrev_b32_e32 v5, 2, v12
	s_waitcnt lgkmcnt(0)
	s_barrier
	s_and_saveexec_b64 s[6:7], s[4:5]
; %bb.72:
	ds_read_b32 v14, v5 offset:128
; %bb.73:
	s_or_b64 exec, exec, s[6:7]
	v_xor_b32_e32 v7, 1, v1
	v_cmp_lt_i32_e64 s[6:7], v7, v2
	v_cndmask_b32_e64 v7, v1, v7, s[6:7]
	v_lshlrev_b32_e32 v7, 2, v7
	s_waitcnt lgkmcnt(0)
	ds_bpermute_b32 v15, v7, v14
	v_max_f32_e32 v14, v14, v14
	v_lshlrev_b32_e32 v13, 2, v13
	s_lshl_b32 s6, s48, 3
	s_min_i32 s39, s6, s25
	s_waitcnt lgkmcnt(0)
	v_max_f32_e32 v15, v15, v15
	v_max_f32_e32 v14, v14, v15
	ds_bpermute_b32 v14, v13, v14
	v_cmp_gt_i32_e64 s[6:7], s39, v0
	v_mov_b32_e32 v13, 0
	s_and_saveexec_b64 s[12:13], s[6:7]
	s_cbranch_execz .LBB219_77
; %bb.74:
	v_mov_b32_e32 v13, 0x90
	v_lshl_add_u32 v15, v0, 2, v13
	v_mov_b32_e32 v13, 0
	s_mov_b64 s[18:19], 0
	v_mov_b32_e32 v16, v0
.LBB219_75:                             ; =>This Inner Loop Header: Depth=1
	ds_read_b32 v17, v15
	v_add_u32_e32 v16, 0x80, v16
	v_cmp_le_i32_e64 s[10:11], s39, v16
	s_or_b64 s[18:19], s[10:11], s[18:19]
	s_waitcnt lgkmcnt(0)
	v_sub_f32_e32 v17, v17, v14
	v_mul_f32_e32 v17, 0x3fb8aa3b, v17
	v_exp_f32_e32 v17, v17
	ds_write_b32 v15, v17
	v_add_f32_e32 v13, v13, v17
	v_add_u32_e32 v15, 0x200, v15
	s_andn2_b64 exec, exec, s[18:19]
	s_cbranch_execnz .LBB219_75
; %bb.76:
	s_or_b64 exec, exec, s[18:19]
.LBB219_77:
	s_or_b64 exec, exec, s[12:13]
	ds_bpermute_b32 v4, v4, v13
	s_waitcnt lgkmcnt(0)
	v_add_f32_e32 v4, v13, v4
	ds_bpermute_b32 v6, v6, v4
	s_waitcnt lgkmcnt(0)
	v_add_f32_e32 v4, v4, v6
	ds_bpermute_b32 v6, v9, v4
	v_xor_b32_e32 v9, 4, v1
	v_cmp_lt_i32_e64 s[10:11], v9, v2
	v_cndmask_b32_e64 v9, v1, v9, s[10:11]
	v_lshlrev_b32_e32 v9, 2, v9
	s_waitcnt lgkmcnt(0)
	v_add_f32_e32 v4, v4, v6
	ds_bpermute_b32 v6, v9, v4
	v_xor_b32_e32 v9, 2, v1
	v_cmp_lt_i32_e64 s[10:11], v9, v2
	v_cndmask_b32_e64 v2, v1, v9, s[10:11]
	v_lshlrev_b32_e32 v2, 2, v2
	s_waitcnt lgkmcnt(0)
	v_add_f32_e32 v4, v4, v6
	ds_bpermute_b32 v2, v2, v4
	s_waitcnt lgkmcnt(0)
	v_add_f32_e32 v2, v4, v2
	ds_bpermute_b32 v4, v7, v2
	s_waitcnt lgkmcnt(0)
	v_add_f32_e32 v2, v2, v4
	s_and_saveexec_b64 s[10:11], vcc
; %bb.78:
	ds_write_b32 v3, v2 offset:136
; %bb.79:
	s_or_b64 exec, exec, s[10:11]
	s_waitcnt lgkmcnt(0)
	s_barrier
	s_and_saveexec_b64 s[10:11], s[4:5]
; %bb.80:
	ds_read_b32 v2, v5 offset:136
; %bb.81:
	s_or_b64 exec, exec, s[10:11]
	s_waitcnt lgkmcnt(0)
	ds_bpermute_b32 v3, v7, v2
	v_lshlrev_b32_e32 v1, 2, v1
	v_and_b32_e32 v1, 0x100, v1
	s_waitcnt lgkmcnt(0)
	v_add_f32_e32 v2, v2, v3
	ds_bpermute_b32 v1, v1, v2
	s_and_saveexec_b64 s[4:5], s[6:7]
	s_cbranch_execz .LBB219_84
; %bb.82:
	s_waitcnt lgkmcnt(0)
	v_add_f32_e32 v2, 0x358637bd, v1
	v_div_scale_f32 v1, s[6:7], v2, v2, 1.0
	v_div_scale_f32 v3, vcc, 1.0, v2, 1.0
	s_mov_b64 s[6:7], 0
	v_rcp_f32_e32 v4, v1
	v_fma_f32 v5, -v1, v4, 1.0
	v_fmac_f32_e32 v4, v5, v4
	v_mul_f32_e32 v5, v3, v4
	v_fma_f32 v6, -v1, v5, v3
	v_fmac_f32_e32 v5, v6, v4
	v_fma_f32 v1, -v1, v5, v3
	v_div_fmas_f32 v3, v1, v4, v5
	v_mov_b32_e32 v1, 0x90
	v_lshl_add_u32 v1, v0, 2, v1
	v_div_fixup_f32 v2, v3, v2, 1.0
	v_mov_b32_e32 v3, v0
.LBB219_83:                             ; =>This Inner Loop Header: Depth=1
	ds_read_b32 v4, v1
	v_add_u32_e32 v3, 0x80, v3
	v_cmp_le_i32_e32 vcc, s39, v3
	s_or_b64 s[6:7], vcc, s[6:7]
	s_waitcnt lgkmcnt(0)
	v_mul_f32_e32 v4, v2, v4
	ds_write_b32 v1, v4
	v_add_u32_e32 v1, 0x200, v1
	s_andn2_b64 exec, exec, s[6:7]
	s_cbranch_execnz .LBB219_83
.LBB219_84:
	s_or_b64 exec, exec, s[4:5]
	v_mov_b32_e32 v13, 0
	s_waitcnt lgkmcnt(0)
	s_barrier
	s_and_saveexec_b64 s[4:5], s[2:3]
	s_cbranch_execz .LBB219_140
; %bb.85:
	s_sub_i32 s21, s16, s21
	s_ashr_i32 s2, s49, 31
	s_add_u32 s10, s36, s49
	s_addc_u32 s11, s37, s2
	s_abs_i32 s22, s22
	v_cvt_f32_u32_e32 v1, s22
	s_sub_i32 s2, 0, s22
	v_lshlrev_b32_e32 v3, 3, v12
	s_add_i32 s37, s48, -1
	v_rcp_iflag_f32_e32 v1, v1
	v_mov_b32_e32 v6, s11
	v_add_co_u32_e32 v3, vcc, s10, v3
	v_mul_f32_e32 v1, 0x4f7ffffe, v1
	v_cvt_u32_f32_e32 v1, v1
	v_and_b32_e32 v5, 60, v8
	s_mov_b32 s6, -1
	s_mov_b32 s36, s17
	v_mul_lo_u32 v4, s2, v1
	s_lshl_b64 s[2:3], s[34:35], 2
	s_add_u32 s2, s30, s2
	s_addc_u32 s3, s31, s3
	v_mul_hi_u32 v7, v1, v4
	v_addc_co_u32_e32 v4, vcc, 0, v6, vcc
	v_add_co_u32_e32 v5, vcc, s2, v5
	v_add_u32_e32 v14, v1, v7
	v_mov_b32_e32 v1, s3
	v_addc_co_u32_e32 v6, vcc, 0, v1, vcc
	v_mov_b32_e32 v1, 0x90
	v_mov_b32_e32 v2, 0
	s_mov_b32 s7, 0xffffff
	v_lshl_add_u32 v15, v10, 5, v1
	s_mov_b64 s[10:11], 0
	s_movk_i32 s30, 0x7f
	s_movk_i32 s31, 0x80
	s_mov_b32 s34, 0xffff
	s_mov_b32 s35, 0x8000
	v_mov_b32_e32 v16, 0x2000
	v_mov_b32_e32 v17, 0x7c01
	;; [unrolled: 1-line block ×3, first 2 shown]
	v_bfrev_b32_e32 v19, 1
	v_mov_b32_e32 v13, 0
	s_branch .LBB219_88
.LBB219_86:                             ;   in Loop: Header=BB219_88 Depth=1
	s_or_b64 exec, exec, s[2:3]
	v_and_b32_e32 v9, 0xffff, v20
	v_and_b32_e32 v20, 0xffff, v22
	v_lshl_or_b32 v9, v21, 16, v9
	v_lshl_or_b32 v20, v23, 16, v20
	v_and_b32_e32 v21, 0xffff, v24
	v_and_b32_e32 v22, 0xffff, v26
	;;#ASMSTART
	v_pk_mul_f16 v7, v9, v7;

	;;#ASMEND
	;;#ASMSTART
	v_pk_mul_f16 v1, v20, v1;

	;;#ASMEND
	v_lshl_or_b32 v21, v25, 16, v21
	v_lshl_or_b32 v22, v27, 16, v22
	;;#ASMSTART
	v_pk_mul_f16 v8, v21, v8;

	;;#ASMEND
	;;#ASMSTART
	v_pk_mul_f16 v9, v22, v30;

	;;#ASMEND
	;;#ASMSTART
	v_pk_add_f16 v1, v7, v1;

	;;#ASMEND
	;;#ASMSTART
	v_pk_add_f16 v1, v1, v8;
	;; [unrolled: 4-line block ×3, first 2 shown]

	;;#ASMEND
	v_lshrrev_b32_e32 v7, 16, v1
	v_and_b32_e32 v1, 0xffff, v1
	;;#ASMSTART
	v_cvt_f32_f16 v1, v1;
	;;#ASMEND
	;;#ASMSTART
	v_cvt_f32_f16 v7, v7;
	;;#ASMEND
	v_add_f32_e32 v1, v1, v7
	v_add_f32_e32 v13, v13, v1
.LBB219_87:                             ;   in Loop: Header=BB219_88 Depth=1
	s_or_b64 exec, exec, s[12:13]
	v_add_co_u32_e32 v5, vcc, 8, v5
	v_add_u32_e32 v10, 2, v10
	v_addc_co_u32_e32 v6, vcc, 0, v6, vcc
	v_cmp_le_i32_e32 vcc, s48, v10
	v_add_u32_e32 v11, 16, v11
	s_or_b64 s[10:11], vcc, s[10:11]
	v_add_u32_e32 v15, 64, v15
	s_andn2_b64 exec, exec, s[10:11]
	s_cbranch_execz .LBB219_139
.LBB219_88:                             ; =>This Inner Loop Header: Depth=1
	v_mul_hi_u32 v1, v11, s33
	v_mul_lo_u32 v7, v1, s27
	v_add_u32_e32 v8, 1, v1
	v_sub_u32_e32 v7, v11, v7
	v_cmp_le_u32_e32 vcc, s27, v7
	v_cndmask_b32_e32 v1, v1, v8, vcc
	v_subrev_u32_e32 v8, s27, v7
	v_cndmask_b32_e32 v7, v7, v8, vcc
	v_add_u32_e32 v8, 1, v1
	v_cmp_le_u32_e32 vcc, s27, v7
	v_cndmask_b32_e32 v1, v1, v8, vcc
	v_xor_b32_e32 v1, s23, v1
	v_subrev_u32_e32 v1, s23, v1
	v_add_u32_e32 v7, s38, v1
	v_sub_u32_e32 v8, 0, v7
	v_max_i32_e32 v8, v7, v8
	v_mul_hi_u32 v9, v8, v14
	v_ashrrev_i32_e32 v7, 31, v7
	v_cmp_lt_i32_e64 s[2:3], s21, v1
	v_mul_lo_u32 v9, v9, s22
	v_sub_u32_e32 v8, v8, v9
	v_subrev_u32_e32 v9, s22, v8
	v_cmp_le_u32_e32 vcc, s22, v8
	v_cndmask_b32_e32 v8, v8, v9, vcc
	v_subrev_u32_e32 v9, s22, v8
	v_cmp_le_u32_e32 vcc, s22, v8
	v_cndmask_b32_e32 v8, v8, v9, vcc
	v_xor_b32_e32 v8, v8, v7
	v_sub_u32_e32 v7, v8, v7
	v_cmp_eq_u32_e32 vcc, 0, v7
	s_or_b64 s[2:3], vcc, s[2:3]
	s_and_saveexec_b64 s[12:13], s[2:3]
	s_cbranch_execz .LBB219_87
; %bb.89:                               ;   in Loop: Header=BB219_88 Depth=1
	ds_read2_b64 v[20:23], v15 offset1:1
	ds_read2_b64 v[24:27], v15 offset0:2 offset1:3
	s_waitcnt lgkmcnt(1)
	;;#ASMSTART
	v_cvt_f16_f32 v20, v20;

	;;#ASMEND
	;;#ASMSTART
	v_cvt_f16_f32 v21, v21;

	;;#ASMEND
	;; [unrolled: 4-line block ×4, first 2 shown]
	s_waitcnt lgkmcnt(0)
	;;#ASMSTART
	v_cvt_f16_f32 v24, v24;

	;;#ASMEND
	;;#ASMSTART
	v_cvt_f16_f32 v25, v25;

	;;#ASMEND
	;; [unrolled: 4-line block ×4, first 2 shown]
	global_load_dword v1, v[5:6], off
	s_waitcnt vmcnt(0)
	v_mad_i64_i32 v[29:30], s[2:3], v1, s36, v[3:4]
	global_load_dwordx2 v[7:8], v[29:30], off
	global_load_dword v28, v2, s[14:15]
	s_mov_b64 s[2:3], 0
	s_waitcnt vmcnt(1)
	v_cmp_gt_i16_sdwa s[16:17], v7, s30 src0_sel:BYTE_0 src1_sel:DWORD
	s_and_saveexec_b64 s[18:19], s[16:17]
	s_xor_b64 s[16:17], exec, s[18:19]
	s_cbranch_execnz .LBB219_115
; %bb.90:                               ;   in Loop: Header=BB219_88 Depth=1
	s_or_saveexec_b64 s[16:17], s[16:17]
	v_mov_b32_e32 v29, 0x8000
	s_xor_b64 exec, exec, s[16:17]
	s_cbranch_execnz .LBB219_118
.LBB219_91:                             ;   in Loop: Header=BB219_88 Depth=1
	s_or_b64 exec, exec, s[16:17]
	s_and_saveexec_b64 s[16:17], s[2:3]
	s_cbranch_execz .LBB219_93
.LBB219_92:                             ;   in Loop: Header=BB219_88 Depth=1
	v_and_b32_e32 v1, 7, v7
	v_ffbh_u32_e32 v9, v1
	v_min_u32_e32 v9, 32, v9
	v_subrev_u32_e32 v29, 28, v9
	v_lshlrev_b64 v[29:30], v29, v[7:8]
	v_and_b32_e32 v30, 0x7f, v7
	v_cmp_gt_u32_e32 vcc, 8, v30
	v_sub_u32_e32 v9, 29, v9
	v_bfe_u32 v31, v7, 3, 4
	v_cndmask_b32_e32 v9, v31, v9, vcc
	v_and_b32_e32 v29, 7, v29
	v_lshl_add_u32 v9, v9, 10, v16
	v_cndmask_b32_e32 v1, v1, v29, vcc
	v_lshlrev_b32_e32 v29, 8, v7
	v_and_b32_e32 v9, 0xfc00, v9
	v_and_or_b32 v9, v29, s35, v9
	v_lshl_or_b32 v1, v1, 7, v9
	v_cmp_ne_u32_e32 vcc, s30, v30
	v_cndmask_b32_e32 v29, v17, v1, vcc
.LBB219_93:                             ;   in Loop: Header=BB219_88 Depth=1
	s_or_b64 exec, exec, s[16:17]
	v_lshrrev_b16_e32 v1, 8, v7
	v_cmp_lt_i16_e32 vcc, s30, v1
	s_mov_b64 s[2:3], 0
	s_and_saveexec_b64 s[16:17], vcc
	s_xor_b64 s[16:17], exec, s[16:17]
	s_cbranch_execnz .LBB219_119
; %bb.94:                               ;   in Loop: Header=BB219_88 Depth=1
	s_or_saveexec_b64 s[16:17], s[16:17]
	v_bfrev_b32_e32 v30, 1
	s_xor_b64 exec, exec, s[16:17]
	s_cbranch_execnz .LBB219_122
.LBB219_95:                             ;   in Loop: Header=BB219_88 Depth=1
	s_or_b64 exec, exec, s[16:17]
	s_and_saveexec_b64 s[16:17], s[2:3]
	s_cbranch_execz .LBB219_97
.LBB219_96:                             ;   in Loop: Header=BB219_88 Depth=1
	v_and_b32_e32 v9, 7, v1
	v_ffbh_u32_e32 v30, v9
	v_min_u32_e32 v34, 32, v30
	v_subrev_u32_e32 v30, 28, v34
	v_and_b32_e32 v32, 0x7f, v1
	v_lshlrev_b64 v[30:31], v30, v[1:2]
	v_bfe_u32 v33, v1, 3, 4
	v_sub_u32_e32 v31, 29, v34
	v_cmp_gt_u32_e32 vcc, 8, v32
	v_cndmask_b32_e32 v31, v33, v31, vcc
	v_lshlrev_b32_e32 v1, 8, v1
	v_lshl_add_u32 v31, v31, 10, v16
	v_and_b32_e32 v30, 7, v30
	v_and_or_b32 v1, v1, s35, v31
	v_cndmask_b32_e32 v9, v9, v30, vcc
	v_lshlrev_b32_e32 v1, 16, v1
	v_lshl_or_b32 v1, v9, 23, v1
	v_cmp_ne_u32_e32 vcc, s30, v32
	v_cndmask_b32_e32 v30, v18, v1, vcc
.LBB219_97:                             ;   in Loop: Header=BB219_88 Depth=1
	s_or_b64 exec, exec, s[16:17]
	v_lshrrev_b32_e32 v9, 16, v7
	v_cmp_gt_i16_sdwa s[16:17], v9, s30 src0_sel:BYTE_0 src1_sel:DWORD
	s_mov_b64 s[2:3], 0
	s_and_saveexec_b64 s[18:19], s[16:17]
	s_xor_b64 s[16:17], exec, s[18:19]
	s_cbranch_execnz .LBB219_123
; %bb.98:                               ;   in Loop: Header=BB219_88 Depth=1
	s_or_saveexec_b64 s[16:17], s[16:17]
	v_mov_b32_e32 v31, 0x8000
	s_xor_b64 exec, exec, s[16:17]
	s_cbranch_execnz .LBB219_126
.LBB219_99:                             ;   in Loop: Header=BB219_88 Depth=1
	s_or_b64 exec, exec, s[16:17]
	s_and_saveexec_b64 s[16:17], s[2:3]
	s_cbranch_execz .LBB219_101
.LBB219_100:                            ;   in Loop: Header=BB219_88 Depth=1
	v_and_b32_e32 v1, 7, v9
	v_ffbh_u32_e32 v31, v1
	v_min_u32_e32 v35, 32, v31
	v_subrev_u32_e32 v31, 28, v35
	v_and_b32_e32 v33, 0x7f, v9
	v_lshlrev_b64 v[31:32], v31, v[9:10]
	v_bfe_u32 v34, v9, 3, 4
	v_sub_u32_e32 v32, 29, v35
	v_cmp_gt_u32_e32 vcc, 8, v33
	v_cndmask_b32_e32 v32, v34, v32, vcc
	v_lshl_add_u32 v32, v32, 10, v16
	v_and_b32_e32 v31, 7, v31
	v_lshlrev_b32_e32 v34, 8, v9
	v_cndmask_b32_e32 v1, v1, v31, vcc
	v_and_b32_e32 v31, 0xfc00, v32
	v_and_or_b32 v31, v34, s35, v31
	v_lshl_or_b32 v1, v1, 7, v31
	v_cmp_ne_u32_e32 vcc, s30, v33
	v_cndmask_b32_e32 v31, v17, v1, vcc
.LBB219_101:                            ;   in Loop: Header=BB219_88 Depth=1
	s_or_b64 exec, exec, s[16:17]
	v_cmp_gt_i16_sdwa s[16:17], v8, s30 src0_sel:BYTE_0 src1_sel:DWORD
	s_mov_b64 s[2:3], 0
	s_and_saveexec_b64 s[18:19], s[16:17]
	s_xor_b64 s[16:17], exec, s[18:19]
	s_cbranch_execnz .LBB219_127
; %bb.102:                              ;   in Loop: Header=BB219_88 Depth=1
	s_or_saveexec_b64 s[16:17], s[16:17]
	v_mov_b32_e32 v32, 0x8000
	s_xor_b64 exec, exec, s[16:17]
	s_cbranch_execnz .LBB219_130
.LBB219_103:                            ;   in Loop: Header=BB219_88 Depth=1
	s_or_b64 exec, exec, s[16:17]
	v_mov_b32_e32 v1, v8
	s_and_saveexec_b64 s[16:17], s[2:3]
	s_cbranch_execz .LBB219_105
.LBB219_104:                            ;   in Loop: Header=BB219_88 Depth=1
	v_and_b32_e32 v34, 7, v8
	v_ffbh_u32_e32 v32, v34
	v_min_u32_e32 v37, 32, v32
	v_subrev_u32_e32 v32, 28, v37
	v_and_b32_e32 v35, 0x7f, v8
	v_lshlrev_b64 v[32:33], v32, v[1:2]
	v_bfe_u32 v36, v8, 3, 4
	v_sub_u32_e32 v33, 29, v37
	v_cmp_gt_u32_e32 vcc, 8, v35
	v_cndmask_b32_e32 v33, v36, v33, vcc
	v_lshl_add_u32 v33, v33, 10, v16
	v_lshlrev_b32_e32 v36, 8, v8
	v_and_b32_e32 v32, 7, v32
	v_and_b32_e32 v33, 0xfc00, v33
	v_cndmask_b32_e32 v32, v34, v32, vcc
	v_and_or_b32 v33, v36, s35, v33
	v_lshl_or_b32 v32, v32, 7, v33
	v_cmp_ne_u32_e32 vcc, s30, v35
	v_cndmask_b32_e32 v32, v17, v32, vcc
.LBB219_105:                            ;   in Loop: Header=BB219_88 Depth=1
	s_or_b64 exec, exec, s[16:17]
	v_lshrrev_b16_e32 v1, 8, v1
	v_cmp_lt_i16_e32 vcc, s30, v1
	s_mov_b64 s[2:3], 0
	s_and_saveexec_b64 s[16:17], vcc
	s_xor_b64 s[16:17], exec, s[16:17]
	s_cbranch_execnz .LBB219_131
; %bb.106:                              ;   in Loop: Header=BB219_88 Depth=1
	s_or_saveexec_b64 s[16:17], s[16:17]
	v_bfrev_b32_e32 v33, 1
	s_xor_b64 exec, exec, s[16:17]
	s_cbranch_execnz .LBB219_134
.LBB219_107:                            ;   in Loop: Header=BB219_88 Depth=1
	s_or_b64 exec, exec, s[16:17]
	s_and_saveexec_b64 s[16:17], s[2:3]
	s_cbranch_execz .LBB219_109
.LBB219_108:                            ;   in Loop: Header=BB219_88 Depth=1
	v_and_b32_e32 v35, 7, v1
	v_ffbh_u32_e32 v33, v35
	v_min_u32_e32 v38, 32, v33
	v_subrev_u32_e32 v33, 28, v38
	v_and_b32_e32 v36, 0x7f, v1
	v_lshlrev_b64 v[33:34], v33, v[1:2]
	v_bfe_u32 v37, v1, 3, 4
	v_sub_u32_e32 v34, 29, v38
	v_cmp_gt_u32_e32 vcc, 8, v36
	v_cndmask_b32_e32 v34, v37, v34, vcc
	v_lshlrev_b32_e32 v1, 8, v1
	v_lshl_add_u32 v34, v34, 10, v16
	v_and_b32_e32 v33, 7, v33
	v_and_or_b32 v1, v1, s35, v34
	v_cndmask_b32_e32 v33, v35, v33, vcc
	v_lshlrev_b32_e32 v1, 16, v1
	v_lshl_or_b32 v1, v33, 23, v1
	v_cmp_ne_u32_e32 vcc, s30, v36
	v_cndmask_b32_e32 v33, v18, v1, vcc
.LBB219_109:                            ;   in Loop: Header=BB219_88 Depth=1
	s_or_b64 exec, exec, s[16:17]
	v_lshrrev_b32_e32 v1, 16, v8
	v_cmp_gt_i16_sdwa s[16:17], v1, s30 src0_sel:BYTE_0 src1_sel:DWORD
	s_mov_b64 s[2:3], 0
	s_and_saveexec_b64 s[18:19], s[16:17]
	s_xor_b64 s[16:17], exec, s[18:19]
	s_cbranch_execnz .LBB219_135
; %bb.110:                              ;   in Loop: Header=BB219_88 Depth=1
	s_or_saveexec_b64 s[16:17], s[16:17]
	v_mov_b32_e32 v34, 0x8000
	s_xor_b64 exec, exec, s[16:17]
	s_cbranch_execnz .LBB219_138
.LBB219_111:                            ;   in Loop: Header=BB219_88 Depth=1
	s_or_b64 exec, exec, s[16:17]
	s_and_saveexec_b64 s[16:17], s[2:3]
	s_cbranch_execz .LBB219_113
.LBB219_112:                            ;   in Loop: Header=BB219_88 Depth=1
	v_and_b32_e32 v36, 7, v1
	v_ffbh_u32_e32 v34, v36
	v_min_u32_e32 v39, 32, v34
	v_subrev_u32_e32 v34, 28, v39
	v_and_b32_e32 v37, 0x7f, v1
	v_lshlrev_b64 v[34:35], v34, v[1:2]
	v_bfe_u32 v38, v1, 3, 4
	v_sub_u32_e32 v35, 29, v39
	v_cmp_gt_u32_e32 vcc, 8, v37
	v_cndmask_b32_e32 v35, v38, v35, vcc
	v_lshl_add_u32 v35, v35, 10, v16
	v_lshlrev_b32_e32 v38, 8, v1
	v_and_b32_e32 v34, 7, v34
	v_and_b32_e32 v35, 0xfc00, v35
	v_cndmask_b32_e32 v34, v36, v34, vcc
	v_and_or_b32 v35, v38, s35, v35
	v_lshl_or_b32 v34, v34, 7, v35
	v_cmp_ne_u32_e32 vcc, s30, v37
	v_cndmask_b32_e32 v34, v17, v34, vcc
.LBB219_113:                            ;   in Loop: Header=BB219_88 Depth=1
	s_or_b64 exec, exec, s[16:17]
	v_bfe_u32 v38, v7, 24, 3
	v_ffbh_u32_e32 v36, v38
	v_min_u32_e32 v41, 32, v36
	v_lshrrev_b32_e32 v35, 24, v7
	v_subrev_u32_e32 v36, 28, v41
	v_bfe_u32 v39, v7, 24, 7
	v_lshlrev_b64 v[36:37], v36, v[35:36]
	v_bfe_u32 v40, v35, 3, 4
	v_sub_u32_e32 v37, 29, v41
	v_cmp_gt_u32_e32 vcc, 8, v39
	v_cndmask_b32_e32 v37, v40, v37, vcc
	v_lshl_add_u32 v37, v37, 10, v16
	v_and_b32_e32 v36, 7, v36
	v_and_or_b32 v9, v9, s35, v37
	v_cndmask_b32_e32 v36, v38, v36, vcc
	v_lshlrev_b32_e32 v9, 16, v9
	v_lshl_or_b32 v9, v36, 23, v9
	v_cmp_ne_u32_e32 vcc, s30, v39
	v_bfe_u32 v38, v8, 24, 3
	v_cndmask_b32_e32 v9, v18, v9, vcc
	v_cmp_ne_u32_e32 vcc, s31, v35
	v_ffbh_u32_e32 v35, v38
	v_cndmask_b32_e32 v9, v19, v9, vcc
	v_cmp_lt_u32_e32 vcc, s7, v7
	v_min_u32_e32 v41, 32, v35
	v_cndmask_b32_e32 v37, 0, v9, vcc
	v_lshrrev_b32_e32 v9, 24, v8
	v_subrev_u32_e32 v35, 28, v41
	v_bfe_u32 v39, v8, 24, 7
	v_lshlrev_b64 v[35:36], v35, v[9:10]
	v_bfe_u32 v40, v9, 3, 4
	v_sub_u32_e32 v36, 29, v41
	v_cmp_gt_u32_e32 vcc, 8, v39
	v_cndmask_b32_e32 v36, v40, v36, vcc
	v_lshl_add_u32 v36, v36, 10, v16
	v_and_b32_e32 v35, 7, v35
	v_and_or_b32 v1, v1, s35, v36
	v_cndmask_b32_e32 v35, v38, v35, vcc
	v_lshlrev_b32_e32 v1, 16, v1
	v_lshl_or_b32 v1, v35, 23, v1
	v_cmp_ne_u32_e64 s[2:3], s30, v39
	v_cndmask_b32_e64 v1, v18, v1, s[2:3]
	v_cmp_ne_u32_e64 s[2:3], s31, v9
	v_cndmask_b32_e64 v1, v19, v1, s[2:3]
	v_cmp_lt_u64_e64 s[2:3], s[6:7], v[7:8]
	s_waitcnt vmcnt(0)
	v_fma_mixlo_f16 v7, v28, v37, 0 op_sel:[0,1,0] op_sel_hi:[0,1,0]
	v_cndmask_b32_e64 v38, 0, v1, s[2:3]
	v_fma_mixlo_f16 v8, v28, v30, 0 op_sel:[0,1,0] op_sel_hi:[0,1,0]
	v_or_b32_e32 v1, v31, v37
	v_lshlrev_b32_e32 v9, 16, v7
	v_or_b32_e32 v7, v30, v29
	v_lshlrev_b32_e32 v35, 16, v8
	v_or_b32_e32 v8, v33, v32
	v_or_b32_e32 v30, v34, v38
	v_fma_mixlo_f16 v1, v28, v1, 0 op_sel_hi:[0,1,0]
	v_fma_mixlo_f16 v7, v28, v7, 0 op_sel_hi:[0,1,0]
	v_fma_mixlo_f16 v29, v28, v33, 0 op_sel:[0,1,0] op_sel_hi:[0,1,0]
	v_fma_mixlo_f16 v8, v28, v8, 0 op_sel_hi:[0,1,0]
	v_fma_mixlo_f16 v30, v28, v30, 0 op_sel_hi:[0,1,0]
	v_fma_mixlo_f16 v28, v28, v38, 0 op_sel:[0,1,0] op_sel_hi:[0,1,0]
	v_and_b32_e32 v31, 0xffff, v1
	v_and_b32_e32 v36, 0xffff, v7
	v_lshlrev_b32_e32 v29, 16, v29
	v_and_b32_e32 v33, 0xffff, v8
	v_lshlrev_b32_e32 v28, 16, v28
	v_and_b32_e32 v32, 0xffff, v30
	v_cmp_eq_u32_e32 vcc, s37, v10
	v_or_b32_e32 v1, v9, v31
	v_or_b32_e32 v7, v35, v36
	;; [unrolled: 1-line block ×4, first 2 shown]
	s_and_saveexec_b64 s[2:3], vcc
	s_cbranch_execz .LBB219_86
; %bb.114:                              ;   in Loop: Header=BB219_88 Depth=1
	v_cmp_gt_i32_e32 vcc, s25, v11
	v_add_u32_e32 v7, 1, v11
	v_cndmask_b32_e32 v1, 0, v36, vcc
	v_cmp_gt_i32_e32 vcc, s25, v7
	v_cndmask_b32_e32 v7, 0, v35, vcc
	v_or_b32_e32 v7, v7, v1
	v_add_u32_e32 v1, 2, v11
	v_cmp_gt_i32_e32 vcc, s25, v1
	v_add_u32_e32 v8, 3, v11
	v_cndmask_b32_e32 v1, 0, v31, vcc
	v_cmp_gt_i32_e32 vcc, s25, v8
	v_cndmask_b32_e32 v8, 0, v9, vcc
	v_or_b32_e32 v1, v8, v1
	v_add_u32_e32 v8, 4, v11
	;; [unrolled: 7-line block ×3, first 2 shown]
	v_cmp_gt_i32_e32 vcc, s25, v9
	v_add_u32_e32 v29, 7, v11
	v_cndmask_b32_e32 v9, 0, v32, vcc
	v_cmp_gt_i32_e32 vcc, s25, v29
	v_cndmask_b32_e32 v28, 0, v28, vcc
	v_or_b32_e32 v30, v28, v9
	s_branch .LBB219_86
.LBB219_115:                            ;   in Loop: Header=BB219_88 Depth=1
	v_cmp_eq_u16_sdwa s[40:41], v7, s31 src0_sel:BYTE_0 src1_sel:DWORD
	s_mov_b64 s[2:3], -1
	s_and_saveexec_b64 s[18:19], s[40:41]
; %bb.116:                              ;   in Loop: Header=BB219_88 Depth=1
	s_xor_b64 s[2:3], exec, -1
; %bb.117:                              ;   in Loop: Header=BB219_88 Depth=1
	s_or_b64 exec, exec, s[18:19]
	s_and_b64 s[2:3], s[2:3], exec
	s_or_saveexec_b64 s[16:17], s[16:17]
	v_mov_b32_e32 v29, 0x8000
	s_xor_b64 exec, exec, s[16:17]
	s_cbranch_execz .LBB219_91
.LBB219_118:                            ;   in Loop: Header=BB219_88 Depth=1
	v_cmp_ne_u16_sdwa s[18:19], v7, v2 src0_sel:BYTE_0 src1_sel:DWORD
	s_andn2_b64 s[2:3], s[2:3], exec
	s_and_b64 s[18:19], s[18:19], exec
	v_and_b32_sdwa v29, s34, v7 dst_sel:DWORD dst_unused:UNUSED_PAD src0_sel:DWORD src1_sel:BYTE_0
	s_or_b64 s[2:3], s[2:3], s[18:19]
	s_or_b64 exec, exec, s[16:17]
	s_and_saveexec_b64 s[16:17], s[2:3]
	s_cbranch_execnz .LBB219_92
	s_branch .LBB219_93
.LBB219_119:                            ;   in Loop: Header=BB219_88 Depth=1
	v_cmp_eq_u16_e32 vcc, s31, v1
	s_mov_b64 s[2:3], -1
	s_and_saveexec_b64 s[18:19], vcc
; %bb.120:                              ;   in Loop: Header=BB219_88 Depth=1
	s_xor_b64 s[2:3], exec, -1
; %bb.121:                              ;   in Loop: Header=BB219_88 Depth=1
	s_or_b64 exec, exec, s[18:19]
	s_and_b64 s[2:3], s[2:3], exec
	s_or_saveexec_b64 s[16:17], s[16:17]
	v_bfrev_b32_e32 v30, 1
	s_xor_b64 exec, exec, s[16:17]
	s_cbranch_execz .LBB219_95
.LBB219_122:                            ;   in Loop: Header=BB219_88 Depth=1
	v_cmp_ne_u16_e32 vcc, 0, v1
	s_andn2_b64 s[2:3], s[2:3], exec
	s_and_b64 s[18:19], vcc, exec
	s_or_b64 s[2:3], s[2:3], s[18:19]
	v_mov_b32_e32 v30, v1
	s_or_b64 exec, exec, s[16:17]
	s_and_saveexec_b64 s[16:17], s[2:3]
	s_cbranch_execnz .LBB219_96
	s_branch .LBB219_97
.LBB219_123:                            ;   in Loop: Header=BB219_88 Depth=1
	v_cmp_eq_u16_sdwa s[40:41], v9, s31 src0_sel:BYTE_0 src1_sel:DWORD
	s_mov_b64 s[2:3], -1
	s_and_saveexec_b64 s[18:19], s[40:41]
; %bb.124:                              ;   in Loop: Header=BB219_88 Depth=1
	s_xor_b64 s[2:3], exec, -1
; %bb.125:                              ;   in Loop: Header=BB219_88 Depth=1
	s_or_b64 exec, exec, s[18:19]
	s_and_b64 s[2:3], s[2:3], exec
	s_or_saveexec_b64 s[16:17], s[16:17]
	v_mov_b32_e32 v31, 0x8000
	s_xor_b64 exec, exec, s[16:17]
	s_cbranch_execz .LBB219_99
.LBB219_126:                            ;   in Loop: Header=BB219_88 Depth=1
	v_cmp_ne_u16_sdwa s[18:19], v9, v2 src0_sel:BYTE_0 src1_sel:DWORD
	s_andn2_b64 s[2:3], s[2:3], exec
	s_and_b64 s[18:19], s[18:19], exec
	v_and_b32_sdwa v31, s34, v9 dst_sel:DWORD dst_unused:UNUSED_PAD src0_sel:DWORD src1_sel:BYTE_0
	s_or_b64 s[2:3], s[2:3], s[18:19]
	s_or_b64 exec, exec, s[16:17]
	s_and_saveexec_b64 s[16:17], s[2:3]
	s_cbranch_execnz .LBB219_100
	s_branch .LBB219_101
.LBB219_127:                            ;   in Loop: Header=BB219_88 Depth=1
	v_cmp_eq_u16_sdwa s[40:41], v8, s31 src0_sel:BYTE_0 src1_sel:DWORD
	s_mov_b64 s[2:3], -1
	s_and_saveexec_b64 s[18:19], s[40:41]
; %bb.128:                              ;   in Loop: Header=BB219_88 Depth=1
	s_xor_b64 s[2:3], exec, -1
; %bb.129:                              ;   in Loop: Header=BB219_88 Depth=1
	s_or_b64 exec, exec, s[18:19]
	s_and_b64 s[2:3], s[2:3], exec
	s_or_saveexec_b64 s[16:17], s[16:17]
	v_mov_b32_e32 v32, 0x8000
	s_xor_b64 exec, exec, s[16:17]
	s_cbranch_execz .LBB219_103
.LBB219_130:                            ;   in Loop: Header=BB219_88 Depth=1
	v_cmp_ne_u16_sdwa s[18:19], v8, v2 src0_sel:BYTE_0 src1_sel:DWORD
	s_andn2_b64 s[2:3], s[2:3], exec
	s_and_b64 s[18:19], s[18:19], exec
	v_and_b32_sdwa v32, s34, v8 dst_sel:DWORD dst_unused:UNUSED_PAD src0_sel:DWORD src1_sel:BYTE_0
	s_or_b64 s[2:3], s[2:3], s[18:19]
	s_or_b64 exec, exec, s[16:17]
	v_mov_b32_e32 v1, v8
	s_and_saveexec_b64 s[16:17], s[2:3]
	s_cbranch_execnz .LBB219_104
	s_branch .LBB219_105
.LBB219_131:                            ;   in Loop: Header=BB219_88 Depth=1
	v_cmp_eq_u16_e32 vcc, s31, v1
	s_mov_b64 s[2:3], -1
	s_and_saveexec_b64 s[18:19], vcc
; %bb.132:                              ;   in Loop: Header=BB219_88 Depth=1
	s_xor_b64 s[2:3], exec, -1
; %bb.133:                              ;   in Loop: Header=BB219_88 Depth=1
	s_or_b64 exec, exec, s[18:19]
	s_and_b64 s[2:3], s[2:3], exec
	s_or_saveexec_b64 s[16:17], s[16:17]
	v_bfrev_b32_e32 v33, 1
	s_xor_b64 exec, exec, s[16:17]
	s_cbranch_execz .LBB219_107
.LBB219_134:                            ;   in Loop: Header=BB219_88 Depth=1
	v_cmp_ne_u16_e32 vcc, 0, v1
	s_andn2_b64 s[2:3], s[2:3], exec
	s_and_b64 s[18:19], vcc, exec
	s_or_b64 s[2:3], s[2:3], s[18:19]
	v_mov_b32_e32 v33, v1
	s_or_b64 exec, exec, s[16:17]
	s_and_saveexec_b64 s[16:17], s[2:3]
	s_cbranch_execnz .LBB219_108
	s_branch .LBB219_109
.LBB219_135:                            ;   in Loop: Header=BB219_88 Depth=1
	v_cmp_eq_u16_sdwa s[40:41], v1, s31 src0_sel:BYTE_0 src1_sel:DWORD
	s_mov_b64 s[2:3], -1
	s_and_saveexec_b64 s[18:19], s[40:41]
; %bb.136:                              ;   in Loop: Header=BB219_88 Depth=1
	s_xor_b64 s[2:3], exec, -1
; %bb.137:                              ;   in Loop: Header=BB219_88 Depth=1
	s_or_b64 exec, exec, s[18:19]
	s_and_b64 s[2:3], s[2:3], exec
	s_or_saveexec_b64 s[16:17], s[16:17]
	v_mov_b32_e32 v34, 0x8000
	s_xor_b64 exec, exec, s[16:17]
	s_cbranch_execz .LBB219_111
.LBB219_138:                            ;   in Loop: Header=BB219_88 Depth=1
	v_cmp_ne_u16_sdwa s[18:19], v1, v2 src0_sel:BYTE_0 src1_sel:DWORD
	s_andn2_b64 s[2:3], s[2:3], exec
	s_and_b64 s[18:19], s[18:19], exec
	v_and_b32_sdwa v34, s34, v1 dst_sel:DWORD dst_unused:UNUSED_PAD src0_sel:DWORD src1_sel:BYTE_0
	s_or_b64 s[2:3], s[2:3], s[18:19]
	s_or_b64 exec, exec, s[16:17]
	s_and_saveexec_b64 s[16:17], s[2:3]
	s_cbranch_execnz .LBB219_112
	s_branch .LBB219_113
.LBB219_139:
	s_or_b64 exec, exec, s[10:11]
.LBB219_140:
	s_or_b64 exec, exec, s[4:5]
	v_and_b32_e32 v0, 0x3c0, v0
	v_cmp_eq_u32_e32 vcc, 64, v0
	v_mov_b32_e32 v0, 0x90
	v_lshl_add_u32 v0, v12, 2, v0
	s_barrier
	s_and_saveexec_b64 s[2:3], vcc
; %bb.141:
	ds_write_b32 v0, v13
; %bb.142:
	s_or_b64 exec, exec, s[2:3]
	s_waitcnt lgkmcnt(0)
	s_barrier
	s_and_saveexec_b64 s[2:3], s[0:1]
	s_cbranch_execz .LBB219_144
; %bb.143:
	ds_read_b32 v0, v0
	s_waitcnt lgkmcnt(0)
	v_add_f32_e32 v13, v13, v0
.LBB219_144:
	s_or_b64 exec, exec, s[2:3]
	s_barrier
	s_and_saveexec_b64 s[2:3], s[0:1]
	s_cbranch_execz .LBB219_146
; %bb.145:
	s_mul_i32 s0, s24, s20
	s_mul_i32 s0, s0, s9
	s_lshl_b32 s0, s0, 6
	s_ashr_i32 s1, s0, 31
	s_lshl_b64 s[0:1], s[0:1], 1
	s_add_u32 s2, s28, s0
	s_mul_i32 s0, s20, s26
	s_addc_u32 s3, s29, s1
	s_ashr_i32 s1, s0, 31
	s_lshl_b64 s[0:1], s[0:1], 1
	s_add_u32 s2, s2, s0
	s_addc_u32 s3, s3, s1
	s_lshl_b32 s0, s8, 6
	s_ashr_i32 s1, s0, 31
	s_lshl_b64 s[0:1], s[0:1], 1
	s_add_u32 s0, s2, s0
	s_addc_u32 s1, s3, s1
	v_lshlrev_b32_e32 v0, 1, v12
	;;#ASMSTART
	v_cvt_f16_f32 v1, v13;

	;;#ASMEND
	global_store_short v0, v1, s[0:1]
.LBB219_146:
	s_endpgm
	.section	.rodata,"a",@progbits
	.p2align	6, 0x0
	.amdhsa_kernel _ZN4vllm25paged_attention_v1_kernelIthLi64ELi8ELi128ELNS_18Fp8KVCacheDataTypeE1ELb1EEEvPT_PKS2_PKT0_S8_ifPKiSA_iPKfiiiSC_SC_iiiii
		.amdhsa_group_segment_fixed_size 144
		.amdhsa_private_segment_fixed_size 0
		.amdhsa_kernarg_size 384
		.amdhsa_user_sgpr_count 6
		.amdhsa_user_sgpr_private_segment_buffer 1
		.amdhsa_user_sgpr_dispatch_ptr 0
		.amdhsa_user_sgpr_queue_ptr 0
		.amdhsa_user_sgpr_kernarg_segment_ptr 1
		.amdhsa_user_sgpr_dispatch_id 0
		.amdhsa_user_sgpr_flat_scratch_init 0
		.amdhsa_user_sgpr_private_segment_size 0
		.amdhsa_uses_dynamic_stack 0
		.amdhsa_system_sgpr_private_segment_wavefront_offset 0
		.amdhsa_system_sgpr_workgroup_id_x 1
		.amdhsa_system_sgpr_workgroup_id_y 1
		.amdhsa_system_sgpr_workgroup_id_z 1
		.amdhsa_system_sgpr_workgroup_info 0
		.amdhsa_system_vgpr_workitem_id 0
		.amdhsa_next_free_vgpr 42
		.amdhsa_next_free_sgpr 56
		.amdhsa_reserve_vcc 1
		.amdhsa_reserve_flat_scratch 0
		.amdhsa_float_round_mode_32 0
		.amdhsa_float_round_mode_16_64 0
		.amdhsa_float_denorm_mode_32 3
		.amdhsa_float_denorm_mode_16_64 3
		.amdhsa_dx10_clamp 1
		.amdhsa_ieee_mode 1
		.amdhsa_fp16_overflow 0
		.amdhsa_exception_fp_ieee_invalid_op 0
		.amdhsa_exception_fp_denorm_src 0
		.amdhsa_exception_fp_ieee_div_zero 0
		.amdhsa_exception_fp_ieee_overflow 0
		.amdhsa_exception_fp_ieee_underflow 0
		.amdhsa_exception_fp_ieee_inexact 0
		.amdhsa_exception_int_div_zero 0
	.end_amdhsa_kernel
	.section	.text._ZN4vllm25paged_attention_v1_kernelIthLi64ELi8ELi128ELNS_18Fp8KVCacheDataTypeE1ELb1EEEvPT_PKS2_PKT0_S8_ifPKiSA_iPKfiiiSC_SC_iiiii,"axG",@progbits,_ZN4vllm25paged_attention_v1_kernelIthLi64ELi8ELi128ELNS_18Fp8KVCacheDataTypeE1ELb1EEEvPT_PKS2_PKT0_S8_ifPKiSA_iPKfiiiSC_SC_iiiii,comdat
.Lfunc_end219:
	.size	_ZN4vllm25paged_attention_v1_kernelIthLi64ELi8ELi128ELNS_18Fp8KVCacheDataTypeE1ELb1EEEvPT_PKS2_PKT0_S8_ifPKiSA_iPKfiiiSC_SC_iiiii, .Lfunc_end219-_ZN4vllm25paged_attention_v1_kernelIthLi64ELi8ELi128ELNS_18Fp8KVCacheDataTypeE1ELb1EEEvPT_PKS2_PKT0_S8_ifPKiSA_iPKfiiiSC_SC_iiiii
                                        ; -- End function
	.set _ZN4vllm25paged_attention_v1_kernelIthLi64ELi8ELi128ELNS_18Fp8KVCacheDataTypeE1ELb1EEEvPT_PKS2_PKT0_S8_ifPKiSA_iPKfiiiSC_SC_iiiii.num_vgpr, 42
	.set _ZN4vllm25paged_attention_v1_kernelIthLi64ELi8ELi128ELNS_18Fp8KVCacheDataTypeE1ELb1EEEvPT_PKS2_PKT0_S8_ifPKiSA_iPKfiiiSC_SC_iiiii.num_agpr, 0
	.set _ZN4vllm25paged_attention_v1_kernelIthLi64ELi8ELi128ELNS_18Fp8KVCacheDataTypeE1ELb1EEEvPT_PKS2_PKT0_S8_ifPKiSA_iPKfiiiSC_SC_iiiii.numbered_sgpr, 56
	.set _ZN4vllm25paged_attention_v1_kernelIthLi64ELi8ELi128ELNS_18Fp8KVCacheDataTypeE1ELb1EEEvPT_PKS2_PKT0_S8_ifPKiSA_iPKfiiiSC_SC_iiiii.num_named_barrier, 0
	.set _ZN4vllm25paged_attention_v1_kernelIthLi64ELi8ELi128ELNS_18Fp8KVCacheDataTypeE1ELb1EEEvPT_PKS2_PKT0_S8_ifPKiSA_iPKfiiiSC_SC_iiiii.private_seg_size, 0
	.set _ZN4vllm25paged_attention_v1_kernelIthLi64ELi8ELi128ELNS_18Fp8KVCacheDataTypeE1ELb1EEEvPT_PKS2_PKT0_S8_ifPKiSA_iPKfiiiSC_SC_iiiii.uses_vcc, 1
	.set _ZN4vllm25paged_attention_v1_kernelIthLi64ELi8ELi128ELNS_18Fp8KVCacheDataTypeE1ELb1EEEvPT_PKS2_PKT0_S8_ifPKiSA_iPKfiiiSC_SC_iiiii.uses_flat_scratch, 0
	.set _ZN4vllm25paged_attention_v1_kernelIthLi64ELi8ELi128ELNS_18Fp8KVCacheDataTypeE1ELb1EEEvPT_PKS2_PKT0_S8_ifPKiSA_iPKfiiiSC_SC_iiiii.has_dyn_sized_stack, 0
	.set _ZN4vllm25paged_attention_v1_kernelIthLi64ELi8ELi128ELNS_18Fp8KVCacheDataTypeE1ELb1EEEvPT_PKS2_PKT0_S8_ifPKiSA_iPKfiiiSC_SC_iiiii.has_recursion, 0
	.set _ZN4vllm25paged_attention_v1_kernelIthLi64ELi8ELi128ELNS_18Fp8KVCacheDataTypeE1ELb1EEEvPT_PKS2_PKT0_S8_ifPKiSA_iPKfiiiSC_SC_iiiii.has_indirect_call, 0
	.section	.AMDGPU.csdata,"",@progbits
; Kernel info:
; codeLenInByte = 7284
; TotalNumSgprs: 60
; NumVgprs: 42
; ScratchSize: 0
; MemoryBound: 0
; FloatMode: 240
; IeeeMode: 1
; LDSByteSize: 144 bytes/workgroup (compile time only)
; SGPRBlocks: 7
; VGPRBlocks: 10
; NumSGPRsForWavesPerEU: 60
; NumVGPRsForWavesPerEU: 42
; Occupancy: 5
; WaveLimiterHint : 1
; COMPUTE_PGM_RSRC2:SCRATCH_EN: 0
; COMPUTE_PGM_RSRC2:USER_SGPR: 6
; COMPUTE_PGM_RSRC2:TRAP_HANDLER: 0
; COMPUTE_PGM_RSRC2:TGID_X_EN: 1
; COMPUTE_PGM_RSRC2:TGID_Y_EN: 1
; COMPUTE_PGM_RSRC2:TGID_Z_EN: 1
; COMPUTE_PGM_RSRC2:TIDIG_COMP_CNT: 0
	.section	.text._ZN4vllm25paged_attention_v1_kernelIthLi80ELi8ELi128ELNS_18Fp8KVCacheDataTypeE1ELb1EEEvPT_PKS2_PKT0_S8_ifPKiSA_iPKfiiiSC_SC_iiiii,"axG",@progbits,_ZN4vllm25paged_attention_v1_kernelIthLi80ELi8ELi128ELNS_18Fp8KVCacheDataTypeE1ELb1EEEvPT_PKS2_PKT0_S8_ifPKiSA_iPKfiiiSC_SC_iiiii,comdat
	.protected	_ZN4vllm25paged_attention_v1_kernelIthLi80ELi8ELi128ELNS_18Fp8KVCacheDataTypeE1ELb1EEEvPT_PKS2_PKT0_S8_ifPKiSA_iPKfiiiSC_SC_iiiii ; -- Begin function _ZN4vllm25paged_attention_v1_kernelIthLi80ELi8ELi128ELNS_18Fp8KVCacheDataTypeE1ELb1EEEvPT_PKS2_PKT0_S8_ifPKiSA_iPKfiiiSC_SC_iiiii
	.globl	_ZN4vllm25paged_attention_v1_kernelIthLi80ELi8ELi128ELNS_18Fp8KVCacheDataTypeE1ELb1EEEvPT_PKS2_PKT0_S8_ifPKiSA_iPKfiiiSC_SC_iiiii
	.p2align	8
	.type	_ZN4vllm25paged_attention_v1_kernelIthLi80ELi8ELi128ELNS_18Fp8KVCacheDataTypeE1ELb1EEEvPT_PKS2_PKT0_S8_ifPKiSA_iPKfiiiSC_SC_iiiii,@function
_ZN4vllm25paged_attention_v1_kernelIthLi80ELi8ELi128ELNS_18Fp8KVCacheDataTypeE1ELb1EEEvPT_PKS2_PKT0_S8_ifPKiSA_iPKfiiiSC_SC_iiiii: ; @_ZN4vllm25paged_attention_v1_kernelIthLi80ELi8ELi128ELNS_18Fp8KVCacheDataTypeE1ELb1EEEvPT_PKS2_PKT0_S8_ifPKiSA_iPKfiiiSC_SC_iiiii
; %bb.0:
	s_load_dword s9, s[4:5], 0x80
	s_load_dwordx2 s[0:1], s[4:5], 0x30
	s_load_dwordx2 s[38:39], s[4:5], 0x20
	s_mov_b32 s24, s7
	s_ashr_i32 s25, s7, 31
	s_lshl_b64 s[2:3], s[24:25], 2
	s_waitcnt lgkmcnt(0)
	s_add_u32 s0, s0, s2
	s_addc_u32 s1, s1, s3
	s_abs_i32 s2, s38
	v_cvt_f32_u32_e32 v1, s2
	s_sub_i32 s10, 0, s2
	s_abs_i32 s7, s9
	s_xor_b32 s3, s9, s38
	v_rcp_iflag_f32_e32 v1, v1
	s_ashr_i32 s3, s3, 31
	s_mov_b32 s51, 0
	v_mul_f32_e32 v1, 0x4f7ffffe, v1
	v_cvt_u32_f32_e32 v1, v1
	v_readfirstlane_b32 s11, v1
	s_mul_i32 s10, s10, s11
	s_mul_hi_u32 s10, s11, s10
	s_add_i32 s11, s11, s10
	s_mul_hi_u32 s10, s7, s11
	s_mul_i32 s11, s10, s2
	s_sub_i32 s7, s7, s11
	s_add_i32 s11, s10, 1
	s_sub_i32 s12, s7, s2
	s_cmp_ge_u32 s7, s2
	s_cselect_b32 s10, s11, s10
	s_cselect_b32 s7, s12, s7
	s_add_i32 s11, s10, 1
	s_cmp_ge_u32 s7, s2
	s_cselect_b32 s2, s11, s10
	s_xor_b32 s2, s2, s3
	s_sub_i32 s11, s2, s3
	s_abs_i32 s10, s11
	v_cvt_f32_u32_e32 v1, s10
	s_load_dwordx2 s[2:3], s[4:5], 0x40
	s_sub_i32 s7, 0, s10
	s_abs_i32 s12, s6
	v_rcp_iflag_f32_e32 v1, v1
	v_mul_f32_e32 v1, 0x4f7ffffe, v1
	v_cvt_u32_f32_e32 v1, v1
	v_readfirstlane_b32 s13, v1
	s_mul_i32 s7, s7, s13
	s_mul_hi_u32 s7, s13, s7
	s_add_i32 s13, s13, s7
	s_waitcnt lgkmcnt(0)
	s_cmp_eq_u64 s[2:3], 0
	s_mul_hi_u32 s13, s12, s13
	s_cbranch_scc1 .LBB220_2
; %bb.1:
	s_ashr_i32 s7, s6, 31
	s_lshl_b64 s[14:15], s[6:7], 2
	s_add_u32 s2, s2, s14
	s_addc_u32 s3, s3, s15
	s_load_dword s51, s[2:3], 0x0
.LBB220_2:
	s_load_dword s25, s[0:1], 0x0
	s_load_dwordx4 s[16:19], s[4:5], 0x48
	s_movk_i32 s0, 0x50
	s_ashr_i32 s7, s6, 31
	s_ashr_i32 s14, s11, 31
	v_and_b32_e32 v1, 7, v0
	s_mul_i32 s26, s6, 0x50
	v_cmp_gt_u32_e64 s[0:1], s0, v0
	v_lshlrev_b32_e32 v9, 1, v0
	s_and_saveexec_b64 s[2:3], s[0:1]
	s_cbranch_execz .LBB220_4
; %bb.3:
	s_load_dwordx2 s[20:21], s[4:5], 0x8
	s_waitcnt lgkmcnt(0)
	s_mul_i32 s22, s16, s24
	s_ashr_i32 s23, s22, 31
	s_lshl_b64 s[22:23], s[22:23], 1
	v_lshrrev_b32_e32 v3, 2, v0
	s_add_u32 s11, s20, s22
	s_addc_u32 s15, s21, s23
	s_ashr_i32 s27, s26, 31
	s_lshl_b64 s[20:21], s[26:27], 1
	s_add_u32 s20, s11, s20
	s_addc_u32 s21, s15, s21
	global_load_ushort v2, v9, s[20:21]
	v_and_b32_e32 v3, 0xfe, v3
	v_mad_u32_u24 v3, v1, 20, v3
	s_waitcnt vmcnt(0)
	ds_write_b16 v3, v2
.LBB220_4:
	s_or_b64 exec, exec, s[2:3]
	s_mul_i32 s3, s13, s10
	s_sub_i32 s3, s12, s3
	s_xor_b32 s2, s7, s14
	s_add_i32 s7, s13, 1
	s_sub_i32 s12, s3, s10
	s_load_dwordx4 s[20:23], s[4:5], 0x68
	s_load_dword s11, s[4:5], 0x78
	s_cmp_ge_u32 s3, s10
	s_cselect_b32 s7, s7, s13
	s_cselect_b32 s3, s12, s3
	s_add_i32 s12, s7, 1
	s_cmp_ge_u32 s3, s10
	s_cselect_b32 s3, s12, s7
	s_waitcnt lgkmcnt(0)
	s_abs_i32 s33, s23
	v_cvt_f32_u32_e32 v2, s33
	s_xor_b32 s3, s3, s2
	s_sub_i32 s7, s3, s2
	s_sub_i32 s2, 0, s33
	v_rcp_iflag_f32_e32 v2, v2
	s_add_i32 s12, s25, -1
	s_abs_i32 s10, s12
	v_mul_f32_e32 v2, 0x4f7ffffe, v2
	v_cvt_u32_f32_e32 v2, v2
	s_barrier
	v_readfirstlane_b32 s48, v2
	s_mul_i32 s2, s2, s48
	s_mul_hi_u32 s2, s48, s2
	s_add_i32 s48, s48, s2
	s_cmp_lt_i32 s11, 0
	s_mul_hi_u32 s16, s10, s48
	s_cbranch_scc0 .LBB220_6
; %bb.5:
	s_mul_i32 s2, s20, s38
	s_add_i32 s2, s7, s2
	s_mul_i32 s2, s2, s11
	s_sub_i32 s38, 1, s2
	s_mov_b64 s[2:3], 0
	s_branch .LBB220_7
.LBB220_6:
	s_mov_b64 s[2:3], -1
                                        ; implicit-def: $sgpr38
.LBB220_7:
	s_load_dwordx2 s[30:31], s[4:5], 0x28
	s_ashr_i32 s19, s12, 31
	s_andn2_b64 vcc, exec, s[2:3]
	s_ashr_i32 s49, s23, 31
	s_cbranch_vccnz .LBB220_9
; %bb.8:
	s_mul_i32 s2, s9, s20
	s_add_i32 s2, s2, s6
	s_mul_i32 s2, s2, s11
	s_add_i32 s38, s2, 1
.LBB220_9:
	s_load_dword s2, s[4:5], 0x38
	s_load_dwordx2 s[28:29], s[4:5], 0x0
	s_load_dwordx2 s[36:37], s[4:5], 0x18
	s_load_dword s27, s[4:5], 0x88
	s_load_dwordx4 s[12:15], s[4:5], 0x58
	s_mul_i32 s3, s16, s33
	s_waitcnt lgkmcnt(0)
	s_mul_i32 s34, s2, s24
	s_sub_i32 s3, s10, s3
	s_ashr_i32 s35, s34, 31
	s_xor_b32 s2, s19, s49
	s_add_i32 s6, s16, 1
	s_sub_i32 s10, s3, s33
	s_cmp_ge_u32 s3, s33
	s_cselect_b32 s6, s6, s16
	s_cselect_b32 s3, s10, s3
	s_add_i32 s10, s6, 1
	s_cmp_ge_u32 s3, s33
	s_cselect_b32 s3, s10, s6
	s_xor_b32 s3, s3, s2
	s_sub_i32 s16, s3, s2
	s_add_i32 s2, s25, 7
	s_ashr_i32 s3, s2, 31
	s_lshr_b32 s3, s3, 29
	s_add_i32 s2, s2, s3
	s_ashr_i32 s50, s2, 3
	v_lshrrev_b32_e32 v10, 6, v0
	v_cmp_gt_i32_e64 s[2:3], s50, v10
	v_mov_b32_e32 v16, 0xff7fffff
	s_mul_i32 s20, s7, s18
	v_lshrrev_b32_e32 v8, 4, v0
	v_lshlrev_b32_e32 v11, 3, v10
	v_mbcnt_lo_u32_b32 v12, -1, 0
	s_and_saveexec_b64 s[18:19], s[2:3]
	s_cbranch_execz .LBB220_81
; %bb.10:
	s_load_dwordx2 s[4:5], s[4:5], 0x10
	s_sub_i32 s23, s16, s21
	s_ashr_i32 s6, s20, 31
	v_bfe_u32 v13, v0, 3, 3
	v_lshlrev_b32_e32 v4, 4, v13
	s_waitcnt lgkmcnt(0)
	s_add_u32 s7, s4, s20
	s_addc_u32 s6, s5, s6
	s_abs_i32 s52, s22
	v_cvt_f32_u32_e32 v2, s52
	s_sub_i32 s4, 0, s52
	v_mov_b32_e32 v5, s6
	v_add_co_u32_e64 v4, s[6:7], s7, v4
	v_rcp_iflag_f32_e32 v2, v2
	v_addc_co_u32_e64 v5, s[6:7], 0, v5, s[6:7]
	v_cmp_eq_u32_e32 vcc, 0, v1
	v_mul_f32_e32 v2, 0x4f7ffffe, v2
	v_cvt_u32_f32_e32 v2, v2
	v_mul_u32_u24_e32 v15, 20, v1
	v_add_co_u32_e64 v1, s[6:7], v4, v1
	v_mul_lo_u32 v3, s4, v2
	s_mov_b32 s53, s17
	v_mov_b32_e32 v14, 0
	v_cmp_neq_f32_e64 s[4:5], s51, 0
	v_mul_hi_u32 v3, v2, v3
	v_lshlrev_b32_e32 v18, 3, v10
	v_mov_b32_e32 v21, 0xff7fffff
	s_mov_b64 s[40:41], 0
	v_add_u32_e32 v17, v2, v3
	v_addc_co_u32_e64 v2, s[6:7], 0, v5, s[6:7]
	s_lshl_b64 s[6:7], s[34:35], 2
	s_add_u32 s6, s30, s6
	v_subrev_u32_e32 v5, s25, v13
	v_and_b32_e32 v3, 60, v8
	s_addc_u32 s7, s31, s7
	v_add_u32_e32 v19, 1, v5
	v_lshlrev_b32_e32 v5, 2, v13
	v_mov_b32_e32 v4, s7
	v_add_co_u32_e64 v3, s[6:7], s6, v3
	v_lshl_or_b32 v5, v10, 5, v5
	v_addc_co_u32_e64 v4, s[6:7], 0, v4, s[6:7]
	v_add_u32_e32 v20, 0xb0, v5
	s_movk_i32 s54, 0x80
	s_movk_i32 s55, 0x7f
	v_bfrev_b32_e32 v22, 60
	v_mbcnt_hi_u32_b32 v23, -1, v12
	v_mov_b32_e32 v16, 0xff7fffff
	v_mov_b32_e32 v24, v10
	s_branch .LBB220_13
.LBB220_11:                             ;   in Loop: Header=BB220_13 Depth=1
	s_or_b64 exec, exec, s[42:43]
.LBB220_12:                             ;   in Loop: Header=BB220_13 Depth=1
	s_or_b64 exec, exec, s[10:11]
	v_add_co_u32_e64 v3, s[6:7], 8, v3
	v_add_u32_e32 v24, 2, v24
	v_addc_co_u32_e64 v4, s[6:7], 0, v4, s[6:7]
	v_cmp_le_i32_e64 s[6:7], s50, v24
	v_add_u32_e32 v18, 16, v18
	s_or_b64 s[40:41], s[6:7], s[40:41]
	v_add_u32_e32 v20, 64, v20
	s_andn2_b64 exec, exec, s[40:41]
	s_cbranch_execz .LBB220_80
.LBB220_13:                             ; =>This Inner Loop Header: Depth=1
	v_mul_hi_u32 v5, v18, s48
	s_waitcnt lgkmcnt(0)
	v_mul_lo_u32 v6, v5, s33
	v_add_u32_e32 v7, 1, v5
	v_sub_u32_e32 v6, v18, v6
	v_cmp_le_u32_e64 s[6:7], s33, v6
	v_cndmask_b32_e64 v5, v5, v7, s[6:7]
	v_subrev_u32_e32 v7, s33, v6
	v_cndmask_b32_e64 v6, v6, v7, s[6:7]
	v_add_u32_e32 v7, 1, v5
	v_cmp_le_u32_e64 s[6:7], s33, v6
	v_cndmask_b32_e64 v5, v5, v7, s[6:7]
	v_xor_b32_e32 v5, s49, v5
	v_subrev_u32_e32 v5, s49, v5
	v_add_u32_e32 v6, s38, v5
	v_sub_u32_e32 v7, 0, v6
	v_max_i32_e32 v7, v6, v7
	v_mul_hi_u32 v25, v7, v17
	v_ashrrev_i32_e32 v6, 31, v6
	v_cmp_ge_i32_e64 s[10:11], s23, v5
	v_mul_lo_u32 v25, v25, s52
	v_sub_u32_e32 v7, v7, v25
	v_subrev_u32_e32 v25, s52, v7
	v_cmp_le_u32_e64 s[6:7], s52, v7
	v_cndmask_b32_e64 v7, v7, v25, s[6:7]
	v_subrev_u32_e32 v25, s52, v7
	v_cmp_le_u32_e64 s[6:7], s52, v7
	v_cndmask_b32_e64 v7, v7, v25, s[6:7]
	v_xor_b32_e32 v7, v7, v6
	v_sub_u32_e32 v6, v7, v6
	v_cmp_ne_u32_e64 s[6:7], 0, v6
	s_and_b64 s[6:7], s[6:7], s[10:11]
	s_and_saveexec_b64 s[10:11], s[6:7]
	s_xor_b64 s[6:7], exec, s[10:11]
	s_cbranch_execz .LBB220_17
; %bb.14:                               ;   in Loop: Header=BB220_13 Depth=1
	s_and_saveexec_b64 s[10:11], vcc
; %bb.15:                               ;   in Loop: Header=BB220_13 Depth=1
	ds_write_b32 v20, v21
; %bb.16:                               ;   in Loop: Header=BB220_13 Depth=1
	s_or_b64 exec, exec, s[10:11]
.LBB220_17:                             ;   in Loop: Header=BB220_13 Depth=1
	s_andn2_saveexec_b64 s[10:11], s[6:7]
	s_cbranch_execz .LBB220_12
; %bb.18:                               ;   in Loop: Header=BB220_13 Depth=1
	global_load_dword v5, v[3:4], off
	v_mov_b32_e32 v26, 0
	v_mov_b32_e32 v27, 0
	s_waitcnt vmcnt(0)
	v_mad_i64_i32 v[5:6], s[6:7], v5, s53, v[1:2]
	global_load_ubyte v28, v[5:6], off
	global_load_dword v25, v14, s[12:13]
	s_waitcnt vmcnt(1)
	v_cmp_ne_u16_e64 s[6:7], 0, v28
	s_and_saveexec_b64 s[42:43], s[6:7]
	s_cbranch_execz .LBB220_24
; %bb.19:                               ;   in Loop: Header=BB220_13 Depth=1
	v_cmp_ne_u16_e64 s[6:7], s54, v28
	v_bfrev_b32_e32 v27, 1
	s_and_saveexec_b64 s[44:45], s[6:7]
	s_cbranch_execz .LBB220_23
; %bb.20:                               ;   in Loop: Header=BB220_13 Depth=1
	v_and_b32_e32 v7, 0xffff, v28
	v_and_b32_e32 v29, 0x7f, v7
	v_cmp_ne_u32_e64 s[6:7], s55, v29
	v_mov_b32_e32 v27, 0x7f800001
	s_and_saveexec_b64 s[46:47], s[6:7]
	s_cbranch_execz .LBB220_22
; %bb.21:                               ;   in Loop: Header=BB220_13 Depth=1
	v_and_b32_e32 v27, 7, v7
	v_ffbh_u32_e32 v30, v27
	v_min_u32_e32 v33, 32, v30
	v_subrev_u32_e32 v30, 28, v33
	v_lshlrev_b64 v[30:31], v30, v[7:8]
	v_lshrrev_b32_e32 v32, 3, v29
	v_sub_u32_e32 v7, 29, v33
	v_and_b32_e32 v30, 7, v30
	v_cmp_gt_u32_e64 s[6:7], 8, v29
	v_cndmask_b32_e64 v7, v32, v7, s[6:7]
	v_cndmask_b32_e64 v27, v27, v30, s[6:7]
	v_lshlrev_b32_e32 v28, 24, v28
	v_lshlrev_b32_e32 v27, 20, v27
	v_and_b32_e32 v28, 0x80000000, v28
	v_lshl_add_u32 v7, v7, 23, v22
	v_or3_b32 v27, v28, v7, v27
.LBB220_22:                             ;   in Loop: Header=BB220_13 Depth=1
	s_or_b64 exec, exec, s[46:47]
.LBB220_23:                             ;   in Loop: Header=BB220_13 Depth=1
	s_or_b64 exec, exec, s[44:45]
.LBB220_24:                             ;   in Loop: Header=BB220_13 Depth=1
	s_or_b64 exec, exec, s[42:43]
	global_load_ubyte v28, v[5:6], off offset:8
	s_waitcnt vmcnt(0)
	v_cmp_ne_u16_e64 s[6:7], 0, v28
	s_and_saveexec_b64 s[42:43], s[6:7]
	s_cbranch_execz .LBB220_30
; %bb.25:                               ;   in Loop: Header=BB220_13 Depth=1
	v_cmp_ne_u16_e64 s[6:7], s54, v28
	v_bfrev_b32_e32 v26, 1
	s_and_saveexec_b64 s[44:45], s[6:7]
	s_cbranch_execz .LBB220_29
; %bb.26:                               ;   in Loop: Header=BB220_13 Depth=1
	v_and_b32_e32 v7, 0xffff, v28
	v_and_b32_e32 v29, 0x7f, v7
	v_cmp_ne_u32_e64 s[6:7], s55, v29
	v_mov_b32_e32 v26, 0x7f800001
	s_and_saveexec_b64 s[46:47], s[6:7]
	s_cbranch_execz .LBB220_28
; %bb.27:                               ;   in Loop: Header=BB220_13 Depth=1
	v_and_b32_e32 v26, 7, v7
	v_ffbh_u32_e32 v30, v26
	v_min_u32_e32 v33, 32, v30
	v_subrev_u32_e32 v30, 28, v33
	v_lshlrev_b64 v[30:31], v30, v[7:8]
	v_lshrrev_b32_e32 v32, 3, v29
	v_sub_u32_e32 v7, 29, v33
	v_and_b32_e32 v30, 7, v30
	v_cmp_gt_u32_e64 s[6:7], 8, v29
	v_cndmask_b32_e64 v7, v32, v7, s[6:7]
	v_cndmask_b32_e64 v26, v26, v30, s[6:7]
	v_lshlrev_b32_e32 v28, 24, v28
	v_lshlrev_b32_e32 v26, 20, v26
	v_and_b32_e32 v28, 0x80000000, v28
	v_lshl_add_u32 v7, v7, 23, v22
	v_or3_b32 v26, v28, v7, v26
.LBB220_28:                             ;   in Loop: Header=BB220_13 Depth=1
	s_or_b64 exec, exec, s[46:47]
.LBB220_29:                             ;   in Loop: Header=BB220_13 Depth=1
	s_or_b64 exec, exec, s[44:45]
.LBB220_30:                             ;   in Loop: Header=BB220_13 Depth=1
	s_or_b64 exec, exec, s[42:43]
	global_load_ubyte v30, v[5:6], off offset:128
	v_mov_b32_e32 v28, 0
	v_mov_b32_e32 v29, 0
	s_waitcnt vmcnt(0)
	v_cmp_ne_u16_e64 s[6:7], 0, v30
	s_and_saveexec_b64 s[42:43], s[6:7]
	s_cbranch_execz .LBB220_36
; %bb.31:                               ;   in Loop: Header=BB220_13 Depth=1
	v_cmp_ne_u16_e64 s[6:7], s54, v30
	v_bfrev_b32_e32 v29, 1
	s_and_saveexec_b64 s[44:45], s[6:7]
	s_cbranch_execz .LBB220_35
; %bb.32:                               ;   in Loop: Header=BB220_13 Depth=1
	v_and_b32_e32 v7, 0xffff, v30
	v_and_b32_e32 v31, 0x7f, v7
	v_cmp_ne_u32_e64 s[6:7], s55, v31
	v_mov_b32_e32 v29, 0x7f800001
	s_and_saveexec_b64 s[46:47], s[6:7]
	s_cbranch_execz .LBB220_34
; %bb.33:                               ;   in Loop: Header=BB220_13 Depth=1
	v_and_b32_e32 v29, 7, v7
	v_ffbh_u32_e32 v32, v29
	v_min_u32_e32 v35, 32, v32
	v_subrev_u32_e32 v32, 28, v35
	v_lshlrev_b64 v[32:33], v32, v[7:8]
	v_lshrrev_b32_e32 v34, 3, v31
	v_sub_u32_e32 v7, 29, v35
	v_and_b32_e32 v32, 7, v32
	v_cmp_gt_u32_e64 s[6:7], 8, v31
	v_cndmask_b32_e64 v7, v34, v7, s[6:7]
	v_cndmask_b32_e64 v29, v29, v32, s[6:7]
	v_lshlrev_b32_e32 v30, 24, v30
	v_lshlrev_b32_e32 v29, 20, v29
	v_and_b32_e32 v30, 0x80000000, v30
	v_lshl_add_u32 v7, v7, 23, v22
	v_or3_b32 v29, v30, v7, v29
.LBB220_34:                             ;   in Loop: Header=BB220_13 Depth=1
	s_or_b64 exec, exec, s[46:47]
.LBB220_35:                             ;   in Loop: Header=BB220_13 Depth=1
	s_or_b64 exec, exec, s[44:45]
.LBB220_36:                             ;   in Loop: Header=BB220_13 Depth=1
	s_or_b64 exec, exec, s[42:43]
	global_load_ubyte v30, v[5:6], off offset:136
	s_waitcnt vmcnt(0)
	v_cmp_ne_u16_e64 s[6:7], 0, v30
	s_and_saveexec_b64 s[42:43], s[6:7]
	s_cbranch_execz .LBB220_42
; %bb.37:                               ;   in Loop: Header=BB220_13 Depth=1
	v_cmp_ne_u16_e64 s[6:7], s54, v30
	v_bfrev_b32_e32 v28, 1
	s_and_saveexec_b64 s[44:45], s[6:7]
	s_cbranch_execz .LBB220_41
; %bb.38:                               ;   in Loop: Header=BB220_13 Depth=1
	v_and_b32_e32 v7, 0xffff, v30
	v_and_b32_e32 v31, 0x7f, v7
	v_cmp_ne_u32_e64 s[6:7], s55, v31
	v_mov_b32_e32 v28, 0x7f800001
	s_and_saveexec_b64 s[46:47], s[6:7]
	s_cbranch_execz .LBB220_40
; %bb.39:                               ;   in Loop: Header=BB220_13 Depth=1
	v_and_b32_e32 v28, 7, v7
	v_ffbh_u32_e32 v32, v28
	v_min_u32_e32 v35, 32, v32
	v_subrev_u32_e32 v32, 28, v35
	v_lshlrev_b64 v[32:33], v32, v[7:8]
	v_lshrrev_b32_e32 v34, 3, v31
	v_sub_u32_e32 v7, 29, v35
	v_and_b32_e32 v32, 7, v32
	v_cmp_gt_u32_e64 s[6:7], 8, v31
	v_cndmask_b32_e64 v7, v34, v7, s[6:7]
	v_cndmask_b32_e64 v28, v28, v32, s[6:7]
	v_lshlrev_b32_e32 v30, 24, v30
	v_lshlrev_b32_e32 v28, 20, v28
	v_and_b32_e32 v30, 0x80000000, v30
	v_lshl_add_u32 v7, v7, 23, v22
	v_or3_b32 v28, v30, v7, v28
.LBB220_40:                             ;   in Loop: Header=BB220_13 Depth=1
	s_or_b64 exec, exec, s[46:47]
.LBB220_41:                             ;   in Loop: Header=BB220_13 Depth=1
	s_or_b64 exec, exec, s[44:45]
.LBB220_42:                             ;   in Loop: Header=BB220_13 Depth=1
	s_or_b64 exec, exec, s[42:43]
	global_load_ubyte v32, v[5:6], off offset:256
	v_mov_b32_e32 v30, 0
	v_mov_b32_e32 v31, 0
	s_waitcnt vmcnt(0)
	v_cmp_ne_u16_e64 s[6:7], 0, v32
	s_and_saveexec_b64 s[42:43], s[6:7]
	s_cbranch_execz .LBB220_48
; %bb.43:                               ;   in Loop: Header=BB220_13 Depth=1
	v_cmp_ne_u16_e64 s[6:7], s54, v32
	v_bfrev_b32_e32 v31, 1
	s_and_saveexec_b64 s[44:45], s[6:7]
	s_cbranch_execz .LBB220_47
; %bb.44:                               ;   in Loop: Header=BB220_13 Depth=1
	v_and_b32_e32 v7, 0xffff, v32
	v_and_b32_e32 v33, 0x7f, v7
	v_cmp_ne_u32_e64 s[6:7], s55, v33
	v_mov_b32_e32 v31, 0x7f800001
	s_and_saveexec_b64 s[46:47], s[6:7]
	s_cbranch_execz .LBB220_46
; %bb.45:                               ;   in Loop: Header=BB220_13 Depth=1
	v_and_b32_e32 v31, 7, v7
	v_ffbh_u32_e32 v34, v31
	v_min_u32_e32 v37, 32, v34
	v_subrev_u32_e32 v34, 28, v37
	v_lshlrev_b64 v[34:35], v34, v[7:8]
	v_lshrrev_b32_e32 v36, 3, v33
	v_sub_u32_e32 v7, 29, v37
	v_and_b32_e32 v34, 7, v34
	v_cmp_gt_u32_e64 s[6:7], 8, v33
	v_cndmask_b32_e64 v7, v36, v7, s[6:7]
	v_cndmask_b32_e64 v31, v31, v34, s[6:7]
	v_lshlrev_b32_e32 v32, 24, v32
	v_lshlrev_b32_e32 v31, 20, v31
	v_and_b32_e32 v32, 0x80000000, v32
	v_lshl_add_u32 v7, v7, 23, v22
	v_or3_b32 v31, v32, v7, v31
.LBB220_46:                             ;   in Loop: Header=BB220_13 Depth=1
	s_or_b64 exec, exec, s[46:47]
.LBB220_47:                             ;   in Loop: Header=BB220_13 Depth=1
	s_or_b64 exec, exec, s[44:45]
.LBB220_48:                             ;   in Loop: Header=BB220_13 Depth=1
	s_or_b64 exec, exec, s[42:43]
	global_load_ubyte v32, v[5:6], off offset:264
	s_waitcnt vmcnt(0)
	v_cmp_ne_u16_e64 s[6:7], 0, v32
	s_and_saveexec_b64 s[42:43], s[6:7]
	s_cbranch_execz .LBB220_54
; %bb.49:                               ;   in Loop: Header=BB220_13 Depth=1
	v_cmp_ne_u16_e64 s[6:7], s54, v32
	v_bfrev_b32_e32 v30, 1
	s_and_saveexec_b64 s[44:45], s[6:7]
	s_cbranch_execz .LBB220_53
; %bb.50:                               ;   in Loop: Header=BB220_13 Depth=1
	v_and_b32_e32 v7, 0xffff, v32
	v_and_b32_e32 v33, 0x7f, v7
	v_cmp_ne_u32_e64 s[6:7], s55, v33
	v_mov_b32_e32 v30, 0x7f800001
	s_and_saveexec_b64 s[46:47], s[6:7]
	s_cbranch_execz .LBB220_52
; %bb.51:                               ;   in Loop: Header=BB220_13 Depth=1
	v_and_b32_e32 v30, 7, v7
	v_ffbh_u32_e32 v34, v30
	v_min_u32_e32 v37, 32, v34
	v_subrev_u32_e32 v34, 28, v37
	v_lshlrev_b64 v[34:35], v34, v[7:8]
	v_lshrrev_b32_e32 v36, 3, v33
	v_sub_u32_e32 v7, 29, v37
	v_and_b32_e32 v34, 7, v34
	v_cmp_gt_u32_e64 s[6:7], 8, v33
	v_cndmask_b32_e64 v7, v36, v7, s[6:7]
	v_cndmask_b32_e64 v30, v30, v34, s[6:7]
	v_lshlrev_b32_e32 v32, 24, v32
	v_lshlrev_b32_e32 v30, 20, v30
	v_and_b32_e32 v32, 0x80000000, v32
	v_lshl_add_u32 v7, v7, 23, v22
	v_or3_b32 v30, v32, v7, v30
.LBB220_52:                             ;   in Loop: Header=BB220_13 Depth=1
	s_or_b64 exec, exec, s[46:47]
.LBB220_53:                             ;   in Loop: Header=BB220_13 Depth=1
	s_or_b64 exec, exec, s[44:45]
.LBB220_54:                             ;   in Loop: Header=BB220_13 Depth=1
	s_or_b64 exec, exec, s[42:43]
	global_load_ubyte v34, v[5:6], off offset:384
	v_mov_b32_e32 v32, 0
	v_mov_b32_e32 v33, 0
	s_waitcnt vmcnt(0)
	v_cmp_ne_u16_e64 s[6:7], 0, v34
	s_and_saveexec_b64 s[42:43], s[6:7]
	s_cbranch_execz .LBB220_60
; %bb.55:                               ;   in Loop: Header=BB220_13 Depth=1
	v_cmp_ne_u16_e64 s[6:7], s54, v34
	v_bfrev_b32_e32 v33, 1
	s_and_saveexec_b64 s[44:45], s[6:7]
	s_cbranch_execz .LBB220_59
; %bb.56:                               ;   in Loop: Header=BB220_13 Depth=1
	v_and_b32_e32 v7, 0xffff, v34
	v_and_b32_e32 v35, 0x7f, v7
	v_cmp_ne_u32_e64 s[6:7], s55, v35
	v_mov_b32_e32 v33, 0x7f800001
	s_and_saveexec_b64 s[46:47], s[6:7]
	s_cbranch_execz .LBB220_58
; %bb.57:                               ;   in Loop: Header=BB220_13 Depth=1
	v_and_b32_e32 v33, 7, v7
	v_ffbh_u32_e32 v36, v33
	v_min_u32_e32 v39, 32, v36
	v_subrev_u32_e32 v36, 28, v39
	v_lshlrev_b64 v[36:37], v36, v[7:8]
	v_lshrrev_b32_e32 v38, 3, v35
	v_sub_u32_e32 v7, 29, v39
	v_and_b32_e32 v36, 7, v36
	v_cmp_gt_u32_e64 s[6:7], 8, v35
	v_cndmask_b32_e64 v7, v38, v7, s[6:7]
	v_cndmask_b32_e64 v33, v33, v36, s[6:7]
	v_lshlrev_b32_e32 v34, 24, v34
	v_lshlrev_b32_e32 v33, 20, v33
	v_and_b32_e32 v34, 0x80000000, v34
	v_lshl_add_u32 v7, v7, 23, v22
	v_or3_b32 v33, v34, v7, v33
.LBB220_58:                             ;   in Loop: Header=BB220_13 Depth=1
	s_or_b64 exec, exec, s[46:47]
.LBB220_59:                             ;   in Loop: Header=BB220_13 Depth=1
	s_or_b64 exec, exec, s[44:45]
.LBB220_60:                             ;   in Loop: Header=BB220_13 Depth=1
	s_or_b64 exec, exec, s[42:43]
	global_load_ubyte v34, v[5:6], off offset:392
	s_waitcnt vmcnt(0)
	v_cmp_ne_u16_e64 s[6:7], 0, v34
	s_and_saveexec_b64 s[42:43], s[6:7]
	s_cbranch_execz .LBB220_66
; %bb.61:                               ;   in Loop: Header=BB220_13 Depth=1
	v_cmp_ne_u16_e64 s[6:7], s54, v34
	v_bfrev_b32_e32 v32, 1
	s_and_saveexec_b64 s[44:45], s[6:7]
	s_cbranch_execz .LBB220_65
; %bb.62:                               ;   in Loop: Header=BB220_13 Depth=1
	v_and_b32_e32 v7, 0xffff, v34
	v_and_b32_e32 v35, 0x7f, v7
	v_cmp_ne_u32_e64 s[6:7], s55, v35
	v_mov_b32_e32 v32, 0x7f800001
	s_and_saveexec_b64 s[46:47], s[6:7]
	s_cbranch_execz .LBB220_64
; %bb.63:                               ;   in Loop: Header=BB220_13 Depth=1
	v_and_b32_e32 v32, 7, v7
	v_ffbh_u32_e32 v36, v32
	v_min_u32_e32 v39, 32, v36
	v_subrev_u32_e32 v36, 28, v39
	v_lshlrev_b64 v[36:37], v36, v[7:8]
	v_lshrrev_b32_e32 v38, 3, v35
	v_sub_u32_e32 v7, 29, v39
	v_and_b32_e32 v36, 7, v36
	v_cmp_gt_u32_e64 s[6:7], 8, v35
	v_cndmask_b32_e64 v7, v38, v7, s[6:7]
	v_cndmask_b32_e64 v32, v32, v36, s[6:7]
	v_lshlrev_b32_e32 v34, 24, v34
	v_lshlrev_b32_e32 v32, 20, v32
	v_and_b32_e32 v34, 0x80000000, v34
	v_lshl_add_u32 v7, v7, 23, v22
	v_or3_b32 v32, v34, v7, v32
.LBB220_64:                             ;   in Loop: Header=BB220_13 Depth=1
	s_or_b64 exec, exec, s[46:47]
.LBB220_65:                             ;   in Loop: Header=BB220_13 Depth=1
	s_or_b64 exec, exec, s[44:45]
.LBB220_66:                             ;   in Loop: Header=BB220_13 Depth=1
	s_or_b64 exec, exec, s[42:43]
	global_load_ubyte v36, v[5:6], off offset:512
	v_mov_b32_e32 v34, 0
	v_mov_b32_e32 v35, 0
	s_waitcnt vmcnt(0)
	v_cmp_ne_u16_e64 s[6:7], 0, v36
	s_and_saveexec_b64 s[42:43], s[6:7]
	s_cbranch_execz .LBB220_72
; %bb.67:                               ;   in Loop: Header=BB220_13 Depth=1
	v_cmp_ne_u16_e64 s[6:7], s54, v36
	v_bfrev_b32_e32 v35, 1
	s_and_saveexec_b64 s[44:45], s[6:7]
	s_cbranch_execz .LBB220_71
; %bb.68:                               ;   in Loop: Header=BB220_13 Depth=1
	v_and_b32_e32 v7, 0xffff, v36
	v_and_b32_e32 v37, 0x7f, v7
	v_cmp_ne_u32_e64 s[6:7], s55, v37
	v_mov_b32_e32 v35, 0x7f800001
	s_and_saveexec_b64 s[46:47], s[6:7]
	s_cbranch_execz .LBB220_70
; %bb.69:                               ;   in Loop: Header=BB220_13 Depth=1
	v_and_b32_e32 v35, 7, v7
	v_ffbh_u32_e32 v38, v35
	v_min_u32_e32 v41, 32, v38
	v_subrev_u32_e32 v38, 28, v41
	v_lshlrev_b64 v[38:39], v38, v[7:8]
	v_lshrrev_b32_e32 v40, 3, v37
	v_sub_u32_e32 v7, 29, v41
	v_and_b32_e32 v38, 7, v38
	v_cmp_gt_u32_e64 s[6:7], 8, v37
	v_cndmask_b32_e64 v7, v40, v7, s[6:7]
	v_cndmask_b32_e64 v35, v35, v38, s[6:7]
	v_lshlrev_b32_e32 v36, 24, v36
	v_lshlrev_b32_e32 v35, 20, v35
	v_and_b32_e32 v36, 0x80000000, v36
	v_lshl_add_u32 v7, v7, 23, v22
	v_or3_b32 v35, v36, v7, v35
.LBB220_70:                             ;   in Loop: Header=BB220_13 Depth=1
	s_or_b64 exec, exec, s[46:47]
.LBB220_71:                             ;   in Loop: Header=BB220_13 Depth=1
	s_or_b64 exec, exec, s[44:45]
.LBB220_72:                             ;   in Loop: Header=BB220_13 Depth=1
	s_or_b64 exec, exec, s[42:43]
	global_load_ubyte v6, v[5:6], off offset:520
	s_waitcnt vmcnt(0)
	v_cmp_ne_u16_e64 s[6:7], 0, v6
	s_and_saveexec_b64 s[42:43], s[6:7]
	s_cbranch_execz .LBB220_78
; %bb.73:                               ;   in Loop: Header=BB220_13 Depth=1
	v_cmp_ne_u16_e64 s[6:7], s54, v6
	v_bfrev_b32_e32 v34, 1
	s_and_saveexec_b64 s[44:45], s[6:7]
	s_cbranch_execz .LBB220_77
; %bb.74:                               ;   in Loop: Header=BB220_13 Depth=1
	v_and_b32_e32 v5, 0xffff, v6
	v_and_b32_e32 v7, 0x7f, v5
	v_cmp_ne_u32_e64 s[6:7], s55, v7
	v_mov_b32_e32 v34, 0x7f800001
	s_and_saveexec_b64 s[46:47], s[6:7]
	s_cbranch_execz .LBB220_76
; %bb.75:                               ;   in Loop: Header=BB220_13 Depth=1
	v_and_b32_e32 v34, 7, v5
	v_ffbh_u32_e32 v36, v34
	v_min_u32_e32 v39, 32, v36
	v_subrev_u32_e32 v36, 28, v39
	v_lshlrev_b64 v[36:37], v36, v[5:6]
	v_lshrrev_b32_e32 v38, 3, v7
	v_sub_u32_e32 v5, 29, v39
	v_and_b32_e32 v36, 7, v36
	v_cmp_gt_u32_e64 s[6:7], 8, v7
	v_cndmask_b32_e64 v5, v38, v5, s[6:7]
	v_cndmask_b32_e64 v7, v34, v36, s[6:7]
	v_lshlrev_b32_e32 v6, 24, v6
	v_lshlrev_b32_e32 v7, 20, v7
	v_and_b32_e32 v6, 0x80000000, v6
	v_lshl_add_u32 v5, v5, 23, v22
	v_or3_b32 v34, v6, v5, v7
.LBB220_76:                             ;   in Loop: Header=BB220_13 Depth=1
	s_or_b64 exec, exec, s[46:47]
.LBB220_77:                             ;   in Loop: Header=BB220_13 Depth=1
	s_or_b64 exec, exec, s[44:45]
.LBB220_78:                             ;   in Loop: Header=BB220_13 Depth=1
	s_or_b64 exec, exec, s[42:43]
	ds_read_u16 v6, v15
	v_fma_mixlo_f16 v5, v25, v27, 0
	v_and_b32_e32 v7, 0xffff, v5
	s_waitcnt lgkmcnt(0)
	;;#ASMSTART
	v_cvt_f32_f16 v5, v6;
	;;#ASMEND
	;;#ASMSTART
	v_cvt_f32_f16 v6, v7;
	;;#ASMEND
	ds_read_u16 v27, v15 offset:2
	v_fma_mixlo_f16 v7, v25, v26, 0
	v_and_b32_e32 v26, 0xffff, v7
	s_waitcnt lgkmcnt(0)
	;;#ASMSTART
	v_cvt_f32_f16 v7, v27;
	;;#ASMEND
	;;#ASMSTART
	v_cvt_f32_f16 v26, v26;
	;;#ASMEND
	v_fma_mixlo_f16 v27, v25, v29, 0
	v_mul_f32_e32 v7, v7, v26
	ds_read_u16 v36, v15 offset:4
	v_and_b32_e32 v29, 0xffff, v27
	v_fma_mixlo_f16 v28, v25, v28, 0
	v_fmac_f32_e32 v7, v5, v6
	s_waitcnt lgkmcnt(0)
	;;#ASMSTART
	v_cvt_f32_f16 v27, v36;
	;;#ASMEND
	;;#ASMSTART
	v_cvt_f32_f16 v29, v29;
	;;#ASMEND
	ds_read_u16 v36, v15 offset:6
	v_and_b32_e32 v37, 0xffff, v28
	v_fma_mixlo_f16 v31, v25, v31, 0
	v_fmac_f32_e32 v7, v27, v29
	s_waitcnt lgkmcnt(0)
	;;#ASMSTART
	v_cvt_f32_f16 v28, v36;
	;;#ASMEND
	;;#ASMSTART
	v_cvt_f32_f16 v36, v37;
	;;#ASMEND
	;; [unrolled: 11-line block ×3, first 2 shown]
	ds_read_u16 v38, v15 offset:10
	v_and_b32_e32 v39, 0xffff, v30
	v_fmac_f32_e32 v7, v31, v37
	s_waitcnt lgkmcnt(0)
	;;#ASMSTART
	v_cvt_f32_f16 v30, v38;
	;;#ASMEND
	;;#ASMSTART
	v_cvt_f32_f16 v38, v39;
	;;#ASMEND
	ds_read_u16 v39, v15 offset:12
	v_fma_mixlo_f16 v33, v25, v33, 0
	v_fma_mixlo_f16 v35, v25, v35, 0
	;; [unrolled: 1-line block ×3, first 2 shown]
	v_fmac_f32_e32 v7, v30, v38
	v_and_b32_e32 v40, 0xffff, v33
	s_waitcnt lgkmcnt(0)
	;;#ASMSTART
	v_cvt_f32_f16 v33, v39;
	;;#ASMEND
	;;#ASMSTART
	v_cvt_f32_f16 v39, v40;
	;;#ASMEND
	v_and_b32_e32 v32, 0xffff, v32
	v_and_b32_e32 v6, 0xffff, v35
	v_fmac_f32_e32 v7, v33, v39
	ds_read_u16 v40, v15 offset:14
	v_fma_mixlo_f16 v25, v25, v34, 0
	s_waitcnt lgkmcnt(0)
	;;#ASMSTART
	v_cvt_f32_f16 v26, v40;
	;;#ASMEND
	;;#ASMSTART
	v_cvt_f32_f16 v32, v32;
	;;#ASMEND
	ds_read_u16 v34, v15 offset:16
	s_waitcnt lgkmcnt(0)
	;;#ASMSTART
	v_cvt_f32_f16 v5, v34;
	;;#ASMEND
	;;#ASMSTART
	v_cvt_f32_f16 v6, v6;
	;;#ASMEND
	v_fmac_f32_e32 v7, v26, v32
	ds_read_u16 v27, v15 offset:18
	v_fmac_f32_e32 v7, v5, v6
	s_waitcnt lgkmcnt(0)
	;;#ASMSTART
	v_cvt_f32_f16 v5, v27;
	;;#ASMEND
	v_and_b32_e32 v6, 0xffff, v25
	;;#ASMSTART
	v_cvt_f32_f16 v6, v6;
	;;#ASMEND
	v_fmac_f32_e32 v7, v5, v6
	v_and_b32_e32 v5, 64, v23
	v_add_u32_e32 v6, 64, v5
	v_xor_b32_e32 v5, 4, v23
	v_cmp_lt_i32_e64 s[6:7], v5, v6
	v_cndmask_b32_e64 v5, v23, v5, s[6:7]
	v_lshlrev_b32_e32 v5, 2, v5
	ds_bpermute_b32 v5, v5, v7
	s_waitcnt lgkmcnt(0)
	v_add_f32_e32 v5, v7, v5
	v_xor_b32_e32 v7, 2, v23
	v_cmp_lt_i32_e64 s[6:7], v7, v6
	v_cndmask_b32_e64 v7, v23, v7, s[6:7]
	v_lshlrev_b32_e32 v7, 2, v7
	ds_bpermute_b32 v7, v7, v5
	s_waitcnt lgkmcnt(0)
	v_add_f32_e32 v5, v5, v7
	v_xor_b32_e32 v7, 1, v23
	v_cmp_lt_i32_e64 s[6:7], v7, v6
	v_cndmask_b32_e64 v6, v23, v7, s[6:7]
	v_lshlrev_b32_e32 v6, 2, v6
	ds_bpermute_b32 v6, v6, v5
	s_and_saveexec_b64 s[42:43], vcc
	s_cbranch_execz .LBB220_11
; %bb.79:                               ;   in Loop: Header=BB220_13 Depth=1
	v_add_u32_e32 v7, v19, v18
	v_cvt_f32_i32_e32 v7, v7
	s_waitcnt lgkmcnt(0)
	v_add_f32_e32 v5, v5, v6
	v_add_u32_e32 v25, v13, v18
	v_cmp_gt_i32_e64 s[6:7], s25, v25
	v_mul_f32_e32 v6, s51, v7
	v_cndmask_b32_e64 v6, 0, v6, s[4:5]
	v_fmac_f32_e32 v6, s39, v5
	v_cndmask_b32_e64 v5, 0, v6, s[6:7]
	ds_write_b32 v20, v5
	v_max_f32_e32 v5, v16, v16
	v_max_f32_e32 v5, v5, v6
	v_cndmask_b32_e64 v16, v16, v5, s[6:7]
	s_branch .LBB220_11
.LBB220_80:
	s_or_b64 exec, exec, s[40:41]
.LBB220_81:
	s_or_b64 exec, exec, s[18:19]
	v_mbcnt_hi_u32_b32 v1, -1, v12
	v_and_b32_e32 v14, 64, v1
	v_add_u32_e32 v2, 64, v14
	v_xor_b32_e32 v3, 32, v1
	v_cmp_lt_i32_e32 vcc, v3, v2
	v_cndmask_b32_e32 v3, v1, v3, vcc
	v_lshlrev_b32_e32 v4, 2, v3
	ds_bpermute_b32 v3, v4, v16
	s_waitcnt lgkmcnt(1)
	v_xor_b32_e32 v6, 16, v1
	v_max_f32_e32 v5, v16, v16
	v_cmp_lt_i32_e32 vcc, v6, v2
	v_xor_b32_e32 v7, 8, v1
	s_waitcnt lgkmcnt(0)
	v_max_f32_e32 v3, v3, v3
	v_max_f32_e32 v3, v5, v3
	v_cndmask_b32_e32 v5, v1, v6, vcc
	v_lshlrev_b32_e32 v6, 2, v5
	ds_bpermute_b32 v5, v6, v3
	v_cmp_lt_i32_e32 vcc, v7, v2
	v_and_b32_e32 v12, 63, v0
	s_waitcnt lgkmcnt(0)
	v_max_f32_e32 v5, v5, v5
	v_max_f32_e32 v5, v3, v5
	v_cndmask_b32_e32 v3, v1, v7, vcc
	v_lshlrev_b32_e32 v13, 2, v3
	ds_bpermute_b32 v7, v13, v5
	v_cmp_eq_u32_e32 vcc, 0, v12
	v_lshlrev_b32_e32 v3, 2, v10
	s_and_saveexec_b64 s[4:5], vcc
	s_cbranch_execz .LBB220_83
; %bb.82:
	s_waitcnt lgkmcnt(0)
	v_max_f32_e32 v7, v7, v7
	v_max_f32_e32 v5, v5, v5
	;; [unrolled: 1-line block ×3, first 2 shown]
	ds_write_b32 v3, v5 offset:160
.LBB220_83:
	s_or_b64 exec, exec, s[4:5]
	v_cmp_gt_u32_e64 s[4:5], 2, v12
	v_mov_b32_e32 v15, 0xff7fffff
	v_lshlrev_b32_e32 v5, 2, v12
	s_waitcnt lgkmcnt(0)
	s_barrier
	s_and_saveexec_b64 s[6:7], s[4:5]
; %bb.84:
	ds_read_b32 v15, v5 offset:160
; %bb.85:
	s_or_b64 exec, exec, s[6:7]
	v_xor_b32_e32 v7, 1, v1
	v_cmp_lt_i32_e64 s[6:7], v7, v2
	v_cndmask_b32_e64 v7, v1, v7, s[6:7]
	v_lshlrev_b32_e32 v7, 2, v7
	s_waitcnt lgkmcnt(0)
	ds_bpermute_b32 v16, v7, v15
	v_max_f32_e32 v15, v15, v15
	v_lshlrev_b32_e32 v14, 2, v14
	s_lshl_b32 s6, s50, 3
	s_min_i32 s23, s6, s25
	s_waitcnt lgkmcnt(0)
	v_max_f32_e32 v16, v16, v16
	v_max_f32_e32 v15, v15, v16
	ds_bpermute_b32 v15, v14, v15
	v_cmp_gt_i32_e64 s[6:7], s23, v0
	v_mov_b32_e32 v14, 0
	s_and_saveexec_b64 s[12:13], s[6:7]
	s_cbranch_execz .LBB220_89
; %bb.86:
	v_mov_b32_e32 v14, 0xb0
	v_lshl_add_u32 v16, v0, 2, v14
	v_mov_b32_e32 v14, 0
	s_mov_b64 s[18:19], 0
	v_mov_b32_e32 v17, v0
.LBB220_87:                             ; =>This Inner Loop Header: Depth=1
	ds_read_b32 v18, v16
	v_add_u32_e32 v17, 0x80, v17
	v_cmp_le_i32_e64 s[10:11], s23, v17
	s_or_b64 s[18:19], s[10:11], s[18:19]
	s_waitcnt lgkmcnt(0)
	v_sub_f32_e32 v18, v18, v15
	v_mul_f32_e32 v18, 0x3fb8aa3b, v18
	v_exp_f32_e32 v18, v18
	ds_write_b32 v16, v18
	v_add_f32_e32 v14, v14, v18
	v_add_u32_e32 v16, 0x200, v16
	s_andn2_b64 exec, exec, s[18:19]
	s_cbranch_execnz .LBB220_87
; %bb.88:
	s_or_b64 exec, exec, s[18:19]
.LBB220_89:
	s_or_b64 exec, exec, s[12:13]
	ds_bpermute_b32 v4, v4, v14
	s_waitcnt lgkmcnt(0)
	v_add_f32_e32 v4, v14, v4
	ds_bpermute_b32 v6, v6, v4
	s_waitcnt lgkmcnt(0)
	v_add_f32_e32 v4, v4, v6
	ds_bpermute_b32 v6, v13, v4
	v_xor_b32_e32 v13, 4, v1
	v_cmp_lt_i32_e64 s[10:11], v13, v2
	v_cndmask_b32_e64 v13, v1, v13, s[10:11]
	v_lshlrev_b32_e32 v13, 2, v13
	s_waitcnt lgkmcnt(0)
	v_add_f32_e32 v4, v4, v6
	ds_bpermute_b32 v6, v13, v4
	v_xor_b32_e32 v13, 2, v1
	v_cmp_lt_i32_e64 s[10:11], v13, v2
	v_cndmask_b32_e64 v2, v1, v13, s[10:11]
	v_lshlrev_b32_e32 v2, 2, v2
	s_waitcnt lgkmcnt(0)
	v_add_f32_e32 v4, v4, v6
	ds_bpermute_b32 v2, v2, v4
	s_waitcnt lgkmcnt(0)
	v_add_f32_e32 v2, v4, v2
	ds_bpermute_b32 v4, v7, v2
	s_waitcnt lgkmcnt(0)
	v_add_f32_e32 v2, v2, v4
	s_and_saveexec_b64 s[10:11], vcc
; %bb.90:
	ds_write_b32 v3, v2 offset:168
; %bb.91:
	s_or_b64 exec, exec, s[10:11]
	s_waitcnt lgkmcnt(0)
	s_barrier
	s_and_saveexec_b64 s[10:11], s[4:5]
; %bb.92:
	ds_read_b32 v2, v5 offset:168
; %bb.93:
	s_or_b64 exec, exec, s[10:11]
	s_waitcnt lgkmcnt(0)
	ds_bpermute_b32 v3, v7, v2
	v_lshlrev_b32_e32 v1, 2, v1
	v_and_b32_e32 v1, 0x100, v1
	s_waitcnt lgkmcnt(0)
	v_add_f32_e32 v2, v2, v3
	ds_bpermute_b32 v1, v1, v2
	s_and_saveexec_b64 s[4:5], s[6:7]
	s_cbranch_execz .LBB220_96
; %bb.94:
	s_waitcnt lgkmcnt(0)
	v_add_f32_e32 v2, 0x358637bd, v1
	v_div_scale_f32 v1, s[6:7], v2, v2, 1.0
	v_div_scale_f32 v3, vcc, 1.0, v2, 1.0
	s_mov_b64 s[6:7], 0
	v_rcp_f32_e32 v4, v1
	v_fma_f32 v5, -v1, v4, 1.0
	v_fmac_f32_e32 v4, v5, v4
	v_mul_f32_e32 v5, v3, v4
	v_fma_f32 v6, -v1, v5, v3
	v_fmac_f32_e32 v5, v6, v4
	v_fma_f32 v1, -v1, v5, v3
	v_div_fmas_f32 v3, v1, v4, v5
	v_mov_b32_e32 v1, 0xb0
	v_lshl_add_u32 v1, v0, 2, v1
	v_div_fixup_f32 v2, v3, v2, 1.0
	v_mov_b32_e32 v3, v0
.LBB220_95:                             ; =>This Inner Loop Header: Depth=1
	ds_read_b32 v4, v1
	v_add_u32_e32 v3, 0x80, v3
	v_cmp_le_i32_e32 vcc, s23, v3
	s_or_b64 s[6:7], vcc, s[6:7]
	s_waitcnt lgkmcnt(0)
	v_mul_f32_e32 v4, v2, v4
	ds_write_b32 v1, v4
	v_add_u32_e32 v1, 0x200, v1
	s_andn2_b64 exec, exec, s[6:7]
	s_cbranch_execnz .LBB220_95
.LBB220_96:
	s_or_b64 exec, exec, s[4:5]
	v_mov_b32_e32 v14, 0
	v_mov_b32_e32 v13, 0
	s_waitcnt lgkmcnt(0)
	s_barrier
	s_and_saveexec_b64 s[6:7], s[2:3]
	s_cbranch_execz .LBB220_204
; %bb.97:
	s_sub_i32 s39, s16, s21
	s_ashr_i32 s2, s20, 31
	s_add_u32 s10, s36, s20
	s_addc_u32 s11, s37, s2
	s_abs_i32 s36, s22
	v_cvt_f32_u32_e32 v1, s36
	s_sub_i32 s3, 0, s36
	v_or_b32_e32 v3, 64, v12
	s_movk_i32 s2, 0x50
	v_rcp_iflag_f32_e32 v1, v1
	v_cmp_gt_u32_e32 vcc, s2, v3
	v_lshlrev_b32_e32 v16, 3, v3
	s_add_i32 s40, s50, -1
	v_mul_f32_e32 v1, 0x4f7ffffe, v1
	v_cvt_u32_f32_e32 v1, v1
	v_and_b32_e32 v5, 60, v8
	s_mov_b32 s12, -1
	s_mov_b32 s37, s17
	v_mul_lo_u32 v4, s3, v1
	s_lshl_b64 s[2:3], s[34:35], 2
	s_add_u32 s2, s30, s2
	s_addc_u32 s3, s31, s3
	v_mul_hi_u32 v3, v1, v4
	s_mov_b32 s13, 0xffffff
	v_lshlrev_b32_e32 v15, 3, v12
	v_mov_b32_e32 v2, 0
	v_add_u32_e32 v17, v1, v3
	v_mov_b32_e32 v1, s3
	v_add_co_u32_e64 v3, s[2:3], s2, v5
	v_addc_co_u32_e64 v4, s[2:3], 0, v1, s[2:3]
	v_mov_b32_e32 v1, 0xb0
	v_lshl_add_u32 v18, v10, 5, v1
	s_mov_b64 s[16:17], 0
	s_movk_i32 s41, 0x80
	s_movk_i32 s42, 0x7f
	s_mov_b32 s43, 0x8000
	v_mov_b32_e32 v19, 0x2000
	v_mov_b32_e32 v13, 0
	;; [unrolled: 1-line block ×3, first 2 shown]
	s_branch .LBB220_101
.LBB220_98:                             ;   in Loop: Header=BB220_101 Depth=1
	s_or_b64 exec, exec, s[4:5]
	;;#ASMSTART
	v_pk_mul_f16 v5, v23, v5;

	;;#ASMEND
	;;#ASMSTART
	v_pk_mul_f16 v1, v22, v1;

	;;#ASMEND
	;; [unrolled: 4-line block ×4, first 2 shown]
	;;#ASMSTART
	v_pk_add_f16 v1, v5, v1;

	;;#ASMEND
	;;#ASMSTART
	v_pk_add_f16 v1, v1, v6;

	;;#ASMEND
	;; [unrolled: 4-line block ×3, first 2 shown]
	v_lshrrev_b32_e32 v5, 16, v1
	v_and_b32_e32 v1, 0xffff, v1
	;;#ASMSTART
	v_cvt_f32_f16 v1, v1;
	;;#ASMEND
	;;#ASMSTART
	v_cvt_f32_f16 v5, v5;
	;;#ASMEND
	v_add_f32_e32 v1, v1, v5
	v_add_f32_e32 v13, v13, v1
.LBB220_99:                             ;   in Loop: Header=BB220_101 Depth=1
	s_or_b64 exec, exec, s[20:21]
	v_add_f32_e32 v1, v7, v8
	v_add_f32_e32 v14, v14, v1
.LBB220_100:                            ;   in Loop: Header=BB220_101 Depth=1
	s_or_b64 exec, exec, s[18:19]
	v_add_co_u32_e64 v3, s[2:3], 8, v3
	v_add_u32_e32 v10, 2, v10
	v_addc_co_u32_e64 v4, s[2:3], 0, v4, s[2:3]
	v_cmp_le_i32_e64 s[2:3], s50, v10
	v_add_u32_e32 v11, 16, v11
	s_or_b64 s[16:17], s[2:3], s[16:17]
	v_add_u32_e32 v18, 64, v18
	s_andn2_b64 exec, exec, s[16:17]
	s_cbranch_execz .LBB220_203
.LBB220_101:                            ; =>This Inner Loop Header: Depth=1
	v_mul_hi_u32 v1, v11, s48
	v_mul_lo_u32 v5, v1, s33
	v_add_u32_e32 v6, 1, v1
	v_sub_u32_e32 v5, v11, v5
	v_cmp_le_u32_e64 s[2:3], s33, v5
	v_cndmask_b32_e64 v1, v1, v6, s[2:3]
	v_subrev_u32_e32 v6, s33, v5
	v_cndmask_b32_e64 v5, v5, v6, s[2:3]
	v_add_u32_e32 v6, 1, v1
	v_cmp_le_u32_e64 s[2:3], s33, v5
	v_cndmask_b32_e64 v1, v1, v6, s[2:3]
	v_xor_b32_e32 v1, s49, v1
	v_subrev_u32_e32 v1, s49, v1
	v_add_u32_e32 v5, s38, v1
	v_sub_u32_e32 v6, 0, v5
	v_max_i32_e32 v6, v5, v6
	v_mul_hi_u32 v7, v6, v17
	v_ashrrev_i32_e32 v5, 31, v5
	v_cmp_lt_i32_e64 s[4:5], s39, v1
	v_mul_lo_u32 v7, v7, s36
	v_sub_u32_e32 v6, v6, v7
	v_subrev_u32_e32 v7, s36, v6
	v_cmp_le_u32_e64 s[2:3], s36, v6
	v_cndmask_b32_e64 v6, v6, v7, s[2:3]
	v_subrev_u32_e32 v7, s36, v6
	v_cmp_le_u32_e64 s[2:3], s36, v6
	v_cndmask_b32_e64 v6, v6, v7, s[2:3]
	v_xor_b32_e32 v6, v6, v5
	v_sub_u32_e32 v5, v6, v5
	v_cmp_eq_u32_e64 s[2:3], 0, v5
	s_or_b64 s[2:3], s[2:3], s[4:5]
	s_and_saveexec_b64 s[18:19], s[2:3]
	s_cbranch_execz .LBB220_100
; %bb.102:                              ;   in Loop: Header=BB220_101 Depth=1
	global_load_dword v1, v[3:4], off
	ds_read2_b64 v[5:8], v18 offset1:1
	ds_read2_b64 v[25:28], v18 offset0:2 offset1:3
	v_mov_b32_e32 v30, s11
	v_mov_b32_e32 v29, s10
	s_waitcnt lgkmcnt(1)
	;;#ASMSTART
	v_cvt_f16_f32 v20, v5;

	;;#ASMEND
	;;#ASMSTART
	v_cvt_f16_f32 v21, v6;

	;;#ASMEND
	;;#ASMSTART
	v_cvt_f16_f32 v22, v7;

	;;#ASMEND
	;;#ASMSTART
	v_cvt_f16_f32 v24, v8;

	;;#ASMEND
	s_waitcnt lgkmcnt(0)
	;;#ASMSTART
	v_cvt_f16_f32 v25, v25;

	;;#ASMEND
	;;#ASMSTART
	v_cvt_f16_f32 v26, v26;

	;;#ASMEND
	;; [unrolled: 4-line block ×4, first 2 shown]
	s_waitcnt vmcnt(0)
	v_mad_i64_i32 v[5:6], s[2:3], v1, s37, v[29:30]
	v_mov_b32_e32 v29, 0
	global_load_dword v23, v29, s[14:15]
	v_add_co_u32_e64 v7, s[2:3], v5, v15
	v_addc_co_u32_e64 v8, s[2:3], 0, v6, s[2:3]
	global_load_dwordx2 v[7:8], v[7:8], off
	v_mov_b32_e32 v30, 0
	s_waitcnt vmcnt(0)
	v_cmp_ne_u16_sdwa s[2:3], v7, v2 src0_sel:BYTE_0 src1_sel:DWORD
	s_and_saveexec_b64 s[4:5], s[2:3]
	s_cbranch_execz .LBB220_108
; %bb.103:                              ;   in Loop: Header=BB220_101 Depth=1
	v_cmp_ne_u16_sdwa s[2:3], v7, s41 src0_sel:BYTE_0 src1_sel:DWORD
	v_mov_b32_e32 v30, 0x8000
	s_and_saveexec_b64 s[20:21], s[2:3]
	s_cbranch_execz .LBB220_107
; %bb.104:                              ;   in Loop: Header=BB220_101 Depth=1
	v_and_b32_e32 v1, 0x7f, v7
	v_cmp_ne_u32_e64 s[2:3], s42, v1
	v_mov_b32_e32 v30, 0x7c01
	s_and_saveexec_b64 s[22:23], s[2:3]
	s_cbranch_execz .LBB220_106
; %bb.105:                              ;   in Loop: Header=BB220_101 Depth=1
	v_and_b32_e32 v32, 7, v7
	v_ffbh_u32_e32 v30, v32
	v_min_u32_e32 v34, 32, v30
	v_subrev_u32_e32 v30, 28, v34
	v_lshlrev_b64 v[30:31], v30, v[7:8]
	v_lshrrev_b32_e32 v33, 3, v1
	v_sub_u32_e32 v31, 29, v34
	v_cmp_gt_u32_e64 s[2:3], 8, v1
	v_cndmask_b32_e64 v1, v33, v31, s[2:3]
	v_lshl_add_u32 v1, v1, 10, v19
	v_lshlrev_b32_e32 v31, 8, v7
	v_and_b32_e32 v30, 7, v30
	v_and_b32_e32 v1, 0xfc00, v1
	v_cndmask_b32_e64 v30, v32, v30, s[2:3]
	v_and_or_b32 v1, v31, s43, v1
	v_lshl_or_b32 v30, v30, 7, v1
.LBB220_106:                            ;   in Loop: Header=BB220_101 Depth=1
	s_or_b64 exec, exec, s[22:23]
.LBB220_107:                            ;   in Loop: Header=BB220_101 Depth=1
	s_or_b64 exec, exec, s[20:21]
.LBB220_108:                            ;   in Loop: Header=BB220_101 Depth=1
	s_or_b64 exec, exec, s[4:5]
	v_lshrrev_b16_e32 v1, 8, v7
	v_cmp_ne_u16_e64 s[2:3], 0, v1
	s_and_saveexec_b64 s[4:5], s[2:3]
	s_cbranch_execz .LBB220_114
; %bb.109:                              ;   in Loop: Header=BB220_101 Depth=1
	v_cmp_ne_u16_e64 s[2:3], s41, v1
	v_bfrev_b32_e32 v29, 1
	s_and_saveexec_b64 s[20:21], s[2:3]
	s_cbranch_execz .LBB220_113
; %bb.110:                              ;   in Loop: Header=BB220_101 Depth=1
	v_and_b32_e32 v31, 0x7f, v1
	v_cmp_ne_u32_e64 s[2:3], s42, v31
	v_mov_b32_e32 v29, 0x7c010000
	s_and_saveexec_b64 s[22:23], s[2:3]
	s_cbranch_execz .LBB220_112
; %bb.111:                              ;   in Loop: Header=BB220_101 Depth=1
	v_and_b32_e32 v29, 7, v1
	v_ffbh_u32_e32 v32, v29
	v_min_u32_e32 v35, 32, v32
	v_subrev_u32_e32 v32, 28, v35
	v_lshlrev_b64 v[32:33], v32, v[1:2]
	v_lshrrev_b32_e32 v34, 3, v31
	v_sub_u32_e32 v33, 29, v35
	v_cmp_gt_u32_e64 s[2:3], 8, v31
	v_cndmask_b32_e64 v31, v34, v33, s[2:3]
	v_lshlrev_b32_e32 v1, 8, v1
	v_lshl_add_u32 v31, v31, 10, v19
	v_and_b32_e32 v32, 7, v32
	v_and_or_b32 v1, v1, s43, v31
	v_cndmask_b32_e64 v29, v29, v32, s[2:3]
	v_lshlrev_b32_e32 v1, 16, v1
	v_lshl_or_b32 v29, v29, 23, v1
.LBB220_112:                            ;   in Loop: Header=BB220_101 Depth=1
	s_or_b64 exec, exec, s[22:23]
.LBB220_113:                            ;   in Loop: Header=BB220_101 Depth=1
	s_or_b64 exec, exec, s[20:21]
.LBB220_114:                            ;   in Loop: Header=BB220_101 Depth=1
	s_or_b64 exec, exec, s[4:5]
	v_lshrrev_b32_e32 v1, 16, v7
	v_cmp_ne_u16_sdwa s[2:3], v1, v2 src0_sel:BYTE_0 src1_sel:DWORD
	v_mov_b32_e32 v31, 0
	v_mov_b32_e32 v32, 0
	s_and_saveexec_b64 s[4:5], s[2:3]
	s_cbranch_execz .LBB220_120
; %bb.115:                              ;   in Loop: Header=BB220_101 Depth=1
	v_cmp_ne_u16_sdwa s[2:3], v1, s41 src0_sel:BYTE_0 src1_sel:DWORD
	v_mov_b32_e32 v32, 0x8000
	s_and_saveexec_b64 s[20:21], s[2:3]
	s_cbranch_execz .LBB220_119
; %bb.116:                              ;   in Loop: Header=BB220_101 Depth=1
	v_bfe_u32 v33, v7, 16, 7
	v_cmp_ne_u32_e64 s[2:3], s42, v33
	v_mov_b32_e32 v32, 0x7c01
	s_and_saveexec_b64 s[22:23], s[2:3]
	s_cbranch_execz .LBB220_118
; %bb.117:                              ;   in Loop: Header=BB220_101 Depth=1
	v_and_b32_e32 v32, 7, v1
	v_ffbh_u32_e32 v34, v32
	v_min_u32_e32 v37, 32, v34
	v_subrev_u32_e32 v34, 28, v37
	v_lshlrev_b64 v[34:35], v34, v[1:2]
	v_lshrrev_b32_e32 v36, 3, v33
	v_sub_u32_e32 v35, 29, v37
	v_cmp_gt_u32_e64 s[2:3], 8, v33
	v_cndmask_b32_e64 v33, v36, v35, s[2:3]
	v_lshl_add_u32 v33, v33, 10, v19
	v_lshlrev_b32_e32 v1, 8, v1
	v_and_b32_e32 v34, 7, v34
	v_and_b32_e32 v33, 0xfc00, v33
	v_cndmask_b32_e64 v32, v32, v34, s[2:3]
	v_and_or_b32 v1, v1, s43, v33
	v_lshl_or_b32 v32, v32, 7, v1
.LBB220_118:                            ;   in Loop: Header=BB220_101 Depth=1
	s_or_b64 exec, exec, s[22:23]
.LBB220_119:                            ;   in Loop: Header=BB220_101 Depth=1
	s_or_b64 exec, exec, s[20:21]
.LBB220_120:                            ;   in Loop: Header=BB220_101 Depth=1
	s_or_b64 exec, exec, s[4:5]
	v_cmp_lt_u32_e64 s[2:3], s13, v7
	s_and_saveexec_b64 s[4:5], s[2:3]
	s_cbranch_execz .LBB220_126
; %bb.121:                              ;   in Loop: Header=BB220_101 Depth=1
	v_lshrrev_b32_e32 v1, 24, v7
	v_cmp_ne_u32_e64 s[2:3], s41, v1
	v_bfrev_b32_e32 v31, 1
	s_and_saveexec_b64 s[20:21], s[2:3]
	s_cbranch_execz .LBB220_125
; %bb.122:                              ;   in Loop: Header=BB220_101 Depth=1
	v_and_b32_e32 v33, 0x7f, v1
	v_cmp_ne_u32_e64 s[2:3], s42, v33
	v_mov_b32_e32 v31, 0x7c010000
	s_and_saveexec_b64 s[22:23], s[2:3]
	s_cbranch_execz .LBB220_124
; %bb.123:                              ;   in Loop: Header=BB220_101 Depth=1
	v_and_b32_e32 v31, 7, v1
	v_ffbh_u32_e32 v34, v31
	v_min_u32_e32 v37, 32, v34
	v_subrev_u32_e32 v34, 28, v37
	v_lshlrev_b64 v[34:35], v34, v[1:2]
	v_lshrrev_b32_e32 v36, 3, v33
	v_sub_u32_e32 v35, 29, v37
	v_cmp_gt_u32_e64 s[2:3], 8, v33
	v_cndmask_b32_e64 v33, v36, v35, s[2:3]
	v_lshlrev_b32_e32 v1, 8, v1
	v_lshl_add_u32 v33, v33, 10, v19
	v_and_b32_e32 v34, 7, v34
	v_and_or_b32 v1, v1, s43, v33
	v_cndmask_b32_e64 v31, v31, v34, s[2:3]
	v_lshlrev_b32_e32 v1, 16, v1
	v_lshl_or_b32 v31, v31, 23, v1
.LBB220_124:                            ;   in Loop: Header=BB220_101 Depth=1
	s_or_b64 exec, exec, s[22:23]
.LBB220_125:                            ;   in Loop: Header=BB220_101 Depth=1
	s_or_b64 exec, exec, s[20:21]
.LBB220_126:                            ;   in Loop: Header=BB220_101 Depth=1
	s_or_b64 exec, exec, s[4:5]
	v_mov_b32_e32 v1, v8
	v_cmp_ne_u16_sdwa s[2:3], v8, v2 src0_sel:BYTE_0 src1_sel:DWORD
	v_mov_b32_e32 v33, 0
	v_mov_b32_e32 v34, 0
	s_and_saveexec_b64 s[4:5], s[2:3]
	s_cbranch_execz .LBB220_132
; %bb.127:                              ;   in Loop: Header=BB220_101 Depth=1
	v_cmp_ne_u16_sdwa s[2:3], v8, s41 src0_sel:BYTE_0 src1_sel:DWORD
	v_mov_b32_e32 v34, 0x8000
	s_and_saveexec_b64 s[20:21], s[2:3]
	s_cbranch_execz .LBB220_131
; %bb.128:                              ;   in Loop: Header=BB220_101 Depth=1
	v_and_b32_e32 v35, 0x7f, v8
	v_cmp_ne_u32_e64 s[2:3], s42, v35
	v_mov_b32_e32 v34, 0x7c01
	s_and_saveexec_b64 s[22:23], s[2:3]
	s_cbranch_execz .LBB220_130
; %bb.129:                              ;   in Loop: Header=BB220_101 Depth=1
	v_and_b32_e32 v34, 7, v8
	v_ffbh_u32_e32 v36, v34
	v_min_u32_e32 v39, 32, v36
	v_subrev_u32_e32 v36, 28, v39
	v_lshlrev_b64 v[36:37], v36, v[1:2]
	v_lshrrev_b32_e32 v38, 3, v35
	v_sub_u32_e32 v37, 29, v39
	v_cmp_gt_u32_e64 s[2:3], 8, v35
	v_cndmask_b32_e64 v35, v38, v37, s[2:3]
	v_lshl_add_u32 v35, v35, 10, v19
	v_lshlrev_b32_e32 v37, 8, v8
	v_and_b32_e32 v36, 7, v36
	v_and_b32_e32 v35, 0xfc00, v35
	v_cndmask_b32_e64 v34, v34, v36, s[2:3]
	v_and_or_b32 v35, v37, s43, v35
	v_lshl_or_b32 v34, v34, 7, v35
.LBB220_130:                            ;   in Loop: Header=BB220_101 Depth=1
	s_or_b64 exec, exec, s[22:23]
.LBB220_131:                            ;   in Loop: Header=BB220_101 Depth=1
	s_or_b64 exec, exec, s[20:21]
.LBB220_132:                            ;   in Loop: Header=BB220_101 Depth=1
	s_or_b64 exec, exec, s[4:5]
	v_lshrrev_b16_e32 v1, 8, v1
	v_cmp_ne_u16_e64 s[2:3], 0, v1
	v_mov_b32_e32 v35, 0
	s_and_saveexec_b64 s[4:5], s[2:3]
	s_cbranch_execz .LBB220_138
; %bb.133:                              ;   in Loop: Header=BB220_101 Depth=1
	v_cmp_ne_u16_e64 s[2:3], s41, v1
	v_bfrev_b32_e32 v35, 1
	s_and_saveexec_b64 s[20:21], s[2:3]
	s_cbranch_execz .LBB220_137
; %bb.134:                              ;   in Loop: Header=BB220_101 Depth=1
	v_and_b32_e32 v36, 0x7f, v1
	v_cmp_ne_u32_e64 s[2:3], s42, v36
	v_mov_b32_e32 v35, 0x7c010000
	s_and_saveexec_b64 s[22:23], s[2:3]
	s_cbranch_execz .LBB220_136
; %bb.135:                              ;   in Loop: Header=BB220_101 Depth=1
	v_and_b32_e32 v35, 7, v1
	v_ffbh_u32_e32 v37, v35
	v_min_u32_e32 v40, 32, v37
	v_subrev_u32_e32 v37, 28, v40
	v_lshlrev_b64 v[37:38], v37, v[1:2]
	v_lshrrev_b32_e32 v39, 3, v36
	v_sub_u32_e32 v38, 29, v40
	v_cmp_gt_u32_e64 s[2:3], 8, v36
	v_cndmask_b32_e64 v36, v39, v38, s[2:3]
	v_lshlrev_b32_e32 v1, 8, v1
	v_lshl_add_u32 v36, v36, 10, v19
	v_and_b32_e32 v37, 7, v37
	v_and_or_b32 v1, v1, s43, v36
	v_cndmask_b32_e64 v35, v35, v37, s[2:3]
	v_lshlrev_b32_e32 v1, 16, v1
	v_lshl_or_b32 v35, v35, 23, v1
.LBB220_136:                            ;   in Loop: Header=BB220_101 Depth=1
	s_or_b64 exec, exec, s[22:23]
.LBB220_137:                            ;   in Loop: Header=BB220_101 Depth=1
	s_or_b64 exec, exec, s[20:21]
.LBB220_138:                            ;   in Loop: Header=BB220_101 Depth=1
	s_or_b64 exec, exec, s[4:5]
	v_lshrrev_b32_e32 v1, 16, v8
	v_cmp_ne_u16_sdwa s[2:3], v1, v2 src0_sel:BYTE_0 src1_sel:DWORD
	s_and_saveexec_b64 s[4:5], s[2:3]
	s_cbranch_execz .LBB220_144
; %bb.139:                              ;   in Loop: Header=BB220_101 Depth=1
	v_cmp_ne_u16_sdwa s[2:3], v1, s41 src0_sel:BYTE_0 src1_sel:DWORD
	v_mov_b32_e32 v33, 0x8000
	s_and_saveexec_b64 s[20:21], s[2:3]
	s_cbranch_execz .LBB220_143
; %bb.140:                              ;   in Loop: Header=BB220_101 Depth=1
	v_bfe_u32 v36, v8, 16, 7
	v_cmp_ne_u32_e64 s[2:3], s42, v36
	v_mov_b32_e32 v33, 0x7c01
	s_and_saveexec_b64 s[22:23], s[2:3]
	s_cbranch_execz .LBB220_142
; %bb.141:                              ;   in Loop: Header=BB220_101 Depth=1
	v_and_b32_e32 v33, 7, v1
	v_ffbh_u32_e32 v37, v33
	v_min_u32_e32 v40, 32, v37
	v_subrev_u32_e32 v37, 28, v40
	v_lshlrev_b64 v[37:38], v37, v[1:2]
	v_lshrrev_b32_e32 v39, 3, v36
	v_sub_u32_e32 v38, 29, v40
	v_cmp_gt_u32_e64 s[2:3], 8, v36
	v_cndmask_b32_e64 v36, v39, v38, s[2:3]
	v_lshl_add_u32 v36, v36, 10, v19
	v_lshlrev_b32_e32 v1, 8, v1
	v_and_b32_e32 v37, 7, v37
	v_and_b32_e32 v36, 0xfc00, v36
	v_cndmask_b32_e64 v33, v33, v37, s[2:3]
	v_and_or_b32 v1, v1, s43, v36
	v_lshl_or_b32 v33, v33, 7, v1
.LBB220_142:                            ;   in Loop: Header=BB220_101 Depth=1
	s_or_b64 exec, exec, s[22:23]
.LBB220_143:                            ;   in Loop: Header=BB220_101 Depth=1
	s_or_b64 exec, exec, s[20:21]
.LBB220_144:                            ;   in Loop: Header=BB220_101 Depth=1
	s_or_b64 exec, exec, s[4:5]
	v_cmp_lt_u64_e64 s[2:3], s[12:13], v[7:8]
	v_mov_b32_e32 v36, 0
	s_and_saveexec_b64 s[4:5], s[2:3]
	s_cbranch_execz .LBB220_150
; %bb.145:                              ;   in Loop: Header=BB220_101 Depth=1
	v_lshrrev_b32_e32 v1, 24, v8
	v_cmp_ne_u32_e64 s[2:3], s41, v1
	v_bfrev_b32_e32 v36, 1
	s_and_saveexec_b64 s[20:21], s[2:3]
	s_cbranch_execz .LBB220_149
; %bb.146:                              ;   in Loop: Header=BB220_101 Depth=1
	v_and_b32_e32 v7, 0x7f, v1
	v_cmp_ne_u32_e64 s[2:3], s42, v7
	v_mov_b32_e32 v36, 0x7c010000
	s_and_saveexec_b64 s[22:23], s[2:3]
	s_cbranch_execz .LBB220_148
; %bb.147:                              ;   in Loop: Header=BB220_101 Depth=1
	v_and_b32_e32 v8, 7, v1
	v_ffbh_u32_e32 v36, v8
	v_min_u32_e32 v39, 32, v36
	v_subrev_u32_e32 v36, 28, v39
	v_lshlrev_b64 v[36:37], v36, v[1:2]
	v_lshrrev_b32_e32 v38, 3, v7
	v_sub_u32_e32 v37, 29, v39
	v_cmp_gt_u32_e64 s[2:3], 8, v7
	v_cndmask_b32_e64 v7, v38, v37, s[2:3]
	v_lshlrev_b32_e32 v1, 8, v1
	v_lshl_add_u32 v7, v7, 10, v19
	v_and_b32_e32 v36, 7, v36
	v_and_or_b32 v1, v1, s43, v7
	v_cndmask_b32_e64 v8, v8, v36, s[2:3]
	v_lshlrev_b32_e32 v1, 16, v1
	v_lshl_or_b32 v36, v8, 23, v1
.LBB220_148:                            ;   in Loop: Header=BB220_101 Depth=1
	s_or_b64 exec, exec, s[22:23]
.LBB220_149:                            ;   in Loop: Header=BB220_101 Depth=1
	s_or_b64 exec, exec, s[20:21]
.LBB220_150:                            ;   in Loop: Header=BB220_101 Depth=1
	s_or_b64 exec, exec, s[4:5]
	v_fma_mixlo_f16 v7, v23, v31, 0 op_sel:[0,1,0] op_sel_hi:[0,1,0]
	v_fma_mixlo_f16 v8, v23, v29, 0 op_sel:[0,1,0] op_sel_hi:[0,1,0]
	v_or_b32_e32 v1, v31, v32
	v_lshlrev_b32_e32 v31, 16, v7
	v_or_b32_e32 v7, v29, v30
	v_lshlrev_b32_e32 v37, 16, v8
	v_or_b32_e32 v8, v35, v34
	v_or_b32_e32 v30, v36, v33
	v_fma_mixlo_f16 v1, v23, v1, 0 op_sel_hi:[0,1,0]
	v_fma_mixlo_f16 v7, v23, v7, 0 op_sel_hi:[0,1,0]
	v_fma_mixlo_f16 v29, v23, v35, 0 op_sel:[0,1,0] op_sel_hi:[0,1,0]
	v_fma_mixlo_f16 v8, v23, v8, 0 op_sel_hi:[0,1,0]
	v_fma_mixlo_f16 v30, v23, v30, 0 op_sel_hi:[0,1,0]
	v_fma_mixlo_f16 v23, v23, v36, 0 op_sel:[0,1,0] op_sel_hi:[0,1,0]
	v_and_b32_e32 v32, 0xffff, v1
	v_and_b32_e32 v38, 0xffff, v7
	v_lshlrev_b32_e32 v29, 16, v29
	v_and_b32_e32 v34, 0xffff, v8
	v_lshlrev_b32_e32 v23, 16, v23
	v_and_b32_e32 v30, 0xffff, v30
	v_cmp_eq_u32_e64 s[2:3], s40, v10
	v_or_b32_e32 v1, v31, v32
	v_or_b32_e32 v7, v37, v38
	;; [unrolled: 1-line block ×4, first 2 shown]
	s_and_saveexec_b64 s[20:21], s[2:3]
	s_cbranch_execz .LBB220_152
; %bb.151:                              ;   in Loop: Header=BB220_101 Depth=1
	v_cmp_gt_i32_e64 s[4:5], s25, v11
	v_add_u32_e32 v7, 1, v11
	v_cndmask_b32_e64 v1, 0, v38, s[4:5]
	v_cmp_gt_i32_e64 s[4:5], s25, v7
	v_cndmask_b32_e64 v7, 0, v37, s[4:5]
	v_or_b32_e32 v7, v7, v1
	v_add_u32_e32 v1, 2, v11
	v_cmp_gt_i32_e64 s[4:5], s25, v1
	v_add_u32_e32 v8, 3, v11
	v_cndmask_b32_e64 v1, 0, v32, s[4:5]
	v_cmp_gt_i32_e64 s[4:5], s25, v8
	v_cndmask_b32_e64 v8, 0, v31, s[4:5]
	v_or_b32_e32 v1, v8, v1
	v_add_u32_e32 v8, 4, v11
	;; [unrolled: 7-line block ×3, first 2 shown]
	v_cmp_gt_i32_e64 s[4:5], s25, v29
	v_cndmask_b32_e64 v29, 0, v30, s[4:5]
	v_add_u32_e32 v30, 7, v11
	v_cmp_gt_i32_e64 s[4:5], s25, v30
	v_cndmask_b32_e64 v23, 0, v23, s[4:5]
	v_or_b32_e32 v33, v23, v29
.LBB220_152:                            ;   in Loop: Header=BB220_101 Depth=1
	s_or_b64 exec, exec, s[20:21]
	v_and_b32_e32 v20, 0xffff, v20
	v_lshl_or_b32 v23, v21, 16, v20
	v_and_b32_e32 v20, 0xffff, v22
	v_lshl_or_b32 v22, v24, 16, v20
	v_and_b32_e32 v20, 0xffff, v25
	v_lshl_or_b32 v21, v26, 16, v20
	v_and_b32_e32 v20, 0xffff, v27
	;;#ASMSTART
	v_pk_mul_f16 v7, v23, v7;

	;;#ASMEND
	;;#ASMSTART
	v_pk_mul_f16 v1, v22, v1;

	;;#ASMEND
	v_lshl_or_b32 v20, v28, 16, v20
	;;#ASMSTART
	v_pk_mul_f16 v8, v21, v8;

	;;#ASMEND
	;;#ASMSTART
	v_pk_mul_f16 v24, v20, v33;

	;;#ASMEND
	;;#ASMSTART
	v_pk_add_f16 v1, v7, v1;

	;;#ASMEND
	;;#ASMSTART
	v_pk_add_f16 v1, v1, v8;
	;; [unrolled: 4-line block ×3, first 2 shown]

	;;#ASMEND
	v_lshrrev_b32_e32 v8, 16, v1
	v_and_b32_e32 v1, 0xffff, v1
	;;#ASMSTART
	v_cvt_f32_f16 v7, v1;
	;;#ASMEND
	;;#ASMSTART
	v_cvt_f32_f16 v8, v8;
	;;#ASMEND
	s_and_saveexec_b64 s[20:21], vcc
	s_cbranch_execz .LBB220_99
; %bb.153:                              ;   in Loop: Header=BB220_101 Depth=1
	v_add_co_u32_e64 v5, s[4:5], v5, v16
	v_addc_co_u32_e64 v6, s[4:5], 0, v6, s[4:5]
	global_load_dwordx2 v[5:6], v[5:6], off
	v_mov_b32_e32 v25, 0
	global_load_dword v24, v25, s[14:15]
	v_mov_b32_e32 v26, 0
	s_waitcnt vmcnt(1)
	v_cmp_ne_u16_sdwa s[4:5], v5, v2 src0_sel:BYTE_0 src1_sel:DWORD
	s_and_saveexec_b64 s[22:23], s[4:5]
	s_cbranch_execz .LBB220_159
; %bb.154:                              ;   in Loop: Header=BB220_101 Depth=1
	v_cmp_ne_u16_sdwa s[4:5], v5, s41 src0_sel:BYTE_0 src1_sel:DWORD
	v_mov_b32_e32 v26, 0x8000
	s_and_saveexec_b64 s[30:31], s[4:5]
	s_cbranch_execz .LBB220_158
; %bb.155:                              ;   in Loop: Header=BB220_101 Depth=1
	v_and_b32_e32 v1, 0x7f, v5
	v_cmp_ne_u32_e64 s[4:5], s42, v1
	v_mov_b32_e32 v26, 0x7c01
	s_and_saveexec_b64 s[34:35], s[4:5]
	s_cbranch_execz .LBB220_157
; %bb.156:                              ;   in Loop: Header=BB220_101 Depth=1
	v_and_b32_e32 v28, 7, v5
	v_ffbh_u32_e32 v26, v28
	v_min_u32_e32 v30, 32, v26
	v_subrev_u32_e32 v26, 28, v30
	v_lshlrev_b64 v[26:27], v26, v[5:6]
	v_lshrrev_b32_e32 v29, 3, v1
	v_sub_u32_e32 v27, 29, v30
	v_cmp_gt_u32_e64 s[4:5], 8, v1
	v_cndmask_b32_e64 v1, v29, v27, s[4:5]
	v_lshl_add_u32 v1, v1, 10, v19
	v_lshlrev_b32_e32 v27, 8, v5
	v_and_b32_e32 v26, 7, v26
	v_and_b32_e32 v1, 0xfc00, v1
	v_cndmask_b32_e64 v26, v28, v26, s[4:5]
	v_and_or_b32 v1, v27, s43, v1
	v_lshl_or_b32 v26, v26, 7, v1
.LBB220_157:                            ;   in Loop: Header=BB220_101 Depth=1
	s_or_b64 exec, exec, s[34:35]
.LBB220_158:                            ;   in Loop: Header=BB220_101 Depth=1
	s_or_b64 exec, exec, s[30:31]
.LBB220_159:                            ;   in Loop: Header=BB220_101 Depth=1
	s_or_b64 exec, exec, s[22:23]
	v_lshrrev_b16_e32 v1, 8, v5
	v_cmp_ne_u16_e64 s[4:5], 0, v1
	s_and_saveexec_b64 s[22:23], s[4:5]
	s_cbranch_execz .LBB220_165
; %bb.160:                              ;   in Loop: Header=BB220_101 Depth=1
	v_cmp_ne_u16_e64 s[4:5], s41, v1
	v_bfrev_b32_e32 v25, 1
	s_and_saveexec_b64 s[30:31], s[4:5]
	s_cbranch_execz .LBB220_164
; %bb.161:                              ;   in Loop: Header=BB220_101 Depth=1
	v_and_b32_e32 v27, 0x7f, v1
	v_cmp_ne_u32_e64 s[4:5], s42, v27
	v_mov_b32_e32 v25, 0x7c010000
	s_and_saveexec_b64 s[34:35], s[4:5]
	s_cbranch_execz .LBB220_163
; %bb.162:                              ;   in Loop: Header=BB220_101 Depth=1
	v_and_b32_e32 v25, 7, v1
	v_ffbh_u32_e32 v28, v25
	v_min_u32_e32 v31, 32, v28
	v_subrev_u32_e32 v28, 28, v31
	v_lshlrev_b64 v[28:29], v28, v[1:2]
	v_lshrrev_b32_e32 v30, 3, v27
	v_sub_u32_e32 v29, 29, v31
	v_cmp_gt_u32_e64 s[4:5], 8, v27
	v_cndmask_b32_e64 v27, v30, v29, s[4:5]
	v_lshlrev_b32_e32 v1, 8, v1
	v_lshl_add_u32 v27, v27, 10, v19
	v_and_b32_e32 v28, 7, v28
	v_and_or_b32 v1, v1, s43, v27
	v_cndmask_b32_e64 v25, v25, v28, s[4:5]
	v_lshlrev_b32_e32 v1, 16, v1
	v_lshl_or_b32 v25, v25, 23, v1
.LBB220_163:                            ;   in Loop: Header=BB220_101 Depth=1
	s_or_b64 exec, exec, s[34:35]
.LBB220_164:                            ;   in Loop: Header=BB220_101 Depth=1
	s_or_b64 exec, exec, s[30:31]
.LBB220_165:                            ;   in Loop: Header=BB220_101 Depth=1
	s_or_b64 exec, exec, s[22:23]
	v_lshrrev_b32_e32 v1, 16, v5
	v_cmp_ne_u16_sdwa s[4:5], v1, v2 src0_sel:BYTE_0 src1_sel:DWORD
	v_mov_b32_e32 v27, 0
	v_mov_b32_e32 v28, 0
	s_and_saveexec_b64 s[22:23], s[4:5]
	s_cbranch_execz .LBB220_171
; %bb.166:                              ;   in Loop: Header=BB220_101 Depth=1
	v_cmp_ne_u16_sdwa s[4:5], v1, s41 src0_sel:BYTE_0 src1_sel:DWORD
	v_mov_b32_e32 v28, 0x8000
	s_and_saveexec_b64 s[30:31], s[4:5]
	s_cbranch_execz .LBB220_170
; %bb.167:                              ;   in Loop: Header=BB220_101 Depth=1
	v_bfe_u32 v29, v5, 16, 7
	v_cmp_ne_u32_e64 s[4:5], s42, v29
	v_mov_b32_e32 v28, 0x7c01
	s_and_saveexec_b64 s[34:35], s[4:5]
	s_cbranch_execz .LBB220_169
; %bb.168:                              ;   in Loop: Header=BB220_101 Depth=1
	v_and_b32_e32 v28, 7, v1
	v_ffbh_u32_e32 v30, v28
	v_min_u32_e32 v33, 32, v30
	v_subrev_u32_e32 v30, 28, v33
	v_lshlrev_b64 v[30:31], v30, v[1:2]
	v_lshrrev_b32_e32 v32, 3, v29
	v_sub_u32_e32 v31, 29, v33
	v_cmp_gt_u32_e64 s[4:5], 8, v29
	v_cndmask_b32_e64 v29, v32, v31, s[4:5]
	v_lshl_add_u32 v29, v29, 10, v19
	v_lshlrev_b32_e32 v1, 8, v1
	v_and_b32_e32 v30, 7, v30
	v_and_b32_e32 v29, 0xfc00, v29
	v_cndmask_b32_e64 v28, v28, v30, s[4:5]
	v_and_or_b32 v1, v1, s43, v29
	v_lshl_or_b32 v28, v28, 7, v1
.LBB220_169:                            ;   in Loop: Header=BB220_101 Depth=1
	s_or_b64 exec, exec, s[34:35]
.LBB220_170:                            ;   in Loop: Header=BB220_101 Depth=1
	s_or_b64 exec, exec, s[30:31]
.LBB220_171:                            ;   in Loop: Header=BB220_101 Depth=1
	s_or_b64 exec, exec, s[22:23]
	v_cmp_lt_u32_e64 s[4:5], s13, v5
	s_and_saveexec_b64 s[22:23], s[4:5]
	s_cbranch_execz .LBB220_177
; %bb.172:                              ;   in Loop: Header=BB220_101 Depth=1
	v_lshrrev_b32_e32 v1, 24, v5
	v_cmp_ne_u32_e64 s[4:5], s41, v1
	v_bfrev_b32_e32 v27, 1
	s_and_saveexec_b64 s[30:31], s[4:5]
	s_cbranch_execz .LBB220_176
; %bb.173:                              ;   in Loop: Header=BB220_101 Depth=1
	v_and_b32_e32 v29, 0x7f, v1
	v_cmp_ne_u32_e64 s[4:5], s42, v29
	v_mov_b32_e32 v27, 0x7c010000
	s_and_saveexec_b64 s[34:35], s[4:5]
	s_cbranch_execz .LBB220_175
; %bb.174:                              ;   in Loop: Header=BB220_101 Depth=1
	v_and_b32_e32 v27, 7, v1
	v_ffbh_u32_e32 v30, v27
	v_min_u32_e32 v33, 32, v30
	v_subrev_u32_e32 v30, 28, v33
	v_lshlrev_b64 v[30:31], v30, v[1:2]
	v_lshrrev_b32_e32 v32, 3, v29
	v_sub_u32_e32 v31, 29, v33
	v_cmp_gt_u32_e64 s[4:5], 8, v29
	v_cndmask_b32_e64 v29, v32, v31, s[4:5]
	v_lshlrev_b32_e32 v1, 8, v1
	v_lshl_add_u32 v29, v29, 10, v19
	v_and_b32_e32 v30, 7, v30
	v_and_or_b32 v1, v1, s43, v29
	v_cndmask_b32_e64 v27, v27, v30, s[4:5]
	v_lshlrev_b32_e32 v1, 16, v1
	v_lshl_or_b32 v27, v27, 23, v1
.LBB220_175:                            ;   in Loop: Header=BB220_101 Depth=1
	s_or_b64 exec, exec, s[34:35]
.LBB220_176:                            ;   in Loop: Header=BB220_101 Depth=1
	s_or_b64 exec, exec, s[30:31]
.LBB220_177:                            ;   in Loop: Header=BB220_101 Depth=1
	s_or_b64 exec, exec, s[22:23]
	v_mov_b32_e32 v1, v6
	v_cmp_ne_u16_sdwa s[4:5], v6, v2 src0_sel:BYTE_0 src1_sel:DWORD
	v_mov_b32_e32 v29, 0
	v_mov_b32_e32 v30, 0
	s_and_saveexec_b64 s[22:23], s[4:5]
	s_cbranch_execz .LBB220_183
; %bb.178:                              ;   in Loop: Header=BB220_101 Depth=1
	v_cmp_ne_u16_sdwa s[4:5], v6, s41 src0_sel:BYTE_0 src1_sel:DWORD
	v_mov_b32_e32 v30, 0x8000
	s_and_saveexec_b64 s[30:31], s[4:5]
	s_cbranch_execz .LBB220_182
; %bb.179:                              ;   in Loop: Header=BB220_101 Depth=1
	v_and_b32_e32 v31, 0x7f, v6
	v_cmp_ne_u32_e64 s[4:5], s42, v31
	v_mov_b32_e32 v30, 0x7c01
	s_and_saveexec_b64 s[34:35], s[4:5]
	s_cbranch_execz .LBB220_181
; %bb.180:                              ;   in Loop: Header=BB220_101 Depth=1
	v_and_b32_e32 v30, 7, v6
	v_ffbh_u32_e32 v32, v30
	v_min_u32_e32 v35, 32, v32
	v_subrev_u32_e32 v32, 28, v35
	v_lshlrev_b64 v[32:33], v32, v[1:2]
	v_lshrrev_b32_e32 v34, 3, v31
	v_sub_u32_e32 v33, 29, v35
	v_cmp_gt_u32_e64 s[4:5], 8, v31
	v_cndmask_b32_e64 v31, v34, v33, s[4:5]
	v_lshl_add_u32 v31, v31, 10, v19
	v_lshlrev_b32_e32 v33, 8, v6
	v_and_b32_e32 v32, 7, v32
	v_and_b32_e32 v31, 0xfc00, v31
	v_cndmask_b32_e64 v30, v30, v32, s[4:5]
	v_and_or_b32 v31, v33, s43, v31
	v_lshl_or_b32 v30, v30, 7, v31
.LBB220_181:                            ;   in Loop: Header=BB220_101 Depth=1
	s_or_b64 exec, exec, s[34:35]
.LBB220_182:                            ;   in Loop: Header=BB220_101 Depth=1
	s_or_b64 exec, exec, s[30:31]
.LBB220_183:                            ;   in Loop: Header=BB220_101 Depth=1
	s_or_b64 exec, exec, s[22:23]
	v_lshrrev_b16_e32 v1, 8, v1
	v_cmp_ne_u16_e64 s[4:5], 0, v1
	v_mov_b32_e32 v31, 0
	s_and_saveexec_b64 s[22:23], s[4:5]
	s_cbranch_execz .LBB220_189
; %bb.184:                              ;   in Loop: Header=BB220_101 Depth=1
	v_cmp_ne_u16_e64 s[4:5], s41, v1
	v_bfrev_b32_e32 v31, 1
	s_and_saveexec_b64 s[30:31], s[4:5]
	s_cbranch_execz .LBB220_188
; %bb.185:                              ;   in Loop: Header=BB220_101 Depth=1
	v_and_b32_e32 v32, 0x7f, v1
	v_cmp_ne_u32_e64 s[4:5], s42, v32
	v_mov_b32_e32 v31, 0x7c010000
	s_and_saveexec_b64 s[34:35], s[4:5]
	s_cbranch_execz .LBB220_187
; %bb.186:                              ;   in Loop: Header=BB220_101 Depth=1
	v_and_b32_e32 v31, 7, v1
	v_ffbh_u32_e32 v33, v31
	v_min_u32_e32 v36, 32, v33
	v_subrev_u32_e32 v33, 28, v36
	v_lshlrev_b64 v[33:34], v33, v[1:2]
	v_lshrrev_b32_e32 v35, 3, v32
	v_sub_u32_e32 v34, 29, v36
	v_cmp_gt_u32_e64 s[4:5], 8, v32
	v_cndmask_b32_e64 v32, v35, v34, s[4:5]
	v_lshlrev_b32_e32 v1, 8, v1
	v_lshl_add_u32 v32, v32, 10, v19
	v_and_b32_e32 v33, 7, v33
	v_and_or_b32 v1, v1, s43, v32
	v_cndmask_b32_e64 v31, v31, v33, s[4:5]
	v_lshlrev_b32_e32 v1, 16, v1
	v_lshl_or_b32 v31, v31, 23, v1
.LBB220_187:                            ;   in Loop: Header=BB220_101 Depth=1
	s_or_b64 exec, exec, s[34:35]
.LBB220_188:                            ;   in Loop: Header=BB220_101 Depth=1
	s_or_b64 exec, exec, s[30:31]
.LBB220_189:                            ;   in Loop: Header=BB220_101 Depth=1
	s_or_b64 exec, exec, s[22:23]
	v_lshrrev_b32_e32 v1, 16, v6
	v_cmp_ne_u16_sdwa s[4:5], v1, v2 src0_sel:BYTE_0 src1_sel:DWORD
	s_and_saveexec_b64 s[22:23], s[4:5]
	s_cbranch_execz .LBB220_195
; %bb.190:                              ;   in Loop: Header=BB220_101 Depth=1
	v_cmp_ne_u16_sdwa s[4:5], v1, s41 src0_sel:BYTE_0 src1_sel:DWORD
	v_mov_b32_e32 v29, 0x8000
	s_and_saveexec_b64 s[30:31], s[4:5]
	s_cbranch_execz .LBB220_194
; %bb.191:                              ;   in Loop: Header=BB220_101 Depth=1
	v_bfe_u32 v32, v6, 16, 7
	v_cmp_ne_u32_e64 s[4:5], s42, v32
	v_mov_b32_e32 v29, 0x7c01
	s_and_saveexec_b64 s[34:35], s[4:5]
	s_cbranch_execz .LBB220_193
; %bb.192:                              ;   in Loop: Header=BB220_101 Depth=1
	v_and_b32_e32 v29, 7, v1
	v_ffbh_u32_e32 v33, v29
	v_min_u32_e32 v36, 32, v33
	v_subrev_u32_e32 v33, 28, v36
	v_lshlrev_b64 v[33:34], v33, v[1:2]
	v_lshrrev_b32_e32 v35, 3, v32
	v_sub_u32_e32 v34, 29, v36
	v_cmp_gt_u32_e64 s[4:5], 8, v32
	v_cndmask_b32_e64 v32, v35, v34, s[4:5]
	v_lshl_add_u32 v32, v32, 10, v19
	v_lshlrev_b32_e32 v1, 8, v1
	v_and_b32_e32 v33, 7, v33
	v_and_b32_e32 v32, 0xfc00, v32
	v_cndmask_b32_e64 v29, v29, v33, s[4:5]
	v_and_or_b32 v1, v1, s43, v32
	v_lshl_or_b32 v29, v29, 7, v1
.LBB220_193:                            ;   in Loop: Header=BB220_101 Depth=1
	s_or_b64 exec, exec, s[34:35]
.LBB220_194:                            ;   in Loop: Header=BB220_101 Depth=1
	s_or_b64 exec, exec, s[30:31]
.LBB220_195:                            ;   in Loop: Header=BB220_101 Depth=1
	s_or_b64 exec, exec, s[22:23]
	v_cmp_lt_u64_e64 s[4:5], s[12:13], v[5:6]
	v_mov_b32_e32 v32, 0
	s_and_saveexec_b64 s[22:23], s[4:5]
	s_cbranch_execz .LBB220_201
; %bb.196:                              ;   in Loop: Header=BB220_101 Depth=1
	v_lshrrev_b32_e32 v1, 24, v6
	v_cmp_ne_u32_e64 s[4:5], s41, v1
	v_bfrev_b32_e32 v32, 1
	s_and_saveexec_b64 s[30:31], s[4:5]
	s_cbranch_execz .LBB220_200
; %bb.197:                              ;   in Loop: Header=BB220_101 Depth=1
	v_and_b32_e32 v5, 0x7f, v1
	v_cmp_ne_u32_e64 s[4:5], s42, v5
	v_mov_b32_e32 v32, 0x7c010000
	s_and_saveexec_b64 s[34:35], s[4:5]
	s_cbranch_execz .LBB220_199
; %bb.198:                              ;   in Loop: Header=BB220_101 Depth=1
	v_and_b32_e32 v6, 7, v1
	v_ffbh_u32_e32 v32, v6
	v_min_u32_e32 v35, 32, v32
	v_subrev_u32_e32 v32, 28, v35
	v_lshlrev_b64 v[32:33], v32, v[1:2]
	v_lshrrev_b32_e32 v34, 3, v5
	v_sub_u32_e32 v33, 29, v35
	v_cmp_gt_u32_e64 s[4:5], 8, v5
	v_cndmask_b32_e64 v5, v34, v33, s[4:5]
	v_lshlrev_b32_e32 v1, 8, v1
	v_lshl_add_u32 v5, v5, 10, v19
	v_and_b32_e32 v32, 7, v32
	v_and_or_b32 v1, v1, s43, v5
	v_cndmask_b32_e64 v6, v6, v32, s[4:5]
	v_lshlrev_b32_e32 v1, 16, v1
	v_lshl_or_b32 v32, v6, 23, v1
.LBB220_199:                            ;   in Loop: Header=BB220_101 Depth=1
	s_or_b64 exec, exec, s[34:35]
.LBB220_200:                            ;   in Loop: Header=BB220_101 Depth=1
	s_or_b64 exec, exec, s[30:31]
.LBB220_201:                            ;   in Loop: Header=BB220_101 Depth=1
	s_or_b64 exec, exec, s[22:23]
	s_waitcnt vmcnt(0)
	v_fma_mixlo_f16 v5, v24, v27, 0 op_sel:[0,1,0] op_sel_hi:[0,1,0]
	v_lshlrev_b32_e32 v6, 16, v5
	v_or_b32_e32 v5, v25, v26
	v_fma_mixlo_f16 v25, v24, v25, 0 op_sel:[0,1,0] op_sel_hi:[0,1,0]
	v_or_b32_e32 v1, v27, v28
	v_lshlrev_b32_e32 v33, 16, v25
	v_or_b32_e32 v25, v31, v30
	v_or_b32_e32 v28, v32, v29
	v_fma_mixlo_f16 v1, v24, v1, 0 op_sel_hi:[0,1,0]
	v_fma_mixlo_f16 v5, v24, v5, 0 op_sel_hi:[0,1,0]
	v_fma_mixlo_f16 v26, v24, v31, 0 op_sel:[0,1,0] op_sel_hi:[0,1,0]
	v_fma_mixlo_f16 v25, v24, v25, 0 op_sel_hi:[0,1,0]
	v_fma_mixlo_f16 v28, v24, v28, 0 op_sel_hi:[0,1,0]
	v_fma_mixlo_f16 v24, v24, v32, 0 op_sel:[0,1,0] op_sel_hi:[0,1,0]
	v_and_b32_e32 v27, 0xffff, v1
	v_and_b32_e32 v34, 0xffff, v5
	v_lshlrev_b32_e32 v26, 16, v26
	v_and_b32_e32 v30, 0xffff, v25
	v_lshlrev_b32_e32 v24, 16, v24
	v_and_b32_e32 v28, 0xffff, v28
	v_or_b32_e32 v1, v6, v27
	v_or_b32_e32 v5, v33, v34
	v_or_b32_e32 v25, v26, v30
	v_or_b32_e32 v29, v24, v28
	s_and_saveexec_b64 s[4:5], s[2:3]
	s_cbranch_execz .LBB220_98
; %bb.202:                              ;   in Loop: Header=BB220_101 Depth=1
	v_cmp_gt_i32_e64 s[2:3], s25, v11
	v_add_u32_e32 v5, 1, v11
	v_cndmask_b32_e64 v1, 0, v34, s[2:3]
	v_cmp_gt_i32_e64 s[2:3], s25, v5
	v_cndmask_b32_e64 v5, 0, v33, s[2:3]
	v_or_b32_e32 v5, v5, v1
	v_add_u32_e32 v1, 2, v11
	v_cmp_gt_i32_e64 s[2:3], s25, v1
	v_add_u32_e32 v25, 3, v11
	v_cndmask_b32_e64 v1, 0, v27, s[2:3]
	v_cmp_gt_i32_e64 s[2:3], s25, v25
	v_cndmask_b32_e64 v6, 0, v6, s[2:3]
	v_or_b32_e32 v1, v6, v1
	v_add_u32_e32 v6, 4, v11
	;; [unrolled: 7-line block ×3, first 2 shown]
	v_cmp_gt_i32_e64 s[2:3], s25, v6
	v_add_u32_e32 v26, 7, v11
	v_cndmask_b32_e64 v6, 0, v28, s[2:3]
	v_cmp_gt_i32_e64 s[2:3], s25, v26
	v_cndmask_b32_e64 v24, 0, v24, s[2:3]
	v_or_b32_e32 v29, v24, v6
	s_branch .LBB220_98
.LBB220_203:
	s_or_b64 exec, exec, s[16:17]
.LBB220_204:
	s_or_b64 exec, exec, s[6:7]
	v_and_b32_e32 v1, 0x3c0, v0
	v_cmp_eq_u32_e32 vcc, 64, v1
	s_barrier
	s_and_saveexec_b64 s[2:3], vcc
	s_cbranch_execz .LBB220_207
; %bb.205:
	v_mov_b32_e32 v1, 0xb0
	v_lshl_add_u32 v2, v12, 2, v1
	ds_write_b32 v2, v14
	s_and_b64 exec, exec, s[0:1]
; %bb.206:
	v_lshl_add_u32 v1, v0, 2, v1
	ds_write_b32 v1, v13
.LBB220_207:
	s_or_b64 exec, exec, s[2:3]
	v_cmp_gt_u32_e32 vcc, 64, v0
	v_or_b32_e32 v1, 64, v0
	s_waitcnt lgkmcnt(0)
	s_barrier
	s_and_saveexec_b64 s[2:3], vcc
	s_cbranch_execz .LBB220_211
; %bb.208:
	v_mov_b32_e32 v2, 0xb0
	v_lshl_add_u32 v2, v0, 2, v2
	ds_read_b32 v0, v2
	s_movk_i32 s0, 0x50
	v_cmp_gt_u32_e64 s[0:1], s0, v1
	s_and_saveexec_b64 s[4:5], s[0:1]
	s_cbranch_execz .LBB220_210
; %bb.209:
	ds_read_b32 v2, v2 offset:256
	s_waitcnt lgkmcnt(0)
	v_add_f32_e32 v13, v13, v2
.LBB220_210:
	s_or_b64 exec, exec, s[4:5]
	s_waitcnt lgkmcnt(0)
	v_add_f32_e32 v14, v14, v0
.LBB220_211:
	s_or_b64 exec, exec, s[2:3]
	s_barrier
	s_and_saveexec_b64 s[0:1], vcc
	s_cbranch_execz .LBB220_214
; %bb.212:
	s_mul_i32 s0, s24, s27
	s_mul_i32 s0, s0, s9
	s_mulk_i32 s0, 0x50
	s_ashr_i32 s1, s0, 31
	s_lshl_b64 s[0:1], s[0:1], 1
	s_add_u32 s3, s28, s0
	s_mul_i32 s0, s27, s26
	s_addc_u32 s4, s29, s1
	s_ashr_i32 s1, s0, 31
	s_lshl_b64 s[0:1], s[0:1], 1
	s_add_u32 s3, s3, s0
	s_mul_i32 s0, s8, 0x50
	s_addc_u32 s4, s4, s1
	s_ashr_i32 s1, s0, 31
	s_lshl_b64 s[0:1], s[0:1], 1
	s_movk_i32 s2, 0x50
	s_add_u32 s0, s3, s0
	s_addc_u32 s1, s4, s1
	v_cmp_gt_u32_e32 vcc, s2, v1
	;;#ASMSTART
	v_cvt_f16_f32 v0, v14;

	;;#ASMEND
	global_store_short v9, v0, s[0:1]
	s_and_b64 exec, exec, vcc
	s_cbranch_execz .LBB220_214
; %bb.213:
	v_mov_b32_e32 v1, s1
	v_add_co_u32_e32 v0, vcc, s0, v9
	v_addc_co_u32_e32 v1, vcc, 0, v1, vcc
	;;#ASMSTART
	v_cvt_f16_f32 v2, v13;

	;;#ASMEND
	global_store_short v[0:1], v2, off offset:128
.LBB220_214:
	s_endpgm
	.section	.rodata,"a",@progbits
	.p2align	6, 0x0
	.amdhsa_kernel _ZN4vllm25paged_attention_v1_kernelIthLi80ELi8ELi128ELNS_18Fp8KVCacheDataTypeE1ELb1EEEvPT_PKS2_PKT0_S8_ifPKiSA_iPKfiiiSC_SC_iiiii
		.amdhsa_group_segment_fixed_size 176
		.amdhsa_private_segment_fixed_size 0
		.amdhsa_kernarg_size 384
		.amdhsa_user_sgpr_count 6
		.amdhsa_user_sgpr_private_segment_buffer 1
		.amdhsa_user_sgpr_dispatch_ptr 0
		.amdhsa_user_sgpr_queue_ptr 0
		.amdhsa_user_sgpr_kernarg_segment_ptr 1
		.amdhsa_user_sgpr_dispatch_id 0
		.amdhsa_user_sgpr_flat_scratch_init 0
		.amdhsa_user_sgpr_private_segment_size 0
		.amdhsa_uses_dynamic_stack 0
		.amdhsa_system_sgpr_private_segment_wavefront_offset 0
		.amdhsa_system_sgpr_workgroup_id_x 1
		.amdhsa_system_sgpr_workgroup_id_y 1
		.amdhsa_system_sgpr_workgroup_id_z 1
		.amdhsa_system_sgpr_workgroup_info 0
		.amdhsa_system_vgpr_workitem_id 0
		.amdhsa_next_free_vgpr 42
		.amdhsa_next_free_sgpr 56
		.amdhsa_reserve_vcc 1
		.amdhsa_reserve_flat_scratch 0
		.amdhsa_float_round_mode_32 0
		.amdhsa_float_round_mode_16_64 0
		.amdhsa_float_denorm_mode_32 3
		.amdhsa_float_denorm_mode_16_64 3
		.amdhsa_dx10_clamp 1
		.amdhsa_ieee_mode 1
		.amdhsa_fp16_overflow 0
		.amdhsa_exception_fp_ieee_invalid_op 0
		.amdhsa_exception_fp_denorm_src 0
		.amdhsa_exception_fp_ieee_div_zero 0
		.amdhsa_exception_fp_ieee_overflow 0
		.amdhsa_exception_fp_ieee_underflow 0
		.amdhsa_exception_fp_ieee_inexact 0
		.amdhsa_exception_int_div_zero 0
	.end_amdhsa_kernel
	.section	.text._ZN4vllm25paged_attention_v1_kernelIthLi80ELi8ELi128ELNS_18Fp8KVCacheDataTypeE1ELb1EEEvPT_PKS2_PKT0_S8_ifPKiSA_iPKfiiiSC_SC_iiiii,"axG",@progbits,_ZN4vllm25paged_attention_v1_kernelIthLi80ELi8ELi128ELNS_18Fp8KVCacheDataTypeE1ELb1EEEvPT_PKS2_PKT0_S8_ifPKiSA_iPKfiiiSC_SC_iiiii,comdat
.Lfunc_end220:
	.size	_ZN4vllm25paged_attention_v1_kernelIthLi80ELi8ELi128ELNS_18Fp8KVCacheDataTypeE1ELb1EEEvPT_PKS2_PKT0_S8_ifPKiSA_iPKfiiiSC_SC_iiiii, .Lfunc_end220-_ZN4vllm25paged_attention_v1_kernelIthLi80ELi8ELi128ELNS_18Fp8KVCacheDataTypeE1ELb1EEEvPT_PKS2_PKT0_S8_ifPKiSA_iPKfiiiSC_SC_iiiii
                                        ; -- End function
	.set _ZN4vllm25paged_attention_v1_kernelIthLi80ELi8ELi128ELNS_18Fp8KVCacheDataTypeE1ELb1EEEvPT_PKS2_PKT0_S8_ifPKiSA_iPKfiiiSC_SC_iiiii.num_vgpr, 42
	.set _ZN4vllm25paged_attention_v1_kernelIthLi80ELi8ELi128ELNS_18Fp8KVCacheDataTypeE1ELb1EEEvPT_PKS2_PKT0_S8_ifPKiSA_iPKfiiiSC_SC_iiiii.num_agpr, 0
	.set _ZN4vllm25paged_attention_v1_kernelIthLi80ELi8ELi128ELNS_18Fp8KVCacheDataTypeE1ELb1EEEvPT_PKS2_PKT0_S8_ifPKiSA_iPKfiiiSC_SC_iiiii.numbered_sgpr, 56
	.set _ZN4vllm25paged_attention_v1_kernelIthLi80ELi8ELi128ELNS_18Fp8KVCacheDataTypeE1ELb1EEEvPT_PKS2_PKT0_S8_ifPKiSA_iPKfiiiSC_SC_iiiii.num_named_barrier, 0
	.set _ZN4vllm25paged_attention_v1_kernelIthLi80ELi8ELi128ELNS_18Fp8KVCacheDataTypeE1ELb1EEEvPT_PKS2_PKT0_S8_ifPKiSA_iPKfiiiSC_SC_iiiii.private_seg_size, 0
	.set _ZN4vllm25paged_attention_v1_kernelIthLi80ELi8ELi128ELNS_18Fp8KVCacheDataTypeE1ELb1EEEvPT_PKS2_PKT0_S8_ifPKiSA_iPKfiiiSC_SC_iiiii.uses_vcc, 1
	.set _ZN4vllm25paged_attention_v1_kernelIthLi80ELi8ELi128ELNS_18Fp8KVCacheDataTypeE1ELb1EEEvPT_PKS2_PKT0_S8_ifPKiSA_iPKfiiiSC_SC_iiiii.uses_flat_scratch, 0
	.set _ZN4vllm25paged_attention_v1_kernelIthLi80ELi8ELi128ELNS_18Fp8KVCacheDataTypeE1ELb1EEEvPT_PKS2_PKT0_S8_ifPKiSA_iPKfiiiSC_SC_iiiii.has_dyn_sized_stack, 0
	.set _ZN4vllm25paged_attention_v1_kernelIthLi80ELi8ELi128ELNS_18Fp8KVCacheDataTypeE1ELb1EEEvPT_PKS2_PKT0_S8_ifPKiSA_iPKfiiiSC_SC_iiiii.has_recursion, 0
	.set _ZN4vllm25paged_attention_v1_kernelIthLi80ELi8ELi128ELNS_18Fp8KVCacheDataTypeE1ELb1EEEvPT_PKS2_PKT0_S8_ifPKiSA_iPKfiiiSC_SC_iiiii.has_indirect_call, 0
	.section	.AMDGPU.csdata,"",@progbits
; Kernel info:
; codeLenInByte = 9684
; TotalNumSgprs: 60
; NumVgprs: 42
; ScratchSize: 0
; MemoryBound: 0
; FloatMode: 240
; IeeeMode: 1
; LDSByteSize: 176 bytes/workgroup (compile time only)
; SGPRBlocks: 7
; VGPRBlocks: 10
; NumSGPRsForWavesPerEU: 60
; NumVGPRsForWavesPerEU: 42
; Occupancy: 5
; WaveLimiterHint : 1
; COMPUTE_PGM_RSRC2:SCRATCH_EN: 0
; COMPUTE_PGM_RSRC2:USER_SGPR: 6
; COMPUTE_PGM_RSRC2:TRAP_HANDLER: 0
; COMPUTE_PGM_RSRC2:TGID_X_EN: 1
; COMPUTE_PGM_RSRC2:TGID_Y_EN: 1
; COMPUTE_PGM_RSRC2:TGID_Z_EN: 1
; COMPUTE_PGM_RSRC2:TIDIG_COMP_CNT: 0
	.section	.text._ZN4vllm25paged_attention_v1_kernelIthLi96ELi8ELi128ELNS_18Fp8KVCacheDataTypeE1ELb1EEEvPT_PKS2_PKT0_S8_ifPKiSA_iPKfiiiSC_SC_iiiii,"axG",@progbits,_ZN4vllm25paged_attention_v1_kernelIthLi96ELi8ELi128ELNS_18Fp8KVCacheDataTypeE1ELb1EEEvPT_PKS2_PKT0_S8_ifPKiSA_iPKfiiiSC_SC_iiiii,comdat
	.protected	_ZN4vllm25paged_attention_v1_kernelIthLi96ELi8ELi128ELNS_18Fp8KVCacheDataTypeE1ELb1EEEvPT_PKS2_PKT0_S8_ifPKiSA_iPKfiiiSC_SC_iiiii ; -- Begin function _ZN4vllm25paged_attention_v1_kernelIthLi96ELi8ELi128ELNS_18Fp8KVCacheDataTypeE1ELb1EEEvPT_PKS2_PKT0_S8_ifPKiSA_iPKfiiiSC_SC_iiiii
	.globl	_ZN4vllm25paged_attention_v1_kernelIthLi96ELi8ELi128ELNS_18Fp8KVCacheDataTypeE1ELb1EEEvPT_PKS2_PKT0_S8_ifPKiSA_iPKfiiiSC_SC_iiiii
	.p2align	8
	.type	_ZN4vllm25paged_attention_v1_kernelIthLi96ELi8ELi128ELNS_18Fp8KVCacheDataTypeE1ELb1EEEvPT_PKS2_PKT0_S8_ifPKiSA_iPKfiiiSC_SC_iiiii,@function
_ZN4vllm25paged_attention_v1_kernelIthLi96ELi8ELi128ELNS_18Fp8KVCacheDataTypeE1ELb1EEEvPT_PKS2_PKT0_S8_ifPKiSA_iPKfiiiSC_SC_iiiii: ; @_ZN4vllm25paged_attention_v1_kernelIthLi96ELi8ELi128ELNS_18Fp8KVCacheDataTypeE1ELb1EEEvPT_PKS2_PKT0_S8_ifPKiSA_iPKfiiiSC_SC_iiiii
; %bb.0:
	s_load_dword s9, s[4:5], 0x80
	s_load_dwordx2 s[0:1], s[4:5], 0x30
	s_load_dwordx2 s[38:39], s[4:5], 0x20
	s_mov_b32 s24, s7
	s_ashr_i32 s25, s7, 31
	s_lshl_b64 s[2:3], s[24:25], 2
	s_waitcnt lgkmcnt(0)
	s_add_u32 s0, s0, s2
	s_addc_u32 s1, s1, s3
	s_abs_i32 s2, s38
	v_cvt_f32_u32_e32 v1, s2
	s_sub_i32 s10, 0, s2
	s_abs_i32 s7, s9
	s_xor_b32 s3, s9, s38
	v_rcp_iflag_f32_e32 v1, v1
	s_ashr_i32 s3, s3, 31
	s_mov_b32 s51, 0
	v_mul_f32_e32 v1, 0x4f7ffffe, v1
	v_cvt_u32_f32_e32 v1, v1
	v_readfirstlane_b32 s11, v1
	s_mul_i32 s10, s10, s11
	s_mul_hi_u32 s10, s11, s10
	s_add_i32 s11, s11, s10
	s_mul_hi_u32 s10, s7, s11
	s_mul_i32 s11, s10, s2
	s_sub_i32 s7, s7, s11
	s_add_i32 s11, s10, 1
	s_sub_i32 s12, s7, s2
	s_cmp_ge_u32 s7, s2
	s_cselect_b32 s10, s11, s10
	s_cselect_b32 s7, s12, s7
	s_add_i32 s11, s10, 1
	s_cmp_ge_u32 s7, s2
	s_cselect_b32 s2, s11, s10
	s_xor_b32 s2, s2, s3
	s_sub_i32 s11, s2, s3
	s_abs_i32 s10, s11
	v_cvt_f32_u32_e32 v1, s10
	s_load_dwordx2 s[2:3], s[4:5], 0x40
	s_sub_i32 s7, 0, s10
	s_abs_i32 s12, s6
	v_rcp_iflag_f32_e32 v1, v1
	v_mul_f32_e32 v1, 0x4f7ffffe, v1
	v_cvt_u32_f32_e32 v1, v1
	v_readfirstlane_b32 s13, v1
	s_mul_i32 s7, s7, s13
	s_mul_hi_u32 s7, s13, s7
	s_add_i32 s13, s13, s7
	s_waitcnt lgkmcnt(0)
	s_cmp_eq_u64 s[2:3], 0
	s_mul_hi_u32 s13, s12, s13
	s_cbranch_scc1 .LBB221_2
; %bb.1:
	s_ashr_i32 s7, s6, 31
	s_lshl_b64 s[14:15], s[6:7], 2
	s_add_u32 s2, s2, s14
	s_addc_u32 s3, s3, s15
	s_load_dword s51, s[2:3], 0x0
.LBB221_2:
	s_load_dword s25, s[0:1], 0x0
	s_load_dwordx4 s[16:19], s[4:5], 0x48
	s_movk_i32 s0, 0x60
	s_ashr_i32 s7, s6, 31
	s_ashr_i32 s14, s11, 31
	v_and_b32_e32 v1, 7, v0
	s_mul_i32 s26, s6, 0x60
	v_cmp_gt_u32_e64 s[0:1], s0, v0
	v_lshlrev_b32_e32 v9, 1, v0
	s_and_saveexec_b64 s[2:3], s[0:1]
	s_cbranch_execz .LBB221_4
; %bb.3:
	s_load_dwordx2 s[20:21], s[4:5], 0x8
	s_waitcnt lgkmcnt(0)
	s_mul_i32 s22, s16, s24
	s_ashr_i32 s23, s22, 31
	s_lshl_b64 s[22:23], s[22:23], 1
	v_lshrrev_b32_e32 v3, 2, v0
	s_add_u32 s11, s20, s22
	s_addc_u32 s15, s21, s23
	s_ashr_i32 s27, s26, 31
	s_lshl_b64 s[20:21], s[26:27], 1
	s_add_u32 s20, s11, s20
	s_addc_u32 s21, s15, s21
	global_load_ushort v2, v9, s[20:21]
	v_and_b32_e32 v3, 0xfe, v3
	v_mad_u32_u24 v3, v1, 24, v3
	s_waitcnt vmcnt(0)
	ds_write_b16 v3, v2
.LBB221_4:
	s_or_b64 exec, exec, s[2:3]
	s_mul_i32 s3, s13, s10
	s_sub_i32 s3, s12, s3
	s_xor_b32 s2, s7, s14
	s_add_i32 s7, s13, 1
	s_sub_i32 s12, s3, s10
	s_load_dwordx4 s[20:23], s[4:5], 0x68
	s_load_dword s11, s[4:5], 0x78
	s_cmp_ge_u32 s3, s10
	s_cselect_b32 s7, s7, s13
	s_cselect_b32 s3, s12, s3
	s_add_i32 s12, s7, 1
	s_cmp_ge_u32 s3, s10
	s_cselect_b32 s3, s12, s7
	s_waitcnt lgkmcnt(0)
	s_abs_i32 s33, s23
	v_cvt_f32_u32_e32 v2, s33
	s_xor_b32 s3, s3, s2
	s_sub_i32 s7, s3, s2
	s_sub_i32 s2, 0, s33
	v_rcp_iflag_f32_e32 v2, v2
	s_add_i32 s12, s25, -1
	s_abs_i32 s10, s12
	v_mul_f32_e32 v2, 0x4f7ffffe, v2
	v_cvt_u32_f32_e32 v2, v2
	s_barrier
	v_readfirstlane_b32 s48, v2
	s_mul_i32 s2, s2, s48
	s_mul_hi_u32 s2, s48, s2
	s_add_i32 s48, s48, s2
	s_cmp_lt_i32 s11, 0
	s_mul_hi_u32 s16, s10, s48
	s_cbranch_scc0 .LBB221_6
; %bb.5:
	s_mul_i32 s2, s20, s38
	s_add_i32 s2, s7, s2
	s_mul_i32 s2, s2, s11
	s_sub_i32 s38, 1, s2
	s_mov_b64 s[2:3], 0
	s_branch .LBB221_7
.LBB221_6:
	s_mov_b64 s[2:3], -1
                                        ; implicit-def: $sgpr38
.LBB221_7:
	s_load_dwordx2 s[30:31], s[4:5], 0x28
	s_ashr_i32 s19, s12, 31
	s_andn2_b64 vcc, exec, s[2:3]
	s_ashr_i32 s49, s23, 31
	s_cbranch_vccnz .LBB221_9
; %bb.8:
	s_mul_i32 s2, s9, s20
	s_add_i32 s2, s2, s6
	s_mul_i32 s2, s2, s11
	s_add_i32 s38, s2, 1
.LBB221_9:
	s_load_dword s2, s[4:5], 0x38
	s_load_dwordx2 s[28:29], s[4:5], 0x0
	s_load_dwordx2 s[36:37], s[4:5], 0x18
	s_load_dword s27, s[4:5], 0x88
	s_load_dwordx4 s[12:15], s[4:5], 0x58
	s_mul_i32 s3, s16, s33
	s_waitcnt lgkmcnt(0)
	s_mul_i32 s34, s2, s24
	s_sub_i32 s3, s10, s3
	s_ashr_i32 s35, s34, 31
	s_xor_b32 s2, s19, s49
	s_add_i32 s6, s16, 1
	s_sub_i32 s10, s3, s33
	s_cmp_ge_u32 s3, s33
	s_cselect_b32 s6, s6, s16
	s_cselect_b32 s3, s10, s3
	s_add_i32 s10, s6, 1
	s_cmp_ge_u32 s3, s33
	s_cselect_b32 s3, s10, s6
	s_xor_b32 s3, s3, s2
	s_sub_i32 s16, s3, s2
	s_add_i32 s2, s25, 7
	s_ashr_i32 s3, s2, 31
	s_lshr_b32 s3, s3, 29
	s_add_i32 s2, s2, s3
	s_ashr_i32 s50, s2, 3
	v_lshrrev_b32_e32 v10, 6, v0
	v_cmp_gt_i32_e64 s[2:3], s50, v10
	v_mov_b32_e32 v16, 0xff7fffff
	s_mul_i32 s20, s7, s18
	v_lshrrev_b32_e32 v8, 4, v0
	v_lshlrev_b32_e32 v11, 3, v10
	v_mbcnt_lo_u32_b32 v12, -1, 0
	s_and_saveexec_b64 s[18:19], s[2:3]
	s_cbranch_execz .LBB221_93
; %bb.10:
	s_load_dwordx2 s[4:5], s[4:5], 0x10
	s_sub_i32 s23, s16, s21
	s_ashr_i32 s6, s20, 31
	v_bfe_u32 v13, v0, 3, 3
	v_lshlrev_b32_e32 v4, 4, v13
	s_waitcnt lgkmcnt(0)
	s_add_u32 s7, s4, s20
	s_addc_u32 s6, s5, s6
	s_abs_i32 s52, s22
	v_cvt_f32_u32_e32 v2, s52
	s_sub_i32 s4, 0, s52
	v_mov_b32_e32 v5, s6
	v_add_co_u32_e64 v4, s[6:7], s7, v4
	v_rcp_iflag_f32_e32 v2, v2
	v_addc_co_u32_e64 v5, s[6:7], 0, v5, s[6:7]
	v_cmp_eq_u32_e32 vcc, 0, v1
	v_mul_f32_e32 v2, 0x4f7ffffe, v2
	v_cvt_u32_f32_e32 v2, v2
	v_mul_u32_u24_e32 v15, 24, v1
	v_add_co_u32_e64 v1, s[6:7], v4, v1
	v_mul_lo_u32 v3, s4, v2
	s_mov_b32 s53, s17
	v_mov_b32_e32 v14, 0
	v_cmp_neq_f32_e64 s[4:5], s51, 0
	v_mul_hi_u32 v3, v2, v3
	v_lshlrev_b32_e32 v18, 3, v10
	v_mov_b32_e32 v21, 0xff7fffff
	s_mov_b64 s[40:41], 0
	v_add_u32_e32 v17, v2, v3
	v_addc_co_u32_e64 v2, s[6:7], 0, v5, s[6:7]
	s_lshl_b64 s[6:7], s[34:35], 2
	s_add_u32 s6, s30, s6
	v_subrev_u32_e32 v5, s25, v13
	v_and_b32_e32 v3, 60, v8
	s_addc_u32 s7, s31, s7
	v_add_u32_e32 v19, 1, v5
	v_lshlrev_b32_e32 v5, 2, v13
	v_mov_b32_e32 v4, s7
	v_add_co_u32_e64 v3, s[6:7], s6, v3
	v_lshl_or_b32 v5, v10, 5, v5
	v_addc_co_u32_e64 v4, s[6:7], 0, v4, s[6:7]
	v_add_u32_e32 v20, 0xd0, v5
	s_movk_i32 s54, 0x80
	s_movk_i32 s55, 0x7f
	v_bfrev_b32_e32 v22, 60
	v_mbcnt_hi_u32_b32 v23, -1, v12
	v_mov_b32_e32 v16, 0xff7fffff
	v_mov_b32_e32 v24, v10
	s_branch .LBB221_13
.LBB221_11:                             ;   in Loop: Header=BB221_13 Depth=1
	s_or_b64 exec, exec, s[42:43]
.LBB221_12:                             ;   in Loop: Header=BB221_13 Depth=1
	s_or_b64 exec, exec, s[10:11]
	v_add_co_u32_e64 v3, s[6:7], 8, v3
	v_add_u32_e32 v24, 2, v24
	v_addc_co_u32_e64 v4, s[6:7], 0, v4, s[6:7]
	v_cmp_le_i32_e64 s[6:7], s50, v24
	v_add_u32_e32 v18, 16, v18
	s_or_b64 s[40:41], s[6:7], s[40:41]
	v_add_u32_e32 v20, 64, v20
	s_andn2_b64 exec, exec, s[40:41]
	s_cbranch_execz .LBB221_92
.LBB221_13:                             ; =>This Inner Loop Header: Depth=1
	v_mul_hi_u32 v5, v18, s48
	s_waitcnt lgkmcnt(0)
	v_mul_lo_u32 v6, v5, s33
	v_add_u32_e32 v7, 1, v5
	v_sub_u32_e32 v6, v18, v6
	v_cmp_le_u32_e64 s[6:7], s33, v6
	v_cndmask_b32_e64 v5, v5, v7, s[6:7]
	v_subrev_u32_e32 v7, s33, v6
	v_cndmask_b32_e64 v6, v6, v7, s[6:7]
	v_add_u32_e32 v7, 1, v5
	v_cmp_le_u32_e64 s[6:7], s33, v6
	v_cndmask_b32_e64 v5, v5, v7, s[6:7]
	v_xor_b32_e32 v5, s49, v5
	v_subrev_u32_e32 v5, s49, v5
	v_add_u32_e32 v6, s38, v5
	v_sub_u32_e32 v7, 0, v6
	v_max_i32_e32 v7, v6, v7
	v_mul_hi_u32 v25, v7, v17
	v_ashrrev_i32_e32 v6, 31, v6
	v_cmp_ge_i32_e64 s[10:11], s23, v5
	v_mul_lo_u32 v25, v25, s52
	v_sub_u32_e32 v7, v7, v25
	v_subrev_u32_e32 v25, s52, v7
	v_cmp_le_u32_e64 s[6:7], s52, v7
	v_cndmask_b32_e64 v7, v7, v25, s[6:7]
	v_subrev_u32_e32 v25, s52, v7
	v_cmp_le_u32_e64 s[6:7], s52, v7
	v_cndmask_b32_e64 v7, v7, v25, s[6:7]
	v_xor_b32_e32 v7, v7, v6
	v_sub_u32_e32 v6, v7, v6
	v_cmp_ne_u32_e64 s[6:7], 0, v6
	s_and_b64 s[6:7], s[6:7], s[10:11]
	s_and_saveexec_b64 s[10:11], s[6:7]
	s_xor_b64 s[6:7], exec, s[10:11]
	s_cbranch_execz .LBB221_17
; %bb.14:                               ;   in Loop: Header=BB221_13 Depth=1
	s_and_saveexec_b64 s[10:11], vcc
; %bb.15:                               ;   in Loop: Header=BB221_13 Depth=1
	ds_write_b32 v20, v21
; %bb.16:                               ;   in Loop: Header=BB221_13 Depth=1
	s_or_b64 exec, exec, s[10:11]
.LBB221_17:                             ;   in Loop: Header=BB221_13 Depth=1
	s_andn2_saveexec_b64 s[10:11], s[6:7]
	s_cbranch_execz .LBB221_12
; %bb.18:                               ;   in Loop: Header=BB221_13 Depth=1
	global_load_dword v5, v[3:4], off
	v_mov_b32_e32 v26, 0
	v_mov_b32_e32 v27, 0
	s_waitcnt vmcnt(0)
	v_mad_i64_i32 v[5:6], s[6:7], v5, s53, v[1:2]
	global_load_ubyte v28, v[5:6], off
	global_load_dword v25, v14, s[12:13]
	s_waitcnt vmcnt(1)
	v_cmp_ne_u16_e64 s[6:7], 0, v28
	s_and_saveexec_b64 s[42:43], s[6:7]
	s_cbranch_execz .LBB221_24
; %bb.19:                               ;   in Loop: Header=BB221_13 Depth=1
	v_cmp_ne_u16_e64 s[6:7], s54, v28
	v_bfrev_b32_e32 v27, 1
	s_and_saveexec_b64 s[44:45], s[6:7]
	s_cbranch_execz .LBB221_23
; %bb.20:                               ;   in Loop: Header=BB221_13 Depth=1
	v_and_b32_e32 v7, 0xffff, v28
	v_and_b32_e32 v29, 0x7f, v7
	v_cmp_ne_u32_e64 s[6:7], s55, v29
	v_mov_b32_e32 v27, 0x7f800001
	s_and_saveexec_b64 s[46:47], s[6:7]
	s_cbranch_execz .LBB221_22
; %bb.21:                               ;   in Loop: Header=BB221_13 Depth=1
	v_and_b32_e32 v27, 7, v7
	v_ffbh_u32_e32 v30, v27
	v_min_u32_e32 v33, 32, v30
	v_subrev_u32_e32 v30, 28, v33
	v_lshlrev_b64 v[30:31], v30, v[7:8]
	v_lshrrev_b32_e32 v32, 3, v29
	v_sub_u32_e32 v7, 29, v33
	v_and_b32_e32 v30, 7, v30
	v_cmp_gt_u32_e64 s[6:7], 8, v29
	v_cndmask_b32_e64 v7, v32, v7, s[6:7]
	v_cndmask_b32_e64 v27, v27, v30, s[6:7]
	v_lshlrev_b32_e32 v28, 24, v28
	v_lshlrev_b32_e32 v27, 20, v27
	v_and_b32_e32 v28, 0x80000000, v28
	v_lshl_add_u32 v7, v7, 23, v22
	v_or3_b32 v27, v28, v7, v27
.LBB221_22:                             ;   in Loop: Header=BB221_13 Depth=1
	s_or_b64 exec, exec, s[46:47]
.LBB221_23:                             ;   in Loop: Header=BB221_13 Depth=1
	s_or_b64 exec, exec, s[44:45]
.LBB221_24:                             ;   in Loop: Header=BB221_13 Depth=1
	s_or_b64 exec, exec, s[42:43]
	global_load_ubyte v28, v[5:6], off offset:8
	s_waitcnt vmcnt(0)
	v_cmp_ne_u16_e64 s[6:7], 0, v28
	s_and_saveexec_b64 s[42:43], s[6:7]
	s_cbranch_execz .LBB221_30
; %bb.25:                               ;   in Loop: Header=BB221_13 Depth=1
	v_cmp_ne_u16_e64 s[6:7], s54, v28
	v_bfrev_b32_e32 v26, 1
	s_and_saveexec_b64 s[44:45], s[6:7]
	s_cbranch_execz .LBB221_29
; %bb.26:                               ;   in Loop: Header=BB221_13 Depth=1
	v_and_b32_e32 v7, 0xffff, v28
	v_and_b32_e32 v29, 0x7f, v7
	v_cmp_ne_u32_e64 s[6:7], s55, v29
	v_mov_b32_e32 v26, 0x7f800001
	s_and_saveexec_b64 s[46:47], s[6:7]
	s_cbranch_execz .LBB221_28
; %bb.27:                               ;   in Loop: Header=BB221_13 Depth=1
	v_and_b32_e32 v26, 7, v7
	v_ffbh_u32_e32 v30, v26
	v_min_u32_e32 v33, 32, v30
	v_subrev_u32_e32 v30, 28, v33
	v_lshlrev_b64 v[30:31], v30, v[7:8]
	v_lshrrev_b32_e32 v32, 3, v29
	v_sub_u32_e32 v7, 29, v33
	v_and_b32_e32 v30, 7, v30
	v_cmp_gt_u32_e64 s[6:7], 8, v29
	v_cndmask_b32_e64 v7, v32, v7, s[6:7]
	v_cndmask_b32_e64 v26, v26, v30, s[6:7]
	v_lshlrev_b32_e32 v28, 24, v28
	v_lshlrev_b32_e32 v26, 20, v26
	v_and_b32_e32 v28, 0x80000000, v28
	v_lshl_add_u32 v7, v7, 23, v22
	v_or3_b32 v26, v28, v7, v26
.LBB221_28:                             ;   in Loop: Header=BB221_13 Depth=1
	s_or_b64 exec, exec, s[46:47]
.LBB221_29:                             ;   in Loop: Header=BB221_13 Depth=1
	s_or_b64 exec, exec, s[44:45]
.LBB221_30:                             ;   in Loop: Header=BB221_13 Depth=1
	s_or_b64 exec, exec, s[42:43]
	global_load_ubyte v30, v[5:6], off offset:128
	v_mov_b32_e32 v28, 0
	v_mov_b32_e32 v29, 0
	s_waitcnt vmcnt(0)
	v_cmp_ne_u16_e64 s[6:7], 0, v30
	s_and_saveexec_b64 s[42:43], s[6:7]
	s_cbranch_execz .LBB221_36
; %bb.31:                               ;   in Loop: Header=BB221_13 Depth=1
	v_cmp_ne_u16_e64 s[6:7], s54, v30
	v_bfrev_b32_e32 v29, 1
	s_and_saveexec_b64 s[44:45], s[6:7]
	s_cbranch_execz .LBB221_35
; %bb.32:                               ;   in Loop: Header=BB221_13 Depth=1
	v_and_b32_e32 v7, 0xffff, v30
	v_and_b32_e32 v31, 0x7f, v7
	v_cmp_ne_u32_e64 s[6:7], s55, v31
	v_mov_b32_e32 v29, 0x7f800001
	s_and_saveexec_b64 s[46:47], s[6:7]
	s_cbranch_execz .LBB221_34
; %bb.33:                               ;   in Loop: Header=BB221_13 Depth=1
	v_and_b32_e32 v29, 7, v7
	v_ffbh_u32_e32 v32, v29
	v_min_u32_e32 v35, 32, v32
	v_subrev_u32_e32 v32, 28, v35
	v_lshlrev_b64 v[32:33], v32, v[7:8]
	v_lshrrev_b32_e32 v34, 3, v31
	v_sub_u32_e32 v7, 29, v35
	v_and_b32_e32 v32, 7, v32
	v_cmp_gt_u32_e64 s[6:7], 8, v31
	v_cndmask_b32_e64 v7, v34, v7, s[6:7]
	v_cndmask_b32_e64 v29, v29, v32, s[6:7]
	v_lshlrev_b32_e32 v30, 24, v30
	v_lshlrev_b32_e32 v29, 20, v29
	v_and_b32_e32 v30, 0x80000000, v30
	v_lshl_add_u32 v7, v7, 23, v22
	v_or3_b32 v29, v30, v7, v29
.LBB221_34:                             ;   in Loop: Header=BB221_13 Depth=1
	s_or_b64 exec, exec, s[46:47]
.LBB221_35:                             ;   in Loop: Header=BB221_13 Depth=1
	s_or_b64 exec, exec, s[44:45]
.LBB221_36:                             ;   in Loop: Header=BB221_13 Depth=1
	s_or_b64 exec, exec, s[42:43]
	global_load_ubyte v30, v[5:6], off offset:136
	s_waitcnt vmcnt(0)
	v_cmp_ne_u16_e64 s[6:7], 0, v30
	s_and_saveexec_b64 s[42:43], s[6:7]
	s_cbranch_execz .LBB221_42
; %bb.37:                               ;   in Loop: Header=BB221_13 Depth=1
	v_cmp_ne_u16_e64 s[6:7], s54, v30
	v_bfrev_b32_e32 v28, 1
	s_and_saveexec_b64 s[44:45], s[6:7]
	s_cbranch_execz .LBB221_41
; %bb.38:                               ;   in Loop: Header=BB221_13 Depth=1
	v_and_b32_e32 v7, 0xffff, v30
	v_and_b32_e32 v31, 0x7f, v7
	v_cmp_ne_u32_e64 s[6:7], s55, v31
	v_mov_b32_e32 v28, 0x7f800001
	s_and_saveexec_b64 s[46:47], s[6:7]
	s_cbranch_execz .LBB221_40
; %bb.39:                               ;   in Loop: Header=BB221_13 Depth=1
	v_and_b32_e32 v28, 7, v7
	v_ffbh_u32_e32 v32, v28
	v_min_u32_e32 v35, 32, v32
	v_subrev_u32_e32 v32, 28, v35
	v_lshlrev_b64 v[32:33], v32, v[7:8]
	v_lshrrev_b32_e32 v34, 3, v31
	v_sub_u32_e32 v7, 29, v35
	v_and_b32_e32 v32, 7, v32
	v_cmp_gt_u32_e64 s[6:7], 8, v31
	v_cndmask_b32_e64 v7, v34, v7, s[6:7]
	v_cndmask_b32_e64 v28, v28, v32, s[6:7]
	v_lshlrev_b32_e32 v30, 24, v30
	v_lshlrev_b32_e32 v28, 20, v28
	v_and_b32_e32 v30, 0x80000000, v30
	v_lshl_add_u32 v7, v7, 23, v22
	v_or3_b32 v28, v30, v7, v28
.LBB221_40:                             ;   in Loop: Header=BB221_13 Depth=1
	s_or_b64 exec, exec, s[46:47]
.LBB221_41:                             ;   in Loop: Header=BB221_13 Depth=1
	s_or_b64 exec, exec, s[44:45]
.LBB221_42:                             ;   in Loop: Header=BB221_13 Depth=1
	s_or_b64 exec, exec, s[42:43]
	global_load_ubyte v32, v[5:6], off offset:256
	v_mov_b32_e32 v30, 0
	v_mov_b32_e32 v31, 0
	s_waitcnt vmcnt(0)
	v_cmp_ne_u16_e64 s[6:7], 0, v32
	s_and_saveexec_b64 s[42:43], s[6:7]
	s_cbranch_execz .LBB221_48
; %bb.43:                               ;   in Loop: Header=BB221_13 Depth=1
	v_cmp_ne_u16_e64 s[6:7], s54, v32
	v_bfrev_b32_e32 v31, 1
	s_and_saveexec_b64 s[44:45], s[6:7]
	s_cbranch_execz .LBB221_47
; %bb.44:                               ;   in Loop: Header=BB221_13 Depth=1
	v_and_b32_e32 v7, 0xffff, v32
	v_and_b32_e32 v33, 0x7f, v7
	v_cmp_ne_u32_e64 s[6:7], s55, v33
	v_mov_b32_e32 v31, 0x7f800001
	s_and_saveexec_b64 s[46:47], s[6:7]
	s_cbranch_execz .LBB221_46
; %bb.45:                               ;   in Loop: Header=BB221_13 Depth=1
	v_and_b32_e32 v31, 7, v7
	v_ffbh_u32_e32 v34, v31
	v_min_u32_e32 v37, 32, v34
	v_subrev_u32_e32 v34, 28, v37
	v_lshlrev_b64 v[34:35], v34, v[7:8]
	v_lshrrev_b32_e32 v36, 3, v33
	v_sub_u32_e32 v7, 29, v37
	v_and_b32_e32 v34, 7, v34
	v_cmp_gt_u32_e64 s[6:7], 8, v33
	v_cndmask_b32_e64 v7, v36, v7, s[6:7]
	v_cndmask_b32_e64 v31, v31, v34, s[6:7]
	v_lshlrev_b32_e32 v32, 24, v32
	v_lshlrev_b32_e32 v31, 20, v31
	v_and_b32_e32 v32, 0x80000000, v32
	v_lshl_add_u32 v7, v7, 23, v22
	v_or3_b32 v31, v32, v7, v31
.LBB221_46:                             ;   in Loop: Header=BB221_13 Depth=1
	s_or_b64 exec, exec, s[46:47]
.LBB221_47:                             ;   in Loop: Header=BB221_13 Depth=1
	s_or_b64 exec, exec, s[44:45]
.LBB221_48:                             ;   in Loop: Header=BB221_13 Depth=1
	s_or_b64 exec, exec, s[42:43]
	global_load_ubyte v32, v[5:6], off offset:264
	s_waitcnt vmcnt(0)
	v_cmp_ne_u16_e64 s[6:7], 0, v32
	s_and_saveexec_b64 s[42:43], s[6:7]
	s_cbranch_execz .LBB221_54
; %bb.49:                               ;   in Loop: Header=BB221_13 Depth=1
	v_cmp_ne_u16_e64 s[6:7], s54, v32
	v_bfrev_b32_e32 v30, 1
	s_and_saveexec_b64 s[44:45], s[6:7]
	s_cbranch_execz .LBB221_53
; %bb.50:                               ;   in Loop: Header=BB221_13 Depth=1
	v_and_b32_e32 v7, 0xffff, v32
	v_and_b32_e32 v33, 0x7f, v7
	v_cmp_ne_u32_e64 s[6:7], s55, v33
	v_mov_b32_e32 v30, 0x7f800001
	s_and_saveexec_b64 s[46:47], s[6:7]
	s_cbranch_execz .LBB221_52
; %bb.51:                               ;   in Loop: Header=BB221_13 Depth=1
	v_and_b32_e32 v30, 7, v7
	v_ffbh_u32_e32 v34, v30
	v_min_u32_e32 v37, 32, v34
	v_subrev_u32_e32 v34, 28, v37
	v_lshlrev_b64 v[34:35], v34, v[7:8]
	v_lshrrev_b32_e32 v36, 3, v33
	v_sub_u32_e32 v7, 29, v37
	v_and_b32_e32 v34, 7, v34
	v_cmp_gt_u32_e64 s[6:7], 8, v33
	v_cndmask_b32_e64 v7, v36, v7, s[6:7]
	v_cndmask_b32_e64 v30, v30, v34, s[6:7]
	v_lshlrev_b32_e32 v32, 24, v32
	v_lshlrev_b32_e32 v30, 20, v30
	v_and_b32_e32 v32, 0x80000000, v32
	v_lshl_add_u32 v7, v7, 23, v22
	v_or3_b32 v30, v32, v7, v30
.LBB221_52:                             ;   in Loop: Header=BB221_13 Depth=1
	s_or_b64 exec, exec, s[46:47]
.LBB221_53:                             ;   in Loop: Header=BB221_13 Depth=1
	s_or_b64 exec, exec, s[44:45]
.LBB221_54:                             ;   in Loop: Header=BB221_13 Depth=1
	s_or_b64 exec, exec, s[42:43]
	global_load_ubyte v34, v[5:6], off offset:384
	v_mov_b32_e32 v32, 0
	v_mov_b32_e32 v33, 0
	s_waitcnt vmcnt(0)
	v_cmp_ne_u16_e64 s[6:7], 0, v34
	s_and_saveexec_b64 s[42:43], s[6:7]
	s_cbranch_execz .LBB221_60
; %bb.55:                               ;   in Loop: Header=BB221_13 Depth=1
	v_cmp_ne_u16_e64 s[6:7], s54, v34
	v_bfrev_b32_e32 v33, 1
	s_and_saveexec_b64 s[44:45], s[6:7]
	s_cbranch_execz .LBB221_59
; %bb.56:                               ;   in Loop: Header=BB221_13 Depth=1
	v_and_b32_e32 v7, 0xffff, v34
	v_and_b32_e32 v35, 0x7f, v7
	v_cmp_ne_u32_e64 s[6:7], s55, v35
	v_mov_b32_e32 v33, 0x7f800001
	s_and_saveexec_b64 s[46:47], s[6:7]
	s_cbranch_execz .LBB221_58
; %bb.57:                               ;   in Loop: Header=BB221_13 Depth=1
	v_and_b32_e32 v33, 7, v7
	v_ffbh_u32_e32 v36, v33
	v_min_u32_e32 v39, 32, v36
	v_subrev_u32_e32 v36, 28, v39
	v_lshlrev_b64 v[36:37], v36, v[7:8]
	v_lshrrev_b32_e32 v38, 3, v35
	v_sub_u32_e32 v7, 29, v39
	v_and_b32_e32 v36, 7, v36
	v_cmp_gt_u32_e64 s[6:7], 8, v35
	v_cndmask_b32_e64 v7, v38, v7, s[6:7]
	v_cndmask_b32_e64 v33, v33, v36, s[6:7]
	v_lshlrev_b32_e32 v34, 24, v34
	v_lshlrev_b32_e32 v33, 20, v33
	v_and_b32_e32 v34, 0x80000000, v34
	v_lshl_add_u32 v7, v7, 23, v22
	v_or3_b32 v33, v34, v7, v33
.LBB221_58:                             ;   in Loop: Header=BB221_13 Depth=1
	s_or_b64 exec, exec, s[46:47]
.LBB221_59:                             ;   in Loop: Header=BB221_13 Depth=1
	s_or_b64 exec, exec, s[44:45]
.LBB221_60:                             ;   in Loop: Header=BB221_13 Depth=1
	s_or_b64 exec, exec, s[42:43]
	global_load_ubyte v34, v[5:6], off offset:392
	s_waitcnt vmcnt(0)
	v_cmp_ne_u16_e64 s[6:7], 0, v34
	s_and_saveexec_b64 s[42:43], s[6:7]
	s_cbranch_execz .LBB221_66
; %bb.61:                               ;   in Loop: Header=BB221_13 Depth=1
	v_cmp_ne_u16_e64 s[6:7], s54, v34
	v_bfrev_b32_e32 v32, 1
	s_and_saveexec_b64 s[44:45], s[6:7]
	s_cbranch_execz .LBB221_65
; %bb.62:                               ;   in Loop: Header=BB221_13 Depth=1
	v_and_b32_e32 v7, 0xffff, v34
	v_and_b32_e32 v35, 0x7f, v7
	v_cmp_ne_u32_e64 s[6:7], s55, v35
	v_mov_b32_e32 v32, 0x7f800001
	s_and_saveexec_b64 s[46:47], s[6:7]
	s_cbranch_execz .LBB221_64
; %bb.63:                               ;   in Loop: Header=BB221_13 Depth=1
	v_and_b32_e32 v32, 7, v7
	v_ffbh_u32_e32 v36, v32
	v_min_u32_e32 v39, 32, v36
	v_subrev_u32_e32 v36, 28, v39
	v_lshlrev_b64 v[36:37], v36, v[7:8]
	v_lshrrev_b32_e32 v38, 3, v35
	v_sub_u32_e32 v7, 29, v39
	v_and_b32_e32 v36, 7, v36
	v_cmp_gt_u32_e64 s[6:7], 8, v35
	v_cndmask_b32_e64 v7, v38, v7, s[6:7]
	v_cndmask_b32_e64 v32, v32, v36, s[6:7]
	v_lshlrev_b32_e32 v34, 24, v34
	v_lshlrev_b32_e32 v32, 20, v32
	v_and_b32_e32 v34, 0x80000000, v34
	v_lshl_add_u32 v7, v7, 23, v22
	v_or3_b32 v32, v34, v7, v32
.LBB221_64:                             ;   in Loop: Header=BB221_13 Depth=1
	s_or_b64 exec, exec, s[46:47]
.LBB221_65:                             ;   in Loop: Header=BB221_13 Depth=1
	s_or_b64 exec, exec, s[44:45]
.LBB221_66:                             ;   in Loop: Header=BB221_13 Depth=1
	s_or_b64 exec, exec, s[42:43]
	global_load_ubyte v36, v[5:6], off offset:512
	v_mov_b32_e32 v34, 0
	v_mov_b32_e32 v35, 0
	s_waitcnt vmcnt(0)
	v_cmp_ne_u16_e64 s[6:7], 0, v36
	s_and_saveexec_b64 s[42:43], s[6:7]
	s_cbranch_execz .LBB221_72
; %bb.67:                               ;   in Loop: Header=BB221_13 Depth=1
	v_cmp_ne_u16_e64 s[6:7], s54, v36
	v_bfrev_b32_e32 v35, 1
	s_and_saveexec_b64 s[44:45], s[6:7]
	s_cbranch_execz .LBB221_71
; %bb.68:                               ;   in Loop: Header=BB221_13 Depth=1
	v_and_b32_e32 v7, 0xffff, v36
	v_and_b32_e32 v37, 0x7f, v7
	v_cmp_ne_u32_e64 s[6:7], s55, v37
	v_mov_b32_e32 v35, 0x7f800001
	s_and_saveexec_b64 s[46:47], s[6:7]
	s_cbranch_execz .LBB221_70
; %bb.69:                               ;   in Loop: Header=BB221_13 Depth=1
	v_and_b32_e32 v35, 7, v7
	v_ffbh_u32_e32 v38, v35
	v_min_u32_e32 v41, 32, v38
	v_subrev_u32_e32 v38, 28, v41
	v_lshlrev_b64 v[38:39], v38, v[7:8]
	v_lshrrev_b32_e32 v40, 3, v37
	v_sub_u32_e32 v7, 29, v41
	v_and_b32_e32 v38, 7, v38
	v_cmp_gt_u32_e64 s[6:7], 8, v37
	v_cndmask_b32_e64 v7, v40, v7, s[6:7]
	v_cndmask_b32_e64 v35, v35, v38, s[6:7]
	v_lshlrev_b32_e32 v36, 24, v36
	v_lshlrev_b32_e32 v35, 20, v35
	v_and_b32_e32 v36, 0x80000000, v36
	v_lshl_add_u32 v7, v7, 23, v22
	v_or3_b32 v35, v36, v7, v35
.LBB221_70:                             ;   in Loop: Header=BB221_13 Depth=1
	s_or_b64 exec, exec, s[46:47]
.LBB221_71:                             ;   in Loop: Header=BB221_13 Depth=1
	s_or_b64 exec, exec, s[44:45]
.LBB221_72:                             ;   in Loop: Header=BB221_13 Depth=1
	s_or_b64 exec, exec, s[42:43]
	global_load_ubyte v36, v[5:6], off offset:520
	s_waitcnt vmcnt(0)
	v_cmp_ne_u16_e64 s[6:7], 0, v36
	s_and_saveexec_b64 s[42:43], s[6:7]
	s_cbranch_execz .LBB221_78
; %bb.73:                               ;   in Loop: Header=BB221_13 Depth=1
	v_cmp_ne_u16_e64 s[6:7], s54, v36
	v_bfrev_b32_e32 v34, 1
	s_and_saveexec_b64 s[44:45], s[6:7]
	s_cbranch_execz .LBB221_77
; %bb.74:                               ;   in Loop: Header=BB221_13 Depth=1
	v_and_b32_e32 v7, 0xffff, v36
	v_and_b32_e32 v37, 0x7f, v7
	v_cmp_ne_u32_e64 s[6:7], s55, v37
	v_mov_b32_e32 v34, 0x7f800001
	s_and_saveexec_b64 s[46:47], s[6:7]
	s_cbranch_execz .LBB221_76
; %bb.75:                               ;   in Loop: Header=BB221_13 Depth=1
	v_and_b32_e32 v34, 7, v7
	v_ffbh_u32_e32 v38, v34
	v_min_u32_e32 v41, 32, v38
	v_subrev_u32_e32 v38, 28, v41
	v_lshlrev_b64 v[38:39], v38, v[7:8]
	v_lshrrev_b32_e32 v40, 3, v37
	v_sub_u32_e32 v7, 29, v41
	v_and_b32_e32 v38, 7, v38
	v_cmp_gt_u32_e64 s[6:7], 8, v37
	v_cndmask_b32_e64 v7, v40, v7, s[6:7]
	v_cndmask_b32_e64 v34, v34, v38, s[6:7]
	v_lshlrev_b32_e32 v36, 24, v36
	v_lshlrev_b32_e32 v34, 20, v34
	v_and_b32_e32 v36, 0x80000000, v36
	v_lshl_add_u32 v7, v7, 23, v22
	v_or3_b32 v34, v36, v7, v34
.LBB221_76:                             ;   in Loop: Header=BB221_13 Depth=1
	s_or_b64 exec, exec, s[46:47]
.LBB221_77:                             ;   in Loop: Header=BB221_13 Depth=1
	s_or_b64 exec, exec, s[44:45]
.LBB221_78:                             ;   in Loop: Header=BB221_13 Depth=1
	s_or_b64 exec, exec, s[42:43]
	global_load_ubyte v38, v[5:6], off offset:640
	v_mov_b32_e32 v36, 0
	v_mov_b32_e32 v37, 0
	s_waitcnt vmcnt(0)
	v_cmp_ne_u16_e64 s[6:7], 0, v38
	s_and_saveexec_b64 s[42:43], s[6:7]
	s_cbranch_execz .LBB221_84
; %bb.79:                               ;   in Loop: Header=BB221_13 Depth=1
	v_cmp_ne_u16_e64 s[6:7], s54, v38
	v_bfrev_b32_e32 v37, 1
	s_and_saveexec_b64 s[44:45], s[6:7]
	s_cbranch_execz .LBB221_83
; %bb.80:                               ;   in Loop: Header=BB221_13 Depth=1
	v_and_b32_e32 v7, 0xffff, v38
	v_and_b32_e32 v39, 0x7f, v7
	v_cmp_ne_u32_e64 s[6:7], s55, v39
	v_mov_b32_e32 v37, 0x7f800001
	s_and_saveexec_b64 s[46:47], s[6:7]
	s_cbranch_execz .LBB221_82
; %bb.81:                               ;   in Loop: Header=BB221_13 Depth=1
	v_and_b32_e32 v37, 7, v7
	v_ffbh_u32_e32 v40, v37
	v_min_u32_e32 v43, 32, v40
	v_subrev_u32_e32 v40, 28, v43
	v_lshlrev_b64 v[40:41], v40, v[7:8]
	v_lshrrev_b32_e32 v42, 3, v39
	v_sub_u32_e32 v7, 29, v43
	v_and_b32_e32 v40, 7, v40
	v_cmp_gt_u32_e64 s[6:7], 8, v39
	v_cndmask_b32_e64 v7, v42, v7, s[6:7]
	v_cndmask_b32_e64 v37, v37, v40, s[6:7]
	v_lshlrev_b32_e32 v38, 24, v38
	v_lshlrev_b32_e32 v37, 20, v37
	v_and_b32_e32 v38, 0x80000000, v38
	v_lshl_add_u32 v7, v7, 23, v22
	v_or3_b32 v37, v38, v7, v37
.LBB221_82:                             ;   in Loop: Header=BB221_13 Depth=1
	s_or_b64 exec, exec, s[46:47]
.LBB221_83:                             ;   in Loop: Header=BB221_13 Depth=1
	s_or_b64 exec, exec, s[44:45]
.LBB221_84:                             ;   in Loop: Header=BB221_13 Depth=1
	s_or_b64 exec, exec, s[42:43]
	global_load_ubyte v6, v[5:6], off offset:648
	s_waitcnt vmcnt(0)
	v_cmp_ne_u16_e64 s[6:7], 0, v6
	s_and_saveexec_b64 s[42:43], s[6:7]
	s_cbranch_execz .LBB221_90
; %bb.85:                               ;   in Loop: Header=BB221_13 Depth=1
	v_cmp_ne_u16_e64 s[6:7], s54, v6
	v_bfrev_b32_e32 v36, 1
	s_and_saveexec_b64 s[44:45], s[6:7]
	s_cbranch_execz .LBB221_89
; %bb.86:                               ;   in Loop: Header=BB221_13 Depth=1
	v_and_b32_e32 v5, 0xffff, v6
	v_and_b32_e32 v7, 0x7f, v5
	v_cmp_ne_u32_e64 s[6:7], s55, v7
	v_mov_b32_e32 v36, 0x7f800001
	s_and_saveexec_b64 s[46:47], s[6:7]
	s_cbranch_execz .LBB221_88
; %bb.87:                               ;   in Loop: Header=BB221_13 Depth=1
	v_and_b32_e32 v36, 7, v5
	v_ffbh_u32_e32 v38, v36
	v_min_u32_e32 v41, 32, v38
	v_subrev_u32_e32 v38, 28, v41
	v_lshlrev_b64 v[38:39], v38, v[5:6]
	v_lshrrev_b32_e32 v40, 3, v7
	v_sub_u32_e32 v5, 29, v41
	v_and_b32_e32 v38, 7, v38
	v_cmp_gt_u32_e64 s[6:7], 8, v7
	v_cndmask_b32_e64 v5, v40, v5, s[6:7]
	v_cndmask_b32_e64 v7, v36, v38, s[6:7]
	v_lshlrev_b32_e32 v6, 24, v6
	v_lshlrev_b32_e32 v7, 20, v7
	v_and_b32_e32 v6, 0x80000000, v6
	v_lshl_add_u32 v5, v5, 23, v22
	v_or3_b32 v36, v6, v5, v7
.LBB221_88:                             ;   in Loop: Header=BB221_13 Depth=1
	s_or_b64 exec, exec, s[46:47]
.LBB221_89:                             ;   in Loop: Header=BB221_13 Depth=1
	s_or_b64 exec, exec, s[44:45]
.LBB221_90:                             ;   in Loop: Header=BB221_13 Depth=1
	s_or_b64 exec, exec, s[42:43]
	ds_read_u16 v6, v15
	v_fma_mixlo_f16 v5, v25, v27, 0
	v_and_b32_e32 v7, 0xffff, v5
	s_waitcnt lgkmcnt(0)
	;;#ASMSTART
	v_cvt_f32_f16 v5, v6;
	;;#ASMEND
	;;#ASMSTART
	v_cvt_f32_f16 v6, v7;
	;;#ASMEND
	ds_read_u16 v27, v15 offset:2
	v_fma_mixlo_f16 v7, v25, v26, 0
	v_and_b32_e32 v26, 0xffff, v7
	s_waitcnt lgkmcnt(0)
	;;#ASMSTART
	v_cvt_f32_f16 v7, v27;
	;;#ASMEND
	;;#ASMSTART
	v_cvt_f32_f16 v26, v26;
	;;#ASMEND
	v_fma_mixlo_f16 v27, v25, v29, 0
	v_mul_f32_e32 v7, v7, v26
	ds_read_u16 v38, v15 offset:4
	v_and_b32_e32 v29, 0xffff, v27
	v_fma_mixlo_f16 v28, v25, v28, 0
	v_fmac_f32_e32 v7, v5, v6
	s_waitcnt lgkmcnt(0)
	;;#ASMSTART
	v_cvt_f32_f16 v27, v38;
	;;#ASMEND
	;;#ASMSTART
	v_cvt_f32_f16 v29, v29;
	;;#ASMEND
	ds_read_u16 v38, v15 offset:6
	v_and_b32_e32 v39, 0xffff, v28
	v_fma_mixlo_f16 v31, v25, v31, 0
	v_fmac_f32_e32 v7, v27, v29
	s_waitcnt lgkmcnt(0)
	;;#ASMSTART
	v_cvt_f32_f16 v28, v38;
	;;#ASMEND
	;;#ASMSTART
	v_cvt_f32_f16 v38, v39;
	;;#ASMEND
	;; [unrolled: 11-line block ×5, first 2 shown]
	ds_read_u16 v42, v15 offset:14
	v_and_b32_e32 v43, 0xffff, v32
	v_fmac_f32_e32 v7, v33, v41
	s_waitcnt lgkmcnt(0)
	;;#ASMSTART
	v_cvt_f32_f16 v32, v42;
	;;#ASMEND
	;;#ASMSTART
	v_cvt_f32_f16 v42, v43;
	;;#ASMEND
	ds_read_u16 v43, v15 offset:16
	v_fma_mixlo_f16 v34, v25, v34, 0
	v_fma_mixlo_f16 v35, v25, v35, 0
	v_fmac_f32_e32 v7, v32, v42
	v_fma_mixlo_f16 v37, v25, v37, 0
	v_and_b32_e32 v44, 0xffff, v35
	s_waitcnt lgkmcnt(0)
	;;#ASMSTART
	v_cvt_f32_f16 v35, v43;
	;;#ASMEND
	;;#ASMSTART
	v_cvt_f32_f16 v43, v44;
	;;#ASMEND
	v_and_b32_e32 v6, 0xffff, v34
	v_fmac_f32_e32 v7, v35, v43
	ds_read_u16 v44, v15 offset:18
	v_fma_mixlo_f16 v25, v25, v36, 0
	s_waitcnt lgkmcnt(0)
	;;#ASMSTART
	v_cvt_f32_f16 v5, v44;
	;;#ASMEND
	;;#ASMSTART
	v_cvt_f32_f16 v6, v6;
	;;#ASMEND
	ds_read_u16 v26, v15 offset:20
	v_and_b32_e32 v27, 0xffff, v37
	v_fmac_f32_e32 v7, v5, v6
	s_waitcnt lgkmcnt(0)
	;;#ASMSTART
	v_cvt_f32_f16 v26, v26;
	;;#ASMEND
	;;#ASMSTART
	v_cvt_f32_f16 v27, v27;
	;;#ASMEND
	ds_read_u16 v28, v15 offset:22
	v_fmac_f32_e32 v7, v26, v27
	s_waitcnt lgkmcnt(0)
	;;#ASMSTART
	v_cvt_f32_f16 v5, v28;
	;;#ASMEND
	v_and_b32_e32 v6, 0xffff, v25
	;;#ASMSTART
	v_cvt_f32_f16 v6, v6;
	;;#ASMEND
	v_fmac_f32_e32 v7, v5, v6
	v_and_b32_e32 v5, 64, v23
	v_add_u32_e32 v6, 64, v5
	v_xor_b32_e32 v5, 4, v23
	v_cmp_lt_i32_e64 s[6:7], v5, v6
	v_cndmask_b32_e64 v5, v23, v5, s[6:7]
	v_lshlrev_b32_e32 v5, 2, v5
	ds_bpermute_b32 v5, v5, v7
	s_waitcnt lgkmcnt(0)
	v_add_f32_e32 v5, v7, v5
	v_xor_b32_e32 v7, 2, v23
	v_cmp_lt_i32_e64 s[6:7], v7, v6
	v_cndmask_b32_e64 v7, v23, v7, s[6:7]
	v_lshlrev_b32_e32 v7, 2, v7
	ds_bpermute_b32 v7, v7, v5
	s_waitcnt lgkmcnt(0)
	v_add_f32_e32 v5, v5, v7
	v_xor_b32_e32 v7, 1, v23
	v_cmp_lt_i32_e64 s[6:7], v7, v6
	v_cndmask_b32_e64 v6, v23, v7, s[6:7]
	v_lshlrev_b32_e32 v6, 2, v6
	ds_bpermute_b32 v6, v6, v5
	s_and_saveexec_b64 s[42:43], vcc
	s_cbranch_execz .LBB221_11
; %bb.91:                               ;   in Loop: Header=BB221_13 Depth=1
	v_add_u32_e32 v7, v19, v18
	v_cvt_f32_i32_e32 v7, v7
	s_waitcnt lgkmcnt(0)
	v_add_f32_e32 v5, v5, v6
	v_add_u32_e32 v25, v13, v18
	v_cmp_gt_i32_e64 s[6:7], s25, v25
	v_mul_f32_e32 v6, s51, v7
	v_cndmask_b32_e64 v6, 0, v6, s[4:5]
	v_fmac_f32_e32 v6, s39, v5
	v_cndmask_b32_e64 v5, 0, v6, s[6:7]
	ds_write_b32 v20, v5
	v_max_f32_e32 v5, v16, v16
	v_max_f32_e32 v5, v5, v6
	v_cndmask_b32_e64 v16, v16, v5, s[6:7]
	s_branch .LBB221_11
.LBB221_92:
	s_or_b64 exec, exec, s[40:41]
.LBB221_93:
	s_or_b64 exec, exec, s[18:19]
	v_mbcnt_hi_u32_b32 v1, -1, v12
	v_and_b32_e32 v14, 64, v1
	v_add_u32_e32 v2, 64, v14
	v_xor_b32_e32 v3, 32, v1
	v_cmp_lt_i32_e32 vcc, v3, v2
	v_cndmask_b32_e32 v3, v1, v3, vcc
	v_lshlrev_b32_e32 v4, 2, v3
	ds_bpermute_b32 v3, v4, v16
	s_waitcnt lgkmcnt(1)
	v_xor_b32_e32 v6, 16, v1
	v_max_f32_e32 v5, v16, v16
	v_cmp_lt_i32_e32 vcc, v6, v2
	v_xor_b32_e32 v7, 8, v1
	s_waitcnt lgkmcnt(0)
	v_max_f32_e32 v3, v3, v3
	v_max_f32_e32 v3, v5, v3
	v_cndmask_b32_e32 v5, v1, v6, vcc
	v_lshlrev_b32_e32 v6, 2, v5
	ds_bpermute_b32 v5, v6, v3
	v_cmp_lt_i32_e32 vcc, v7, v2
	v_and_b32_e32 v12, 63, v0
	s_waitcnt lgkmcnt(0)
	v_max_f32_e32 v5, v5, v5
	v_max_f32_e32 v5, v3, v5
	v_cndmask_b32_e32 v3, v1, v7, vcc
	v_lshlrev_b32_e32 v13, 2, v3
	ds_bpermute_b32 v7, v13, v5
	v_cmp_eq_u32_e32 vcc, 0, v12
	v_lshlrev_b32_e32 v3, 2, v10
	s_and_saveexec_b64 s[4:5], vcc
	s_cbranch_execz .LBB221_95
; %bb.94:
	s_waitcnt lgkmcnt(0)
	v_max_f32_e32 v7, v7, v7
	v_max_f32_e32 v5, v5, v5
	;; [unrolled: 1-line block ×3, first 2 shown]
	ds_write_b32 v3, v5 offset:192
.LBB221_95:
	s_or_b64 exec, exec, s[4:5]
	v_cmp_gt_u32_e64 s[4:5], 2, v12
	v_mov_b32_e32 v15, 0xff7fffff
	v_lshlrev_b32_e32 v5, 2, v12
	s_waitcnt lgkmcnt(0)
	s_barrier
	s_and_saveexec_b64 s[6:7], s[4:5]
; %bb.96:
	ds_read_b32 v15, v5 offset:192
; %bb.97:
	s_or_b64 exec, exec, s[6:7]
	v_xor_b32_e32 v7, 1, v1
	v_cmp_lt_i32_e64 s[6:7], v7, v2
	v_cndmask_b32_e64 v7, v1, v7, s[6:7]
	v_lshlrev_b32_e32 v7, 2, v7
	s_waitcnt lgkmcnt(0)
	ds_bpermute_b32 v16, v7, v15
	v_max_f32_e32 v15, v15, v15
	v_lshlrev_b32_e32 v14, 2, v14
	s_lshl_b32 s6, s50, 3
	s_min_i32 s23, s6, s25
	s_waitcnt lgkmcnt(0)
	v_max_f32_e32 v16, v16, v16
	v_max_f32_e32 v15, v15, v16
	ds_bpermute_b32 v15, v14, v15
	v_cmp_gt_i32_e64 s[6:7], s23, v0
	v_mov_b32_e32 v14, 0
	s_and_saveexec_b64 s[12:13], s[6:7]
	s_cbranch_execz .LBB221_101
; %bb.98:
	v_mov_b32_e32 v14, 0xd0
	v_lshl_add_u32 v16, v0, 2, v14
	v_mov_b32_e32 v14, 0
	s_mov_b64 s[18:19], 0
	v_mov_b32_e32 v17, v0
.LBB221_99:                             ; =>This Inner Loop Header: Depth=1
	ds_read_b32 v18, v16
	v_add_u32_e32 v17, 0x80, v17
	v_cmp_le_i32_e64 s[10:11], s23, v17
	s_or_b64 s[18:19], s[10:11], s[18:19]
	s_waitcnt lgkmcnt(0)
	v_sub_f32_e32 v18, v18, v15
	v_mul_f32_e32 v18, 0x3fb8aa3b, v18
	v_exp_f32_e32 v18, v18
	ds_write_b32 v16, v18
	v_add_f32_e32 v14, v14, v18
	v_add_u32_e32 v16, 0x200, v16
	s_andn2_b64 exec, exec, s[18:19]
	s_cbranch_execnz .LBB221_99
; %bb.100:
	s_or_b64 exec, exec, s[18:19]
.LBB221_101:
	s_or_b64 exec, exec, s[12:13]
	ds_bpermute_b32 v4, v4, v14
	s_waitcnt lgkmcnt(0)
	v_add_f32_e32 v4, v14, v4
	ds_bpermute_b32 v6, v6, v4
	s_waitcnt lgkmcnt(0)
	v_add_f32_e32 v4, v4, v6
	ds_bpermute_b32 v6, v13, v4
	v_xor_b32_e32 v13, 4, v1
	v_cmp_lt_i32_e64 s[10:11], v13, v2
	v_cndmask_b32_e64 v13, v1, v13, s[10:11]
	v_lshlrev_b32_e32 v13, 2, v13
	s_waitcnt lgkmcnt(0)
	v_add_f32_e32 v4, v4, v6
	ds_bpermute_b32 v6, v13, v4
	v_xor_b32_e32 v13, 2, v1
	v_cmp_lt_i32_e64 s[10:11], v13, v2
	v_cndmask_b32_e64 v2, v1, v13, s[10:11]
	v_lshlrev_b32_e32 v2, 2, v2
	s_waitcnt lgkmcnt(0)
	v_add_f32_e32 v4, v4, v6
	ds_bpermute_b32 v2, v2, v4
	s_waitcnt lgkmcnt(0)
	v_add_f32_e32 v2, v4, v2
	ds_bpermute_b32 v4, v7, v2
	s_waitcnt lgkmcnt(0)
	v_add_f32_e32 v2, v2, v4
	s_and_saveexec_b64 s[10:11], vcc
; %bb.102:
	ds_write_b32 v3, v2 offset:200
; %bb.103:
	s_or_b64 exec, exec, s[10:11]
	s_waitcnt lgkmcnt(0)
	s_barrier
	s_and_saveexec_b64 s[10:11], s[4:5]
; %bb.104:
	ds_read_b32 v2, v5 offset:200
; %bb.105:
	s_or_b64 exec, exec, s[10:11]
	s_waitcnt lgkmcnt(0)
	ds_bpermute_b32 v3, v7, v2
	v_lshlrev_b32_e32 v1, 2, v1
	v_and_b32_e32 v1, 0x100, v1
	s_waitcnt lgkmcnt(0)
	v_add_f32_e32 v2, v2, v3
	ds_bpermute_b32 v1, v1, v2
	s_and_saveexec_b64 s[4:5], s[6:7]
	s_cbranch_execz .LBB221_108
; %bb.106:
	s_waitcnt lgkmcnt(0)
	v_add_f32_e32 v2, 0x358637bd, v1
	v_div_scale_f32 v1, s[6:7], v2, v2, 1.0
	v_div_scale_f32 v3, vcc, 1.0, v2, 1.0
	s_mov_b64 s[6:7], 0
	v_rcp_f32_e32 v4, v1
	v_fma_f32 v5, -v1, v4, 1.0
	v_fmac_f32_e32 v4, v5, v4
	v_mul_f32_e32 v5, v3, v4
	v_fma_f32 v6, -v1, v5, v3
	v_fmac_f32_e32 v5, v6, v4
	v_fma_f32 v1, -v1, v5, v3
	v_div_fmas_f32 v3, v1, v4, v5
	v_mov_b32_e32 v1, 0xd0
	v_lshl_add_u32 v1, v0, 2, v1
	v_div_fixup_f32 v2, v3, v2, 1.0
	v_mov_b32_e32 v3, v0
.LBB221_107:                            ; =>This Inner Loop Header: Depth=1
	ds_read_b32 v4, v1
	v_add_u32_e32 v3, 0x80, v3
	v_cmp_le_i32_e32 vcc, s23, v3
	s_or_b64 s[6:7], vcc, s[6:7]
	s_waitcnt lgkmcnt(0)
	v_mul_f32_e32 v4, v2, v4
	ds_write_b32 v1, v4
	v_add_u32_e32 v1, 0x200, v1
	s_andn2_b64 exec, exec, s[6:7]
	s_cbranch_execnz .LBB221_107
.LBB221_108:
	s_or_b64 exec, exec, s[4:5]
	v_mov_b32_e32 v14, 0
	v_mov_b32_e32 v13, 0
	s_waitcnt lgkmcnt(0)
	s_barrier
	s_and_saveexec_b64 s[6:7], s[2:3]
	s_cbranch_execz .LBB221_216
; %bb.109:
	s_sub_i32 s39, s16, s21
	s_ashr_i32 s2, s20, 31
	s_add_u32 s10, s36, s20
	s_addc_u32 s11, s37, s2
	s_abs_i32 s36, s22
	v_cvt_f32_u32_e32 v1, s36
	s_sub_i32 s3, 0, s36
	v_or_b32_e32 v3, 64, v12
	s_movk_i32 s2, 0x60
	v_rcp_iflag_f32_e32 v1, v1
	v_cmp_gt_u32_e32 vcc, s2, v3
	v_lshlrev_b32_e32 v16, 3, v3
	s_add_i32 s40, s50, -1
	v_mul_f32_e32 v1, 0x4f7ffffe, v1
	v_cvt_u32_f32_e32 v1, v1
	v_and_b32_e32 v5, 60, v8
	s_mov_b32 s12, -1
	s_mov_b32 s37, s17
	v_mul_lo_u32 v4, s3, v1
	s_lshl_b64 s[2:3], s[34:35], 2
	s_add_u32 s2, s30, s2
	s_addc_u32 s3, s31, s3
	v_mul_hi_u32 v3, v1, v4
	s_mov_b32 s13, 0xffffff
	v_lshlrev_b32_e32 v15, 3, v12
	v_mov_b32_e32 v2, 0
	v_add_u32_e32 v17, v1, v3
	v_mov_b32_e32 v1, s3
	v_add_co_u32_e64 v3, s[2:3], s2, v5
	v_addc_co_u32_e64 v4, s[2:3], 0, v1, s[2:3]
	v_mov_b32_e32 v1, 0xd0
	v_lshl_add_u32 v18, v10, 5, v1
	s_mov_b64 s[16:17], 0
	s_movk_i32 s41, 0x80
	s_movk_i32 s42, 0x7f
	s_mov_b32 s43, 0x8000
	v_mov_b32_e32 v19, 0x2000
	v_mov_b32_e32 v13, 0
	v_mov_b32_e32 v14, 0
	s_branch .LBB221_113
.LBB221_110:                            ;   in Loop: Header=BB221_113 Depth=1
	s_or_b64 exec, exec, s[4:5]
	;;#ASMSTART
	v_pk_mul_f16 v5, v23, v5;

	;;#ASMEND
	;;#ASMSTART
	v_pk_mul_f16 v1, v22, v1;

	;;#ASMEND
	;; [unrolled: 4-line block ×4, first 2 shown]
	;;#ASMSTART
	v_pk_add_f16 v1, v5, v1;

	;;#ASMEND
	;;#ASMSTART
	v_pk_add_f16 v1, v1, v6;

	;;#ASMEND
	;; [unrolled: 4-line block ×3, first 2 shown]
	v_lshrrev_b32_e32 v5, 16, v1
	v_and_b32_e32 v1, 0xffff, v1
	;;#ASMSTART
	v_cvt_f32_f16 v1, v1;
	;;#ASMEND
	;;#ASMSTART
	v_cvt_f32_f16 v5, v5;
	;;#ASMEND
	v_add_f32_e32 v1, v1, v5
	v_add_f32_e32 v13, v13, v1
.LBB221_111:                            ;   in Loop: Header=BB221_113 Depth=1
	s_or_b64 exec, exec, s[20:21]
	v_add_f32_e32 v1, v7, v8
	v_add_f32_e32 v14, v14, v1
.LBB221_112:                            ;   in Loop: Header=BB221_113 Depth=1
	s_or_b64 exec, exec, s[18:19]
	v_add_co_u32_e64 v3, s[2:3], 8, v3
	v_add_u32_e32 v10, 2, v10
	v_addc_co_u32_e64 v4, s[2:3], 0, v4, s[2:3]
	v_cmp_le_i32_e64 s[2:3], s50, v10
	v_add_u32_e32 v11, 16, v11
	s_or_b64 s[16:17], s[2:3], s[16:17]
	v_add_u32_e32 v18, 64, v18
	s_andn2_b64 exec, exec, s[16:17]
	s_cbranch_execz .LBB221_215
.LBB221_113:                            ; =>This Inner Loop Header: Depth=1
	v_mul_hi_u32 v1, v11, s48
	v_mul_lo_u32 v5, v1, s33
	v_add_u32_e32 v6, 1, v1
	v_sub_u32_e32 v5, v11, v5
	v_cmp_le_u32_e64 s[2:3], s33, v5
	v_cndmask_b32_e64 v1, v1, v6, s[2:3]
	v_subrev_u32_e32 v6, s33, v5
	v_cndmask_b32_e64 v5, v5, v6, s[2:3]
	v_add_u32_e32 v6, 1, v1
	v_cmp_le_u32_e64 s[2:3], s33, v5
	v_cndmask_b32_e64 v1, v1, v6, s[2:3]
	v_xor_b32_e32 v1, s49, v1
	v_subrev_u32_e32 v1, s49, v1
	v_add_u32_e32 v5, s38, v1
	v_sub_u32_e32 v6, 0, v5
	v_max_i32_e32 v6, v5, v6
	v_mul_hi_u32 v7, v6, v17
	v_ashrrev_i32_e32 v5, 31, v5
	v_cmp_lt_i32_e64 s[4:5], s39, v1
	v_mul_lo_u32 v7, v7, s36
	v_sub_u32_e32 v6, v6, v7
	v_subrev_u32_e32 v7, s36, v6
	v_cmp_le_u32_e64 s[2:3], s36, v6
	v_cndmask_b32_e64 v6, v6, v7, s[2:3]
	v_subrev_u32_e32 v7, s36, v6
	v_cmp_le_u32_e64 s[2:3], s36, v6
	v_cndmask_b32_e64 v6, v6, v7, s[2:3]
	v_xor_b32_e32 v6, v6, v5
	v_sub_u32_e32 v5, v6, v5
	v_cmp_eq_u32_e64 s[2:3], 0, v5
	s_or_b64 s[2:3], s[2:3], s[4:5]
	s_and_saveexec_b64 s[18:19], s[2:3]
	s_cbranch_execz .LBB221_112
; %bb.114:                              ;   in Loop: Header=BB221_113 Depth=1
	global_load_dword v1, v[3:4], off
	ds_read2_b64 v[5:8], v18 offset1:1
	ds_read2_b64 v[25:28], v18 offset0:2 offset1:3
	v_mov_b32_e32 v30, s11
	v_mov_b32_e32 v29, s10
	s_waitcnt lgkmcnt(1)
	;;#ASMSTART
	v_cvt_f16_f32 v20, v5;

	;;#ASMEND
	;;#ASMSTART
	v_cvt_f16_f32 v21, v6;

	;;#ASMEND
	;;#ASMSTART
	v_cvt_f16_f32 v22, v7;

	;;#ASMEND
	;;#ASMSTART
	v_cvt_f16_f32 v24, v8;

	;;#ASMEND
	s_waitcnt lgkmcnt(0)
	;;#ASMSTART
	v_cvt_f16_f32 v25, v25;

	;;#ASMEND
	;;#ASMSTART
	v_cvt_f16_f32 v26, v26;

	;;#ASMEND
	;; [unrolled: 4-line block ×4, first 2 shown]
	s_waitcnt vmcnt(0)
	v_mad_i64_i32 v[5:6], s[2:3], v1, s37, v[29:30]
	v_mov_b32_e32 v29, 0
	global_load_dword v23, v29, s[14:15]
	v_add_co_u32_e64 v7, s[2:3], v5, v15
	v_addc_co_u32_e64 v8, s[2:3], 0, v6, s[2:3]
	global_load_dwordx2 v[7:8], v[7:8], off
	v_mov_b32_e32 v30, 0
	s_waitcnt vmcnt(0)
	v_cmp_ne_u16_sdwa s[2:3], v7, v2 src0_sel:BYTE_0 src1_sel:DWORD
	s_and_saveexec_b64 s[4:5], s[2:3]
	s_cbranch_execz .LBB221_120
; %bb.115:                              ;   in Loop: Header=BB221_113 Depth=1
	v_cmp_ne_u16_sdwa s[2:3], v7, s41 src0_sel:BYTE_0 src1_sel:DWORD
	v_mov_b32_e32 v30, 0x8000
	s_and_saveexec_b64 s[20:21], s[2:3]
	s_cbranch_execz .LBB221_119
; %bb.116:                              ;   in Loop: Header=BB221_113 Depth=1
	v_and_b32_e32 v1, 0x7f, v7
	v_cmp_ne_u32_e64 s[2:3], s42, v1
	v_mov_b32_e32 v30, 0x7c01
	s_and_saveexec_b64 s[22:23], s[2:3]
	s_cbranch_execz .LBB221_118
; %bb.117:                              ;   in Loop: Header=BB221_113 Depth=1
	v_and_b32_e32 v32, 7, v7
	v_ffbh_u32_e32 v30, v32
	v_min_u32_e32 v34, 32, v30
	v_subrev_u32_e32 v30, 28, v34
	v_lshlrev_b64 v[30:31], v30, v[7:8]
	v_lshrrev_b32_e32 v33, 3, v1
	v_sub_u32_e32 v31, 29, v34
	v_cmp_gt_u32_e64 s[2:3], 8, v1
	v_cndmask_b32_e64 v1, v33, v31, s[2:3]
	v_lshl_add_u32 v1, v1, 10, v19
	v_lshlrev_b32_e32 v31, 8, v7
	v_and_b32_e32 v30, 7, v30
	v_and_b32_e32 v1, 0xfc00, v1
	v_cndmask_b32_e64 v30, v32, v30, s[2:3]
	v_and_or_b32 v1, v31, s43, v1
	v_lshl_or_b32 v30, v30, 7, v1
.LBB221_118:                            ;   in Loop: Header=BB221_113 Depth=1
	s_or_b64 exec, exec, s[22:23]
.LBB221_119:                            ;   in Loop: Header=BB221_113 Depth=1
	s_or_b64 exec, exec, s[20:21]
.LBB221_120:                            ;   in Loop: Header=BB221_113 Depth=1
	s_or_b64 exec, exec, s[4:5]
	v_lshrrev_b16_e32 v1, 8, v7
	v_cmp_ne_u16_e64 s[2:3], 0, v1
	s_and_saveexec_b64 s[4:5], s[2:3]
	s_cbranch_execz .LBB221_126
; %bb.121:                              ;   in Loop: Header=BB221_113 Depth=1
	v_cmp_ne_u16_e64 s[2:3], s41, v1
	v_bfrev_b32_e32 v29, 1
	s_and_saveexec_b64 s[20:21], s[2:3]
	s_cbranch_execz .LBB221_125
; %bb.122:                              ;   in Loop: Header=BB221_113 Depth=1
	v_and_b32_e32 v31, 0x7f, v1
	v_cmp_ne_u32_e64 s[2:3], s42, v31
	v_mov_b32_e32 v29, 0x7c010000
	s_and_saveexec_b64 s[22:23], s[2:3]
	s_cbranch_execz .LBB221_124
; %bb.123:                              ;   in Loop: Header=BB221_113 Depth=1
	v_and_b32_e32 v29, 7, v1
	v_ffbh_u32_e32 v32, v29
	v_min_u32_e32 v35, 32, v32
	v_subrev_u32_e32 v32, 28, v35
	v_lshlrev_b64 v[32:33], v32, v[1:2]
	v_lshrrev_b32_e32 v34, 3, v31
	v_sub_u32_e32 v33, 29, v35
	v_cmp_gt_u32_e64 s[2:3], 8, v31
	v_cndmask_b32_e64 v31, v34, v33, s[2:3]
	v_lshlrev_b32_e32 v1, 8, v1
	v_lshl_add_u32 v31, v31, 10, v19
	v_and_b32_e32 v32, 7, v32
	v_and_or_b32 v1, v1, s43, v31
	v_cndmask_b32_e64 v29, v29, v32, s[2:3]
	v_lshlrev_b32_e32 v1, 16, v1
	v_lshl_or_b32 v29, v29, 23, v1
.LBB221_124:                            ;   in Loop: Header=BB221_113 Depth=1
	s_or_b64 exec, exec, s[22:23]
.LBB221_125:                            ;   in Loop: Header=BB221_113 Depth=1
	s_or_b64 exec, exec, s[20:21]
.LBB221_126:                            ;   in Loop: Header=BB221_113 Depth=1
	s_or_b64 exec, exec, s[4:5]
	v_lshrrev_b32_e32 v1, 16, v7
	v_cmp_ne_u16_sdwa s[2:3], v1, v2 src0_sel:BYTE_0 src1_sel:DWORD
	v_mov_b32_e32 v31, 0
	v_mov_b32_e32 v32, 0
	s_and_saveexec_b64 s[4:5], s[2:3]
	s_cbranch_execz .LBB221_132
; %bb.127:                              ;   in Loop: Header=BB221_113 Depth=1
	v_cmp_ne_u16_sdwa s[2:3], v1, s41 src0_sel:BYTE_0 src1_sel:DWORD
	v_mov_b32_e32 v32, 0x8000
	s_and_saveexec_b64 s[20:21], s[2:3]
	s_cbranch_execz .LBB221_131
; %bb.128:                              ;   in Loop: Header=BB221_113 Depth=1
	v_bfe_u32 v33, v7, 16, 7
	v_cmp_ne_u32_e64 s[2:3], s42, v33
	v_mov_b32_e32 v32, 0x7c01
	s_and_saveexec_b64 s[22:23], s[2:3]
	s_cbranch_execz .LBB221_130
; %bb.129:                              ;   in Loop: Header=BB221_113 Depth=1
	v_and_b32_e32 v32, 7, v1
	v_ffbh_u32_e32 v34, v32
	v_min_u32_e32 v37, 32, v34
	v_subrev_u32_e32 v34, 28, v37
	v_lshlrev_b64 v[34:35], v34, v[1:2]
	v_lshrrev_b32_e32 v36, 3, v33
	v_sub_u32_e32 v35, 29, v37
	v_cmp_gt_u32_e64 s[2:3], 8, v33
	v_cndmask_b32_e64 v33, v36, v35, s[2:3]
	v_lshl_add_u32 v33, v33, 10, v19
	v_lshlrev_b32_e32 v1, 8, v1
	v_and_b32_e32 v34, 7, v34
	v_and_b32_e32 v33, 0xfc00, v33
	v_cndmask_b32_e64 v32, v32, v34, s[2:3]
	v_and_or_b32 v1, v1, s43, v33
	v_lshl_or_b32 v32, v32, 7, v1
.LBB221_130:                            ;   in Loop: Header=BB221_113 Depth=1
	s_or_b64 exec, exec, s[22:23]
.LBB221_131:                            ;   in Loop: Header=BB221_113 Depth=1
	s_or_b64 exec, exec, s[20:21]
.LBB221_132:                            ;   in Loop: Header=BB221_113 Depth=1
	s_or_b64 exec, exec, s[4:5]
	v_cmp_lt_u32_e64 s[2:3], s13, v7
	s_and_saveexec_b64 s[4:5], s[2:3]
	s_cbranch_execz .LBB221_138
; %bb.133:                              ;   in Loop: Header=BB221_113 Depth=1
	v_lshrrev_b32_e32 v1, 24, v7
	v_cmp_ne_u32_e64 s[2:3], s41, v1
	v_bfrev_b32_e32 v31, 1
	s_and_saveexec_b64 s[20:21], s[2:3]
	s_cbranch_execz .LBB221_137
; %bb.134:                              ;   in Loop: Header=BB221_113 Depth=1
	v_and_b32_e32 v33, 0x7f, v1
	v_cmp_ne_u32_e64 s[2:3], s42, v33
	v_mov_b32_e32 v31, 0x7c010000
	s_and_saveexec_b64 s[22:23], s[2:3]
	s_cbranch_execz .LBB221_136
; %bb.135:                              ;   in Loop: Header=BB221_113 Depth=1
	v_and_b32_e32 v31, 7, v1
	v_ffbh_u32_e32 v34, v31
	v_min_u32_e32 v37, 32, v34
	v_subrev_u32_e32 v34, 28, v37
	v_lshlrev_b64 v[34:35], v34, v[1:2]
	v_lshrrev_b32_e32 v36, 3, v33
	v_sub_u32_e32 v35, 29, v37
	v_cmp_gt_u32_e64 s[2:3], 8, v33
	v_cndmask_b32_e64 v33, v36, v35, s[2:3]
	v_lshlrev_b32_e32 v1, 8, v1
	v_lshl_add_u32 v33, v33, 10, v19
	v_and_b32_e32 v34, 7, v34
	v_and_or_b32 v1, v1, s43, v33
	v_cndmask_b32_e64 v31, v31, v34, s[2:3]
	v_lshlrev_b32_e32 v1, 16, v1
	v_lshl_or_b32 v31, v31, 23, v1
.LBB221_136:                            ;   in Loop: Header=BB221_113 Depth=1
	s_or_b64 exec, exec, s[22:23]
.LBB221_137:                            ;   in Loop: Header=BB221_113 Depth=1
	s_or_b64 exec, exec, s[20:21]
.LBB221_138:                            ;   in Loop: Header=BB221_113 Depth=1
	s_or_b64 exec, exec, s[4:5]
	v_mov_b32_e32 v1, v8
	v_cmp_ne_u16_sdwa s[2:3], v8, v2 src0_sel:BYTE_0 src1_sel:DWORD
	v_mov_b32_e32 v33, 0
	v_mov_b32_e32 v34, 0
	s_and_saveexec_b64 s[4:5], s[2:3]
	s_cbranch_execz .LBB221_144
; %bb.139:                              ;   in Loop: Header=BB221_113 Depth=1
	v_cmp_ne_u16_sdwa s[2:3], v8, s41 src0_sel:BYTE_0 src1_sel:DWORD
	v_mov_b32_e32 v34, 0x8000
	s_and_saveexec_b64 s[20:21], s[2:3]
	s_cbranch_execz .LBB221_143
; %bb.140:                              ;   in Loop: Header=BB221_113 Depth=1
	v_and_b32_e32 v35, 0x7f, v8
	v_cmp_ne_u32_e64 s[2:3], s42, v35
	v_mov_b32_e32 v34, 0x7c01
	s_and_saveexec_b64 s[22:23], s[2:3]
	s_cbranch_execz .LBB221_142
; %bb.141:                              ;   in Loop: Header=BB221_113 Depth=1
	v_and_b32_e32 v34, 7, v8
	v_ffbh_u32_e32 v36, v34
	v_min_u32_e32 v39, 32, v36
	v_subrev_u32_e32 v36, 28, v39
	v_lshlrev_b64 v[36:37], v36, v[1:2]
	v_lshrrev_b32_e32 v38, 3, v35
	v_sub_u32_e32 v37, 29, v39
	v_cmp_gt_u32_e64 s[2:3], 8, v35
	v_cndmask_b32_e64 v35, v38, v37, s[2:3]
	v_lshl_add_u32 v35, v35, 10, v19
	v_lshlrev_b32_e32 v37, 8, v8
	v_and_b32_e32 v36, 7, v36
	v_and_b32_e32 v35, 0xfc00, v35
	v_cndmask_b32_e64 v34, v34, v36, s[2:3]
	v_and_or_b32 v35, v37, s43, v35
	v_lshl_or_b32 v34, v34, 7, v35
.LBB221_142:                            ;   in Loop: Header=BB221_113 Depth=1
	s_or_b64 exec, exec, s[22:23]
.LBB221_143:                            ;   in Loop: Header=BB221_113 Depth=1
	s_or_b64 exec, exec, s[20:21]
.LBB221_144:                            ;   in Loop: Header=BB221_113 Depth=1
	s_or_b64 exec, exec, s[4:5]
	v_lshrrev_b16_e32 v1, 8, v1
	v_cmp_ne_u16_e64 s[2:3], 0, v1
	v_mov_b32_e32 v35, 0
	s_and_saveexec_b64 s[4:5], s[2:3]
	s_cbranch_execz .LBB221_150
; %bb.145:                              ;   in Loop: Header=BB221_113 Depth=1
	v_cmp_ne_u16_e64 s[2:3], s41, v1
	v_bfrev_b32_e32 v35, 1
	s_and_saveexec_b64 s[20:21], s[2:3]
	s_cbranch_execz .LBB221_149
; %bb.146:                              ;   in Loop: Header=BB221_113 Depth=1
	v_and_b32_e32 v36, 0x7f, v1
	v_cmp_ne_u32_e64 s[2:3], s42, v36
	v_mov_b32_e32 v35, 0x7c010000
	s_and_saveexec_b64 s[22:23], s[2:3]
	s_cbranch_execz .LBB221_148
; %bb.147:                              ;   in Loop: Header=BB221_113 Depth=1
	v_and_b32_e32 v35, 7, v1
	v_ffbh_u32_e32 v37, v35
	v_min_u32_e32 v40, 32, v37
	v_subrev_u32_e32 v37, 28, v40
	v_lshlrev_b64 v[37:38], v37, v[1:2]
	v_lshrrev_b32_e32 v39, 3, v36
	v_sub_u32_e32 v38, 29, v40
	v_cmp_gt_u32_e64 s[2:3], 8, v36
	v_cndmask_b32_e64 v36, v39, v38, s[2:3]
	v_lshlrev_b32_e32 v1, 8, v1
	v_lshl_add_u32 v36, v36, 10, v19
	v_and_b32_e32 v37, 7, v37
	v_and_or_b32 v1, v1, s43, v36
	v_cndmask_b32_e64 v35, v35, v37, s[2:3]
	v_lshlrev_b32_e32 v1, 16, v1
	v_lshl_or_b32 v35, v35, 23, v1
.LBB221_148:                            ;   in Loop: Header=BB221_113 Depth=1
	s_or_b64 exec, exec, s[22:23]
.LBB221_149:                            ;   in Loop: Header=BB221_113 Depth=1
	s_or_b64 exec, exec, s[20:21]
.LBB221_150:                            ;   in Loop: Header=BB221_113 Depth=1
	s_or_b64 exec, exec, s[4:5]
	v_lshrrev_b32_e32 v1, 16, v8
	v_cmp_ne_u16_sdwa s[2:3], v1, v2 src0_sel:BYTE_0 src1_sel:DWORD
	s_and_saveexec_b64 s[4:5], s[2:3]
	s_cbranch_execz .LBB221_156
; %bb.151:                              ;   in Loop: Header=BB221_113 Depth=1
	v_cmp_ne_u16_sdwa s[2:3], v1, s41 src0_sel:BYTE_0 src1_sel:DWORD
	v_mov_b32_e32 v33, 0x8000
	s_and_saveexec_b64 s[20:21], s[2:3]
	s_cbranch_execz .LBB221_155
; %bb.152:                              ;   in Loop: Header=BB221_113 Depth=1
	v_bfe_u32 v36, v8, 16, 7
	v_cmp_ne_u32_e64 s[2:3], s42, v36
	v_mov_b32_e32 v33, 0x7c01
	s_and_saveexec_b64 s[22:23], s[2:3]
	s_cbranch_execz .LBB221_154
; %bb.153:                              ;   in Loop: Header=BB221_113 Depth=1
	v_and_b32_e32 v33, 7, v1
	v_ffbh_u32_e32 v37, v33
	v_min_u32_e32 v40, 32, v37
	v_subrev_u32_e32 v37, 28, v40
	v_lshlrev_b64 v[37:38], v37, v[1:2]
	v_lshrrev_b32_e32 v39, 3, v36
	v_sub_u32_e32 v38, 29, v40
	v_cmp_gt_u32_e64 s[2:3], 8, v36
	v_cndmask_b32_e64 v36, v39, v38, s[2:3]
	v_lshl_add_u32 v36, v36, 10, v19
	v_lshlrev_b32_e32 v1, 8, v1
	v_and_b32_e32 v37, 7, v37
	v_and_b32_e32 v36, 0xfc00, v36
	v_cndmask_b32_e64 v33, v33, v37, s[2:3]
	v_and_or_b32 v1, v1, s43, v36
	v_lshl_or_b32 v33, v33, 7, v1
.LBB221_154:                            ;   in Loop: Header=BB221_113 Depth=1
	s_or_b64 exec, exec, s[22:23]
.LBB221_155:                            ;   in Loop: Header=BB221_113 Depth=1
	s_or_b64 exec, exec, s[20:21]
.LBB221_156:                            ;   in Loop: Header=BB221_113 Depth=1
	s_or_b64 exec, exec, s[4:5]
	v_cmp_lt_u64_e64 s[2:3], s[12:13], v[7:8]
	v_mov_b32_e32 v36, 0
	s_and_saveexec_b64 s[4:5], s[2:3]
	s_cbranch_execz .LBB221_162
; %bb.157:                              ;   in Loop: Header=BB221_113 Depth=1
	v_lshrrev_b32_e32 v1, 24, v8
	v_cmp_ne_u32_e64 s[2:3], s41, v1
	v_bfrev_b32_e32 v36, 1
	s_and_saveexec_b64 s[20:21], s[2:3]
	s_cbranch_execz .LBB221_161
; %bb.158:                              ;   in Loop: Header=BB221_113 Depth=1
	v_and_b32_e32 v7, 0x7f, v1
	v_cmp_ne_u32_e64 s[2:3], s42, v7
	v_mov_b32_e32 v36, 0x7c010000
	s_and_saveexec_b64 s[22:23], s[2:3]
	s_cbranch_execz .LBB221_160
; %bb.159:                              ;   in Loop: Header=BB221_113 Depth=1
	v_and_b32_e32 v8, 7, v1
	v_ffbh_u32_e32 v36, v8
	v_min_u32_e32 v39, 32, v36
	v_subrev_u32_e32 v36, 28, v39
	v_lshlrev_b64 v[36:37], v36, v[1:2]
	v_lshrrev_b32_e32 v38, 3, v7
	v_sub_u32_e32 v37, 29, v39
	v_cmp_gt_u32_e64 s[2:3], 8, v7
	v_cndmask_b32_e64 v7, v38, v37, s[2:3]
	v_lshlrev_b32_e32 v1, 8, v1
	v_lshl_add_u32 v7, v7, 10, v19
	v_and_b32_e32 v36, 7, v36
	v_and_or_b32 v1, v1, s43, v7
	v_cndmask_b32_e64 v8, v8, v36, s[2:3]
	v_lshlrev_b32_e32 v1, 16, v1
	v_lshl_or_b32 v36, v8, 23, v1
.LBB221_160:                            ;   in Loop: Header=BB221_113 Depth=1
	s_or_b64 exec, exec, s[22:23]
.LBB221_161:                            ;   in Loop: Header=BB221_113 Depth=1
	s_or_b64 exec, exec, s[20:21]
.LBB221_162:                            ;   in Loop: Header=BB221_113 Depth=1
	s_or_b64 exec, exec, s[4:5]
	v_fma_mixlo_f16 v7, v23, v31, 0 op_sel:[0,1,0] op_sel_hi:[0,1,0]
	v_fma_mixlo_f16 v8, v23, v29, 0 op_sel:[0,1,0] op_sel_hi:[0,1,0]
	v_or_b32_e32 v1, v31, v32
	v_lshlrev_b32_e32 v31, 16, v7
	v_or_b32_e32 v7, v29, v30
	v_lshlrev_b32_e32 v37, 16, v8
	v_or_b32_e32 v8, v35, v34
	v_or_b32_e32 v30, v36, v33
	v_fma_mixlo_f16 v1, v23, v1, 0 op_sel_hi:[0,1,0]
	v_fma_mixlo_f16 v7, v23, v7, 0 op_sel_hi:[0,1,0]
	v_fma_mixlo_f16 v29, v23, v35, 0 op_sel:[0,1,0] op_sel_hi:[0,1,0]
	v_fma_mixlo_f16 v8, v23, v8, 0 op_sel_hi:[0,1,0]
	v_fma_mixlo_f16 v30, v23, v30, 0 op_sel_hi:[0,1,0]
	v_fma_mixlo_f16 v23, v23, v36, 0 op_sel:[0,1,0] op_sel_hi:[0,1,0]
	v_and_b32_e32 v32, 0xffff, v1
	v_and_b32_e32 v38, 0xffff, v7
	v_lshlrev_b32_e32 v29, 16, v29
	v_and_b32_e32 v34, 0xffff, v8
	v_lshlrev_b32_e32 v23, 16, v23
	v_and_b32_e32 v30, 0xffff, v30
	v_cmp_eq_u32_e64 s[2:3], s40, v10
	v_or_b32_e32 v1, v31, v32
	v_or_b32_e32 v7, v37, v38
	;; [unrolled: 1-line block ×4, first 2 shown]
	s_and_saveexec_b64 s[20:21], s[2:3]
	s_cbranch_execz .LBB221_164
; %bb.163:                              ;   in Loop: Header=BB221_113 Depth=1
	v_cmp_gt_i32_e64 s[4:5], s25, v11
	v_add_u32_e32 v7, 1, v11
	v_cndmask_b32_e64 v1, 0, v38, s[4:5]
	v_cmp_gt_i32_e64 s[4:5], s25, v7
	v_cndmask_b32_e64 v7, 0, v37, s[4:5]
	v_or_b32_e32 v7, v7, v1
	v_add_u32_e32 v1, 2, v11
	v_cmp_gt_i32_e64 s[4:5], s25, v1
	v_add_u32_e32 v8, 3, v11
	v_cndmask_b32_e64 v1, 0, v32, s[4:5]
	v_cmp_gt_i32_e64 s[4:5], s25, v8
	v_cndmask_b32_e64 v8, 0, v31, s[4:5]
	v_or_b32_e32 v1, v8, v1
	v_add_u32_e32 v8, 4, v11
	;; [unrolled: 7-line block ×3, first 2 shown]
	v_cmp_gt_i32_e64 s[4:5], s25, v29
	v_cndmask_b32_e64 v29, 0, v30, s[4:5]
	v_add_u32_e32 v30, 7, v11
	v_cmp_gt_i32_e64 s[4:5], s25, v30
	v_cndmask_b32_e64 v23, 0, v23, s[4:5]
	v_or_b32_e32 v33, v23, v29
.LBB221_164:                            ;   in Loop: Header=BB221_113 Depth=1
	s_or_b64 exec, exec, s[20:21]
	v_and_b32_e32 v20, 0xffff, v20
	v_lshl_or_b32 v23, v21, 16, v20
	v_and_b32_e32 v20, 0xffff, v22
	v_lshl_or_b32 v22, v24, 16, v20
	;; [unrolled: 2-line block ×3, first 2 shown]
	v_and_b32_e32 v20, 0xffff, v27
	;;#ASMSTART
	v_pk_mul_f16 v7, v23, v7;

	;;#ASMEND
	;;#ASMSTART
	v_pk_mul_f16 v1, v22, v1;

	;;#ASMEND
	v_lshl_or_b32 v20, v28, 16, v20
	;;#ASMSTART
	v_pk_mul_f16 v8, v21, v8;

	;;#ASMEND
	;;#ASMSTART
	v_pk_mul_f16 v24, v20, v33;

	;;#ASMEND
	;;#ASMSTART
	v_pk_add_f16 v1, v7, v1;

	;;#ASMEND
	;;#ASMSTART
	v_pk_add_f16 v1, v1, v8;
	;; [unrolled: 4-line block ×3, first 2 shown]

	;;#ASMEND
	v_lshrrev_b32_e32 v8, 16, v1
	v_and_b32_e32 v1, 0xffff, v1
	;;#ASMSTART
	v_cvt_f32_f16 v7, v1;
	;;#ASMEND
	;;#ASMSTART
	v_cvt_f32_f16 v8, v8;
	;;#ASMEND
	s_and_saveexec_b64 s[20:21], vcc
	s_cbranch_execz .LBB221_111
; %bb.165:                              ;   in Loop: Header=BB221_113 Depth=1
	v_add_co_u32_e64 v5, s[4:5], v5, v16
	v_addc_co_u32_e64 v6, s[4:5], 0, v6, s[4:5]
	global_load_dwordx2 v[5:6], v[5:6], off
	v_mov_b32_e32 v25, 0
	global_load_dword v24, v25, s[14:15]
	v_mov_b32_e32 v26, 0
	s_waitcnt vmcnt(1)
	v_cmp_ne_u16_sdwa s[4:5], v5, v2 src0_sel:BYTE_0 src1_sel:DWORD
	s_and_saveexec_b64 s[22:23], s[4:5]
	s_cbranch_execz .LBB221_171
; %bb.166:                              ;   in Loop: Header=BB221_113 Depth=1
	v_cmp_ne_u16_sdwa s[4:5], v5, s41 src0_sel:BYTE_0 src1_sel:DWORD
	v_mov_b32_e32 v26, 0x8000
	s_and_saveexec_b64 s[30:31], s[4:5]
	s_cbranch_execz .LBB221_170
; %bb.167:                              ;   in Loop: Header=BB221_113 Depth=1
	v_and_b32_e32 v1, 0x7f, v5
	v_cmp_ne_u32_e64 s[4:5], s42, v1
	v_mov_b32_e32 v26, 0x7c01
	s_and_saveexec_b64 s[34:35], s[4:5]
	s_cbranch_execz .LBB221_169
; %bb.168:                              ;   in Loop: Header=BB221_113 Depth=1
	v_and_b32_e32 v28, 7, v5
	v_ffbh_u32_e32 v26, v28
	v_min_u32_e32 v30, 32, v26
	v_subrev_u32_e32 v26, 28, v30
	v_lshlrev_b64 v[26:27], v26, v[5:6]
	v_lshrrev_b32_e32 v29, 3, v1
	v_sub_u32_e32 v27, 29, v30
	v_cmp_gt_u32_e64 s[4:5], 8, v1
	v_cndmask_b32_e64 v1, v29, v27, s[4:5]
	v_lshl_add_u32 v1, v1, 10, v19
	v_lshlrev_b32_e32 v27, 8, v5
	v_and_b32_e32 v26, 7, v26
	v_and_b32_e32 v1, 0xfc00, v1
	v_cndmask_b32_e64 v26, v28, v26, s[4:5]
	v_and_or_b32 v1, v27, s43, v1
	v_lshl_or_b32 v26, v26, 7, v1
.LBB221_169:                            ;   in Loop: Header=BB221_113 Depth=1
	s_or_b64 exec, exec, s[34:35]
.LBB221_170:                            ;   in Loop: Header=BB221_113 Depth=1
	s_or_b64 exec, exec, s[30:31]
.LBB221_171:                            ;   in Loop: Header=BB221_113 Depth=1
	s_or_b64 exec, exec, s[22:23]
	v_lshrrev_b16_e32 v1, 8, v5
	v_cmp_ne_u16_e64 s[4:5], 0, v1
	s_and_saveexec_b64 s[22:23], s[4:5]
	s_cbranch_execz .LBB221_177
; %bb.172:                              ;   in Loop: Header=BB221_113 Depth=1
	v_cmp_ne_u16_e64 s[4:5], s41, v1
	v_bfrev_b32_e32 v25, 1
	s_and_saveexec_b64 s[30:31], s[4:5]
	s_cbranch_execz .LBB221_176
; %bb.173:                              ;   in Loop: Header=BB221_113 Depth=1
	v_and_b32_e32 v27, 0x7f, v1
	v_cmp_ne_u32_e64 s[4:5], s42, v27
	v_mov_b32_e32 v25, 0x7c010000
	s_and_saveexec_b64 s[34:35], s[4:5]
	s_cbranch_execz .LBB221_175
; %bb.174:                              ;   in Loop: Header=BB221_113 Depth=1
	v_and_b32_e32 v25, 7, v1
	v_ffbh_u32_e32 v28, v25
	v_min_u32_e32 v31, 32, v28
	v_subrev_u32_e32 v28, 28, v31
	v_lshlrev_b64 v[28:29], v28, v[1:2]
	v_lshrrev_b32_e32 v30, 3, v27
	v_sub_u32_e32 v29, 29, v31
	v_cmp_gt_u32_e64 s[4:5], 8, v27
	v_cndmask_b32_e64 v27, v30, v29, s[4:5]
	v_lshlrev_b32_e32 v1, 8, v1
	v_lshl_add_u32 v27, v27, 10, v19
	v_and_b32_e32 v28, 7, v28
	v_and_or_b32 v1, v1, s43, v27
	v_cndmask_b32_e64 v25, v25, v28, s[4:5]
	v_lshlrev_b32_e32 v1, 16, v1
	v_lshl_or_b32 v25, v25, 23, v1
.LBB221_175:                            ;   in Loop: Header=BB221_113 Depth=1
	s_or_b64 exec, exec, s[34:35]
.LBB221_176:                            ;   in Loop: Header=BB221_113 Depth=1
	s_or_b64 exec, exec, s[30:31]
.LBB221_177:                            ;   in Loop: Header=BB221_113 Depth=1
	s_or_b64 exec, exec, s[22:23]
	v_lshrrev_b32_e32 v1, 16, v5
	v_cmp_ne_u16_sdwa s[4:5], v1, v2 src0_sel:BYTE_0 src1_sel:DWORD
	v_mov_b32_e32 v27, 0
	v_mov_b32_e32 v28, 0
	s_and_saveexec_b64 s[22:23], s[4:5]
	s_cbranch_execz .LBB221_183
; %bb.178:                              ;   in Loop: Header=BB221_113 Depth=1
	v_cmp_ne_u16_sdwa s[4:5], v1, s41 src0_sel:BYTE_0 src1_sel:DWORD
	v_mov_b32_e32 v28, 0x8000
	s_and_saveexec_b64 s[30:31], s[4:5]
	s_cbranch_execz .LBB221_182
; %bb.179:                              ;   in Loop: Header=BB221_113 Depth=1
	v_bfe_u32 v29, v5, 16, 7
	v_cmp_ne_u32_e64 s[4:5], s42, v29
	v_mov_b32_e32 v28, 0x7c01
	s_and_saveexec_b64 s[34:35], s[4:5]
	s_cbranch_execz .LBB221_181
; %bb.180:                              ;   in Loop: Header=BB221_113 Depth=1
	v_and_b32_e32 v28, 7, v1
	v_ffbh_u32_e32 v30, v28
	v_min_u32_e32 v33, 32, v30
	v_subrev_u32_e32 v30, 28, v33
	v_lshlrev_b64 v[30:31], v30, v[1:2]
	v_lshrrev_b32_e32 v32, 3, v29
	v_sub_u32_e32 v31, 29, v33
	v_cmp_gt_u32_e64 s[4:5], 8, v29
	v_cndmask_b32_e64 v29, v32, v31, s[4:5]
	v_lshl_add_u32 v29, v29, 10, v19
	v_lshlrev_b32_e32 v1, 8, v1
	v_and_b32_e32 v30, 7, v30
	v_and_b32_e32 v29, 0xfc00, v29
	v_cndmask_b32_e64 v28, v28, v30, s[4:5]
	v_and_or_b32 v1, v1, s43, v29
	v_lshl_or_b32 v28, v28, 7, v1
.LBB221_181:                            ;   in Loop: Header=BB221_113 Depth=1
	s_or_b64 exec, exec, s[34:35]
.LBB221_182:                            ;   in Loop: Header=BB221_113 Depth=1
	s_or_b64 exec, exec, s[30:31]
.LBB221_183:                            ;   in Loop: Header=BB221_113 Depth=1
	s_or_b64 exec, exec, s[22:23]
	v_cmp_lt_u32_e64 s[4:5], s13, v5
	s_and_saveexec_b64 s[22:23], s[4:5]
	s_cbranch_execz .LBB221_189
; %bb.184:                              ;   in Loop: Header=BB221_113 Depth=1
	v_lshrrev_b32_e32 v1, 24, v5
	v_cmp_ne_u32_e64 s[4:5], s41, v1
	v_bfrev_b32_e32 v27, 1
	s_and_saveexec_b64 s[30:31], s[4:5]
	s_cbranch_execz .LBB221_188
; %bb.185:                              ;   in Loop: Header=BB221_113 Depth=1
	v_and_b32_e32 v29, 0x7f, v1
	v_cmp_ne_u32_e64 s[4:5], s42, v29
	v_mov_b32_e32 v27, 0x7c010000
	s_and_saveexec_b64 s[34:35], s[4:5]
	s_cbranch_execz .LBB221_187
; %bb.186:                              ;   in Loop: Header=BB221_113 Depth=1
	v_and_b32_e32 v27, 7, v1
	v_ffbh_u32_e32 v30, v27
	v_min_u32_e32 v33, 32, v30
	v_subrev_u32_e32 v30, 28, v33
	v_lshlrev_b64 v[30:31], v30, v[1:2]
	v_lshrrev_b32_e32 v32, 3, v29
	v_sub_u32_e32 v31, 29, v33
	v_cmp_gt_u32_e64 s[4:5], 8, v29
	v_cndmask_b32_e64 v29, v32, v31, s[4:5]
	v_lshlrev_b32_e32 v1, 8, v1
	v_lshl_add_u32 v29, v29, 10, v19
	v_and_b32_e32 v30, 7, v30
	v_and_or_b32 v1, v1, s43, v29
	v_cndmask_b32_e64 v27, v27, v30, s[4:5]
	v_lshlrev_b32_e32 v1, 16, v1
	v_lshl_or_b32 v27, v27, 23, v1
.LBB221_187:                            ;   in Loop: Header=BB221_113 Depth=1
	s_or_b64 exec, exec, s[34:35]
.LBB221_188:                            ;   in Loop: Header=BB221_113 Depth=1
	s_or_b64 exec, exec, s[30:31]
.LBB221_189:                            ;   in Loop: Header=BB221_113 Depth=1
	s_or_b64 exec, exec, s[22:23]
	v_mov_b32_e32 v1, v6
	v_cmp_ne_u16_sdwa s[4:5], v6, v2 src0_sel:BYTE_0 src1_sel:DWORD
	v_mov_b32_e32 v29, 0
	v_mov_b32_e32 v30, 0
	s_and_saveexec_b64 s[22:23], s[4:5]
	s_cbranch_execz .LBB221_195
; %bb.190:                              ;   in Loop: Header=BB221_113 Depth=1
	v_cmp_ne_u16_sdwa s[4:5], v6, s41 src0_sel:BYTE_0 src1_sel:DWORD
	v_mov_b32_e32 v30, 0x8000
	s_and_saveexec_b64 s[30:31], s[4:5]
	s_cbranch_execz .LBB221_194
; %bb.191:                              ;   in Loop: Header=BB221_113 Depth=1
	v_and_b32_e32 v31, 0x7f, v6
	v_cmp_ne_u32_e64 s[4:5], s42, v31
	v_mov_b32_e32 v30, 0x7c01
	s_and_saveexec_b64 s[34:35], s[4:5]
	s_cbranch_execz .LBB221_193
; %bb.192:                              ;   in Loop: Header=BB221_113 Depth=1
	v_and_b32_e32 v30, 7, v6
	v_ffbh_u32_e32 v32, v30
	v_min_u32_e32 v35, 32, v32
	v_subrev_u32_e32 v32, 28, v35
	v_lshlrev_b64 v[32:33], v32, v[1:2]
	v_lshrrev_b32_e32 v34, 3, v31
	v_sub_u32_e32 v33, 29, v35
	v_cmp_gt_u32_e64 s[4:5], 8, v31
	v_cndmask_b32_e64 v31, v34, v33, s[4:5]
	v_lshl_add_u32 v31, v31, 10, v19
	v_lshlrev_b32_e32 v33, 8, v6
	v_and_b32_e32 v32, 7, v32
	v_and_b32_e32 v31, 0xfc00, v31
	v_cndmask_b32_e64 v30, v30, v32, s[4:5]
	v_and_or_b32 v31, v33, s43, v31
	v_lshl_or_b32 v30, v30, 7, v31
.LBB221_193:                            ;   in Loop: Header=BB221_113 Depth=1
	s_or_b64 exec, exec, s[34:35]
.LBB221_194:                            ;   in Loop: Header=BB221_113 Depth=1
	s_or_b64 exec, exec, s[30:31]
.LBB221_195:                            ;   in Loop: Header=BB221_113 Depth=1
	s_or_b64 exec, exec, s[22:23]
	v_lshrrev_b16_e32 v1, 8, v1
	v_cmp_ne_u16_e64 s[4:5], 0, v1
	v_mov_b32_e32 v31, 0
	s_and_saveexec_b64 s[22:23], s[4:5]
	s_cbranch_execz .LBB221_201
; %bb.196:                              ;   in Loop: Header=BB221_113 Depth=1
	v_cmp_ne_u16_e64 s[4:5], s41, v1
	v_bfrev_b32_e32 v31, 1
	s_and_saveexec_b64 s[30:31], s[4:5]
	s_cbranch_execz .LBB221_200
; %bb.197:                              ;   in Loop: Header=BB221_113 Depth=1
	v_and_b32_e32 v32, 0x7f, v1
	v_cmp_ne_u32_e64 s[4:5], s42, v32
	v_mov_b32_e32 v31, 0x7c010000
	s_and_saveexec_b64 s[34:35], s[4:5]
	s_cbranch_execz .LBB221_199
; %bb.198:                              ;   in Loop: Header=BB221_113 Depth=1
	v_and_b32_e32 v31, 7, v1
	v_ffbh_u32_e32 v33, v31
	v_min_u32_e32 v36, 32, v33
	v_subrev_u32_e32 v33, 28, v36
	v_lshlrev_b64 v[33:34], v33, v[1:2]
	v_lshrrev_b32_e32 v35, 3, v32
	v_sub_u32_e32 v34, 29, v36
	v_cmp_gt_u32_e64 s[4:5], 8, v32
	v_cndmask_b32_e64 v32, v35, v34, s[4:5]
	v_lshlrev_b32_e32 v1, 8, v1
	v_lshl_add_u32 v32, v32, 10, v19
	v_and_b32_e32 v33, 7, v33
	v_and_or_b32 v1, v1, s43, v32
	v_cndmask_b32_e64 v31, v31, v33, s[4:5]
	v_lshlrev_b32_e32 v1, 16, v1
	v_lshl_or_b32 v31, v31, 23, v1
.LBB221_199:                            ;   in Loop: Header=BB221_113 Depth=1
	s_or_b64 exec, exec, s[34:35]
.LBB221_200:                            ;   in Loop: Header=BB221_113 Depth=1
	s_or_b64 exec, exec, s[30:31]
.LBB221_201:                            ;   in Loop: Header=BB221_113 Depth=1
	s_or_b64 exec, exec, s[22:23]
	v_lshrrev_b32_e32 v1, 16, v6
	v_cmp_ne_u16_sdwa s[4:5], v1, v2 src0_sel:BYTE_0 src1_sel:DWORD
	s_and_saveexec_b64 s[22:23], s[4:5]
	s_cbranch_execz .LBB221_207
; %bb.202:                              ;   in Loop: Header=BB221_113 Depth=1
	v_cmp_ne_u16_sdwa s[4:5], v1, s41 src0_sel:BYTE_0 src1_sel:DWORD
	v_mov_b32_e32 v29, 0x8000
	s_and_saveexec_b64 s[30:31], s[4:5]
	s_cbranch_execz .LBB221_206
; %bb.203:                              ;   in Loop: Header=BB221_113 Depth=1
	v_bfe_u32 v32, v6, 16, 7
	v_cmp_ne_u32_e64 s[4:5], s42, v32
	v_mov_b32_e32 v29, 0x7c01
	s_and_saveexec_b64 s[34:35], s[4:5]
	s_cbranch_execz .LBB221_205
; %bb.204:                              ;   in Loop: Header=BB221_113 Depth=1
	v_and_b32_e32 v29, 7, v1
	v_ffbh_u32_e32 v33, v29
	v_min_u32_e32 v36, 32, v33
	v_subrev_u32_e32 v33, 28, v36
	v_lshlrev_b64 v[33:34], v33, v[1:2]
	v_lshrrev_b32_e32 v35, 3, v32
	v_sub_u32_e32 v34, 29, v36
	v_cmp_gt_u32_e64 s[4:5], 8, v32
	v_cndmask_b32_e64 v32, v35, v34, s[4:5]
	v_lshl_add_u32 v32, v32, 10, v19
	v_lshlrev_b32_e32 v1, 8, v1
	v_and_b32_e32 v33, 7, v33
	v_and_b32_e32 v32, 0xfc00, v32
	v_cndmask_b32_e64 v29, v29, v33, s[4:5]
	v_and_or_b32 v1, v1, s43, v32
	v_lshl_or_b32 v29, v29, 7, v1
.LBB221_205:                            ;   in Loop: Header=BB221_113 Depth=1
	s_or_b64 exec, exec, s[34:35]
.LBB221_206:                            ;   in Loop: Header=BB221_113 Depth=1
	s_or_b64 exec, exec, s[30:31]
.LBB221_207:                            ;   in Loop: Header=BB221_113 Depth=1
	s_or_b64 exec, exec, s[22:23]
	v_cmp_lt_u64_e64 s[4:5], s[12:13], v[5:6]
	v_mov_b32_e32 v32, 0
	s_and_saveexec_b64 s[22:23], s[4:5]
	s_cbranch_execz .LBB221_213
; %bb.208:                              ;   in Loop: Header=BB221_113 Depth=1
	v_lshrrev_b32_e32 v1, 24, v6
	v_cmp_ne_u32_e64 s[4:5], s41, v1
	v_bfrev_b32_e32 v32, 1
	s_and_saveexec_b64 s[30:31], s[4:5]
	s_cbranch_execz .LBB221_212
; %bb.209:                              ;   in Loop: Header=BB221_113 Depth=1
	v_and_b32_e32 v5, 0x7f, v1
	v_cmp_ne_u32_e64 s[4:5], s42, v5
	v_mov_b32_e32 v32, 0x7c010000
	s_and_saveexec_b64 s[34:35], s[4:5]
	s_cbranch_execz .LBB221_211
; %bb.210:                              ;   in Loop: Header=BB221_113 Depth=1
	v_and_b32_e32 v6, 7, v1
	v_ffbh_u32_e32 v32, v6
	v_min_u32_e32 v35, 32, v32
	v_subrev_u32_e32 v32, 28, v35
	v_lshlrev_b64 v[32:33], v32, v[1:2]
	v_lshrrev_b32_e32 v34, 3, v5
	v_sub_u32_e32 v33, 29, v35
	v_cmp_gt_u32_e64 s[4:5], 8, v5
	v_cndmask_b32_e64 v5, v34, v33, s[4:5]
	v_lshlrev_b32_e32 v1, 8, v1
	v_lshl_add_u32 v5, v5, 10, v19
	v_and_b32_e32 v32, 7, v32
	v_and_or_b32 v1, v1, s43, v5
	v_cndmask_b32_e64 v6, v6, v32, s[4:5]
	v_lshlrev_b32_e32 v1, 16, v1
	v_lshl_or_b32 v32, v6, 23, v1
.LBB221_211:                            ;   in Loop: Header=BB221_113 Depth=1
	s_or_b64 exec, exec, s[34:35]
.LBB221_212:                            ;   in Loop: Header=BB221_113 Depth=1
	s_or_b64 exec, exec, s[30:31]
.LBB221_213:                            ;   in Loop: Header=BB221_113 Depth=1
	s_or_b64 exec, exec, s[22:23]
	s_waitcnt vmcnt(0)
	v_fma_mixlo_f16 v5, v24, v27, 0 op_sel:[0,1,0] op_sel_hi:[0,1,0]
	v_lshlrev_b32_e32 v6, 16, v5
	v_or_b32_e32 v5, v25, v26
	v_fma_mixlo_f16 v25, v24, v25, 0 op_sel:[0,1,0] op_sel_hi:[0,1,0]
	v_or_b32_e32 v1, v27, v28
	v_lshlrev_b32_e32 v33, 16, v25
	v_or_b32_e32 v25, v31, v30
	v_or_b32_e32 v28, v32, v29
	v_fma_mixlo_f16 v1, v24, v1, 0 op_sel_hi:[0,1,0]
	v_fma_mixlo_f16 v5, v24, v5, 0 op_sel_hi:[0,1,0]
	v_fma_mixlo_f16 v26, v24, v31, 0 op_sel:[0,1,0] op_sel_hi:[0,1,0]
	v_fma_mixlo_f16 v25, v24, v25, 0 op_sel_hi:[0,1,0]
	v_fma_mixlo_f16 v28, v24, v28, 0 op_sel_hi:[0,1,0]
	v_fma_mixlo_f16 v24, v24, v32, 0 op_sel:[0,1,0] op_sel_hi:[0,1,0]
	v_and_b32_e32 v27, 0xffff, v1
	v_and_b32_e32 v34, 0xffff, v5
	v_lshlrev_b32_e32 v26, 16, v26
	v_and_b32_e32 v30, 0xffff, v25
	v_lshlrev_b32_e32 v24, 16, v24
	v_and_b32_e32 v28, 0xffff, v28
	v_or_b32_e32 v1, v6, v27
	v_or_b32_e32 v5, v33, v34
	;; [unrolled: 1-line block ×4, first 2 shown]
	s_and_saveexec_b64 s[4:5], s[2:3]
	s_cbranch_execz .LBB221_110
; %bb.214:                              ;   in Loop: Header=BB221_113 Depth=1
	v_cmp_gt_i32_e64 s[2:3], s25, v11
	v_add_u32_e32 v5, 1, v11
	v_cndmask_b32_e64 v1, 0, v34, s[2:3]
	v_cmp_gt_i32_e64 s[2:3], s25, v5
	v_cndmask_b32_e64 v5, 0, v33, s[2:3]
	v_or_b32_e32 v5, v5, v1
	v_add_u32_e32 v1, 2, v11
	v_cmp_gt_i32_e64 s[2:3], s25, v1
	v_add_u32_e32 v25, 3, v11
	v_cndmask_b32_e64 v1, 0, v27, s[2:3]
	v_cmp_gt_i32_e64 s[2:3], s25, v25
	v_cndmask_b32_e64 v6, 0, v6, s[2:3]
	v_or_b32_e32 v1, v6, v1
	v_add_u32_e32 v6, 4, v11
	;; [unrolled: 7-line block ×3, first 2 shown]
	v_cmp_gt_i32_e64 s[2:3], s25, v6
	v_add_u32_e32 v26, 7, v11
	v_cndmask_b32_e64 v6, 0, v28, s[2:3]
	v_cmp_gt_i32_e64 s[2:3], s25, v26
	v_cndmask_b32_e64 v24, 0, v24, s[2:3]
	v_or_b32_e32 v29, v24, v6
	s_branch .LBB221_110
.LBB221_215:
	s_or_b64 exec, exec, s[16:17]
.LBB221_216:
	s_or_b64 exec, exec, s[6:7]
	v_and_b32_e32 v1, 0x3c0, v0
	v_cmp_eq_u32_e32 vcc, 64, v1
	s_barrier
	s_and_saveexec_b64 s[2:3], vcc
	s_cbranch_execz .LBB221_219
; %bb.217:
	v_mov_b32_e32 v1, 0xd0
	v_lshl_add_u32 v2, v12, 2, v1
	ds_write_b32 v2, v14
	s_and_b64 exec, exec, s[0:1]
; %bb.218:
	v_lshl_add_u32 v1, v0, 2, v1
	ds_write_b32 v1, v13
.LBB221_219:
	s_or_b64 exec, exec, s[2:3]
	v_cmp_gt_u32_e32 vcc, 64, v0
	v_or_b32_e32 v1, 64, v0
	s_waitcnt lgkmcnt(0)
	s_barrier
	s_and_saveexec_b64 s[2:3], vcc
	s_cbranch_execz .LBB221_223
; %bb.220:
	v_mov_b32_e32 v2, 0xd0
	v_lshl_add_u32 v2, v0, 2, v2
	ds_read_b32 v0, v2
	s_movk_i32 s0, 0x60
	v_cmp_gt_u32_e64 s[0:1], s0, v1
	s_and_saveexec_b64 s[4:5], s[0:1]
	s_cbranch_execz .LBB221_222
; %bb.221:
	ds_read_b32 v2, v2 offset:256
	s_waitcnt lgkmcnt(0)
	v_add_f32_e32 v13, v13, v2
.LBB221_222:
	s_or_b64 exec, exec, s[4:5]
	s_waitcnt lgkmcnt(0)
	v_add_f32_e32 v14, v14, v0
.LBB221_223:
	s_or_b64 exec, exec, s[2:3]
	s_barrier
	s_and_saveexec_b64 s[0:1], vcc
	s_cbranch_execz .LBB221_226
; %bb.224:
	s_mul_i32 s0, s24, s27
	s_mul_i32 s0, s0, s9
	s_mulk_i32 s0, 0x60
	s_ashr_i32 s1, s0, 31
	s_lshl_b64 s[0:1], s[0:1], 1
	s_add_u32 s3, s28, s0
	s_mul_i32 s0, s27, s26
	s_addc_u32 s4, s29, s1
	s_ashr_i32 s1, s0, 31
	s_lshl_b64 s[0:1], s[0:1], 1
	s_add_u32 s3, s3, s0
	s_mul_i32 s0, s8, 0x60
	s_addc_u32 s4, s4, s1
	s_ashr_i32 s1, s0, 31
	s_lshl_b64 s[0:1], s[0:1], 1
	s_movk_i32 s2, 0x60
	s_add_u32 s0, s3, s0
	s_addc_u32 s1, s4, s1
	v_cmp_gt_u32_e32 vcc, s2, v1
	;;#ASMSTART
	v_cvt_f16_f32 v0, v14;

	;;#ASMEND
	global_store_short v9, v0, s[0:1]
	s_and_b64 exec, exec, vcc
	s_cbranch_execz .LBB221_226
; %bb.225:
	v_mov_b32_e32 v1, s1
	v_add_co_u32_e32 v0, vcc, s0, v9
	v_addc_co_u32_e32 v1, vcc, 0, v1, vcc
	;;#ASMSTART
	v_cvt_f16_f32 v2, v13;

	;;#ASMEND
	global_store_short v[0:1], v2, off offset:128
.LBB221_226:
	s_endpgm
	.section	.rodata,"a",@progbits
	.p2align	6, 0x0
	.amdhsa_kernel _ZN4vllm25paged_attention_v1_kernelIthLi96ELi8ELi128ELNS_18Fp8KVCacheDataTypeE1ELb1EEEvPT_PKS2_PKT0_S8_ifPKiSA_iPKfiiiSC_SC_iiiii
		.amdhsa_group_segment_fixed_size 208
		.amdhsa_private_segment_fixed_size 0
		.amdhsa_kernarg_size 384
		.amdhsa_user_sgpr_count 6
		.amdhsa_user_sgpr_private_segment_buffer 1
		.amdhsa_user_sgpr_dispatch_ptr 0
		.amdhsa_user_sgpr_queue_ptr 0
		.amdhsa_user_sgpr_kernarg_segment_ptr 1
		.amdhsa_user_sgpr_dispatch_id 0
		.amdhsa_user_sgpr_flat_scratch_init 0
		.amdhsa_user_sgpr_private_segment_size 0
		.amdhsa_uses_dynamic_stack 0
		.amdhsa_system_sgpr_private_segment_wavefront_offset 0
		.amdhsa_system_sgpr_workgroup_id_x 1
		.amdhsa_system_sgpr_workgroup_id_y 1
		.amdhsa_system_sgpr_workgroup_id_z 1
		.amdhsa_system_sgpr_workgroup_info 0
		.amdhsa_system_vgpr_workitem_id 0
		.amdhsa_next_free_vgpr 45
		.amdhsa_next_free_sgpr 56
		.amdhsa_reserve_vcc 1
		.amdhsa_reserve_flat_scratch 0
		.amdhsa_float_round_mode_32 0
		.amdhsa_float_round_mode_16_64 0
		.amdhsa_float_denorm_mode_32 3
		.amdhsa_float_denorm_mode_16_64 3
		.amdhsa_dx10_clamp 1
		.amdhsa_ieee_mode 1
		.amdhsa_fp16_overflow 0
		.amdhsa_exception_fp_ieee_invalid_op 0
		.amdhsa_exception_fp_denorm_src 0
		.amdhsa_exception_fp_ieee_div_zero 0
		.amdhsa_exception_fp_ieee_overflow 0
		.amdhsa_exception_fp_ieee_underflow 0
		.amdhsa_exception_fp_ieee_inexact 0
		.amdhsa_exception_int_div_zero 0
	.end_amdhsa_kernel
	.section	.text._ZN4vllm25paged_attention_v1_kernelIthLi96ELi8ELi128ELNS_18Fp8KVCacheDataTypeE1ELb1EEEvPT_PKS2_PKT0_S8_ifPKiSA_iPKfiiiSC_SC_iiiii,"axG",@progbits,_ZN4vllm25paged_attention_v1_kernelIthLi96ELi8ELi128ELNS_18Fp8KVCacheDataTypeE1ELb1EEEvPT_PKS2_PKT0_S8_ifPKiSA_iPKfiiiSC_SC_iiiii,comdat
.Lfunc_end221:
	.size	_ZN4vllm25paged_attention_v1_kernelIthLi96ELi8ELi128ELNS_18Fp8KVCacheDataTypeE1ELb1EEEvPT_PKS2_PKT0_S8_ifPKiSA_iPKfiiiSC_SC_iiiii, .Lfunc_end221-_ZN4vllm25paged_attention_v1_kernelIthLi96ELi8ELi128ELNS_18Fp8KVCacheDataTypeE1ELb1EEEvPT_PKS2_PKT0_S8_ifPKiSA_iPKfiiiSC_SC_iiiii
                                        ; -- End function
	.set _ZN4vllm25paged_attention_v1_kernelIthLi96ELi8ELi128ELNS_18Fp8KVCacheDataTypeE1ELb1EEEvPT_PKS2_PKT0_S8_ifPKiSA_iPKfiiiSC_SC_iiiii.num_vgpr, 45
	.set _ZN4vllm25paged_attention_v1_kernelIthLi96ELi8ELi128ELNS_18Fp8KVCacheDataTypeE1ELb1EEEvPT_PKS2_PKT0_S8_ifPKiSA_iPKfiiiSC_SC_iiiii.num_agpr, 0
	.set _ZN4vllm25paged_attention_v1_kernelIthLi96ELi8ELi128ELNS_18Fp8KVCacheDataTypeE1ELb1EEEvPT_PKS2_PKT0_S8_ifPKiSA_iPKfiiiSC_SC_iiiii.numbered_sgpr, 56
	.set _ZN4vllm25paged_attention_v1_kernelIthLi96ELi8ELi128ELNS_18Fp8KVCacheDataTypeE1ELb1EEEvPT_PKS2_PKT0_S8_ifPKiSA_iPKfiiiSC_SC_iiiii.num_named_barrier, 0
	.set _ZN4vllm25paged_attention_v1_kernelIthLi96ELi8ELi128ELNS_18Fp8KVCacheDataTypeE1ELb1EEEvPT_PKS2_PKT0_S8_ifPKiSA_iPKfiiiSC_SC_iiiii.private_seg_size, 0
	.set _ZN4vllm25paged_attention_v1_kernelIthLi96ELi8ELi128ELNS_18Fp8KVCacheDataTypeE1ELb1EEEvPT_PKS2_PKT0_S8_ifPKiSA_iPKfiiiSC_SC_iiiii.uses_vcc, 1
	.set _ZN4vllm25paged_attention_v1_kernelIthLi96ELi8ELi128ELNS_18Fp8KVCacheDataTypeE1ELb1EEEvPT_PKS2_PKT0_S8_ifPKiSA_iPKfiiiSC_SC_iiiii.uses_flat_scratch, 0
	.set _ZN4vllm25paged_attention_v1_kernelIthLi96ELi8ELi128ELNS_18Fp8KVCacheDataTypeE1ELb1EEEvPT_PKS2_PKT0_S8_ifPKiSA_iPKfiiiSC_SC_iiiii.has_dyn_sized_stack, 0
	.set _ZN4vllm25paged_attention_v1_kernelIthLi96ELi8ELi128ELNS_18Fp8KVCacheDataTypeE1ELb1EEEvPT_PKS2_PKT0_S8_ifPKiSA_iPKfiiiSC_SC_iiiii.has_recursion, 0
	.set _ZN4vllm25paged_attention_v1_kernelIthLi96ELi8ELi128ELNS_18Fp8KVCacheDataTypeE1ELb1EEEvPT_PKS2_PKT0_S8_ifPKiSA_iPKfiiiSC_SC_iiiii.has_indirect_call, 0
	.section	.AMDGPU.csdata,"",@progbits
; Kernel info:
; codeLenInByte = 10172
; TotalNumSgprs: 60
; NumVgprs: 45
; ScratchSize: 0
; MemoryBound: 0
; FloatMode: 240
; IeeeMode: 1
; LDSByteSize: 208 bytes/workgroup (compile time only)
; SGPRBlocks: 7
; VGPRBlocks: 11
; NumSGPRsForWavesPerEU: 60
; NumVGPRsForWavesPerEU: 45
; Occupancy: 5
; WaveLimiterHint : 1
; COMPUTE_PGM_RSRC2:SCRATCH_EN: 0
; COMPUTE_PGM_RSRC2:USER_SGPR: 6
; COMPUTE_PGM_RSRC2:TRAP_HANDLER: 0
; COMPUTE_PGM_RSRC2:TGID_X_EN: 1
; COMPUTE_PGM_RSRC2:TGID_Y_EN: 1
; COMPUTE_PGM_RSRC2:TGID_Z_EN: 1
; COMPUTE_PGM_RSRC2:TIDIG_COMP_CNT: 0
	.section	.text._ZN4vllm25paged_attention_v1_kernelIthLi112ELi8ELi128ELNS_18Fp8KVCacheDataTypeE1ELb1EEEvPT_PKS2_PKT0_S8_ifPKiSA_iPKfiiiSC_SC_iiiii,"axG",@progbits,_ZN4vllm25paged_attention_v1_kernelIthLi112ELi8ELi128ELNS_18Fp8KVCacheDataTypeE1ELb1EEEvPT_PKS2_PKT0_S8_ifPKiSA_iPKfiiiSC_SC_iiiii,comdat
	.protected	_ZN4vllm25paged_attention_v1_kernelIthLi112ELi8ELi128ELNS_18Fp8KVCacheDataTypeE1ELb1EEEvPT_PKS2_PKT0_S8_ifPKiSA_iPKfiiiSC_SC_iiiii ; -- Begin function _ZN4vllm25paged_attention_v1_kernelIthLi112ELi8ELi128ELNS_18Fp8KVCacheDataTypeE1ELb1EEEvPT_PKS2_PKT0_S8_ifPKiSA_iPKfiiiSC_SC_iiiii
	.globl	_ZN4vllm25paged_attention_v1_kernelIthLi112ELi8ELi128ELNS_18Fp8KVCacheDataTypeE1ELb1EEEvPT_PKS2_PKT0_S8_ifPKiSA_iPKfiiiSC_SC_iiiii
	.p2align	8
	.type	_ZN4vllm25paged_attention_v1_kernelIthLi112ELi8ELi128ELNS_18Fp8KVCacheDataTypeE1ELb1EEEvPT_PKS2_PKT0_S8_ifPKiSA_iPKfiiiSC_SC_iiiii,@function
_ZN4vllm25paged_attention_v1_kernelIthLi112ELi8ELi128ELNS_18Fp8KVCacheDataTypeE1ELb1EEEvPT_PKS2_PKT0_S8_ifPKiSA_iPKfiiiSC_SC_iiiii: ; @_ZN4vllm25paged_attention_v1_kernelIthLi112ELi8ELi128ELNS_18Fp8KVCacheDataTypeE1ELb1EEEvPT_PKS2_PKT0_S8_ifPKiSA_iPKfiiiSC_SC_iiiii
; %bb.0:
	s_load_dword s9, s[4:5], 0x80
	s_load_dwordx2 s[0:1], s[4:5], 0x30
	s_load_dwordx2 s[38:39], s[4:5], 0x20
	s_mov_b32 s24, s7
	s_ashr_i32 s25, s7, 31
	s_lshl_b64 s[2:3], s[24:25], 2
	s_waitcnt lgkmcnt(0)
	s_add_u32 s0, s0, s2
	s_addc_u32 s1, s1, s3
	s_abs_i32 s2, s38
	v_cvt_f32_u32_e32 v1, s2
	s_sub_i32 s10, 0, s2
	s_abs_i32 s7, s9
	s_xor_b32 s3, s9, s38
	v_rcp_iflag_f32_e32 v1, v1
	s_ashr_i32 s3, s3, 31
	s_mov_b32 s51, 0
	v_mul_f32_e32 v1, 0x4f7ffffe, v1
	v_cvt_u32_f32_e32 v1, v1
	v_readfirstlane_b32 s11, v1
	s_mul_i32 s10, s10, s11
	s_mul_hi_u32 s10, s11, s10
	s_add_i32 s11, s11, s10
	s_mul_hi_u32 s10, s7, s11
	s_mul_i32 s11, s10, s2
	s_sub_i32 s7, s7, s11
	s_add_i32 s11, s10, 1
	s_sub_i32 s12, s7, s2
	s_cmp_ge_u32 s7, s2
	s_cselect_b32 s10, s11, s10
	s_cselect_b32 s7, s12, s7
	s_add_i32 s11, s10, 1
	s_cmp_ge_u32 s7, s2
	s_cselect_b32 s2, s11, s10
	s_xor_b32 s2, s2, s3
	s_sub_i32 s11, s2, s3
	s_abs_i32 s10, s11
	v_cvt_f32_u32_e32 v1, s10
	s_load_dwordx2 s[2:3], s[4:5], 0x40
	s_sub_i32 s7, 0, s10
	s_abs_i32 s12, s6
	v_rcp_iflag_f32_e32 v1, v1
	v_mul_f32_e32 v1, 0x4f7ffffe, v1
	v_cvt_u32_f32_e32 v1, v1
	v_readfirstlane_b32 s13, v1
	s_mul_i32 s7, s7, s13
	s_mul_hi_u32 s7, s13, s7
	s_add_i32 s13, s13, s7
	s_waitcnt lgkmcnt(0)
	s_cmp_eq_u64 s[2:3], 0
	s_mul_hi_u32 s13, s12, s13
	s_cbranch_scc1 .LBB222_2
; %bb.1:
	s_ashr_i32 s7, s6, 31
	s_lshl_b64 s[14:15], s[6:7], 2
	s_add_u32 s2, s2, s14
	s_addc_u32 s3, s3, s15
	s_load_dword s51, s[2:3], 0x0
.LBB222_2:
	s_load_dword s25, s[0:1], 0x0
	s_load_dwordx4 s[16:19], s[4:5], 0x48
	s_movk_i32 s0, 0x70
	s_ashr_i32 s7, s6, 31
	s_ashr_i32 s14, s11, 31
	v_and_b32_e32 v1, 7, v0
	s_mul_i32 s26, s6, 0x70
	v_cmp_gt_u32_e64 s[0:1], s0, v0
	v_lshlrev_b32_e32 v9, 1, v0
	s_and_saveexec_b64 s[2:3], s[0:1]
	s_cbranch_execz .LBB222_4
; %bb.3:
	s_load_dwordx2 s[20:21], s[4:5], 0x8
	s_waitcnt lgkmcnt(0)
	s_mul_i32 s22, s16, s24
	s_ashr_i32 s23, s22, 31
	s_lshl_b64 s[22:23], s[22:23], 1
	v_lshrrev_b32_e32 v3, 2, v0
	s_add_u32 s11, s20, s22
	s_addc_u32 s15, s21, s23
	s_ashr_i32 s27, s26, 31
	s_lshl_b64 s[20:21], s[26:27], 1
	s_add_u32 s20, s11, s20
	s_addc_u32 s21, s15, s21
	global_load_ushort v2, v9, s[20:21]
	v_and_b32_e32 v3, 0xfe, v3
	v_mad_u32_u24 v3, v1, 28, v3
	s_waitcnt vmcnt(0)
	ds_write_b16 v3, v2
.LBB222_4:
	s_or_b64 exec, exec, s[2:3]
	s_mul_i32 s3, s13, s10
	s_sub_i32 s3, s12, s3
	s_xor_b32 s2, s7, s14
	s_add_i32 s7, s13, 1
	s_sub_i32 s12, s3, s10
	s_load_dwordx4 s[20:23], s[4:5], 0x68
	s_load_dword s11, s[4:5], 0x78
	s_cmp_ge_u32 s3, s10
	s_cselect_b32 s7, s7, s13
	s_cselect_b32 s3, s12, s3
	s_add_i32 s12, s7, 1
	s_cmp_ge_u32 s3, s10
	s_cselect_b32 s3, s12, s7
	s_waitcnt lgkmcnt(0)
	s_abs_i32 s33, s23
	v_cvt_f32_u32_e32 v2, s33
	s_xor_b32 s3, s3, s2
	s_sub_i32 s7, s3, s2
	s_sub_i32 s2, 0, s33
	v_rcp_iflag_f32_e32 v2, v2
	s_add_i32 s12, s25, -1
	s_abs_i32 s10, s12
	v_mul_f32_e32 v2, 0x4f7ffffe, v2
	v_cvt_u32_f32_e32 v2, v2
	s_barrier
	v_readfirstlane_b32 s48, v2
	s_mul_i32 s2, s2, s48
	s_mul_hi_u32 s2, s48, s2
	s_add_i32 s48, s48, s2
	s_cmp_lt_i32 s11, 0
	s_mul_hi_u32 s16, s10, s48
	s_cbranch_scc0 .LBB222_6
; %bb.5:
	s_mul_i32 s2, s20, s38
	s_add_i32 s2, s7, s2
	s_mul_i32 s2, s2, s11
	s_sub_i32 s38, 1, s2
	s_mov_b64 s[2:3], 0
	s_branch .LBB222_7
.LBB222_6:
	s_mov_b64 s[2:3], -1
                                        ; implicit-def: $sgpr38
.LBB222_7:
	s_load_dwordx2 s[30:31], s[4:5], 0x28
	s_ashr_i32 s19, s12, 31
	s_andn2_b64 vcc, exec, s[2:3]
	s_ashr_i32 s49, s23, 31
	s_cbranch_vccnz .LBB222_9
; %bb.8:
	s_mul_i32 s2, s9, s20
	s_add_i32 s2, s2, s6
	s_mul_i32 s2, s2, s11
	s_add_i32 s38, s2, 1
.LBB222_9:
	s_load_dword s2, s[4:5], 0x38
	s_load_dwordx2 s[28:29], s[4:5], 0x0
	s_load_dwordx2 s[36:37], s[4:5], 0x18
	s_load_dword s27, s[4:5], 0x88
	s_load_dwordx4 s[12:15], s[4:5], 0x58
	s_mul_i32 s3, s16, s33
	s_waitcnt lgkmcnt(0)
	s_mul_i32 s34, s2, s24
	s_sub_i32 s3, s10, s3
	s_ashr_i32 s35, s34, 31
	s_xor_b32 s2, s19, s49
	s_add_i32 s6, s16, 1
	s_sub_i32 s10, s3, s33
	s_cmp_ge_u32 s3, s33
	s_cselect_b32 s6, s6, s16
	s_cselect_b32 s3, s10, s3
	s_add_i32 s10, s6, 1
	s_cmp_ge_u32 s3, s33
	s_cselect_b32 s3, s10, s6
	s_xor_b32 s3, s3, s2
	s_sub_i32 s16, s3, s2
	s_add_i32 s2, s25, 7
	s_ashr_i32 s3, s2, 31
	s_lshr_b32 s3, s3, 29
	s_add_i32 s2, s2, s3
	s_ashr_i32 s50, s2, 3
	v_lshrrev_b32_e32 v10, 6, v0
	v_cmp_gt_i32_e64 s[2:3], s50, v10
	v_mov_b32_e32 v15, 0xff7fffff
	s_mul_i32 s20, s7, s18
	v_lshrrev_b32_e32 v8, 4, v0
	v_lshlrev_b32_e32 v11, 3, v10
	v_mbcnt_lo_u32_b32 v12, -1, 0
	s_and_saveexec_b64 s[18:19], s[2:3]
	s_cbranch_execz .LBB222_105
; %bb.10:
	s_load_dwordx2 s[4:5], s[4:5], 0x10
	s_sub_i32 s23, s16, s21
	s_ashr_i32 s6, s20, 31
	v_bfe_u32 v13, v0, 3, 3
	v_cmp_eq_u32_e32 vcc, 0, v1
	s_waitcnt lgkmcnt(0)
	s_add_u32 s7, s4, s20
	s_addc_u32 s6, s5, s6
	s_abs_i32 s52, s22
	v_cvt_f32_u32_e32 v2, s52
	s_sub_i32 s10, 0, s52
	v_mov_b32_e32 v4, s6
	v_mul_u32_u24_e32 v14, 28, v1
	v_rcp_iflag_f32_e32 v2, v2
	s_mov_b32 s53, s17
	v_cmp_neq_f32_e64 s[4:5], s51, 0
	v_lshlrev_b32_e32 v17, 3, v10
	v_mul_f32_e32 v2, 0x4f7ffffe, v2
	v_cvt_u32_f32_e32 v3, v2
	v_lshlrev_b32_e32 v2, 4, v13
	v_add_co_u32_e64 v2, s[6:7], s7, v2
	v_mul_lo_u32 v5, s10, v3
	v_addc_co_u32_e64 v4, s[6:7], 0, v4, s[6:7]
	v_add_co_u32_e64 v1, s[6:7], v2, v1
	v_mul_hi_u32 v5, v3, v5
	v_addc_co_u32_e64 v2, s[6:7], 0, v4, s[6:7]
	s_lshl_b64 s[6:7], s[34:35], 2
	v_add_u32_e32 v16, v3, v5
	s_add_u32 s6, s30, s6
	v_subrev_u32_e32 v5, s25, v13
	v_and_b32_e32 v3, 60, v8
	s_addc_u32 s7, s31, s7
	v_add_u32_e32 v18, 1, v5
	v_lshlrev_b32_e32 v5, 2, v13
	v_mov_b32_e32 v4, s7
	v_add_co_u32_e64 v3, s[6:7], s6, v3
	v_lshl_or_b32 v5, v10, 5, v5
	v_addc_co_u32_e64 v4, s[6:7], 0, v4, s[6:7]
	v_add_u32_e32 v19, 0xf0, v5
	v_mov_b32_e32 v20, 0xff7fffff
	s_mov_b64 s[40:41], 0
	s_movk_i32 s54, 0x80
	s_movk_i32 s55, 0x7f
	v_bfrev_b32_e32 v21, 60
	v_mbcnt_hi_u32_b32 v22, -1, v12
	v_mov_b32_e32 v15, 0xff7fffff
	v_mov_b32_e32 v23, v10
	s_branch .LBB222_13
.LBB222_11:                             ;   in Loop: Header=BB222_13 Depth=1
	s_or_b64 exec, exec, s[42:43]
.LBB222_12:                             ;   in Loop: Header=BB222_13 Depth=1
	s_or_b64 exec, exec, s[10:11]
	v_add_co_u32_e64 v3, s[6:7], 8, v3
	v_add_u32_e32 v23, 2, v23
	v_addc_co_u32_e64 v4, s[6:7], 0, v4, s[6:7]
	v_cmp_le_i32_e64 s[6:7], s50, v23
	v_add_u32_e32 v17, 16, v17
	s_or_b64 s[40:41], s[6:7], s[40:41]
	v_add_u32_e32 v19, 64, v19
	s_andn2_b64 exec, exec, s[40:41]
	s_cbranch_execz .LBB222_104
.LBB222_13:                             ; =>This Inner Loop Header: Depth=1
	v_mul_hi_u32 v5, v17, s48
	s_waitcnt lgkmcnt(0)
	v_mul_lo_u32 v6, v5, s33
	v_add_u32_e32 v7, 1, v5
	v_sub_u32_e32 v6, v17, v6
	v_cmp_le_u32_e64 s[6:7], s33, v6
	v_cndmask_b32_e64 v5, v5, v7, s[6:7]
	v_subrev_u32_e32 v7, s33, v6
	v_cndmask_b32_e64 v6, v6, v7, s[6:7]
	v_add_u32_e32 v7, 1, v5
	v_cmp_le_u32_e64 s[6:7], s33, v6
	v_cndmask_b32_e64 v5, v5, v7, s[6:7]
	v_xor_b32_e32 v5, s49, v5
	v_subrev_u32_e32 v5, s49, v5
	v_add_u32_e32 v6, s38, v5
	v_sub_u32_e32 v7, 0, v6
	v_max_i32_e32 v7, v6, v7
	v_mul_hi_u32 v24, v7, v16
	v_ashrrev_i32_e32 v6, 31, v6
	v_cmp_ge_i32_e64 s[10:11], s23, v5
	v_mul_lo_u32 v24, v24, s52
	v_sub_u32_e32 v7, v7, v24
	v_subrev_u32_e32 v24, s52, v7
	v_cmp_le_u32_e64 s[6:7], s52, v7
	v_cndmask_b32_e64 v7, v7, v24, s[6:7]
	v_subrev_u32_e32 v24, s52, v7
	v_cmp_le_u32_e64 s[6:7], s52, v7
	v_cndmask_b32_e64 v7, v7, v24, s[6:7]
	v_xor_b32_e32 v7, v7, v6
	v_sub_u32_e32 v6, v7, v6
	v_cmp_ne_u32_e64 s[6:7], 0, v6
	s_and_b64 s[6:7], s[6:7], s[10:11]
	s_and_saveexec_b64 s[10:11], s[6:7]
	s_xor_b64 s[6:7], exec, s[10:11]
	s_cbranch_execz .LBB222_17
; %bb.14:                               ;   in Loop: Header=BB222_13 Depth=1
	s_and_saveexec_b64 s[10:11], vcc
; %bb.15:                               ;   in Loop: Header=BB222_13 Depth=1
	ds_write_b32 v19, v20
; %bb.16:                               ;   in Loop: Header=BB222_13 Depth=1
	s_or_b64 exec, exec, s[10:11]
.LBB222_17:                             ;   in Loop: Header=BB222_13 Depth=1
	s_andn2_saveexec_b64 s[10:11], s[6:7]
	s_cbranch_execz .LBB222_12
; %bb.18:                               ;   in Loop: Header=BB222_13 Depth=1
	global_load_dword v5, v[3:4], off
	v_mov_b32_e32 v7, 0
	global_load_dword v24, v7, s[12:13]
	v_mov_b32_e32 v25, 0
	v_mov_b32_e32 v26, 0
	s_waitcnt vmcnt(1)
	v_mad_i64_i32 v[5:6], s[6:7], v5, s53, v[1:2]
	global_load_ubyte v27, v[5:6], off
	s_waitcnt vmcnt(0)
	v_cmp_ne_u16_e64 s[6:7], 0, v27
	s_and_saveexec_b64 s[42:43], s[6:7]
	s_cbranch_execz .LBB222_24
; %bb.19:                               ;   in Loop: Header=BB222_13 Depth=1
	v_cmp_ne_u16_e64 s[6:7], s54, v27
	v_bfrev_b32_e32 v26, 1
	s_and_saveexec_b64 s[44:45], s[6:7]
	s_cbranch_execz .LBB222_23
; %bb.20:                               ;   in Loop: Header=BB222_13 Depth=1
	v_and_b32_e32 v7, 0xffff, v27
	v_and_b32_e32 v28, 0x7f, v7
	v_cmp_ne_u32_e64 s[6:7], s55, v28
	v_mov_b32_e32 v26, 0x7f800001
	s_and_saveexec_b64 s[46:47], s[6:7]
	s_cbranch_execz .LBB222_22
; %bb.21:                               ;   in Loop: Header=BB222_13 Depth=1
	v_and_b32_e32 v26, 7, v7
	v_ffbh_u32_e32 v29, v26
	v_min_u32_e32 v32, 32, v29
	v_subrev_u32_e32 v29, 28, v32
	v_lshlrev_b64 v[29:30], v29, v[7:8]
	v_lshrrev_b32_e32 v31, 3, v28
	v_sub_u32_e32 v7, 29, v32
	v_and_b32_e32 v29, 7, v29
	v_cmp_gt_u32_e64 s[6:7], 8, v28
	v_cndmask_b32_e64 v7, v31, v7, s[6:7]
	v_cndmask_b32_e64 v26, v26, v29, s[6:7]
	v_lshlrev_b32_e32 v27, 24, v27
	v_lshlrev_b32_e32 v26, 20, v26
	v_and_b32_e32 v27, 0x80000000, v27
	v_lshl_add_u32 v7, v7, 23, v21
	v_or3_b32 v26, v27, v7, v26
.LBB222_22:                             ;   in Loop: Header=BB222_13 Depth=1
	s_or_b64 exec, exec, s[46:47]
.LBB222_23:                             ;   in Loop: Header=BB222_13 Depth=1
	s_or_b64 exec, exec, s[44:45]
.LBB222_24:                             ;   in Loop: Header=BB222_13 Depth=1
	s_or_b64 exec, exec, s[42:43]
	global_load_ubyte v27, v[5:6], off offset:8
	s_waitcnt vmcnt(0)
	v_cmp_ne_u16_e64 s[6:7], 0, v27
	s_and_saveexec_b64 s[42:43], s[6:7]
	s_cbranch_execz .LBB222_30
; %bb.25:                               ;   in Loop: Header=BB222_13 Depth=1
	v_cmp_ne_u16_e64 s[6:7], s54, v27
	v_bfrev_b32_e32 v25, 1
	s_and_saveexec_b64 s[44:45], s[6:7]
	s_cbranch_execz .LBB222_29
; %bb.26:                               ;   in Loop: Header=BB222_13 Depth=1
	v_and_b32_e32 v7, 0xffff, v27
	v_and_b32_e32 v28, 0x7f, v7
	v_cmp_ne_u32_e64 s[6:7], s55, v28
	v_mov_b32_e32 v25, 0x7f800001
	s_and_saveexec_b64 s[46:47], s[6:7]
	s_cbranch_execz .LBB222_28
; %bb.27:                               ;   in Loop: Header=BB222_13 Depth=1
	v_and_b32_e32 v25, 7, v7
	v_ffbh_u32_e32 v29, v25
	v_min_u32_e32 v32, 32, v29
	v_subrev_u32_e32 v29, 28, v32
	v_lshlrev_b64 v[29:30], v29, v[7:8]
	v_lshrrev_b32_e32 v31, 3, v28
	v_sub_u32_e32 v7, 29, v32
	v_and_b32_e32 v29, 7, v29
	v_cmp_gt_u32_e64 s[6:7], 8, v28
	v_cndmask_b32_e64 v7, v31, v7, s[6:7]
	v_cndmask_b32_e64 v25, v25, v29, s[6:7]
	v_lshlrev_b32_e32 v27, 24, v27
	v_lshlrev_b32_e32 v25, 20, v25
	v_and_b32_e32 v27, 0x80000000, v27
	v_lshl_add_u32 v7, v7, 23, v21
	v_or3_b32 v25, v27, v7, v25
.LBB222_28:                             ;   in Loop: Header=BB222_13 Depth=1
	s_or_b64 exec, exec, s[46:47]
.LBB222_29:                             ;   in Loop: Header=BB222_13 Depth=1
	s_or_b64 exec, exec, s[44:45]
.LBB222_30:                             ;   in Loop: Header=BB222_13 Depth=1
	s_or_b64 exec, exec, s[42:43]
	global_load_ubyte v29, v[5:6], off offset:128
	v_mov_b32_e32 v27, 0
	v_mov_b32_e32 v28, 0
	s_waitcnt vmcnt(0)
	v_cmp_ne_u16_e64 s[6:7], 0, v29
	s_and_saveexec_b64 s[42:43], s[6:7]
	s_cbranch_execz .LBB222_36
; %bb.31:                               ;   in Loop: Header=BB222_13 Depth=1
	v_cmp_ne_u16_e64 s[6:7], s54, v29
	v_bfrev_b32_e32 v28, 1
	s_and_saveexec_b64 s[44:45], s[6:7]
	s_cbranch_execz .LBB222_35
; %bb.32:                               ;   in Loop: Header=BB222_13 Depth=1
	v_and_b32_e32 v7, 0xffff, v29
	v_and_b32_e32 v30, 0x7f, v7
	v_cmp_ne_u32_e64 s[6:7], s55, v30
	v_mov_b32_e32 v28, 0x7f800001
	s_and_saveexec_b64 s[46:47], s[6:7]
	s_cbranch_execz .LBB222_34
; %bb.33:                               ;   in Loop: Header=BB222_13 Depth=1
	v_and_b32_e32 v28, 7, v7
	v_ffbh_u32_e32 v31, v28
	v_min_u32_e32 v34, 32, v31
	v_subrev_u32_e32 v31, 28, v34
	v_lshlrev_b64 v[31:32], v31, v[7:8]
	v_lshrrev_b32_e32 v33, 3, v30
	v_sub_u32_e32 v7, 29, v34
	v_and_b32_e32 v31, 7, v31
	v_cmp_gt_u32_e64 s[6:7], 8, v30
	v_cndmask_b32_e64 v7, v33, v7, s[6:7]
	v_cndmask_b32_e64 v28, v28, v31, s[6:7]
	v_lshlrev_b32_e32 v29, 24, v29
	v_lshlrev_b32_e32 v28, 20, v28
	v_and_b32_e32 v29, 0x80000000, v29
	v_lshl_add_u32 v7, v7, 23, v21
	v_or3_b32 v28, v29, v7, v28
.LBB222_34:                             ;   in Loop: Header=BB222_13 Depth=1
	s_or_b64 exec, exec, s[46:47]
.LBB222_35:                             ;   in Loop: Header=BB222_13 Depth=1
	s_or_b64 exec, exec, s[44:45]
.LBB222_36:                             ;   in Loop: Header=BB222_13 Depth=1
	s_or_b64 exec, exec, s[42:43]
	global_load_ubyte v29, v[5:6], off offset:136
	s_waitcnt vmcnt(0)
	v_cmp_ne_u16_e64 s[6:7], 0, v29
	s_and_saveexec_b64 s[42:43], s[6:7]
	s_cbranch_execz .LBB222_42
; %bb.37:                               ;   in Loop: Header=BB222_13 Depth=1
	v_cmp_ne_u16_e64 s[6:7], s54, v29
	v_bfrev_b32_e32 v27, 1
	s_and_saveexec_b64 s[44:45], s[6:7]
	s_cbranch_execz .LBB222_41
; %bb.38:                               ;   in Loop: Header=BB222_13 Depth=1
	v_and_b32_e32 v7, 0xffff, v29
	v_and_b32_e32 v30, 0x7f, v7
	v_cmp_ne_u32_e64 s[6:7], s55, v30
	v_mov_b32_e32 v27, 0x7f800001
	s_and_saveexec_b64 s[46:47], s[6:7]
	s_cbranch_execz .LBB222_40
; %bb.39:                               ;   in Loop: Header=BB222_13 Depth=1
	v_and_b32_e32 v27, 7, v7
	v_ffbh_u32_e32 v31, v27
	v_min_u32_e32 v34, 32, v31
	v_subrev_u32_e32 v31, 28, v34
	v_lshlrev_b64 v[31:32], v31, v[7:8]
	v_lshrrev_b32_e32 v33, 3, v30
	v_sub_u32_e32 v7, 29, v34
	v_and_b32_e32 v31, 7, v31
	v_cmp_gt_u32_e64 s[6:7], 8, v30
	v_cndmask_b32_e64 v7, v33, v7, s[6:7]
	v_cndmask_b32_e64 v27, v27, v31, s[6:7]
	v_lshlrev_b32_e32 v29, 24, v29
	v_lshlrev_b32_e32 v27, 20, v27
	v_and_b32_e32 v29, 0x80000000, v29
	v_lshl_add_u32 v7, v7, 23, v21
	v_or3_b32 v27, v29, v7, v27
.LBB222_40:                             ;   in Loop: Header=BB222_13 Depth=1
	s_or_b64 exec, exec, s[46:47]
.LBB222_41:                             ;   in Loop: Header=BB222_13 Depth=1
	s_or_b64 exec, exec, s[44:45]
.LBB222_42:                             ;   in Loop: Header=BB222_13 Depth=1
	s_or_b64 exec, exec, s[42:43]
	global_load_ubyte v31, v[5:6], off offset:256
	v_mov_b32_e32 v29, 0
	v_mov_b32_e32 v30, 0
	s_waitcnt vmcnt(0)
	v_cmp_ne_u16_e64 s[6:7], 0, v31
	s_and_saveexec_b64 s[42:43], s[6:7]
	s_cbranch_execz .LBB222_48
; %bb.43:                               ;   in Loop: Header=BB222_13 Depth=1
	v_cmp_ne_u16_e64 s[6:7], s54, v31
	v_bfrev_b32_e32 v30, 1
	s_and_saveexec_b64 s[44:45], s[6:7]
	s_cbranch_execz .LBB222_47
; %bb.44:                               ;   in Loop: Header=BB222_13 Depth=1
	v_and_b32_e32 v7, 0xffff, v31
	v_and_b32_e32 v32, 0x7f, v7
	v_cmp_ne_u32_e64 s[6:7], s55, v32
	v_mov_b32_e32 v30, 0x7f800001
	s_and_saveexec_b64 s[46:47], s[6:7]
	s_cbranch_execz .LBB222_46
; %bb.45:                               ;   in Loop: Header=BB222_13 Depth=1
	v_and_b32_e32 v30, 7, v7
	v_ffbh_u32_e32 v33, v30
	v_min_u32_e32 v36, 32, v33
	v_subrev_u32_e32 v33, 28, v36
	v_lshlrev_b64 v[33:34], v33, v[7:8]
	v_lshrrev_b32_e32 v35, 3, v32
	v_sub_u32_e32 v7, 29, v36
	v_and_b32_e32 v33, 7, v33
	v_cmp_gt_u32_e64 s[6:7], 8, v32
	v_cndmask_b32_e64 v7, v35, v7, s[6:7]
	v_cndmask_b32_e64 v30, v30, v33, s[6:7]
	v_lshlrev_b32_e32 v31, 24, v31
	v_lshlrev_b32_e32 v30, 20, v30
	v_and_b32_e32 v31, 0x80000000, v31
	v_lshl_add_u32 v7, v7, 23, v21
	v_or3_b32 v30, v31, v7, v30
.LBB222_46:                             ;   in Loop: Header=BB222_13 Depth=1
	s_or_b64 exec, exec, s[46:47]
.LBB222_47:                             ;   in Loop: Header=BB222_13 Depth=1
	s_or_b64 exec, exec, s[44:45]
.LBB222_48:                             ;   in Loop: Header=BB222_13 Depth=1
	s_or_b64 exec, exec, s[42:43]
	global_load_ubyte v31, v[5:6], off offset:264
	s_waitcnt vmcnt(0)
	v_cmp_ne_u16_e64 s[6:7], 0, v31
	s_and_saveexec_b64 s[42:43], s[6:7]
	s_cbranch_execz .LBB222_54
; %bb.49:                               ;   in Loop: Header=BB222_13 Depth=1
	v_cmp_ne_u16_e64 s[6:7], s54, v31
	v_bfrev_b32_e32 v29, 1
	s_and_saveexec_b64 s[44:45], s[6:7]
	s_cbranch_execz .LBB222_53
; %bb.50:                               ;   in Loop: Header=BB222_13 Depth=1
	v_and_b32_e32 v7, 0xffff, v31
	v_and_b32_e32 v32, 0x7f, v7
	v_cmp_ne_u32_e64 s[6:7], s55, v32
	v_mov_b32_e32 v29, 0x7f800001
	s_and_saveexec_b64 s[46:47], s[6:7]
	s_cbranch_execz .LBB222_52
; %bb.51:                               ;   in Loop: Header=BB222_13 Depth=1
	v_and_b32_e32 v29, 7, v7
	v_ffbh_u32_e32 v33, v29
	v_min_u32_e32 v36, 32, v33
	v_subrev_u32_e32 v33, 28, v36
	v_lshlrev_b64 v[33:34], v33, v[7:8]
	v_lshrrev_b32_e32 v35, 3, v32
	v_sub_u32_e32 v7, 29, v36
	v_and_b32_e32 v33, 7, v33
	v_cmp_gt_u32_e64 s[6:7], 8, v32
	v_cndmask_b32_e64 v7, v35, v7, s[6:7]
	v_cndmask_b32_e64 v29, v29, v33, s[6:7]
	v_lshlrev_b32_e32 v31, 24, v31
	v_lshlrev_b32_e32 v29, 20, v29
	v_and_b32_e32 v31, 0x80000000, v31
	v_lshl_add_u32 v7, v7, 23, v21
	v_or3_b32 v29, v31, v7, v29
.LBB222_52:                             ;   in Loop: Header=BB222_13 Depth=1
	s_or_b64 exec, exec, s[46:47]
.LBB222_53:                             ;   in Loop: Header=BB222_13 Depth=1
	s_or_b64 exec, exec, s[44:45]
.LBB222_54:                             ;   in Loop: Header=BB222_13 Depth=1
	s_or_b64 exec, exec, s[42:43]
	global_load_ubyte v33, v[5:6], off offset:384
	v_mov_b32_e32 v31, 0
	v_mov_b32_e32 v32, 0
	s_waitcnt vmcnt(0)
	v_cmp_ne_u16_e64 s[6:7], 0, v33
	s_and_saveexec_b64 s[42:43], s[6:7]
	s_cbranch_execz .LBB222_60
; %bb.55:                               ;   in Loop: Header=BB222_13 Depth=1
	v_cmp_ne_u16_e64 s[6:7], s54, v33
	v_bfrev_b32_e32 v32, 1
	s_and_saveexec_b64 s[44:45], s[6:7]
	s_cbranch_execz .LBB222_59
; %bb.56:                               ;   in Loop: Header=BB222_13 Depth=1
	v_and_b32_e32 v7, 0xffff, v33
	v_and_b32_e32 v34, 0x7f, v7
	v_cmp_ne_u32_e64 s[6:7], s55, v34
	v_mov_b32_e32 v32, 0x7f800001
	s_and_saveexec_b64 s[46:47], s[6:7]
	s_cbranch_execz .LBB222_58
; %bb.57:                               ;   in Loop: Header=BB222_13 Depth=1
	v_and_b32_e32 v32, 7, v7
	v_ffbh_u32_e32 v35, v32
	v_min_u32_e32 v38, 32, v35
	v_subrev_u32_e32 v35, 28, v38
	v_lshlrev_b64 v[35:36], v35, v[7:8]
	v_lshrrev_b32_e32 v37, 3, v34
	v_sub_u32_e32 v7, 29, v38
	v_and_b32_e32 v35, 7, v35
	v_cmp_gt_u32_e64 s[6:7], 8, v34
	v_cndmask_b32_e64 v7, v37, v7, s[6:7]
	v_cndmask_b32_e64 v32, v32, v35, s[6:7]
	v_lshlrev_b32_e32 v33, 24, v33
	v_lshlrev_b32_e32 v32, 20, v32
	v_and_b32_e32 v33, 0x80000000, v33
	v_lshl_add_u32 v7, v7, 23, v21
	v_or3_b32 v32, v33, v7, v32
.LBB222_58:                             ;   in Loop: Header=BB222_13 Depth=1
	s_or_b64 exec, exec, s[46:47]
.LBB222_59:                             ;   in Loop: Header=BB222_13 Depth=1
	s_or_b64 exec, exec, s[44:45]
.LBB222_60:                             ;   in Loop: Header=BB222_13 Depth=1
	s_or_b64 exec, exec, s[42:43]
	global_load_ubyte v33, v[5:6], off offset:392
	s_waitcnt vmcnt(0)
	v_cmp_ne_u16_e64 s[6:7], 0, v33
	s_and_saveexec_b64 s[42:43], s[6:7]
	s_cbranch_execz .LBB222_66
; %bb.61:                               ;   in Loop: Header=BB222_13 Depth=1
	v_cmp_ne_u16_e64 s[6:7], s54, v33
	v_bfrev_b32_e32 v31, 1
	s_and_saveexec_b64 s[44:45], s[6:7]
	s_cbranch_execz .LBB222_65
; %bb.62:                               ;   in Loop: Header=BB222_13 Depth=1
	v_and_b32_e32 v7, 0xffff, v33
	v_and_b32_e32 v34, 0x7f, v7
	v_cmp_ne_u32_e64 s[6:7], s55, v34
	v_mov_b32_e32 v31, 0x7f800001
	s_and_saveexec_b64 s[46:47], s[6:7]
	s_cbranch_execz .LBB222_64
; %bb.63:                               ;   in Loop: Header=BB222_13 Depth=1
	v_and_b32_e32 v31, 7, v7
	v_ffbh_u32_e32 v35, v31
	v_min_u32_e32 v38, 32, v35
	v_subrev_u32_e32 v35, 28, v38
	v_lshlrev_b64 v[35:36], v35, v[7:8]
	v_lshrrev_b32_e32 v37, 3, v34
	v_sub_u32_e32 v7, 29, v38
	v_and_b32_e32 v35, 7, v35
	v_cmp_gt_u32_e64 s[6:7], 8, v34
	v_cndmask_b32_e64 v7, v37, v7, s[6:7]
	v_cndmask_b32_e64 v31, v31, v35, s[6:7]
	v_lshlrev_b32_e32 v33, 24, v33
	v_lshlrev_b32_e32 v31, 20, v31
	v_and_b32_e32 v33, 0x80000000, v33
	v_lshl_add_u32 v7, v7, 23, v21
	v_or3_b32 v31, v33, v7, v31
.LBB222_64:                             ;   in Loop: Header=BB222_13 Depth=1
	s_or_b64 exec, exec, s[46:47]
.LBB222_65:                             ;   in Loop: Header=BB222_13 Depth=1
	s_or_b64 exec, exec, s[44:45]
.LBB222_66:                             ;   in Loop: Header=BB222_13 Depth=1
	s_or_b64 exec, exec, s[42:43]
	global_load_ubyte v35, v[5:6], off offset:512
	v_mov_b32_e32 v33, 0
	v_mov_b32_e32 v34, 0
	s_waitcnt vmcnt(0)
	v_cmp_ne_u16_e64 s[6:7], 0, v35
	s_and_saveexec_b64 s[42:43], s[6:7]
	s_cbranch_execz .LBB222_72
; %bb.67:                               ;   in Loop: Header=BB222_13 Depth=1
	v_cmp_ne_u16_e64 s[6:7], s54, v35
	v_bfrev_b32_e32 v34, 1
	s_and_saveexec_b64 s[44:45], s[6:7]
	s_cbranch_execz .LBB222_71
; %bb.68:                               ;   in Loop: Header=BB222_13 Depth=1
	v_and_b32_e32 v7, 0xffff, v35
	v_and_b32_e32 v36, 0x7f, v7
	v_cmp_ne_u32_e64 s[6:7], s55, v36
	v_mov_b32_e32 v34, 0x7f800001
	s_and_saveexec_b64 s[46:47], s[6:7]
	s_cbranch_execz .LBB222_70
; %bb.69:                               ;   in Loop: Header=BB222_13 Depth=1
	v_and_b32_e32 v34, 7, v7
	v_ffbh_u32_e32 v37, v34
	v_min_u32_e32 v40, 32, v37
	v_subrev_u32_e32 v37, 28, v40
	v_lshlrev_b64 v[37:38], v37, v[7:8]
	v_lshrrev_b32_e32 v39, 3, v36
	v_sub_u32_e32 v7, 29, v40
	v_and_b32_e32 v37, 7, v37
	v_cmp_gt_u32_e64 s[6:7], 8, v36
	v_cndmask_b32_e64 v7, v39, v7, s[6:7]
	v_cndmask_b32_e64 v34, v34, v37, s[6:7]
	v_lshlrev_b32_e32 v35, 24, v35
	v_lshlrev_b32_e32 v34, 20, v34
	v_and_b32_e32 v35, 0x80000000, v35
	v_lshl_add_u32 v7, v7, 23, v21
	v_or3_b32 v34, v35, v7, v34
.LBB222_70:                             ;   in Loop: Header=BB222_13 Depth=1
	s_or_b64 exec, exec, s[46:47]
.LBB222_71:                             ;   in Loop: Header=BB222_13 Depth=1
	s_or_b64 exec, exec, s[44:45]
.LBB222_72:                             ;   in Loop: Header=BB222_13 Depth=1
	s_or_b64 exec, exec, s[42:43]
	global_load_ubyte v35, v[5:6], off offset:520
	s_waitcnt vmcnt(0)
	v_cmp_ne_u16_e64 s[6:7], 0, v35
	s_and_saveexec_b64 s[42:43], s[6:7]
	s_cbranch_execz .LBB222_78
; %bb.73:                               ;   in Loop: Header=BB222_13 Depth=1
	v_cmp_ne_u16_e64 s[6:7], s54, v35
	v_bfrev_b32_e32 v33, 1
	s_and_saveexec_b64 s[44:45], s[6:7]
	s_cbranch_execz .LBB222_77
; %bb.74:                               ;   in Loop: Header=BB222_13 Depth=1
	v_and_b32_e32 v7, 0xffff, v35
	v_and_b32_e32 v36, 0x7f, v7
	v_cmp_ne_u32_e64 s[6:7], s55, v36
	v_mov_b32_e32 v33, 0x7f800001
	s_and_saveexec_b64 s[46:47], s[6:7]
	s_cbranch_execz .LBB222_76
; %bb.75:                               ;   in Loop: Header=BB222_13 Depth=1
	v_and_b32_e32 v33, 7, v7
	v_ffbh_u32_e32 v37, v33
	v_min_u32_e32 v40, 32, v37
	v_subrev_u32_e32 v37, 28, v40
	v_lshlrev_b64 v[37:38], v37, v[7:8]
	v_lshrrev_b32_e32 v39, 3, v36
	v_sub_u32_e32 v7, 29, v40
	v_and_b32_e32 v37, 7, v37
	v_cmp_gt_u32_e64 s[6:7], 8, v36
	v_cndmask_b32_e64 v7, v39, v7, s[6:7]
	v_cndmask_b32_e64 v33, v33, v37, s[6:7]
	v_lshlrev_b32_e32 v35, 24, v35
	v_lshlrev_b32_e32 v33, 20, v33
	v_and_b32_e32 v35, 0x80000000, v35
	v_lshl_add_u32 v7, v7, 23, v21
	v_or3_b32 v33, v35, v7, v33
.LBB222_76:                             ;   in Loop: Header=BB222_13 Depth=1
	s_or_b64 exec, exec, s[46:47]
.LBB222_77:                             ;   in Loop: Header=BB222_13 Depth=1
	s_or_b64 exec, exec, s[44:45]
.LBB222_78:                             ;   in Loop: Header=BB222_13 Depth=1
	s_or_b64 exec, exec, s[42:43]
	global_load_ubyte v37, v[5:6], off offset:640
	v_mov_b32_e32 v35, 0
	v_mov_b32_e32 v36, 0
	s_waitcnt vmcnt(0)
	v_cmp_ne_u16_e64 s[6:7], 0, v37
	s_and_saveexec_b64 s[42:43], s[6:7]
	s_cbranch_execz .LBB222_84
; %bb.79:                               ;   in Loop: Header=BB222_13 Depth=1
	v_cmp_ne_u16_e64 s[6:7], s54, v37
	v_bfrev_b32_e32 v36, 1
	s_and_saveexec_b64 s[44:45], s[6:7]
	s_cbranch_execz .LBB222_83
; %bb.80:                               ;   in Loop: Header=BB222_13 Depth=1
	v_and_b32_e32 v7, 0xffff, v37
	v_and_b32_e32 v38, 0x7f, v7
	v_cmp_ne_u32_e64 s[6:7], s55, v38
	v_mov_b32_e32 v36, 0x7f800001
	s_and_saveexec_b64 s[46:47], s[6:7]
	s_cbranch_execz .LBB222_82
; %bb.81:                               ;   in Loop: Header=BB222_13 Depth=1
	v_and_b32_e32 v36, 7, v7
	v_ffbh_u32_e32 v39, v36
	v_min_u32_e32 v42, 32, v39
	v_subrev_u32_e32 v39, 28, v42
	v_lshlrev_b64 v[39:40], v39, v[7:8]
	v_lshrrev_b32_e32 v41, 3, v38
	v_sub_u32_e32 v7, 29, v42
	v_and_b32_e32 v39, 7, v39
	v_cmp_gt_u32_e64 s[6:7], 8, v38
	v_cndmask_b32_e64 v7, v41, v7, s[6:7]
	v_cndmask_b32_e64 v36, v36, v39, s[6:7]
	v_lshlrev_b32_e32 v37, 24, v37
	v_lshlrev_b32_e32 v36, 20, v36
	v_and_b32_e32 v37, 0x80000000, v37
	v_lshl_add_u32 v7, v7, 23, v21
	v_or3_b32 v36, v37, v7, v36
.LBB222_82:                             ;   in Loop: Header=BB222_13 Depth=1
	s_or_b64 exec, exec, s[46:47]
.LBB222_83:                             ;   in Loop: Header=BB222_13 Depth=1
	s_or_b64 exec, exec, s[44:45]
.LBB222_84:                             ;   in Loop: Header=BB222_13 Depth=1
	s_or_b64 exec, exec, s[42:43]
	global_load_ubyte v37, v[5:6], off offset:648
	s_waitcnt vmcnt(0)
	v_cmp_ne_u16_e64 s[6:7], 0, v37
	s_and_saveexec_b64 s[42:43], s[6:7]
	s_cbranch_execz .LBB222_90
; %bb.85:                               ;   in Loop: Header=BB222_13 Depth=1
	v_cmp_ne_u16_e64 s[6:7], s54, v37
	v_bfrev_b32_e32 v35, 1
	s_and_saveexec_b64 s[44:45], s[6:7]
	s_cbranch_execz .LBB222_89
; %bb.86:                               ;   in Loop: Header=BB222_13 Depth=1
	v_and_b32_e32 v7, 0xffff, v37
	v_and_b32_e32 v38, 0x7f, v7
	v_cmp_ne_u32_e64 s[6:7], s55, v38
	v_mov_b32_e32 v35, 0x7f800001
	s_and_saveexec_b64 s[46:47], s[6:7]
	s_cbranch_execz .LBB222_88
; %bb.87:                               ;   in Loop: Header=BB222_13 Depth=1
	v_and_b32_e32 v35, 7, v7
	v_ffbh_u32_e32 v39, v35
	v_min_u32_e32 v42, 32, v39
	v_subrev_u32_e32 v39, 28, v42
	v_lshlrev_b64 v[39:40], v39, v[7:8]
	v_lshrrev_b32_e32 v41, 3, v38
	v_sub_u32_e32 v7, 29, v42
	v_and_b32_e32 v39, 7, v39
	v_cmp_gt_u32_e64 s[6:7], 8, v38
	v_cndmask_b32_e64 v7, v41, v7, s[6:7]
	v_cndmask_b32_e64 v35, v35, v39, s[6:7]
	v_lshlrev_b32_e32 v37, 24, v37
	v_lshlrev_b32_e32 v35, 20, v35
	v_and_b32_e32 v37, 0x80000000, v37
	v_lshl_add_u32 v7, v7, 23, v21
	v_or3_b32 v35, v37, v7, v35
.LBB222_88:                             ;   in Loop: Header=BB222_13 Depth=1
	s_or_b64 exec, exec, s[46:47]
.LBB222_89:                             ;   in Loop: Header=BB222_13 Depth=1
	s_or_b64 exec, exec, s[44:45]
.LBB222_90:                             ;   in Loop: Header=BB222_13 Depth=1
	s_or_b64 exec, exec, s[42:43]
	global_load_ubyte v39, v[5:6], off offset:768
	v_mov_b32_e32 v37, 0
	v_mov_b32_e32 v38, 0
	s_waitcnt vmcnt(0)
	v_cmp_ne_u16_e64 s[6:7], 0, v39
	s_and_saveexec_b64 s[42:43], s[6:7]
	s_cbranch_execz .LBB222_96
; %bb.91:                               ;   in Loop: Header=BB222_13 Depth=1
	v_cmp_ne_u16_e64 s[6:7], s54, v39
	v_bfrev_b32_e32 v38, 1
	s_and_saveexec_b64 s[44:45], s[6:7]
	s_cbranch_execz .LBB222_95
; %bb.92:                               ;   in Loop: Header=BB222_13 Depth=1
	v_and_b32_e32 v7, 0xffff, v39
	v_and_b32_e32 v40, 0x7f, v7
	v_cmp_ne_u32_e64 s[6:7], s55, v40
	v_mov_b32_e32 v38, 0x7f800001
	s_and_saveexec_b64 s[46:47], s[6:7]
	s_cbranch_execz .LBB222_94
; %bb.93:                               ;   in Loop: Header=BB222_13 Depth=1
	v_and_b32_e32 v38, 7, v7
	v_ffbh_u32_e32 v41, v38
	v_min_u32_e32 v44, 32, v41
	v_subrev_u32_e32 v41, 28, v44
	v_lshlrev_b64 v[41:42], v41, v[7:8]
	v_lshrrev_b32_e32 v43, 3, v40
	v_sub_u32_e32 v7, 29, v44
	v_and_b32_e32 v41, 7, v41
	v_cmp_gt_u32_e64 s[6:7], 8, v40
	v_cndmask_b32_e64 v7, v43, v7, s[6:7]
	v_cndmask_b32_e64 v38, v38, v41, s[6:7]
	v_lshlrev_b32_e32 v39, 24, v39
	v_lshlrev_b32_e32 v38, 20, v38
	v_and_b32_e32 v39, 0x80000000, v39
	v_lshl_add_u32 v7, v7, 23, v21
	v_or3_b32 v38, v39, v7, v38
.LBB222_94:                             ;   in Loop: Header=BB222_13 Depth=1
	s_or_b64 exec, exec, s[46:47]
.LBB222_95:                             ;   in Loop: Header=BB222_13 Depth=1
	s_or_b64 exec, exec, s[44:45]
.LBB222_96:                             ;   in Loop: Header=BB222_13 Depth=1
	s_or_b64 exec, exec, s[42:43]
	global_load_ubyte v6, v[5:6], off offset:776
	s_waitcnt vmcnt(0)
	v_cmp_ne_u16_e64 s[6:7], 0, v6
	s_and_saveexec_b64 s[42:43], s[6:7]
	s_cbranch_execz .LBB222_102
; %bb.97:                               ;   in Loop: Header=BB222_13 Depth=1
	v_cmp_ne_u16_e64 s[6:7], s54, v6
	v_bfrev_b32_e32 v37, 1
	s_and_saveexec_b64 s[44:45], s[6:7]
	s_cbranch_execz .LBB222_101
; %bb.98:                               ;   in Loop: Header=BB222_13 Depth=1
	v_and_b32_e32 v5, 0xffff, v6
	v_and_b32_e32 v7, 0x7f, v5
	v_cmp_ne_u32_e64 s[6:7], s55, v7
	v_mov_b32_e32 v37, 0x7f800001
	s_and_saveexec_b64 s[46:47], s[6:7]
	s_cbranch_execz .LBB222_100
; %bb.99:                               ;   in Loop: Header=BB222_13 Depth=1
	v_and_b32_e32 v37, 7, v5
	v_ffbh_u32_e32 v39, v37
	v_min_u32_e32 v42, 32, v39
	v_subrev_u32_e32 v39, 28, v42
	v_lshlrev_b64 v[39:40], v39, v[5:6]
	v_lshrrev_b32_e32 v41, 3, v7
	v_sub_u32_e32 v5, 29, v42
	v_and_b32_e32 v39, 7, v39
	v_cmp_gt_u32_e64 s[6:7], 8, v7
	v_cndmask_b32_e64 v5, v41, v5, s[6:7]
	v_cndmask_b32_e64 v7, v37, v39, s[6:7]
	v_lshlrev_b32_e32 v6, 24, v6
	v_lshlrev_b32_e32 v7, 20, v7
	v_and_b32_e32 v6, 0x80000000, v6
	v_lshl_add_u32 v5, v5, 23, v21
	v_or3_b32 v37, v6, v5, v7
.LBB222_100:                            ;   in Loop: Header=BB222_13 Depth=1
	s_or_b64 exec, exec, s[46:47]
.LBB222_101:                            ;   in Loop: Header=BB222_13 Depth=1
	s_or_b64 exec, exec, s[44:45]
.LBB222_102:                            ;   in Loop: Header=BB222_13 Depth=1
	s_or_b64 exec, exec, s[42:43]
	ds_read_u16 v6, v14
	v_fma_mixlo_f16 v5, v24, v26, 0
	v_and_b32_e32 v7, 0xffff, v5
	s_waitcnt lgkmcnt(0)
	;;#ASMSTART
	v_cvt_f32_f16 v5, v6;
	;;#ASMEND
	;;#ASMSTART
	v_cvt_f32_f16 v6, v7;
	;;#ASMEND
	ds_read_u16 v26, v14 offset:2
	v_fma_mixlo_f16 v7, v24, v25, 0
	v_and_b32_e32 v25, 0xffff, v7
	s_waitcnt lgkmcnt(0)
	;;#ASMSTART
	v_cvt_f32_f16 v7, v26;
	;;#ASMEND
	;;#ASMSTART
	v_cvt_f32_f16 v25, v25;
	;;#ASMEND
	v_fma_mixlo_f16 v26, v24, v28, 0
	v_mul_f32_e32 v7, v7, v25
	ds_read_u16 v39, v14 offset:4
	v_and_b32_e32 v28, 0xffff, v26
	v_fma_mixlo_f16 v27, v24, v27, 0
	v_fmac_f32_e32 v7, v5, v6
	s_waitcnt lgkmcnt(0)
	;;#ASMSTART
	v_cvt_f32_f16 v26, v39;
	;;#ASMEND
	;;#ASMSTART
	v_cvt_f32_f16 v28, v28;
	;;#ASMEND
	ds_read_u16 v39, v14 offset:6
	v_and_b32_e32 v40, 0xffff, v27
	v_fma_mixlo_f16 v30, v24, v30, 0
	v_fmac_f32_e32 v7, v26, v28
	s_waitcnt lgkmcnt(0)
	;;#ASMSTART
	v_cvt_f32_f16 v27, v39;
	;;#ASMEND
	;;#ASMSTART
	v_cvt_f32_f16 v39, v40;
	;;#ASMEND
	;; [unrolled: 11-line block ×6, first 2 shown]
	ds_read_u16 v44, v14 offset:16
	v_and_b32_e32 v45, 0xffff, v34
	v_fmac_f32_e32 v7, v31, v43
	s_waitcnt lgkmcnt(0)
	;;#ASMSTART
	v_cvt_f32_f16 v34, v44;
	;;#ASMEND
	;;#ASMSTART
	v_cvt_f32_f16 v44, v45;
	;;#ASMEND
	ds_read_u16 v45, v14 offset:18
	v_fma_mixlo_f16 v33, v24, v33, 0
	v_fma_mixlo_f16 v36, v24, v36, 0
	v_fmac_f32_e32 v7, v34, v44
	v_and_b32_e32 v46, 0xffff, v33
	s_waitcnt lgkmcnt(0)
	;;#ASMSTART
	v_cvt_f32_f16 v33, v45;
	;;#ASMEND
	;;#ASMSTART
	v_cvt_f32_f16 v45, v46;
	;;#ASMEND
	v_fma_mixlo_f16 v35, v24, v35, 0
	v_and_b32_e32 v36, 0xffff, v36
	v_fmac_f32_e32 v7, v33, v45
	v_fma_mixlo_f16 v38, v24, v38, 0
	ds_read_u16 v46, v14 offset:20
	s_waitcnt lgkmcnt(0)
	;;#ASMSTART
	v_cvt_f32_f16 v25, v46;
	;;#ASMEND
	;;#ASMSTART
	v_cvt_f32_f16 v36, v36;
	;;#ASMEND
	v_and_b32_e32 v6, 0xffff, v35
	v_fmac_f32_e32 v7, v25, v36
	v_fma_mixlo_f16 v24, v24, v37, 0
	ds_read_u16 v37, v14 offset:22
	s_waitcnt lgkmcnt(0)
	;;#ASMSTART
	v_cvt_f32_f16 v5, v37;
	;;#ASMEND
	;;#ASMSTART
	v_cvt_f32_f16 v6, v6;
	;;#ASMEND
	ds_read_u16 v26, v14 offset:24
	v_and_b32_e32 v27, 0xffff, v38
	v_fmac_f32_e32 v7, v5, v6
	s_waitcnt lgkmcnt(0)
	;;#ASMSTART
	v_cvt_f32_f16 v26, v26;
	;;#ASMEND
	;;#ASMSTART
	v_cvt_f32_f16 v27, v27;
	;;#ASMEND
	ds_read_u16 v28, v14 offset:26
	v_fmac_f32_e32 v7, v26, v27
	s_waitcnt lgkmcnt(0)
	;;#ASMSTART
	v_cvt_f32_f16 v5, v28;
	;;#ASMEND
	v_and_b32_e32 v6, 0xffff, v24
	;;#ASMSTART
	v_cvt_f32_f16 v6, v6;
	;;#ASMEND
	v_fmac_f32_e32 v7, v5, v6
	v_and_b32_e32 v5, 64, v22
	v_add_u32_e32 v6, 64, v5
	v_xor_b32_e32 v5, 4, v22
	v_cmp_lt_i32_e64 s[6:7], v5, v6
	v_cndmask_b32_e64 v5, v22, v5, s[6:7]
	v_lshlrev_b32_e32 v5, 2, v5
	ds_bpermute_b32 v5, v5, v7
	s_waitcnt lgkmcnt(0)
	v_add_f32_e32 v5, v7, v5
	v_xor_b32_e32 v7, 2, v22
	v_cmp_lt_i32_e64 s[6:7], v7, v6
	v_cndmask_b32_e64 v7, v22, v7, s[6:7]
	v_lshlrev_b32_e32 v7, 2, v7
	ds_bpermute_b32 v7, v7, v5
	s_waitcnt lgkmcnt(0)
	v_add_f32_e32 v5, v5, v7
	v_xor_b32_e32 v7, 1, v22
	v_cmp_lt_i32_e64 s[6:7], v7, v6
	v_cndmask_b32_e64 v6, v22, v7, s[6:7]
	v_lshlrev_b32_e32 v6, 2, v6
	ds_bpermute_b32 v6, v6, v5
	s_and_saveexec_b64 s[42:43], vcc
	s_cbranch_execz .LBB222_11
; %bb.103:                              ;   in Loop: Header=BB222_13 Depth=1
	v_add_u32_e32 v7, v18, v17
	v_cvt_f32_i32_e32 v7, v7
	s_waitcnt lgkmcnt(0)
	v_add_f32_e32 v5, v5, v6
	v_add_u32_e32 v24, v13, v17
	v_cmp_gt_i32_e64 s[6:7], s25, v24
	v_mul_f32_e32 v6, s51, v7
	v_cndmask_b32_e64 v6, 0, v6, s[4:5]
	v_fmac_f32_e32 v6, s39, v5
	v_cndmask_b32_e64 v5, 0, v6, s[6:7]
	ds_write_b32 v19, v5
	v_max_f32_e32 v5, v15, v15
	v_max_f32_e32 v5, v5, v6
	v_cndmask_b32_e64 v15, v15, v5, s[6:7]
	s_branch .LBB222_11
.LBB222_104:
	s_or_b64 exec, exec, s[40:41]
.LBB222_105:
	s_or_b64 exec, exec, s[18:19]
	v_mbcnt_hi_u32_b32 v1, -1, v12
	v_and_b32_e32 v14, 64, v1
	v_add_u32_e32 v2, 64, v14
	v_xor_b32_e32 v3, 32, v1
	v_cmp_lt_i32_e32 vcc, v3, v2
	v_cndmask_b32_e32 v3, v1, v3, vcc
	v_lshlrev_b32_e32 v4, 2, v3
	ds_bpermute_b32 v3, v4, v15
	s_waitcnt lgkmcnt(1)
	v_xor_b32_e32 v6, 16, v1
	v_max_f32_e32 v5, v15, v15
	v_cmp_lt_i32_e32 vcc, v6, v2
	v_xor_b32_e32 v7, 8, v1
	s_waitcnt lgkmcnt(0)
	v_max_f32_e32 v3, v3, v3
	v_max_f32_e32 v3, v5, v3
	v_cndmask_b32_e32 v5, v1, v6, vcc
	v_lshlrev_b32_e32 v6, 2, v5
	ds_bpermute_b32 v5, v6, v3
	v_cmp_lt_i32_e32 vcc, v7, v2
	v_and_b32_e32 v12, 63, v0
	s_waitcnt lgkmcnt(0)
	v_max_f32_e32 v5, v5, v5
	v_max_f32_e32 v5, v3, v5
	v_cndmask_b32_e32 v3, v1, v7, vcc
	v_lshlrev_b32_e32 v13, 2, v3
	ds_bpermute_b32 v7, v13, v5
	v_cmp_eq_u32_e32 vcc, 0, v12
	v_lshlrev_b32_e32 v3, 2, v10
	s_and_saveexec_b64 s[4:5], vcc
	s_cbranch_execz .LBB222_107
; %bb.106:
	s_waitcnt lgkmcnt(0)
	v_max_f32_e32 v7, v7, v7
	v_max_f32_e32 v5, v5, v5
	;; [unrolled: 1-line block ×3, first 2 shown]
	ds_write_b32 v3, v5 offset:224
.LBB222_107:
	s_or_b64 exec, exec, s[4:5]
	v_cmp_gt_u32_e64 s[4:5], 2, v12
	v_mov_b32_e32 v15, 0xff7fffff
	v_lshlrev_b32_e32 v5, 2, v12
	s_waitcnt lgkmcnt(0)
	s_barrier
	s_and_saveexec_b64 s[6:7], s[4:5]
; %bb.108:
	ds_read_b32 v15, v5 offset:224
; %bb.109:
	s_or_b64 exec, exec, s[6:7]
	v_xor_b32_e32 v7, 1, v1
	v_cmp_lt_i32_e64 s[6:7], v7, v2
	v_cndmask_b32_e64 v7, v1, v7, s[6:7]
	v_lshlrev_b32_e32 v7, 2, v7
	s_waitcnt lgkmcnt(0)
	ds_bpermute_b32 v16, v7, v15
	v_max_f32_e32 v15, v15, v15
	v_lshlrev_b32_e32 v14, 2, v14
	s_lshl_b32 s6, s50, 3
	s_min_i32 s23, s6, s25
	s_waitcnt lgkmcnt(0)
	v_max_f32_e32 v16, v16, v16
	v_max_f32_e32 v15, v15, v16
	ds_bpermute_b32 v15, v14, v15
	v_cmp_gt_i32_e64 s[6:7], s23, v0
	v_mov_b32_e32 v14, 0
	s_and_saveexec_b64 s[12:13], s[6:7]
	s_cbranch_execz .LBB222_113
; %bb.110:
	v_mov_b32_e32 v14, 0xf0
	v_lshl_add_u32 v16, v0, 2, v14
	v_mov_b32_e32 v14, 0
	s_mov_b64 s[18:19], 0
	v_mov_b32_e32 v17, v0
.LBB222_111:                            ; =>This Inner Loop Header: Depth=1
	ds_read_b32 v18, v16
	v_add_u32_e32 v17, 0x80, v17
	v_cmp_le_i32_e64 s[10:11], s23, v17
	s_or_b64 s[18:19], s[10:11], s[18:19]
	s_waitcnt lgkmcnt(0)
	v_sub_f32_e32 v18, v18, v15
	v_mul_f32_e32 v18, 0x3fb8aa3b, v18
	v_exp_f32_e32 v18, v18
	ds_write_b32 v16, v18
	v_add_f32_e32 v14, v14, v18
	v_add_u32_e32 v16, 0x200, v16
	s_andn2_b64 exec, exec, s[18:19]
	s_cbranch_execnz .LBB222_111
; %bb.112:
	s_or_b64 exec, exec, s[18:19]
.LBB222_113:
	s_or_b64 exec, exec, s[12:13]
	ds_bpermute_b32 v4, v4, v14
	s_waitcnt lgkmcnt(0)
	v_add_f32_e32 v4, v14, v4
	ds_bpermute_b32 v6, v6, v4
	s_waitcnt lgkmcnt(0)
	v_add_f32_e32 v4, v4, v6
	ds_bpermute_b32 v6, v13, v4
	v_xor_b32_e32 v13, 4, v1
	v_cmp_lt_i32_e64 s[10:11], v13, v2
	v_cndmask_b32_e64 v13, v1, v13, s[10:11]
	v_lshlrev_b32_e32 v13, 2, v13
	s_waitcnt lgkmcnt(0)
	v_add_f32_e32 v4, v4, v6
	ds_bpermute_b32 v6, v13, v4
	v_xor_b32_e32 v13, 2, v1
	v_cmp_lt_i32_e64 s[10:11], v13, v2
	v_cndmask_b32_e64 v2, v1, v13, s[10:11]
	v_lshlrev_b32_e32 v2, 2, v2
	s_waitcnt lgkmcnt(0)
	v_add_f32_e32 v4, v4, v6
	ds_bpermute_b32 v2, v2, v4
	s_waitcnt lgkmcnt(0)
	v_add_f32_e32 v2, v4, v2
	ds_bpermute_b32 v4, v7, v2
	s_waitcnt lgkmcnt(0)
	v_add_f32_e32 v2, v2, v4
	s_and_saveexec_b64 s[10:11], vcc
; %bb.114:
	ds_write_b32 v3, v2 offset:232
; %bb.115:
	s_or_b64 exec, exec, s[10:11]
	s_waitcnt lgkmcnt(0)
	s_barrier
	s_and_saveexec_b64 s[10:11], s[4:5]
; %bb.116:
	ds_read_b32 v2, v5 offset:232
; %bb.117:
	s_or_b64 exec, exec, s[10:11]
	s_waitcnt lgkmcnt(0)
	ds_bpermute_b32 v3, v7, v2
	v_lshlrev_b32_e32 v1, 2, v1
	v_and_b32_e32 v1, 0x100, v1
	s_waitcnt lgkmcnt(0)
	v_add_f32_e32 v2, v2, v3
	ds_bpermute_b32 v1, v1, v2
	s_and_saveexec_b64 s[4:5], s[6:7]
	s_cbranch_execz .LBB222_120
; %bb.118:
	s_waitcnt lgkmcnt(0)
	v_add_f32_e32 v2, 0x358637bd, v1
	v_div_scale_f32 v1, s[6:7], v2, v2, 1.0
	v_div_scale_f32 v3, vcc, 1.0, v2, 1.0
	s_mov_b64 s[6:7], 0
	v_rcp_f32_e32 v4, v1
	v_fma_f32 v5, -v1, v4, 1.0
	v_fmac_f32_e32 v4, v5, v4
	v_mul_f32_e32 v5, v3, v4
	v_fma_f32 v6, -v1, v5, v3
	v_fmac_f32_e32 v5, v6, v4
	v_fma_f32 v1, -v1, v5, v3
	v_div_fmas_f32 v3, v1, v4, v5
	v_mov_b32_e32 v1, 0xf0
	v_lshl_add_u32 v1, v0, 2, v1
	v_div_fixup_f32 v2, v3, v2, 1.0
	v_mov_b32_e32 v3, v0
.LBB222_119:                            ; =>This Inner Loop Header: Depth=1
	ds_read_b32 v4, v1
	v_add_u32_e32 v3, 0x80, v3
	v_cmp_le_i32_e32 vcc, s23, v3
	s_or_b64 s[6:7], vcc, s[6:7]
	s_waitcnt lgkmcnt(0)
	v_mul_f32_e32 v4, v2, v4
	ds_write_b32 v1, v4
	v_add_u32_e32 v1, 0x200, v1
	s_andn2_b64 exec, exec, s[6:7]
	s_cbranch_execnz .LBB222_119
.LBB222_120:
	s_or_b64 exec, exec, s[4:5]
	v_mov_b32_e32 v14, 0
	v_mov_b32_e32 v13, 0
	s_waitcnt lgkmcnt(0)
	s_barrier
	s_and_saveexec_b64 s[6:7], s[2:3]
	s_cbranch_execz .LBB222_228
; %bb.121:
	s_sub_i32 s39, s16, s21
	s_ashr_i32 s2, s20, 31
	s_add_u32 s10, s36, s20
	s_addc_u32 s11, s37, s2
	s_abs_i32 s36, s22
	v_cvt_f32_u32_e32 v1, s36
	s_sub_i32 s3, 0, s36
	v_or_b32_e32 v3, 64, v12
	s_movk_i32 s2, 0x70
	v_rcp_iflag_f32_e32 v1, v1
	v_cmp_gt_u32_e32 vcc, s2, v3
	v_lshlrev_b32_e32 v16, 3, v3
	s_add_i32 s40, s50, -1
	v_mul_f32_e32 v1, 0x4f7ffffe, v1
	v_cvt_u32_f32_e32 v1, v1
	v_and_b32_e32 v5, 60, v8
	s_mov_b32 s12, -1
	s_mov_b32 s37, s17
	v_mul_lo_u32 v4, s3, v1
	s_lshl_b64 s[2:3], s[34:35], 2
	s_add_u32 s2, s30, s2
	s_addc_u32 s3, s31, s3
	v_mul_hi_u32 v3, v1, v4
	s_mov_b32 s13, 0xffffff
	v_lshlrev_b32_e32 v15, 3, v12
	v_mov_b32_e32 v2, 0
	v_add_u32_e32 v17, v1, v3
	v_mov_b32_e32 v1, s3
	v_add_co_u32_e64 v3, s[2:3], s2, v5
	v_addc_co_u32_e64 v4, s[2:3], 0, v1, s[2:3]
	v_mov_b32_e32 v1, 0xf0
	v_lshl_add_u32 v18, v10, 5, v1
	s_mov_b64 s[16:17], 0
	s_movk_i32 s41, 0x80
	s_movk_i32 s42, 0x7f
	s_mov_b32 s43, 0x8000
	v_mov_b32_e32 v19, 0x2000
	v_mov_b32_e32 v13, 0
	;; [unrolled: 1-line block ×3, first 2 shown]
	s_branch .LBB222_125
.LBB222_122:                            ;   in Loop: Header=BB222_125 Depth=1
	s_or_b64 exec, exec, s[4:5]
	;;#ASMSTART
	v_pk_mul_f16 v5, v23, v5;

	;;#ASMEND
	;;#ASMSTART
	v_pk_mul_f16 v1, v22, v1;

	;;#ASMEND
	;; [unrolled: 4-line block ×4, first 2 shown]
	;;#ASMSTART
	v_pk_add_f16 v1, v5, v1;

	;;#ASMEND
	;;#ASMSTART
	v_pk_add_f16 v1, v1, v6;

	;;#ASMEND
	;; [unrolled: 4-line block ×3, first 2 shown]
	v_lshrrev_b32_e32 v5, 16, v1
	v_and_b32_e32 v1, 0xffff, v1
	;;#ASMSTART
	v_cvt_f32_f16 v1, v1;
	;;#ASMEND
	;;#ASMSTART
	v_cvt_f32_f16 v5, v5;
	;;#ASMEND
	v_add_f32_e32 v1, v1, v5
	v_add_f32_e32 v13, v13, v1
.LBB222_123:                            ;   in Loop: Header=BB222_125 Depth=1
	s_or_b64 exec, exec, s[20:21]
	v_add_f32_e32 v1, v7, v8
	v_add_f32_e32 v14, v14, v1
.LBB222_124:                            ;   in Loop: Header=BB222_125 Depth=1
	s_or_b64 exec, exec, s[18:19]
	v_add_co_u32_e64 v3, s[2:3], 8, v3
	v_add_u32_e32 v10, 2, v10
	v_addc_co_u32_e64 v4, s[2:3], 0, v4, s[2:3]
	v_cmp_le_i32_e64 s[2:3], s50, v10
	v_add_u32_e32 v11, 16, v11
	s_or_b64 s[16:17], s[2:3], s[16:17]
	v_add_u32_e32 v18, 64, v18
	s_andn2_b64 exec, exec, s[16:17]
	s_cbranch_execz .LBB222_227
.LBB222_125:                            ; =>This Inner Loop Header: Depth=1
	v_mul_hi_u32 v1, v11, s48
	v_mul_lo_u32 v5, v1, s33
	v_add_u32_e32 v6, 1, v1
	v_sub_u32_e32 v5, v11, v5
	v_cmp_le_u32_e64 s[2:3], s33, v5
	v_cndmask_b32_e64 v1, v1, v6, s[2:3]
	v_subrev_u32_e32 v6, s33, v5
	v_cndmask_b32_e64 v5, v5, v6, s[2:3]
	v_add_u32_e32 v6, 1, v1
	v_cmp_le_u32_e64 s[2:3], s33, v5
	v_cndmask_b32_e64 v1, v1, v6, s[2:3]
	v_xor_b32_e32 v1, s49, v1
	v_subrev_u32_e32 v1, s49, v1
	v_add_u32_e32 v5, s38, v1
	v_sub_u32_e32 v6, 0, v5
	v_max_i32_e32 v6, v5, v6
	v_mul_hi_u32 v7, v6, v17
	v_ashrrev_i32_e32 v5, 31, v5
	v_cmp_lt_i32_e64 s[4:5], s39, v1
	v_mul_lo_u32 v7, v7, s36
	v_sub_u32_e32 v6, v6, v7
	v_subrev_u32_e32 v7, s36, v6
	v_cmp_le_u32_e64 s[2:3], s36, v6
	v_cndmask_b32_e64 v6, v6, v7, s[2:3]
	v_subrev_u32_e32 v7, s36, v6
	v_cmp_le_u32_e64 s[2:3], s36, v6
	v_cndmask_b32_e64 v6, v6, v7, s[2:3]
	v_xor_b32_e32 v6, v6, v5
	v_sub_u32_e32 v5, v6, v5
	v_cmp_eq_u32_e64 s[2:3], 0, v5
	s_or_b64 s[2:3], s[2:3], s[4:5]
	s_and_saveexec_b64 s[18:19], s[2:3]
	s_cbranch_execz .LBB222_124
; %bb.126:                              ;   in Loop: Header=BB222_125 Depth=1
	global_load_dword v1, v[3:4], off
	ds_read2_b64 v[5:8], v18 offset1:1
	ds_read2_b64 v[25:28], v18 offset0:2 offset1:3
	v_mov_b32_e32 v30, s11
	v_mov_b32_e32 v29, s10
	s_waitcnt lgkmcnt(1)
	;;#ASMSTART
	v_cvt_f16_f32 v20, v5;

	;;#ASMEND
	;;#ASMSTART
	v_cvt_f16_f32 v21, v6;

	;;#ASMEND
	;; [unrolled: 4-line block ×4, first 2 shown]
	s_waitcnt lgkmcnt(0)
	;;#ASMSTART
	v_cvt_f16_f32 v25, v25;

	;;#ASMEND
	;;#ASMSTART
	v_cvt_f16_f32 v26, v26;

	;;#ASMEND
	;; [unrolled: 4-line block ×4, first 2 shown]
	s_waitcnt vmcnt(0)
	v_mad_i64_i32 v[5:6], s[2:3], v1, s37, v[29:30]
	v_mov_b32_e32 v29, 0
	global_load_dword v23, v29, s[14:15]
	v_add_co_u32_e64 v7, s[2:3], v5, v15
	v_addc_co_u32_e64 v8, s[2:3], 0, v6, s[2:3]
	global_load_dwordx2 v[7:8], v[7:8], off
	v_mov_b32_e32 v30, 0
	s_waitcnt vmcnt(0)
	v_cmp_ne_u16_sdwa s[2:3], v7, v2 src0_sel:BYTE_0 src1_sel:DWORD
	s_and_saveexec_b64 s[4:5], s[2:3]
	s_cbranch_execz .LBB222_132
; %bb.127:                              ;   in Loop: Header=BB222_125 Depth=1
	v_cmp_ne_u16_sdwa s[2:3], v7, s41 src0_sel:BYTE_0 src1_sel:DWORD
	v_mov_b32_e32 v30, 0x8000
	s_and_saveexec_b64 s[20:21], s[2:3]
	s_cbranch_execz .LBB222_131
; %bb.128:                              ;   in Loop: Header=BB222_125 Depth=1
	v_and_b32_e32 v1, 0x7f, v7
	v_cmp_ne_u32_e64 s[2:3], s42, v1
	v_mov_b32_e32 v30, 0x7c01
	s_and_saveexec_b64 s[22:23], s[2:3]
	s_cbranch_execz .LBB222_130
; %bb.129:                              ;   in Loop: Header=BB222_125 Depth=1
	v_and_b32_e32 v32, 7, v7
	v_ffbh_u32_e32 v30, v32
	v_min_u32_e32 v34, 32, v30
	v_subrev_u32_e32 v30, 28, v34
	v_lshlrev_b64 v[30:31], v30, v[7:8]
	v_lshrrev_b32_e32 v33, 3, v1
	v_sub_u32_e32 v31, 29, v34
	v_cmp_gt_u32_e64 s[2:3], 8, v1
	v_cndmask_b32_e64 v1, v33, v31, s[2:3]
	v_lshl_add_u32 v1, v1, 10, v19
	v_lshlrev_b32_e32 v31, 8, v7
	v_and_b32_e32 v30, 7, v30
	v_and_b32_e32 v1, 0xfc00, v1
	v_cndmask_b32_e64 v30, v32, v30, s[2:3]
	v_and_or_b32 v1, v31, s43, v1
	v_lshl_or_b32 v30, v30, 7, v1
.LBB222_130:                            ;   in Loop: Header=BB222_125 Depth=1
	s_or_b64 exec, exec, s[22:23]
.LBB222_131:                            ;   in Loop: Header=BB222_125 Depth=1
	s_or_b64 exec, exec, s[20:21]
.LBB222_132:                            ;   in Loop: Header=BB222_125 Depth=1
	s_or_b64 exec, exec, s[4:5]
	v_lshrrev_b16_e32 v1, 8, v7
	v_cmp_ne_u16_e64 s[2:3], 0, v1
	s_and_saveexec_b64 s[4:5], s[2:3]
	s_cbranch_execz .LBB222_138
; %bb.133:                              ;   in Loop: Header=BB222_125 Depth=1
	v_cmp_ne_u16_e64 s[2:3], s41, v1
	v_bfrev_b32_e32 v29, 1
	s_and_saveexec_b64 s[20:21], s[2:3]
	s_cbranch_execz .LBB222_137
; %bb.134:                              ;   in Loop: Header=BB222_125 Depth=1
	v_and_b32_e32 v31, 0x7f, v1
	v_cmp_ne_u32_e64 s[2:3], s42, v31
	v_mov_b32_e32 v29, 0x7c010000
	s_and_saveexec_b64 s[22:23], s[2:3]
	s_cbranch_execz .LBB222_136
; %bb.135:                              ;   in Loop: Header=BB222_125 Depth=1
	v_and_b32_e32 v29, 7, v1
	v_ffbh_u32_e32 v32, v29
	v_min_u32_e32 v35, 32, v32
	v_subrev_u32_e32 v32, 28, v35
	v_lshlrev_b64 v[32:33], v32, v[1:2]
	v_lshrrev_b32_e32 v34, 3, v31
	v_sub_u32_e32 v33, 29, v35
	v_cmp_gt_u32_e64 s[2:3], 8, v31
	v_cndmask_b32_e64 v31, v34, v33, s[2:3]
	v_lshlrev_b32_e32 v1, 8, v1
	v_lshl_add_u32 v31, v31, 10, v19
	v_and_b32_e32 v32, 7, v32
	v_and_or_b32 v1, v1, s43, v31
	v_cndmask_b32_e64 v29, v29, v32, s[2:3]
	v_lshlrev_b32_e32 v1, 16, v1
	v_lshl_or_b32 v29, v29, 23, v1
.LBB222_136:                            ;   in Loop: Header=BB222_125 Depth=1
	s_or_b64 exec, exec, s[22:23]
.LBB222_137:                            ;   in Loop: Header=BB222_125 Depth=1
	s_or_b64 exec, exec, s[20:21]
.LBB222_138:                            ;   in Loop: Header=BB222_125 Depth=1
	s_or_b64 exec, exec, s[4:5]
	v_lshrrev_b32_e32 v1, 16, v7
	v_cmp_ne_u16_sdwa s[2:3], v1, v2 src0_sel:BYTE_0 src1_sel:DWORD
	v_mov_b32_e32 v31, 0
	v_mov_b32_e32 v32, 0
	s_and_saveexec_b64 s[4:5], s[2:3]
	s_cbranch_execz .LBB222_144
; %bb.139:                              ;   in Loop: Header=BB222_125 Depth=1
	v_cmp_ne_u16_sdwa s[2:3], v1, s41 src0_sel:BYTE_0 src1_sel:DWORD
	v_mov_b32_e32 v32, 0x8000
	s_and_saveexec_b64 s[20:21], s[2:3]
	s_cbranch_execz .LBB222_143
; %bb.140:                              ;   in Loop: Header=BB222_125 Depth=1
	v_bfe_u32 v33, v7, 16, 7
	v_cmp_ne_u32_e64 s[2:3], s42, v33
	v_mov_b32_e32 v32, 0x7c01
	s_and_saveexec_b64 s[22:23], s[2:3]
	s_cbranch_execz .LBB222_142
; %bb.141:                              ;   in Loop: Header=BB222_125 Depth=1
	v_and_b32_e32 v32, 7, v1
	v_ffbh_u32_e32 v34, v32
	v_min_u32_e32 v37, 32, v34
	v_subrev_u32_e32 v34, 28, v37
	v_lshlrev_b64 v[34:35], v34, v[1:2]
	v_lshrrev_b32_e32 v36, 3, v33
	v_sub_u32_e32 v35, 29, v37
	v_cmp_gt_u32_e64 s[2:3], 8, v33
	v_cndmask_b32_e64 v33, v36, v35, s[2:3]
	v_lshl_add_u32 v33, v33, 10, v19
	v_lshlrev_b32_e32 v1, 8, v1
	v_and_b32_e32 v34, 7, v34
	v_and_b32_e32 v33, 0xfc00, v33
	v_cndmask_b32_e64 v32, v32, v34, s[2:3]
	v_and_or_b32 v1, v1, s43, v33
	v_lshl_or_b32 v32, v32, 7, v1
.LBB222_142:                            ;   in Loop: Header=BB222_125 Depth=1
	s_or_b64 exec, exec, s[22:23]
.LBB222_143:                            ;   in Loop: Header=BB222_125 Depth=1
	s_or_b64 exec, exec, s[20:21]
.LBB222_144:                            ;   in Loop: Header=BB222_125 Depth=1
	s_or_b64 exec, exec, s[4:5]
	v_cmp_lt_u32_e64 s[2:3], s13, v7
	s_and_saveexec_b64 s[4:5], s[2:3]
	s_cbranch_execz .LBB222_150
; %bb.145:                              ;   in Loop: Header=BB222_125 Depth=1
	v_lshrrev_b32_e32 v1, 24, v7
	v_cmp_ne_u32_e64 s[2:3], s41, v1
	v_bfrev_b32_e32 v31, 1
	s_and_saveexec_b64 s[20:21], s[2:3]
	s_cbranch_execz .LBB222_149
; %bb.146:                              ;   in Loop: Header=BB222_125 Depth=1
	v_and_b32_e32 v33, 0x7f, v1
	v_cmp_ne_u32_e64 s[2:3], s42, v33
	v_mov_b32_e32 v31, 0x7c010000
	s_and_saveexec_b64 s[22:23], s[2:3]
	s_cbranch_execz .LBB222_148
; %bb.147:                              ;   in Loop: Header=BB222_125 Depth=1
	v_and_b32_e32 v31, 7, v1
	v_ffbh_u32_e32 v34, v31
	v_min_u32_e32 v37, 32, v34
	v_subrev_u32_e32 v34, 28, v37
	v_lshlrev_b64 v[34:35], v34, v[1:2]
	v_lshrrev_b32_e32 v36, 3, v33
	v_sub_u32_e32 v35, 29, v37
	v_cmp_gt_u32_e64 s[2:3], 8, v33
	v_cndmask_b32_e64 v33, v36, v35, s[2:3]
	v_lshlrev_b32_e32 v1, 8, v1
	v_lshl_add_u32 v33, v33, 10, v19
	v_and_b32_e32 v34, 7, v34
	v_and_or_b32 v1, v1, s43, v33
	v_cndmask_b32_e64 v31, v31, v34, s[2:3]
	v_lshlrev_b32_e32 v1, 16, v1
	v_lshl_or_b32 v31, v31, 23, v1
.LBB222_148:                            ;   in Loop: Header=BB222_125 Depth=1
	s_or_b64 exec, exec, s[22:23]
.LBB222_149:                            ;   in Loop: Header=BB222_125 Depth=1
	s_or_b64 exec, exec, s[20:21]
.LBB222_150:                            ;   in Loop: Header=BB222_125 Depth=1
	s_or_b64 exec, exec, s[4:5]
	v_mov_b32_e32 v1, v8
	v_cmp_ne_u16_sdwa s[2:3], v8, v2 src0_sel:BYTE_0 src1_sel:DWORD
	v_mov_b32_e32 v33, 0
	v_mov_b32_e32 v34, 0
	s_and_saveexec_b64 s[4:5], s[2:3]
	s_cbranch_execz .LBB222_156
; %bb.151:                              ;   in Loop: Header=BB222_125 Depth=1
	v_cmp_ne_u16_sdwa s[2:3], v8, s41 src0_sel:BYTE_0 src1_sel:DWORD
	v_mov_b32_e32 v34, 0x8000
	s_and_saveexec_b64 s[20:21], s[2:3]
	s_cbranch_execz .LBB222_155
; %bb.152:                              ;   in Loop: Header=BB222_125 Depth=1
	v_and_b32_e32 v35, 0x7f, v8
	v_cmp_ne_u32_e64 s[2:3], s42, v35
	v_mov_b32_e32 v34, 0x7c01
	s_and_saveexec_b64 s[22:23], s[2:3]
	s_cbranch_execz .LBB222_154
; %bb.153:                              ;   in Loop: Header=BB222_125 Depth=1
	v_and_b32_e32 v34, 7, v8
	v_ffbh_u32_e32 v36, v34
	v_min_u32_e32 v39, 32, v36
	v_subrev_u32_e32 v36, 28, v39
	v_lshlrev_b64 v[36:37], v36, v[1:2]
	v_lshrrev_b32_e32 v38, 3, v35
	v_sub_u32_e32 v37, 29, v39
	v_cmp_gt_u32_e64 s[2:3], 8, v35
	v_cndmask_b32_e64 v35, v38, v37, s[2:3]
	v_lshl_add_u32 v35, v35, 10, v19
	v_lshlrev_b32_e32 v37, 8, v8
	v_and_b32_e32 v36, 7, v36
	v_and_b32_e32 v35, 0xfc00, v35
	v_cndmask_b32_e64 v34, v34, v36, s[2:3]
	v_and_or_b32 v35, v37, s43, v35
	v_lshl_or_b32 v34, v34, 7, v35
.LBB222_154:                            ;   in Loop: Header=BB222_125 Depth=1
	s_or_b64 exec, exec, s[22:23]
.LBB222_155:                            ;   in Loop: Header=BB222_125 Depth=1
	s_or_b64 exec, exec, s[20:21]
.LBB222_156:                            ;   in Loop: Header=BB222_125 Depth=1
	s_or_b64 exec, exec, s[4:5]
	v_lshrrev_b16_e32 v1, 8, v1
	v_cmp_ne_u16_e64 s[2:3], 0, v1
	v_mov_b32_e32 v35, 0
	s_and_saveexec_b64 s[4:5], s[2:3]
	s_cbranch_execz .LBB222_162
; %bb.157:                              ;   in Loop: Header=BB222_125 Depth=1
	v_cmp_ne_u16_e64 s[2:3], s41, v1
	v_bfrev_b32_e32 v35, 1
	s_and_saveexec_b64 s[20:21], s[2:3]
	s_cbranch_execz .LBB222_161
; %bb.158:                              ;   in Loop: Header=BB222_125 Depth=1
	v_and_b32_e32 v36, 0x7f, v1
	v_cmp_ne_u32_e64 s[2:3], s42, v36
	v_mov_b32_e32 v35, 0x7c010000
	s_and_saveexec_b64 s[22:23], s[2:3]
	s_cbranch_execz .LBB222_160
; %bb.159:                              ;   in Loop: Header=BB222_125 Depth=1
	v_and_b32_e32 v35, 7, v1
	v_ffbh_u32_e32 v37, v35
	v_min_u32_e32 v40, 32, v37
	v_subrev_u32_e32 v37, 28, v40
	v_lshlrev_b64 v[37:38], v37, v[1:2]
	v_lshrrev_b32_e32 v39, 3, v36
	v_sub_u32_e32 v38, 29, v40
	v_cmp_gt_u32_e64 s[2:3], 8, v36
	v_cndmask_b32_e64 v36, v39, v38, s[2:3]
	v_lshlrev_b32_e32 v1, 8, v1
	v_lshl_add_u32 v36, v36, 10, v19
	v_and_b32_e32 v37, 7, v37
	v_and_or_b32 v1, v1, s43, v36
	v_cndmask_b32_e64 v35, v35, v37, s[2:3]
	v_lshlrev_b32_e32 v1, 16, v1
	v_lshl_or_b32 v35, v35, 23, v1
.LBB222_160:                            ;   in Loop: Header=BB222_125 Depth=1
	s_or_b64 exec, exec, s[22:23]
.LBB222_161:                            ;   in Loop: Header=BB222_125 Depth=1
	s_or_b64 exec, exec, s[20:21]
.LBB222_162:                            ;   in Loop: Header=BB222_125 Depth=1
	s_or_b64 exec, exec, s[4:5]
	v_lshrrev_b32_e32 v1, 16, v8
	v_cmp_ne_u16_sdwa s[2:3], v1, v2 src0_sel:BYTE_0 src1_sel:DWORD
	s_and_saveexec_b64 s[4:5], s[2:3]
	s_cbranch_execz .LBB222_168
; %bb.163:                              ;   in Loop: Header=BB222_125 Depth=1
	v_cmp_ne_u16_sdwa s[2:3], v1, s41 src0_sel:BYTE_0 src1_sel:DWORD
	v_mov_b32_e32 v33, 0x8000
	s_and_saveexec_b64 s[20:21], s[2:3]
	s_cbranch_execz .LBB222_167
; %bb.164:                              ;   in Loop: Header=BB222_125 Depth=1
	v_bfe_u32 v36, v8, 16, 7
	v_cmp_ne_u32_e64 s[2:3], s42, v36
	v_mov_b32_e32 v33, 0x7c01
	s_and_saveexec_b64 s[22:23], s[2:3]
	s_cbranch_execz .LBB222_166
; %bb.165:                              ;   in Loop: Header=BB222_125 Depth=1
	v_and_b32_e32 v33, 7, v1
	v_ffbh_u32_e32 v37, v33
	v_min_u32_e32 v40, 32, v37
	v_subrev_u32_e32 v37, 28, v40
	v_lshlrev_b64 v[37:38], v37, v[1:2]
	v_lshrrev_b32_e32 v39, 3, v36
	v_sub_u32_e32 v38, 29, v40
	v_cmp_gt_u32_e64 s[2:3], 8, v36
	v_cndmask_b32_e64 v36, v39, v38, s[2:3]
	v_lshl_add_u32 v36, v36, 10, v19
	v_lshlrev_b32_e32 v1, 8, v1
	v_and_b32_e32 v37, 7, v37
	v_and_b32_e32 v36, 0xfc00, v36
	v_cndmask_b32_e64 v33, v33, v37, s[2:3]
	v_and_or_b32 v1, v1, s43, v36
	v_lshl_or_b32 v33, v33, 7, v1
.LBB222_166:                            ;   in Loop: Header=BB222_125 Depth=1
	s_or_b64 exec, exec, s[22:23]
.LBB222_167:                            ;   in Loop: Header=BB222_125 Depth=1
	s_or_b64 exec, exec, s[20:21]
.LBB222_168:                            ;   in Loop: Header=BB222_125 Depth=1
	s_or_b64 exec, exec, s[4:5]
	v_cmp_lt_u64_e64 s[2:3], s[12:13], v[7:8]
	v_mov_b32_e32 v36, 0
	s_and_saveexec_b64 s[4:5], s[2:3]
	s_cbranch_execz .LBB222_174
; %bb.169:                              ;   in Loop: Header=BB222_125 Depth=1
	v_lshrrev_b32_e32 v1, 24, v8
	v_cmp_ne_u32_e64 s[2:3], s41, v1
	v_bfrev_b32_e32 v36, 1
	s_and_saveexec_b64 s[20:21], s[2:3]
	s_cbranch_execz .LBB222_173
; %bb.170:                              ;   in Loop: Header=BB222_125 Depth=1
	v_and_b32_e32 v7, 0x7f, v1
	v_cmp_ne_u32_e64 s[2:3], s42, v7
	v_mov_b32_e32 v36, 0x7c010000
	s_and_saveexec_b64 s[22:23], s[2:3]
	s_cbranch_execz .LBB222_172
; %bb.171:                              ;   in Loop: Header=BB222_125 Depth=1
	v_and_b32_e32 v8, 7, v1
	v_ffbh_u32_e32 v36, v8
	v_min_u32_e32 v39, 32, v36
	v_subrev_u32_e32 v36, 28, v39
	v_lshlrev_b64 v[36:37], v36, v[1:2]
	v_lshrrev_b32_e32 v38, 3, v7
	v_sub_u32_e32 v37, 29, v39
	v_cmp_gt_u32_e64 s[2:3], 8, v7
	v_cndmask_b32_e64 v7, v38, v37, s[2:3]
	v_lshlrev_b32_e32 v1, 8, v1
	v_lshl_add_u32 v7, v7, 10, v19
	v_and_b32_e32 v36, 7, v36
	v_and_or_b32 v1, v1, s43, v7
	v_cndmask_b32_e64 v8, v8, v36, s[2:3]
	v_lshlrev_b32_e32 v1, 16, v1
	v_lshl_or_b32 v36, v8, 23, v1
.LBB222_172:                            ;   in Loop: Header=BB222_125 Depth=1
	s_or_b64 exec, exec, s[22:23]
.LBB222_173:                            ;   in Loop: Header=BB222_125 Depth=1
	s_or_b64 exec, exec, s[20:21]
.LBB222_174:                            ;   in Loop: Header=BB222_125 Depth=1
	s_or_b64 exec, exec, s[4:5]
	v_fma_mixlo_f16 v7, v23, v31, 0 op_sel:[0,1,0] op_sel_hi:[0,1,0]
	v_fma_mixlo_f16 v8, v23, v29, 0 op_sel:[0,1,0] op_sel_hi:[0,1,0]
	v_or_b32_e32 v1, v31, v32
	v_lshlrev_b32_e32 v31, 16, v7
	v_or_b32_e32 v7, v29, v30
	v_lshlrev_b32_e32 v37, 16, v8
	v_or_b32_e32 v8, v35, v34
	v_or_b32_e32 v30, v36, v33
	v_fma_mixlo_f16 v1, v23, v1, 0 op_sel_hi:[0,1,0]
	v_fma_mixlo_f16 v7, v23, v7, 0 op_sel_hi:[0,1,0]
	v_fma_mixlo_f16 v29, v23, v35, 0 op_sel:[0,1,0] op_sel_hi:[0,1,0]
	v_fma_mixlo_f16 v8, v23, v8, 0 op_sel_hi:[0,1,0]
	v_fma_mixlo_f16 v30, v23, v30, 0 op_sel_hi:[0,1,0]
	v_fma_mixlo_f16 v23, v23, v36, 0 op_sel:[0,1,0] op_sel_hi:[0,1,0]
	v_and_b32_e32 v32, 0xffff, v1
	v_and_b32_e32 v38, 0xffff, v7
	v_lshlrev_b32_e32 v29, 16, v29
	v_and_b32_e32 v34, 0xffff, v8
	v_lshlrev_b32_e32 v23, 16, v23
	v_and_b32_e32 v30, 0xffff, v30
	v_cmp_eq_u32_e64 s[2:3], s40, v10
	v_or_b32_e32 v1, v31, v32
	v_or_b32_e32 v7, v37, v38
	;; [unrolled: 1-line block ×4, first 2 shown]
	s_and_saveexec_b64 s[20:21], s[2:3]
	s_cbranch_execz .LBB222_176
; %bb.175:                              ;   in Loop: Header=BB222_125 Depth=1
	v_cmp_gt_i32_e64 s[4:5], s25, v11
	v_add_u32_e32 v7, 1, v11
	v_cndmask_b32_e64 v1, 0, v38, s[4:5]
	v_cmp_gt_i32_e64 s[4:5], s25, v7
	v_cndmask_b32_e64 v7, 0, v37, s[4:5]
	v_or_b32_e32 v7, v7, v1
	v_add_u32_e32 v1, 2, v11
	v_cmp_gt_i32_e64 s[4:5], s25, v1
	v_add_u32_e32 v8, 3, v11
	v_cndmask_b32_e64 v1, 0, v32, s[4:5]
	v_cmp_gt_i32_e64 s[4:5], s25, v8
	v_cndmask_b32_e64 v8, 0, v31, s[4:5]
	v_or_b32_e32 v1, v8, v1
	v_add_u32_e32 v8, 4, v11
	;; [unrolled: 7-line block ×3, first 2 shown]
	v_cmp_gt_i32_e64 s[4:5], s25, v29
	v_cndmask_b32_e64 v29, 0, v30, s[4:5]
	v_add_u32_e32 v30, 7, v11
	v_cmp_gt_i32_e64 s[4:5], s25, v30
	v_cndmask_b32_e64 v23, 0, v23, s[4:5]
	v_or_b32_e32 v33, v23, v29
.LBB222_176:                            ;   in Loop: Header=BB222_125 Depth=1
	s_or_b64 exec, exec, s[20:21]
	v_and_b32_e32 v20, 0xffff, v20
	v_lshl_or_b32 v23, v21, 16, v20
	v_and_b32_e32 v20, 0xffff, v22
	v_lshl_or_b32 v22, v24, 16, v20
	v_and_b32_e32 v20, 0xffff, v25
	v_lshl_or_b32 v21, v26, 16, v20
	v_and_b32_e32 v20, 0xffff, v27
	;;#ASMSTART
	v_pk_mul_f16 v7, v23, v7;

	;;#ASMEND
	;;#ASMSTART
	v_pk_mul_f16 v1, v22, v1;

	;;#ASMEND
	v_lshl_or_b32 v20, v28, 16, v20
	;;#ASMSTART
	v_pk_mul_f16 v8, v21, v8;

	;;#ASMEND
	;;#ASMSTART
	v_pk_mul_f16 v24, v20, v33;

	;;#ASMEND
	;;#ASMSTART
	v_pk_add_f16 v1, v7, v1;

	;;#ASMEND
	;;#ASMSTART
	v_pk_add_f16 v1, v1, v8;
	;; [unrolled: 4-line block ×3, first 2 shown]

	;;#ASMEND
	v_lshrrev_b32_e32 v8, 16, v1
	v_and_b32_e32 v1, 0xffff, v1
	;;#ASMSTART
	v_cvt_f32_f16 v7, v1;
	;;#ASMEND
	;;#ASMSTART
	v_cvt_f32_f16 v8, v8;
	;;#ASMEND
	s_and_saveexec_b64 s[20:21], vcc
	s_cbranch_execz .LBB222_123
; %bb.177:                              ;   in Loop: Header=BB222_125 Depth=1
	v_add_co_u32_e64 v5, s[4:5], v5, v16
	v_addc_co_u32_e64 v6, s[4:5], 0, v6, s[4:5]
	global_load_dwordx2 v[5:6], v[5:6], off
	v_mov_b32_e32 v25, 0
	global_load_dword v24, v25, s[14:15]
	v_mov_b32_e32 v26, 0
	s_waitcnt vmcnt(1)
	v_cmp_ne_u16_sdwa s[4:5], v5, v2 src0_sel:BYTE_0 src1_sel:DWORD
	s_and_saveexec_b64 s[22:23], s[4:5]
	s_cbranch_execz .LBB222_183
; %bb.178:                              ;   in Loop: Header=BB222_125 Depth=1
	v_cmp_ne_u16_sdwa s[4:5], v5, s41 src0_sel:BYTE_0 src1_sel:DWORD
	v_mov_b32_e32 v26, 0x8000
	s_and_saveexec_b64 s[30:31], s[4:5]
	s_cbranch_execz .LBB222_182
; %bb.179:                              ;   in Loop: Header=BB222_125 Depth=1
	v_and_b32_e32 v1, 0x7f, v5
	v_cmp_ne_u32_e64 s[4:5], s42, v1
	v_mov_b32_e32 v26, 0x7c01
	s_and_saveexec_b64 s[34:35], s[4:5]
	s_cbranch_execz .LBB222_181
; %bb.180:                              ;   in Loop: Header=BB222_125 Depth=1
	v_and_b32_e32 v28, 7, v5
	v_ffbh_u32_e32 v26, v28
	v_min_u32_e32 v30, 32, v26
	v_subrev_u32_e32 v26, 28, v30
	v_lshlrev_b64 v[26:27], v26, v[5:6]
	v_lshrrev_b32_e32 v29, 3, v1
	v_sub_u32_e32 v27, 29, v30
	v_cmp_gt_u32_e64 s[4:5], 8, v1
	v_cndmask_b32_e64 v1, v29, v27, s[4:5]
	v_lshl_add_u32 v1, v1, 10, v19
	v_lshlrev_b32_e32 v27, 8, v5
	v_and_b32_e32 v26, 7, v26
	v_and_b32_e32 v1, 0xfc00, v1
	v_cndmask_b32_e64 v26, v28, v26, s[4:5]
	v_and_or_b32 v1, v27, s43, v1
	v_lshl_or_b32 v26, v26, 7, v1
.LBB222_181:                            ;   in Loop: Header=BB222_125 Depth=1
	s_or_b64 exec, exec, s[34:35]
.LBB222_182:                            ;   in Loop: Header=BB222_125 Depth=1
	s_or_b64 exec, exec, s[30:31]
.LBB222_183:                            ;   in Loop: Header=BB222_125 Depth=1
	s_or_b64 exec, exec, s[22:23]
	v_lshrrev_b16_e32 v1, 8, v5
	v_cmp_ne_u16_e64 s[4:5], 0, v1
	s_and_saveexec_b64 s[22:23], s[4:5]
	s_cbranch_execz .LBB222_189
; %bb.184:                              ;   in Loop: Header=BB222_125 Depth=1
	v_cmp_ne_u16_e64 s[4:5], s41, v1
	v_bfrev_b32_e32 v25, 1
	s_and_saveexec_b64 s[30:31], s[4:5]
	s_cbranch_execz .LBB222_188
; %bb.185:                              ;   in Loop: Header=BB222_125 Depth=1
	v_and_b32_e32 v27, 0x7f, v1
	v_cmp_ne_u32_e64 s[4:5], s42, v27
	v_mov_b32_e32 v25, 0x7c010000
	s_and_saveexec_b64 s[34:35], s[4:5]
	s_cbranch_execz .LBB222_187
; %bb.186:                              ;   in Loop: Header=BB222_125 Depth=1
	v_and_b32_e32 v25, 7, v1
	v_ffbh_u32_e32 v28, v25
	v_min_u32_e32 v31, 32, v28
	v_subrev_u32_e32 v28, 28, v31
	v_lshlrev_b64 v[28:29], v28, v[1:2]
	v_lshrrev_b32_e32 v30, 3, v27
	v_sub_u32_e32 v29, 29, v31
	v_cmp_gt_u32_e64 s[4:5], 8, v27
	v_cndmask_b32_e64 v27, v30, v29, s[4:5]
	v_lshlrev_b32_e32 v1, 8, v1
	v_lshl_add_u32 v27, v27, 10, v19
	v_and_b32_e32 v28, 7, v28
	v_and_or_b32 v1, v1, s43, v27
	v_cndmask_b32_e64 v25, v25, v28, s[4:5]
	v_lshlrev_b32_e32 v1, 16, v1
	v_lshl_or_b32 v25, v25, 23, v1
.LBB222_187:                            ;   in Loop: Header=BB222_125 Depth=1
	s_or_b64 exec, exec, s[34:35]
.LBB222_188:                            ;   in Loop: Header=BB222_125 Depth=1
	s_or_b64 exec, exec, s[30:31]
.LBB222_189:                            ;   in Loop: Header=BB222_125 Depth=1
	s_or_b64 exec, exec, s[22:23]
	v_lshrrev_b32_e32 v1, 16, v5
	v_cmp_ne_u16_sdwa s[4:5], v1, v2 src0_sel:BYTE_0 src1_sel:DWORD
	v_mov_b32_e32 v27, 0
	v_mov_b32_e32 v28, 0
	s_and_saveexec_b64 s[22:23], s[4:5]
	s_cbranch_execz .LBB222_195
; %bb.190:                              ;   in Loop: Header=BB222_125 Depth=1
	v_cmp_ne_u16_sdwa s[4:5], v1, s41 src0_sel:BYTE_0 src1_sel:DWORD
	v_mov_b32_e32 v28, 0x8000
	s_and_saveexec_b64 s[30:31], s[4:5]
	s_cbranch_execz .LBB222_194
; %bb.191:                              ;   in Loop: Header=BB222_125 Depth=1
	v_bfe_u32 v29, v5, 16, 7
	v_cmp_ne_u32_e64 s[4:5], s42, v29
	v_mov_b32_e32 v28, 0x7c01
	s_and_saveexec_b64 s[34:35], s[4:5]
	s_cbranch_execz .LBB222_193
; %bb.192:                              ;   in Loop: Header=BB222_125 Depth=1
	v_and_b32_e32 v28, 7, v1
	v_ffbh_u32_e32 v30, v28
	v_min_u32_e32 v33, 32, v30
	v_subrev_u32_e32 v30, 28, v33
	v_lshlrev_b64 v[30:31], v30, v[1:2]
	v_lshrrev_b32_e32 v32, 3, v29
	v_sub_u32_e32 v31, 29, v33
	v_cmp_gt_u32_e64 s[4:5], 8, v29
	v_cndmask_b32_e64 v29, v32, v31, s[4:5]
	v_lshl_add_u32 v29, v29, 10, v19
	v_lshlrev_b32_e32 v1, 8, v1
	v_and_b32_e32 v30, 7, v30
	v_and_b32_e32 v29, 0xfc00, v29
	v_cndmask_b32_e64 v28, v28, v30, s[4:5]
	v_and_or_b32 v1, v1, s43, v29
	v_lshl_or_b32 v28, v28, 7, v1
.LBB222_193:                            ;   in Loop: Header=BB222_125 Depth=1
	s_or_b64 exec, exec, s[34:35]
.LBB222_194:                            ;   in Loop: Header=BB222_125 Depth=1
	s_or_b64 exec, exec, s[30:31]
.LBB222_195:                            ;   in Loop: Header=BB222_125 Depth=1
	s_or_b64 exec, exec, s[22:23]
	v_cmp_lt_u32_e64 s[4:5], s13, v5
	s_and_saveexec_b64 s[22:23], s[4:5]
	s_cbranch_execz .LBB222_201
; %bb.196:                              ;   in Loop: Header=BB222_125 Depth=1
	v_lshrrev_b32_e32 v1, 24, v5
	v_cmp_ne_u32_e64 s[4:5], s41, v1
	v_bfrev_b32_e32 v27, 1
	s_and_saveexec_b64 s[30:31], s[4:5]
	s_cbranch_execz .LBB222_200
; %bb.197:                              ;   in Loop: Header=BB222_125 Depth=1
	v_and_b32_e32 v29, 0x7f, v1
	v_cmp_ne_u32_e64 s[4:5], s42, v29
	v_mov_b32_e32 v27, 0x7c010000
	s_and_saveexec_b64 s[34:35], s[4:5]
	s_cbranch_execz .LBB222_199
; %bb.198:                              ;   in Loop: Header=BB222_125 Depth=1
	v_and_b32_e32 v27, 7, v1
	v_ffbh_u32_e32 v30, v27
	v_min_u32_e32 v33, 32, v30
	v_subrev_u32_e32 v30, 28, v33
	v_lshlrev_b64 v[30:31], v30, v[1:2]
	v_lshrrev_b32_e32 v32, 3, v29
	v_sub_u32_e32 v31, 29, v33
	v_cmp_gt_u32_e64 s[4:5], 8, v29
	v_cndmask_b32_e64 v29, v32, v31, s[4:5]
	v_lshlrev_b32_e32 v1, 8, v1
	v_lshl_add_u32 v29, v29, 10, v19
	v_and_b32_e32 v30, 7, v30
	v_and_or_b32 v1, v1, s43, v29
	v_cndmask_b32_e64 v27, v27, v30, s[4:5]
	v_lshlrev_b32_e32 v1, 16, v1
	v_lshl_or_b32 v27, v27, 23, v1
.LBB222_199:                            ;   in Loop: Header=BB222_125 Depth=1
	s_or_b64 exec, exec, s[34:35]
.LBB222_200:                            ;   in Loop: Header=BB222_125 Depth=1
	s_or_b64 exec, exec, s[30:31]
.LBB222_201:                            ;   in Loop: Header=BB222_125 Depth=1
	s_or_b64 exec, exec, s[22:23]
	v_mov_b32_e32 v1, v6
	v_cmp_ne_u16_sdwa s[4:5], v6, v2 src0_sel:BYTE_0 src1_sel:DWORD
	v_mov_b32_e32 v29, 0
	v_mov_b32_e32 v30, 0
	s_and_saveexec_b64 s[22:23], s[4:5]
	s_cbranch_execz .LBB222_207
; %bb.202:                              ;   in Loop: Header=BB222_125 Depth=1
	v_cmp_ne_u16_sdwa s[4:5], v6, s41 src0_sel:BYTE_0 src1_sel:DWORD
	v_mov_b32_e32 v30, 0x8000
	s_and_saveexec_b64 s[30:31], s[4:5]
	s_cbranch_execz .LBB222_206
; %bb.203:                              ;   in Loop: Header=BB222_125 Depth=1
	v_and_b32_e32 v31, 0x7f, v6
	v_cmp_ne_u32_e64 s[4:5], s42, v31
	v_mov_b32_e32 v30, 0x7c01
	s_and_saveexec_b64 s[34:35], s[4:5]
	s_cbranch_execz .LBB222_205
; %bb.204:                              ;   in Loop: Header=BB222_125 Depth=1
	v_and_b32_e32 v30, 7, v6
	v_ffbh_u32_e32 v32, v30
	v_min_u32_e32 v35, 32, v32
	v_subrev_u32_e32 v32, 28, v35
	v_lshlrev_b64 v[32:33], v32, v[1:2]
	v_lshrrev_b32_e32 v34, 3, v31
	v_sub_u32_e32 v33, 29, v35
	v_cmp_gt_u32_e64 s[4:5], 8, v31
	v_cndmask_b32_e64 v31, v34, v33, s[4:5]
	v_lshl_add_u32 v31, v31, 10, v19
	v_lshlrev_b32_e32 v33, 8, v6
	v_and_b32_e32 v32, 7, v32
	v_and_b32_e32 v31, 0xfc00, v31
	v_cndmask_b32_e64 v30, v30, v32, s[4:5]
	v_and_or_b32 v31, v33, s43, v31
	v_lshl_or_b32 v30, v30, 7, v31
.LBB222_205:                            ;   in Loop: Header=BB222_125 Depth=1
	s_or_b64 exec, exec, s[34:35]
.LBB222_206:                            ;   in Loop: Header=BB222_125 Depth=1
	s_or_b64 exec, exec, s[30:31]
.LBB222_207:                            ;   in Loop: Header=BB222_125 Depth=1
	s_or_b64 exec, exec, s[22:23]
	v_lshrrev_b16_e32 v1, 8, v1
	v_cmp_ne_u16_e64 s[4:5], 0, v1
	v_mov_b32_e32 v31, 0
	s_and_saveexec_b64 s[22:23], s[4:5]
	s_cbranch_execz .LBB222_213
; %bb.208:                              ;   in Loop: Header=BB222_125 Depth=1
	v_cmp_ne_u16_e64 s[4:5], s41, v1
	v_bfrev_b32_e32 v31, 1
	s_and_saveexec_b64 s[30:31], s[4:5]
	s_cbranch_execz .LBB222_212
; %bb.209:                              ;   in Loop: Header=BB222_125 Depth=1
	v_and_b32_e32 v32, 0x7f, v1
	v_cmp_ne_u32_e64 s[4:5], s42, v32
	v_mov_b32_e32 v31, 0x7c010000
	s_and_saveexec_b64 s[34:35], s[4:5]
	s_cbranch_execz .LBB222_211
; %bb.210:                              ;   in Loop: Header=BB222_125 Depth=1
	v_and_b32_e32 v31, 7, v1
	v_ffbh_u32_e32 v33, v31
	v_min_u32_e32 v36, 32, v33
	v_subrev_u32_e32 v33, 28, v36
	v_lshlrev_b64 v[33:34], v33, v[1:2]
	v_lshrrev_b32_e32 v35, 3, v32
	v_sub_u32_e32 v34, 29, v36
	v_cmp_gt_u32_e64 s[4:5], 8, v32
	v_cndmask_b32_e64 v32, v35, v34, s[4:5]
	v_lshlrev_b32_e32 v1, 8, v1
	v_lshl_add_u32 v32, v32, 10, v19
	v_and_b32_e32 v33, 7, v33
	v_and_or_b32 v1, v1, s43, v32
	v_cndmask_b32_e64 v31, v31, v33, s[4:5]
	v_lshlrev_b32_e32 v1, 16, v1
	v_lshl_or_b32 v31, v31, 23, v1
.LBB222_211:                            ;   in Loop: Header=BB222_125 Depth=1
	s_or_b64 exec, exec, s[34:35]
.LBB222_212:                            ;   in Loop: Header=BB222_125 Depth=1
	s_or_b64 exec, exec, s[30:31]
.LBB222_213:                            ;   in Loop: Header=BB222_125 Depth=1
	s_or_b64 exec, exec, s[22:23]
	v_lshrrev_b32_e32 v1, 16, v6
	v_cmp_ne_u16_sdwa s[4:5], v1, v2 src0_sel:BYTE_0 src1_sel:DWORD
	s_and_saveexec_b64 s[22:23], s[4:5]
	s_cbranch_execz .LBB222_219
; %bb.214:                              ;   in Loop: Header=BB222_125 Depth=1
	v_cmp_ne_u16_sdwa s[4:5], v1, s41 src0_sel:BYTE_0 src1_sel:DWORD
	v_mov_b32_e32 v29, 0x8000
	s_and_saveexec_b64 s[30:31], s[4:5]
	s_cbranch_execz .LBB222_218
; %bb.215:                              ;   in Loop: Header=BB222_125 Depth=1
	v_bfe_u32 v32, v6, 16, 7
	v_cmp_ne_u32_e64 s[4:5], s42, v32
	v_mov_b32_e32 v29, 0x7c01
	s_and_saveexec_b64 s[34:35], s[4:5]
	s_cbranch_execz .LBB222_217
; %bb.216:                              ;   in Loop: Header=BB222_125 Depth=1
	v_and_b32_e32 v29, 7, v1
	v_ffbh_u32_e32 v33, v29
	v_min_u32_e32 v36, 32, v33
	v_subrev_u32_e32 v33, 28, v36
	v_lshlrev_b64 v[33:34], v33, v[1:2]
	v_lshrrev_b32_e32 v35, 3, v32
	v_sub_u32_e32 v34, 29, v36
	v_cmp_gt_u32_e64 s[4:5], 8, v32
	v_cndmask_b32_e64 v32, v35, v34, s[4:5]
	v_lshl_add_u32 v32, v32, 10, v19
	v_lshlrev_b32_e32 v1, 8, v1
	v_and_b32_e32 v33, 7, v33
	v_and_b32_e32 v32, 0xfc00, v32
	v_cndmask_b32_e64 v29, v29, v33, s[4:5]
	v_and_or_b32 v1, v1, s43, v32
	v_lshl_or_b32 v29, v29, 7, v1
.LBB222_217:                            ;   in Loop: Header=BB222_125 Depth=1
	s_or_b64 exec, exec, s[34:35]
.LBB222_218:                            ;   in Loop: Header=BB222_125 Depth=1
	s_or_b64 exec, exec, s[30:31]
.LBB222_219:                            ;   in Loop: Header=BB222_125 Depth=1
	s_or_b64 exec, exec, s[22:23]
	v_cmp_lt_u64_e64 s[4:5], s[12:13], v[5:6]
	v_mov_b32_e32 v32, 0
	s_and_saveexec_b64 s[22:23], s[4:5]
	s_cbranch_execz .LBB222_225
; %bb.220:                              ;   in Loop: Header=BB222_125 Depth=1
	v_lshrrev_b32_e32 v1, 24, v6
	v_cmp_ne_u32_e64 s[4:5], s41, v1
	v_bfrev_b32_e32 v32, 1
	s_and_saveexec_b64 s[30:31], s[4:5]
	s_cbranch_execz .LBB222_224
; %bb.221:                              ;   in Loop: Header=BB222_125 Depth=1
	v_and_b32_e32 v5, 0x7f, v1
	v_cmp_ne_u32_e64 s[4:5], s42, v5
	v_mov_b32_e32 v32, 0x7c010000
	s_and_saveexec_b64 s[34:35], s[4:5]
	s_cbranch_execz .LBB222_223
; %bb.222:                              ;   in Loop: Header=BB222_125 Depth=1
	v_and_b32_e32 v6, 7, v1
	v_ffbh_u32_e32 v32, v6
	v_min_u32_e32 v35, 32, v32
	v_subrev_u32_e32 v32, 28, v35
	v_lshlrev_b64 v[32:33], v32, v[1:2]
	v_lshrrev_b32_e32 v34, 3, v5
	v_sub_u32_e32 v33, 29, v35
	v_cmp_gt_u32_e64 s[4:5], 8, v5
	v_cndmask_b32_e64 v5, v34, v33, s[4:5]
	v_lshlrev_b32_e32 v1, 8, v1
	v_lshl_add_u32 v5, v5, 10, v19
	v_and_b32_e32 v32, 7, v32
	v_and_or_b32 v1, v1, s43, v5
	v_cndmask_b32_e64 v6, v6, v32, s[4:5]
	v_lshlrev_b32_e32 v1, 16, v1
	v_lshl_or_b32 v32, v6, 23, v1
.LBB222_223:                            ;   in Loop: Header=BB222_125 Depth=1
	s_or_b64 exec, exec, s[34:35]
.LBB222_224:                            ;   in Loop: Header=BB222_125 Depth=1
	s_or_b64 exec, exec, s[30:31]
.LBB222_225:                            ;   in Loop: Header=BB222_125 Depth=1
	s_or_b64 exec, exec, s[22:23]
	s_waitcnt vmcnt(0)
	v_fma_mixlo_f16 v5, v24, v27, 0 op_sel:[0,1,0] op_sel_hi:[0,1,0]
	v_lshlrev_b32_e32 v6, 16, v5
	v_or_b32_e32 v5, v25, v26
	v_fma_mixlo_f16 v25, v24, v25, 0 op_sel:[0,1,0] op_sel_hi:[0,1,0]
	v_or_b32_e32 v1, v27, v28
	v_lshlrev_b32_e32 v33, 16, v25
	v_or_b32_e32 v25, v31, v30
	v_or_b32_e32 v28, v32, v29
	v_fma_mixlo_f16 v1, v24, v1, 0 op_sel_hi:[0,1,0]
	v_fma_mixlo_f16 v5, v24, v5, 0 op_sel_hi:[0,1,0]
	v_fma_mixlo_f16 v26, v24, v31, 0 op_sel:[0,1,0] op_sel_hi:[0,1,0]
	v_fma_mixlo_f16 v25, v24, v25, 0 op_sel_hi:[0,1,0]
	v_fma_mixlo_f16 v28, v24, v28, 0 op_sel_hi:[0,1,0]
	v_fma_mixlo_f16 v24, v24, v32, 0 op_sel:[0,1,0] op_sel_hi:[0,1,0]
	v_and_b32_e32 v27, 0xffff, v1
	v_and_b32_e32 v34, 0xffff, v5
	v_lshlrev_b32_e32 v26, 16, v26
	v_and_b32_e32 v30, 0xffff, v25
	v_lshlrev_b32_e32 v24, 16, v24
	v_and_b32_e32 v28, 0xffff, v28
	v_or_b32_e32 v1, v6, v27
	v_or_b32_e32 v5, v33, v34
	;; [unrolled: 1-line block ×4, first 2 shown]
	s_and_saveexec_b64 s[4:5], s[2:3]
	s_cbranch_execz .LBB222_122
; %bb.226:                              ;   in Loop: Header=BB222_125 Depth=1
	v_cmp_gt_i32_e64 s[2:3], s25, v11
	v_add_u32_e32 v5, 1, v11
	v_cndmask_b32_e64 v1, 0, v34, s[2:3]
	v_cmp_gt_i32_e64 s[2:3], s25, v5
	v_cndmask_b32_e64 v5, 0, v33, s[2:3]
	v_or_b32_e32 v5, v5, v1
	v_add_u32_e32 v1, 2, v11
	v_cmp_gt_i32_e64 s[2:3], s25, v1
	v_add_u32_e32 v25, 3, v11
	v_cndmask_b32_e64 v1, 0, v27, s[2:3]
	v_cmp_gt_i32_e64 s[2:3], s25, v25
	v_cndmask_b32_e64 v6, 0, v6, s[2:3]
	v_or_b32_e32 v1, v6, v1
	v_add_u32_e32 v6, 4, v11
	;; [unrolled: 7-line block ×3, first 2 shown]
	v_cmp_gt_i32_e64 s[2:3], s25, v6
	v_add_u32_e32 v26, 7, v11
	v_cndmask_b32_e64 v6, 0, v28, s[2:3]
	v_cmp_gt_i32_e64 s[2:3], s25, v26
	v_cndmask_b32_e64 v24, 0, v24, s[2:3]
	v_or_b32_e32 v29, v24, v6
	s_branch .LBB222_122
.LBB222_227:
	s_or_b64 exec, exec, s[16:17]
.LBB222_228:
	s_or_b64 exec, exec, s[6:7]
	v_and_b32_e32 v1, 0x3c0, v0
	v_cmp_eq_u32_e32 vcc, 64, v1
	s_barrier
	s_and_saveexec_b64 s[2:3], vcc
	s_cbranch_execz .LBB222_231
; %bb.229:
	v_mov_b32_e32 v1, 0xf0
	v_lshl_add_u32 v2, v12, 2, v1
	ds_write_b32 v2, v14
	s_and_b64 exec, exec, s[0:1]
; %bb.230:
	v_lshl_add_u32 v1, v0, 2, v1
	ds_write_b32 v1, v13
.LBB222_231:
	s_or_b64 exec, exec, s[2:3]
	v_cmp_gt_u32_e32 vcc, 64, v0
	v_or_b32_e32 v1, 64, v0
	s_waitcnt lgkmcnt(0)
	s_barrier
	s_and_saveexec_b64 s[2:3], vcc
	s_cbranch_execz .LBB222_235
; %bb.232:
	v_mov_b32_e32 v2, 0xf0
	v_lshl_add_u32 v2, v0, 2, v2
	ds_read_b32 v0, v2
	s_movk_i32 s0, 0x70
	v_cmp_gt_u32_e64 s[0:1], s0, v1
	s_and_saveexec_b64 s[4:5], s[0:1]
	s_cbranch_execz .LBB222_234
; %bb.233:
	ds_read_b32 v2, v2 offset:256
	s_waitcnt lgkmcnt(0)
	v_add_f32_e32 v13, v13, v2
.LBB222_234:
	s_or_b64 exec, exec, s[4:5]
	s_waitcnt lgkmcnt(0)
	v_add_f32_e32 v14, v14, v0
.LBB222_235:
	s_or_b64 exec, exec, s[2:3]
	s_barrier
	s_and_saveexec_b64 s[0:1], vcc
	s_cbranch_execz .LBB222_238
; %bb.236:
	s_mul_i32 s0, s24, s27
	s_mul_i32 s0, s0, s9
	s_mulk_i32 s0, 0x70
	s_ashr_i32 s1, s0, 31
	s_lshl_b64 s[0:1], s[0:1], 1
	s_add_u32 s3, s28, s0
	s_mul_i32 s0, s27, s26
	s_addc_u32 s4, s29, s1
	s_ashr_i32 s1, s0, 31
	s_lshl_b64 s[0:1], s[0:1], 1
	s_add_u32 s3, s3, s0
	s_mul_i32 s0, s8, 0x70
	s_addc_u32 s4, s4, s1
	s_ashr_i32 s1, s0, 31
	s_lshl_b64 s[0:1], s[0:1], 1
	s_movk_i32 s2, 0x70
	s_add_u32 s0, s3, s0
	s_addc_u32 s1, s4, s1
	v_cmp_gt_u32_e32 vcc, s2, v1
	;;#ASMSTART
	v_cvt_f16_f32 v0, v14;

	;;#ASMEND
	global_store_short v9, v0, s[0:1]
	s_and_b64 exec, exec, vcc
	s_cbranch_execz .LBB222_238
; %bb.237:
	v_mov_b32_e32 v1, s1
	v_add_co_u32_e32 v0, vcc, s0, v9
	v_addc_co_u32_e32 v1, vcc, 0, v1, vcc
	;;#ASMSTART
	v_cvt_f16_f32 v2, v13;

	;;#ASMEND
	global_store_short v[0:1], v2, off offset:128
.LBB222_238:
	s_endpgm
	.section	.rodata,"a",@progbits
	.p2align	6, 0x0
	.amdhsa_kernel _ZN4vllm25paged_attention_v1_kernelIthLi112ELi8ELi128ELNS_18Fp8KVCacheDataTypeE1ELb1EEEvPT_PKS2_PKT0_S8_ifPKiSA_iPKfiiiSC_SC_iiiii
		.amdhsa_group_segment_fixed_size 240
		.amdhsa_private_segment_fixed_size 0
		.amdhsa_kernarg_size 384
		.amdhsa_user_sgpr_count 6
		.amdhsa_user_sgpr_private_segment_buffer 1
		.amdhsa_user_sgpr_dispatch_ptr 0
		.amdhsa_user_sgpr_queue_ptr 0
		.amdhsa_user_sgpr_kernarg_segment_ptr 1
		.amdhsa_user_sgpr_dispatch_id 0
		.amdhsa_user_sgpr_flat_scratch_init 0
		.amdhsa_user_sgpr_private_segment_size 0
		.amdhsa_uses_dynamic_stack 0
		.amdhsa_system_sgpr_private_segment_wavefront_offset 0
		.amdhsa_system_sgpr_workgroup_id_x 1
		.amdhsa_system_sgpr_workgroup_id_y 1
		.amdhsa_system_sgpr_workgroup_id_z 1
		.amdhsa_system_sgpr_workgroup_info 0
		.amdhsa_system_vgpr_workitem_id 0
		.amdhsa_next_free_vgpr 47
		.amdhsa_next_free_sgpr 56
		.amdhsa_reserve_vcc 1
		.amdhsa_reserve_flat_scratch 0
		.amdhsa_float_round_mode_32 0
		.amdhsa_float_round_mode_16_64 0
		.amdhsa_float_denorm_mode_32 3
		.amdhsa_float_denorm_mode_16_64 3
		.amdhsa_dx10_clamp 1
		.amdhsa_ieee_mode 1
		.amdhsa_fp16_overflow 0
		.amdhsa_exception_fp_ieee_invalid_op 0
		.amdhsa_exception_fp_denorm_src 0
		.amdhsa_exception_fp_ieee_div_zero 0
		.amdhsa_exception_fp_ieee_overflow 0
		.amdhsa_exception_fp_ieee_underflow 0
		.amdhsa_exception_fp_ieee_inexact 0
		.amdhsa_exception_int_div_zero 0
	.end_amdhsa_kernel
	.section	.text._ZN4vllm25paged_attention_v1_kernelIthLi112ELi8ELi128ELNS_18Fp8KVCacheDataTypeE1ELb1EEEvPT_PKS2_PKT0_S8_ifPKiSA_iPKfiiiSC_SC_iiiii,"axG",@progbits,_ZN4vllm25paged_attention_v1_kernelIthLi112ELi8ELi128ELNS_18Fp8KVCacheDataTypeE1ELb1EEEvPT_PKS2_PKT0_S8_ifPKiSA_iPKfiiiSC_SC_iiiii,comdat
.Lfunc_end222:
	.size	_ZN4vllm25paged_attention_v1_kernelIthLi112ELi8ELi128ELNS_18Fp8KVCacheDataTypeE1ELb1EEEvPT_PKS2_PKT0_S8_ifPKiSA_iPKfiiiSC_SC_iiiii, .Lfunc_end222-_ZN4vllm25paged_attention_v1_kernelIthLi112ELi8ELi128ELNS_18Fp8KVCacheDataTypeE1ELb1EEEvPT_PKS2_PKT0_S8_ifPKiSA_iPKfiiiSC_SC_iiiii
                                        ; -- End function
	.set _ZN4vllm25paged_attention_v1_kernelIthLi112ELi8ELi128ELNS_18Fp8KVCacheDataTypeE1ELb1EEEvPT_PKS2_PKT0_S8_ifPKiSA_iPKfiiiSC_SC_iiiii.num_vgpr, 47
	.set _ZN4vllm25paged_attention_v1_kernelIthLi112ELi8ELi128ELNS_18Fp8KVCacheDataTypeE1ELb1EEEvPT_PKS2_PKT0_S8_ifPKiSA_iPKfiiiSC_SC_iiiii.num_agpr, 0
	.set _ZN4vllm25paged_attention_v1_kernelIthLi112ELi8ELi128ELNS_18Fp8KVCacheDataTypeE1ELb1EEEvPT_PKS2_PKT0_S8_ifPKiSA_iPKfiiiSC_SC_iiiii.numbered_sgpr, 56
	.set _ZN4vllm25paged_attention_v1_kernelIthLi112ELi8ELi128ELNS_18Fp8KVCacheDataTypeE1ELb1EEEvPT_PKS2_PKT0_S8_ifPKiSA_iPKfiiiSC_SC_iiiii.num_named_barrier, 0
	.set _ZN4vllm25paged_attention_v1_kernelIthLi112ELi8ELi128ELNS_18Fp8KVCacheDataTypeE1ELb1EEEvPT_PKS2_PKT0_S8_ifPKiSA_iPKfiiiSC_SC_iiiii.private_seg_size, 0
	.set _ZN4vllm25paged_attention_v1_kernelIthLi112ELi8ELi128ELNS_18Fp8KVCacheDataTypeE1ELb1EEEvPT_PKS2_PKT0_S8_ifPKiSA_iPKfiiiSC_SC_iiiii.uses_vcc, 1
	.set _ZN4vllm25paged_attention_v1_kernelIthLi112ELi8ELi128ELNS_18Fp8KVCacheDataTypeE1ELb1EEEvPT_PKS2_PKT0_S8_ifPKiSA_iPKfiiiSC_SC_iiiii.uses_flat_scratch, 0
	.set _ZN4vllm25paged_attention_v1_kernelIthLi112ELi8ELi128ELNS_18Fp8KVCacheDataTypeE1ELb1EEEvPT_PKS2_PKT0_S8_ifPKiSA_iPKfiiiSC_SC_iiiii.has_dyn_sized_stack, 0
	.set _ZN4vllm25paged_attention_v1_kernelIthLi112ELi8ELi128ELNS_18Fp8KVCacheDataTypeE1ELb1EEEvPT_PKS2_PKT0_S8_ifPKiSA_iPKfiiiSC_SC_iiiii.has_recursion, 0
	.set _ZN4vllm25paged_attention_v1_kernelIthLi112ELi8ELi128ELNS_18Fp8KVCacheDataTypeE1ELb1EEEvPT_PKS2_PKT0_S8_ifPKiSA_iPKfiiiSC_SC_iiiii.has_indirect_call, 0
	.section	.AMDGPU.csdata,"",@progbits
; Kernel info:
; codeLenInByte = 10660
; TotalNumSgprs: 60
; NumVgprs: 47
; ScratchSize: 0
; MemoryBound: 0
; FloatMode: 240
; IeeeMode: 1
; LDSByteSize: 240 bytes/workgroup (compile time only)
; SGPRBlocks: 7
; VGPRBlocks: 11
; NumSGPRsForWavesPerEU: 60
; NumVGPRsForWavesPerEU: 47
; Occupancy: 5
; WaveLimiterHint : 1
; COMPUTE_PGM_RSRC2:SCRATCH_EN: 0
; COMPUTE_PGM_RSRC2:USER_SGPR: 6
; COMPUTE_PGM_RSRC2:TRAP_HANDLER: 0
; COMPUTE_PGM_RSRC2:TGID_X_EN: 1
; COMPUTE_PGM_RSRC2:TGID_Y_EN: 1
; COMPUTE_PGM_RSRC2:TGID_Z_EN: 1
; COMPUTE_PGM_RSRC2:TIDIG_COMP_CNT: 0
	.section	.text._ZN4vllm25paged_attention_v1_kernelIthLi120ELi8ELi128ELNS_18Fp8KVCacheDataTypeE1ELb1EEEvPT_PKS2_PKT0_S8_ifPKiSA_iPKfiiiSC_SC_iiiii,"axG",@progbits,_ZN4vllm25paged_attention_v1_kernelIthLi120ELi8ELi128ELNS_18Fp8KVCacheDataTypeE1ELb1EEEvPT_PKS2_PKT0_S8_ifPKiSA_iPKfiiiSC_SC_iiiii,comdat
	.protected	_ZN4vllm25paged_attention_v1_kernelIthLi120ELi8ELi128ELNS_18Fp8KVCacheDataTypeE1ELb1EEEvPT_PKS2_PKT0_S8_ifPKiSA_iPKfiiiSC_SC_iiiii ; -- Begin function _ZN4vllm25paged_attention_v1_kernelIthLi120ELi8ELi128ELNS_18Fp8KVCacheDataTypeE1ELb1EEEvPT_PKS2_PKT0_S8_ifPKiSA_iPKfiiiSC_SC_iiiii
	.globl	_ZN4vllm25paged_attention_v1_kernelIthLi120ELi8ELi128ELNS_18Fp8KVCacheDataTypeE1ELb1EEEvPT_PKS2_PKT0_S8_ifPKiSA_iPKfiiiSC_SC_iiiii
	.p2align	8
	.type	_ZN4vllm25paged_attention_v1_kernelIthLi120ELi8ELi128ELNS_18Fp8KVCacheDataTypeE1ELb1EEEvPT_PKS2_PKT0_S8_ifPKiSA_iPKfiiiSC_SC_iiiii,@function
_ZN4vllm25paged_attention_v1_kernelIthLi120ELi8ELi128ELNS_18Fp8KVCacheDataTypeE1ELb1EEEvPT_PKS2_PKT0_S8_ifPKiSA_iPKfiiiSC_SC_iiiii: ; @_ZN4vllm25paged_attention_v1_kernelIthLi120ELi8ELi128ELNS_18Fp8KVCacheDataTypeE1ELb1EEEvPT_PKS2_PKT0_S8_ifPKiSA_iPKfiiiSC_SC_iiiii
; %bb.0:
	s_load_dword s9, s[4:5], 0x80
	s_load_dwordx2 s[0:1], s[4:5], 0x30
	s_load_dwordx2 s[38:39], s[4:5], 0x20
	s_mov_b32 s24, s7
	s_ashr_i32 s25, s7, 31
	s_lshl_b64 s[2:3], s[24:25], 2
	s_waitcnt lgkmcnt(0)
	s_add_u32 s0, s0, s2
	s_addc_u32 s1, s1, s3
	s_abs_i32 s2, s38
	v_cvt_f32_u32_e32 v1, s2
	s_sub_i32 s10, 0, s2
	s_abs_i32 s7, s9
	s_xor_b32 s3, s9, s38
	v_rcp_iflag_f32_e32 v1, v1
	s_ashr_i32 s3, s3, 31
	s_mov_b32 s51, 0
	v_mul_f32_e32 v1, 0x4f7ffffe, v1
	v_cvt_u32_f32_e32 v1, v1
	v_readfirstlane_b32 s11, v1
	s_mul_i32 s10, s10, s11
	s_mul_hi_u32 s10, s11, s10
	s_add_i32 s11, s11, s10
	s_mul_hi_u32 s10, s7, s11
	s_mul_i32 s11, s10, s2
	s_sub_i32 s7, s7, s11
	s_add_i32 s11, s10, 1
	s_sub_i32 s12, s7, s2
	s_cmp_ge_u32 s7, s2
	s_cselect_b32 s10, s11, s10
	s_cselect_b32 s7, s12, s7
	s_add_i32 s11, s10, 1
	s_cmp_ge_u32 s7, s2
	s_cselect_b32 s2, s11, s10
	s_xor_b32 s2, s2, s3
	s_sub_i32 s11, s2, s3
	s_abs_i32 s10, s11
	v_cvt_f32_u32_e32 v1, s10
	s_load_dwordx2 s[2:3], s[4:5], 0x40
	s_sub_i32 s7, 0, s10
	s_abs_i32 s12, s6
	v_rcp_iflag_f32_e32 v1, v1
	v_mul_f32_e32 v1, 0x4f7ffffe, v1
	v_cvt_u32_f32_e32 v1, v1
	v_readfirstlane_b32 s13, v1
	s_mul_i32 s7, s7, s13
	s_mul_hi_u32 s7, s13, s7
	s_add_i32 s13, s13, s7
	s_waitcnt lgkmcnt(0)
	s_cmp_eq_u64 s[2:3], 0
	s_mul_hi_u32 s13, s12, s13
	s_cbranch_scc1 .LBB223_2
; %bb.1:
	s_ashr_i32 s7, s6, 31
	s_lshl_b64 s[14:15], s[6:7], 2
	s_add_u32 s2, s2, s14
	s_addc_u32 s3, s3, s15
	s_load_dword s51, s[2:3], 0x0
.LBB223_2:
	s_load_dword s25, s[0:1], 0x0
	s_load_dwordx4 s[16:19], s[4:5], 0x48
	s_movk_i32 s0, 0x78
	s_ashr_i32 s7, s6, 31
	s_ashr_i32 s14, s11, 31
	v_and_b32_e32 v1, 7, v0
	s_mul_i32 s26, s6, 0x78
	v_cmp_gt_u32_e64 s[0:1], s0, v0
	v_lshlrev_b32_e32 v9, 1, v0
	s_and_saveexec_b64 s[2:3], s[0:1]
	s_cbranch_execz .LBB223_4
; %bb.3:
	s_load_dwordx2 s[20:21], s[4:5], 0x8
	s_waitcnt lgkmcnt(0)
	s_mul_i32 s22, s16, s24
	s_ashr_i32 s23, s22, 31
	s_lshl_b64 s[22:23], s[22:23], 1
	v_lshrrev_b32_e32 v3, 2, v0
	s_add_u32 s11, s20, s22
	s_addc_u32 s15, s21, s23
	s_ashr_i32 s27, s26, 31
	s_lshl_b64 s[20:21], s[26:27], 1
	s_add_u32 s20, s11, s20
	s_addc_u32 s21, s15, s21
	global_load_ushort v2, v9, s[20:21]
	v_and_b32_e32 v3, 0xfe, v3
	v_mad_u32_u24 v3, v1, 30, v3
	s_waitcnt vmcnt(0)
	ds_write_b16 v3, v2
.LBB223_4:
	s_or_b64 exec, exec, s[2:3]
	s_mul_i32 s3, s13, s10
	s_sub_i32 s3, s12, s3
	s_xor_b32 s2, s7, s14
	s_add_i32 s7, s13, 1
	s_sub_i32 s12, s3, s10
	s_load_dwordx4 s[20:23], s[4:5], 0x68
	s_load_dword s11, s[4:5], 0x78
	s_cmp_ge_u32 s3, s10
	s_cselect_b32 s7, s7, s13
	s_cselect_b32 s3, s12, s3
	s_add_i32 s12, s7, 1
	s_cmp_ge_u32 s3, s10
	s_cselect_b32 s3, s12, s7
	s_waitcnt lgkmcnt(0)
	s_abs_i32 s33, s23
	v_cvt_f32_u32_e32 v2, s33
	s_xor_b32 s3, s3, s2
	s_sub_i32 s7, s3, s2
	s_sub_i32 s2, 0, s33
	v_rcp_iflag_f32_e32 v2, v2
	s_add_i32 s12, s25, -1
	s_abs_i32 s10, s12
	v_mul_f32_e32 v2, 0x4f7ffffe, v2
	v_cvt_u32_f32_e32 v2, v2
	s_barrier
	v_readfirstlane_b32 s48, v2
	s_mul_i32 s2, s2, s48
	s_mul_hi_u32 s2, s48, s2
	s_add_i32 s48, s48, s2
	s_cmp_lt_i32 s11, 0
	s_mul_hi_u32 s16, s10, s48
	s_cbranch_scc0 .LBB223_6
; %bb.5:
	s_mul_i32 s2, s20, s38
	s_add_i32 s2, s7, s2
	s_mul_i32 s2, s2, s11
	s_sub_i32 s38, 1, s2
	s_mov_b64 s[2:3], 0
	s_branch .LBB223_7
.LBB223_6:
	s_mov_b64 s[2:3], -1
                                        ; implicit-def: $sgpr38
.LBB223_7:
	s_load_dwordx2 s[30:31], s[4:5], 0x28
	s_ashr_i32 s19, s12, 31
	s_andn2_b64 vcc, exec, s[2:3]
	s_ashr_i32 s49, s23, 31
	s_cbranch_vccnz .LBB223_9
; %bb.8:
	s_mul_i32 s2, s9, s20
	s_add_i32 s2, s2, s6
	s_mul_i32 s2, s2, s11
	s_add_i32 s38, s2, 1
.LBB223_9:
	s_load_dword s2, s[4:5], 0x38
	s_load_dwordx2 s[28:29], s[4:5], 0x0
	s_load_dwordx2 s[36:37], s[4:5], 0x18
	s_load_dword s27, s[4:5], 0x88
	s_load_dwordx4 s[12:15], s[4:5], 0x58
	s_mul_i32 s3, s16, s33
	s_waitcnt lgkmcnt(0)
	s_mul_i32 s34, s2, s24
	s_sub_i32 s3, s10, s3
	s_ashr_i32 s35, s34, 31
	s_xor_b32 s2, s19, s49
	s_add_i32 s6, s16, 1
	s_sub_i32 s10, s3, s33
	s_cmp_ge_u32 s3, s33
	s_cselect_b32 s6, s6, s16
	s_cselect_b32 s3, s10, s3
	s_add_i32 s10, s6, 1
	s_cmp_ge_u32 s3, s33
	s_cselect_b32 s3, s10, s6
	s_xor_b32 s3, s3, s2
	s_sub_i32 s16, s3, s2
	s_add_i32 s2, s25, 7
	s_ashr_i32 s3, s2, 31
	s_lshr_b32 s3, s3, 29
	s_add_i32 s2, s2, s3
	s_ashr_i32 s50, s2, 3
	v_lshrrev_b32_e32 v10, 6, v0
	v_cmp_gt_i32_e64 s[2:3], s50, v10
	v_mov_b32_e32 v16, 0xff7fffff
	s_mul_i32 s20, s7, s18
	v_lshrrev_b32_e32 v8, 4, v0
	v_lshlrev_b32_e32 v11, 3, v10
	v_mbcnt_lo_u32_b32 v12, -1, 0
	s_and_saveexec_b64 s[18:19], s[2:3]
	s_cbranch_execz .LBB223_111
; %bb.10:
	s_load_dwordx2 s[4:5], s[4:5], 0x10
	s_sub_i32 s23, s16, s21
	s_ashr_i32 s6, s20, 31
	v_bfe_u32 v13, v0, 3, 3
	v_lshlrev_b32_e32 v4, 4, v13
	s_waitcnt lgkmcnt(0)
	s_add_u32 s7, s4, s20
	s_addc_u32 s6, s5, s6
	s_abs_i32 s52, s22
	v_cvt_f32_u32_e32 v2, s52
	s_sub_i32 s4, 0, s52
	v_mov_b32_e32 v5, s6
	v_add_co_u32_e64 v4, s[6:7], s7, v4
	v_rcp_iflag_f32_e32 v2, v2
	v_addc_co_u32_e64 v5, s[6:7], 0, v5, s[6:7]
	v_cmp_eq_u32_e32 vcc, 0, v1
	v_mul_f32_e32 v2, 0x4f7ffffe, v2
	v_cvt_u32_f32_e32 v2, v2
	v_mul_u32_u24_e32 v15, 30, v1
	v_add_co_u32_e64 v1, s[6:7], v4, v1
	v_mul_lo_u32 v3, s4, v2
	s_mov_b32 s53, s17
	v_mov_b32_e32 v14, 0
	v_cmp_neq_f32_e64 s[4:5], s51, 0
	v_mul_hi_u32 v3, v2, v3
	v_lshlrev_b32_e32 v18, 3, v10
	v_mov_b32_e32 v21, 0xff7fffff
	s_mov_b64 s[40:41], 0
	v_add_u32_e32 v17, v2, v3
	v_addc_co_u32_e64 v2, s[6:7], 0, v5, s[6:7]
	s_lshl_b64 s[6:7], s[34:35], 2
	s_add_u32 s6, s30, s6
	v_subrev_u32_e32 v5, s25, v13
	v_and_b32_e32 v3, 60, v8
	s_addc_u32 s7, s31, s7
	v_add_u32_e32 v19, 1, v5
	v_lshlrev_b32_e32 v5, 2, v13
	v_mov_b32_e32 v4, s7
	v_add_co_u32_e64 v3, s[6:7], s6, v3
	v_lshl_or_b32 v5, v10, 5, v5
	v_addc_co_u32_e64 v4, s[6:7], 0, v4, s[6:7]
	v_add_u32_e32 v20, 0x100, v5
	s_movk_i32 s54, 0x80
	s_movk_i32 s55, 0x7f
	v_bfrev_b32_e32 v22, 60
	v_mbcnt_hi_u32_b32 v23, -1, v12
	v_mov_b32_e32 v16, 0xff7fffff
	v_mov_b32_e32 v24, v10
	s_branch .LBB223_13
.LBB223_11:                             ;   in Loop: Header=BB223_13 Depth=1
	s_or_b64 exec, exec, s[42:43]
.LBB223_12:                             ;   in Loop: Header=BB223_13 Depth=1
	s_or_b64 exec, exec, s[10:11]
	v_add_co_u32_e64 v3, s[6:7], 8, v3
	v_add_u32_e32 v24, 2, v24
	v_addc_co_u32_e64 v4, s[6:7], 0, v4, s[6:7]
	v_cmp_le_i32_e64 s[6:7], s50, v24
	v_add_u32_e32 v18, 16, v18
	s_or_b64 s[40:41], s[6:7], s[40:41]
	v_add_u32_e32 v20, 64, v20
	s_andn2_b64 exec, exec, s[40:41]
	s_cbranch_execz .LBB223_110
.LBB223_13:                             ; =>This Inner Loop Header: Depth=1
	v_mul_hi_u32 v5, v18, s48
	s_waitcnt lgkmcnt(0)
	v_mul_lo_u32 v6, v5, s33
	v_add_u32_e32 v7, 1, v5
	v_sub_u32_e32 v6, v18, v6
	v_cmp_le_u32_e64 s[6:7], s33, v6
	v_cndmask_b32_e64 v5, v5, v7, s[6:7]
	v_subrev_u32_e32 v7, s33, v6
	v_cndmask_b32_e64 v6, v6, v7, s[6:7]
	v_add_u32_e32 v7, 1, v5
	v_cmp_le_u32_e64 s[6:7], s33, v6
	v_cndmask_b32_e64 v5, v5, v7, s[6:7]
	v_xor_b32_e32 v5, s49, v5
	v_subrev_u32_e32 v5, s49, v5
	v_add_u32_e32 v6, s38, v5
	v_sub_u32_e32 v7, 0, v6
	v_max_i32_e32 v7, v6, v7
	v_mul_hi_u32 v25, v7, v17
	v_ashrrev_i32_e32 v6, 31, v6
	v_cmp_ge_i32_e64 s[10:11], s23, v5
	v_mul_lo_u32 v25, v25, s52
	v_sub_u32_e32 v7, v7, v25
	v_subrev_u32_e32 v25, s52, v7
	v_cmp_le_u32_e64 s[6:7], s52, v7
	v_cndmask_b32_e64 v7, v7, v25, s[6:7]
	v_subrev_u32_e32 v25, s52, v7
	v_cmp_le_u32_e64 s[6:7], s52, v7
	v_cndmask_b32_e64 v7, v7, v25, s[6:7]
	v_xor_b32_e32 v7, v7, v6
	v_sub_u32_e32 v6, v7, v6
	v_cmp_ne_u32_e64 s[6:7], 0, v6
	s_and_b64 s[6:7], s[6:7], s[10:11]
	s_and_saveexec_b64 s[10:11], s[6:7]
	s_xor_b64 s[6:7], exec, s[10:11]
	s_cbranch_execz .LBB223_17
; %bb.14:                               ;   in Loop: Header=BB223_13 Depth=1
	s_and_saveexec_b64 s[10:11], vcc
; %bb.15:                               ;   in Loop: Header=BB223_13 Depth=1
	ds_write_b32 v20, v21
; %bb.16:                               ;   in Loop: Header=BB223_13 Depth=1
	s_or_b64 exec, exec, s[10:11]
.LBB223_17:                             ;   in Loop: Header=BB223_13 Depth=1
	s_andn2_saveexec_b64 s[10:11], s[6:7]
	s_cbranch_execz .LBB223_12
; %bb.18:                               ;   in Loop: Header=BB223_13 Depth=1
	global_load_dword v5, v[3:4], off
	v_mov_b32_e32 v26, 0
	v_mov_b32_e32 v27, 0
	s_waitcnt vmcnt(0)
	v_mad_i64_i32 v[5:6], s[6:7], v5, s53, v[1:2]
	global_load_ubyte v28, v[5:6], off
	global_load_dword v25, v14, s[12:13]
	s_waitcnt vmcnt(1)
	v_cmp_ne_u16_e64 s[6:7], 0, v28
	s_and_saveexec_b64 s[42:43], s[6:7]
	s_cbranch_execz .LBB223_24
; %bb.19:                               ;   in Loop: Header=BB223_13 Depth=1
	v_cmp_ne_u16_e64 s[6:7], s54, v28
	v_bfrev_b32_e32 v27, 1
	s_and_saveexec_b64 s[44:45], s[6:7]
	s_cbranch_execz .LBB223_23
; %bb.20:                               ;   in Loop: Header=BB223_13 Depth=1
	v_and_b32_e32 v7, 0xffff, v28
	v_and_b32_e32 v29, 0x7f, v7
	v_cmp_ne_u32_e64 s[6:7], s55, v29
	v_mov_b32_e32 v27, 0x7f800001
	s_and_saveexec_b64 s[46:47], s[6:7]
	s_cbranch_execz .LBB223_22
; %bb.21:                               ;   in Loop: Header=BB223_13 Depth=1
	v_and_b32_e32 v27, 7, v7
	v_ffbh_u32_e32 v30, v27
	v_min_u32_e32 v33, 32, v30
	v_subrev_u32_e32 v30, 28, v33
	v_lshlrev_b64 v[30:31], v30, v[7:8]
	v_lshrrev_b32_e32 v32, 3, v29
	v_sub_u32_e32 v7, 29, v33
	v_and_b32_e32 v30, 7, v30
	v_cmp_gt_u32_e64 s[6:7], 8, v29
	v_cndmask_b32_e64 v7, v32, v7, s[6:7]
	v_cndmask_b32_e64 v27, v27, v30, s[6:7]
	v_lshlrev_b32_e32 v28, 24, v28
	v_lshlrev_b32_e32 v27, 20, v27
	v_and_b32_e32 v28, 0x80000000, v28
	v_lshl_add_u32 v7, v7, 23, v22
	v_or3_b32 v27, v28, v7, v27
.LBB223_22:                             ;   in Loop: Header=BB223_13 Depth=1
	s_or_b64 exec, exec, s[46:47]
.LBB223_23:                             ;   in Loop: Header=BB223_13 Depth=1
	s_or_b64 exec, exec, s[44:45]
.LBB223_24:                             ;   in Loop: Header=BB223_13 Depth=1
	s_or_b64 exec, exec, s[42:43]
	global_load_ubyte v28, v[5:6], off offset:8
	s_waitcnt vmcnt(0)
	v_cmp_ne_u16_e64 s[6:7], 0, v28
	s_and_saveexec_b64 s[42:43], s[6:7]
	s_cbranch_execz .LBB223_30
; %bb.25:                               ;   in Loop: Header=BB223_13 Depth=1
	v_cmp_ne_u16_e64 s[6:7], s54, v28
	v_bfrev_b32_e32 v26, 1
	s_and_saveexec_b64 s[44:45], s[6:7]
	s_cbranch_execz .LBB223_29
; %bb.26:                               ;   in Loop: Header=BB223_13 Depth=1
	v_and_b32_e32 v7, 0xffff, v28
	v_and_b32_e32 v29, 0x7f, v7
	v_cmp_ne_u32_e64 s[6:7], s55, v29
	v_mov_b32_e32 v26, 0x7f800001
	s_and_saveexec_b64 s[46:47], s[6:7]
	s_cbranch_execz .LBB223_28
; %bb.27:                               ;   in Loop: Header=BB223_13 Depth=1
	v_and_b32_e32 v26, 7, v7
	v_ffbh_u32_e32 v30, v26
	v_min_u32_e32 v33, 32, v30
	v_subrev_u32_e32 v30, 28, v33
	v_lshlrev_b64 v[30:31], v30, v[7:8]
	v_lshrrev_b32_e32 v32, 3, v29
	v_sub_u32_e32 v7, 29, v33
	v_and_b32_e32 v30, 7, v30
	v_cmp_gt_u32_e64 s[6:7], 8, v29
	v_cndmask_b32_e64 v7, v32, v7, s[6:7]
	v_cndmask_b32_e64 v26, v26, v30, s[6:7]
	v_lshlrev_b32_e32 v28, 24, v28
	v_lshlrev_b32_e32 v26, 20, v26
	v_and_b32_e32 v28, 0x80000000, v28
	v_lshl_add_u32 v7, v7, 23, v22
	v_or3_b32 v26, v28, v7, v26
.LBB223_28:                             ;   in Loop: Header=BB223_13 Depth=1
	s_or_b64 exec, exec, s[46:47]
.LBB223_29:                             ;   in Loop: Header=BB223_13 Depth=1
	s_or_b64 exec, exec, s[44:45]
.LBB223_30:                             ;   in Loop: Header=BB223_13 Depth=1
	s_or_b64 exec, exec, s[42:43]
	global_load_ubyte v30, v[5:6], off offset:128
	v_mov_b32_e32 v28, 0
	v_mov_b32_e32 v29, 0
	s_waitcnt vmcnt(0)
	v_cmp_ne_u16_e64 s[6:7], 0, v30
	s_and_saveexec_b64 s[42:43], s[6:7]
	s_cbranch_execz .LBB223_36
; %bb.31:                               ;   in Loop: Header=BB223_13 Depth=1
	v_cmp_ne_u16_e64 s[6:7], s54, v30
	v_bfrev_b32_e32 v29, 1
	s_and_saveexec_b64 s[44:45], s[6:7]
	s_cbranch_execz .LBB223_35
; %bb.32:                               ;   in Loop: Header=BB223_13 Depth=1
	v_and_b32_e32 v7, 0xffff, v30
	v_and_b32_e32 v31, 0x7f, v7
	v_cmp_ne_u32_e64 s[6:7], s55, v31
	v_mov_b32_e32 v29, 0x7f800001
	s_and_saveexec_b64 s[46:47], s[6:7]
	s_cbranch_execz .LBB223_34
; %bb.33:                               ;   in Loop: Header=BB223_13 Depth=1
	v_and_b32_e32 v29, 7, v7
	v_ffbh_u32_e32 v32, v29
	v_min_u32_e32 v35, 32, v32
	v_subrev_u32_e32 v32, 28, v35
	v_lshlrev_b64 v[32:33], v32, v[7:8]
	v_lshrrev_b32_e32 v34, 3, v31
	v_sub_u32_e32 v7, 29, v35
	v_and_b32_e32 v32, 7, v32
	v_cmp_gt_u32_e64 s[6:7], 8, v31
	v_cndmask_b32_e64 v7, v34, v7, s[6:7]
	v_cndmask_b32_e64 v29, v29, v32, s[6:7]
	v_lshlrev_b32_e32 v30, 24, v30
	v_lshlrev_b32_e32 v29, 20, v29
	v_and_b32_e32 v30, 0x80000000, v30
	v_lshl_add_u32 v7, v7, 23, v22
	v_or3_b32 v29, v30, v7, v29
.LBB223_34:                             ;   in Loop: Header=BB223_13 Depth=1
	s_or_b64 exec, exec, s[46:47]
.LBB223_35:                             ;   in Loop: Header=BB223_13 Depth=1
	s_or_b64 exec, exec, s[44:45]
.LBB223_36:                             ;   in Loop: Header=BB223_13 Depth=1
	s_or_b64 exec, exec, s[42:43]
	global_load_ubyte v30, v[5:6], off offset:136
	s_waitcnt vmcnt(0)
	v_cmp_ne_u16_e64 s[6:7], 0, v30
	s_and_saveexec_b64 s[42:43], s[6:7]
	s_cbranch_execz .LBB223_42
; %bb.37:                               ;   in Loop: Header=BB223_13 Depth=1
	v_cmp_ne_u16_e64 s[6:7], s54, v30
	v_bfrev_b32_e32 v28, 1
	s_and_saveexec_b64 s[44:45], s[6:7]
	s_cbranch_execz .LBB223_41
; %bb.38:                               ;   in Loop: Header=BB223_13 Depth=1
	v_and_b32_e32 v7, 0xffff, v30
	v_and_b32_e32 v31, 0x7f, v7
	v_cmp_ne_u32_e64 s[6:7], s55, v31
	v_mov_b32_e32 v28, 0x7f800001
	s_and_saveexec_b64 s[46:47], s[6:7]
	s_cbranch_execz .LBB223_40
; %bb.39:                               ;   in Loop: Header=BB223_13 Depth=1
	v_and_b32_e32 v28, 7, v7
	v_ffbh_u32_e32 v32, v28
	v_min_u32_e32 v35, 32, v32
	v_subrev_u32_e32 v32, 28, v35
	v_lshlrev_b64 v[32:33], v32, v[7:8]
	v_lshrrev_b32_e32 v34, 3, v31
	v_sub_u32_e32 v7, 29, v35
	v_and_b32_e32 v32, 7, v32
	v_cmp_gt_u32_e64 s[6:7], 8, v31
	v_cndmask_b32_e64 v7, v34, v7, s[6:7]
	v_cndmask_b32_e64 v28, v28, v32, s[6:7]
	v_lshlrev_b32_e32 v30, 24, v30
	v_lshlrev_b32_e32 v28, 20, v28
	v_and_b32_e32 v30, 0x80000000, v30
	v_lshl_add_u32 v7, v7, 23, v22
	v_or3_b32 v28, v30, v7, v28
.LBB223_40:                             ;   in Loop: Header=BB223_13 Depth=1
	s_or_b64 exec, exec, s[46:47]
.LBB223_41:                             ;   in Loop: Header=BB223_13 Depth=1
	s_or_b64 exec, exec, s[44:45]
.LBB223_42:                             ;   in Loop: Header=BB223_13 Depth=1
	s_or_b64 exec, exec, s[42:43]
	global_load_ubyte v32, v[5:6], off offset:256
	v_mov_b32_e32 v30, 0
	v_mov_b32_e32 v31, 0
	s_waitcnt vmcnt(0)
	v_cmp_ne_u16_e64 s[6:7], 0, v32
	s_and_saveexec_b64 s[42:43], s[6:7]
	s_cbranch_execz .LBB223_48
; %bb.43:                               ;   in Loop: Header=BB223_13 Depth=1
	v_cmp_ne_u16_e64 s[6:7], s54, v32
	v_bfrev_b32_e32 v31, 1
	s_and_saveexec_b64 s[44:45], s[6:7]
	s_cbranch_execz .LBB223_47
; %bb.44:                               ;   in Loop: Header=BB223_13 Depth=1
	v_and_b32_e32 v7, 0xffff, v32
	v_and_b32_e32 v33, 0x7f, v7
	v_cmp_ne_u32_e64 s[6:7], s55, v33
	v_mov_b32_e32 v31, 0x7f800001
	s_and_saveexec_b64 s[46:47], s[6:7]
	s_cbranch_execz .LBB223_46
; %bb.45:                               ;   in Loop: Header=BB223_13 Depth=1
	v_and_b32_e32 v31, 7, v7
	v_ffbh_u32_e32 v34, v31
	v_min_u32_e32 v37, 32, v34
	v_subrev_u32_e32 v34, 28, v37
	v_lshlrev_b64 v[34:35], v34, v[7:8]
	v_lshrrev_b32_e32 v36, 3, v33
	v_sub_u32_e32 v7, 29, v37
	v_and_b32_e32 v34, 7, v34
	v_cmp_gt_u32_e64 s[6:7], 8, v33
	v_cndmask_b32_e64 v7, v36, v7, s[6:7]
	v_cndmask_b32_e64 v31, v31, v34, s[6:7]
	v_lshlrev_b32_e32 v32, 24, v32
	v_lshlrev_b32_e32 v31, 20, v31
	v_and_b32_e32 v32, 0x80000000, v32
	v_lshl_add_u32 v7, v7, 23, v22
	v_or3_b32 v31, v32, v7, v31
.LBB223_46:                             ;   in Loop: Header=BB223_13 Depth=1
	s_or_b64 exec, exec, s[46:47]
.LBB223_47:                             ;   in Loop: Header=BB223_13 Depth=1
	s_or_b64 exec, exec, s[44:45]
.LBB223_48:                             ;   in Loop: Header=BB223_13 Depth=1
	s_or_b64 exec, exec, s[42:43]
	global_load_ubyte v32, v[5:6], off offset:264
	s_waitcnt vmcnt(0)
	v_cmp_ne_u16_e64 s[6:7], 0, v32
	s_and_saveexec_b64 s[42:43], s[6:7]
	s_cbranch_execz .LBB223_54
; %bb.49:                               ;   in Loop: Header=BB223_13 Depth=1
	v_cmp_ne_u16_e64 s[6:7], s54, v32
	v_bfrev_b32_e32 v30, 1
	s_and_saveexec_b64 s[44:45], s[6:7]
	s_cbranch_execz .LBB223_53
; %bb.50:                               ;   in Loop: Header=BB223_13 Depth=1
	v_and_b32_e32 v7, 0xffff, v32
	v_and_b32_e32 v33, 0x7f, v7
	v_cmp_ne_u32_e64 s[6:7], s55, v33
	v_mov_b32_e32 v30, 0x7f800001
	s_and_saveexec_b64 s[46:47], s[6:7]
	s_cbranch_execz .LBB223_52
; %bb.51:                               ;   in Loop: Header=BB223_13 Depth=1
	v_and_b32_e32 v30, 7, v7
	v_ffbh_u32_e32 v34, v30
	v_min_u32_e32 v37, 32, v34
	v_subrev_u32_e32 v34, 28, v37
	v_lshlrev_b64 v[34:35], v34, v[7:8]
	v_lshrrev_b32_e32 v36, 3, v33
	v_sub_u32_e32 v7, 29, v37
	v_and_b32_e32 v34, 7, v34
	v_cmp_gt_u32_e64 s[6:7], 8, v33
	v_cndmask_b32_e64 v7, v36, v7, s[6:7]
	v_cndmask_b32_e64 v30, v30, v34, s[6:7]
	v_lshlrev_b32_e32 v32, 24, v32
	v_lshlrev_b32_e32 v30, 20, v30
	v_and_b32_e32 v32, 0x80000000, v32
	v_lshl_add_u32 v7, v7, 23, v22
	v_or3_b32 v30, v32, v7, v30
.LBB223_52:                             ;   in Loop: Header=BB223_13 Depth=1
	s_or_b64 exec, exec, s[46:47]
.LBB223_53:                             ;   in Loop: Header=BB223_13 Depth=1
	s_or_b64 exec, exec, s[44:45]
.LBB223_54:                             ;   in Loop: Header=BB223_13 Depth=1
	s_or_b64 exec, exec, s[42:43]
	global_load_ubyte v34, v[5:6], off offset:384
	v_mov_b32_e32 v32, 0
	v_mov_b32_e32 v33, 0
	s_waitcnt vmcnt(0)
	v_cmp_ne_u16_e64 s[6:7], 0, v34
	s_and_saveexec_b64 s[42:43], s[6:7]
	s_cbranch_execz .LBB223_60
; %bb.55:                               ;   in Loop: Header=BB223_13 Depth=1
	v_cmp_ne_u16_e64 s[6:7], s54, v34
	v_bfrev_b32_e32 v33, 1
	s_and_saveexec_b64 s[44:45], s[6:7]
	s_cbranch_execz .LBB223_59
; %bb.56:                               ;   in Loop: Header=BB223_13 Depth=1
	v_and_b32_e32 v7, 0xffff, v34
	v_and_b32_e32 v35, 0x7f, v7
	v_cmp_ne_u32_e64 s[6:7], s55, v35
	v_mov_b32_e32 v33, 0x7f800001
	s_and_saveexec_b64 s[46:47], s[6:7]
	s_cbranch_execz .LBB223_58
; %bb.57:                               ;   in Loop: Header=BB223_13 Depth=1
	v_and_b32_e32 v33, 7, v7
	v_ffbh_u32_e32 v36, v33
	v_min_u32_e32 v39, 32, v36
	v_subrev_u32_e32 v36, 28, v39
	v_lshlrev_b64 v[36:37], v36, v[7:8]
	v_lshrrev_b32_e32 v38, 3, v35
	v_sub_u32_e32 v7, 29, v39
	v_and_b32_e32 v36, 7, v36
	v_cmp_gt_u32_e64 s[6:7], 8, v35
	v_cndmask_b32_e64 v7, v38, v7, s[6:7]
	v_cndmask_b32_e64 v33, v33, v36, s[6:7]
	v_lshlrev_b32_e32 v34, 24, v34
	v_lshlrev_b32_e32 v33, 20, v33
	v_and_b32_e32 v34, 0x80000000, v34
	v_lshl_add_u32 v7, v7, 23, v22
	v_or3_b32 v33, v34, v7, v33
.LBB223_58:                             ;   in Loop: Header=BB223_13 Depth=1
	s_or_b64 exec, exec, s[46:47]
.LBB223_59:                             ;   in Loop: Header=BB223_13 Depth=1
	s_or_b64 exec, exec, s[44:45]
.LBB223_60:                             ;   in Loop: Header=BB223_13 Depth=1
	s_or_b64 exec, exec, s[42:43]
	global_load_ubyte v34, v[5:6], off offset:392
	s_waitcnt vmcnt(0)
	v_cmp_ne_u16_e64 s[6:7], 0, v34
	s_and_saveexec_b64 s[42:43], s[6:7]
	s_cbranch_execz .LBB223_66
; %bb.61:                               ;   in Loop: Header=BB223_13 Depth=1
	v_cmp_ne_u16_e64 s[6:7], s54, v34
	v_bfrev_b32_e32 v32, 1
	s_and_saveexec_b64 s[44:45], s[6:7]
	s_cbranch_execz .LBB223_65
; %bb.62:                               ;   in Loop: Header=BB223_13 Depth=1
	v_and_b32_e32 v7, 0xffff, v34
	v_and_b32_e32 v35, 0x7f, v7
	v_cmp_ne_u32_e64 s[6:7], s55, v35
	v_mov_b32_e32 v32, 0x7f800001
	s_and_saveexec_b64 s[46:47], s[6:7]
	s_cbranch_execz .LBB223_64
; %bb.63:                               ;   in Loop: Header=BB223_13 Depth=1
	v_and_b32_e32 v32, 7, v7
	v_ffbh_u32_e32 v36, v32
	v_min_u32_e32 v39, 32, v36
	v_subrev_u32_e32 v36, 28, v39
	v_lshlrev_b64 v[36:37], v36, v[7:8]
	v_lshrrev_b32_e32 v38, 3, v35
	v_sub_u32_e32 v7, 29, v39
	v_and_b32_e32 v36, 7, v36
	v_cmp_gt_u32_e64 s[6:7], 8, v35
	v_cndmask_b32_e64 v7, v38, v7, s[6:7]
	v_cndmask_b32_e64 v32, v32, v36, s[6:7]
	v_lshlrev_b32_e32 v34, 24, v34
	v_lshlrev_b32_e32 v32, 20, v32
	v_and_b32_e32 v34, 0x80000000, v34
	v_lshl_add_u32 v7, v7, 23, v22
	v_or3_b32 v32, v34, v7, v32
.LBB223_64:                             ;   in Loop: Header=BB223_13 Depth=1
	s_or_b64 exec, exec, s[46:47]
.LBB223_65:                             ;   in Loop: Header=BB223_13 Depth=1
	s_or_b64 exec, exec, s[44:45]
.LBB223_66:                             ;   in Loop: Header=BB223_13 Depth=1
	s_or_b64 exec, exec, s[42:43]
	global_load_ubyte v36, v[5:6], off offset:512
	v_mov_b32_e32 v34, 0
	v_mov_b32_e32 v35, 0
	s_waitcnt vmcnt(0)
	v_cmp_ne_u16_e64 s[6:7], 0, v36
	s_and_saveexec_b64 s[42:43], s[6:7]
	s_cbranch_execz .LBB223_72
; %bb.67:                               ;   in Loop: Header=BB223_13 Depth=1
	v_cmp_ne_u16_e64 s[6:7], s54, v36
	v_bfrev_b32_e32 v35, 1
	s_and_saveexec_b64 s[44:45], s[6:7]
	s_cbranch_execz .LBB223_71
; %bb.68:                               ;   in Loop: Header=BB223_13 Depth=1
	v_and_b32_e32 v7, 0xffff, v36
	v_and_b32_e32 v37, 0x7f, v7
	v_cmp_ne_u32_e64 s[6:7], s55, v37
	v_mov_b32_e32 v35, 0x7f800001
	s_and_saveexec_b64 s[46:47], s[6:7]
	s_cbranch_execz .LBB223_70
; %bb.69:                               ;   in Loop: Header=BB223_13 Depth=1
	v_and_b32_e32 v35, 7, v7
	v_ffbh_u32_e32 v38, v35
	v_min_u32_e32 v41, 32, v38
	v_subrev_u32_e32 v38, 28, v41
	v_lshlrev_b64 v[38:39], v38, v[7:8]
	v_lshrrev_b32_e32 v40, 3, v37
	v_sub_u32_e32 v7, 29, v41
	v_and_b32_e32 v38, 7, v38
	v_cmp_gt_u32_e64 s[6:7], 8, v37
	v_cndmask_b32_e64 v7, v40, v7, s[6:7]
	v_cndmask_b32_e64 v35, v35, v38, s[6:7]
	v_lshlrev_b32_e32 v36, 24, v36
	v_lshlrev_b32_e32 v35, 20, v35
	v_and_b32_e32 v36, 0x80000000, v36
	v_lshl_add_u32 v7, v7, 23, v22
	v_or3_b32 v35, v36, v7, v35
.LBB223_70:                             ;   in Loop: Header=BB223_13 Depth=1
	s_or_b64 exec, exec, s[46:47]
.LBB223_71:                             ;   in Loop: Header=BB223_13 Depth=1
	s_or_b64 exec, exec, s[44:45]
.LBB223_72:                             ;   in Loop: Header=BB223_13 Depth=1
	s_or_b64 exec, exec, s[42:43]
	global_load_ubyte v36, v[5:6], off offset:520
	s_waitcnt vmcnt(0)
	v_cmp_ne_u16_e64 s[6:7], 0, v36
	s_and_saveexec_b64 s[42:43], s[6:7]
	s_cbranch_execz .LBB223_78
; %bb.73:                               ;   in Loop: Header=BB223_13 Depth=1
	v_cmp_ne_u16_e64 s[6:7], s54, v36
	v_bfrev_b32_e32 v34, 1
	s_and_saveexec_b64 s[44:45], s[6:7]
	s_cbranch_execz .LBB223_77
; %bb.74:                               ;   in Loop: Header=BB223_13 Depth=1
	v_and_b32_e32 v7, 0xffff, v36
	v_and_b32_e32 v37, 0x7f, v7
	v_cmp_ne_u32_e64 s[6:7], s55, v37
	v_mov_b32_e32 v34, 0x7f800001
	s_and_saveexec_b64 s[46:47], s[6:7]
	s_cbranch_execz .LBB223_76
; %bb.75:                               ;   in Loop: Header=BB223_13 Depth=1
	v_and_b32_e32 v34, 7, v7
	v_ffbh_u32_e32 v38, v34
	v_min_u32_e32 v41, 32, v38
	v_subrev_u32_e32 v38, 28, v41
	v_lshlrev_b64 v[38:39], v38, v[7:8]
	v_lshrrev_b32_e32 v40, 3, v37
	v_sub_u32_e32 v7, 29, v41
	v_and_b32_e32 v38, 7, v38
	v_cmp_gt_u32_e64 s[6:7], 8, v37
	v_cndmask_b32_e64 v7, v40, v7, s[6:7]
	v_cndmask_b32_e64 v34, v34, v38, s[6:7]
	v_lshlrev_b32_e32 v36, 24, v36
	v_lshlrev_b32_e32 v34, 20, v34
	v_and_b32_e32 v36, 0x80000000, v36
	v_lshl_add_u32 v7, v7, 23, v22
	v_or3_b32 v34, v36, v7, v34
.LBB223_76:                             ;   in Loop: Header=BB223_13 Depth=1
	s_or_b64 exec, exec, s[46:47]
.LBB223_77:                             ;   in Loop: Header=BB223_13 Depth=1
	s_or_b64 exec, exec, s[44:45]
.LBB223_78:                             ;   in Loop: Header=BB223_13 Depth=1
	s_or_b64 exec, exec, s[42:43]
	global_load_ubyte v38, v[5:6], off offset:640
	v_mov_b32_e32 v36, 0
	v_mov_b32_e32 v37, 0
	s_waitcnt vmcnt(0)
	v_cmp_ne_u16_e64 s[6:7], 0, v38
	s_and_saveexec_b64 s[42:43], s[6:7]
	s_cbranch_execz .LBB223_84
; %bb.79:                               ;   in Loop: Header=BB223_13 Depth=1
	v_cmp_ne_u16_e64 s[6:7], s54, v38
	v_bfrev_b32_e32 v37, 1
	s_and_saveexec_b64 s[44:45], s[6:7]
	s_cbranch_execz .LBB223_83
; %bb.80:                               ;   in Loop: Header=BB223_13 Depth=1
	v_and_b32_e32 v7, 0xffff, v38
	v_and_b32_e32 v39, 0x7f, v7
	v_cmp_ne_u32_e64 s[6:7], s55, v39
	v_mov_b32_e32 v37, 0x7f800001
	s_and_saveexec_b64 s[46:47], s[6:7]
	s_cbranch_execz .LBB223_82
; %bb.81:                               ;   in Loop: Header=BB223_13 Depth=1
	v_and_b32_e32 v37, 7, v7
	v_ffbh_u32_e32 v40, v37
	v_min_u32_e32 v43, 32, v40
	v_subrev_u32_e32 v40, 28, v43
	v_lshlrev_b64 v[40:41], v40, v[7:8]
	v_lshrrev_b32_e32 v42, 3, v39
	v_sub_u32_e32 v7, 29, v43
	v_and_b32_e32 v40, 7, v40
	v_cmp_gt_u32_e64 s[6:7], 8, v39
	v_cndmask_b32_e64 v7, v42, v7, s[6:7]
	v_cndmask_b32_e64 v37, v37, v40, s[6:7]
	v_lshlrev_b32_e32 v38, 24, v38
	v_lshlrev_b32_e32 v37, 20, v37
	v_and_b32_e32 v38, 0x80000000, v38
	v_lshl_add_u32 v7, v7, 23, v22
	v_or3_b32 v37, v38, v7, v37
.LBB223_82:                             ;   in Loop: Header=BB223_13 Depth=1
	s_or_b64 exec, exec, s[46:47]
.LBB223_83:                             ;   in Loop: Header=BB223_13 Depth=1
	s_or_b64 exec, exec, s[44:45]
.LBB223_84:                             ;   in Loop: Header=BB223_13 Depth=1
	s_or_b64 exec, exec, s[42:43]
	global_load_ubyte v38, v[5:6], off offset:648
	s_waitcnt vmcnt(0)
	v_cmp_ne_u16_e64 s[6:7], 0, v38
	s_and_saveexec_b64 s[42:43], s[6:7]
	s_cbranch_execz .LBB223_90
; %bb.85:                               ;   in Loop: Header=BB223_13 Depth=1
	v_cmp_ne_u16_e64 s[6:7], s54, v38
	v_bfrev_b32_e32 v36, 1
	s_and_saveexec_b64 s[44:45], s[6:7]
	s_cbranch_execz .LBB223_89
; %bb.86:                               ;   in Loop: Header=BB223_13 Depth=1
	v_and_b32_e32 v7, 0xffff, v38
	v_and_b32_e32 v39, 0x7f, v7
	v_cmp_ne_u32_e64 s[6:7], s55, v39
	v_mov_b32_e32 v36, 0x7f800001
	s_and_saveexec_b64 s[46:47], s[6:7]
	s_cbranch_execz .LBB223_88
; %bb.87:                               ;   in Loop: Header=BB223_13 Depth=1
	v_and_b32_e32 v36, 7, v7
	v_ffbh_u32_e32 v40, v36
	v_min_u32_e32 v43, 32, v40
	v_subrev_u32_e32 v40, 28, v43
	v_lshlrev_b64 v[40:41], v40, v[7:8]
	v_lshrrev_b32_e32 v42, 3, v39
	v_sub_u32_e32 v7, 29, v43
	v_and_b32_e32 v40, 7, v40
	v_cmp_gt_u32_e64 s[6:7], 8, v39
	v_cndmask_b32_e64 v7, v42, v7, s[6:7]
	v_cndmask_b32_e64 v36, v36, v40, s[6:7]
	v_lshlrev_b32_e32 v38, 24, v38
	v_lshlrev_b32_e32 v36, 20, v36
	v_and_b32_e32 v38, 0x80000000, v38
	v_lshl_add_u32 v7, v7, 23, v22
	v_or3_b32 v36, v38, v7, v36
.LBB223_88:                             ;   in Loop: Header=BB223_13 Depth=1
	s_or_b64 exec, exec, s[46:47]
.LBB223_89:                             ;   in Loop: Header=BB223_13 Depth=1
	s_or_b64 exec, exec, s[44:45]
.LBB223_90:                             ;   in Loop: Header=BB223_13 Depth=1
	s_or_b64 exec, exec, s[42:43]
	global_load_ubyte v40, v[5:6], off offset:768
	v_mov_b32_e32 v38, 0
	v_mov_b32_e32 v39, 0
	s_waitcnt vmcnt(0)
	v_cmp_ne_u16_e64 s[6:7], 0, v40
	s_and_saveexec_b64 s[42:43], s[6:7]
	s_cbranch_execz .LBB223_96
; %bb.91:                               ;   in Loop: Header=BB223_13 Depth=1
	v_cmp_ne_u16_e64 s[6:7], s54, v40
	v_bfrev_b32_e32 v39, 1
	s_and_saveexec_b64 s[44:45], s[6:7]
	s_cbranch_execz .LBB223_95
; %bb.92:                               ;   in Loop: Header=BB223_13 Depth=1
	v_and_b32_e32 v7, 0xffff, v40
	v_and_b32_e32 v41, 0x7f, v7
	v_cmp_ne_u32_e64 s[6:7], s55, v41
	v_mov_b32_e32 v39, 0x7f800001
	s_and_saveexec_b64 s[46:47], s[6:7]
	s_cbranch_execz .LBB223_94
; %bb.93:                               ;   in Loop: Header=BB223_13 Depth=1
	v_and_b32_e32 v39, 7, v7
	v_ffbh_u32_e32 v42, v39
	v_min_u32_e32 v45, 32, v42
	v_subrev_u32_e32 v42, 28, v45
	v_lshlrev_b64 v[42:43], v42, v[7:8]
	v_lshrrev_b32_e32 v44, 3, v41
	v_sub_u32_e32 v7, 29, v45
	v_and_b32_e32 v42, 7, v42
	v_cmp_gt_u32_e64 s[6:7], 8, v41
	v_cndmask_b32_e64 v7, v44, v7, s[6:7]
	v_cndmask_b32_e64 v39, v39, v42, s[6:7]
	v_lshlrev_b32_e32 v40, 24, v40
	v_lshlrev_b32_e32 v39, 20, v39
	v_and_b32_e32 v40, 0x80000000, v40
	v_lshl_add_u32 v7, v7, 23, v22
	v_or3_b32 v39, v40, v7, v39
.LBB223_94:                             ;   in Loop: Header=BB223_13 Depth=1
	s_or_b64 exec, exec, s[46:47]
.LBB223_95:                             ;   in Loop: Header=BB223_13 Depth=1
	s_or_b64 exec, exec, s[44:45]
.LBB223_96:                             ;   in Loop: Header=BB223_13 Depth=1
	s_or_b64 exec, exec, s[42:43]
	global_load_ubyte v40, v[5:6], off offset:776
	s_waitcnt vmcnt(0)
	v_cmp_ne_u16_e64 s[6:7], 0, v40
	s_and_saveexec_b64 s[42:43], s[6:7]
	s_cbranch_execz .LBB223_102
; %bb.97:                               ;   in Loop: Header=BB223_13 Depth=1
	v_cmp_ne_u16_e64 s[6:7], s54, v40
	v_bfrev_b32_e32 v38, 1
	s_and_saveexec_b64 s[44:45], s[6:7]
	s_cbranch_execz .LBB223_101
; %bb.98:                               ;   in Loop: Header=BB223_13 Depth=1
	v_and_b32_e32 v7, 0xffff, v40
	v_and_b32_e32 v41, 0x7f, v7
	v_cmp_ne_u32_e64 s[6:7], s55, v41
	v_mov_b32_e32 v38, 0x7f800001
	s_and_saveexec_b64 s[46:47], s[6:7]
	s_cbranch_execz .LBB223_100
; %bb.99:                               ;   in Loop: Header=BB223_13 Depth=1
	v_and_b32_e32 v38, 7, v7
	v_ffbh_u32_e32 v42, v38
	v_min_u32_e32 v45, 32, v42
	v_subrev_u32_e32 v42, 28, v45
	v_lshlrev_b64 v[42:43], v42, v[7:8]
	v_lshrrev_b32_e32 v44, 3, v41
	v_sub_u32_e32 v7, 29, v45
	v_and_b32_e32 v42, 7, v42
	v_cmp_gt_u32_e64 s[6:7], 8, v41
	v_cndmask_b32_e64 v7, v44, v7, s[6:7]
	v_cndmask_b32_e64 v38, v38, v42, s[6:7]
	v_lshlrev_b32_e32 v40, 24, v40
	v_lshlrev_b32_e32 v38, 20, v38
	v_and_b32_e32 v40, 0x80000000, v40
	v_lshl_add_u32 v7, v7, 23, v22
	v_or3_b32 v38, v40, v7, v38
.LBB223_100:                            ;   in Loop: Header=BB223_13 Depth=1
	s_or_b64 exec, exec, s[46:47]
.LBB223_101:                            ;   in Loop: Header=BB223_13 Depth=1
	s_or_b64 exec, exec, s[44:45]
.LBB223_102:                            ;   in Loop: Header=BB223_13 Depth=1
	s_or_b64 exec, exec, s[42:43]
	global_load_ubyte v7, v[5:6], off offset:896
	v_mov_b32_e32 v6, 0
	s_waitcnt vmcnt(0)
	v_cmp_ne_u16_e64 s[6:7], 0, v7
	s_and_saveexec_b64 s[42:43], s[6:7]
	s_cbranch_execz .LBB223_108
; %bb.103:                              ;   in Loop: Header=BB223_13 Depth=1
	v_cmp_ne_u16_e64 s[6:7], s54, v7
	v_bfrev_b32_e32 v6, 1
	s_and_saveexec_b64 s[44:45], s[6:7]
	s_cbranch_execz .LBB223_107
; %bb.104:                              ;   in Loop: Header=BB223_13 Depth=1
	v_and_b32_e32 v5, 0xffff, v7
	v_and_b32_e32 v40, 0x7f, v5
	v_cmp_ne_u32_e64 s[6:7], s55, v40
	v_mov_b32_e32 v6, 0x7f800001
	s_and_saveexec_b64 s[46:47], s[6:7]
	s_cbranch_execz .LBB223_106
; %bb.105:                              ;   in Loop: Header=BB223_13 Depth=1
	v_and_b32_e32 v41, 7, v5
	v_ffbh_u32_e32 v6, v41
	v_min_u32_e32 v43, 32, v6
	v_subrev_u32_e32 v6, 28, v43
	v_lshlrev_b64 v[5:6], v6, v[5:6]
	v_lshrrev_b32_e32 v42, 3, v40
	v_sub_u32_e32 v6, 29, v43
	v_and_b32_e32 v5, 7, v5
	v_cmp_gt_u32_e64 s[6:7], 8, v40
	v_cndmask_b32_e64 v6, v42, v6, s[6:7]
	v_cndmask_b32_e64 v5, v41, v5, s[6:7]
	v_lshlrev_b32_e32 v7, 24, v7
	v_lshlrev_b32_e32 v5, 20, v5
	v_and_b32_e32 v7, 0x80000000, v7
	v_lshl_add_u32 v6, v6, 23, v22
	v_or3_b32 v6, v7, v6, v5
.LBB223_106:                            ;   in Loop: Header=BB223_13 Depth=1
	s_or_b64 exec, exec, s[46:47]
.LBB223_107:                            ;   in Loop: Header=BB223_13 Depth=1
	s_or_b64 exec, exec, s[44:45]
.LBB223_108:                            ;   in Loop: Header=BB223_13 Depth=1
	s_or_b64 exec, exec, s[42:43]
	v_fma_mixlo_f16 v5, v25, v27, 0
	ds_read_u16 v7, v15
	v_and_b32_e32 v27, 0xffff, v5
	s_waitcnt lgkmcnt(0)
	;;#ASMSTART
	v_cvt_f32_f16 v5, v7;
	;;#ASMEND
	;;#ASMSTART
	v_cvt_f32_f16 v7, v27;
	;;#ASMEND
	ds_read_u16 v27, v15 offset:2
	v_fma_mixlo_f16 v26, v25, v26, 0
	v_and_b32_e32 v40, 0xffff, v26
	s_waitcnt lgkmcnt(0)
	;;#ASMSTART
	v_cvt_f32_f16 v26, v27;
	;;#ASMEND
	;;#ASMSTART
	v_cvt_f32_f16 v27, v40;
	;;#ASMEND
	v_fma_mixlo_f16 v29, v25, v29, 0
	v_fma_mixlo_f16 v28, v25, v28, 0
	;; [unrolled: 1-line block ×13, first 2 shown]
	v_mul_f32_e32 v25, v26, v27
	ds_read_u16 v40, v15 offset:4
	v_and_b32_e32 v41, 0xffff, v29
	v_fmac_f32_e32 v25, v5, v7
	s_waitcnt lgkmcnt(0)
	;;#ASMSTART
	v_cvt_f32_f16 v29, v40;
	;;#ASMEND
	;;#ASMSTART
	v_cvt_f32_f16 v40, v41;
	;;#ASMEND
	ds_read_u16 v41, v15 offset:6
	v_and_b32_e32 v42, 0xffff, v28
	v_fmac_f32_e32 v25, v29, v40
	s_waitcnt lgkmcnt(0)
	;;#ASMSTART
	v_cvt_f32_f16 v28, v41;
	;;#ASMEND
	;;#ASMSTART
	v_cvt_f32_f16 v41, v42;
	;;#ASMEND
	;; [unrolled: 10-line block ×8, first 2 shown]
	ds_read_u16 v48, v15 offset:20
	v_fmac_f32_e32 v25, v34, v47
	v_and_b32_e32 v49, 0xffff, v37
	s_waitcnt lgkmcnt(0)
	;;#ASMSTART
	v_cvt_f32_f16 v37, v48;
	;;#ASMEND
	;;#ASMSTART
	v_cvt_f32_f16 v48, v49;
	;;#ASMEND
	v_and_b32_e32 v7, 0xffff, v36
	v_fmac_f32_e32 v25, v37, v48
	ds_read_u16 v49, v15 offset:22
	s_waitcnt lgkmcnt(0)
	;;#ASMSTART
	v_cvt_f32_f16 v5, v49;
	;;#ASMEND
	;;#ASMSTART
	v_cvt_f32_f16 v7, v7;
	;;#ASMEND
	ds_read_u16 v26, v15 offset:24
	v_and_b32_e32 v27, 0xffff, v39
	v_fmac_f32_e32 v25, v5, v7
	s_waitcnt lgkmcnt(0)
	;;#ASMSTART
	v_cvt_f32_f16 v26, v26;
	;;#ASMEND
	;;#ASMSTART
	v_cvt_f32_f16 v27, v27;
	;;#ASMEND
	ds_read_u16 v28, v15 offset:26
	v_and_b32_e32 v29, 0xffff, v38
	v_fmac_f32_e32 v25, v26, v27
	s_waitcnt lgkmcnt(0)
	;;#ASMSTART
	v_cvt_f32_f16 v28, v28;
	;;#ASMEND
	;;#ASMSTART
	v_cvt_f32_f16 v29, v29;
	;;#ASMEND
	ds_read_u16 v30, v15 offset:28
	v_fmac_f32_e32 v25, v28, v29
	s_waitcnt lgkmcnt(0)
	;;#ASMSTART
	v_cvt_f32_f16 v5, v30;
	;;#ASMEND
	v_and_b32_e32 v6, 0xffff, v6
	;;#ASMSTART
	v_cvt_f32_f16 v6, v6;
	;;#ASMEND
	v_fmac_f32_e32 v25, v5, v6
	v_and_b32_e32 v5, 64, v23
	v_add_u32_e32 v6, 64, v5
	v_xor_b32_e32 v5, 4, v23
	v_cmp_lt_i32_e64 s[6:7], v5, v6
	v_cndmask_b32_e64 v5, v23, v5, s[6:7]
	v_lshlrev_b32_e32 v5, 2, v5
	ds_bpermute_b32 v5, v5, v25
	v_xor_b32_e32 v7, 2, v23
	v_cmp_lt_i32_e64 s[6:7], v7, v6
	v_cndmask_b32_e64 v7, v23, v7, s[6:7]
	v_lshlrev_b32_e32 v7, 2, v7
	s_waitcnt lgkmcnt(0)
	v_add_f32_e32 v5, v25, v5
	ds_bpermute_b32 v7, v7, v5
	s_waitcnt lgkmcnt(0)
	v_add_f32_e32 v5, v5, v7
	v_xor_b32_e32 v7, 1, v23
	v_cmp_lt_i32_e64 s[6:7], v7, v6
	v_cndmask_b32_e64 v6, v23, v7, s[6:7]
	v_lshlrev_b32_e32 v6, 2, v6
	ds_bpermute_b32 v6, v6, v5
	s_and_saveexec_b64 s[42:43], vcc
	s_cbranch_execz .LBB223_11
; %bb.109:                              ;   in Loop: Header=BB223_13 Depth=1
	v_add_u32_e32 v7, v19, v18
	v_cvt_f32_i32_e32 v7, v7
	s_waitcnt lgkmcnt(0)
	v_add_f32_e32 v5, v5, v6
	v_add_u32_e32 v25, v13, v18
	v_cmp_gt_i32_e64 s[6:7], s25, v25
	v_mul_f32_e32 v6, s51, v7
	v_cndmask_b32_e64 v6, 0, v6, s[4:5]
	v_fmac_f32_e32 v6, s39, v5
	v_cndmask_b32_e64 v5, 0, v6, s[6:7]
	ds_write_b32 v20, v5
	v_max_f32_e32 v5, v16, v16
	v_max_f32_e32 v5, v5, v6
	v_cndmask_b32_e64 v16, v16, v5, s[6:7]
	s_branch .LBB223_11
.LBB223_110:
	s_or_b64 exec, exec, s[40:41]
.LBB223_111:
	s_or_b64 exec, exec, s[18:19]
	v_mbcnt_hi_u32_b32 v1, -1, v12
	v_and_b32_e32 v14, 64, v1
	v_add_u32_e32 v2, 64, v14
	v_xor_b32_e32 v3, 32, v1
	v_cmp_lt_i32_e32 vcc, v3, v2
	v_cndmask_b32_e32 v3, v1, v3, vcc
	v_lshlrev_b32_e32 v4, 2, v3
	ds_bpermute_b32 v3, v4, v16
	s_waitcnt lgkmcnt(1)
	v_xor_b32_e32 v6, 16, v1
	v_max_f32_e32 v5, v16, v16
	v_cmp_lt_i32_e32 vcc, v6, v2
	v_xor_b32_e32 v7, 8, v1
	s_waitcnt lgkmcnt(0)
	v_max_f32_e32 v3, v3, v3
	v_max_f32_e32 v3, v5, v3
	v_cndmask_b32_e32 v5, v1, v6, vcc
	v_lshlrev_b32_e32 v6, 2, v5
	ds_bpermute_b32 v5, v6, v3
	v_cmp_lt_i32_e32 vcc, v7, v2
	v_and_b32_e32 v12, 63, v0
	s_waitcnt lgkmcnt(0)
	v_max_f32_e32 v5, v5, v5
	v_max_f32_e32 v5, v3, v5
	v_cndmask_b32_e32 v3, v1, v7, vcc
	v_lshlrev_b32_e32 v13, 2, v3
	ds_bpermute_b32 v7, v13, v5
	v_cmp_eq_u32_e32 vcc, 0, v12
	v_lshlrev_b32_e32 v3, 2, v10
	s_and_saveexec_b64 s[4:5], vcc
	s_cbranch_execz .LBB223_113
; %bb.112:
	s_waitcnt lgkmcnt(0)
	v_max_f32_e32 v7, v7, v7
	v_max_f32_e32 v5, v5, v5
	;; [unrolled: 1-line block ×3, first 2 shown]
	ds_write_b32 v3, v5 offset:240
.LBB223_113:
	s_or_b64 exec, exec, s[4:5]
	v_cmp_gt_u32_e64 s[4:5], 2, v12
	v_mov_b32_e32 v15, 0xff7fffff
	v_lshlrev_b32_e32 v5, 2, v12
	s_waitcnt lgkmcnt(0)
	s_barrier
	s_and_saveexec_b64 s[6:7], s[4:5]
; %bb.114:
	ds_read_b32 v15, v5 offset:240
; %bb.115:
	s_or_b64 exec, exec, s[6:7]
	v_xor_b32_e32 v7, 1, v1
	v_cmp_lt_i32_e64 s[6:7], v7, v2
	v_cndmask_b32_e64 v7, v1, v7, s[6:7]
	v_lshlrev_b32_e32 v7, 2, v7
	s_waitcnt lgkmcnt(0)
	ds_bpermute_b32 v16, v7, v15
	v_max_f32_e32 v15, v15, v15
	v_lshlrev_b32_e32 v14, 2, v14
	s_lshl_b32 s6, s50, 3
	s_min_i32 s23, s6, s25
	s_waitcnt lgkmcnt(0)
	v_max_f32_e32 v16, v16, v16
	v_max_f32_e32 v15, v15, v16
	ds_bpermute_b32 v15, v14, v15
	v_cmp_gt_i32_e64 s[6:7], s23, v0
	v_mov_b32_e32 v14, 0
	s_and_saveexec_b64 s[12:13], s[6:7]
	s_cbranch_execz .LBB223_119
; %bb.116:
	v_mov_b32_e32 v14, 0x100
	v_lshl_add_u32 v16, v0, 2, v14
	v_mov_b32_e32 v14, 0
	s_mov_b64 s[18:19], 0
	v_mov_b32_e32 v17, v0
.LBB223_117:                            ; =>This Inner Loop Header: Depth=1
	ds_read_b32 v18, v16
	v_add_u32_e32 v17, 0x80, v17
	v_cmp_le_i32_e64 s[10:11], s23, v17
	s_or_b64 s[18:19], s[10:11], s[18:19]
	s_waitcnt lgkmcnt(0)
	v_sub_f32_e32 v18, v18, v15
	v_mul_f32_e32 v18, 0x3fb8aa3b, v18
	v_exp_f32_e32 v18, v18
	ds_write_b32 v16, v18
	v_add_f32_e32 v14, v14, v18
	v_add_u32_e32 v16, 0x200, v16
	s_andn2_b64 exec, exec, s[18:19]
	s_cbranch_execnz .LBB223_117
; %bb.118:
	s_or_b64 exec, exec, s[18:19]
.LBB223_119:
	s_or_b64 exec, exec, s[12:13]
	ds_bpermute_b32 v4, v4, v14
	s_waitcnt lgkmcnt(0)
	v_add_f32_e32 v4, v14, v4
	ds_bpermute_b32 v6, v6, v4
	s_waitcnt lgkmcnt(0)
	v_add_f32_e32 v4, v4, v6
	ds_bpermute_b32 v6, v13, v4
	v_xor_b32_e32 v13, 4, v1
	v_cmp_lt_i32_e64 s[10:11], v13, v2
	v_cndmask_b32_e64 v13, v1, v13, s[10:11]
	v_lshlrev_b32_e32 v13, 2, v13
	s_waitcnt lgkmcnt(0)
	v_add_f32_e32 v4, v4, v6
	ds_bpermute_b32 v6, v13, v4
	v_xor_b32_e32 v13, 2, v1
	v_cmp_lt_i32_e64 s[10:11], v13, v2
	v_cndmask_b32_e64 v2, v1, v13, s[10:11]
	v_lshlrev_b32_e32 v2, 2, v2
	s_waitcnt lgkmcnt(0)
	v_add_f32_e32 v4, v4, v6
	ds_bpermute_b32 v2, v2, v4
	s_waitcnt lgkmcnt(0)
	v_add_f32_e32 v2, v4, v2
	ds_bpermute_b32 v4, v7, v2
	s_waitcnt lgkmcnt(0)
	v_add_f32_e32 v2, v2, v4
	s_and_saveexec_b64 s[10:11], vcc
; %bb.120:
	ds_write_b32 v3, v2 offset:248
; %bb.121:
	s_or_b64 exec, exec, s[10:11]
	s_waitcnt lgkmcnt(0)
	s_barrier
	s_and_saveexec_b64 s[10:11], s[4:5]
; %bb.122:
	ds_read_b32 v2, v5 offset:248
; %bb.123:
	s_or_b64 exec, exec, s[10:11]
	s_waitcnt lgkmcnt(0)
	ds_bpermute_b32 v3, v7, v2
	v_lshlrev_b32_e32 v1, 2, v1
	v_and_b32_e32 v1, 0x100, v1
	s_waitcnt lgkmcnt(0)
	v_add_f32_e32 v2, v2, v3
	ds_bpermute_b32 v1, v1, v2
	s_and_saveexec_b64 s[4:5], s[6:7]
	s_cbranch_execz .LBB223_126
; %bb.124:
	s_waitcnt lgkmcnt(0)
	v_add_f32_e32 v2, 0x358637bd, v1
	v_div_scale_f32 v1, s[6:7], v2, v2, 1.0
	v_div_scale_f32 v3, vcc, 1.0, v2, 1.0
	s_mov_b64 s[6:7], 0
	v_rcp_f32_e32 v4, v1
	v_fma_f32 v5, -v1, v4, 1.0
	v_fmac_f32_e32 v4, v5, v4
	v_mul_f32_e32 v5, v3, v4
	v_fma_f32 v6, -v1, v5, v3
	v_fmac_f32_e32 v5, v6, v4
	v_fma_f32 v1, -v1, v5, v3
	v_div_fmas_f32 v3, v1, v4, v5
	v_mov_b32_e32 v1, 0x100
	v_lshl_add_u32 v1, v0, 2, v1
	v_div_fixup_f32 v2, v3, v2, 1.0
	v_mov_b32_e32 v3, v0
.LBB223_125:                            ; =>This Inner Loop Header: Depth=1
	ds_read_b32 v4, v1
	v_add_u32_e32 v3, 0x80, v3
	v_cmp_le_i32_e32 vcc, s23, v3
	s_or_b64 s[6:7], vcc, s[6:7]
	s_waitcnt lgkmcnt(0)
	v_mul_f32_e32 v4, v2, v4
	ds_write_b32 v1, v4
	v_add_u32_e32 v1, 0x200, v1
	s_andn2_b64 exec, exec, s[6:7]
	s_cbranch_execnz .LBB223_125
.LBB223_126:
	s_or_b64 exec, exec, s[4:5]
	v_mov_b32_e32 v14, 0
	v_mov_b32_e32 v13, 0
	s_waitcnt lgkmcnt(0)
	s_barrier
	s_and_saveexec_b64 s[6:7], s[2:3]
	s_cbranch_execz .LBB223_234
; %bb.127:
	s_sub_i32 s39, s16, s21
	s_ashr_i32 s2, s20, 31
	s_add_u32 s10, s36, s20
	s_addc_u32 s11, s37, s2
	s_abs_i32 s36, s22
	v_cvt_f32_u32_e32 v1, s36
	s_sub_i32 s3, 0, s36
	v_or_b32_e32 v3, 64, v12
	s_movk_i32 s2, 0x78
	v_rcp_iflag_f32_e32 v1, v1
	v_cmp_gt_u32_e32 vcc, s2, v3
	v_lshlrev_b32_e32 v16, 3, v3
	s_add_i32 s40, s50, -1
	v_mul_f32_e32 v1, 0x4f7ffffe, v1
	v_cvt_u32_f32_e32 v1, v1
	v_and_b32_e32 v5, 60, v8
	s_mov_b32 s12, -1
	s_mov_b32 s37, s17
	v_mul_lo_u32 v4, s3, v1
	s_lshl_b64 s[2:3], s[34:35], 2
	s_add_u32 s2, s30, s2
	s_addc_u32 s3, s31, s3
	v_mul_hi_u32 v3, v1, v4
	s_mov_b32 s13, 0xffffff
	v_lshlrev_b32_e32 v15, 3, v12
	v_mov_b32_e32 v2, 0
	v_add_u32_e32 v17, v1, v3
	v_mov_b32_e32 v1, s3
	v_add_co_u32_e64 v3, s[2:3], s2, v5
	v_addc_co_u32_e64 v4, s[2:3], 0, v1, s[2:3]
	v_mov_b32_e32 v1, 0x100
	v_lshl_add_u32 v18, v10, 5, v1
	s_mov_b64 s[16:17], 0
	s_movk_i32 s41, 0x80
	s_movk_i32 s42, 0x7f
	s_mov_b32 s43, 0x8000
	v_mov_b32_e32 v19, 0x2000
	v_mov_b32_e32 v13, 0
	;; [unrolled: 1-line block ×3, first 2 shown]
	s_branch .LBB223_131
.LBB223_128:                            ;   in Loop: Header=BB223_131 Depth=1
	s_or_b64 exec, exec, s[4:5]
	;;#ASMSTART
	v_pk_mul_f16 v5, v23, v5;

	;;#ASMEND
	;;#ASMSTART
	v_pk_mul_f16 v1, v22, v1;

	;;#ASMEND
	;; [unrolled: 4-line block ×4, first 2 shown]
	;;#ASMSTART
	v_pk_add_f16 v1, v5, v1;

	;;#ASMEND
	;;#ASMSTART
	v_pk_add_f16 v1, v1, v6;

	;;#ASMEND
	;; [unrolled: 4-line block ×3, first 2 shown]
	v_lshrrev_b32_e32 v5, 16, v1
	v_and_b32_e32 v1, 0xffff, v1
	;;#ASMSTART
	v_cvt_f32_f16 v1, v1;
	;;#ASMEND
	;;#ASMSTART
	v_cvt_f32_f16 v5, v5;
	;;#ASMEND
	v_add_f32_e32 v1, v1, v5
	v_add_f32_e32 v13, v13, v1
.LBB223_129:                            ;   in Loop: Header=BB223_131 Depth=1
	s_or_b64 exec, exec, s[20:21]
	v_add_f32_e32 v1, v7, v8
	v_add_f32_e32 v14, v14, v1
.LBB223_130:                            ;   in Loop: Header=BB223_131 Depth=1
	s_or_b64 exec, exec, s[18:19]
	v_add_co_u32_e64 v3, s[2:3], 8, v3
	v_add_u32_e32 v10, 2, v10
	v_addc_co_u32_e64 v4, s[2:3], 0, v4, s[2:3]
	v_cmp_le_i32_e64 s[2:3], s50, v10
	v_add_u32_e32 v11, 16, v11
	s_or_b64 s[16:17], s[2:3], s[16:17]
	v_add_u32_e32 v18, 64, v18
	s_andn2_b64 exec, exec, s[16:17]
	s_cbranch_execz .LBB223_233
.LBB223_131:                            ; =>This Inner Loop Header: Depth=1
	v_mul_hi_u32 v1, v11, s48
	v_mul_lo_u32 v5, v1, s33
	v_add_u32_e32 v6, 1, v1
	v_sub_u32_e32 v5, v11, v5
	v_cmp_le_u32_e64 s[2:3], s33, v5
	v_cndmask_b32_e64 v1, v1, v6, s[2:3]
	v_subrev_u32_e32 v6, s33, v5
	v_cndmask_b32_e64 v5, v5, v6, s[2:3]
	v_add_u32_e32 v6, 1, v1
	v_cmp_le_u32_e64 s[2:3], s33, v5
	v_cndmask_b32_e64 v1, v1, v6, s[2:3]
	v_xor_b32_e32 v1, s49, v1
	v_subrev_u32_e32 v1, s49, v1
	v_add_u32_e32 v5, s38, v1
	v_sub_u32_e32 v6, 0, v5
	v_max_i32_e32 v6, v5, v6
	v_mul_hi_u32 v7, v6, v17
	v_ashrrev_i32_e32 v5, 31, v5
	v_cmp_lt_i32_e64 s[4:5], s39, v1
	v_mul_lo_u32 v7, v7, s36
	v_sub_u32_e32 v6, v6, v7
	v_subrev_u32_e32 v7, s36, v6
	v_cmp_le_u32_e64 s[2:3], s36, v6
	v_cndmask_b32_e64 v6, v6, v7, s[2:3]
	v_subrev_u32_e32 v7, s36, v6
	v_cmp_le_u32_e64 s[2:3], s36, v6
	v_cndmask_b32_e64 v6, v6, v7, s[2:3]
	v_xor_b32_e32 v6, v6, v5
	v_sub_u32_e32 v5, v6, v5
	v_cmp_eq_u32_e64 s[2:3], 0, v5
	s_or_b64 s[2:3], s[2:3], s[4:5]
	s_and_saveexec_b64 s[18:19], s[2:3]
	s_cbranch_execz .LBB223_130
; %bb.132:                              ;   in Loop: Header=BB223_131 Depth=1
	global_load_dword v1, v[3:4], off
	ds_read2_b64 v[5:8], v18 offset1:1
	ds_read2_b64 v[25:28], v18 offset0:2 offset1:3
	v_mov_b32_e32 v30, s11
	v_mov_b32_e32 v29, s10
	s_waitcnt lgkmcnt(1)
	;;#ASMSTART
	v_cvt_f16_f32 v20, v5;

	;;#ASMEND
	;;#ASMSTART
	v_cvt_f16_f32 v21, v6;

	;;#ASMEND
	;; [unrolled: 4-line block ×4, first 2 shown]
	s_waitcnt lgkmcnt(0)
	;;#ASMSTART
	v_cvt_f16_f32 v25, v25;

	;;#ASMEND
	;;#ASMSTART
	v_cvt_f16_f32 v26, v26;

	;;#ASMEND
	;; [unrolled: 4-line block ×4, first 2 shown]
	s_waitcnt vmcnt(0)
	v_mad_i64_i32 v[5:6], s[2:3], v1, s37, v[29:30]
	v_mov_b32_e32 v29, 0
	global_load_dword v23, v29, s[14:15]
	v_add_co_u32_e64 v7, s[2:3], v5, v15
	v_addc_co_u32_e64 v8, s[2:3], 0, v6, s[2:3]
	global_load_dwordx2 v[7:8], v[7:8], off
	v_mov_b32_e32 v30, 0
	s_waitcnt vmcnt(0)
	v_cmp_ne_u16_sdwa s[2:3], v7, v2 src0_sel:BYTE_0 src1_sel:DWORD
	s_and_saveexec_b64 s[4:5], s[2:3]
	s_cbranch_execz .LBB223_138
; %bb.133:                              ;   in Loop: Header=BB223_131 Depth=1
	v_cmp_ne_u16_sdwa s[2:3], v7, s41 src0_sel:BYTE_0 src1_sel:DWORD
	v_mov_b32_e32 v30, 0x8000
	s_and_saveexec_b64 s[20:21], s[2:3]
	s_cbranch_execz .LBB223_137
; %bb.134:                              ;   in Loop: Header=BB223_131 Depth=1
	v_and_b32_e32 v1, 0x7f, v7
	v_cmp_ne_u32_e64 s[2:3], s42, v1
	v_mov_b32_e32 v30, 0x7c01
	s_and_saveexec_b64 s[22:23], s[2:3]
	s_cbranch_execz .LBB223_136
; %bb.135:                              ;   in Loop: Header=BB223_131 Depth=1
	v_and_b32_e32 v32, 7, v7
	v_ffbh_u32_e32 v30, v32
	v_min_u32_e32 v34, 32, v30
	v_subrev_u32_e32 v30, 28, v34
	v_lshlrev_b64 v[30:31], v30, v[7:8]
	v_lshrrev_b32_e32 v33, 3, v1
	v_sub_u32_e32 v31, 29, v34
	v_cmp_gt_u32_e64 s[2:3], 8, v1
	v_cndmask_b32_e64 v1, v33, v31, s[2:3]
	v_lshl_add_u32 v1, v1, 10, v19
	v_lshlrev_b32_e32 v31, 8, v7
	v_and_b32_e32 v30, 7, v30
	v_and_b32_e32 v1, 0xfc00, v1
	v_cndmask_b32_e64 v30, v32, v30, s[2:3]
	v_and_or_b32 v1, v31, s43, v1
	v_lshl_or_b32 v30, v30, 7, v1
.LBB223_136:                            ;   in Loop: Header=BB223_131 Depth=1
	s_or_b64 exec, exec, s[22:23]
.LBB223_137:                            ;   in Loop: Header=BB223_131 Depth=1
	s_or_b64 exec, exec, s[20:21]
.LBB223_138:                            ;   in Loop: Header=BB223_131 Depth=1
	s_or_b64 exec, exec, s[4:5]
	v_lshrrev_b16_e32 v1, 8, v7
	v_cmp_ne_u16_e64 s[2:3], 0, v1
	s_and_saveexec_b64 s[4:5], s[2:3]
	s_cbranch_execz .LBB223_144
; %bb.139:                              ;   in Loop: Header=BB223_131 Depth=1
	v_cmp_ne_u16_e64 s[2:3], s41, v1
	v_bfrev_b32_e32 v29, 1
	s_and_saveexec_b64 s[20:21], s[2:3]
	s_cbranch_execz .LBB223_143
; %bb.140:                              ;   in Loop: Header=BB223_131 Depth=1
	v_and_b32_e32 v31, 0x7f, v1
	v_cmp_ne_u32_e64 s[2:3], s42, v31
	v_mov_b32_e32 v29, 0x7c010000
	s_and_saveexec_b64 s[22:23], s[2:3]
	s_cbranch_execz .LBB223_142
; %bb.141:                              ;   in Loop: Header=BB223_131 Depth=1
	v_and_b32_e32 v29, 7, v1
	v_ffbh_u32_e32 v32, v29
	v_min_u32_e32 v35, 32, v32
	v_subrev_u32_e32 v32, 28, v35
	v_lshlrev_b64 v[32:33], v32, v[1:2]
	v_lshrrev_b32_e32 v34, 3, v31
	v_sub_u32_e32 v33, 29, v35
	v_cmp_gt_u32_e64 s[2:3], 8, v31
	v_cndmask_b32_e64 v31, v34, v33, s[2:3]
	v_lshlrev_b32_e32 v1, 8, v1
	v_lshl_add_u32 v31, v31, 10, v19
	v_and_b32_e32 v32, 7, v32
	v_and_or_b32 v1, v1, s43, v31
	v_cndmask_b32_e64 v29, v29, v32, s[2:3]
	v_lshlrev_b32_e32 v1, 16, v1
	v_lshl_or_b32 v29, v29, 23, v1
.LBB223_142:                            ;   in Loop: Header=BB223_131 Depth=1
	s_or_b64 exec, exec, s[22:23]
.LBB223_143:                            ;   in Loop: Header=BB223_131 Depth=1
	s_or_b64 exec, exec, s[20:21]
.LBB223_144:                            ;   in Loop: Header=BB223_131 Depth=1
	s_or_b64 exec, exec, s[4:5]
	v_lshrrev_b32_e32 v1, 16, v7
	v_cmp_ne_u16_sdwa s[2:3], v1, v2 src0_sel:BYTE_0 src1_sel:DWORD
	v_mov_b32_e32 v31, 0
	v_mov_b32_e32 v32, 0
	s_and_saveexec_b64 s[4:5], s[2:3]
	s_cbranch_execz .LBB223_150
; %bb.145:                              ;   in Loop: Header=BB223_131 Depth=1
	v_cmp_ne_u16_sdwa s[2:3], v1, s41 src0_sel:BYTE_0 src1_sel:DWORD
	v_mov_b32_e32 v32, 0x8000
	s_and_saveexec_b64 s[20:21], s[2:3]
	s_cbranch_execz .LBB223_149
; %bb.146:                              ;   in Loop: Header=BB223_131 Depth=1
	v_bfe_u32 v33, v7, 16, 7
	v_cmp_ne_u32_e64 s[2:3], s42, v33
	v_mov_b32_e32 v32, 0x7c01
	s_and_saveexec_b64 s[22:23], s[2:3]
	s_cbranch_execz .LBB223_148
; %bb.147:                              ;   in Loop: Header=BB223_131 Depth=1
	v_and_b32_e32 v32, 7, v1
	v_ffbh_u32_e32 v34, v32
	v_min_u32_e32 v37, 32, v34
	v_subrev_u32_e32 v34, 28, v37
	v_lshlrev_b64 v[34:35], v34, v[1:2]
	v_lshrrev_b32_e32 v36, 3, v33
	v_sub_u32_e32 v35, 29, v37
	v_cmp_gt_u32_e64 s[2:3], 8, v33
	v_cndmask_b32_e64 v33, v36, v35, s[2:3]
	v_lshl_add_u32 v33, v33, 10, v19
	v_lshlrev_b32_e32 v1, 8, v1
	v_and_b32_e32 v34, 7, v34
	v_and_b32_e32 v33, 0xfc00, v33
	v_cndmask_b32_e64 v32, v32, v34, s[2:3]
	v_and_or_b32 v1, v1, s43, v33
	v_lshl_or_b32 v32, v32, 7, v1
.LBB223_148:                            ;   in Loop: Header=BB223_131 Depth=1
	s_or_b64 exec, exec, s[22:23]
.LBB223_149:                            ;   in Loop: Header=BB223_131 Depth=1
	s_or_b64 exec, exec, s[20:21]
.LBB223_150:                            ;   in Loop: Header=BB223_131 Depth=1
	s_or_b64 exec, exec, s[4:5]
	v_cmp_lt_u32_e64 s[2:3], s13, v7
	s_and_saveexec_b64 s[4:5], s[2:3]
	s_cbranch_execz .LBB223_156
; %bb.151:                              ;   in Loop: Header=BB223_131 Depth=1
	v_lshrrev_b32_e32 v1, 24, v7
	v_cmp_ne_u32_e64 s[2:3], s41, v1
	v_bfrev_b32_e32 v31, 1
	s_and_saveexec_b64 s[20:21], s[2:3]
	s_cbranch_execz .LBB223_155
; %bb.152:                              ;   in Loop: Header=BB223_131 Depth=1
	v_and_b32_e32 v33, 0x7f, v1
	v_cmp_ne_u32_e64 s[2:3], s42, v33
	v_mov_b32_e32 v31, 0x7c010000
	s_and_saveexec_b64 s[22:23], s[2:3]
	s_cbranch_execz .LBB223_154
; %bb.153:                              ;   in Loop: Header=BB223_131 Depth=1
	v_and_b32_e32 v31, 7, v1
	v_ffbh_u32_e32 v34, v31
	v_min_u32_e32 v37, 32, v34
	v_subrev_u32_e32 v34, 28, v37
	v_lshlrev_b64 v[34:35], v34, v[1:2]
	v_lshrrev_b32_e32 v36, 3, v33
	v_sub_u32_e32 v35, 29, v37
	v_cmp_gt_u32_e64 s[2:3], 8, v33
	v_cndmask_b32_e64 v33, v36, v35, s[2:3]
	v_lshlrev_b32_e32 v1, 8, v1
	v_lshl_add_u32 v33, v33, 10, v19
	v_and_b32_e32 v34, 7, v34
	v_and_or_b32 v1, v1, s43, v33
	v_cndmask_b32_e64 v31, v31, v34, s[2:3]
	v_lshlrev_b32_e32 v1, 16, v1
	v_lshl_or_b32 v31, v31, 23, v1
.LBB223_154:                            ;   in Loop: Header=BB223_131 Depth=1
	s_or_b64 exec, exec, s[22:23]
.LBB223_155:                            ;   in Loop: Header=BB223_131 Depth=1
	s_or_b64 exec, exec, s[20:21]
.LBB223_156:                            ;   in Loop: Header=BB223_131 Depth=1
	s_or_b64 exec, exec, s[4:5]
	v_mov_b32_e32 v1, v8
	v_cmp_ne_u16_sdwa s[2:3], v8, v2 src0_sel:BYTE_0 src1_sel:DWORD
	v_mov_b32_e32 v33, 0
	v_mov_b32_e32 v34, 0
	s_and_saveexec_b64 s[4:5], s[2:3]
	s_cbranch_execz .LBB223_162
; %bb.157:                              ;   in Loop: Header=BB223_131 Depth=1
	v_cmp_ne_u16_sdwa s[2:3], v8, s41 src0_sel:BYTE_0 src1_sel:DWORD
	v_mov_b32_e32 v34, 0x8000
	s_and_saveexec_b64 s[20:21], s[2:3]
	s_cbranch_execz .LBB223_161
; %bb.158:                              ;   in Loop: Header=BB223_131 Depth=1
	v_and_b32_e32 v35, 0x7f, v8
	v_cmp_ne_u32_e64 s[2:3], s42, v35
	v_mov_b32_e32 v34, 0x7c01
	s_and_saveexec_b64 s[22:23], s[2:3]
	s_cbranch_execz .LBB223_160
; %bb.159:                              ;   in Loop: Header=BB223_131 Depth=1
	v_and_b32_e32 v34, 7, v8
	v_ffbh_u32_e32 v36, v34
	v_min_u32_e32 v39, 32, v36
	v_subrev_u32_e32 v36, 28, v39
	v_lshlrev_b64 v[36:37], v36, v[1:2]
	v_lshrrev_b32_e32 v38, 3, v35
	v_sub_u32_e32 v37, 29, v39
	v_cmp_gt_u32_e64 s[2:3], 8, v35
	v_cndmask_b32_e64 v35, v38, v37, s[2:3]
	v_lshl_add_u32 v35, v35, 10, v19
	v_lshlrev_b32_e32 v37, 8, v8
	v_and_b32_e32 v36, 7, v36
	v_and_b32_e32 v35, 0xfc00, v35
	v_cndmask_b32_e64 v34, v34, v36, s[2:3]
	v_and_or_b32 v35, v37, s43, v35
	v_lshl_or_b32 v34, v34, 7, v35
.LBB223_160:                            ;   in Loop: Header=BB223_131 Depth=1
	s_or_b64 exec, exec, s[22:23]
.LBB223_161:                            ;   in Loop: Header=BB223_131 Depth=1
	s_or_b64 exec, exec, s[20:21]
.LBB223_162:                            ;   in Loop: Header=BB223_131 Depth=1
	s_or_b64 exec, exec, s[4:5]
	v_lshrrev_b16_e32 v1, 8, v1
	v_cmp_ne_u16_e64 s[2:3], 0, v1
	v_mov_b32_e32 v35, 0
	s_and_saveexec_b64 s[4:5], s[2:3]
	s_cbranch_execz .LBB223_168
; %bb.163:                              ;   in Loop: Header=BB223_131 Depth=1
	v_cmp_ne_u16_e64 s[2:3], s41, v1
	v_bfrev_b32_e32 v35, 1
	s_and_saveexec_b64 s[20:21], s[2:3]
	s_cbranch_execz .LBB223_167
; %bb.164:                              ;   in Loop: Header=BB223_131 Depth=1
	v_and_b32_e32 v36, 0x7f, v1
	v_cmp_ne_u32_e64 s[2:3], s42, v36
	v_mov_b32_e32 v35, 0x7c010000
	s_and_saveexec_b64 s[22:23], s[2:3]
	s_cbranch_execz .LBB223_166
; %bb.165:                              ;   in Loop: Header=BB223_131 Depth=1
	v_and_b32_e32 v35, 7, v1
	v_ffbh_u32_e32 v37, v35
	v_min_u32_e32 v40, 32, v37
	v_subrev_u32_e32 v37, 28, v40
	v_lshlrev_b64 v[37:38], v37, v[1:2]
	v_lshrrev_b32_e32 v39, 3, v36
	v_sub_u32_e32 v38, 29, v40
	v_cmp_gt_u32_e64 s[2:3], 8, v36
	v_cndmask_b32_e64 v36, v39, v38, s[2:3]
	v_lshlrev_b32_e32 v1, 8, v1
	v_lshl_add_u32 v36, v36, 10, v19
	v_and_b32_e32 v37, 7, v37
	v_and_or_b32 v1, v1, s43, v36
	v_cndmask_b32_e64 v35, v35, v37, s[2:3]
	v_lshlrev_b32_e32 v1, 16, v1
	v_lshl_or_b32 v35, v35, 23, v1
.LBB223_166:                            ;   in Loop: Header=BB223_131 Depth=1
	s_or_b64 exec, exec, s[22:23]
.LBB223_167:                            ;   in Loop: Header=BB223_131 Depth=1
	s_or_b64 exec, exec, s[20:21]
.LBB223_168:                            ;   in Loop: Header=BB223_131 Depth=1
	s_or_b64 exec, exec, s[4:5]
	v_lshrrev_b32_e32 v1, 16, v8
	v_cmp_ne_u16_sdwa s[2:3], v1, v2 src0_sel:BYTE_0 src1_sel:DWORD
	s_and_saveexec_b64 s[4:5], s[2:3]
	s_cbranch_execz .LBB223_174
; %bb.169:                              ;   in Loop: Header=BB223_131 Depth=1
	v_cmp_ne_u16_sdwa s[2:3], v1, s41 src0_sel:BYTE_0 src1_sel:DWORD
	v_mov_b32_e32 v33, 0x8000
	s_and_saveexec_b64 s[20:21], s[2:3]
	s_cbranch_execz .LBB223_173
; %bb.170:                              ;   in Loop: Header=BB223_131 Depth=1
	v_bfe_u32 v36, v8, 16, 7
	v_cmp_ne_u32_e64 s[2:3], s42, v36
	v_mov_b32_e32 v33, 0x7c01
	s_and_saveexec_b64 s[22:23], s[2:3]
	s_cbranch_execz .LBB223_172
; %bb.171:                              ;   in Loop: Header=BB223_131 Depth=1
	v_and_b32_e32 v33, 7, v1
	v_ffbh_u32_e32 v37, v33
	v_min_u32_e32 v40, 32, v37
	v_subrev_u32_e32 v37, 28, v40
	v_lshlrev_b64 v[37:38], v37, v[1:2]
	v_lshrrev_b32_e32 v39, 3, v36
	v_sub_u32_e32 v38, 29, v40
	v_cmp_gt_u32_e64 s[2:3], 8, v36
	v_cndmask_b32_e64 v36, v39, v38, s[2:3]
	v_lshl_add_u32 v36, v36, 10, v19
	v_lshlrev_b32_e32 v1, 8, v1
	v_and_b32_e32 v37, 7, v37
	v_and_b32_e32 v36, 0xfc00, v36
	v_cndmask_b32_e64 v33, v33, v37, s[2:3]
	v_and_or_b32 v1, v1, s43, v36
	v_lshl_or_b32 v33, v33, 7, v1
.LBB223_172:                            ;   in Loop: Header=BB223_131 Depth=1
	s_or_b64 exec, exec, s[22:23]
.LBB223_173:                            ;   in Loop: Header=BB223_131 Depth=1
	s_or_b64 exec, exec, s[20:21]
.LBB223_174:                            ;   in Loop: Header=BB223_131 Depth=1
	s_or_b64 exec, exec, s[4:5]
	v_cmp_lt_u64_e64 s[2:3], s[12:13], v[7:8]
	v_mov_b32_e32 v36, 0
	s_and_saveexec_b64 s[4:5], s[2:3]
	s_cbranch_execz .LBB223_180
; %bb.175:                              ;   in Loop: Header=BB223_131 Depth=1
	v_lshrrev_b32_e32 v1, 24, v8
	v_cmp_ne_u32_e64 s[2:3], s41, v1
	v_bfrev_b32_e32 v36, 1
	s_and_saveexec_b64 s[20:21], s[2:3]
	s_cbranch_execz .LBB223_179
; %bb.176:                              ;   in Loop: Header=BB223_131 Depth=1
	v_and_b32_e32 v7, 0x7f, v1
	v_cmp_ne_u32_e64 s[2:3], s42, v7
	v_mov_b32_e32 v36, 0x7c010000
	s_and_saveexec_b64 s[22:23], s[2:3]
	s_cbranch_execz .LBB223_178
; %bb.177:                              ;   in Loop: Header=BB223_131 Depth=1
	v_and_b32_e32 v8, 7, v1
	v_ffbh_u32_e32 v36, v8
	v_min_u32_e32 v39, 32, v36
	v_subrev_u32_e32 v36, 28, v39
	v_lshlrev_b64 v[36:37], v36, v[1:2]
	v_lshrrev_b32_e32 v38, 3, v7
	v_sub_u32_e32 v37, 29, v39
	v_cmp_gt_u32_e64 s[2:3], 8, v7
	v_cndmask_b32_e64 v7, v38, v37, s[2:3]
	v_lshlrev_b32_e32 v1, 8, v1
	v_lshl_add_u32 v7, v7, 10, v19
	v_and_b32_e32 v36, 7, v36
	v_and_or_b32 v1, v1, s43, v7
	v_cndmask_b32_e64 v8, v8, v36, s[2:3]
	v_lshlrev_b32_e32 v1, 16, v1
	v_lshl_or_b32 v36, v8, 23, v1
.LBB223_178:                            ;   in Loop: Header=BB223_131 Depth=1
	s_or_b64 exec, exec, s[22:23]
.LBB223_179:                            ;   in Loop: Header=BB223_131 Depth=1
	s_or_b64 exec, exec, s[20:21]
.LBB223_180:                            ;   in Loop: Header=BB223_131 Depth=1
	s_or_b64 exec, exec, s[4:5]
	v_fma_mixlo_f16 v7, v23, v31, 0 op_sel:[0,1,0] op_sel_hi:[0,1,0]
	v_fma_mixlo_f16 v8, v23, v29, 0 op_sel:[0,1,0] op_sel_hi:[0,1,0]
	v_or_b32_e32 v1, v31, v32
	v_lshlrev_b32_e32 v31, 16, v7
	v_or_b32_e32 v7, v29, v30
	v_lshlrev_b32_e32 v37, 16, v8
	v_or_b32_e32 v8, v35, v34
	v_or_b32_e32 v30, v36, v33
	v_fma_mixlo_f16 v1, v23, v1, 0 op_sel_hi:[0,1,0]
	v_fma_mixlo_f16 v7, v23, v7, 0 op_sel_hi:[0,1,0]
	v_fma_mixlo_f16 v29, v23, v35, 0 op_sel:[0,1,0] op_sel_hi:[0,1,0]
	v_fma_mixlo_f16 v8, v23, v8, 0 op_sel_hi:[0,1,0]
	v_fma_mixlo_f16 v30, v23, v30, 0 op_sel_hi:[0,1,0]
	v_fma_mixlo_f16 v23, v23, v36, 0 op_sel:[0,1,0] op_sel_hi:[0,1,0]
	v_and_b32_e32 v32, 0xffff, v1
	v_and_b32_e32 v38, 0xffff, v7
	v_lshlrev_b32_e32 v29, 16, v29
	v_and_b32_e32 v34, 0xffff, v8
	v_lshlrev_b32_e32 v23, 16, v23
	v_and_b32_e32 v30, 0xffff, v30
	v_cmp_eq_u32_e64 s[2:3], s40, v10
	v_or_b32_e32 v1, v31, v32
	v_or_b32_e32 v7, v37, v38
	v_or_b32_e32 v8, v29, v34
	v_or_b32_e32 v33, v23, v30
	s_and_saveexec_b64 s[20:21], s[2:3]
	s_cbranch_execz .LBB223_182
; %bb.181:                              ;   in Loop: Header=BB223_131 Depth=1
	v_cmp_gt_i32_e64 s[4:5], s25, v11
	v_add_u32_e32 v7, 1, v11
	v_cndmask_b32_e64 v1, 0, v38, s[4:5]
	v_cmp_gt_i32_e64 s[4:5], s25, v7
	v_cndmask_b32_e64 v7, 0, v37, s[4:5]
	v_or_b32_e32 v7, v7, v1
	v_add_u32_e32 v1, 2, v11
	v_cmp_gt_i32_e64 s[4:5], s25, v1
	v_add_u32_e32 v8, 3, v11
	v_cndmask_b32_e64 v1, 0, v32, s[4:5]
	v_cmp_gt_i32_e64 s[4:5], s25, v8
	v_cndmask_b32_e64 v8, 0, v31, s[4:5]
	v_or_b32_e32 v1, v8, v1
	v_add_u32_e32 v8, 4, v11
	;; [unrolled: 7-line block ×3, first 2 shown]
	v_cmp_gt_i32_e64 s[4:5], s25, v29
	v_cndmask_b32_e64 v29, 0, v30, s[4:5]
	v_add_u32_e32 v30, 7, v11
	v_cmp_gt_i32_e64 s[4:5], s25, v30
	v_cndmask_b32_e64 v23, 0, v23, s[4:5]
	v_or_b32_e32 v33, v23, v29
.LBB223_182:                            ;   in Loop: Header=BB223_131 Depth=1
	s_or_b64 exec, exec, s[20:21]
	v_and_b32_e32 v20, 0xffff, v20
	v_lshl_or_b32 v23, v21, 16, v20
	v_and_b32_e32 v20, 0xffff, v22
	v_lshl_or_b32 v22, v24, 16, v20
	;; [unrolled: 2-line block ×3, first 2 shown]
	v_and_b32_e32 v20, 0xffff, v27
	;;#ASMSTART
	v_pk_mul_f16 v7, v23, v7;

	;;#ASMEND
	;;#ASMSTART
	v_pk_mul_f16 v1, v22, v1;

	;;#ASMEND
	v_lshl_or_b32 v20, v28, 16, v20
	;;#ASMSTART
	v_pk_mul_f16 v8, v21, v8;

	;;#ASMEND
	;;#ASMSTART
	v_pk_mul_f16 v24, v20, v33;

	;;#ASMEND
	;;#ASMSTART
	v_pk_add_f16 v1, v7, v1;

	;;#ASMEND
	;;#ASMSTART
	v_pk_add_f16 v1, v1, v8;
	;; [unrolled: 4-line block ×3, first 2 shown]

	;;#ASMEND
	v_lshrrev_b32_e32 v8, 16, v1
	v_and_b32_e32 v1, 0xffff, v1
	;;#ASMSTART
	v_cvt_f32_f16 v7, v1;
	;;#ASMEND
	;;#ASMSTART
	v_cvt_f32_f16 v8, v8;
	;;#ASMEND
	s_and_saveexec_b64 s[20:21], vcc
	s_cbranch_execz .LBB223_129
; %bb.183:                              ;   in Loop: Header=BB223_131 Depth=1
	v_add_co_u32_e64 v5, s[4:5], v5, v16
	v_addc_co_u32_e64 v6, s[4:5], 0, v6, s[4:5]
	global_load_dwordx2 v[5:6], v[5:6], off
	v_mov_b32_e32 v25, 0
	global_load_dword v24, v25, s[14:15]
	v_mov_b32_e32 v26, 0
	s_waitcnt vmcnt(1)
	v_cmp_ne_u16_sdwa s[4:5], v5, v2 src0_sel:BYTE_0 src1_sel:DWORD
	s_and_saveexec_b64 s[22:23], s[4:5]
	s_cbranch_execz .LBB223_189
; %bb.184:                              ;   in Loop: Header=BB223_131 Depth=1
	v_cmp_ne_u16_sdwa s[4:5], v5, s41 src0_sel:BYTE_0 src1_sel:DWORD
	v_mov_b32_e32 v26, 0x8000
	s_and_saveexec_b64 s[30:31], s[4:5]
	s_cbranch_execz .LBB223_188
; %bb.185:                              ;   in Loop: Header=BB223_131 Depth=1
	v_and_b32_e32 v1, 0x7f, v5
	v_cmp_ne_u32_e64 s[4:5], s42, v1
	v_mov_b32_e32 v26, 0x7c01
	s_and_saveexec_b64 s[34:35], s[4:5]
	s_cbranch_execz .LBB223_187
; %bb.186:                              ;   in Loop: Header=BB223_131 Depth=1
	v_and_b32_e32 v28, 7, v5
	v_ffbh_u32_e32 v26, v28
	v_min_u32_e32 v30, 32, v26
	v_subrev_u32_e32 v26, 28, v30
	v_lshlrev_b64 v[26:27], v26, v[5:6]
	v_lshrrev_b32_e32 v29, 3, v1
	v_sub_u32_e32 v27, 29, v30
	v_cmp_gt_u32_e64 s[4:5], 8, v1
	v_cndmask_b32_e64 v1, v29, v27, s[4:5]
	v_lshl_add_u32 v1, v1, 10, v19
	v_lshlrev_b32_e32 v27, 8, v5
	v_and_b32_e32 v26, 7, v26
	v_and_b32_e32 v1, 0xfc00, v1
	v_cndmask_b32_e64 v26, v28, v26, s[4:5]
	v_and_or_b32 v1, v27, s43, v1
	v_lshl_or_b32 v26, v26, 7, v1
.LBB223_187:                            ;   in Loop: Header=BB223_131 Depth=1
	s_or_b64 exec, exec, s[34:35]
.LBB223_188:                            ;   in Loop: Header=BB223_131 Depth=1
	s_or_b64 exec, exec, s[30:31]
.LBB223_189:                            ;   in Loop: Header=BB223_131 Depth=1
	s_or_b64 exec, exec, s[22:23]
	v_lshrrev_b16_e32 v1, 8, v5
	v_cmp_ne_u16_e64 s[4:5], 0, v1
	s_and_saveexec_b64 s[22:23], s[4:5]
	s_cbranch_execz .LBB223_195
; %bb.190:                              ;   in Loop: Header=BB223_131 Depth=1
	v_cmp_ne_u16_e64 s[4:5], s41, v1
	v_bfrev_b32_e32 v25, 1
	s_and_saveexec_b64 s[30:31], s[4:5]
	s_cbranch_execz .LBB223_194
; %bb.191:                              ;   in Loop: Header=BB223_131 Depth=1
	v_and_b32_e32 v27, 0x7f, v1
	v_cmp_ne_u32_e64 s[4:5], s42, v27
	v_mov_b32_e32 v25, 0x7c010000
	s_and_saveexec_b64 s[34:35], s[4:5]
	s_cbranch_execz .LBB223_193
; %bb.192:                              ;   in Loop: Header=BB223_131 Depth=1
	v_and_b32_e32 v25, 7, v1
	v_ffbh_u32_e32 v28, v25
	v_min_u32_e32 v31, 32, v28
	v_subrev_u32_e32 v28, 28, v31
	v_lshlrev_b64 v[28:29], v28, v[1:2]
	v_lshrrev_b32_e32 v30, 3, v27
	v_sub_u32_e32 v29, 29, v31
	v_cmp_gt_u32_e64 s[4:5], 8, v27
	v_cndmask_b32_e64 v27, v30, v29, s[4:5]
	v_lshlrev_b32_e32 v1, 8, v1
	v_lshl_add_u32 v27, v27, 10, v19
	v_and_b32_e32 v28, 7, v28
	v_and_or_b32 v1, v1, s43, v27
	v_cndmask_b32_e64 v25, v25, v28, s[4:5]
	v_lshlrev_b32_e32 v1, 16, v1
	v_lshl_or_b32 v25, v25, 23, v1
.LBB223_193:                            ;   in Loop: Header=BB223_131 Depth=1
	s_or_b64 exec, exec, s[34:35]
.LBB223_194:                            ;   in Loop: Header=BB223_131 Depth=1
	s_or_b64 exec, exec, s[30:31]
.LBB223_195:                            ;   in Loop: Header=BB223_131 Depth=1
	s_or_b64 exec, exec, s[22:23]
	v_lshrrev_b32_e32 v1, 16, v5
	v_cmp_ne_u16_sdwa s[4:5], v1, v2 src0_sel:BYTE_0 src1_sel:DWORD
	v_mov_b32_e32 v27, 0
	v_mov_b32_e32 v28, 0
	s_and_saveexec_b64 s[22:23], s[4:5]
	s_cbranch_execz .LBB223_201
; %bb.196:                              ;   in Loop: Header=BB223_131 Depth=1
	v_cmp_ne_u16_sdwa s[4:5], v1, s41 src0_sel:BYTE_0 src1_sel:DWORD
	v_mov_b32_e32 v28, 0x8000
	s_and_saveexec_b64 s[30:31], s[4:5]
	s_cbranch_execz .LBB223_200
; %bb.197:                              ;   in Loop: Header=BB223_131 Depth=1
	v_bfe_u32 v29, v5, 16, 7
	v_cmp_ne_u32_e64 s[4:5], s42, v29
	v_mov_b32_e32 v28, 0x7c01
	s_and_saveexec_b64 s[34:35], s[4:5]
	s_cbranch_execz .LBB223_199
; %bb.198:                              ;   in Loop: Header=BB223_131 Depth=1
	v_and_b32_e32 v28, 7, v1
	v_ffbh_u32_e32 v30, v28
	v_min_u32_e32 v33, 32, v30
	v_subrev_u32_e32 v30, 28, v33
	v_lshlrev_b64 v[30:31], v30, v[1:2]
	v_lshrrev_b32_e32 v32, 3, v29
	v_sub_u32_e32 v31, 29, v33
	v_cmp_gt_u32_e64 s[4:5], 8, v29
	v_cndmask_b32_e64 v29, v32, v31, s[4:5]
	v_lshl_add_u32 v29, v29, 10, v19
	v_lshlrev_b32_e32 v1, 8, v1
	v_and_b32_e32 v30, 7, v30
	v_and_b32_e32 v29, 0xfc00, v29
	v_cndmask_b32_e64 v28, v28, v30, s[4:5]
	v_and_or_b32 v1, v1, s43, v29
	v_lshl_or_b32 v28, v28, 7, v1
.LBB223_199:                            ;   in Loop: Header=BB223_131 Depth=1
	s_or_b64 exec, exec, s[34:35]
.LBB223_200:                            ;   in Loop: Header=BB223_131 Depth=1
	s_or_b64 exec, exec, s[30:31]
.LBB223_201:                            ;   in Loop: Header=BB223_131 Depth=1
	s_or_b64 exec, exec, s[22:23]
	v_cmp_lt_u32_e64 s[4:5], s13, v5
	s_and_saveexec_b64 s[22:23], s[4:5]
	s_cbranch_execz .LBB223_207
; %bb.202:                              ;   in Loop: Header=BB223_131 Depth=1
	v_lshrrev_b32_e32 v1, 24, v5
	v_cmp_ne_u32_e64 s[4:5], s41, v1
	v_bfrev_b32_e32 v27, 1
	s_and_saveexec_b64 s[30:31], s[4:5]
	s_cbranch_execz .LBB223_206
; %bb.203:                              ;   in Loop: Header=BB223_131 Depth=1
	v_and_b32_e32 v29, 0x7f, v1
	v_cmp_ne_u32_e64 s[4:5], s42, v29
	v_mov_b32_e32 v27, 0x7c010000
	s_and_saveexec_b64 s[34:35], s[4:5]
	s_cbranch_execz .LBB223_205
; %bb.204:                              ;   in Loop: Header=BB223_131 Depth=1
	v_and_b32_e32 v27, 7, v1
	v_ffbh_u32_e32 v30, v27
	v_min_u32_e32 v33, 32, v30
	v_subrev_u32_e32 v30, 28, v33
	v_lshlrev_b64 v[30:31], v30, v[1:2]
	v_lshrrev_b32_e32 v32, 3, v29
	v_sub_u32_e32 v31, 29, v33
	v_cmp_gt_u32_e64 s[4:5], 8, v29
	v_cndmask_b32_e64 v29, v32, v31, s[4:5]
	v_lshlrev_b32_e32 v1, 8, v1
	v_lshl_add_u32 v29, v29, 10, v19
	v_and_b32_e32 v30, 7, v30
	v_and_or_b32 v1, v1, s43, v29
	v_cndmask_b32_e64 v27, v27, v30, s[4:5]
	v_lshlrev_b32_e32 v1, 16, v1
	v_lshl_or_b32 v27, v27, 23, v1
.LBB223_205:                            ;   in Loop: Header=BB223_131 Depth=1
	s_or_b64 exec, exec, s[34:35]
.LBB223_206:                            ;   in Loop: Header=BB223_131 Depth=1
	s_or_b64 exec, exec, s[30:31]
.LBB223_207:                            ;   in Loop: Header=BB223_131 Depth=1
	s_or_b64 exec, exec, s[22:23]
	v_mov_b32_e32 v1, v6
	v_cmp_ne_u16_sdwa s[4:5], v6, v2 src0_sel:BYTE_0 src1_sel:DWORD
	v_mov_b32_e32 v29, 0
	v_mov_b32_e32 v30, 0
	s_and_saveexec_b64 s[22:23], s[4:5]
	s_cbranch_execz .LBB223_213
; %bb.208:                              ;   in Loop: Header=BB223_131 Depth=1
	v_cmp_ne_u16_sdwa s[4:5], v6, s41 src0_sel:BYTE_0 src1_sel:DWORD
	v_mov_b32_e32 v30, 0x8000
	s_and_saveexec_b64 s[30:31], s[4:5]
	s_cbranch_execz .LBB223_212
; %bb.209:                              ;   in Loop: Header=BB223_131 Depth=1
	v_and_b32_e32 v31, 0x7f, v6
	v_cmp_ne_u32_e64 s[4:5], s42, v31
	v_mov_b32_e32 v30, 0x7c01
	s_and_saveexec_b64 s[34:35], s[4:5]
	s_cbranch_execz .LBB223_211
; %bb.210:                              ;   in Loop: Header=BB223_131 Depth=1
	v_and_b32_e32 v30, 7, v6
	v_ffbh_u32_e32 v32, v30
	v_min_u32_e32 v35, 32, v32
	v_subrev_u32_e32 v32, 28, v35
	v_lshlrev_b64 v[32:33], v32, v[1:2]
	v_lshrrev_b32_e32 v34, 3, v31
	v_sub_u32_e32 v33, 29, v35
	v_cmp_gt_u32_e64 s[4:5], 8, v31
	v_cndmask_b32_e64 v31, v34, v33, s[4:5]
	v_lshl_add_u32 v31, v31, 10, v19
	v_lshlrev_b32_e32 v33, 8, v6
	v_and_b32_e32 v32, 7, v32
	v_and_b32_e32 v31, 0xfc00, v31
	v_cndmask_b32_e64 v30, v30, v32, s[4:5]
	v_and_or_b32 v31, v33, s43, v31
	v_lshl_or_b32 v30, v30, 7, v31
.LBB223_211:                            ;   in Loop: Header=BB223_131 Depth=1
	s_or_b64 exec, exec, s[34:35]
.LBB223_212:                            ;   in Loop: Header=BB223_131 Depth=1
	s_or_b64 exec, exec, s[30:31]
.LBB223_213:                            ;   in Loop: Header=BB223_131 Depth=1
	s_or_b64 exec, exec, s[22:23]
	v_lshrrev_b16_e32 v1, 8, v1
	v_cmp_ne_u16_e64 s[4:5], 0, v1
	v_mov_b32_e32 v31, 0
	s_and_saveexec_b64 s[22:23], s[4:5]
	s_cbranch_execz .LBB223_219
; %bb.214:                              ;   in Loop: Header=BB223_131 Depth=1
	v_cmp_ne_u16_e64 s[4:5], s41, v1
	v_bfrev_b32_e32 v31, 1
	s_and_saveexec_b64 s[30:31], s[4:5]
	s_cbranch_execz .LBB223_218
; %bb.215:                              ;   in Loop: Header=BB223_131 Depth=1
	v_and_b32_e32 v32, 0x7f, v1
	v_cmp_ne_u32_e64 s[4:5], s42, v32
	v_mov_b32_e32 v31, 0x7c010000
	s_and_saveexec_b64 s[34:35], s[4:5]
	s_cbranch_execz .LBB223_217
; %bb.216:                              ;   in Loop: Header=BB223_131 Depth=1
	v_and_b32_e32 v31, 7, v1
	v_ffbh_u32_e32 v33, v31
	v_min_u32_e32 v36, 32, v33
	v_subrev_u32_e32 v33, 28, v36
	v_lshlrev_b64 v[33:34], v33, v[1:2]
	v_lshrrev_b32_e32 v35, 3, v32
	v_sub_u32_e32 v34, 29, v36
	v_cmp_gt_u32_e64 s[4:5], 8, v32
	v_cndmask_b32_e64 v32, v35, v34, s[4:5]
	v_lshlrev_b32_e32 v1, 8, v1
	v_lshl_add_u32 v32, v32, 10, v19
	v_and_b32_e32 v33, 7, v33
	v_and_or_b32 v1, v1, s43, v32
	v_cndmask_b32_e64 v31, v31, v33, s[4:5]
	v_lshlrev_b32_e32 v1, 16, v1
	v_lshl_or_b32 v31, v31, 23, v1
.LBB223_217:                            ;   in Loop: Header=BB223_131 Depth=1
	s_or_b64 exec, exec, s[34:35]
.LBB223_218:                            ;   in Loop: Header=BB223_131 Depth=1
	s_or_b64 exec, exec, s[30:31]
.LBB223_219:                            ;   in Loop: Header=BB223_131 Depth=1
	s_or_b64 exec, exec, s[22:23]
	v_lshrrev_b32_e32 v1, 16, v6
	v_cmp_ne_u16_sdwa s[4:5], v1, v2 src0_sel:BYTE_0 src1_sel:DWORD
	s_and_saveexec_b64 s[22:23], s[4:5]
	s_cbranch_execz .LBB223_225
; %bb.220:                              ;   in Loop: Header=BB223_131 Depth=1
	v_cmp_ne_u16_sdwa s[4:5], v1, s41 src0_sel:BYTE_0 src1_sel:DWORD
	v_mov_b32_e32 v29, 0x8000
	s_and_saveexec_b64 s[30:31], s[4:5]
	s_cbranch_execz .LBB223_224
; %bb.221:                              ;   in Loop: Header=BB223_131 Depth=1
	v_bfe_u32 v32, v6, 16, 7
	v_cmp_ne_u32_e64 s[4:5], s42, v32
	v_mov_b32_e32 v29, 0x7c01
	s_and_saveexec_b64 s[34:35], s[4:5]
	s_cbranch_execz .LBB223_223
; %bb.222:                              ;   in Loop: Header=BB223_131 Depth=1
	v_and_b32_e32 v29, 7, v1
	v_ffbh_u32_e32 v33, v29
	v_min_u32_e32 v36, 32, v33
	v_subrev_u32_e32 v33, 28, v36
	v_lshlrev_b64 v[33:34], v33, v[1:2]
	v_lshrrev_b32_e32 v35, 3, v32
	v_sub_u32_e32 v34, 29, v36
	v_cmp_gt_u32_e64 s[4:5], 8, v32
	v_cndmask_b32_e64 v32, v35, v34, s[4:5]
	v_lshl_add_u32 v32, v32, 10, v19
	v_lshlrev_b32_e32 v1, 8, v1
	v_and_b32_e32 v33, 7, v33
	v_and_b32_e32 v32, 0xfc00, v32
	v_cndmask_b32_e64 v29, v29, v33, s[4:5]
	v_and_or_b32 v1, v1, s43, v32
	v_lshl_or_b32 v29, v29, 7, v1
.LBB223_223:                            ;   in Loop: Header=BB223_131 Depth=1
	s_or_b64 exec, exec, s[34:35]
.LBB223_224:                            ;   in Loop: Header=BB223_131 Depth=1
	s_or_b64 exec, exec, s[30:31]
.LBB223_225:                            ;   in Loop: Header=BB223_131 Depth=1
	s_or_b64 exec, exec, s[22:23]
	v_cmp_lt_u64_e64 s[4:5], s[12:13], v[5:6]
	v_mov_b32_e32 v32, 0
	s_and_saveexec_b64 s[22:23], s[4:5]
	s_cbranch_execz .LBB223_231
; %bb.226:                              ;   in Loop: Header=BB223_131 Depth=1
	v_lshrrev_b32_e32 v1, 24, v6
	v_cmp_ne_u32_e64 s[4:5], s41, v1
	v_bfrev_b32_e32 v32, 1
	s_and_saveexec_b64 s[30:31], s[4:5]
	s_cbranch_execz .LBB223_230
; %bb.227:                              ;   in Loop: Header=BB223_131 Depth=1
	v_and_b32_e32 v5, 0x7f, v1
	v_cmp_ne_u32_e64 s[4:5], s42, v5
	v_mov_b32_e32 v32, 0x7c010000
	s_and_saveexec_b64 s[34:35], s[4:5]
	s_cbranch_execz .LBB223_229
; %bb.228:                              ;   in Loop: Header=BB223_131 Depth=1
	v_and_b32_e32 v6, 7, v1
	v_ffbh_u32_e32 v32, v6
	v_min_u32_e32 v35, 32, v32
	v_subrev_u32_e32 v32, 28, v35
	v_lshlrev_b64 v[32:33], v32, v[1:2]
	v_lshrrev_b32_e32 v34, 3, v5
	v_sub_u32_e32 v33, 29, v35
	v_cmp_gt_u32_e64 s[4:5], 8, v5
	v_cndmask_b32_e64 v5, v34, v33, s[4:5]
	v_lshlrev_b32_e32 v1, 8, v1
	v_lshl_add_u32 v5, v5, 10, v19
	v_and_b32_e32 v32, 7, v32
	v_and_or_b32 v1, v1, s43, v5
	v_cndmask_b32_e64 v6, v6, v32, s[4:5]
	v_lshlrev_b32_e32 v1, 16, v1
	v_lshl_or_b32 v32, v6, 23, v1
.LBB223_229:                            ;   in Loop: Header=BB223_131 Depth=1
	s_or_b64 exec, exec, s[34:35]
.LBB223_230:                            ;   in Loop: Header=BB223_131 Depth=1
	s_or_b64 exec, exec, s[30:31]
.LBB223_231:                            ;   in Loop: Header=BB223_131 Depth=1
	s_or_b64 exec, exec, s[22:23]
	s_waitcnt vmcnt(0)
	v_fma_mixlo_f16 v5, v24, v27, 0 op_sel:[0,1,0] op_sel_hi:[0,1,0]
	v_lshlrev_b32_e32 v6, 16, v5
	v_or_b32_e32 v5, v25, v26
	v_fma_mixlo_f16 v25, v24, v25, 0 op_sel:[0,1,0] op_sel_hi:[0,1,0]
	v_or_b32_e32 v1, v27, v28
	v_lshlrev_b32_e32 v33, 16, v25
	v_or_b32_e32 v25, v31, v30
	v_or_b32_e32 v28, v32, v29
	v_fma_mixlo_f16 v1, v24, v1, 0 op_sel_hi:[0,1,0]
	v_fma_mixlo_f16 v5, v24, v5, 0 op_sel_hi:[0,1,0]
	v_fma_mixlo_f16 v26, v24, v31, 0 op_sel:[0,1,0] op_sel_hi:[0,1,0]
	v_fma_mixlo_f16 v25, v24, v25, 0 op_sel_hi:[0,1,0]
	v_fma_mixlo_f16 v28, v24, v28, 0 op_sel_hi:[0,1,0]
	v_fma_mixlo_f16 v24, v24, v32, 0 op_sel:[0,1,0] op_sel_hi:[0,1,0]
	v_and_b32_e32 v27, 0xffff, v1
	v_and_b32_e32 v34, 0xffff, v5
	v_lshlrev_b32_e32 v26, 16, v26
	v_and_b32_e32 v30, 0xffff, v25
	v_lshlrev_b32_e32 v24, 16, v24
	v_and_b32_e32 v28, 0xffff, v28
	v_or_b32_e32 v1, v6, v27
	v_or_b32_e32 v5, v33, v34
	;; [unrolled: 1-line block ×4, first 2 shown]
	s_and_saveexec_b64 s[4:5], s[2:3]
	s_cbranch_execz .LBB223_128
; %bb.232:                              ;   in Loop: Header=BB223_131 Depth=1
	v_cmp_gt_i32_e64 s[2:3], s25, v11
	v_add_u32_e32 v5, 1, v11
	v_cndmask_b32_e64 v1, 0, v34, s[2:3]
	v_cmp_gt_i32_e64 s[2:3], s25, v5
	v_cndmask_b32_e64 v5, 0, v33, s[2:3]
	v_or_b32_e32 v5, v5, v1
	v_add_u32_e32 v1, 2, v11
	v_cmp_gt_i32_e64 s[2:3], s25, v1
	v_add_u32_e32 v25, 3, v11
	v_cndmask_b32_e64 v1, 0, v27, s[2:3]
	v_cmp_gt_i32_e64 s[2:3], s25, v25
	v_cndmask_b32_e64 v6, 0, v6, s[2:3]
	v_or_b32_e32 v1, v6, v1
	v_add_u32_e32 v6, 4, v11
	;; [unrolled: 7-line block ×3, first 2 shown]
	v_cmp_gt_i32_e64 s[2:3], s25, v6
	v_add_u32_e32 v26, 7, v11
	v_cndmask_b32_e64 v6, 0, v28, s[2:3]
	v_cmp_gt_i32_e64 s[2:3], s25, v26
	v_cndmask_b32_e64 v24, 0, v24, s[2:3]
	v_or_b32_e32 v29, v24, v6
	s_branch .LBB223_128
.LBB223_233:
	s_or_b64 exec, exec, s[16:17]
.LBB223_234:
	s_or_b64 exec, exec, s[6:7]
	v_and_b32_e32 v1, 0x3c0, v0
	v_cmp_eq_u32_e32 vcc, 64, v1
	s_barrier
	s_and_saveexec_b64 s[2:3], vcc
	s_cbranch_execz .LBB223_237
; %bb.235:
	v_mov_b32_e32 v1, 0x100
	v_lshl_add_u32 v2, v12, 2, v1
	ds_write_b32 v2, v14
	s_and_b64 exec, exec, s[0:1]
; %bb.236:
	v_lshl_add_u32 v1, v0, 2, v1
	ds_write_b32 v1, v13
.LBB223_237:
	s_or_b64 exec, exec, s[2:3]
	v_cmp_gt_u32_e32 vcc, 64, v0
	v_or_b32_e32 v1, 64, v0
	s_waitcnt lgkmcnt(0)
	s_barrier
	s_and_saveexec_b64 s[2:3], vcc
	s_cbranch_execz .LBB223_241
; %bb.238:
	v_mov_b32_e32 v2, 0x100
	v_lshl_add_u32 v2, v0, 2, v2
	ds_read_b32 v0, v2
	s_movk_i32 s0, 0x78
	v_cmp_gt_u32_e64 s[0:1], s0, v1
	s_and_saveexec_b64 s[4:5], s[0:1]
	s_cbranch_execz .LBB223_240
; %bb.239:
	ds_read_b32 v2, v2 offset:256
	s_waitcnt lgkmcnt(0)
	v_add_f32_e32 v13, v13, v2
.LBB223_240:
	s_or_b64 exec, exec, s[4:5]
	s_waitcnt lgkmcnt(0)
	v_add_f32_e32 v14, v14, v0
.LBB223_241:
	s_or_b64 exec, exec, s[2:3]
	s_barrier
	s_and_saveexec_b64 s[0:1], vcc
	s_cbranch_execz .LBB223_244
; %bb.242:
	s_mul_i32 s0, s24, s27
	s_mul_i32 s0, s0, s9
	s_mulk_i32 s0, 0x78
	s_ashr_i32 s1, s0, 31
	s_lshl_b64 s[0:1], s[0:1], 1
	s_add_u32 s3, s28, s0
	s_mul_i32 s0, s27, s26
	s_addc_u32 s4, s29, s1
	s_ashr_i32 s1, s0, 31
	s_lshl_b64 s[0:1], s[0:1], 1
	s_add_u32 s3, s3, s0
	s_mul_i32 s0, s8, 0x78
	s_addc_u32 s4, s4, s1
	s_ashr_i32 s1, s0, 31
	s_lshl_b64 s[0:1], s[0:1], 1
	s_movk_i32 s2, 0x78
	s_add_u32 s0, s3, s0
	s_addc_u32 s1, s4, s1
	v_cmp_gt_u32_e32 vcc, s2, v1
	;;#ASMSTART
	v_cvt_f16_f32 v0, v14;

	;;#ASMEND
	global_store_short v9, v0, s[0:1]
	s_and_b64 exec, exec, vcc
	s_cbranch_execz .LBB223_244
; %bb.243:
	v_mov_b32_e32 v1, s1
	v_add_co_u32_e32 v0, vcc, s0, v9
	v_addc_co_u32_e32 v1, vcc, 0, v1, vcc
	;;#ASMSTART
	v_cvt_f16_f32 v2, v13;

	;;#ASMEND
	global_store_short v[0:1], v2, off offset:128
.LBB223_244:
	s_endpgm
	.section	.rodata,"a",@progbits
	.p2align	6, 0x0
	.amdhsa_kernel _ZN4vllm25paged_attention_v1_kernelIthLi120ELi8ELi128ELNS_18Fp8KVCacheDataTypeE1ELb1EEEvPT_PKS2_PKT0_S8_ifPKiSA_iPKfiiiSC_SC_iiiii
		.amdhsa_group_segment_fixed_size 256
		.amdhsa_private_segment_fixed_size 0
		.amdhsa_kernarg_size 384
		.amdhsa_user_sgpr_count 6
		.amdhsa_user_sgpr_private_segment_buffer 1
		.amdhsa_user_sgpr_dispatch_ptr 0
		.amdhsa_user_sgpr_queue_ptr 0
		.amdhsa_user_sgpr_kernarg_segment_ptr 1
		.amdhsa_user_sgpr_dispatch_id 0
		.amdhsa_user_sgpr_flat_scratch_init 0
		.amdhsa_user_sgpr_private_segment_size 0
		.amdhsa_uses_dynamic_stack 0
		.amdhsa_system_sgpr_private_segment_wavefront_offset 0
		.amdhsa_system_sgpr_workgroup_id_x 1
		.amdhsa_system_sgpr_workgroup_id_y 1
		.amdhsa_system_sgpr_workgroup_id_z 1
		.amdhsa_system_sgpr_workgroup_info 0
		.amdhsa_system_vgpr_workitem_id 0
		.amdhsa_next_free_vgpr 50
		.amdhsa_next_free_sgpr 56
		.amdhsa_reserve_vcc 1
		.amdhsa_reserve_flat_scratch 0
		.amdhsa_float_round_mode_32 0
		.amdhsa_float_round_mode_16_64 0
		.amdhsa_float_denorm_mode_32 3
		.amdhsa_float_denorm_mode_16_64 3
		.amdhsa_dx10_clamp 1
		.amdhsa_ieee_mode 1
		.amdhsa_fp16_overflow 0
		.amdhsa_exception_fp_ieee_invalid_op 0
		.amdhsa_exception_fp_denorm_src 0
		.amdhsa_exception_fp_ieee_div_zero 0
		.amdhsa_exception_fp_ieee_overflow 0
		.amdhsa_exception_fp_ieee_underflow 0
		.amdhsa_exception_fp_ieee_inexact 0
		.amdhsa_exception_int_div_zero 0
	.end_amdhsa_kernel
	.section	.text._ZN4vllm25paged_attention_v1_kernelIthLi120ELi8ELi128ELNS_18Fp8KVCacheDataTypeE1ELb1EEEvPT_PKS2_PKT0_S8_ifPKiSA_iPKfiiiSC_SC_iiiii,"axG",@progbits,_ZN4vllm25paged_attention_v1_kernelIthLi120ELi8ELi128ELNS_18Fp8KVCacheDataTypeE1ELb1EEEvPT_PKS2_PKT0_S8_ifPKiSA_iPKfiiiSC_SC_iiiii,comdat
.Lfunc_end223:
	.size	_ZN4vllm25paged_attention_v1_kernelIthLi120ELi8ELi128ELNS_18Fp8KVCacheDataTypeE1ELb1EEEvPT_PKS2_PKT0_S8_ifPKiSA_iPKfiiiSC_SC_iiiii, .Lfunc_end223-_ZN4vllm25paged_attention_v1_kernelIthLi120ELi8ELi128ELNS_18Fp8KVCacheDataTypeE1ELb1EEEvPT_PKS2_PKT0_S8_ifPKiSA_iPKfiiiSC_SC_iiiii
                                        ; -- End function
	.set _ZN4vllm25paged_attention_v1_kernelIthLi120ELi8ELi128ELNS_18Fp8KVCacheDataTypeE1ELb1EEEvPT_PKS2_PKT0_S8_ifPKiSA_iPKfiiiSC_SC_iiiii.num_vgpr, 50
	.set _ZN4vllm25paged_attention_v1_kernelIthLi120ELi8ELi128ELNS_18Fp8KVCacheDataTypeE1ELb1EEEvPT_PKS2_PKT0_S8_ifPKiSA_iPKfiiiSC_SC_iiiii.num_agpr, 0
	.set _ZN4vllm25paged_attention_v1_kernelIthLi120ELi8ELi128ELNS_18Fp8KVCacheDataTypeE1ELb1EEEvPT_PKS2_PKT0_S8_ifPKiSA_iPKfiiiSC_SC_iiiii.numbered_sgpr, 56
	.set _ZN4vllm25paged_attention_v1_kernelIthLi120ELi8ELi128ELNS_18Fp8KVCacheDataTypeE1ELb1EEEvPT_PKS2_PKT0_S8_ifPKiSA_iPKfiiiSC_SC_iiiii.num_named_barrier, 0
	.set _ZN4vllm25paged_attention_v1_kernelIthLi120ELi8ELi128ELNS_18Fp8KVCacheDataTypeE1ELb1EEEvPT_PKS2_PKT0_S8_ifPKiSA_iPKfiiiSC_SC_iiiii.private_seg_size, 0
	.set _ZN4vllm25paged_attention_v1_kernelIthLi120ELi8ELi128ELNS_18Fp8KVCacheDataTypeE1ELb1EEEvPT_PKS2_PKT0_S8_ifPKiSA_iPKfiiiSC_SC_iiiii.uses_vcc, 1
	.set _ZN4vllm25paged_attention_v1_kernelIthLi120ELi8ELi128ELNS_18Fp8KVCacheDataTypeE1ELb1EEEvPT_PKS2_PKT0_S8_ifPKiSA_iPKfiiiSC_SC_iiiii.uses_flat_scratch, 0
	.set _ZN4vllm25paged_attention_v1_kernelIthLi120ELi8ELi128ELNS_18Fp8KVCacheDataTypeE1ELb1EEEvPT_PKS2_PKT0_S8_ifPKiSA_iPKfiiiSC_SC_iiiii.has_dyn_sized_stack, 0
	.set _ZN4vllm25paged_attention_v1_kernelIthLi120ELi8ELi128ELNS_18Fp8KVCacheDataTypeE1ELb1EEEvPT_PKS2_PKT0_S8_ifPKiSA_iPKfiiiSC_SC_iiiii.has_recursion, 0
	.set _ZN4vllm25paged_attention_v1_kernelIthLi120ELi8ELi128ELNS_18Fp8KVCacheDataTypeE1ELb1EEEvPT_PKS2_PKT0_S8_ifPKiSA_iPKfiiiSC_SC_iiiii.has_indirect_call, 0
	.section	.AMDGPU.csdata,"",@progbits
; Kernel info:
; codeLenInByte = 10904
; TotalNumSgprs: 60
; NumVgprs: 50
; ScratchSize: 0
; MemoryBound: 0
; FloatMode: 240
; IeeeMode: 1
; LDSByteSize: 256 bytes/workgroup (compile time only)
; SGPRBlocks: 7
; VGPRBlocks: 12
; NumSGPRsForWavesPerEU: 60
; NumVGPRsForWavesPerEU: 50
; Occupancy: 4
; WaveLimiterHint : 1
; COMPUTE_PGM_RSRC2:SCRATCH_EN: 0
; COMPUTE_PGM_RSRC2:USER_SGPR: 6
; COMPUTE_PGM_RSRC2:TRAP_HANDLER: 0
; COMPUTE_PGM_RSRC2:TGID_X_EN: 1
; COMPUTE_PGM_RSRC2:TGID_Y_EN: 1
; COMPUTE_PGM_RSRC2:TGID_Z_EN: 1
; COMPUTE_PGM_RSRC2:TIDIG_COMP_CNT: 0
	.section	.text._ZN4vllm25paged_attention_v1_kernelIthLi128ELi8ELi128ELNS_18Fp8KVCacheDataTypeE1ELb1EEEvPT_PKS2_PKT0_S8_ifPKiSA_iPKfiiiSC_SC_iiiii,"axG",@progbits,_ZN4vllm25paged_attention_v1_kernelIthLi128ELi8ELi128ELNS_18Fp8KVCacheDataTypeE1ELb1EEEvPT_PKS2_PKT0_S8_ifPKiSA_iPKfiiiSC_SC_iiiii,comdat
	.protected	_ZN4vllm25paged_attention_v1_kernelIthLi128ELi8ELi128ELNS_18Fp8KVCacheDataTypeE1ELb1EEEvPT_PKS2_PKT0_S8_ifPKiSA_iPKfiiiSC_SC_iiiii ; -- Begin function _ZN4vllm25paged_attention_v1_kernelIthLi128ELi8ELi128ELNS_18Fp8KVCacheDataTypeE1ELb1EEEvPT_PKS2_PKT0_S8_ifPKiSA_iPKfiiiSC_SC_iiiii
	.globl	_ZN4vllm25paged_attention_v1_kernelIthLi128ELi8ELi128ELNS_18Fp8KVCacheDataTypeE1ELb1EEEvPT_PKS2_PKT0_S8_ifPKiSA_iPKfiiiSC_SC_iiiii
	.p2align	8
	.type	_ZN4vllm25paged_attention_v1_kernelIthLi128ELi8ELi128ELNS_18Fp8KVCacheDataTypeE1ELb1EEEvPT_PKS2_PKT0_S8_ifPKiSA_iPKfiiiSC_SC_iiiii,@function
_ZN4vllm25paged_attention_v1_kernelIthLi128ELi8ELi128ELNS_18Fp8KVCacheDataTypeE1ELb1EEEvPT_PKS2_PKT0_S8_ifPKiSA_iPKfiiiSC_SC_iiiii: ; @_ZN4vllm25paged_attention_v1_kernelIthLi128ELi8ELi128ELNS_18Fp8KVCacheDataTypeE1ELb1EEEvPT_PKS2_PKT0_S8_ifPKiSA_iPKfiiiSC_SC_iiiii
; %bb.0:
	s_load_dword s9, s[4:5], 0x80
	s_load_dwordx2 s[0:1], s[4:5], 0x30
	s_load_dwordx2 s[36:37], s[4:5], 0x20
	s_mov_b32 s10, s7
	s_ashr_i32 s11, s7, 31
	s_lshl_b64 s[2:3], s[10:11], 2
	s_waitcnt lgkmcnt(0)
	s_add_u32 s0, s0, s2
	s_addc_u32 s1, s1, s3
	s_abs_i32 s2, s36
	v_cvt_f32_u32_e32 v1, s2
	s_sub_i32 s11, 0, s2
	s_abs_i32 s7, s9
	s_xor_b32 s3, s9, s36
	v_rcp_iflag_f32_e32 v1, v1
	s_ashr_i32 s3, s3, 31
	s_mov_b32 s48, 0
	v_mul_f32_e32 v1, 0x4f7ffffe, v1
	v_cvt_u32_f32_e32 v1, v1
	v_readfirstlane_b32 s12, v1
	s_mul_i32 s11, s11, s12
	s_mul_hi_u32 s11, s12, s11
	s_add_i32 s12, s12, s11
	s_mul_hi_u32 s11, s7, s12
	s_mul_i32 s12, s11, s2
	s_sub_i32 s7, s7, s12
	s_add_i32 s12, s11, 1
	s_sub_i32 s13, s7, s2
	s_cmp_ge_u32 s7, s2
	s_cselect_b32 s11, s12, s11
	s_cselect_b32 s7, s13, s7
	s_add_i32 s12, s11, 1
	s_cmp_ge_u32 s7, s2
	s_cselect_b32 s2, s12, s11
	s_xor_b32 s2, s2, s3
	s_sub_i32 s15, s2, s3
	s_abs_i32 s12, s15
	v_cvt_f32_u32_e32 v1, s12
	s_load_dwordx2 s[2:3], s[4:5], 0x40
	s_sub_i32 s7, 0, s12
	s_abs_i32 s13, s6
	v_rcp_iflag_f32_e32 v1, v1
	v_mul_f32_e32 v1, 0x4f7ffffe, v1
	v_cvt_u32_f32_e32 v1, v1
	v_readfirstlane_b32 s11, v1
	s_mul_i32 s7, s7, s11
	s_mul_hi_u32 s7, s11, s7
	s_add_i32 s11, s11, s7
	s_waitcnt lgkmcnt(0)
	s_cmp_eq_u64 s[2:3], 0
	s_mul_hi_u32 s14, s13, s11
	s_cbranch_scc1 .LBB224_2
; %bb.1:
	s_ashr_i32 s7, s6, 31
	s_lshl_b64 s[16:17], s[6:7], 2
	s_add_u32 s2, s2, s16
	s_addc_u32 s3, s3, s17
	s_load_dword s48, s[2:3], 0x0
.LBB224_2:
	s_load_dword s11, s[0:1], 0x0
	s_load_dwordx4 s[16:19], s[4:5], 0x48
	s_movk_i32 s0, 0x80
	s_ashr_i32 s2, s6, 31
	s_ashr_i32 s7, s15, 31
	v_and_b32_e32 v1, 7, v0
	s_lshl_b32 s24, s6, 7
	v_cmp_gt_u32_e32 vcc, s0, v0
	v_lshlrev_b32_e32 v11, 1, v0
	s_and_saveexec_b64 s[0:1], vcc
	s_cbranch_execz .LBB224_4
; %bb.3:
	s_load_dwordx2 s[20:21], s[4:5], 0x8
	s_waitcnt lgkmcnt(0)
	s_mul_i32 s22, s16, s10
	s_ashr_i32 s23, s22, 31
	s_lshl_b64 s[22:23], s[22:23], 1
	v_lshrrev_b32_e32 v3, 2, v0
	s_add_u32 s3, s20, s22
	s_addc_u32 s15, s21, s23
	s_ashr_i32 s25, s24, 31
	s_lshl_b64 s[20:21], s[24:25], 1
	s_add_u32 s20, s3, s20
	s_addc_u32 s21, s15, s21
	global_load_ushort v2, v11, s[20:21]
	v_and_b32_e32 v3, 0xfe, v3
	v_lshl_add_u32 v3, v1, 5, v3
	s_waitcnt vmcnt(0)
	ds_write_b16 v3, v2
.LBB224_4:
	s_or_b64 exec, exec, s[0:1]
	s_mul_i32 s1, s14, s12
	s_sub_i32 s1, s13, s1
	s_xor_b32 s0, s2, s7
	s_add_i32 s2, s14, 1
	s_sub_i32 s7, s1, s12
	s_load_dwordx4 s[20:23], s[4:5], 0x68
	s_load_dword s3, s[4:5], 0x78
	s_cmp_ge_u32 s1, s12
	s_cselect_b32 s2, s2, s14
	s_cselect_b32 s1, s7, s1
	s_add_i32 s7, s2, 1
	s_cmp_ge_u32 s1, s12
	s_cselect_b32 s1, s7, s2
	s_waitcnt lgkmcnt(0)
	s_abs_i32 s25, s23
	v_cvt_f32_u32_e32 v2, s25
	s_xor_b32 s1, s1, s0
	s_sub_i32 s2, s1, s0
	s_sub_i32 s0, 0, s25
	v_rcp_iflag_f32_e32 v2, v2
	s_add_i32 s12, s11, -1
	s_abs_i32 s7, s12
	v_mul_f32_e32 v2, 0x4f7ffffe, v2
	v_cvt_u32_f32_e32 v2, v2
	s_barrier
	v_readfirstlane_b32 s33, v2
	s_mul_i32 s0, s0, s33
	s_mul_hi_u32 s0, s33, s0
	s_add_i32 s33, s33, s0
	s_cmp_lt_i32 s3, 0
	s_mul_hi_u32 s16, s7, s33
	s_cbranch_scc0 .LBB224_6
; %bb.5:
	s_mul_i32 s0, s20, s36
	s_add_i32 s0, s2, s0
	s_mul_i32 s0, s0, s3
	s_sub_i32 s36, 1, s0
	s_mov_b64 s[0:1], 0
	s_branch .LBB224_7
.LBB224_6:
	s_mov_b64 s[0:1], -1
                                        ; implicit-def: $sgpr36
.LBB224_7:
	s_load_dwordx2 s[28:29], s[4:5], 0x28
	s_ashr_i32 s19, s12, 31
	s_andn2_b64 vcc, exec, s[0:1]
	s_ashr_i32 s46, s23, 31
	s_cbranch_vccnz .LBB224_9
; %bb.8:
	s_mul_i32 s0, s9, s20
	s_add_i32 s0, s0, s6
	s_mul_i32 s0, s0, s3
	s_add_i32 s36, s0, 1
.LBB224_9:
	s_load_dword s0, s[4:5], 0x38
	s_load_dwordx2 s[26:27], s[4:5], 0x0
	s_load_dwordx2 s[34:35], s[4:5], 0x18
	s_load_dword s23, s[4:5], 0x88
	s_load_dwordx4 s[12:15], s[4:5], 0x58
	s_mul_i32 s1, s16, s25
	s_waitcnt lgkmcnt(0)
	s_mul_i32 s30, s0, s10
	s_sub_i32 s1, s7, s1
	s_ashr_i32 s31, s30, 31
	s_xor_b32 s0, s19, s46
	s_add_i32 s3, s16, 1
	s_sub_i32 s6, s1, s25
	s_cmp_ge_u32 s1, s25
	s_cselect_b32 s3, s3, s16
	s_cselect_b32 s1, s6, s1
	s_add_i32 s6, s3, 1
	s_cmp_ge_u32 s1, s25
	s_cselect_b32 s1, s6, s3
	s_xor_b32 s1, s1, s0
	s_sub_i32 s16, s1, s0
	s_add_i32 s0, s11, 7
	s_ashr_i32 s1, s0, 31
	s_lshr_b32 s1, s1, 29
	s_add_i32 s0, s0, s1
	s_ashr_i32 s47, s0, 3
	v_lshrrev_b32_e32 v12, 6, v0
	v_cmp_gt_i32_e64 s[0:1], s47, v12
	v_mov_b32_e32 v16, 0xff7fffff
	s_mul_i32 s20, s2, s18
	v_lshrrev_b32_e32 v8, 4, v0
	v_lshlrev_b32_e32 v13, 3, v12
	v_mbcnt_lo_u32_b32 v9, -1, 0
	s_and_saveexec_b64 s[18:19], s[0:1]
	s_cbranch_execz .LBB224_117
; %bb.10:
	s_load_dwordx2 s[2:3], s[4:5], 0x10
	s_sub_i32 s49, s16, s21
	s_ashr_i32 s4, s20, 31
	v_bfe_u32 v10, v0, 3, 3
	v_lshlrev_b32_e32 v4, 4, v10
	s_waitcnt lgkmcnt(0)
	s_add_u32 s5, s2, s20
	s_addc_u32 s4, s3, s4
	s_abs_i32 s50, s22
	v_cvt_f32_u32_e32 v2, s50
	s_sub_i32 s2, 0, s50
	v_mov_b32_e32 v5, s4
	v_add_co_u32_e64 v4, s[4:5], s5, v4
	v_rcp_iflag_f32_e32 v2, v2
	v_addc_co_u32_e64 v5, s[4:5], 0, v5, s[4:5]
	v_cmp_eq_u32_e32 vcc, 0, v1
	v_mul_f32_e32 v2, 0x4f7ffffe, v2
	v_cvt_u32_f32_e32 v2, v2
	v_lshlrev_b32_e32 v15, 5, v1
	v_add_co_u32_e64 v1, s[4:5], v4, v1
	v_mul_lo_u32 v3, s2, v2
	s_mov_b32 s51, s17
	v_mov_b32_e32 v14, 0
	v_cmp_neq_f32_e64 s[2:3], s48, 0
	v_mul_hi_u32 v3, v2, v3
	v_lshlrev_b32_e32 v18, 3, v12
	v_mov_b32_e32 v21, 0xff7fffff
	s_mov_b64 s[38:39], 0
	v_add_u32_e32 v17, v2, v3
	v_addc_co_u32_e64 v2, s[4:5], 0, v5, s[4:5]
	s_lshl_b64 s[4:5], s[30:31], 2
	s_add_u32 s4, s28, s4
	v_subrev_u32_e32 v5, s11, v10
	v_and_b32_e32 v3, 60, v8
	s_addc_u32 s5, s29, s5
	v_add_u32_e32 v19, 1, v5
	v_lshlrev_b32_e32 v5, 2, v10
	v_mov_b32_e32 v4, s5
	v_add_co_u32_e64 v3, s[4:5], s4, v3
	v_lshl_or_b32 v5, v12, 5, v5
	v_addc_co_u32_e64 v4, s[4:5], 0, v4, s[4:5]
	v_add_u32_e32 v20, 0x110, v5
	s_movk_i32 s52, 0x80
	s_movk_i32 s53, 0x7f
	v_bfrev_b32_e32 v22, 60
	v_mbcnt_hi_u32_b32 v23, -1, v9
	v_mov_b32_e32 v16, 0xff7fffff
	v_mov_b32_e32 v24, v12
	s_branch .LBB224_13
.LBB224_11:                             ;   in Loop: Header=BB224_13 Depth=1
	s_or_b64 exec, exec, s[40:41]
.LBB224_12:                             ;   in Loop: Header=BB224_13 Depth=1
	s_or_b64 exec, exec, s[6:7]
	v_add_co_u32_e64 v3, s[4:5], 8, v3
	v_add_u32_e32 v24, 2, v24
	v_addc_co_u32_e64 v4, s[4:5], 0, v4, s[4:5]
	v_cmp_le_i32_e64 s[4:5], s47, v24
	v_add_u32_e32 v18, 16, v18
	s_or_b64 s[38:39], s[4:5], s[38:39]
	v_add_u32_e32 v20, 64, v20
	s_andn2_b64 exec, exec, s[38:39]
	s_cbranch_execz .LBB224_116
.LBB224_13:                             ; =>This Inner Loop Header: Depth=1
	v_mul_hi_u32 v5, v18, s33
	s_waitcnt lgkmcnt(0)
	v_mul_lo_u32 v6, v5, s25
	v_add_u32_e32 v7, 1, v5
	v_sub_u32_e32 v6, v18, v6
	v_cmp_le_u32_e64 s[4:5], s25, v6
	v_cndmask_b32_e64 v5, v5, v7, s[4:5]
	v_subrev_u32_e32 v7, s25, v6
	v_cndmask_b32_e64 v6, v6, v7, s[4:5]
	v_add_u32_e32 v7, 1, v5
	v_cmp_le_u32_e64 s[4:5], s25, v6
	v_cndmask_b32_e64 v5, v5, v7, s[4:5]
	v_xor_b32_e32 v5, s46, v5
	v_subrev_u32_e32 v5, s46, v5
	v_add_u32_e32 v6, s36, v5
	v_sub_u32_e32 v7, 0, v6
	v_max_i32_e32 v7, v6, v7
	v_mul_hi_u32 v25, v7, v17
	v_ashrrev_i32_e32 v6, 31, v6
	v_cmp_ge_i32_e64 s[6:7], s49, v5
	v_mul_lo_u32 v25, v25, s50
	v_sub_u32_e32 v7, v7, v25
	v_subrev_u32_e32 v25, s50, v7
	v_cmp_le_u32_e64 s[4:5], s50, v7
	v_cndmask_b32_e64 v7, v7, v25, s[4:5]
	v_subrev_u32_e32 v25, s50, v7
	v_cmp_le_u32_e64 s[4:5], s50, v7
	v_cndmask_b32_e64 v7, v7, v25, s[4:5]
	v_xor_b32_e32 v7, v7, v6
	v_sub_u32_e32 v6, v7, v6
	v_cmp_ne_u32_e64 s[4:5], 0, v6
	s_and_b64 s[4:5], s[4:5], s[6:7]
	s_and_saveexec_b64 s[6:7], s[4:5]
	s_xor_b64 s[4:5], exec, s[6:7]
	s_cbranch_execz .LBB224_17
; %bb.14:                               ;   in Loop: Header=BB224_13 Depth=1
	s_and_saveexec_b64 s[6:7], vcc
; %bb.15:                               ;   in Loop: Header=BB224_13 Depth=1
	ds_write_b32 v20, v21
; %bb.16:                               ;   in Loop: Header=BB224_13 Depth=1
	s_or_b64 exec, exec, s[6:7]
.LBB224_17:                             ;   in Loop: Header=BB224_13 Depth=1
	s_andn2_saveexec_b64 s[6:7], s[4:5]
	s_cbranch_execz .LBB224_12
; %bb.18:                               ;   in Loop: Header=BB224_13 Depth=1
	global_load_dword v5, v[3:4], off
	v_mov_b32_e32 v26, 0
	v_mov_b32_e32 v27, 0
	s_waitcnt vmcnt(0)
	v_mad_i64_i32 v[5:6], s[4:5], v5, s51, v[1:2]
	global_load_ubyte v28, v[5:6], off
	global_load_dword v25, v14, s[12:13]
	s_waitcnt vmcnt(1)
	v_cmp_ne_u16_e64 s[4:5], 0, v28
	s_and_saveexec_b64 s[40:41], s[4:5]
	s_cbranch_execz .LBB224_24
; %bb.19:                               ;   in Loop: Header=BB224_13 Depth=1
	v_cmp_ne_u16_e64 s[4:5], s52, v28
	v_bfrev_b32_e32 v27, 1
	s_and_saveexec_b64 s[42:43], s[4:5]
	s_cbranch_execz .LBB224_23
; %bb.20:                               ;   in Loop: Header=BB224_13 Depth=1
	v_and_b32_e32 v7, 0xffff, v28
	v_and_b32_e32 v29, 0x7f, v7
	v_cmp_ne_u32_e64 s[4:5], s53, v29
	v_mov_b32_e32 v27, 0x7f800001
	s_and_saveexec_b64 s[44:45], s[4:5]
	s_cbranch_execz .LBB224_22
; %bb.21:                               ;   in Loop: Header=BB224_13 Depth=1
	v_and_b32_e32 v27, 7, v7
	v_ffbh_u32_e32 v30, v27
	v_min_u32_e32 v33, 32, v30
	v_subrev_u32_e32 v30, 28, v33
	v_lshlrev_b64 v[30:31], v30, v[7:8]
	v_lshrrev_b32_e32 v32, 3, v29
	v_sub_u32_e32 v7, 29, v33
	v_and_b32_e32 v30, 7, v30
	v_cmp_gt_u32_e64 s[4:5], 8, v29
	v_cndmask_b32_e64 v7, v32, v7, s[4:5]
	v_cndmask_b32_e64 v27, v27, v30, s[4:5]
	v_lshlrev_b32_e32 v28, 24, v28
	v_lshlrev_b32_e32 v27, 20, v27
	v_and_b32_e32 v28, 0x80000000, v28
	v_lshl_add_u32 v7, v7, 23, v22
	v_or3_b32 v27, v28, v7, v27
.LBB224_22:                             ;   in Loop: Header=BB224_13 Depth=1
	s_or_b64 exec, exec, s[44:45]
.LBB224_23:                             ;   in Loop: Header=BB224_13 Depth=1
	s_or_b64 exec, exec, s[42:43]
.LBB224_24:                             ;   in Loop: Header=BB224_13 Depth=1
	s_or_b64 exec, exec, s[40:41]
	global_load_ubyte v28, v[5:6], off offset:8
	s_waitcnt vmcnt(0)
	v_cmp_ne_u16_e64 s[4:5], 0, v28
	s_and_saveexec_b64 s[40:41], s[4:5]
	s_cbranch_execz .LBB224_30
; %bb.25:                               ;   in Loop: Header=BB224_13 Depth=1
	v_cmp_ne_u16_e64 s[4:5], s52, v28
	v_bfrev_b32_e32 v26, 1
	s_and_saveexec_b64 s[42:43], s[4:5]
	s_cbranch_execz .LBB224_29
; %bb.26:                               ;   in Loop: Header=BB224_13 Depth=1
	v_and_b32_e32 v7, 0xffff, v28
	v_and_b32_e32 v29, 0x7f, v7
	v_cmp_ne_u32_e64 s[4:5], s53, v29
	v_mov_b32_e32 v26, 0x7f800001
	s_and_saveexec_b64 s[44:45], s[4:5]
	s_cbranch_execz .LBB224_28
; %bb.27:                               ;   in Loop: Header=BB224_13 Depth=1
	v_and_b32_e32 v26, 7, v7
	v_ffbh_u32_e32 v30, v26
	v_min_u32_e32 v33, 32, v30
	v_subrev_u32_e32 v30, 28, v33
	v_lshlrev_b64 v[30:31], v30, v[7:8]
	v_lshrrev_b32_e32 v32, 3, v29
	v_sub_u32_e32 v7, 29, v33
	v_and_b32_e32 v30, 7, v30
	v_cmp_gt_u32_e64 s[4:5], 8, v29
	v_cndmask_b32_e64 v7, v32, v7, s[4:5]
	v_cndmask_b32_e64 v26, v26, v30, s[4:5]
	v_lshlrev_b32_e32 v28, 24, v28
	v_lshlrev_b32_e32 v26, 20, v26
	v_and_b32_e32 v28, 0x80000000, v28
	v_lshl_add_u32 v7, v7, 23, v22
	v_or3_b32 v26, v28, v7, v26
.LBB224_28:                             ;   in Loop: Header=BB224_13 Depth=1
	s_or_b64 exec, exec, s[44:45]
.LBB224_29:                             ;   in Loop: Header=BB224_13 Depth=1
	s_or_b64 exec, exec, s[42:43]
.LBB224_30:                             ;   in Loop: Header=BB224_13 Depth=1
	s_or_b64 exec, exec, s[40:41]
	global_load_ubyte v30, v[5:6], off offset:128
	v_mov_b32_e32 v28, 0
	v_mov_b32_e32 v29, 0
	s_waitcnt vmcnt(0)
	v_cmp_ne_u16_e64 s[4:5], 0, v30
	s_and_saveexec_b64 s[40:41], s[4:5]
	s_cbranch_execz .LBB224_36
; %bb.31:                               ;   in Loop: Header=BB224_13 Depth=1
	v_cmp_ne_u16_e64 s[4:5], s52, v30
	v_bfrev_b32_e32 v29, 1
	s_and_saveexec_b64 s[42:43], s[4:5]
	s_cbranch_execz .LBB224_35
; %bb.32:                               ;   in Loop: Header=BB224_13 Depth=1
	v_and_b32_e32 v7, 0xffff, v30
	v_and_b32_e32 v31, 0x7f, v7
	v_cmp_ne_u32_e64 s[4:5], s53, v31
	v_mov_b32_e32 v29, 0x7f800001
	s_and_saveexec_b64 s[44:45], s[4:5]
	s_cbranch_execz .LBB224_34
; %bb.33:                               ;   in Loop: Header=BB224_13 Depth=1
	v_and_b32_e32 v29, 7, v7
	v_ffbh_u32_e32 v32, v29
	v_min_u32_e32 v35, 32, v32
	v_subrev_u32_e32 v32, 28, v35
	v_lshlrev_b64 v[32:33], v32, v[7:8]
	v_lshrrev_b32_e32 v34, 3, v31
	v_sub_u32_e32 v7, 29, v35
	v_and_b32_e32 v32, 7, v32
	v_cmp_gt_u32_e64 s[4:5], 8, v31
	v_cndmask_b32_e64 v7, v34, v7, s[4:5]
	v_cndmask_b32_e64 v29, v29, v32, s[4:5]
	v_lshlrev_b32_e32 v30, 24, v30
	v_lshlrev_b32_e32 v29, 20, v29
	v_and_b32_e32 v30, 0x80000000, v30
	v_lshl_add_u32 v7, v7, 23, v22
	v_or3_b32 v29, v30, v7, v29
.LBB224_34:                             ;   in Loop: Header=BB224_13 Depth=1
	s_or_b64 exec, exec, s[44:45]
.LBB224_35:                             ;   in Loop: Header=BB224_13 Depth=1
	s_or_b64 exec, exec, s[42:43]
.LBB224_36:                             ;   in Loop: Header=BB224_13 Depth=1
	s_or_b64 exec, exec, s[40:41]
	global_load_ubyte v30, v[5:6], off offset:136
	s_waitcnt vmcnt(0)
	v_cmp_ne_u16_e64 s[4:5], 0, v30
	s_and_saveexec_b64 s[40:41], s[4:5]
	s_cbranch_execz .LBB224_42
; %bb.37:                               ;   in Loop: Header=BB224_13 Depth=1
	v_cmp_ne_u16_e64 s[4:5], s52, v30
	v_bfrev_b32_e32 v28, 1
	s_and_saveexec_b64 s[42:43], s[4:5]
	s_cbranch_execz .LBB224_41
; %bb.38:                               ;   in Loop: Header=BB224_13 Depth=1
	v_and_b32_e32 v7, 0xffff, v30
	v_and_b32_e32 v31, 0x7f, v7
	v_cmp_ne_u32_e64 s[4:5], s53, v31
	v_mov_b32_e32 v28, 0x7f800001
	s_and_saveexec_b64 s[44:45], s[4:5]
	s_cbranch_execz .LBB224_40
; %bb.39:                               ;   in Loop: Header=BB224_13 Depth=1
	v_and_b32_e32 v28, 7, v7
	v_ffbh_u32_e32 v32, v28
	v_min_u32_e32 v35, 32, v32
	v_subrev_u32_e32 v32, 28, v35
	v_lshlrev_b64 v[32:33], v32, v[7:8]
	v_lshrrev_b32_e32 v34, 3, v31
	v_sub_u32_e32 v7, 29, v35
	v_and_b32_e32 v32, 7, v32
	v_cmp_gt_u32_e64 s[4:5], 8, v31
	v_cndmask_b32_e64 v7, v34, v7, s[4:5]
	v_cndmask_b32_e64 v28, v28, v32, s[4:5]
	v_lshlrev_b32_e32 v30, 24, v30
	v_lshlrev_b32_e32 v28, 20, v28
	v_and_b32_e32 v30, 0x80000000, v30
	v_lshl_add_u32 v7, v7, 23, v22
	v_or3_b32 v28, v30, v7, v28
.LBB224_40:                             ;   in Loop: Header=BB224_13 Depth=1
	s_or_b64 exec, exec, s[44:45]
.LBB224_41:                             ;   in Loop: Header=BB224_13 Depth=1
	s_or_b64 exec, exec, s[42:43]
.LBB224_42:                             ;   in Loop: Header=BB224_13 Depth=1
	s_or_b64 exec, exec, s[40:41]
	global_load_ubyte v32, v[5:6], off offset:256
	v_mov_b32_e32 v30, 0
	v_mov_b32_e32 v31, 0
	s_waitcnt vmcnt(0)
	v_cmp_ne_u16_e64 s[4:5], 0, v32
	s_and_saveexec_b64 s[40:41], s[4:5]
	s_cbranch_execz .LBB224_48
; %bb.43:                               ;   in Loop: Header=BB224_13 Depth=1
	v_cmp_ne_u16_e64 s[4:5], s52, v32
	v_bfrev_b32_e32 v31, 1
	s_and_saveexec_b64 s[42:43], s[4:5]
	s_cbranch_execz .LBB224_47
; %bb.44:                               ;   in Loop: Header=BB224_13 Depth=1
	v_and_b32_e32 v7, 0xffff, v32
	v_and_b32_e32 v33, 0x7f, v7
	v_cmp_ne_u32_e64 s[4:5], s53, v33
	v_mov_b32_e32 v31, 0x7f800001
	s_and_saveexec_b64 s[44:45], s[4:5]
	s_cbranch_execz .LBB224_46
; %bb.45:                               ;   in Loop: Header=BB224_13 Depth=1
	v_and_b32_e32 v31, 7, v7
	v_ffbh_u32_e32 v34, v31
	v_min_u32_e32 v37, 32, v34
	v_subrev_u32_e32 v34, 28, v37
	v_lshlrev_b64 v[34:35], v34, v[7:8]
	v_lshrrev_b32_e32 v36, 3, v33
	v_sub_u32_e32 v7, 29, v37
	v_and_b32_e32 v34, 7, v34
	v_cmp_gt_u32_e64 s[4:5], 8, v33
	v_cndmask_b32_e64 v7, v36, v7, s[4:5]
	v_cndmask_b32_e64 v31, v31, v34, s[4:5]
	v_lshlrev_b32_e32 v32, 24, v32
	v_lshlrev_b32_e32 v31, 20, v31
	v_and_b32_e32 v32, 0x80000000, v32
	v_lshl_add_u32 v7, v7, 23, v22
	v_or3_b32 v31, v32, v7, v31
.LBB224_46:                             ;   in Loop: Header=BB224_13 Depth=1
	s_or_b64 exec, exec, s[44:45]
.LBB224_47:                             ;   in Loop: Header=BB224_13 Depth=1
	s_or_b64 exec, exec, s[42:43]
.LBB224_48:                             ;   in Loop: Header=BB224_13 Depth=1
	s_or_b64 exec, exec, s[40:41]
	global_load_ubyte v32, v[5:6], off offset:264
	s_waitcnt vmcnt(0)
	v_cmp_ne_u16_e64 s[4:5], 0, v32
	s_and_saveexec_b64 s[40:41], s[4:5]
	s_cbranch_execz .LBB224_54
; %bb.49:                               ;   in Loop: Header=BB224_13 Depth=1
	v_cmp_ne_u16_e64 s[4:5], s52, v32
	v_bfrev_b32_e32 v30, 1
	s_and_saveexec_b64 s[42:43], s[4:5]
	s_cbranch_execz .LBB224_53
; %bb.50:                               ;   in Loop: Header=BB224_13 Depth=1
	v_and_b32_e32 v7, 0xffff, v32
	v_and_b32_e32 v33, 0x7f, v7
	v_cmp_ne_u32_e64 s[4:5], s53, v33
	v_mov_b32_e32 v30, 0x7f800001
	s_and_saveexec_b64 s[44:45], s[4:5]
	s_cbranch_execz .LBB224_52
; %bb.51:                               ;   in Loop: Header=BB224_13 Depth=1
	v_and_b32_e32 v30, 7, v7
	v_ffbh_u32_e32 v34, v30
	v_min_u32_e32 v37, 32, v34
	v_subrev_u32_e32 v34, 28, v37
	v_lshlrev_b64 v[34:35], v34, v[7:8]
	v_lshrrev_b32_e32 v36, 3, v33
	v_sub_u32_e32 v7, 29, v37
	v_and_b32_e32 v34, 7, v34
	v_cmp_gt_u32_e64 s[4:5], 8, v33
	v_cndmask_b32_e64 v7, v36, v7, s[4:5]
	v_cndmask_b32_e64 v30, v30, v34, s[4:5]
	v_lshlrev_b32_e32 v32, 24, v32
	v_lshlrev_b32_e32 v30, 20, v30
	v_and_b32_e32 v32, 0x80000000, v32
	v_lshl_add_u32 v7, v7, 23, v22
	v_or3_b32 v30, v32, v7, v30
.LBB224_52:                             ;   in Loop: Header=BB224_13 Depth=1
	s_or_b64 exec, exec, s[44:45]
.LBB224_53:                             ;   in Loop: Header=BB224_13 Depth=1
	s_or_b64 exec, exec, s[42:43]
.LBB224_54:                             ;   in Loop: Header=BB224_13 Depth=1
	s_or_b64 exec, exec, s[40:41]
	global_load_ubyte v34, v[5:6], off offset:384
	v_mov_b32_e32 v32, 0
	v_mov_b32_e32 v33, 0
	s_waitcnt vmcnt(0)
	v_cmp_ne_u16_e64 s[4:5], 0, v34
	s_and_saveexec_b64 s[40:41], s[4:5]
	s_cbranch_execz .LBB224_60
; %bb.55:                               ;   in Loop: Header=BB224_13 Depth=1
	v_cmp_ne_u16_e64 s[4:5], s52, v34
	v_bfrev_b32_e32 v33, 1
	s_and_saveexec_b64 s[42:43], s[4:5]
	s_cbranch_execz .LBB224_59
; %bb.56:                               ;   in Loop: Header=BB224_13 Depth=1
	v_and_b32_e32 v7, 0xffff, v34
	v_and_b32_e32 v35, 0x7f, v7
	v_cmp_ne_u32_e64 s[4:5], s53, v35
	v_mov_b32_e32 v33, 0x7f800001
	s_and_saveexec_b64 s[44:45], s[4:5]
	s_cbranch_execz .LBB224_58
; %bb.57:                               ;   in Loop: Header=BB224_13 Depth=1
	v_and_b32_e32 v33, 7, v7
	v_ffbh_u32_e32 v36, v33
	v_min_u32_e32 v39, 32, v36
	v_subrev_u32_e32 v36, 28, v39
	v_lshlrev_b64 v[36:37], v36, v[7:8]
	v_lshrrev_b32_e32 v38, 3, v35
	v_sub_u32_e32 v7, 29, v39
	v_and_b32_e32 v36, 7, v36
	v_cmp_gt_u32_e64 s[4:5], 8, v35
	v_cndmask_b32_e64 v7, v38, v7, s[4:5]
	v_cndmask_b32_e64 v33, v33, v36, s[4:5]
	v_lshlrev_b32_e32 v34, 24, v34
	v_lshlrev_b32_e32 v33, 20, v33
	v_and_b32_e32 v34, 0x80000000, v34
	v_lshl_add_u32 v7, v7, 23, v22
	v_or3_b32 v33, v34, v7, v33
.LBB224_58:                             ;   in Loop: Header=BB224_13 Depth=1
	s_or_b64 exec, exec, s[44:45]
.LBB224_59:                             ;   in Loop: Header=BB224_13 Depth=1
	s_or_b64 exec, exec, s[42:43]
.LBB224_60:                             ;   in Loop: Header=BB224_13 Depth=1
	s_or_b64 exec, exec, s[40:41]
	global_load_ubyte v34, v[5:6], off offset:392
	s_waitcnt vmcnt(0)
	v_cmp_ne_u16_e64 s[4:5], 0, v34
	s_and_saveexec_b64 s[40:41], s[4:5]
	s_cbranch_execz .LBB224_66
; %bb.61:                               ;   in Loop: Header=BB224_13 Depth=1
	v_cmp_ne_u16_e64 s[4:5], s52, v34
	v_bfrev_b32_e32 v32, 1
	s_and_saveexec_b64 s[42:43], s[4:5]
	s_cbranch_execz .LBB224_65
; %bb.62:                               ;   in Loop: Header=BB224_13 Depth=1
	v_and_b32_e32 v7, 0xffff, v34
	v_and_b32_e32 v35, 0x7f, v7
	v_cmp_ne_u32_e64 s[4:5], s53, v35
	v_mov_b32_e32 v32, 0x7f800001
	s_and_saveexec_b64 s[44:45], s[4:5]
	s_cbranch_execz .LBB224_64
; %bb.63:                               ;   in Loop: Header=BB224_13 Depth=1
	v_and_b32_e32 v32, 7, v7
	v_ffbh_u32_e32 v36, v32
	v_min_u32_e32 v39, 32, v36
	v_subrev_u32_e32 v36, 28, v39
	v_lshlrev_b64 v[36:37], v36, v[7:8]
	v_lshrrev_b32_e32 v38, 3, v35
	v_sub_u32_e32 v7, 29, v39
	v_and_b32_e32 v36, 7, v36
	v_cmp_gt_u32_e64 s[4:5], 8, v35
	v_cndmask_b32_e64 v7, v38, v7, s[4:5]
	v_cndmask_b32_e64 v32, v32, v36, s[4:5]
	v_lshlrev_b32_e32 v34, 24, v34
	v_lshlrev_b32_e32 v32, 20, v32
	v_and_b32_e32 v34, 0x80000000, v34
	v_lshl_add_u32 v7, v7, 23, v22
	v_or3_b32 v32, v34, v7, v32
.LBB224_64:                             ;   in Loop: Header=BB224_13 Depth=1
	s_or_b64 exec, exec, s[44:45]
.LBB224_65:                             ;   in Loop: Header=BB224_13 Depth=1
	s_or_b64 exec, exec, s[42:43]
.LBB224_66:                             ;   in Loop: Header=BB224_13 Depth=1
	s_or_b64 exec, exec, s[40:41]
	global_load_ubyte v36, v[5:6], off offset:512
	v_mov_b32_e32 v34, 0
	v_mov_b32_e32 v35, 0
	s_waitcnt vmcnt(0)
	v_cmp_ne_u16_e64 s[4:5], 0, v36
	s_and_saveexec_b64 s[40:41], s[4:5]
	s_cbranch_execz .LBB224_72
; %bb.67:                               ;   in Loop: Header=BB224_13 Depth=1
	v_cmp_ne_u16_e64 s[4:5], s52, v36
	v_bfrev_b32_e32 v35, 1
	s_and_saveexec_b64 s[42:43], s[4:5]
	s_cbranch_execz .LBB224_71
; %bb.68:                               ;   in Loop: Header=BB224_13 Depth=1
	v_and_b32_e32 v7, 0xffff, v36
	v_and_b32_e32 v37, 0x7f, v7
	v_cmp_ne_u32_e64 s[4:5], s53, v37
	v_mov_b32_e32 v35, 0x7f800001
	s_and_saveexec_b64 s[44:45], s[4:5]
	s_cbranch_execz .LBB224_70
; %bb.69:                               ;   in Loop: Header=BB224_13 Depth=1
	v_and_b32_e32 v35, 7, v7
	v_ffbh_u32_e32 v38, v35
	v_min_u32_e32 v41, 32, v38
	v_subrev_u32_e32 v38, 28, v41
	v_lshlrev_b64 v[38:39], v38, v[7:8]
	v_lshrrev_b32_e32 v40, 3, v37
	v_sub_u32_e32 v7, 29, v41
	v_and_b32_e32 v38, 7, v38
	v_cmp_gt_u32_e64 s[4:5], 8, v37
	v_cndmask_b32_e64 v7, v40, v7, s[4:5]
	v_cndmask_b32_e64 v35, v35, v38, s[4:5]
	v_lshlrev_b32_e32 v36, 24, v36
	v_lshlrev_b32_e32 v35, 20, v35
	v_and_b32_e32 v36, 0x80000000, v36
	v_lshl_add_u32 v7, v7, 23, v22
	v_or3_b32 v35, v36, v7, v35
.LBB224_70:                             ;   in Loop: Header=BB224_13 Depth=1
	s_or_b64 exec, exec, s[44:45]
.LBB224_71:                             ;   in Loop: Header=BB224_13 Depth=1
	s_or_b64 exec, exec, s[42:43]
.LBB224_72:                             ;   in Loop: Header=BB224_13 Depth=1
	s_or_b64 exec, exec, s[40:41]
	global_load_ubyte v36, v[5:6], off offset:520
	s_waitcnt vmcnt(0)
	v_cmp_ne_u16_e64 s[4:5], 0, v36
	s_and_saveexec_b64 s[40:41], s[4:5]
	s_cbranch_execz .LBB224_78
; %bb.73:                               ;   in Loop: Header=BB224_13 Depth=1
	v_cmp_ne_u16_e64 s[4:5], s52, v36
	v_bfrev_b32_e32 v34, 1
	s_and_saveexec_b64 s[42:43], s[4:5]
	s_cbranch_execz .LBB224_77
; %bb.74:                               ;   in Loop: Header=BB224_13 Depth=1
	v_and_b32_e32 v7, 0xffff, v36
	v_and_b32_e32 v37, 0x7f, v7
	v_cmp_ne_u32_e64 s[4:5], s53, v37
	v_mov_b32_e32 v34, 0x7f800001
	s_and_saveexec_b64 s[44:45], s[4:5]
	s_cbranch_execz .LBB224_76
; %bb.75:                               ;   in Loop: Header=BB224_13 Depth=1
	v_and_b32_e32 v34, 7, v7
	v_ffbh_u32_e32 v38, v34
	v_min_u32_e32 v41, 32, v38
	v_subrev_u32_e32 v38, 28, v41
	v_lshlrev_b64 v[38:39], v38, v[7:8]
	v_lshrrev_b32_e32 v40, 3, v37
	v_sub_u32_e32 v7, 29, v41
	v_and_b32_e32 v38, 7, v38
	v_cmp_gt_u32_e64 s[4:5], 8, v37
	v_cndmask_b32_e64 v7, v40, v7, s[4:5]
	v_cndmask_b32_e64 v34, v34, v38, s[4:5]
	v_lshlrev_b32_e32 v36, 24, v36
	v_lshlrev_b32_e32 v34, 20, v34
	v_and_b32_e32 v36, 0x80000000, v36
	v_lshl_add_u32 v7, v7, 23, v22
	v_or3_b32 v34, v36, v7, v34
.LBB224_76:                             ;   in Loop: Header=BB224_13 Depth=1
	s_or_b64 exec, exec, s[44:45]
.LBB224_77:                             ;   in Loop: Header=BB224_13 Depth=1
	s_or_b64 exec, exec, s[42:43]
.LBB224_78:                             ;   in Loop: Header=BB224_13 Depth=1
	s_or_b64 exec, exec, s[40:41]
	global_load_ubyte v38, v[5:6], off offset:640
	v_mov_b32_e32 v36, 0
	v_mov_b32_e32 v37, 0
	s_waitcnt vmcnt(0)
	v_cmp_ne_u16_e64 s[4:5], 0, v38
	s_and_saveexec_b64 s[40:41], s[4:5]
	s_cbranch_execz .LBB224_84
; %bb.79:                               ;   in Loop: Header=BB224_13 Depth=1
	v_cmp_ne_u16_e64 s[4:5], s52, v38
	v_bfrev_b32_e32 v37, 1
	s_and_saveexec_b64 s[42:43], s[4:5]
	s_cbranch_execz .LBB224_83
; %bb.80:                               ;   in Loop: Header=BB224_13 Depth=1
	v_and_b32_e32 v7, 0xffff, v38
	v_and_b32_e32 v39, 0x7f, v7
	v_cmp_ne_u32_e64 s[4:5], s53, v39
	v_mov_b32_e32 v37, 0x7f800001
	s_and_saveexec_b64 s[44:45], s[4:5]
	s_cbranch_execz .LBB224_82
; %bb.81:                               ;   in Loop: Header=BB224_13 Depth=1
	v_and_b32_e32 v37, 7, v7
	v_ffbh_u32_e32 v40, v37
	v_min_u32_e32 v43, 32, v40
	v_subrev_u32_e32 v40, 28, v43
	v_lshlrev_b64 v[40:41], v40, v[7:8]
	v_lshrrev_b32_e32 v42, 3, v39
	v_sub_u32_e32 v7, 29, v43
	v_and_b32_e32 v40, 7, v40
	v_cmp_gt_u32_e64 s[4:5], 8, v39
	v_cndmask_b32_e64 v7, v42, v7, s[4:5]
	v_cndmask_b32_e64 v37, v37, v40, s[4:5]
	v_lshlrev_b32_e32 v38, 24, v38
	v_lshlrev_b32_e32 v37, 20, v37
	v_and_b32_e32 v38, 0x80000000, v38
	v_lshl_add_u32 v7, v7, 23, v22
	v_or3_b32 v37, v38, v7, v37
.LBB224_82:                             ;   in Loop: Header=BB224_13 Depth=1
	s_or_b64 exec, exec, s[44:45]
.LBB224_83:                             ;   in Loop: Header=BB224_13 Depth=1
	s_or_b64 exec, exec, s[42:43]
.LBB224_84:                             ;   in Loop: Header=BB224_13 Depth=1
	s_or_b64 exec, exec, s[40:41]
	global_load_ubyte v38, v[5:6], off offset:648
	s_waitcnt vmcnt(0)
	v_cmp_ne_u16_e64 s[4:5], 0, v38
	s_and_saveexec_b64 s[40:41], s[4:5]
	s_cbranch_execz .LBB224_90
; %bb.85:                               ;   in Loop: Header=BB224_13 Depth=1
	v_cmp_ne_u16_e64 s[4:5], s52, v38
	v_bfrev_b32_e32 v36, 1
	s_and_saveexec_b64 s[42:43], s[4:5]
	s_cbranch_execz .LBB224_89
; %bb.86:                               ;   in Loop: Header=BB224_13 Depth=1
	v_and_b32_e32 v7, 0xffff, v38
	v_and_b32_e32 v39, 0x7f, v7
	v_cmp_ne_u32_e64 s[4:5], s53, v39
	v_mov_b32_e32 v36, 0x7f800001
	s_and_saveexec_b64 s[44:45], s[4:5]
	s_cbranch_execz .LBB224_88
; %bb.87:                               ;   in Loop: Header=BB224_13 Depth=1
	v_and_b32_e32 v36, 7, v7
	v_ffbh_u32_e32 v40, v36
	v_min_u32_e32 v43, 32, v40
	v_subrev_u32_e32 v40, 28, v43
	v_lshlrev_b64 v[40:41], v40, v[7:8]
	v_lshrrev_b32_e32 v42, 3, v39
	v_sub_u32_e32 v7, 29, v43
	v_and_b32_e32 v40, 7, v40
	v_cmp_gt_u32_e64 s[4:5], 8, v39
	v_cndmask_b32_e64 v7, v42, v7, s[4:5]
	v_cndmask_b32_e64 v36, v36, v40, s[4:5]
	v_lshlrev_b32_e32 v38, 24, v38
	v_lshlrev_b32_e32 v36, 20, v36
	v_and_b32_e32 v38, 0x80000000, v38
	v_lshl_add_u32 v7, v7, 23, v22
	v_or3_b32 v36, v38, v7, v36
.LBB224_88:                             ;   in Loop: Header=BB224_13 Depth=1
	s_or_b64 exec, exec, s[44:45]
.LBB224_89:                             ;   in Loop: Header=BB224_13 Depth=1
	s_or_b64 exec, exec, s[42:43]
.LBB224_90:                             ;   in Loop: Header=BB224_13 Depth=1
	s_or_b64 exec, exec, s[40:41]
	global_load_ubyte v40, v[5:6], off offset:768
	v_mov_b32_e32 v38, 0
	v_mov_b32_e32 v39, 0
	s_waitcnt vmcnt(0)
	v_cmp_ne_u16_e64 s[4:5], 0, v40
	s_and_saveexec_b64 s[40:41], s[4:5]
	s_cbranch_execz .LBB224_96
; %bb.91:                               ;   in Loop: Header=BB224_13 Depth=1
	v_cmp_ne_u16_e64 s[4:5], s52, v40
	v_bfrev_b32_e32 v39, 1
	s_and_saveexec_b64 s[42:43], s[4:5]
	s_cbranch_execz .LBB224_95
; %bb.92:                               ;   in Loop: Header=BB224_13 Depth=1
	v_and_b32_e32 v7, 0xffff, v40
	v_and_b32_e32 v41, 0x7f, v7
	v_cmp_ne_u32_e64 s[4:5], s53, v41
	v_mov_b32_e32 v39, 0x7f800001
	s_and_saveexec_b64 s[44:45], s[4:5]
	s_cbranch_execz .LBB224_94
; %bb.93:                               ;   in Loop: Header=BB224_13 Depth=1
	v_and_b32_e32 v39, 7, v7
	v_ffbh_u32_e32 v42, v39
	v_min_u32_e32 v45, 32, v42
	v_subrev_u32_e32 v42, 28, v45
	v_lshlrev_b64 v[42:43], v42, v[7:8]
	v_lshrrev_b32_e32 v44, 3, v41
	v_sub_u32_e32 v7, 29, v45
	v_and_b32_e32 v42, 7, v42
	v_cmp_gt_u32_e64 s[4:5], 8, v41
	v_cndmask_b32_e64 v7, v44, v7, s[4:5]
	v_cndmask_b32_e64 v39, v39, v42, s[4:5]
	v_lshlrev_b32_e32 v40, 24, v40
	v_lshlrev_b32_e32 v39, 20, v39
	v_and_b32_e32 v40, 0x80000000, v40
	v_lshl_add_u32 v7, v7, 23, v22
	v_or3_b32 v39, v40, v7, v39
.LBB224_94:                             ;   in Loop: Header=BB224_13 Depth=1
	s_or_b64 exec, exec, s[44:45]
.LBB224_95:                             ;   in Loop: Header=BB224_13 Depth=1
	s_or_b64 exec, exec, s[42:43]
.LBB224_96:                             ;   in Loop: Header=BB224_13 Depth=1
	s_or_b64 exec, exec, s[40:41]
	global_load_ubyte v40, v[5:6], off offset:776
	s_waitcnt vmcnt(0)
	v_cmp_ne_u16_e64 s[4:5], 0, v40
	s_and_saveexec_b64 s[40:41], s[4:5]
	s_cbranch_execz .LBB224_102
; %bb.97:                               ;   in Loop: Header=BB224_13 Depth=1
	v_cmp_ne_u16_e64 s[4:5], s52, v40
	v_bfrev_b32_e32 v38, 1
	s_and_saveexec_b64 s[42:43], s[4:5]
	s_cbranch_execz .LBB224_101
; %bb.98:                               ;   in Loop: Header=BB224_13 Depth=1
	v_and_b32_e32 v7, 0xffff, v40
	v_and_b32_e32 v41, 0x7f, v7
	v_cmp_ne_u32_e64 s[4:5], s53, v41
	v_mov_b32_e32 v38, 0x7f800001
	s_and_saveexec_b64 s[44:45], s[4:5]
	s_cbranch_execz .LBB224_100
; %bb.99:                               ;   in Loop: Header=BB224_13 Depth=1
	v_and_b32_e32 v38, 7, v7
	v_ffbh_u32_e32 v42, v38
	v_min_u32_e32 v45, 32, v42
	v_subrev_u32_e32 v42, 28, v45
	v_lshlrev_b64 v[42:43], v42, v[7:8]
	v_lshrrev_b32_e32 v44, 3, v41
	v_sub_u32_e32 v7, 29, v45
	v_and_b32_e32 v42, 7, v42
	v_cmp_gt_u32_e64 s[4:5], 8, v41
	v_cndmask_b32_e64 v7, v44, v7, s[4:5]
	v_cndmask_b32_e64 v38, v38, v42, s[4:5]
	v_lshlrev_b32_e32 v40, 24, v40
	v_lshlrev_b32_e32 v38, 20, v38
	v_and_b32_e32 v40, 0x80000000, v40
	v_lshl_add_u32 v7, v7, 23, v22
	v_or3_b32 v38, v40, v7, v38
.LBB224_100:                            ;   in Loop: Header=BB224_13 Depth=1
	s_or_b64 exec, exec, s[44:45]
.LBB224_101:                            ;   in Loop: Header=BB224_13 Depth=1
	s_or_b64 exec, exec, s[42:43]
.LBB224_102:                            ;   in Loop: Header=BB224_13 Depth=1
	s_or_b64 exec, exec, s[40:41]
	global_load_ubyte v42, v[5:6], off offset:896
	v_mov_b32_e32 v40, 0
	v_mov_b32_e32 v41, 0
	s_waitcnt vmcnt(0)
	v_cmp_ne_u16_e64 s[4:5], 0, v42
	s_and_saveexec_b64 s[40:41], s[4:5]
	s_cbranch_execz .LBB224_108
; %bb.103:                              ;   in Loop: Header=BB224_13 Depth=1
	v_cmp_ne_u16_e64 s[4:5], s52, v42
	v_bfrev_b32_e32 v41, 1
	s_and_saveexec_b64 s[42:43], s[4:5]
	s_cbranch_execz .LBB224_107
; %bb.104:                              ;   in Loop: Header=BB224_13 Depth=1
	v_and_b32_e32 v7, 0xffff, v42
	v_and_b32_e32 v43, 0x7f, v7
	v_cmp_ne_u32_e64 s[4:5], s53, v43
	v_mov_b32_e32 v41, 0x7f800001
	s_and_saveexec_b64 s[44:45], s[4:5]
	s_cbranch_execz .LBB224_106
; %bb.105:                              ;   in Loop: Header=BB224_13 Depth=1
	v_and_b32_e32 v41, 7, v7
	v_ffbh_u32_e32 v44, v41
	v_min_u32_e32 v47, 32, v44
	v_subrev_u32_e32 v44, 28, v47
	v_lshlrev_b64 v[44:45], v44, v[7:8]
	v_lshrrev_b32_e32 v46, 3, v43
	v_sub_u32_e32 v7, 29, v47
	v_and_b32_e32 v44, 7, v44
	v_cmp_gt_u32_e64 s[4:5], 8, v43
	v_cndmask_b32_e64 v7, v46, v7, s[4:5]
	v_cndmask_b32_e64 v41, v41, v44, s[4:5]
	v_lshlrev_b32_e32 v42, 24, v42
	v_lshlrev_b32_e32 v41, 20, v41
	v_and_b32_e32 v42, 0x80000000, v42
	v_lshl_add_u32 v7, v7, 23, v22
	v_or3_b32 v41, v42, v7, v41
.LBB224_106:                            ;   in Loop: Header=BB224_13 Depth=1
	s_or_b64 exec, exec, s[44:45]
.LBB224_107:                            ;   in Loop: Header=BB224_13 Depth=1
	s_or_b64 exec, exec, s[42:43]
.LBB224_108:                            ;   in Loop: Header=BB224_13 Depth=1
	s_or_b64 exec, exec, s[40:41]
	global_load_ubyte v6, v[5:6], off offset:904
	s_waitcnt vmcnt(0)
	v_cmp_ne_u16_e64 s[4:5], 0, v6
	s_and_saveexec_b64 s[40:41], s[4:5]
	s_cbranch_execz .LBB224_114
; %bb.109:                              ;   in Loop: Header=BB224_13 Depth=1
	v_cmp_ne_u16_e64 s[4:5], s52, v6
	v_bfrev_b32_e32 v40, 1
	s_and_saveexec_b64 s[42:43], s[4:5]
	s_cbranch_execz .LBB224_113
; %bb.110:                              ;   in Loop: Header=BB224_13 Depth=1
	v_and_b32_e32 v5, 0xffff, v6
	v_and_b32_e32 v7, 0x7f, v5
	v_cmp_ne_u32_e64 s[4:5], s53, v7
	v_mov_b32_e32 v40, 0x7f800001
	s_and_saveexec_b64 s[44:45], s[4:5]
	s_cbranch_execz .LBB224_112
; %bb.111:                              ;   in Loop: Header=BB224_13 Depth=1
	v_and_b32_e32 v40, 7, v5
	v_ffbh_u32_e32 v42, v40
	v_min_u32_e32 v45, 32, v42
	v_subrev_u32_e32 v42, 28, v45
	v_lshlrev_b64 v[42:43], v42, v[5:6]
	v_lshrrev_b32_e32 v44, 3, v7
	v_sub_u32_e32 v5, 29, v45
	v_and_b32_e32 v42, 7, v42
	v_cmp_gt_u32_e64 s[4:5], 8, v7
	v_cndmask_b32_e64 v5, v44, v5, s[4:5]
	v_cndmask_b32_e64 v7, v40, v42, s[4:5]
	v_lshlrev_b32_e32 v6, 24, v6
	v_lshlrev_b32_e32 v7, 20, v7
	v_and_b32_e32 v6, 0x80000000, v6
	v_lshl_add_u32 v5, v5, 23, v22
	v_or3_b32 v40, v6, v5, v7
.LBB224_112:                            ;   in Loop: Header=BB224_13 Depth=1
	s_or_b64 exec, exec, s[44:45]
.LBB224_113:                            ;   in Loop: Header=BB224_13 Depth=1
	s_or_b64 exec, exec, s[42:43]
.LBB224_114:                            ;   in Loop: Header=BB224_13 Depth=1
	s_or_b64 exec, exec, s[40:41]
	ds_read_u16 v6, v15
	v_fma_mixlo_f16 v5, v25, v27, 0
	v_and_b32_e32 v7, 0xffff, v5
	s_waitcnt lgkmcnt(0)
	;;#ASMSTART
	v_cvt_f32_f16 v5, v6;
	;;#ASMEND
	;;#ASMSTART
	v_cvt_f32_f16 v6, v7;
	;;#ASMEND
	ds_read_u16 v27, v15 offset:2
	v_fma_mixlo_f16 v7, v25, v26, 0
	v_and_b32_e32 v26, 0xffff, v7
	s_waitcnt lgkmcnt(0)
	;;#ASMSTART
	v_cvt_f32_f16 v7, v27;
	;;#ASMEND
	;;#ASMSTART
	v_cvt_f32_f16 v26, v26;
	;;#ASMEND
	v_fma_mixlo_f16 v27, v25, v29, 0
	v_mul_f32_e32 v7, v7, v26
	ds_read_u16 v42, v15 offset:4
	v_and_b32_e32 v29, 0xffff, v27
	v_fma_mixlo_f16 v28, v25, v28, 0
	v_fmac_f32_e32 v7, v5, v6
	s_waitcnt lgkmcnt(0)
	;;#ASMSTART
	v_cvt_f32_f16 v27, v42;
	;;#ASMEND
	;;#ASMSTART
	v_cvt_f32_f16 v29, v29;
	;;#ASMEND
	ds_read_u16 v42, v15 offset:6
	v_and_b32_e32 v43, 0xffff, v28
	v_fma_mixlo_f16 v31, v25, v31, 0
	v_fmac_f32_e32 v7, v27, v29
	s_waitcnt lgkmcnt(0)
	;;#ASMSTART
	v_cvt_f32_f16 v28, v42;
	;;#ASMEND
	;;#ASMSTART
	v_cvt_f32_f16 v42, v43;
	;;#ASMEND
	;; [unrolled: 11-line block ×9, first 2 shown]
	ds_read_u16 v50, v15 offset:22
	v_fma_mixlo_f16 v39, v25, v39, 0
	v_and_b32_e32 v36, 0xffff, v36
	v_fmac_f32_e32 v7, v37, v49
	v_fma_mixlo_f16 v38, v25, v38, 0
	s_waitcnt lgkmcnt(0)
	;;#ASMSTART
	v_cvt_f32_f16 v50, v50;
	;;#ASMEND
	;;#ASMSTART
	v_cvt_f32_f16 v36, v36;
	;;#ASMEND
	v_and_b32_e32 v6, 0xffff, v39
	v_fmac_f32_e32 v7, v50, v36
	v_fma_mixlo_f16 v41, v25, v41, 0
	ds_read_u16 v51, v15 offset:24
	s_waitcnt lgkmcnt(0)
	;;#ASMSTART
	v_cvt_f32_f16 v5, v51;
	;;#ASMEND
	;;#ASMSTART
	v_cvt_f32_f16 v6, v6;
	;;#ASMEND
	ds_read_u16 v26, v15 offset:26
	v_and_b32_e32 v27, 0xffff, v38
	v_fmac_f32_e32 v7, v5, v6
	v_fma_mixlo_f16 v25, v25, v40, 0
	s_waitcnt lgkmcnt(0)
	;;#ASMSTART
	v_cvt_f32_f16 v26, v26;
	;;#ASMEND
	;;#ASMSTART
	v_cvt_f32_f16 v27, v27;
	;;#ASMEND
	ds_read_u16 v28, v15 offset:28
	v_and_b32_e32 v29, 0xffff, v41
	v_fmac_f32_e32 v7, v26, v27
	s_waitcnt lgkmcnt(0)
	;;#ASMSTART
	v_cvt_f32_f16 v28, v28;
	;;#ASMEND
	;;#ASMSTART
	v_cvt_f32_f16 v29, v29;
	;;#ASMEND
	ds_read_u16 v30, v15 offset:30
	v_fmac_f32_e32 v7, v28, v29
	s_waitcnt lgkmcnt(0)
	;;#ASMSTART
	v_cvt_f32_f16 v5, v30;
	;;#ASMEND
	v_and_b32_e32 v6, 0xffff, v25
	;;#ASMSTART
	v_cvt_f32_f16 v6, v6;
	;;#ASMEND
	v_fmac_f32_e32 v7, v5, v6
	v_and_b32_e32 v5, 64, v23
	v_add_u32_e32 v6, 64, v5
	v_xor_b32_e32 v5, 4, v23
	v_cmp_lt_i32_e64 s[4:5], v5, v6
	v_cndmask_b32_e64 v5, v23, v5, s[4:5]
	v_lshlrev_b32_e32 v5, 2, v5
	ds_bpermute_b32 v5, v5, v7
	s_waitcnt lgkmcnt(0)
	v_add_f32_e32 v5, v7, v5
	v_xor_b32_e32 v7, 2, v23
	v_cmp_lt_i32_e64 s[4:5], v7, v6
	v_cndmask_b32_e64 v7, v23, v7, s[4:5]
	v_lshlrev_b32_e32 v7, 2, v7
	ds_bpermute_b32 v7, v7, v5
	s_waitcnt lgkmcnt(0)
	v_add_f32_e32 v5, v5, v7
	v_xor_b32_e32 v7, 1, v23
	v_cmp_lt_i32_e64 s[4:5], v7, v6
	v_cndmask_b32_e64 v6, v23, v7, s[4:5]
	v_lshlrev_b32_e32 v6, 2, v6
	ds_bpermute_b32 v6, v6, v5
	s_and_saveexec_b64 s[40:41], vcc
	s_cbranch_execz .LBB224_11
; %bb.115:                              ;   in Loop: Header=BB224_13 Depth=1
	v_add_u32_e32 v7, v19, v18
	v_cvt_f32_i32_e32 v7, v7
	s_waitcnt lgkmcnt(0)
	v_add_f32_e32 v5, v5, v6
	v_add_u32_e32 v25, v10, v18
	v_cmp_gt_i32_e64 s[4:5], s11, v25
	v_mul_f32_e32 v6, s48, v7
	v_cndmask_b32_e64 v6, 0, v6, s[2:3]
	v_fmac_f32_e32 v6, s37, v5
	v_cndmask_b32_e64 v5, 0, v6, s[4:5]
	ds_write_b32 v20, v5
	v_max_f32_e32 v5, v16, v16
	v_max_f32_e32 v5, v5, v6
	v_cndmask_b32_e64 v16, v16, v5, s[4:5]
	s_branch .LBB224_11
.LBB224_116:
	s_or_b64 exec, exec, s[38:39]
.LBB224_117:
	s_or_b64 exec, exec, s[18:19]
	v_mbcnt_hi_u32_b32 v1, -1, v9
	v_and_b32_e32 v10, 64, v1
	v_add_u32_e32 v2, 64, v10
	v_xor_b32_e32 v3, 32, v1
	v_cmp_lt_i32_e32 vcc, v3, v2
	v_cndmask_b32_e32 v3, v1, v3, vcc
	v_lshlrev_b32_e32 v4, 2, v3
	ds_bpermute_b32 v3, v4, v16
	s_waitcnt lgkmcnt(1)
	v_xor_b32_e32 v6, 16, v1
	v_max_f32_e32 v5, v16, v16
	v_cmp_lt_i32_e32 vcc, v6, v2
	v_xor_b32_e32 v7, 8, v1
	s_waitcnt lgkmcnt(0)
	v_max_f32_e32 v3, v3, v3
	v_max_f32_e32 v3, v5, v3
	v_cndmask_b32_e32 v5, v1, v6, vcc
	v_lshlrev_b32_e32 v6, 2, v5
	ds_bpermute_b32 v5, v6, v3
	v_cmp_lt_i32_e32 vcc, v7, v2
	v_and_b32_e32 v14, 63, v0
	s_waitcnt lgkmcnt(0)
	v_max_f32_e32 v5, v5, v5
	v_max_f32_e32 v5, v3, v5
	v_cndmask_b32_e32 v3, v1, v7, vcc
	v_lshlrev_b32_e32 v9, 2, v3
	ds_bpermute_b32 v7, v9, v5
	v_cmp_eq_u32_e32 vcc, 0, v14
	v_lshlrev_b32_e32 v3, 2, v12
	s_and_saveexec_b64 s[2:3], vcc
	s_cbranch_execz .LBB224_119
; %bb.118:
	s_waitcnt lgkmcnt(0)
	v_max_f32_e32 v7, v7, v7
	v_max_f32_e32 v5, v5, v5
	;; [unrolled: 1-line block ×3, first 2 shown]
	ds_write_b32 v3, v5 offset:256
.LBB224_119:
	s_or_b64 exec, exec, s[2:3]
	v_cmp_gt_u32_e64 s[2:3], 2, v14
	v_mov_b32_e32 v15, 0xff7fffff
	v_lshlrev_b32_e32 v5, 2, v14
	s_waitcnt lgkmcnt(0)
	s_barrier
	s_and_saveexec_b64 s[4:5], s[2:3]
; %bb.120:
	ds_read_b32 v15, v5 offset:256
; %bb.121:
	s_or_b64 exec, exec, s[4:5]
	v_xor_b32_e32 v7, 1, v1
	v_cmp_lt_i32_e64 s[4:5], v7, v2
	v_cndmask_b32_e64 v7, v1, v7, s[4:5]
	v_lshlrev_b32_e32 v7, 2, v7
	s_waitcnt lgkmcnt(0)
	ds_bpermute_b32 v16, v7, v15
	v_max_f32_e32 v15, v15, v15
	v_lshlrev_b32_e32 v10, 2, v10
	s_lshl_b32 s4, s47, 3
	s_min_i32 s37, s4, s11
	s_waitcnt lgkmcnt(0)
	v_max_f32_e32 v16, v16, v16
	v_max_f32_e32 v15, v15, v16
	ds_bpermute_b32 v15, v10, v15
	v_cmp_gt_i32_e64 s[4:5], s37, v0
	v_mov_b32_e32 v10, 0
	s_and_saveexec_b64 s[12:13], s[4:5]
	s_cbranch_execz .LBB224_125
; %bb.122:
	v_mov_b32_e32 v10, 0x110
	v_lshl_add_u32 v16, v0, 2, v10
	v_mov_b32_e32 v10, 0
	s_mov_b64 s[18:19], 0
	v_mov_b32_e32 v17, v0
.LBB224_123:                            ; =>This Inner Loop Header: Depth=1
	ds_read_b32 v18, v16
	v_add_u32_e32 v17, 0x80, v17
	v_cmp_le_i32_e64 s[6:7], s37, v17
	s_or_b64 s[18:19], s[6:7], s[18:19]
	s_waitcnt lgkmcnt(0)
	v_sub_f32_e32 v18, v18, v15
	v_mul_f32_e32 v18, 0x3fb8aa3b, v18
	v_exp_f32_e32 v18, v18
	ds_write_b32 v16, v18
	v_add_f32_e32 v10, v10, v18
	v_add_u32_e32 v16, 0x200, v16
	s_andn2_b64 exec, exec, s[18:19]
	s_cbranch_execnz .LBB224_123
; %bb.124:
	s_or_b64 exec, exec, s[18:19]
.LBB224_125:
	s_or_b64 exec, exec, s[12:13]
	ds_bpermute_b32 v4, v4, v10
	s_waitcnt lgkmcnt(0)
	v_add_f32_e32 v4, v10, v4
	ds_bpermute_b32 v6, v6, v4
	s_waitcnt lgkmcnt(0)
	v_add_f32_e32 v4, v4, v6
	ds_bpermute_b32 v6, v9, v4
	v_xor_b32_e32 v9, 4, v1
	v_cmp_lt_i32_e64 s[6:7], v9, v2
	v_cndmask_b32_e64 v9, v1, v9, s[6:7]
	v_lshlrev_b32_e32 v9, 2, v9
	s_waitcnt lgkmcnt(0)
	v_add_f32_e32 v4, v4, v6
	ds_bpermute_b32 v6, v9, v4
	v_xor_b32_e32 v9, 2, v1
	v_cmp_lt_i32_e64 s[6:7], v9, v2
	v_cndmask_b32_e64 v2, v1, v9, s[6:7]
	v_lshlrev_b32_e32 v2, 2, v2
	s_waitcnt lgkmcnt(0)
	v_add_f32_e32 v4, v4, v6
	ds_bpermute_b32 v2, v2, v4
	s_waitcnt lgkmcnt(0)
	v_add_f32_e32 v2, v4, v2
	ds_bpermute_b32 v4, v7, v2
	s_waitcnt lgkmcnt(0)
	v_add_f32_e32 v2, v2, v4
	s_and_saveexec_b64 s[6:7], vcc
; %bb.126:
	ds_write_b32 v3, v2 offset:264
; %bb.127:
	s_or_b64 exec, exec, s[6:7]
	s_waitcnt lgkmcnt(0)
	s_barrier
	s_and_saveexec_b64 s[6:7], s[2:3]
; %bb.128:
	ds_read_b32 v2, v5 offset:264
; %bb.129:
	s_or_b64 exec, exec, s[6:7]
	s_waitcnt lgkmcnt(0)
	ds_bpermute_b32 v3, v7, v2
	v_lshlrev_b32_e32 v1, 2, v1
	v_and_b32_e32 v1, 0x100, v1
	s_waitcnt lgkmcnt(0)
	v_add_f32_e32 v2, v2, v3
	ds_bpermute_b32 v1, v1, v2
	s_and_saveexec_b64 s[2:3], s[4:5]
	s_cbranch_execz .LBB224_132
; %bb.130:
	s_waitcnt lgkmcnt(0)
	v_add_f32_e32 v2, 0x358637bd, v1
	v_div_scale_f32 v1, s[4:5], v2, v2, 1.0
	v_div_scale_f32 v3, vcc, 1.0, v2, 1.0
	s_mov_b64 s[4:5], 0
	v_rcp_f32_e32 v4, v1
	v_fma_f32 v5, -v1, v4, 1.0
	v_fmac_f32_e32 v4, v5, v4
	v_mul_f32_e32 v5, v3, v4
	v_fma_f32 v6, -v1, v5, v3
	v_fmac_f32_e32 v5, v6, v4
	v_fma_f32 v1, -v1, v5, v3
	v_div_fmas_f32 v3, v1, v4, v5
	v_mov_b32_e32 v1, 0x110
	v_lshl_add_u32 v1, v0, 2, v1
	v_div_fixup_f32 v2, v3, v2, 1.0
	v_mov_b32_e32 v3, v0
.LBB224_131:                            ; =>This Inner Loop Header: Depth=1
	ds_read_b32 v4, v1
	v_add_u32_e32 v3, 0x80, v3
	v_cmp_le_i32_e32 vcc, s37, v3
	s_or_b64 s[4:5], vcc, s[4:5]
	s_waitcnt lgkmcnt(0)
	v_mul_f32_e32 v4, v2, v4
	ds_write_b32 v1, v4
	v_add_u32_e32 v1, 0x200, v1
	s_andn2_b64 exec, exec, s[4:5]
	s_cbranch_execnz .LBB224_131
.LBB224_132:
	s_or_b64 exec, exec, s[2:3]
	v_mov_b32_e32 v16, 0
	v_mov_b32_e32 v15, 0
	s_waitcnt lgkmcnt(0)
	s_barrier
	s_and_saveexec_b64 s[2:3], s[0:1]
	s_cbranch_execz .LBB224_238
; %bb.133:
	s_sub_i32 s37, s16, s21
	s_ashr_i32 s0, s20, 31
	s_add_u32 s6, s34, s20
	s_addc_u32 s7, s35, s0
	s_abs_i32 s22, s22
	v_cvt_f32_u32_e32 v1, s22
	s_sub_i32 s0, 0, s22
	v_lshlrev_b32_e32 v3, 3, v14
	s_add_i32 s35, s47, -1
	v_rcp_iflag_f32_e32 v1, v1
	v_mov_b32_e32 v6, s7
	v_add_co_u32_e32 v3, vcc, s6, v3
	v_mul_f32_e32 v1, 0x4f7ffffe, v1
	v_cvt_u32_f32_e32 v1, v1
	v_and_b32_e32 v5, 60, v8
	s_mov_b32 s4, -1
	s_mov_b32 s34, s17
	v_mul_lo_u32 v4, s0, v1
	s_lshl_b64 s[0:1], s[30:31], 2
	s_add_u32 s0, s28, s0
	s_addc_u32 s1, s29, s1
	v_mul_hi_u32 v7, v1, v4
	v_addc_co_u32_e32 v4, vcc, 0, v6, vcc
	v_add_co_u32_e32 v5, vcc, s0, v5
	v_add_u32_e32 v17, v1, v7
	v_mov_b32_e32 v1, s1
	v_addc_co_u32_e32 v6, vcc, 0, v1, vcc
	v_mov_b32_e32 v1, 0x110
	s_mov_b32 s5, 0xffffff
	v_mov_b32_e32 v2, 0
	v_lshl_add_u32 v18, v12, 5, v1
	s_mov_b64 s[6:7], 0
	s_movk_i32 s28, 0x80
	s_movk_i32 s29, 0x7f
	s_mov_b32 s30, 0x8000
	v_mov_b32_e32 v19, 0x2000
	v_mov_b32_e32 v15, 0
	;; [unrolled: 1-line block ×3, first 2 shown]
	s_branch .LBB224_136
.LBB224_134:                            ;   in Loop: Header=BB224_136 Depth=1
	s_or_b64 exec, exec, s[0:1]
	v_add_f32_e32 v9, v29, v30
	;;#ASMSTART
	v_pk_mul_f16 v8, v28, v8;

	;;#ASMEND
	;;#ASMSTART
	v_pk_mul_f16 v1, v27, v1;

	;;#ASMEND
	v_add_f32_e32 v16, v16, v9
	;;#ASMSTART
	v_pk_mul_f16 v9, v26, v32;

	;;#ASMEND
	;;#ASMSTART
	v_pk_mul_f16 v7, v25, v7;

	;;#ASMEND
	;;#ASMSTART
	v_pk_add_f16 v1, v8, v1;

	;;#ASMEND
	;;#ASMSTART
	v_pk_add_f16 v1, v1, v9;
	;; [unrolled: 4-line block ×3, first 2 shown]

	;;#ASMEND
	v_lshrrev_b32_e32 v7, 16, v1
	v_and_b32_e32 v1, 0xffff, v1
	;;#ASMSTART
	v_cvt_f32_f16 v1, v1;
	;;#ASMEND
	;;#ASMSTART
	v_cvt_f32_f16 v7, v7;
	;;#ASMEND
	v_add_f32_e32 v1, v1, v7
	v_add_f32_e32 v15, v15, v1
.LBB224_135:                            ;   in Loop: Header=BB224_136 Depth=1
	s_or_b64 exec, exec, s[12:13]
	v_add_co_u32_e32 v5, vcc, 8, v5
	v_add_u32_e32 v12, 2, v12
	v_addc_co_u32_e32 v6, vcc, 0, v6, vcc
	v_cmp_le_i32_e32 vcc, s47, v12
	v_add_u32_e32 v13, 16, v13
	s_or_b64 s[6:7], vcc, s[6:7]
	v_add_u32_e32 v18, 64, v18
	s_andn2_b64 exec, exec, s[6:7]
	s_cbranch_execz .LBB224_237
.LBB224_136:                            ; =>This Inner Loop Header: Depth=1
	v_mul_hi_u32 v1, v13, s33
	v_mul_lo_u32 v7, v1, s25
	v_add_u32_e32 v8, 1, v1
	v_sub_u32_e32 v7, v13, v7
	v_cmp_le_u32_e32 vcc, s25, v7
	v_cndmask_b32_e32 v1, v1, v8, vcc
	v_subrev_u32_e32 v8, s25, v7
	v_cndmask_b32_e32 v7, v7, v8, vcc
	v_add_u32_e32 v8, 1, v1
	v_cmp_le_u32_e32 vcc, s25, v7
	v_cndmask_b32_e32 v1, v1, v8, vcc
	v_xor_b32_e32 v1, s46, v1
	v_subrev_u32_e32 v1, s46, v1
	v_add_u32_e32 v7, s36, v1
	v_sub_u32_e32 v8, 0, v7
	v_max_i32_e32 v8, v7, v8
	v_mul_hi_u32 v9, v8, v17
	v_ashrrev_i32_e32 v7, 31, v7
	v_cmp_lt_i32_e64 s[0:1], s37, v1
	v_mul_lo_u32 v9, v9, s22
	v_sub_u32_e32 v8, v8, v9
	v_subrev_u32_e32 v9, s22, v8
	v_cmp_le_u32_e32 vcc, s22, v8
	v_cndmask_b32_e32 v8, v8, v9, vcc
	v_subrev_u32_e32 v9, s22, v8
	v_cmp_le_u32_e32 vcc, s22, v8
	v_cndmask_b32_e32 v8, v8, v9, vcc
	v_xor_b32_e32 v8, v8, v7
	v_sub_u32_e32 v7, v8, v7
	v_cmp_eq_u32_e32 vcc, 0, v7
	s_or_b64 s[0:1], vcc, s[0:1]
	s_and_saveexec_b64 s[12:13], s[0:1]
	s_cbranch_execz .LBB224_135
; %bb.137:                              ;   in Loop: Header=BB224_136 Depth=1
	global_load_dword v1, v[5:6], off
	ds_read2_b64 v[7:10], v18 offset1:1
	ds_read2_b64 v[20:23], v18 offset0:2 offset1:3
	s_waitcnt lgkmcnt(1)
	;;#ASMSTART
	v_cvt_f16_f32 v25, v7;

	;;#ASMEND
	;;#ASMSTART
	v_cvt_f16_f32 v26, v8;

	;;#ASMEND
	;; [unrolled: 4-line block ×4, first 2 shown]
	s_waitcnt lgkmcnt(0)
	;;#ASMSTART
	v_cvt_f16_f32 v30, v20;

	;;#ASMEND
	;;#ASMSTART
	v_cvt_f16_f32 v31, v21;

	;;#ASMEND
	;; [unrolled: 4-line block ×4, first 2 shown]
	v_mov_b32_e32 v21, 0
	global_load_dword v20, v21, s[14:15]
	v_mov_b32_e32 v22, 0
	s_waitcnt vmcnt(1)
	v_mad_i64_i32 v[7:8], s[0:1], v1, s34, v[3:4]
	global_load_dwordx2 v[9:10], v[7:8], off
	s_waitcnt vmcnt(0)
	v_cmp_ne_u16_sdwa s[16:17], v9, v2 src0_sel:BYTE_0 src1_sel:DWORD
	s_and_saveexec_b64 s[0:1], s[16:17]
	s_cbranch_execz .LBB224_143
; %bb.138:                              ;   in Loop: Header=BB224_136 Depth=1
	v_cmp_ne_u16_sdwa s[18:19], v9, s28 src0_sel:BYTE_0 src1_sel:DWORD
	v_mov_b32_e32 v22, 0x8000
	s_and_saveexec_b64 s[16:17], s[18:19]
	s_cbranch_execz .LBB224_142
; %bb.139:                              ;   in Loop: Header=BB224_136 Depth=1
	v_and_b32_e32 v1, 0x7f, v9
	v_cmp_ne_u32_e32 vcc, s29, v1
	v_mov_b32_e32 v22, 0x7c01
	s_and_saveexec_b64 s[18:19], vcc
	s_cbranch_execz .LBB224_141
; %bb.140:                              ;   in Loop: Header=BB224_136 Depth=1
	v_and_b32_e32 v24, 7, v9
	v_ffbh_u32_e32 v22, v24
	v_min_u32_e32 v34, 32, v22
	v_subrev_u32_e32 v22, 28, v34
	v_lshlrev_b64 v[22:23], v22, v[9:10]
	v_lshrrev_b32_e32 v28, 3, v1
	v_sub_u32_e32 v23, 29, v34
	v_cmp_gt_u32_e32 vcc, 8, v1
	v_cndmask_b32_e32 v1, v28, v23, vcc
	v_lshl_add_u32 v1, v1, 10, v19
	v_lshlrev_b32_e32 v23, 8, v9
	v_and_b32_e32 v22, 7, v22
	v_and_b32_e32 v1, 0xfc00, v1
	v_cndmask_b32_e32 v22, v24, v22, vcc
	v_and_or_b32 v1, v23, s30, v1
	v_lshl_or_b32 v22, v22, 7, v1
.LBB224_141:                            ;   in Loop: Header=BB224_136 Depth=1
	s_or_b64 exec, exec, s[18:19]
.LBB224_142:                            ;   in Loop: Header=BB224_136 Depth=1
	s_or_b64 exec, exec, s[16:17]
.LBB224_143:                            ;   in Loop: Header=BB224_136 Depth=1
	s_or_b64 exec, exec, s[0:1]
	v_lshrrev_b16_e32 v1, 8, v9
	v_cmp_ne_u16_e32 vcc, 0, v1
	s_and_saveexec_b64 s[0:1], vcc
	s_cbranch_execz .LBB224_149
; %bb.144:                              ;   in Loop: Header=BB224_136 Depth=1
	v_cmp_ne_u16_e32 vcc, s28, v1
	v_bfrev_b32_e32 v21, 1
	s_and_saveexec_b64 s[16:17], vcc
	s_cbranch_execz .LBB224_148
; %bb.145:                              ;   in Loop: Header=BB224_136 Depth=1
	v_and_b32_e32 v23, 0x7f, v1
	v_cmp_ne_u32_e32 vcc, s29, v23
	v_mov_b32_e32 v21, 0x7c010000
	s_and_saveexec_b64 s[18:19], vcc
	s_cbranch_execz .LBB224_147
; %bb.146:                              ;   in Loop: Header=BB224_136 Depth=1
	v_and_b32_e32 v21, 7, v1
	v_ffbh_u32_e32 v28, v21
	v_min_u32_e32 v28, 32, v28
	v_lshrrev_b32_e32 v24, 3, v23
	v_subrev_u32_e32 v34, 28, v28
	v_sub_u32_e32 v28, 29, v28
	v_cmp_gt_u32_e32 vcc, 8, v23
	v_lshlrev_b64 v[34:35], v34, v[1:2]
	v_cndmask_b32_e32 v23, v24, v28, vcc
	v_lshlrev_b32_e32 v1, 8, v1
	v_lshl_add_u32 v23, v23, 10, v19
	v_and_b32_e32 v24, 7, v34
	v_and_or_b32 v1, v1, s30, v23
	v_cndmask_b32_e32 v21, v21, v24, vcc
	v_lshlrev_b32_e32 v1, 16, v1
	v_lshl_or_b32 v21, v21, 23, v1
.LBB224_147:                            ;   in Loop: Header=BB224_136 Depth=1
	s_or_b64 exec, exec, s[18:19]
.LBB224_148:                            ;   in Loop: Header=BB224_136 Depth=1
	s_or_b64 exec, exec, s[16:17]
.LBB224_149:                            ;   in Loop: Header=BB224_136 Depth=1
	s_or_b64 exec, exec, s[0:1]
	v_lshrrev_b32_e32 v1, 16, v9
	v_cmp_ne_u16_sdwa s[16:17], v1, v2 src0_sel:BYTE_0 src1_sel:DWORD
	v_mov_b32_e32 v23, 0
	v_mov_b32_e32 v24, 0
	s_and_saveexec_b64 s[0:1], s[16:17]
	s_cbranch_execz .LBB224_155
; %bb.150:                              ;   in Loop: Header=BB224_136 Depth=1
	v_cmp_ne_u16_sdwa s[18:19], v1, s28 src0_sel:BYTE_0 src1_sel:DWORD
	v_mov_b32_e32 v24, 0x8000
	s_and_saveexec_b64 s[16:17], s[18:19]
	s_cbranch_execz .LBB224_154
; %bb.151:                              ;   in Loop: Header=BB224_136 Depth=1
	v_bfe_u32 v28, v9, 16, 7
	v_cmp_ne_u32_e32 vcc, s29, v28
	v_mov_b32_e32 v24, 0x7c01
	s_and_saveexec_b64 s[18:19], vcc
	s_cbranch_execz .LBB224_153
; %bb.152:                              ;   in Loop: Header=BB224_136 Depth=1
	v_and_b32_e32 v24, 7, v1
	v_ffbh_u32_e32 v34, v24
	v_min_u32_e32 v37, 32, v34
	v_subrev_u32_e32 v34, 28, v37
	v_lshlrev_b64 v[34:35], v34, v[1:2]
	v_lshrrev_b32_e32 v36, 3, v28
	v_sub_u32_e32 v35, 29, v37
	v_cmp_gt_u32_e32 vcc, 8, v28
	v_cndmask_b32_e32 v28, v36, v35, vcc
	v_lshl_add_u32 v28, v28, 10, v19
	v_lshlrev_b32_e32 v1, 8, v1
	v_and_b32_e32 v34, 7, v34
	v_and_b32_e32 v28, 0xfc00, v28
	v_cndmask_b32_e32 v24, v24, v34, vcc
	v_and_or_b32 v1, v1, s30, v28
	v_lshl_or_b32 v24, v24, 7, v1
.LBB224_153:                            ;   in Loop: Header=BB224_136 Depth=1
	s_or_b64 exec, exec, s[18:19]
.LBB224_154:                            ;   in Loop: Header=BB224_136 Depth=1
	s_or_b64 exec, exec, s[16:17]
.LBB224_155:                            ;   in Loop: Header=BB224_136 Depth=1
	s_or_b64 exec, exec, s[0:1]
	v_cmp_lt_u32_e32 vcc, s5, v9
	s_and_saveexec_b64 s[0:1], vcc
	s_cbranch_execz .LBB224_161
; %bb.156:                              ;   in Loop: Header=BB224_136 Depth=1
	v_lshrrev_b32_e32 v1, 24, v9
	v_cmp_ne_u32_e32 vcc, s28, v1
	v_bfrev_b32_e32 v23, 1
	s_and_saveexec_b64 s[16:17], vcc
	s_cbranch_execz .LBB224_160
; %bb.157:                              ;   in Loop: Header=BB224_136 Depth=1
	v_and_b32_e32 v28, 0x7f, v1
	v_cmp_ne_u32_e32 vcc, s29, v28
	v_mov_b32_e32 v23, 0x7c010000
	s_and_saveexec_b64 s[18:19], vcc
	s_cbranch_execz .LBB224_159
; %bb.158:                              ;   in Loop: Header=BB224_136 Depth=1
	v_and_b32_e32 v23, 7, v1
	v_ffbh_u32_e32 v34, v23
	v_min_u32_e32 v37, 32, v34
	v_subrev_u32_e32 v34, 28, v37
	v_lshlrev_b64 v[34:35], v34, v[1:2]
	v_lshrrev_b32_e32 v36, 3, v28
	v_sub_u32_e32 v35, 29, v37
	v_cmp_gt_u32_e32 vcc, 8, v28
	v_cndmask_b32_e32 v28, v36, v35, vcc
	v_lshlrev_b32_e32 v1, 8, v1
	v_lshl_add_u32 v28, v28, 10, v19
	v_and_b32_e32 v34, 7, v34
	v_and_or_b32 v1, v1, s30, v28
	v_cndmask_b32_e32 v23, v23, v34, vcc
	v_lshlrev_b32_e32 v1, 16, v1
	v_lshl_or_b32 v23, v23, 23, v1
.LBB224_159:                            ;   in Loop: Header=BB224_136 Depth=1
	s_or_b64 exec, exec, s[18:19]
.LBB224_160:                            ;   in Loop: Header=BB224_136 Depth=1
	s_or_b64 exec, exec, s[16:17]
.LBB224_161:                            ;   in Loop: Header=BB224_136 Depth=1
	s_or_b64 exec, exec, s[0:1]
	v_mov_b32_e32 v1, v10
	v_cmp_ne_u16_sdwa s[16:17], v10, v2 src0_sel:BYTE_0 src1_sel:DWORD
	v_mov_b32_e32 v28, 0
	v_mov_b32_e32 v34, 0
	s_and_saveexec_b64 s[0:1], s[16:17]
	s_cbranch_execz .LBB224_167
; %bb.162:                              ;   in Loop: Header=BB224_136 Depth=1
	v_cmp_ne_u16_sdwa s[18:19], v10, s28 src0_sel:BYTE_0 src1_sel:DWORD
	v_mov_b32_e32 v34, 0x8000
	s_and_saveexec_b64 s[16:17], s[18:19]
	s_cbranch_execz .LBB224_166
; %bb.163:                              ;   in Loop: Header=BB224_136 Depth=1
	v_and_b32_e32 v35, 0x7f, v10
	v_cmp_ne_u32_e32 vcc, s29, v35
	v_mov_b32_e32 v34, 0x7c01
	s_and_saveexec_b64 s[18:19], vcc
	s_cbranch_execz .LBB224_165
; %bb.164:                              ;   in Loop: Header=BB224_136 Depth=1
	v_and_b32_e32 v34, 7, v10
	v_ffbh_u32_e32 v36, v34
	v_min_u32_e32 v39, 32, v36
	v_subrev_u32_e32 v36, 28, v39
	v_lshlrev_b64 v[36:37], v36, v[1:2]
	v_lshrrev_b32_e32 v38, 3, v35
	v_sub_u32_e32 v37, 29, v39
	v_cmp_gt_u32_e32 vcc, 8, v35
	v_cndmask_b32_e32 v35, v38, v37, vcc
	v_lshl_add_u32 v35, v35, 10, v19
	v_lshlrev_b32_e32 v37, 8, v10
	v_and_b32_e32 v36, 7, v36
	v_and_b32_e32 v35, 0xfc00, v35
	v_cndmask_b32_e32 v34, v34, v36, vcc
	v_and_or_b32 v35, v37, s30, v35
	v_lshl_or_b32 v34, v34, 7, v35
.LBB224_165:                            ;   in Loop: Header=BB224_136 Depth=1
	s_or_b64 exec, exec, s[18:19]
.LBB224_166:                            ;   in Loop: Header=BB224_136 Depth=1
	s_or_b64 exec, exec, s[16:17]
.LBB224_167:                            ;   in Loop: Header=BB224_136 Depth=1
	s_or_b64 exec, exec, s[0:1]
	v_lshrrev_b16_e32 v1, 8, v1
	v_cmp_ne_u16_e32 vcc, 0, v1
	v_mov_b32_e32 v35, 0
	s_and_saveexec_b64 s[0:1], vcc
	s_cbranch_execz .LBB224_173
; %bb.168:                              ;   in Loop: Header=BB224_136 Depth=1
	v_cmp_ne_u16_e32 vcc, s28, v1
	v_bfrev_b32_e32 v35, 1
	s_and_saveexec_b64 s[16:17], vcc
	s_cbranch_execz .LBB224_172
; %bb.169:                              ;   in Loop: Header=BB224_136 Depth=1
	v_and_b32_e32 v36, 0x7f, v1
	v_cmp_ne_u32_e32 vcc, s29, v36
	v_mov_b32_e32 v35, 0x7c010000
	s_and_saveexec_b64 s[18:19], vcc
	s_cbranch_execz .LBB224_171
; %bb.170:                              ;   in Loop: Header=BB224_136 Depth=1
	v_and_b32_e32 v35, 7, v1
	v_ffbh_u32_e32 v37, v35
	v_min_u32_e32 v40, 32, v37
	v_subrev_u32_e32 v37, 28, v40
	v_lshlrev_b64 v[37:38], v37, v[1:2]
	v_lshrrev_b32_e32 v39, 3, v36
	v_sub_u32_e32 v38, 29, v40
	v_cmp_gt_u32_e32 vcc, 8, v36
	v_cndmask_b32_e32 v36, v39, v38, vcc
	v_lshlrev_b32_e32 v1, 8, v1
	v_lshl_add_u32 v36, v36, 10, v19
	v_and_b32_e32 v37, 7, v37
	v_and_or_b32 v1, v1, s30, v36
	v_cndmask_b32_e32 v35, v35, v37, vcc
	v_lshlrev_b32_e32 v1, 16, v1
	v_lshl_or_b32 v35, v35, 23, v1
.LBB224_171:                            ;   in Loop: Header=BB224_136 Depth=1
	s_or_b64 exec, exec, s[18:19]
.LBB224_172:                            ;   in Loop: Header=BB224_136 Depth=1
	s_or_b64 exec, exec, s[16:17]
.LBB224_173:                            ;   in Loop: Header=BB224_136 Depth=1
	s_or_b64 exec, exec, s[0:1]
	v_lshrrev_b32_e32 v1, 16, v10
	v_cmp_ne_u16_sdwa s[16:17], v1, v2 src0_sel:BYTE_0 src1_sel:DWORD
	s_and_saveexec_b64 s[0:1], s[16:17]
	s_cbranch_execz .LBB224_179
; %bb.174:                              ;   in Loop: Header=BB224_136 Depth=1
	v_cmp_ne_u16_sdwa s[18:19], v1, s28 src0_sel:BYTE_0 src1_sel:DWORD
	v_mov_b32_e32 v28, 0x8000
	s_and_saveexec_b64 s[16:17], s[18:19]
	s_cbranch_execz .LBB224_178
; %bb.175:                              ;   in Loop: Header=BB224_136 Depth=1
	v_bfe_u32 v36, v10, 16, 7
	v_cmp_ne_u32_e32 vcc, s29, v36
	v_mov_b32_e32 v28, 0x7c01
	s_and_saveexec_b64 s[18:19], vcc
	s_cbranch_execz .LBB224_177
; %bb.176:                              ;   in Loop: Header=BB224_136 Depth=1
	v_and_b32_e32 v28, 7, v1
	v_ffbh_u32_e32 v37, v28
	v_min_u32_e32 v40, 32, v37
	v_subrev_u32_e32 v37, 28, v40
	v_lshlrev_b64 v[37:38], v37, v[1:2]
	v_lshrrev_b32_e32 v39, 3, v36
	v_sub_u32_e32 v38, 29, v40
	v_cmp_gt_u32_e32 vcc, 8, v36
	v_cndmask_b32_e32 v36, v39, v38, vcc
	v_lshl_add_u32 v36, v36, 10, v19
	v_lshlrev_b32_e32 v1, 8, v1
	v_and_b32_e32 v37, 7, v37
	v_and_b32_e32 v36, 0xfc00, v36
	v_cndmask_b32_e32 v28, v28, v37, vcc
	v_and_or_b32 v1, v1, s30, v36
	v_lshl_or_b32 v28, v28, 7, v1
.LBB224_177:                            ;   in Loop: Header=BB224_136 Depth=1
	s_or_b64 exec, exec, s[18:19]
.LBB224_178:                            ;   in Loop: Header=BB224_136 Depth=1
	s_or_b64 exec, exec, s[16:17]
.LBB224_179:                            ;   in Loop: Header=BB224_136 Depth=1
	s_or_b64 exec, exec, s[0:1]
	v_cmp_lt_u64_e32 vcc, s[4:5], v[9:10]
	v_mov_b32_e32 v9, 0
	s_and_saveexec_b64 s[0:1], vcc
	s_cbranch_execz .LBB224_185
; %bb.180:                              ;   in Loop: Header=BB224_136 Depth=1
	v_lshrrev_b32_e32 v1, 24, v10
	v_cmp_ne_u32_e32 vcc, s28, v1
	v_bfrev_b32_e32 v9, 1
	s_and_saveexec_b64 s[16:17], vcc
	s_cbranch_execz .LBB224_184
; %bb.181:                              ;   in Loop: Header=BB224_136 Depth=1
	v_and_b32_e32 v10, 0x7f, v1
	v_cmp_ne_u32_e32 vcc, s29, v10
	v_mov_b32_e32 v9, 0x7c010000
	s_and_saveexec_b64 s[18:19], vcc
	s_cbranch_execz .LBB224_183
; %bb.182:                              ;   in Loop: Header=BB224_136 Depth=1
	v_and_b32_e32 v9, 7, v1
	v_ffbh_u32_e32 v36, v9
	v_min_u32_e32 v39, 32, v36
	v_subrev_u32_e32 v36, 28, v39
	v_lshlrev_b64 v[36:37], v36, v[1:2]
	v_lshrrev_b32_e32 v38, 3, v10
	v_sub_u32_e32 v37, 29, v39
	v_cmp_gt_u32_e32 vcc, 8, v10
	v_cndmask_b32_e32 v10, v38, v37, vcc
	v_lshlrev_b32_e32 v1, 8, v1
	v_lshl_add_u32 v10, v10, 10, v19
	v_and_b32_e32 v36, 7, v36
	v_and_or_b32 v1, v1, s30, v10
	v_cndmask_b32_e32 v9, v9, v36, vcc
	v_lshlrev_b32_e32 v1, 16, v1
	v_lshl_or_b32 v9, v9, 23, v1
.LBB224_183:                            ;   in Loop: Header=BB224_136 Depth=1
	s_or_b64 exec, exec, s[18:19]
.LBB224_184:                            ;   in Loop: Header=BB224_136 Depth=1
	s_or_b64 exec, exec, s[16:17]
.LBB224_185:                            ;   in Loop: Header=BB224_136 Depth=1
	s_or_b64 exec, exec, s[0:1]
	v_fma_mixlo_f16 v10, v20, v23, 0 op_sel:[0,1,0] op_sel_hi:[0,1,0]
	v_lshlrev_b32_e32 v37, 16, v10
	v_or_b32_e32 v10, v21, v22
	v_fma_mixlo_f16 v10, v20, v10, 0 op_sel_hi:[0,1,0]
	v_and_b32_e32 v43, 0xffff, v10
	v_or_b32_e32 v10, v35, v34
	v_fma_mixlo_f16 v10, v20, v10, 0 op_sel_hi:[0,1,0]
	v_or_b32_e32 v1, v23, v24
	v_fma_mixlo_f16 v21, v20, v21, 0 op_sel:[0,1,0] op_sel_hi:[0,1,0]
	v_and_b32_e32 v41, 0xffff, v10
	v_or_b32_e32 v10, v9, v28
	v_fma_mixlo_f16 v1, v20, v1, 0 op_sel_hi:[0,1,0]
	v_lshlrev_b32_e32 v40, 16, v21
	v_fma_mixlo_f16 v21, v20, v35, 0 op_sel:[0,1,0] op_sel_hi:[0,1,0]
	v_fma_mixlo_f16 v10, v20, v10, 0 op_sel_hi:[0,1,0]
	v_fma_mixlo_f16 v9, v20, v9, 0 op_sel:[0,1,0] op_sel_hi:[0,1,0]
	v_and_b32_e32 v38, 0xffff, v1
	v_lshlrev_b32_e32 v35, 16, v21
	v_lshlrev_b32_e32 v28, 16, v9
	v_and_b32_e32 v42, 0xffff, v10
	v_cmp_eq_u32_e32 vcc, s35, v12
	v_or_b32_e32 v1, v37, v38
	v_or_b32_e32 v36, v40, v43
	v_or_b32_e32 v34, v35, v41
	v_or_b32_e32 v39, v28, v42
	v_add_u32_e32 v24, 1, v13
	v_add_u32_e32 v23, 2, v13
	;; [unrolled: 1-line block ×7, first 2 shown]
	s_and_saveexec_b64 s[16:17], vcc
	s_cbranch_execz .LBB224_187
; %bb.186:                              ;   in Loop: Header=BB224_136 Depth=1
	v_cmp_gt_i32_e64 s[0:1], s11, v13
	v_cndmask_b32_e64 v1, 0, v43, s[0:1]
	v_cmp_gt_i32_e64 s[0:1], s11, v24
	v_cndmask_b32_e64 v34, 0, v40, s[0:1]
	v_cmp_gt_i32_e64 s[0:1], s11, v23
	v_or_b32_e32 v36, v34, v1
	v_cndmask_b32_e64 v1, 0, v38, s[0:1]
	v_cmp_gt_i32_e64 s[0:1], s11, v22
	v_cndmask_b32_e64 v34, 0, v37, s[0:1]
	v_cmp_gt_i32_e64 s[0:1], s11, v21
	v_or_b32_e32 v1, v34, v1
	;; [unrolled: 5-line block ×3, first 2 shown]
	v_cndmask_b32_e64 v35, 0, v42, s[0:1]
	v_cmp_gt_i32_e64 s[0:1], s11, v9
	v_cndmask_b32_e64 v28, 0, v28, s[0:1]
	v_or_b32_e32 v39, v28, v35
.LBB224_187:                            ;   in Loop: Header=BB224_136 Depth=1
	s_or_b64 exec, exec, s[16:17]
	v_and_b32_e32 v25, 0xffff, v25
	v_lshl_or_b32 v28, v26, 16, v25
	v_and_b32_e32 v25, 0xffff, v27
	v_lshl_or_b32 v27, v29, 16, v25
	;; [unrolled: 2-line block ×3, first 2 shown]
	v_and_b32_e32 v25, 0xffff, v32
	;;#ASMSTART
	v_pk_mul_f16 v29, v28, v36;

	;;#ASMEND
	;;#ASMSTART
	v_pk_mul_f16 v1, v27, v1;

	;;#ASMEND
	v_lshl_or_b32 v25, v33, 16, v25
	;;#ASMSTART
	v_pk_mul_f16 v30, v26, v34;

	;;#ASMEND
	;;#ASMSTART
	v_pk_mul_f16 v31, v25, v39;

	;;#ASMEND
	;;#ASMSTART
	v_pk_add_f16 v1, v29, v1;

	;;#ASMEND
	;;#ASMSTART
	v_pk_add_f16 v1, v1, v30;
	;; [unrolled: 4-line block ×3, first 2 shown]

	;;#ASMEND
	v_lshrrev_b32_e32 v30, 16, v1
	v_and_b32_e32 v1, 0xffff, v1
	;;#ASMSTART
	v_cvt_f32_f16 v29, v1;
	;;#ASMEND
	;;#ASMSTART
	v_cvt_f32_f16 v30, v30;
	;;#ASMEND
	global_load_dwordx2 v[7:8], v[7:8], off offset:512
	v_mov_b32_e32 v32, 0
	global_load_dword v31, v32, s[14:15]
	v_mov_b32_e32 v33, 0
	s_waitcnt vmcnt(1)
	v_cmp_ne_u16_sdwa s[0:1], v7, v2 src0_sel:BYTE_0 src1_sel:DWORD
	s_and_saveexec_b64 s[16:17], s[0:1]
	s_cbranch_execz .LBB224_193
; %bb.188:                              ;   in Loop: Header=BB224_136 Depth=1
	v_cmp_ne_u16_sdwa s[0:1], v7, s28 src0_sel:BYTE_0 src1_sel:DWORD
	v_mov_b32_e32 v33, 0x8000
	s_and_saveexec_b64 s[18:19], s[0:1]
	s_cbranch_execz .LBB224_192
; %bb.189:                              ;   in Loop: Header=BB224_136 Depth=1
	v_and_b32_e32 v1, 0x7f, v7
	v_cmp_ne_u32_e64 s[0:1], s29, v1
	v_mov_b32_e32 v33, 0x7c01
	s_and_saveexec_b64 s[20:21], s[0:1]
	s_cbranch_execz .LBB224_191
; %bb.190:                              ;   in Loop: Header=BB224_136 Depth=1
	v_and_b32_e32 v35, 7, v7
	v_ffbh_u32_e32 v33, v35
	v_min_u32_e32 v37, 32, v33
	v_subrev_u32_e32 v33, 28, v37
	v_lshlrev_b64 v[33:34], v33, v[7:8]
	v_lshrrev_b32_e32 v36, 3, v1
	v_sub_u32_e32 v34, 29, v37
	v_cmp_gt_u32_e64 s[0:1], 8, v1
	v_cndmask_b32_e64 v1, v36, v34, s[0:1]
	v_lshl_add_u32 v1, v1, 10, v19
	v_lshlrev_b32_e32 v34, 8, v7
	v_and_b32_e32 v33, 7, v33
	v_and_b32_e32 v1, 0xfc00, v1
	v_cndmask_b32_e64 v33, v35, v33, s[0:1]
	v_and_or_b32 v1, v34, s30, v1
	v_lshl_or_b32 v33, v33, 7, v1
.LBB224_191:                            ;   in Loop: Header=BB224_136 Depth=1
	s_or_b64 exec, exec, s[20:21]
.LBB224_192:                            ;   in Loop: Header=BB224_136 Depth=1
	s_or_b64 exec, exec, s[18:19]
.LBB224_193:                            ;   in Loop: Header=BB224_136 Depth=1
	s_or_b64 exec, exec, s[16:17]
	v_lshrrev_b16_e32 v1, 8, v7
	v_cmp_ne_u16_e64 s[0:1], 0, v1
	s_and_saveexec_b64 s[16:17], s[0:1]
	s_cbranch_execz .LBB224_199
; %bb.194:                              ;   in Loop: Header=BB224_136 Depth=1
	v_cmp_ne_u16_e64 s[0:1], s28, v1
	v_bfrev_b32_e32 v32, 1
	s_and_saveexec_b64 s[18:19], s[0:1]
	s_cbranch_execz .LBB224_198
; %bb.195:                              ;   in Loop: Header=BB224_136 Depth=1
	v_and_b32_e32 v34, 0x7f, v1
	v_cmp_ne_u32_e64 s[0:1], s29, v34
	v_mov_b32_e32 v32, 0x7c010000
	s_and_saveexec_b64 s[20:21], s[0:1]
	s_cbranch_execz .LBB224_197
; %bb.196:                              ;   in Loop: Header=BB224_136 Depth=1
	v_and_b32_e32 v32, 7, v1
	v_ffbh_u32_e32 v35, v32
	v_min_u32_e32 v38, 32, v35
	v_subrev_u32_e32 v35, 28, v38
	v_lshlrev_b64 v[35:36], v35, v[1:2]
	v_lshrrev_b32_e32 v37, 3, v34
	v_sub_u32_e32 v36, 29, v38
	v_cmp_gt_u32_e64 s[0:1], 8, v34
	v_cndmask_b32_e64 v34, v37, v36, s[0:1]
	v_lshlrev_b32_e32 v1, 8, v1
	v_lshl_add_u32 v34, v34, 10, v19
	v_and_b32_e32 v35, 7, v35
	v_and_or_b32 v1, v1, s30, v34
	v_cndmask_b32_e64 v32, v32, v35, s[0:1]
	v_lshlrev_b32_e32 v1, 16, v1
	v_lshl_or_b32 v32, v32, 23, v1
.LBB224_197:                            ;   in Loop: Header=BB224_136 Depth=1
	s_or_b64 exec, exec, s[20:21]
.LBB224_198:                            ;   in Loop: Header=BB224_136 Depth=1
	s_or_b64 exec, exec, s[18:19]
.LBB224_199:                            ;   in Loop: Header=BB224_136 Depth=1
	s_or_b64 exec, exec, s[16:17]
	v_lshrrev_b32_e32 v1, 16, v7
	v_cmp_ne_u16_sdwa s[0:1], v1, v2 src0_sel:BYTE_0 src1_sel:DWORD
	v_mov_b32_e32 v34, 0
	v_mov_b32_e32 v35, 0
	s_and_saveexec_b64 s[16:17], s[0:1]
	s_cbranch_execz .LBB224_205
; %bb.200:                              ;   in Loop: Header=BB224_136 Depth=1
	v_cmp_ne_u16_sdwa s[0:1], v1, s28 src0_sel:BYTE_0 src1_sel:DWORD
	v_mov_b32_e32 v35, 0x8000
	s_and_saveexec_b64 s[18:19], s[0:1]
	s_cbranch_execz .LBB224_204
; %bb.201:                              ;   in Loop: Header=BB224_136 Depth=1
	v_bfe_u32 v36, v7, 16, 7
	v_cmp_ne_u32_e64 s[0:1], s29, v36
	v_mov_b32_e32 v35, 0x7c01
	s_and_saveexec_b64 s[20:21], s[0:1]
	s_cbranch_execz .LBB224_203
; %bb.202:                              ;   in Loop: Header=BB224_136 Depth=1
	v_and_b32_e32 v35, 7, v1
	v_ffbh_u32_e32 v37, v35
	v_min_u32_e32 v40, 32, v37
	v_subrev_u32_e32 v37, 28, v40
	v_lshlrev_b64 v[37:38], v37, v[1:2]
	v_lshrrev_b32_e32 v39, 3, v36
	v_sub_u32_e32 v38, 29, v40
	v_cmp_gt_u32_e64 s[0:1], 8, v36
	v_cndmask_b32_e64 v36, v39, v38, s[0:1]
	v_lshl_add_u32 v36, v36, 10, v19
	v_lshlrev_b32_e32 v1, 8, v1
	v_and_b32_e32 v37, 7, v37
	v_and_b32_e32 v36, 0xfc00, v36
	v_cndmask_b32_e64 v35, v35, v37, s[0:1]
	v_and_or_b32 v1, v1, s30, v36
	v_lshl_or_b32 v35, v35, 7, v1
.LBB224_203:                            ;   in Loop: Header=BB224_136 Depth=1
	s_or_b64 exec, exec, s[20:21]
.LBB224_204:                            ;   in Loop: Header=BB224_136 Depth=1
	s_or_b64 exec, exec, s[18:19]
.LBB224_205:                            ;   in Loop: Header=BB224_136 Depth=1
	s_or_b64 exec, exec, s[16:17]
	v_cmp_lt_u32_e64 s[0:1], s5, v7
	s_and_saveexec_b64 s[16:17], s[0:1]
	s_cbranch_execz .LBB224_211
; %bb.206:                              ;   in Loop: Header=BB224_136 Depth=1
	v_lshrrev_b32_e32 v1, 24, v7
	v_cmp_ne_u32_e64 s[0:1], s28, v1
	v_bfrev_b32_e32 v34, 1
	s_and_saveexec_b64 s[18:19], s[0:1]
	s_cbranch_execz .LBB224_210
; %bb.207:                              ;   in Loop: Header=BB224_136 Depth=1
	v_and_b32_e32 v36, 0x7f, v1
	v_cmp_ne_u32_e64 s[0:1], s29, v36
	v_mov_b32_e32 v34, 0x7c010000
	s_and_saveexec_b64 s[20:21], s[0:1]
	s_cbranch_execz .LBB224_209
; %bb.208:                              ;   in Loop: Header=BB224_136 Depth=1
	v_and_b32_e32 v34, 7, v1
	v_ffbh_u32_e32 v37, v34
	v_min_u32_e32 v40, 32, v37
	v_subrev_u32_e32 v37, 28, v40
	v_lshlrev_b64 v[37:38], v37, v[1:2]
	v_lshrrev_b32_e32 v39, 3, v36
	v_sub_u32_e32 v38, 29, v40
	v_cmp_gt_u32_e64 s[0:1], 8, v36
	v_cndmask_b32_e64 v36, v39, v38, s[0:1]
	v_lshlrev_b32_e32 v1, 8, v1
	v_lshl_add_u32 v36, v36, 10, v19
	v_and_b32_e32 v37, 7, v37
	v_and_or_b32 v1, v1, s30, v36
	v_cndmask_b32_e64 v34, v34, v37, s[0:1]
	v_lshlrev_b32_e32 v1, 16, v1
	v_lshl_or_b32 v34, v34, 23, v1
.LBB224_209:                            ;   in Loop: Header=BB224_136 Depth=1
	s_or_b64 exec, exec, s[20:21]
.LBB224_210:                            ;   in Loop: Header=BB224_136 Depth=1
	s_or_b64 exec, exec, s[18:19]
.LBB224_211:                            ;   in Loop: Header=BB224_136 Depth=1
	s_or_b64 exec, exec, s[16:17]
	v_mov_b32_e32 v1, v8
	v_cmp_ne_u16_sdwa s[0:1], v8, v2 src0_sel:BYTE_0 src1_sel:DWORD
	v_mov_b32_e32 v36, 0
	v_mov_b32_e32 v37, 0
	s_and_saveexec_b64 s[16:17], s[0:1]
	s_cbranch_execz .LBB224_217
; %bb.212:                              ;   in Loop: Header=BB224_136 Depth=1
	v_cmp_ne_u16_sdwa s[0:1], v8, s28 src0_sel:BYTE_0 src1_sel:DWORD
	v_mov_b32_e32 v37, 0x8000
	s_and_saveexec_b64 s[18:19], s[0:1]
	s_cbranch_execz .LBB224_216
; %bb.213:                              ;   in Loop: Header=BB224_136 Depth=1
	v_and_b32_e32 v38, 0x7f, v8
	v_cmp_ne_u32_e64 s[0:1], s29, v38
	v_mov_b32_e32 v37, 0x7c01
	s_and_saveexec_b64 s[20:21], s[0:1]
	s_cbranch_execz .LBB224_215
; %bb.214:                              ;   in Loop: Header=BB224_136 Depth=1
	v_and_b32_e32 v37, 7, v8
	v_ffbh_u32_e32 v39, v37
	v_min_u32_e32 v42, 32, v39
	v_subrev_u32_e32 v39, 28, v42
	v_lshlrev_b64 v[39:40], v39, v[1:2]
	v_lshrrev_b32_e32 v41, 3, v38
	v_sub_u32_e32 v40, 29, v42
	v_cmp_gt_u32_e64 s[0:1], 8, v38
	v_cndmask_b32_e64 v38, v41, v40, s[0:1]
	v_lshl_add_u32 v38, v38, 10, v19
	v_lshlrev_b32_e32 v40, 8, v8
	v_and_b32_e32 v39, 7, v39
	v_and_b32_e32 v38, 0xfc00, v38
	v_cndmask_b32_e64 v37, v37, v39, s[0:1]
	v_and_or_b32 v38, v40, s30, v38
	v_lshl_or_b32 v37, v37, 7, v38
.LBB224_215:                            ;   in Loop: Header=BB224_136 Depth=1
	s_or_b64 exec, exec, s[20:21]
.LBB224_216:                            ;   in Loop: Header=BB224_136 Depth=1
	s_or_b64 exec, exec, s[18:19]
.LBB224_217:                            ;   in Loop: Header=BB224_136 Depth=1
	s_or_b64 exec, exec, s[16:17]
	v_lshrrev_b16_e32 v1, 8, v1
	v_cmp_ne_u16_e64 s[0:1], 0, v1
	v_mov_b32_e32 v38, 0
	s_and_saveexec_b64 s[16:17], s[0:1]
	s_cbranch_execz .LBB224_223
; %bb.218:                              ;   in Loop: Header=BB224_136 Depth=1
	v_cmp_ne_u16_e64 s[0:1], s28, v1
	v_bfrev_b32_e32 v38, 1
	s_and_saveexec_b64 s[18:19], s[0:1]
	s_cbranch_execz .LBB224_222
; %bb.219:                              ;   in Loop: Header=BB224_136 Depth=1
	v_and_b32_e32 v39, 0x7f, v1
	v_cmp_ne_u32_e64 s[0:1], s29, v39
	v_mov_b32_e32 v38, 0x7c010000
	s_and_saveexec_b64 s[20:21], s[0:1]
	s_cbranch_execz .LBB224_221
; %bb.220:                              ;   in Loop: Header=BB224_136 Depth=1
	v_and_b32_e32 v38, 7, v1
	v_ffbh_u32_e32 v40, v38
	v_min_u32_e32 v43, 32, v40
	v_subrev_u32_e32 v40, 28, v43
	v_lshlrev_b64 v[40:41], v40, v[1:2]
	v_lshrrev_b32_e32 v42, 3, v39
	v_sub_u32_e32 v41, 29, v43
	v_cmp_gt_u32_e64 s[0:1], 8, v39
	v_cndmask_b32_e64 v39, v42, v41, s[0:1]
	v_lshlrev_b32_e32 v1, 8, v1
	v_lshl_add_u32 v39, v39, 10, v19
	v_and_b32_e32 v40, 7, v40
	v_and_or_b32 v1, v1, s30, v39
	v_cndmask_b32_e64 v38, v38, v40, s[0:1]
	v_lshlrev_b32_e32 v1, 16, v1
	v_lshl_or_b32 v38, v38, 23, v1
.LBB224_221:                            ;   in Loop: Header=BB224_136 Depth=1
	s_or_b64 exec, exec, s[20:21]
.LBB224_222:                            ;   in Loop: Header=BB224_136 Depth=1
	s_or_b64 exec, exec, s[18:19]
.LBB224_223:                            ;   in Loop: Header=BB224_136 Depth=1
	s_or_b64 exec, exec, s[16:17]
	v_lshrrev_b32_e32 v1, 16, v8
	v_cmp_ne_u16_sdwa s[0:1], v1, v2 src0_sel:BYTE_0 src1_sel:DWORD
	s_and_saveexec_b64 s[16:17], s[0:1]
	s_cbranch_execz .LBB224_229
; %bb.224:                              ;   in Loop: Header=BB224_136 Depth=1
	v_cmp_ne_u16_sdwa s[0:1], v1, s28 src0_sel:BYTE_0 src1_sel:DWORD
	v_mov_b32_e32 v36, 0x8000
	s_and_saveexec_b64 s[18:19], s[0:1]
	s_cbranch_execz .LBB224_228
; %bb.225:                              ;   in Loop: Header=BB224_136 Depth=1
	v_bfe_u32 v39, v8, 16, 7
	v_cmp_ne_u32_e64 s[0:1], s29, v39
	v_mov_b32_e32 v36, 0x7c01
	s_and_saveexec_b64 s[20:21], s[0:1]
	s_cbranch_execz .LBB224_227
; %bb.226:                              ;   in Loop: Header=BB224_136 Depth=1
	v_and_b32_e32 v36, 7, v1
	v_ffbh_u32_e32 v40, v36
	v_min_u32_e32 v43, 32, v40
	v_subrev_u32_e32 v40, 28, v43
	v_lshlrev_b64 v[40:41], v40, v[1:2]
	v_lshrrev_b32_e32 v42, 3, v39
	v_sub_u32_e32 v41, 29, v43
	v_cmp_gt_u32_e64 s[0:1], 8, v39
	v_cndmask_b32_e64 v39, v42, v41, s[0:1]
	v_lshl_add_u32 v39, v39, 10, v19
	v_lshlrev_b32_e32 v1, 8, v1
	v_and_b32_e32 v40, 7, v40
	v_and_b32_e32 v39, 0xfc00, v39
	v_cndmask_b32_e64 v36, v36, v40, s[0:1]
	v_and_or_b32 v1, v1, s30, v39
	v_lshl_or_b32 v36, v36, 7, v1
.LBB224_227:                            ;   in Loop: Header=BB224_136 Depth=1
	s_or_b64 exec, exec, s[20:21]
.LBB224_228:                            ;   in Loop: Header=BB224_136 Depth=1
	s_or_b64 exec, exec, s[18:19]
.LBB224_229:                            ;   in Loop: Header=BB224_136 Depth=1
	s_or_b64 exec, exec, s[16:17]
	v_cmp_lt_u64_e64 s[0:1], s[4:5], v[7:8]
	v_mov_b32_e32 v7, 0
	s_and_saveexec_b64 s[16:17], s[0:1]
	s_cbranch_execz .LBB224_235
; %bb.230:                              ;   in Loop: Header=BB224_136 Depth=1
	v_lshrrev_b32_e32 v1, 24, v8
	v_cmp_ne_u32_e64 s[0:1], s28, v1
	v_bfrev_b32_e32 v7, 1
	s_and_saveexec_b64 s[18:19], s[0:1]
	s_cbranch_execz .LBB224_234
; %bb.231:                              ;   in Loop: Header=BB224_136 Depth=1
	v_and_b32_e32 v8, 0x7f, v1
	v_cmp_ne_u32_e64 s[0:1], s29, v8
	v_mov_b32_e32 v7, 0x7c010000
	s_and_saveexec_b64 s[20:21], s[0:1]
	s_cbranch_execz .LBB224_233
; %bb.232:                              ;   in Loop: Header=BB224_136 Depth=1
	v_and_b32_e32 v7, 7, v1
	v_ffbh_u32_e32 v39, v7
	v_min_u32_e32 v42, 32, v39
	v_subrev_u32_e32 v39, 28, v42
	v_lshlrev_b64 v[39:40], v39, v[1:2]
	v_lshrrev_b32_e32 v41, 3, v8
	v_sub_u32_e32 v40, 29, v42
	v_cmp_gt_u32_e64 s[0:1], 8, v8
	v_cndmask_b32_e64 v8, v41, v40, s[0:1]
	v_lshlrev_b32_e32 v1, 8, v1
	v_lshl_add_u32 v8, v8, 10, v19
	v_and_b32_e32 v39, 7, v39
	v_and_or_b32 v1, v1, s30, v8
	v_cndmask_b32_e64 v7, v7, v39, s[0:1]
	v_lshlrev_b32_e32 v1, 16, v1
	v_lshl_or_b32 v7, v7, 23, v1
.LBB224_233:                            ;   in Loop: Header=BB224_136 Depth=1
	s_or_b64 exec, exec, s[20:21]
.LBB224_234:                            ;   in Loop: Header=BB224_136 Depth=1
	s_or_b64 exec, exec, s[18:19]
.LBB224_235:                            ;   in Loop: Header=BB224_136 Depth=1
	s_or_b64 exec, exec, s[16:17]
	s_waitcnt vmcnt(0)
	v_fma_mixlo_f16 v8, v31, v34, 0 op_sel:[0,1,0] op_sel_hi:[0,1,0]
	v_or_b32_e32 v1, v34, v35
	v_lshlrev_b32_e32 v34, 16, v8
	v_or_b32_e32 v8, v32, v33
	v_fma_mixlo_f16 v32, v31, v32, 0 op_sel:[0,1,0] op_sel_hi:[0,1,0]
	v_lshlrev_b32_e32 v39, 16, v32
	v_or_b32_e32 v32, v38, v37
	v_or_b32_e32 v36, v7, v36
	v_fma_mixlo_f16 v1, v31, v1, 0 op_sel_hi:[0,1,0]
	v_fma_mixlo_f16 v8, v31, v8, 0 op_sel_hi:[0,1,0]
	v_fma_mixlo_f16 v33, v31, v38, 0 op_sel:[0,1,0] op_sel_hi:[0,1,0]
	v_fma_mixlo_f16 v32, v31, v32, 0 op_sel_hi:[0,1,0]
	v_fma_mixlo_f16 v36, v31, v36, 0 op_sel_hi:[0,1,0]
	v_fma_mixlo_f16 v7, v31, v7, 0 op_sel:[0,1,0] op_sel_hi:[0,1,0]
	v_and_b32_e32 v35, 0xffff, v1
	v_and_b32_e32 v40, 0xffff, v8
	v_lshlrev_b32_e32 v33, 16, v33
	v_and_b32_e32 v37, 0xffff, v32
	v_lshlrev_b32_e32 v31, 16, v7
	v_and_b32_e32 v36, 0xffff, v36
	v_or_b32_e32 v1, v34, v35
	v_or_b32_e32 v8, v39, v40
	;; [unrolled: 1-line block ×4, first 2 shown]
	s_and_saveexec_b64 s[0:1], vcc
	s_cbranch_execz .LBB224_134
; %bb.236:                              ;   in Loop: Header=BB224_136 Depth=1
	v_cmp_gt_i32_e32 vcc, s11, v13
	v_cndmask_b32_e32 v1, 0, v40, vcc
	v_cmp_gt_i32_e32 vcc, s11, v24
	v_cndmask_b32_e32 v7, 0, v39, vcc
	v_cmp_gt_i32_e32 vcc, s11, v23
	v_or_b32_e32 v8, v7, v1
	v_cndmask_b32_e32 v1, 0, v35, vcc
	v_cmp_gt_i32_e32 vcc, s11, v22
	v_cndmask_b32_e32 v7, 0, v34, vcc
	v_cmp_gt_i32_e32 vcc, s11, v21
	v_or_b32_e32 v1, v7, v1
	;; [unrolled: 5-line block ×3, first 2 shown]
	v_cndmask_b32_e32 v7, 0, v36, vcc
	v_cmp_gt_i32_e32 vcc, s11, v9
	v_cndmask_b32_e32 v9, 0, v31, vcc
	v_or_b32_e32 v7, v9, v7
	s_branch .LBB224_134
.LBB224_237:
	s_or_b64 exec, exec, s[6:7]
.LBB224_238:
	s_or_b64 exec, exec, s[2:3]
	v_and_b32_e32 v1, 0x3c0, v0
	v_cmp_eq_u32_e32 vcc, 64, v1
	s_barrier
	s_and_saveexec_b64 s[0:1], vcc
; %bb.239:
	v_mov_b32_e32 v1, 0x110
	v_lshl_add_u32 v1, v14, 2, v1
	ds_write2st64_b32 v1, v16, v15 offset1:1
; %bb.240:
	s_or_b64 exec, exec, s[0:1]
	v_cmp_gt_u32_e32 vcc, 64, v0
	s_waitcnt lgkmcnt(0)
	s_barrier
	s_and_saveexec_b64 s[0:1], vcc
	s_cbranch_execz .LBB224_242
; %bb.241:
	v_mov_b32_e32 v1, 0x110
	v_lshl_add_u32 v0, v0, 2, v1
	ds_read2st64_b32 v[0:1], v0 offset1:1
	s_waitcnt lgkmcnt(0)
	v_add_f32_e32 v16, v16, v0
	v_add_f32_e32 v15, v15, v1
.LBB224_242:
	s_or_b64 exec, exec, s[0:1]
	s_barrier
	s_and_saveexec_b64 s[0:1], vcc
	s_cbranch_execz .LBB224_244
; %bb.243:
	s_mul_i32 s0, s10, s23
	s_mul_i32 s0, s0, s9
	s_lshl_b32 s0, s0, 7
	s_ashr_i32 s1, s0, 31
	s_lshl_b64 s[0:1], s[0:1], 1
	s_add_u32 s2, s26, s0
	s_mul_i32 s0, s23, s24
	s_addc_u32 s3, s27, s1
	s_ashr_i32 s1, s0, 31
	s_lshl_b64 s[0:1], s[0:1], 1
	s_add_u32 s2, s2, s0
	s_addc_u32 s3, s3, s1
	s_lshl_b32 s0, s8, 7
	s_ashr_i32 s1, s0, 31
	s_lshl_b64 s[0:1], s[0:1], 1
	s_add_u32 s0, s2, s0
	s_addc_u32 s1, s3, s1
	;;#ASMSTART
	v_cvt_f16_f32 v0, v16;

	;;#ASMEND
	global_store_short v11, v0, s[0:1]
	;;#ASMSTART
	v_cvt_f16_f32 v0, v15;

	;;#ASMEND
	global_store_short v11, v0, s[0:1] offset:128
.LBB224_244:
	s_endpgm
	.section	.rodata,"a",@progbits
	.p2align	6, 0x0
	.amdhsa_kernel _ZN4vllm25paged_attention_v1_kernelIthLi128ELi8ELi128ELNS_18Fp8KVCacheDataTypeE1ELb1EEEvPT_PKS2_PKT0_S8_ifPKiSA_iPKfiiiSC_SC_iiiii
		.amdhsa_group_segment_fixed_size 272
		.amdhsa_private_segment_fixed_size 0
		.amdhsa_kernarg_size 384
		.amdhsa_user_sgpr_count 6
		.amdhsa_user_sgpr_private_segment_buffer 1
		.amdhsa_user_sgpr_dispatch_ptr 0
		.amdhsa_user_sgpr_queue_ptr 0
		.amdhsa_user_sgpr_kernarg_segment_ptr 1
		.amdhsa_user_sgpr_dispatch_id 0
		.amdhsa_user_sgpr_flat_scratch_init 0
		.amdhsa_user_sgpr_private_segment_size 0
		.amdhsa_uses_dynamic_stack 0
		.amdhsa_system_sgpr_private_segment_wavefront_offset 0
		.amdhsa_system_sgpr_workgroup_id_x 1
		.amdhsa_system_sgpr_workgroup_id_y 1
		.amdhsa_system_sgpr_workgroup_id_z 1
		.amdhsa_system_sgpr_workgroup_info 0
		.amdhsa_system_vgpr_workitem_id 0
		.amdhsa_next_free_vgpr 52
		.amdhsa_next_free_sgpr 54
		.amdhsa_reserve_vcc 1
		.amdhsa_reserve_flat_scratch 0
		.amdhsa_float_round_mode_32 0
		.amdhsa_float_round_mode_16_64 0
		.amdhsa_float_denorm_mode_32 3
		.amdhsa_float_denorm_mode_16_64 3
		.amdhsa_dx10_clamp 1
		.amdhsa_ieee_mode 1
		.amdhsa_fp16_overflow 0
		.amdhsa_exception_fp_ieee_invalid_op 0
		.amdhsa_exception_fp_denorm_src 0
		.amdhsa_exception_fp_ieee_div_zero 0
		.amdhsa_exception_fp_ieee_overflow 0
		.amdhsa_exception_fp_ieee_underflow 0
		.amdhsa_exception_fp_ieee_inexact 0
		.amdhsa_exception_int_div_zero 0
	.end_amdhsa_kernel
	.section	.text._ZN4vllm25paged_attention_v1_kernelIthLi128ELi8ELi128ELNS_18Fp8KVCacheDataTypeE1ELb1EEEvPT_PKS2_PKT0_S8_ifPKiSA_iPKfiiiSC_SC_iiiii,"axG",@progbits,_ZN4vllm25paged_attention_v1_kernelIthLi128ELi8ELi128ELNS_18Fp8KVCacheDataTypeE1ELb1EEEvPT_PKS2_PKT0_S8_ifPKiSA_iPKfiiiSC_SC_iiiii,comdat
.Lfunc_end224:
	.size	_ZN4vllm25paged_attention_v1_kernelIthLi128ELi8ELi128ELNS_18Fp8KVCacheDataTypeE1ELb1EEEvPT_PKS2_PKT0_S8_ifPKiSA_iPKfiiiSC_SC_iiiii, .Lfunc_end224-_ZN4vllm25paged_attention_v1_kernelIthLi128ELi8ELi128ELNS_18Fp8KVCacheDataTypeE1ELb1EEEvPT_PKS2_PKT0_S8_ifPKiSA_iPKfiiiSC_SC_iiiii
                                        ; -- End function
	.set _ZN4vllm25paged_attention_v1_kernelIthLi128ELi8ELi128ELNS_18Fp8KVCacheDataTypeE1ELb1EEEvPT_PKS2_PKT0_S8_ifPKiSA_iPKfiiiSC_SC_iiiii.num_vgpr, 52
	.set _ZN4vllm25paged_attention_v1_kernelIthLi128ELi8ELi128ELNS_18Fp8KVCacheDataTypeE1ELb1EEEvPT_PKS2_PKT0_S8_ifPKiSA_iPKfiiiSC_SC_iiiii.num_agpr, 0
	.set _ZN4vllm25paged_attention_v1_kernelIthLi128ELi8ELi128ELNS_18Fp8KVCacheDataTypeE1ELb1EEEvPT_PKS2_PKT0_S8_ifPKiSA_iPKfiiiSC_SC_iiiii.numbered_sgpr, 54
	.set _ZN4vllm25paged_attention_v1_kernelIthLi128ELi8ELi128ELNS_18Fp8KVCacheDataTypeE1ELb1EEEvPT_PKS2_PKT0_S8_ifPKiSA_iPKfiiiSC_SC_iiiii.num_named_barrier, 0
	.set _ZN4vllm25paged_attention_v1_kernelIthLi128ELi8ELi128ELNS_18Fp8KVCacheDataTypeE1ELb1EEEvPT_PKS2_PKT0_S8_ifPKiSA_iPKfiiiSC_SC_iiiii.private_seg_size, 0
	.set _ZN4vllm25paged_attention_v1_kernelIthLi128ELi8ELi128ELNS_18Fp8KVCacheDataTypeE1ELb1EEEvPT_PKS2_PKT0_S8_ifPKiSA_iPKfiiiSC_SC_iiiii.uses_vcc, 1
	.set _ZN4vllm25paged_attention_v1_kernelIthLi128ELi8ELi128ELNS_18Fp8KVCacheDataTypeE1ELb1EEEvPT_PKS2_PKT0_S8_ifPKiSA_iPKfiiiSC_SC_iiiii.uses_flat_scratch, 0
	.set _ZN4vllm25paged_attention_v1_kernelIthLi128ELi8ELi128ELNS_18Fp8KVCacheDataTypeE1ELb1EEEvPT_PKS2_PKT0_S8_ifPKiSA_iPKfiiiSC_SC_iiiii.has_dyn_sized_stack, 0
	.set _ZN4vllm25paged_attention_v1_kernelIthLi128ELi8ELi128ELNS_18Fp8KVCacheDataTypeE1ELb1EEEvPT_PKS2_PKT0_S8_ifPKiSA_iPKfiiiSC_SC_iiiii.has_recursion, 0
	.set _ZN4vllm25paged_attention_v1_kernelIthLi128ELi8ELi128ELNS_18Fp8KVCacheDataTypeE1ELb1EEEvPT_PKS2_PKT0_S8_ifPKiSA_iPKfiiiSC_SC_iiiii.has_indirect_call, 0
	.section	.AMDGPU.csdata,"",@progbits
; Kernel info:
; codeLenInByte = 10672
; TotalNumSgprs: 58
; NumVgprs: 52
; ScratchSize: 0
; MemoryBound: 0
; FloatMode: 240
; IeeeMode: 1
; LDSByteSize: 272 bytes/workgroup (compile time only)
; SGPRBlocks: 7
; VGPRBlocks: 12
; NumSGPRsForWavesPerEU: 58
; NumVGPRsForWavesPerEU: 52
; Occupancy: 4
; WaveLimiterHint : 1
; COMPUTE_PGM_RSRC2:SCRATCH_EN: 0
; COMPUTE_PGM_RSRC2:USER_SGPR: 6
; COMPUTE_PGM_RSRC2:TRAP_HANDLER: 0
; COMPUTE_PGM_RSRC2:TGID_X_EN: 1
; COMPUTE_PGM_RSRC2:TGID_Y_EN: 1
; COMPUTE_PGM_RSRC2:TGID_Z_EN: 1
; COMPUTE_PGM_RSRC2:TIDIG_COMP_CNT: 0
	.section	.text._ZN4vllm25paged_attention_v1_kernelIthLi192ELi8ELi128ELNS_18Fp8KVCacheDataTypeE1ELb1EEEvPT_PKS2_PKT0_S8_ifPKiSA_iPKfiiiSC_SC_iiiii,"axG",@progbits,_ZN4vllm25paged_attention_v1_kernelIthLi192ELi8ELi128ELNS_18Fp8KVCacheDataTypeE1ELb1EEEvPT_PKS2_PKT0_S8_ifPKiSA_iPKfiiiSC_SC_iiiii,comdat
	.protected	_ZN4vllm25paged_attention_v1_kernelIthLi192ELi8ELi128ELNS_18Fp8KVCacheDataTypeE1ELb1EEEvPT_PKS2_PKT0_S8_ifPKiSA_iPKfiiiSC_SC_iiiii ; -- Begin function _ZN4vllm25paged_attention_v1_kernelIthLi192ELi8ELi128ELNS_18Fp8KVCacheDataTypeE1ELb1EEEvPT_PKS2_PKT0_S8_ifPKiSA_iPKfiiiSC_SC_iiiii
	.globl	_ZN4vllm25paged_attention_v1_kernelIthLi192ELi8ELi128ELNS_18Fp8KVCacheDataTypeE1ELb1EEEvPT_PKS2_PKT0_S8_ifPKiSA_iPKfiiiSC_SC_iiiii
	.p2align	8
	.type	_ZN4vllm25paged_attention_v1_kernelIthLi192ELi8ELi128ELNS_18Fp8KVCacheDataTypeE1ELb1EEEvPT_PKS2_PKT0_S8_ifPKiSA_iPKfiiiSC_SC_iiiii,@function
_ZN4vllm25paged_attention_v1_kernelIthLi192ELi8ELi128ELNS_18Fp8KVCacheDataTypeE1ELb1EEEvPT_PKS2_PKT0_S8_ifPKiSA_iPKfiiiSC_SC_iiiii: ; @_ZN4vllm25paged_attention_v1_kernelIthLi192ELi8ELi128ELNS_18Fp8KVCacheDataTypeE1ELb1EEEvPT_PKS2_PKT0_S8_ifPKiSA_iPKfiiiSC_SC_iiiii
; %bb.0:
	s_load_dword s9, s[4:5], 0x80
	s_load_dwordx2 s[0:1], s[4:5], 0x30
	s_load_dwordx2 s[36:37], s[4:5], 0x20
	s_mov_b32 s10, s7
	s_ashr_i32 s11, s7, 31
	s_lshl_b64 s[2:3], s[10:11], 2
	s_waitcnt lgkmcnt(0)
	s_add_u32 s0, s0, s2
	s_addc_u32 s1, s1, s3
	s_abs_i32 s2, s36
	v_cvt_f32_u32_e32 v1, s2
	s_sub_i32 s11, 0, s2
	s_abs_i32 s7, s9
	s_xor_b32 s3, s9, s36
	v_rcp_iflag_f32_e32 v1, v1
	s_ashr_i32 s3, s3, 31
	s_mov_b32 s48, 0
	v_mul_f32_e32 v1, 0x4f7ffffe, v1
	v_cvt_u32_f32_e32 v1, v1
	v_readfirstlane_b32 s12, v1
	s_mul_i32 s11, s11, s12
	s_mul_hi_u32 s11, s12, s11
	s_add_i32 s12, s12, s11
	s_mul_hi_u32 s11, s7, s12
	s_mul_i32 s12, s11, s2
	s_sub_i32 s7, s7, s12
	s_add_i32 s12, s11, 1
	s_sub_i32 s13, s7, s2
	s_cmp_ge_u32 s7, s2
	s_cselect_b32 s11, s12, s11
	s_cselect_b32 s7, s13, s7
	s_add_i32 s12, s11, 1
	s_cmp_ge_u32 s7, s2
	s_cselect_b32 s2, s12, s11
	s_xor_b32 s2, s2, s3
	s_sub_i32 s11, s2, s3
	s_abs_i32 s12, s11
	v_cvt_f32_u32_e32 v1, s12
	s_load_dwordx2 s[2:3], s[4:5], 0x40
	s_sub_i32 s7, 0, s12
	s_abs_i32 s13, s6
	v_rcp_iflag_f32_e32 v1, v1
	v_mul_f32_e32 v1, 0x4f7ffffe, v1
	v_cvt_u32_f32_e32 v1, v1
	v_readfirstlane_b32 s14, v1
	s_mul_i32 s7, s7, s14
	s_mul_hi_u32 s7, s14, s7
	s_add_i32 s14, s14, s7
	s_waitcnt lgkmcnt(0)
	s_cmp_eq_u64 s[2:3], 0
	s_mul_hi_u32 s14, s13, s14
	s_cbranch_scc1 .LBB225_2
; %bb.1:
	s_ashr_i32 s7, s6, 31
	s_lshl_b64 s[16:17], s[6:7], 2
	s_add_u32 s2, s2, s16
	s_addc_u32 s3, s3, s17
	s_load_dword s48, s[2:3], 0x0
.LBB225_2:
	s_load_dword s33, s[0:1], 0x0
	s_ashr_i32 s15, s11, 31
	s_load_dword s11, s[4:5], 0x88
	s_load_dwordx4 s[16:19], s[4:5], 0x48
	s_movk_i32 s0, 0xc0
	s_ashr_i32 s7, s6, 31
	v_and_b32_e32 v1, 7, v0
	s_mul_i32 s24, s6, 0xc0
	v_cmp_gt_u32_e32 vcc, s0, v0
	v_lshlrev_b32_e32 v11, 1, v0
	s_and_saveexec_b64 s[0:1], vcc
	s_cbranch_execz .LBB225_5
; %bb.3:
	s_load_dwordx2 s[2:3], s[4:5], 0x8
	s_waitcnt lgkmcnt(0)
	s_mul_i32 s20, s16, s10
	s_ashr_i32 s21, s20, 31
	s_lshl_b64 s[20:21], s[20:21], 1
	v_lshrrev_b32_e32 v3, 3, v0
	s_add_u32 s16, s2, s20
	s_addc_u32 s19, s3, s21
	s_ashr_i32 s25, s24, 31
	s_lshl_b64 s[2:3], s[24:25], 1
	s_add_u32 s2, s16, s2
	s_addc_u32 s3, s19, s3
	global_load_ushort v4, v11, s[2:3]
	v_lshlrev_b32_e32 v2, 1, v3
	v_mad_u32_u24 v2, v1, 48, v2
	v_cmp_gt_u32_e32 vcc, 64, v0
	s_waitcnt vmcnt(0)
	ds_write_b16 v2, v4
	s_and_b64 exec, exec, vcc
	s_cbranch_execz .LBB225_5
; %bb.4:
	v_lshlrev_b32_e32 v3, 4, v3
	v_lshlrev_b32_e32 v4, 1, v1
	s_movk_i32 s16, 0x100
	v_or3_b32 v3, v3, v4, s16
	global_load_ushort v3, v3, s[2:3]
	s_waitcnt vmcnt(0)
	ds_write_b16 v2, v3 offset:32
.LBB225_5:
	s_or_b64 exec, exec, s[0:1]
	s_mul_i32 s1, s14, s12
	s_sub_i32 s1, s13, s1
	s_xor_b32 s0, s7, s15
	s_add_i32 s2, s14, 1
	s_sub_i32 s7, s1, s12
	s_load_dwordx4 s[20:23], s[4:5], 0x68
	s_load_dword s3, s[4:5], 0x78
	s_cmp_ge_u32 s1, s12
	s_cselect_b32 s2, s2, s14
	s_cselect_b32 s1, s7, s1
	s_add_i32 s7, s2, 1
	s_cmp_ge_u32 s1, s12
	s_cselect_b32 s1, s7, s2
	s_waitcnt lgkmcnt(0)
	s_abs_i32 s25, s23
	v_cvt_f32_u32_e32 v2, s25
	s_xor_b32 s1, s1, s0
	s_sub_i32 s2, s1, s0
	s_sub_i32 s0, 0, s25
	v_rcp_iflag_f32_e32 v2, v2
	s_add_i32 s12, s33, -1
	s_abs_i32 s7, s12
	v_mul_f32_e32 v2, 0x4f7ffffe, v2
	v_cvt_u32_f32_e32 v2, v2
	s_barrier
	v_readfirstlane_b32 s46, v2
	s_mul_i32 s0, s0, s46
	s_mul_hi_u32 s0, s46, s0
	s_add_i32 s46, s46, s0
	s_cmp_lt_i32 s3, 0
	s_mul_hi_u32 s16, s7, s46
	s_cbranch_scc0 .LBB225_7
; %bb.6:
	s_mul_i32 s0, s20, s36
	s_add_i32 s0, s2, s0
	s_mul_i32 s0, s0, s3
	s_sub_i32 s36, 1, s0
	s_mov_b64 s[0:1], 0
	s_branch .LBB225_8
.LBB225_7:
	s_mov_b64 s[0:1], -1
                                        ; implicit-def: $sgpr36
.LBB225_8:
	s_load_dwordx2 s[28:29], s[4:5], 0x28
	s_ashr_i32 s19, s12, 31
	s_andn2_b64 vcc, exec, s[0:1]
	s_ashr_i32 s23, s23, 31
	s_cbranch_vccnz .LBB225_10
; %bb.9:
	s_mul_i32 s0, s9, s20
	s_add_i32 s0, s0, s6
	s_mul_i32 s0, s0, s3
	s_add_i32 s36, s0, 1
.LBB225_10:
	s_load_dword s0, s[4:5], 0x38
	s_load_dwordx2 s[26:27], s[4:5], 0x0
	s_load_dwordx2 s[34:35], s[4:5], 0x18
	s_load_dwordx4 s[12:15], s[4:5], 0x58
	s_xor_b32 s1, s19, s23
	s_waitcnt lgkmcnt(0)
	s_mul_i32 s30, s0, s10
	s_mul_i32 s0, s16, s25
	s_sub_i32 s0, s7, s0
	s_ashr_i32 s31, s30, 31
	s_add_i32 s3, s16, 1
	s_sub_i32 s6, s0, s25
	s_cmp_ge_u32 s0, s25
	s_cselect_b32 s3, s3, s16
	s_cselect_b32 s0, s6, s0
	s_add_i32 s6, s3, 1
	s_cmp_ge_u32 s0, s25
	s_cselect_b32 s0, s6, s3
	s_xor_b32 s0, s0, s1
	s_sub_i32 s16, s0, s1
	s_add_i32 s0, s33, 7
	s_ashr_i32 s1, s0, 31
	s_lshr_b32 s1, s1, 29
	s_add_i32 s0, s0, s1
	s_ashr_i32 s47, s0, 3
	v_lshrrev_b32_e32 v12, 6, v0
	v_cmp_gt_i32_e64 s[0:1], s47, v12
	v_mov_b32_e32 v16, 0xff7fffff
	s_mul_i32 s20, s2, s18
	v_lshrrev_b32_e32 v8, 4, v0
	v_lshlrev_b32_e32 v13, 3, v12
	v_mbcnt_lo_u32_b32 v9, -1, 0
	s_and_saveexec_b64 s[18:19], s[0:1]
	s_cbranch_execz .LBB225_166
; %bb.11:
	s_load_dwordx2 s[2:3], s[4:5], 0x10
	s_sub_i32 s49, s16, s21
	s_ashr_i32 s4, s20, 31
	v_bfe_u32 v10, v0, 3, 3
	v_lshlrev_b32_e32 v4, 4, v10
	s_waitcnt lgkmcnt(0)
	s_add_u32 s5, s2, s20
	s_addc_u32 s4, s3, s4
	s_abs_i32 s50, s22
	v_cvt_f32_u32_e32 v2, s50
	s_sub_i32 s2, 0, s50
	v_mov_b32_e32 v5, s4
	v_add_co_u32_e64 v4, s[4:5], s5, v4
	v_rcp_iflag_f32_e32 v2, v2
	v_addc_co_u32_e64 v5, s[4:5], 0, v5, s[4:5]
	v_cmp_eq_u32_e32 vcc, 0, v1
	v_mul_f32_e32 v2, 0x4f7ffffe, v2
	v_cvt_u32_f32_e32 v2, v2
	v_mul_u32_u24_e32 v15, 48, v1
	v_add_co_u32_e64 v1, s[4:5], v4, v1
	v_mul_lo_u32 v3, s2, v2
	s_mov_b32 s51, s17
	v_mov_b32_e32 v14, 0
	v_cmp_neq_f32_e64 s[2:3], s48, 0
	v_mul_hi_u32 v3, v2, v3
	v_lshlrev_b32_e32 v18, 3, v12
	v_mov_b32_e32 v21, 0xff7fffff
	s_mov_b64 s[38:39], 0
	v_add_u32_e32 v17, v2, v3
	v_addc_co_u32_e64 v2, s[4:5], 0, v5, s[4:5]
	s_lshl_b64 s[4:5], s[30:31], 2
	s_add_u32 s4, s28, s4
	v_subrev_u32_e32 v5, s33, v10
	v_and_b32_e32 v3, 60, v8
	s_addc_u32 s5, s29, s5
	v_add_u32_e32 v19, 1, v5
	v_lshlrev_b32_e32 v5, 2, v10
	v_mov_b32_e32 v4, s5
	v_add_co_u32_e64 v3, s[4:5], s4, v3
	v_lshl_or_b32 v5, v12, 5, v5
	v_addc_co_u32_e64 v4, s[4:5], 0, v4, s[4:5]
	v_add_u32_e32 v20, 0x190, v5
	s_movk_i32 s52, 0x80
	s_movk_i32 s53, 0x7f
	v_bfrev_b32_e32 v22, 60
	v_mbcnt_hi_u32_b32 v23, -1, v9
	v_mov_b32_e32 v16, 0xff7fffff
	v_mov_b32_e32 v24, v12
	s_branch .LBB225_14
.LBB225_12:                             ;   in Loop: Header=BB225_14 Depth=1
	s_or_b64 exec, exec, s[40:41]
.LBB225_13:                             ;   in Loop: Header=BB225_14 Depth=1
	s_or_b64 exec, exec, s[6:7]
	v_add_co_u32_e64 v3, s[4:5], 8, v3
	v_add_u32_e32 v24, 2, v24
	v_addc_co_u32_e64 v4, s[4:5], 0, v4, s[4:5]
	v_cmp_le_i32_e64 s[4:5], s47, v24
	v_add_u32_e32 v18, 16, v18
	s_or_b64 s[38:39], s[4:5], s[38:39]
	v_add_u32_e32 v20, 64, v20
	s_andn2_b64 exec, exec, s[38:39]
	s_cbranch_execz .LBB225_165
.LBB225_14:                             ; =>This Inner Loop Header: Depth=1
	v_mul_hi_u32 v5, v18, s46
	s_waitcnt lgkmcnt(0)
	v_mul_lo_u32 v6, v5, s25
	v_add_u32_e32 v7, 1, v5
	v_sub_u32_e32 v6, v18, v6
	v_cmp_le_u32_e64 s[4:5], s25, v6
	v_cndmask_b32_e64 v5, v5, v7, s[4:5]
	v_subrev_u32_e32 v7, s25, v6
	v_cndmask_b32_e64 v6, v6, v7, s[4:5]
	v_add_u32_e32 v7, 1, v5
	v_cmp_le_u32_e64 s[4:5], s25, v6
	v_cndmask_b32_e64 v5, v5, v7, s[4:5]
	v_xor_b32_e32 v5, s23, v5
	v_subrev_u32_e32 v5, s23, v5
	v_add_u32_e32 v6, s36, v5
	v_sub_u32_e32 v7, 0, v6
	v_max_i32_e32 v7, v6, v7
	v_mul_hi_u32 v25, v7, v17
	v_ashrrev_i32_e32 v6, 31, v6
	v_cmp_ge_i32_e64 s[6:7], s49, v5
	v_mul_lo_u32 v25, v25, s50
	v_sub_u32_e32 v7, v7, v25
	v_subrev_u32_e32 v25, s50, v7
	v_cmp_le_u32_e64 s[4:5], s50, v7
	v_cndmask_b32_e64 v7, v7, v25, s[4:5]
	v_subrev_u32_e32 v25, s50, v7
	v_cmp_le_u32_e64 s[4:5], s50, v7
	v_cndmask_b32_e64 v7, v7, v25, s[4:5]
	v_xor_b32_e32 v7, v7, v6
	v_sub_u32_e32 v6, v7, v6
	v_cmp_ne_u32_e64 s[4:5], 0, v6
	s_and_b64 s[4:5], s[4:5], s[6:7]
	s_and_saveexec_b64 s[6:7], s[4:5]
	s_xor_b64 s[4:5], exec, s[6:7]
	s_cbranch_execz .LBB225_18
; %bb.15:                               ;   in Loop: Header=BB225_14 Depth=1
	s_and_saveexec_b64 s[6:7], vcc
; %bb.16:                               ;   in Loop: Header=BB225_14 Depth=1
	ds_write_b32 v20, v21
; %bb.17:                               ;   in Loop: Header=BB225_14 Depth=1
	s_or_b64 exec, exec, s[6:7]
.LBB225_18:                             ;   in Loop: Header=BB225_14 Depth=1
	s_andn2_saveexec_b64 s[6:7], s[4:5]
	s_cbranch_execz .LBB225_13
; %bb.19:                               ;   in Loop: Header=BB225_14 Depth=1
	global_load_dword v5, v[3:4], off
	v_mov_b32_e32 v26, 0
	v_mov_b32_e32 v27, 0
	s_waitcnt vmcnt(0)
	v_mad_i64_i32 v[5:6], s[4:5], v5, s51, v[1:2]
	global_load_ubyte v28, v[5:6], off
	global_load_dword v25, v14, s[12:13]
	s_waitcnt vmcnt(1)
	v_cmp_ne_u16_e64 s[4:5], 0, v28
	s_and_saveexec_b64 s[40:41], s[4:5]
	s_cbranch_execz .LBB225_25
; %bb.20:                               ;   in Loop: Header=BB225_14 Depth=1
	v_cmp_ne_u16_e64 s[4:5], s52, v28
	v_bfrev_b32_e32 v27, 1
	s_and_saveexec_b64 s[42:43], s[4:5]
	s_cbranch_execz .LBB225_24
; %bb.21:                               ;   in Loop: Header=BB225_14 Depth=1
	v_and_b32_e32 v7, 0xffff, v28
	v_and_b32_e32 v29, 0x7f, v7
	v_cmp_ne_u32_e64 s[4:5], s53, v29
	v_mov_b32_e32 v27, 0x7f800001
	s_and_saveexec_b64 s[44:45], s[4:5]
	s_cbranch_execz .LBB225_23
; %bb.22:                               ;   in Loop: Header=BB225_14 Depth=1
	v_and_b32_e32 v27, 7, v7
	v_ffbh_u32_e32 v30, v27
	v_min_u32_e32 v33, 32, v30
	v_subrev_u32_e32 v30, 28, v33
	v_lshlrev_b64 v[30:31], v30, v[7:8]
	v_lshrrev_b32_e32 v32, 3, v29
	v_sub_u32_e32 v7, 29, v33
	v_and_b32_e32 v30, 7, v30
	v_cmp_gt_u32_e64 s[4:5], 8, v29
	v_cndmask_b32_e64 v7, v32, v7, s[4:5]
	v_cndmask_b32_e64 v27, v27, v30, s[4:5]
	v_lshlrev_b32_e32 v28, 24, v28
	v_lshlrev_b32_e32 v27, 20, v27
	v_and_b32_e32 v28, 0x80000000, v28
	v_lshl_add_u32 v7, v7, 23, v22
	v_or3_b32 v27, v28, v7, v27
.LBB225_23:                             ;   in Loop: Header=BB225_14 Depth=1
	s_or_b64 exec, exec, s[44:45]
.LBB225_24:                             ;   in Loop: Header=BB225_14 Depth=1
	s_or_b64 exec, exec, s[42:43]
.LBB225_25:                             ;   in Loop: Header=BB225_14 Depth=1
	s_or_b64 exec, exec, s[40:41]
	global_load_ubyte v28, v[5:6], off offset:8
	s_waitcnt vmcnt(0)
	v_cmp_ne_u16_e64 s[4:5], 0, v28
	s_and_saveexec_b64 s[40:41], s[4:5]
	s_cbranch_execz .LBB225_31
; %bb.26:                               ;   in Loop: Header=BB225_14 Depth=1
	v_cmp_ne_u16_e64 s[4:5], s52, v28
	v_bfrev_b32_e32 v26, 1
	s_and_saveexec_b64 s[42:43], s[4:5]
	s_cbranch_execz .LBB225_30
; %bb.27:                               ;   in Loop: Header=BB225_14 Depth=1
	v_and_b32_e32 v7, 0xffff, v28
	v_and_b32_e32 v29, 0x7f, v7
	v_cmp_ne_u32_e64 s[4:5], s53, v29
	v_mov_b32_e32 v26, 0x7f800001
	s_and_saveexec_b64 s[44:45], s[4:5]
	s_cbranch_execz .LBB225_29
; %bb.28:                               ;   in Loop: Header=BB225_14 Depth=1
	v_and_b32_e32 v26, 7, v7
	v_ffbh_u32_e32 v30, v26
	v_min_u32_e32 v33, 32, v30
	v_subrev_u32_e32 v30, 28, v33
	v_lshlrev_b64 v[30:31], v30, v[7:8]
	v_lshrrev_b32_e32 v32, 3, v29
	v_sub_u32_e32 v7, 29, v33
	v_and_b32_e32 v30, 7, v30
	v_cmp_gt_u32_e64 s[4:5], 8, v29
	v_cndmask_b32_e64 v7, v32, v7, s[4:5]
	v_cndmask_b32_e64 v26, v26, v30, s[4:5]
	v_lshlrev_b32_e32 v28, 24, v28
	v_lshlrev_b32_e32 v26, 20, v26
	v_and_b32_e32 v28, 0x80000000, v28
	v_lshl_add_u32 v7, v7, 23, v22
	v_or3_b32 v26, v28, v7, v26
.LBB225_29:                             ;   in Loop: Header=BB225_14 Depth=1
	s_or_b64 exec, exec, s[44:45]
.LBB225_30:                             ;   in Loop: Header=BB225_14 Depth=1
	s_or_b64 exec, exec, s[42:43]
.LBB225_31:                             ;   in Loop: Header=BB225_14 Depth=1
	s_or_b64 exec, exec, s[40:41]
	global_load_ubyte v30, v[5:6], off offset:128
	v_mov_b32_e32 v28, 0
	v_mov_b32_e32 v29, 0
	s_waitcnt vmcnt(0)
	v_cmp_ne_u16_e64 s[4:5], 0, v30
	s_and_saveexec_b64 s[40:41], s[4:5]
	s_cbranch_execz .LBB225_37
; %bb.32:                               ;   in Loop: Header=BB225_14 Depth=1
	v_cmp_ne_u16_e64 s[4:5], s52, v30
	v_bfrev_b32_e32 v29, 1
	s_and_saveexec_b64 s[42:43], s[4:5]
	s_cbranch_execz .LBB225_36
; %bb.33:                               ;   in Loop: Header=BB225_14 Depth=1
	v_and_b32_e32 v7, 0xffff, v30
	v_and_b32_e32 v31, 0x7f, v7
	v_cmp_ne_u32_e64 s[4:5], s53, v31
	v_mov_b32_e32 v29, 0x7f800001
	s_and_saveexec_b64 s[44:45], s[4:5]
	s_cbranch_execz .LBB225_35
; %bb.34:                               ;   in Loop: Header=BB225_14 Depth=1
	v_and_b32_e32 v29, 7, v7
	v_ffbh_u32_e32 v32, v29
	v_min_u32_e32 v35, 32, v32
	v_subrev_u32_e32 v32, 28, v35
	v_lshlrev_b64 v[32:33], v32, v[7:8]
	v_lshrrev_b32_e32 v34, 3, v31
	v_sub_u32_e32 v7, 29, v35
	v_and_b32_e32 v32, 7, v32
	v_cmp_gt_u32_e64 s[4:5], 8, v31
	v_cndmask_b32_e64 v7, v34, v7, s[4:5]
	v_cndmask_b32_e64 v29, v29, v32, s[4:5]
	v_lshlrev_b32_e32 v30, 24, v30
	v_lshlrev_b32_e32 v29, 20, v29
	v_and_b32_e32 v30, 0x80000000, v30
	v_lshl_add_u32 v7, v7, 23, v22
	v_or3_b32 v29, v30, v7, v29
.LBB225_35:                             ;   in Loop: Header=BB225_14 Depth=1
	s_or_b64 exec, exec, s[44:45]
.LBB225_36:                             ;   in Loop: Header=BB225_14 Depth=1
	s_or_b64 exec, exec, s[42:43]
.LBB225_37:                             ;   in Loop: Header=BB225_14 Depth=1
	s_or_b64 exec, exec, s[40:41]
	global_load_ubyte v30, v[5:6], off offset:136
	s_waitcnt vmcnt(0)
	v_cmp_ne_u16_e64 s[4:5], 0, v30
	s_and_saveexec_b64 s[40:41], s[4:5]
	s_cbranch_execz .LBB225_43
; %bb.38:                               ;   in Loop: Header=BB225_14 Depth=1
	v_cmp_ne_u16_e64 s[4:5], s52, v30
	v_bfrev_b32_e32 v28, 1
	s_and_saveexec_b64 s[42:43], s[4:5]
	s_cbranch_execz .LBB225_42
; %bb.39:                               ;   in Loop: Header=BB225_14 Depth=1
	v_and_b32_e32 v7, 0xffff, v30
	v_and_b32_e32 v31, 0x7f, v7
	v_cmp_ne_u32_e64 s[4:5], s53, v31
	v_mov_b32_e32 v28, 0x7f800001
	s_and_saveexec_b64 s[44:45], s[4:5]
	s_cbranch_execz .LBB225_41
; %bb.40:                               ;   in Loop: Header=BB225_14 Depth=1
	v_and_b32_e32 v28, 7, v7
	v_ffbh_u32_e32 v32, v28
	v_min_u32_e32 v35, 32, v32
	v_subrev_u32_e32 v32, 28, v35
	v_lshlrev_b64 v[32:33], v32, v[7:8]
	v_lshrrev_b32_e32 v34, 3, v31
	v_sub_u32_e32 v7, 29, v35
	v_and_b32_e32 v32, 7, v32
	v_cmp_gt_u32_e64 s[4:5], 8, v31
	v_cndmask_b32_e64 v7, v34, v7, s[4:5]
	v_cndmask_b32_e64 v28, v28, v32, s[4:5]
	v_lshlrev_b32_e32 v30, 24, v30
	v_lshlrev_b32_e32 v28, 20, v28
	v_and_b32_e32 v30, 0x80000000, v30
	v_lshl_add_u32 v7, v7, 23, v22
	v_or3_b32 v28, v30, v7, v28
.LBB225_41:                             ;   in Loop: Header=BB225_14 Depth=1
	s_or_b64 exec, exec, s[44:45]
.LBB225_42:                             ;   in Loop: Header=BB225_14 Depth=1
	s_or_b64 exec, exec, s[42:43]
.LBB225_43:                             ;   in Loop: Header=BB225_14 Depth=1
	s_or_b64 exec, exec, s[40:41]
	global_load_ubyte v32, v[5:6], off offset:256
	v_mov_b32_e32 v30, 0
	v_mov_b32_e32 v31, 0
	s_waitcnt vmcnt(0)
	v_cmp_ne_u16_e64 s[4:5], 0, v32
	s_and_saveexec_b64 s[40:41], s[4:5]
	s_cbranch_execz .LBB225_49
; %bb.44:                               ;   in Loop: Header=BB225_14 Depth=1
	v_cmp_ne_u16_e64 s[4:5], s52, v32
	v_bfrev_b32_e32 v31, 1
	s_and_saveexec_b64 s[42:43], s[4:5]
	s_cbranch_execz .LBB225_48
; %bb.45:                               ;   in Loop: Header=BB225_14 Depth=1
	v_and_b32_e32 v7, 0xffff, v32
	v_and_b32_e32 v33, 0x7f, v7
	v_cmp_ne_u32_e64 s[4:5], s53, v33
	v_mov_b32_e32 v31, 0x7f800001
	s_and_saveexec_b64 s[44:45], s[4:5]
	s_cbranch_execz .LBB225_47
; %bb.46:                               ;   in Loop: Header=BB225_14 Depth=1
	v_and_b32_e32 v31, 7, v7
	v_ffbh_u32_e32 v34, v31
	v_min_u32_e32 v37, 32, v34
	v_subrev_u32_e32 v34, 28, v37
	v_lshlrev_b64 v[34:35], v34, v[7:8]
	v_lshrrev_b32_e32 v36, 3, v33
	v_sub_u32_e32 v7, 29, v37
	v_and_b32_e32 v34, 7, v34
	v_cmp_gt_u32_e64 s[4:5], 8, v33
	v_cndmask_b32_e64 v7, v36, v7, s[4:5]
	v_cndmask_b32_e64 v31, v31, v34, s[4:5]
	v_lshlrev_b32_e32 v32, 24, v32
	v_lshlrev_b32_e32 v31, 20, v31
	v_and_b32_e32 v32, 0x80000000, v32
	v_lshl_add_u32 v7, v7, 23, v22
	v_or3_b32 v31, v32, v7, v31
.LBB225_47:                             ;   in Loop: Header=BB225_14 Depth=1
	s_or_b64 exec, exec, s[44:45]
.LBB225_48:                             ;   in Loop: Header=BB225_14 Depth=1
	s_or_b64 exec, exec, s[42:43]
.LBB225_49:                             ;   in Loop: Header=BB225_14 Depth=1
	s_or_b64 exec, exec, s[40:41]
	global_load_ubyte v32, v[5:6], off offset:264
	s_waitcnt vmcnt(0)
	v_cmp_ne_u16_e64 s[4:5], 0, v32
	s_and_saveexec_b64 s[40:41], s[4:5]
	s_cbranch_execz .LBB225_55
; %bb.50:                               ;   in Loop: Header=BB225_14 Depth=1
	v_cmp_ne_u16_e64 s[4:5], s52, v32
	v_bfrev_b32_e32 v30, 1
	s_and_saveexec_b64 s[42:43], s[4:5]
	s_cbranch_execz .LBB225_54
; %bb.51:                               ;   in Loop: Header=BB225_14 Depth=1
	v_and_b32_e32 v7, 0xffff, v32
	v_and_b32_e32 v33, 0x7f, v7
	v_cmp_ne_u32_e64 s[4:5], s53, v33
	v_mov_b32_e32 v30, 0x7f800001
	s_and_saveexec_b64 s[44:45], s[4:5]
	s_cbranch_execz .LBB225_53
; %bb.52:                               ;   in Loop: Header=BB225_14 Depth=1
	v_and_b32_e32 v30, 7, v7
	v_ffbh_u32_e32 v34, v30
	v_min_u32_e32 v37, 32, v34
	v_subrev_u32_e32 v34, 28, v37
	v_lshlrev_b64 v[34:35], v34, v[7:8]
	v_lshrrev_b32_e32 v36, 3, v33
	v_sub_u32_e32 v7, 29, v37
	v_and_b32_e32 v34, 7, v34
	v_cmp_gt_u32_e64 s[4:5], 8, v33
	v_cndmask_b32_e64 v7, v36, v7, s[4:5]
	v_cndmask_b32_e64 v30, v30, v34, s[4:5]
	v_lshlrev_b32_e32 v32, 24, v32
	v_lshlrev_b32_e32 v30, 20, v30
	v_and_b32_e32 v32, 0x80000000, v32
	v_lshl_add_u32 v7, v7, 23, v22
	v_or3_b32 v30, v32, v7, v30
.LBB225_53:                             ;   in Loop: Header=BB225_14 Depth=1
	s_or_b64 exec, exec, s[44:45]
.LBB225_54:                             ;   in Loop: Header=BB225_14 Depth=1
	s_or_b64 exec, exec, s[42:43]
.LBB225_55:                             ;   in Loop: Header=BB225_14 Depth=1
	s_or_b64 exec, exec, s[40:41]
	global_load_ubyte v34, v[5:6], off offset:384
	v_mov_b32_e32 v32, 0
	v_mov_b32_e32 v33, 0
	s_waitcnt vmcnt(0)
	v_cmp_ne_u16_e64 s[4:5], 0, v34
	s_and_saveexec_b64 s[40:41], s[4:5]
	s_cbranch_execz .LBB225_61
; %bb.56:                               ;   in Loop: Header=BB225_14 Depth=1
	v_cmp_ne_u16_e64 s[4:5], s52, v34
	v_bfrev_b32_e32 v33, 1
	s_and_saveexec_b64 s[42:43], s[4:5]
	s_cbranch_execz .LBB225_60
; %bb.57:                               ;   in Loop: Header=BB225_14 Depth=1
	v_and_b32_e32 v7, 0xffff, v34
	v_and_b32_e32 v35, 0x7f, v7
	v_cmp_ne_u32_e64 s[4:5], s53, v35
	v_mov_b32_e32 v33, 0x7f800001
	s_and_saveexec_b64 s[44:45], s[4:5]
	s_cbranch_execz .LBB225_59
; %bb.58:                               ;   in Loop: Header=BB225_14 Depth=1
	v_and_b32_e32 v33, 7, v7
	v_ffbh_u32_e32 v36, v33
	v_min_u32_e32 v39, 32, v36
	v_subrev_u32_e32 v36, 28, v39
	v_lshlrev_b64 v[36:37], v36, v[7:8]
	v_lshrrev_b32_e32 v38, 3, v35
	v_sub_u32_e32 v7, 29, v39
	v_and_b32_e32 v36, 7, v36
	v_cmp_gt_u32_e64 s[4:5], 8, v35
	v_cndmask_b32_e64 v7, v38, v7, s[4:5]
	v_cndmask_b32_e64 v33, v33, v36, s[4:5]
	v_lshlrev_b32_e32 v34, 24, v34
	v_lshlrev_b32_e32 v33, 20, v33
	v_and_b32_e32 v34, 0x80000000, v34
	v_lshl_add_u32 v7, v7, 23, v22
	v_or3_b32 v33, v34, v7, v33
.LBB225_59:                             ;   in Loop: Header=BB225_14 Depth=1
	s_or_b64 exec, exec, s[44:45]
.LBB225_60:                             ;   in Loop: Header=BB225_14 Depth=1
	s_or_b64 exec, exec, s[42:43]
.LBB225_61:                             ;   in Loop: Header=BB225_14 Depth=1
	s_or_b64 exec, exec, s[40:41]
	global_load_ubyte v34, v[5:6], off offset:392
	s_waitcnt vmcnt(0)
	v_cmp_ne_u16_e64 s[4:5], 0, v34
	s_and_saveexec_b64 s[40:41], s[4:5]
	s_cbranch_execz .LBB225_67
; %bb.62:                               ;   in Loop: Header=BB225_14 Depth=1
	v_cmp_ne_u16_e64 s[4:5], s52, v34
	v_bfrev_b32_e32 v32, 1
	s_and_saveexec_b64 s[42:43], s[4:5]
	s_cbranch_execz .LBB225_66
; %bb.63:                               ;   in Loop: Header=BB225_14 Depth=1
	v_and_b32_e32 v7, 0xffff, v34
	v_and_b32_e32 v35, 0x7f, v7
	v_cmp_ne_u32_e64 s[4:5], s53, v35
	v_mov_b32_e32 v32, 0x7f800001
	s_and_saveexec_b64 s[44:45], s[4:5]
	s_cbranch_execz .LBB225_65
; %bb.64:                               ;   in Loop: Header=BB225_14 Depth=1
	v_and_b32_e32 v32, 7, v7
	v_ffbh_u32_e32 v36, v32
	v_min_u32_e32 v39, 32, v36
	v_subrev_u32_e32 v36, 28, v39
	v_lshlrev_b64 v[36:37], v36, v[7:8]
	v_lshrrev_b32_e32 v38, 3, v35
	v_sub_u32_e32 v7, 29, v39
	v_and_b32_e32 v36, 7, v36
	v_cmp_gt_u32_e64 s[4:5], 8, v35
	v_cndmask_b32_e64 v7, v38, v7, s[4:5]
	v_cndmask_b32_e64 v32, v32, v36, s[4:5]
	v_lshlrev_b32_e32 v34, 24, v34
	v_lshlrev_b32_e32 v32, 20, v32
	v_and_b32_e32 v34, 0x80000000, v34
	v_lshl_add_u32 v7, v7, 23, v22
	v_or3_b32 v32, v34, v7, v32
.LBB225_65:                             ;   in Loop: Header=BB225_14 Depth=1
	s_or_b64 exec, exec, s[44:45]
.LBB225_66:                             ;   in Loop: Header=BB225_14 Depth=1
	s_or_b64 exec, exec, s[42:43]
.LBB225_67:                             ;   in Loop: Header=BB225_14 Depth=1
	s_or_b64 exec, exec, s[40:41]
	global_load_ubyte v36, v[5:6], off offset:512
	v_mov_b32_e32 v34, 0
	v_mov_b32_e32 v35, 0
	s_waitcnt vmcnt(0)
	v_cmp_ne_u16_e64 s[4:5], 0, v36
	s_and_saveexec_b64 s[40:41], s[4:5]
	s_cbranch_execz .LBB225_73
; %bb.68:                               ;   in Loop: Header=BB225_14 Depth=1
	v_cmp_ne_u16_e64 s[4:5], s52, v36
	v_bfrev_b32_e32 v35, 1
	s_and_saveexec_b64 s[42:43], s[4:5]
	s_cbranch_execz .LBB225_72
; %bb.69:                               ;   in Loop: Header=BB225_14 Depth=1
	v_and_b32_e32 v7, 0xffff, v36
	v_and_b32_e32 v37, 0x7f, v7
	v_cmp_ne_u32_e64 s[4:5], s53, v37
	v_mov_b32_e32 v35, 0x7f800001
	s_and_saveexec_b64 s[44:45], s[4:5]
	s_cbranch_execz .LBB225_71
; %bb.70:                               ;   in Loop: Header=BB225_14 Depth=1
	v_and_b32_e32 v35, 7, v7
	v_ffbh_u32_e32 v38, v35
	v_min_u32_e32 v41, 32, v38
	v_subrev_u32_e32 v38, 28, v41
	v_lshlrev_b64 v[38:39], v38, v[7:8]
	v_lshrrev_b32_e32 v40, 3, v37
	v_sub_u32_e32 v7, 29, v41
	v_and_b32_e32 v38, 7, v38
	v_cmp_gt_u32_e64 s[4:5], 8, v37
	v_cndmask_b32_e64 v7, v40, v7, s[4:5]
	v_cndmask_b32_e64 v35, v35, v38, s[4:5]
	v_lshlrev_b32_e32 v36, 24, v36
	v_lshlrev_b32_e32 v35, 20, v35
	v_and_b32_e32 v36, 0x80000000, v36
	v_lshl_add_u32 v7, v7, 23, v22
	v_or3_b32 v35, v36, v7, v35
.LBB225_71:                             ;   in Loop: Header=BB225_14 Depth=1
	s_or_b64 exec, exec, s[44:45]
.LBB225_72:                             ;   in Loop: Header=BB225_14 Depth=1
	s_or_b64 exec, exec, s[42:43]
.LBB225_73:                             ;   in Loop: Header=BB225_14 Depth=1
	s_or_b64 exec, exec, s[40:41]
	global_load_ubyte v36, v[5:6], off offset:520
	s_waitcnt vmcnt(0)
	v_cmp_ne_u16_e64 s[4:5], 0, v36
	s_and_saveexec_b64 s[40:41], s[4:5]
	s_cbranch_execz .LBB225_79
; %bb.74:                               ;   in Loop: Header=BB225_14 Depth=1
	v_cmp_ne_u16_e64 s[4:5], s52, v36
	v_bfrev_b32_e32 v34, 1
	s_and_saveexec_b64 s[42:43], s[4:5]
	s_cbranch_execz .LBB225_78
; %bb.75:                               ;   in Loop: Header=BB225_14 Depth=1
	v_and_b32_e32 v7, 0xffff, v36
	v_and_b32_e32 v37, 0x7f, v7
	v_cmp_ne_u32_e64 s[4:5], s53, v37
	v_mov_b32_e32 v34, 0x7f800001
	s_and_saveexec_b64 s[44:45], s[4:5]
	s_cbranch_execz .LBB225_77
; %bb.76:                               ;   in Loop: Header=BB225_14 Depth=1
	v_and_b32_e32 v34, 7, v7
	v_ffbh_u32_e32 v38, v34
	v_min_u32_e32 v41, 32, v38
	v_subrev_u32_e32 v38, 28, v41
	v_lshlrev_b64 v[38:39], v38, v[7:8]
	v_lshrrev_b32_e32 v40, 3, v37
	v_sub_u32_e32 v7, 29, v41
	v_and_b32_e32 v38, 7, v38
	v_cmp_gt_u32_e64 s[4:5], 8, v37
	v_cndmask_b32_e64 v7, v40, v7, s[4:5]
	v_cndmask_b32_e64 v34, v34, v38, s[4:5]
	v_lshlrev_b32_e32 v36, 24, v36
	v_lshlrev_b32_e32 v34, 20, v34
	v_and_b32_e32 v36, 0x80000000, v36
	v_lshl_add_u32 v7, v7, 23, v22
	v_or3_b32 v34, v36, v7, v34
.LBB225_77:                             ;   in Loop: Header=BB225_14 Depth=1
	s_or_b64 exec, exec, s[44:45]
.LBB225_78:                             ;   in Loop: Header=BB225_14 Depth=1
	s_or_b64 exec, exec, s[42:43]
.LBB225_79:                             ;   in Loop: Header=BB225_14 Depth=1
	s_or_b64 exec, exec, s[40:41]
	global_load_ubyte v38, v[5:6], off offset:640
	v_mov_b32_e32 v36, 0
	v_mov_b32_e32 v37, 0
	s_waitcnt vmcnt(0)
	v_cmp_ne_u16_e64 s[4:5], 0, v38
	s_and_saveexec_b64 s[40:41], s[4:5]
	s_cbranch_execz .LBB225_85
; %bb.80:                               ;   in Loop: Header=BB225_14 Depth=1
	v_cmp_ne_u16_e64 s[4:5], s52, v38
	v_bfrev_b32_e32 v37, 1
	s_and_saveexec_b64 s[42:43], s[4:5]
	s_cbranch_execz .LBB225_84
; %bb.81:                               ;   in Loop: Header=BB225_14 Depth=1
	v_and_b32_e32 v7, 0xffff, v38
	v_and_b32_e32 v39, 0x7f, v7
	v_cmp_ne_u32_e64 s[4:5], s53, v39
	v_mov_b32_e32 v37, 0x7f800001
	s_and_saveexec_b64 s[44:45], s[4:5]
	s_cbranch_execz .LBB225_83
; %bb.82:                               ;   in Loop: Header=BB225_14 Depth=1
	v_and_b32_e32 v37, 7, v7
	v_ffbh_u32_e32 v40, v37
	v_min_u32_e32 v43, 32, v40
	v_subrev_u32_e32 v40, 28, v43
	v_lshlrev_b64 v[40:41], v40, v[7:8]
	v_lshrrev_b32_e32 v42, 3, v39
	v_sub_u32_e32 v7, 29, v43
	v_and_b32_e32 v40, 7, v40
	v_cmp_gt_u32_e64 s[4:5], 8, v39
	v_cndmask_b32_e64 v7, v42, v7, s[4:5]
	v_cndmask_b32_e64 v37, v37, v40, s[4:5]
	v_lshlrev_b32_e32 v38, 24, v38
	v_lshlrev_b32_e32 v37, 20, v37
	v_and_b32_e32 v38, 0x80000000, v38
	v_lshl_add_u32 v7, v7, 23, v22
	v_or3_b32 v37, v38, v7, v37
.LBB225_83:                             ;   in Loop: Header=BB225_14 Depth=1
	s_or_b64 exec, exec, s[44:45]
.LBB225_84:                             ;   in Loop: Header=BB225_14 Depth=1
	s_or_b64 exec, exec, s[42:43]
.LBB225_85:                             ;   in Loop: Header=BB225_14 Depth=1
	s_or_b64 exec, exec, s[40:41]
	global_load_ubyte v38, v[5:6], off offset:648
	s_waitcnt vmcnt(0)
	v_cmp_ne_u16_e64 s[4:5], 0, v38
	s_and_saveexec_b64 s[40:41], s[4:5]
	s_cbranch_execz .LBB225_91
; %bb.86:                               ;   in Loop: Header=BB225_14 Depth=1
	v_cmp_ne_u16_e64 s[4:5], s52, v38
	v_bfrev_b32_e32 v36, 1
	s_and_saveexec_b64 s[42:43], s[4:5]
	s_cbranch_execz .LBB225_90
; %bb.87:                               ;   in Loop: Header=BB225_14 Depth=1
	v_and_b32_e32 v7, 0xffff, v38
	v_and_b32_e32 v39, 0x7f, v7
	v_cmp_ne_u32_e64 s[4:5], s53, v39
	v_mov_b32_e32 v36, 0x7f800001
	s_and_saveexec_b64 s[44:45], s[4:5]
	s_cbranch_execz .LBB225_89
; %bb.88:                               ;   in Loop: Header=BB225_14 Depth=1
	v_and_b32_e32 v36, 7, v7
	v_ffbh_u32_e32 v40, v36
	v_min_u32_e32 v43, 32, v40
	v_subrev_u32_e32 v40, 28, v43
	v_lshlrev_b64 v[40:41], v40, v[7:8]
	v_lshrrev_b32_e32 v42, 3, v39
	v_sub_u32_e32 v7, 29, v43
	v_and_b32_e32 v40, 7, v40
	v_cmp_gt_u32_e64 s[4:5], 8, v39
	v_cndmask_b32_e64 v7, v42, v7, s[4:5]
	v_cndmask_b32_e64 v36, v36, v40, s[4:5]
	v_lshlrev_b32_e32 v38, 24, v38
	v_lshlrev_b32_e32 v36, 20, v36
	v_and_b32_e32 v38, 0x80000000, v38
	v_lshl_add_u32 v7, v7, 23, v22
	v_or3_b32 v36, v38, v7, v36
.LBB225_89:                             ;   in Loop: Header=BB225_14 Depth=1
	s_or_b64 exec, exec, s[44:45]
.LBB225_90:                             ;   in Loop: Header=BB225_14 Depth=1
	s_or_b64 exec, exec, s[42:43]
.LBB225_91:                             ;   in Loop: Header=BB225_14 Depth=1
	s_or_b64 exec, exec, s[40:41]
	global_load_ubyte v40, v[5:6], off offset:768
	v_mov_b32_e32 v38, 0
	v_mov_b32_e32 v39, 0
	s_waitcnt vmcnt(0)
	v_cmp_ne_u16_e64 s[4:5], 0, v40
	s_and_saveexec_b64 s[40:41], s[4:5]
	s_cbranch_execz .LBB225_97
; %bb.92:                               ;   in Loop: Header=BB225_14 Depth=1
	v_cmp_ne_u16_e64 s[4:5], s52, v40
	v_bfrev_b32_e32 v39, 1
	s_and_saveexec_b64 s[42:43], s[4:5]
	s_cbranch_execz .LBB225_96
; %bb.93:                               ;   in Loop: Header=BB225_14 Depth=1
	v_and_b32_e32 v7, 0xffff, v40
	v_and_b32_e32 v41, 0x7f, v7
	v_cmp_ne_u32_e64 s[4:5], s53, v41
	v_mov_b32_e32 v39, 0x7f800001
	s_and_saveexec_b64 s[44:45], s[4:5]
	s_cbranch_execz .LBB225_95
; %bb.94:                               ;   in Loop: Header=BB225_14 Depth=1
	v_and_b32_e32 v39, 7, v7
	v_ffbh_u32_e32 v42, v39
	v_min_u32_e32 v45, 32, v42
	v_subrev_u32_e32 v42, 28, v45
	v_lshlrev_b64 v[42:43], v42, v[7:8]
	v_lshrrev_b32_e32 v44, 3, v41
	v_sub_u32_e32 v7, 29, v45
	v_and_b32_e32 v42, 7, v42
	v_cmp_gt_u32_e64 s[4:5], 8, v41
	v_cndmask_b32_e64 v7, v44, v7, s[4:5]
	v_cndmask_b32_e64 v39, v39, v42, s[4:5]
	v_lshlrev_b32_e32 v40, 24, v40
	v_lshlrev_b32_e32 v39, 20, v39
	v_and_b32_e32 v40, 0x80000000, v40
	v_lshl_add_u32 v7, v7, 23, v22
	v_or3_b32 v39, v40, v7, v39
.LBB225_95:                             ;   in Loop: Header=BB225_14 Depth=1
	s_or_b64 exec, exec, s[44:45]
.LBB225_96:                             ;   in Loop: Header=BB225_14 Depth=1
	s_or_b64 exec, exec, s[42:43]
.LBB225_97:                             ;   in Loop: Header=BB225_14 Depth=1
	s_or_b64 exec, exec, s[40:41]
	global_load_ubyte v40, v[5:6], off offset:776
	s_waitcnt vmcnt(0)
	v_cmp_ne_u16_e64 s[4:5], 0, v40
	s_and_saveexec_b64 s[40:41], s[4:5]
	s_cbranch_execz .LBB225_103
; %bb.98:                               ;   in Loop: Header=BB225_14 Depth=1
	v_cmp_ne_u16_e64 s[4:5], s52, v40
	v_bfrev_b32_e32 v38, 1
	s_and_saveexec_b64 s[42:43], s[4:5]
	s_cbranch_execz .LBB225_102
; %bb.99:                               ;   in Loop: Header=BB225_14 Depth=1
	v_and_b32_e32 v7, 0xffff, v40
	v_and_b32_e32 v41, 0x7f, v7
	v_cmp_ne_u32_e64 s[4:5], s53, v41
	v_mov_b32_e32 v38, 0x7f800001
	s_and_saveexec_b64 s[44:45], s[4:5]
	s_cbranch_execz .LBB225_101
; %bb.100:                              ;   in Loop: Header=BB225_14 Depth=1
	v_and_b32_e32 v38, 7, v7
	v_ffbh_u32_e32 v42, v38
	v_min_u32_e32 v45, 32, v42
	v_subrev_u32_e32 v42, 28, v45
	v_lshlrev_b64 v[42:43], v42, v[7:8]
	v_lshrrev_b32_e32 v44, 3, v41
	v_sub_u32_e32 v7, 29, v45
	v_and_b32_e32 v42, 7, v42
	v_cmp_gt_u32_e64 s[4:5], 8, v41
	v_cndmask_b32_e64 v7, v44, v7, s[4:5]
	v_cndmask_b32_e64 v38, v38, v42, s[4:5]
	v_lshlrev_b32_e32 v40, 24, v40
	v_lshlrev_b32_e32 v38, 20, v38
	v_and_b32_e32 v40, 0x80000000, v40
	v_lshl_add_u32 v7, v7, 23, v22
	v_or3_b32 v38, v40, v7, v38
.LBB225_101:                            ;   in Loop: Header=BB225_14 Depth=1
	s_or_b64 exec, exec, s[44:45]
.LBB225_102:                            ;   in Loop: Header=BB225_14 Depth=1
	s_or_b64 exec, exec, s[42:43]
.LBB225_103:                            ;   in Loop: Header=BB225_14 Depth=1
	s_or_b64 exec, exec, s[40:41]
	global_load_ubyte v42, v[5:6], off offset:896
	v_mov_b32_e32 v40, 0
	v_mov_b32_e32 v41, 0
	s_waitcnt vmcnt(0)
	v_cmp_ne_u16_e64 s[4:5], 0, v42
	s_and_saveexec_b64 s[40:41], s[4:5]
	s_cbranch_execz .LBB225_109
; %bb.104:                              ;   in Loop: Header=BB225_14 Depth=1
	v_cmp_ne_u16_e64 s[4:5], s52, v42
	v_bfrev_b32_e32 v41, 1
	s_and_saveexec_b64 s[42:43], s[4:5]
	s_cbranch_execz .LBB225_108
; %bb.105:                              ;   in Loop: Header=BB225_14 Depth=1
	v_and_b32_e32 v7, 0xffff, v42
	v_and_b32_e32 v43, 0x7f, v7
	v_cmp_ne_u32_e64 s[4:5], s53, v43
	v_mov_b32_e32 v41, 0x7f800001
	s_and_saveexec_b64 s[44:45], s[4:5]
	s_cbranch_execz .LBB225_107
; %bb.106:                              ;   in Loop: Header=BB225_14 Depth=1
	v_and_b32_e32 v41, 7, v7
	v_ffbh_u32_e32 v44, v41
	v_min_u32_e32 v47, 32, v44
	v_subrev_u32_e32 v44, 28, v47
	v_lshlrev_b64 v[44:45], v44, v[7:8]
	v_lshrrev_b32_e32 v46, 3, v43
	v_sub_u32_e32 v7, 29, v47
	v_and_b32_e32 v44, 7, v44
	v_cmp_gt_u32_e64 s[4:5], 8, v43
	v_cndmask_b32_e64 v7, v46, v7, s[4:5]
	v_cndmask_b32_e64 v41, v41, v44, s[4:5]
	v_lshlrev_b32_e32 v42, 24, v42
	v_lshlrev_b32_e32 v41, 20, v41
	v_and_b32_e32 v42, 0x80000000, v42
	v_lshl_add_u32 v7, v7, 23, v22
	v_or3_b32 v41, v42, v7, v41
.LBB225_107:                            ;   in Loop: Header=BB225_14 Depth=1
	s_or_b64 exec, exec, s[44:45]
.LBB225_108:                            ;   in Loop: Header=BB225_14 Depth=1
	s_or_b64 exec, exec, s[42:43]
.LBB225_109:                            ;   in Loop: Header=BB225_14 Depth=1
	s_or_b64 exec, exec, s[40:41]
	global_load_ubyte v42, v[5:6], off offset:904
	s_waitcnt vmcnt(0)
	v_cmp_ne_u16_e64 s[4:5], 0, v42
	s_and_saveexec_b64 s[40:41], s[4:5]
	s_cbranch_execz .LBB225_115
; %bb.110:                              ;   in Loop: Header=BB225_14 Depth=1
	v_cmp_ne_u16_e64 s[4:5], s52, v42
	v_bfrev_b32_e32 v40, 1
	s_and_saveexec_b64 s[42:43], s[4:5]
	s_cbranch_execz .LBB225_114
; %bb.111:                              ;   in Loop: Header=BB225_14 Depth=1
	v_and_b32_e32 v7, 0xffff, v42
	v_and_b32_e32 v43, 0x7f, v7
	v_cmp_ne_u32_e64 s[4:5], s53, v43
	v_mov_b32_e32 v40, 0x7f800001
	s_and_saveexec_b64 s[44:45], s[4:5]
	s_cbranch_execz .LBB225_113
; %bb.112:                              ;   in Loop: Header=BB225_14 Depth=1
	v_and_b32_e32 v40, 7, v7
	v_ffbh_u32_e32 v44, v40
	v_min_u32_e32 v47, 32, v44
	v_subrev_u32_e32 v44, 28, v47
	v_lshlrev_b64 v[44:45], v44, v[7:8]
	v_lshrrev_b32_e32 v46, 3, v43
	v_sub_u32_e32 v7, 29, v47
	v_and_b32_e32 v44, 7, v44
	v_cmp_gt_u32_e64 s[4:5], 8, v43
	v_cndmask_b32_e64 v7, v46, v7, s[4:5]
	v_cndmask_b32_e64 v40, v40, v44, s[4:5]
	v_lshlrev_b32_e32 v42, 24, v42
	v_lshlrev_b32_e32 v40, 20, v40
	v_and_b32_e32 v42, 0x80000000, v42
	v_lshl_add_u32 v7, v7, 23, v22
	v_or3_b32 v40, v42, v7, v40
.LBB225_113:                            ;   in Loop: Header=BB225_14 Depth=1
	s_or_b64 exec, exec, s[44:45]
.LBB225_114:                            ;   in Loop: Header=BB225_14 Depth=1
	s_or_b64 exec, exec, s[42:43]
.LBB225_115:                            ;   in Loop: Header=BB225_14 Depth=1
	s_or_b64 exec, exec, s[40:41]
	global_load_ubyte v42, v[5:6], off offset:1024
	v_mov_b32_e32 v45, 0
	v_mov_b32_e32 v46, 0
	s_waitcnt vmcnt(0)
	v_cmp_ne_u16_e64 s[4:5], 0, v42
	s_and_saveexec_b64 s[40:41], s[4:5]
	s_cbranch_execz .LBB225_121
; %bb.116:                              ;   in Loop: Header=BB225_14 Depth=1
	v_cmp_ne_u16_e64 s[4:5], s52, v42
	v_bfrev_b32_e32 v46, 1
	s_and_saveexec_b64 s[42:43], s[4:5]
	s_cbranch_execz .LBB225_120
; %bb.117:                              ;   in Loop: Header=BB225_14 Depth=1
	v_and_b32_e32 v7, 0xffff, v42
	v_and_b32_e32 v43, 0x7f, v7
	v_cmp_ne_u32_e64 s[4:5], s53, v43
	v_mov_b32_e32 v46, 0x7f800001
	s_and_saveexec_b64 s[44:45], s[4:5]
	s_cbranch_execz .LBB225_119
; %bb.118:                              ;   in Loop: Header=BB225_14 Depth=1
	v_and_b32_e32 v44, 7, v7
	v_ffbh_u32_e32 v46, v44
	v_min_u32_e32 v49, 32, v46
	v_subrev_u32_e32 v46, 28, v49
	v_lshlrev_b64 v[46:47], v46, v[7:8]
	v_lshrrev_b32_e32 v48, 3, v43
	v_sub_u32_e32 v7, 29, v49
	v_and_b32_e32 v46, 7, v46
	v_cmp_gt_u32_e64 s[4:5], 8, v43
	v_cndmask_b32_e64 v7, v48, v7, s[4:5]
	v_cndmask_b32_e64 v43, v44, v46, s[4:5]
	v_lshlrev_b32_e32 v42, 24, v42
	v_lshlrev_b32_e32 v43, 20, v43
	v_and_b32_e32 v42, 0x80000000, v42
	v_lshl_add_u32 v7, v7, 23, v22
	v_or3_b32 v46, v42, v7, v43
.LBB225_119:                            ;   in Loop: Header=BB225_14 Depth=1
	s_or_b64 exec, exec, s[44:45]
.LBB225_120:                            ;   in Loop: Header=BB225_14 Depth=1
	s_or_b64 exec, exec, s[42:43]
.LBB225_121:                            ;   in Loop: Header=BB225_14 Depth=1
	s_or_b64 exec, exec, s[40:41]
	global_load_ubyte v42, v[5:6], off offset:1032
	s_waitcnt vmcnt(0)
	v_cmp_ne_u16_e64 s[4:5], 0, v42
	s_and_saveexec_b64 s[40:41], s[4:5]
	s_cbranch_execz .LBB225_127
; %bb.122:                              ;   in Loop: Header=BB225_14 Depth=1
	v_cmp_ne_u16_e64 s[4:5], s52, v42
	v_bfrev_b32_e32 v45, 1
	s_and_saveexec_b64 s[42:43], s[4:5]
	s_cbranch_execz .LBB225_126
; %bb.123:                              ;   in Loop: Header=BB225_14 Depth=1
	v_and_b32_e32 v7, 0xffff, v42
	v_and_b32_e32 v43, 0x7f, v7
	v_cmp_ne_u32_e64 s[4:5], s53, v43
	v_mov_b32_e32 v45, 0x7f800001
	s_and_saveexec_b64 s[44:45], s[4:5]
	s_cbranch_execz .LBB225_125
; %bb.124:                              ;   in Loop: Header=BB225_14 Depth=1
	v_and_b32_e32 v47, 7, v7
	v_ffbh_u32_e32 v44, v47
	v_min_u32_e32 v49, 32, v44
	v_subrev_u32_e32 v44, 28, v49
	v_lshlrev_b64 v[44:45], v44, v[7:8]
	v_lshrrev_b32_e32 v48, 3, v43
	v_sub_u32_e32 v7, 29, v49
	v_and_b32_e32 v44, 7, v44
	v_cmp_gt_u32_e64 s[4:5], 8, v43
	v_cndmask_b32_e64 v7, v48, v7, s[4:5]
	v_cndmask_b32_e64 v43, v47, v44, s[4:5]
	v_lshlrev_b32_e32 v42, 24, v42
	v_lshlrev_b32_e32 v43, 20, v43
	v_and_b32_e32 v42, 0x80000000, v42
	v_lshl_add_u32 v7, v7, 23, v22
	v_or3_b32 v45, v42, v7, v43
.LBB225_125:                            ;   in Loop: Header=BB225_14 Depth=1
	s_or_b64 exec, exec, s[44:45]
.LBB225_126:                            ;   in Loop: Header=BB225_14 Depth=1
	s_or_b64 exec, exec, s[42:43]
.LBB225_127:                            ;   in Loop: Header=BB225_14 Depth=1
	s_or_b64 exec, exec, s[40:41]
	global_load_ubyte v42, v[5:6], off offset:1152
	v_mov_b32_e32 v43, 0
	v_mov_b32_e32 v44, 0
	s_waitcnt vmcnt(0)
	v_cmp_ne_u16_e64 s[4:5], 0, v42
	s_and_saveexec_b64 s[40:41], s[4:5]
	s_cbranch_execz .LBB225_133
; %bb.128:                              ;   in Loop: Header=BB225_14 Depth=1
	v_cmp_ne_u16_e64 s[4:5], s52, v42
	v_bfrev_b32_e32 v44, 1
	s_and_saveexec_b64 s[42:43], s[4:5]
	s_cbranch_execz .LBB225_132
; %bb.129:                              ;   in Loop: Header=BB225_14 Depth=1
	v_and_b32_e32 v7, 0xffff, v42
	v_and_b32_e32 v47, 0x7f, v7
	v_cmp_ne_u32_e64 s[4:5], s53, v47
	v_mov_b32_e32 v44, 0x7f800001
	s_and_saveexec_b64 s[44:45], s[4:5]
	s_cbranch_execz .LBB225_131
; %bb.130:                              ;   in Loop: Header=BB225_14 Depth=1
	v_and_b32_e32 v44, 7, v7
	v_ffbh_u32_e32 v48, v44
	v_min_u32_e32 v51, 32, v48
	v_subrev_u32_e32 v48, 28, v51
	v_lshlrev_b64 v[48:49], v48, v[7:8]
	v_lshrrev_b32_e32 v50, 3, v47
	v_sub_u32_e32 v7, 29, v51
	v_and_b32_e32 v48, 7, v48
	v_cmp_gt_u32_e64 s[4:5], 8, v47
	v_cndmask_b32_e64 v7, v50, v7, s[4:5]
	v_cndmask_b32_e64 v44, v44, v48, s[4:5]
	v_lshlrev_b32_e32 v42, 24, v42
	v_lshlrev_b32_e32 v44, 20, v44
	v_and_b32_e32 v42, 0x80000000, v42
	v_lshl_add_u32 v7, v7, 23, v22
	v_or3_b32 v44, v42, v7, v44
.LBB225_131:                            ;   in Loop: Header=BB225_14 Depth=1
	s_or_b64 exec, exec, s[44:45]
.LBB225_132:                            ;   in Loop: Header=BB225_14 Depth=1
	s_or_b64 exec, exec, s[42:43]
.LBB225_133:                            ;   in Loop: Header=BB225_14 Depth=1
	s_or_b64 exec, exec, s[40:41]
	global_load_ubyte v42, v[5:6], off offset:1160
	s_waitcnt vmcnt(0)
	v_cmp_ne_u16_e64 s[4:5], 0, v42
	s_and_saveexec_b64 s[40:41], s[4:5]
	s_cbranch_execz .LBB225_139
; %bb.134:                              ;   in Loop: Header=BB225_14 Depth=1
	v_cmp_ne_u16_e64 s[4:5], s52, v42
	v_bfrev_b32_e32 v43, 1
	s_and_saveexec_b64 s[42:43], s[4:5]
	s_cbranch_execz .LBB225_138
; %bb.135:                              ;   in Loop: Header=BB225_14 Depth=1
	v_and_b32_e32 v7, 0xffff, v42
	v_and_b32_e32 v47, 0x7f, v7
	v_cmp_ne_u32_e64 s[4:5], s53, v47
	v_mov_b32_e32 v43, 0x7f800001
	s_and_saveexec_b64 s[44:45], s[4:5]
	s_cbranch_execz .LBB225_137
; %bb.136:                              ;   in Loop: Header=BB225_14 Depth=1
	v_and_b32_e32 v43, 7, v7
	v_ffbh_u32_e32 v48, v43
	v_min_u32_e32 v51, 32, v48
	v_subrev_u32_e32 v48, 28, v51
	v_lshlrev_b64 v[48:49], v48, v[7:8]
	v_lshrrev_b32_e32 v50, 3, v47
	v_sub_u32_e32 v7, 29, v51
	v_and_b32_e32 v48, 7, v48
	v_cmp_gt_u32_e64 s[4:5], 8, v47
	v_cndmask_b32_e64 v7, v50, v7, s[4:5]
	v_cndmask_b32_e64 v43, v43, v48, s[4:5]
	v_lshlrev_b32_e32 v42, 24, v42
	v_lshlrev_b32_e32 v43, 20, v43
	v_and_b32_e32 v42, 0x80000000, v42
	v_lshl_add_u32 v7, v7, 23, v22
	v_or3_b32 v43, v42, v7, v43
.LBB225_137:                            ;   in Loop: Header=BB225_14 Depth=1
	s_or_b64 exec, exec, s[44:45]
.LBB225_138:                            ;   in Loop: Header=BB225_14 Depth=1
	s_or_b64 exec, exec, s[42:43]
.LBB225_139:                            ;   in Loop: Header=BB225_14 Depth=1
	s_or_b64 exec, exec, s[40:41]
	global_load_ubyte v48, v[5:6], off offset:1280
	v_mov_b32_e32 v42, 0
	v_mov_b32_e32 v47, 0
	s_waitcnt vmcnt(0)
	v_cmp_ne_u16_e64 s[4:5], 0, v48
	s_and_saveexec_b64 s[40:41], s[4:5]
	s_cbranch_execz .LBB225_145
; %bb.140:                              ;   in Loop: Header=BB225_14 Depth=1
	v_cmp_ne_u16_e64 s[4:5], s52, v48
	v_bfrev_b32_e32 v47, 1
	s_and_saveexec_b64 s[42:43], s[4:5]
	s_cbranch_execz .LBB225_144
; %bb.141:                              ;   in Loop: Header=BB225_14 Depth=1
	v_and_b32_e32 v7, 0xffff, v48
	v_and_b32_e32 v49, 0x7f, v7
	v_cmp_ne_u32_e64 s[4:5], s53, v49
	v_mov_b32_e32 v47, 0x7f800001
	s_and_saveexec_b64 s[44:45], s[4:5]
	s_cbranch_execz .LBB225_143
; %bb.142:                              ;   in Loop: Header=BB225_14 Depth=1
	v_and_b32_e32 v47, 7, v7
	v_ffbh_u32_e32 v50, v47
	v_min_u32_e32 v53, 32, v50
	v_subrev_u32_e32 v50, 28, v53
	v_lshlrev_b64 v[50:51], v50, v[7:8]
	v_lshrrev_b32_e32 v52, 3, v49
	v_sub_u32_e32 v7, 29, v53
	v_and_b32_e32 v50, 7, v50
	v_cmp_gt_u32_e64 s[4:5], 8, v49
	v_cndmask_b32_e64 v7, v52, v7, s[4:5]
	v_cndmask_b32_e64 v47, v47, v50, s[4:5]
	v_lshlrev_b32_e32 v48, 24, v48
	v_lshlrev_b32_e32 v47, 20, v47
	v_and_b32_e32 v48, 0x80000000, v48
	v_lshl_add_u32 v7, v7, 23, v22
	v_or3_b32 v47, v48, v7, v47
.LBB225_143:                            ;   in Loop: Header=BB225_14 Depth=1
	s_or_b64 exec, exec, s[44:45]
.LBB225_144:                            ;   in Loop: Header=BB225_14 Depth=1
	s_or_b64 exec, exec, s[42:43]
.LBB225_145:                            ;   in Loop: Header=BB225_14 Depth=1
	s_or_b64 exec, exec, s[40:41]
	global_load_ubyte v48, v[5:6], off offset:1288
	s_waitcnt vmcnt(0)
	v_cmp_ne_u16_e64 s[4:5], 0, v48
	s_and_saveexec_b64 s[40:41], s[4:5]
	s_cbranch_execz .LBB225_151
; %bb.146:                              ;   in Loop: Header=BB225_14 Depth=1
	v_cmp_ne_u16_e64 s[4:5], s52, v48
	v_bfrev_b32_e32 v42, 1
	s_and_saveexec_b64 s[42:43], s[4:5]
	s_cbranch_execz .LBB225_150
; %bb.147:                              ;   in Loop: Header=BB225_14 Depth=1
	v_and_b32_e32 v7, 0xffff, v48
	v_and_b32_e32 v49, 0x7f, v7
	v_cmp_ne_u32_e64 s[4:5], s53, v49
	v_mov_b32_e32 v42, 0x7f800001
	s_and_saveexec_b64 s[44:45], s[4:5]
	s_cbranch_execz .LBB225_149
; %bb.148:                              ;   in Loop: Header=BB225_14 Depth=1
	v_and_b32_e32 v42, 7, v7
	v_ffbh_u32_e32 v50, v42
	v_min_u32_e32 v53, 32, v50
	v_subrev_u32_e32 v50, 28, v53
	v_lshlrev_b64 v[50:51], v50, v[7:8]
	v_lshrrev_b32_e32 v52, 3, v49
	v_sub_u32_e32 v7, 29, v53
	v_and_b32_e32 v50, 7, v50
	v_cmp_gt_u32_e64 s[4:5], 8, v49
	v_cndmask_b32_e64 v7, v52, v7, s[4:5]
	v_cndmask_b32_e64 v42, v42, v50, s[4:5]
	v_lshlrev_b32_e32 v48, 24, v48
	v_lshlrev_b32_e32 v42, 20, v42
	v_and_b32_e32 v48, 0x80000000, v48
	v_lshl_add_u32 v7, v7, 23, v22
	v_or3_b32 v42, v48, v7, v42
.LBB225_149:                            ;   in Loop: Header=BB225_14 Depth=1
	s_or_b64 exec, exec, s[44:45]
.LBB225_150:                            ;   in Loop: Header=BB225_14 Depth=1
	s_or_b64 exec, exec, s[42:43]
.LBB225_151:                            ;   in Loop: Header=BB225_14 Depth=1
	s_or_b64 exec, exec, s[40:41]
	global_load_ubyte v50, v[5:6], off offset:1408
	v_mov_b32_e32 v48, 0
	v_mov_b32_e32 v49, 0
	s_waitcnt vmcnt(0)
	v_cmp_ne_u16_e64 s[4:5], 0, v50
	s_and_saveexec_b64 s[40:41], s[4:5]
	s_cbranch_execz .LBB225_157
; %bb.152:                              ;   in Loop: Header=BB225_14 Depth=1
	v_cmp_ne_u16_e64 s[4:5], s52, v50
	v_bfrev_b32_e32 v49, 1
	s_and_saveexec_b64 s[42:43], s[4:5]
	s_cbranch_execz .LBB225_156
; %bb.153:                              ;   in Loop: Header=BB225_14 Depth=1
	v_and_b32_e32 v7, 0xffff, v50
	v_and_b32_e32 v51, 0x7f, v7
	v_cmp_ne_u32_e64 s[4:5], s53, v51
	v_mov_b32_e32 v49, 0x7f800001
	s_and_saveexec_b64 s[44:45], s[4:5]
	s_cbranch_execz .LBB225_155
; %bb.154:                              ;   in Loop: Header=BB225_14 Depth=1
	v_and_b32_e32 v49, 7, v7
	v_ffbh_u32_e32 v52, v49
	v_min_u32_e32 v55, 32, v52
	v_subrev_u32_e32 v52, 28, v55
	v_lshlrev_b64 v[52:53], v52, v[7:8]
	v_lshrrev_b32_e32 v54, 3, v51
	v_sub_u32_e32 v7, 29, v55
	v_and_b32_e32 v52, 7, v52
	v_cmp_gt_u32_e64 s[4:5], 8, v51
	v_cndmask_b32_e64 v7, v54, v7, s[4:5]
	v_cndmask_b32_e64 v49, v49, v52, s[4:5]
	v_lshlrev_b32_e32 v50, 24, v50
	v_lshlrev_b32_e32 v49, 20, v49
	v_and_b32_e32 v50, 0x80000000, v50
	v_lshl_add_u32 v7, v7, 23, v22
	v_or3_b32 v49, v50, v7, v49
.LBB225_155:                            ;   in Loop: Header=BB225_14 Depth=1
	s_or_b64 exec, exec, s[44:45]
.LBB225_156:                            ;   in Loop: Header=BB225_14 Depth=1
	s_or_b64 exec, exec, s[42:43]
.LBB225_157:                            ;   in Loop: Header=BB225_14 Depth=1
	s_or_b64 exec, exec, s[40:41]
	global_load_ubyte v6, v[5:6], off offset:1416
	s_waitcnt vmcnt(0)
	v_cmp_ne_u16_e64 s[4:5], 0, v6
	s_and_saveexec_b64 s[40:41], s[4:5]
	s_cbranch_execz .LBB225_163
; %bb.158:                              ;   in Loop: Header=BB225_14 Depth=1
	v_cmp_ne_u16_e64 s[4:5], s52, v6
	v_bfrev_b32_e32 v48, 1
	s_and_saveexec_b64 s[42:43], s[4:5]
	s_cbranch_execz .LBB225_162
; %bb.159:                              ;   in Loop: Header=BB225_14 Depth=1
	v_and_b32_e32 v5, 0xffff, v6
	v_and_b32_e32 v7, 0x7f, v5
	v_cmp_ne_u32_e64 s[4:5], s53, v7
	v_mov_b32_e32 v48, 0x7f800001
	s_and_saveexec_b64 s[44:45], s[4:5]
	s_cbranch_execz .LBB225_161
; %bb.160:                              ;   in Loop: Header=BB225_14 Depth=1
	v_and_b32_e32 v48, 7, v5
	v_ffbh_u32_e32 v50, v48
	v_min_u32_e32 v53, 32, v50
	v_subrev_u32_e32 v50, 28, v53
	v_lshlrev_b64 v[50:51], v50, v[5:6]
	v_lshrrev_b32_e32 v52, 3, v7
	v_sub_u32_e32 v5, 29, v53
	v_and_b32_e32 v50, 7, v50
	v_cmp_gt_u32_e64 s[4:5], 8, v7
	v_cndmask_b32_e64 v5, v52, v5, s[4:5]
	v_cndmask_b32_e64 v7, v48, v50, s[4:5]
	v_lshlrev_b32_e32 v6, 24, v6
	v_lshlrev_b32_e32 v7, 20, v7
	v_and_b32_e32 v6, 0x80000000, v6
	v_lshl_add_u32 v5, v5, 23, v22
	v_or3_b32 v48, v6, v5, v7
.LBB225_161:                            ;   in Loop: Header=BB225_14 Depth=1
	s_or_b64 exec, exec, s[44:45]
.LBB225_162:                            ;   in Loop: Header=BB225_14 Depth=1
	s_or_b64 exec, exec, s[42:43]
.LBB225_163:                            ;   in Loop: Header=BB225_14 Depth=1
	s_or_b64 exec, exec, s[40:41]
	v_fma_mixlo_f16 v5, v25, v49, 0
	v_fma_mixlo_f16 v7, v25, v42, 0
	;; [unrolled: 1-line block ×24, first 2 shown]
	ds_read_u16 v25, v15
	s_waitcnt lgkmcnt(0)
	;;#ASMSTART
	v_cvt_f32_f16 v47, v25;
	;;#ASMEND
	v_and_b32_e32 v25, 0xffff, v27
	;;#ASMSTART
	v_cvt_f32_f16 v27, v25;
	;;#ASMEND
	ds_read_u16 v25, v15 offset:2
	v_and_b32_e32 v26, 0xffff, v26
	s_waitcnt lgkmcnt(0)
	;;#ASMSTART
	v_cvt_f32_f16 v25, v25;
	;;#ASMEND
	;;#ASMSTART
	v_cvt_f32_f16 v26, v26;
	;;#ASMEND
	v_mul_f32_e32 v25, v25, v26
	ds_read_u16 v26, v15 offset:4
	v_fmac_f32_e32 v25, v47, v27
	s_waitcnt lgkmcnt(0)
	;;#ASMSTART
	v_cvt_f32_f16 v26, v26;
	;;#ASMEND
	v_and_b32_e32 v27, 0xffff, v29
	;;#ASMSTART
	v_cvt_f32_f16 v27, v27;
	;;#ASMEND
	v_fmac_f32_e32 v25, v26, v27
	ds_read_u16 v26, v15 offset:6
	s_waitcnt lgkmcnt(0)
	;;#ASMSTART
	v_cvt_f32_f16 v26, v26;
	;;#ASMEND
	v_and_b32_e32 v27, 0xffff, v28
	;;#ASMSTART
	v_cvt_f32_f16 v27, v27;
	;;#ASMEND
	v_fmac_f32_e32 v25, v26, v27
	ds_read_u16 v26, v15 offset:8
	;; [unrolled: 10-line block ×19, first 2 shown]
	v_and_b32_e32 v7, 0xffff, v7
	s_waitcnt lgkmcnt(0)
	;;#ASMSTART
	v_cvt_f32_f16 v26, v26;
	;;#ASMEND
	;;#ASMSTART
	v_cvt_f32_f16 v7, v7;
	;;#ASMEND
	v_fmac_f32_e32 v25, v26, v7
	ds_read_u16 v7, v15 offset:44
	v_and_b32_e32 v5, 0xffff, v5
	s_waitcnt lgkmcnt(0)
	;;#ASMSTART
	v_cvt_f32_f16 v7, v7;
	;;#ASMEND
	;;#ASMSTART
	v_cvt_f32_f16 v5, v5;
	;;#ASMEND
	v_fmac_f32_e32 v25, v7, v5
	ds_read_u16 v5, v15 offset:46
	s_waitcnt lgkmcnt(0)
	;;#ASMSTART
	v_cvt_f32_f16 v5, v5;
	;;#ASMEND
	v_and_b32_e32 v6, 0xffff, v6
	;;#ASMSTART
	v_cvt_f32_f16 v6, v6;
	;;#ASMEND
	v_fmac_f32_e32 v25, v5, v6
	v_and_b32_e32 v5, 64, v23
	v_add_u32_e32 v6, 64, v5
	v_xor_b32_e32 v5, 4, v23
	v_cmp_lt_i32_e64 s[4:5], v5, v6
	v_cndmask_b32_e64 v5, v23, v5, s[4:5]
	v_lshlrev_b32_e32 v5, 2, v5
	ds_bpermute_b32 v5, v5, v25
	v_xor_b32_e32 v7, 2, v23
	v_cmp_lt_i32_e64 s[4:5], v7, v6
	v_cndmask_b32_e64 v7, v23, v7, s[4:5]
	v_lshlrev_b32_e32 v7, 2, v7
	s_waitcnt lgkmcnt(0)
	v_add_f32_e32 v5, v25, v5
	ds_bpermute_b32 v7, v7, v5
	s_waitcnt lgkmcnt(0)
	v_add_f32_e32 v5, v5, v7
	v_xor_b32_e32 v7, 1, v23
	v_cmp_lt_i32_e64 s[4:5], v7, v6
	v_cndmask_b32_e64 v6, v23, v7, s[4:5]
	v_lshlrev_b32_e32 v6, 2, v6
	ds_bpermute_b32 v6, v6, v5
	s_and_saveexec_b64 s[40:41], vcc
	s_cbranch_execz .LBB225_12
; %bb.164:                              ;   in Loop: Header=BB225_14 Depth=1
	v_add_u32_e32 v7, v19, v18
	v_cvt_f32_i32_e32 v7, v7
	s_waitcnt lgkmcnt(0)
	v_add_f32_e32 v5, v5, v6
	v_add_u32_e32 v25, v10, v18
	v_cmp_gt_i32_e64 s[4:5], s33, v25
	v_mul_f32_e32 v6, s48, v7
	v_cndmask_b32_e64 v6, 0, v6, s[2:3]
	v_fmac_f32_e32 v6, s37, v5
	v_cndmask_b32_e64 v5, 0, v6, s[4:5]
	ds_write_b32 v20, v5
	v_max_f32_e32 v5, v16, v16
	v_max_f32_e32 v5, v5, v6
	v_cndmask_b32_e64 v16, v16, v5, s[4:5]
	s_branch .LBB225_12
.LBB225_165:
	s_or_b64 exec, exec, s[38:39]
.LBB225_166:
	s_or_b64 exec, exec, s[18:19]
	v_mbcnt_hi_u32_b32 v1, -1, v9
	v_and_b32_e32 v10, 64, v1
	v_add_u32_e32 v2, 64, v10
	v_xor_b32_e32 v3, 32, v1
	v_cmp_lt_i32_e32 vcc, v3, v2
	v_cndmask_b32_e32 v3, v1, v3, vcc
	v_lshlrev_b32_e32 v4, 2, v3
	ds_bpermute_b32 v3, v4, v16
	s_waitcnt lgkmcnt(1)
	v_xor_b32_e32 v6, 16, v1
	v_max_f32_e32 v5, v16, v16
	v_cmp_lt_i32_e32 vcc, v6, v2
	v_xor_b32_e32 v7, 8, v1
	s_waitcnt lgkmcnt(0)
	v_max_f32_e32 v3, v3, v3
	v_max_f32_e32 v3, v5, v3
	v_cndmask_b32_e32 v5, v1, v6, vcc
	v_lshlrev_b32_e32 v6, 2, v5
	ds_bpermute_b32 v5, v6, v3
	v_cmp_lt_i32_e32 vcc, v7, v2
	v_and_b32_e32 v14, 63, v0
	s_waitcnt lgkmcnt(0)
	v_max_f32_e32 v5, v5, v5
	v_max_f32_e32 v5, v3, v5
	v_cndmask_b32_e32 v3, v1, v7, vcc
	v_lshlrev_b32_e32 v9, 2, v3
	ds_bpermute_b32 v7, v9, v5
	v_cmp_eq_u32_e32 vcc, 0, v14
	v_lshlrev_b32_e32 v3, 2, v12
	s_and_saveexec_b64 s[2:3], vcc
	s_cbranch_execz .LBB225_168
; %bb.167:
	s_waitcnt lgkmcnt(0)
	v_max_f32_e32 v7, v7, v7
	v_max_f32_e32 v5, v5, v5
	;; [unrolled: 1-line block ×3, first 2 shown]
	ds_write_b32 v3, v5 offset:384
.LBB225_168:
	s_or_b64 exec, exec, s[2:3]
	v_cmp_gt_u32_e64 s[2:3], 2, v14
	v_mov_b32_e32 v15, 0xff7fffff
	v_lshlrev_b32_e32 v5, 2, v14
	s_waitcnt lgkmcnt(0)
	s_barrier
	s_and_saveexec_b64 s[4:5], s[2:3]
; %bb.169:
	ds_read_b32 v15, v5 offset:384
; %bb.170:
	s_or_b64 exec, exec, s[4:5]
	v_xor_b32_e32 v7, 1, v1
	v_cmp_lt_i32_e64 s[4:5], v7, v2
	v_cndmask_b32_e64 v7, v1, v7, s[4:5]
	v_lshlrev_b32_e32 v7, 2, v7
	s_waitcnt lgkmcnt(0)
	ds_bpermute_b32 v16, v7, v15
	v_max_f32_e32 v15, v15, v15
	v_lshlrev_b32_e32 v10, 2, v10
	s_lshl_b32 s4, s47, 3
	s_min_i32 s37, s4, s33
	s_waitcnt lgkmcnt(0)
	v_max_f32_e32 v16, v16, v16
	v_max_f32_e32 v15, v15, v16
	ds_bpermute_b32 v15, v10, v15
	v_cmp_gt_i32_e64 s[4:5], s37, v0
	v_mov_b32_e32 v10, 0
	s_and_saveexec_b64 s[12:13], s[4:5]
	s_cbranch_execz .LBB225_174
; %bb.171:
	v_mov_b32_e32 v10, 0x190
	v_lshl_add_u32 v16, v0, 2, v10
	v_mov_b32_e32 v10, 0
	s_mov_b64 s[18:19], 0
	v_mov_b32_e32 v17, v0
.LBB225_172:                            ; =>This Inner Loop Header: Depth=1
	ds_read_b32 v18, v16
	v_add_u32_e32 v17, 0x80, v17
	v_cmp_le_i32_e64 s[6:7], s37, v17
	s_or_b64 s[18:19], s[6:7], s[18:19]
	s_waitcnt lgkmcnt(0)
	v_sub_f32_e32 v18, v18, v15
	v_mul_f32_e32 v18, 0x3fb8aa3b, v18
	v_exp_f32_e32 v18, v18
	ds_write_b32 v16, v18
	v_add_f32_e32 v10, v10, v18
	v_add_u32_e32 v16, 0x200, v16
	s_andn2_b64 exec, exec, s[18:19]
	s_cbranch_execnz .LBB225_172
; %bb.173:
	s_or_b64 exec, exec, s[18:19]
.LBB225_174:
	s_or_b64 exec, exec, s[12:13]
	ds_bpermute_b32 v4, v4, v10
	s_waitcnt lgkmcnt(0)
	v_add_f32_e32 v4, v10, v4
	ds_bpermute_b32 v6, v6, v4
	s_waitcnt lgkmcnt(0)
	v_add_f32_e32 v4, v4, v6
	ds_bpermute_b32 v6, v9, v4
	v_xor_b32_e32 v9, 4, v1
	v_cmp_lt_i32_e64 s[6:7], v9, v2
	v_cndmask_b32_e64 v9, v1, v9, s[6:7]
	v_lshlrev_b32_e32 v9, 2, v9
	s_waitcnt lgkmcnt(0)
	v_add_f32_e32 v4, v4, v6
	ds_bpermute_b32 v6, v9, v4
	v_xor_b32_e32 v9, 2, v1
	v_cmp_lt_i32_e64 s[6:7], v9, v2
	v_cndmask_b32_e64 v2, v1, v9, s[6:7]
	v_lshlrev_b32_e32 v2, 2, v2
	s_waitcnt lgkmcnt(0)
	v_add_f32_e32 v4, v4, v6
	ds_bpermute_b32 v2, v2, v4
	s_waitcnt lgkmcnt(0)
	v_add_f32_e32 v2, v4, v2
	ds_bpermute_b32 v4, v7, v2
	s_waitcnt lgkmcnt(0)
	v_add_f32_e32 v2, v2, v4
	s_and_saveexec_b64 s[6:7], vcc
; %bb.175:
	ds_write_b32 v3, v2 offset:392
; %bb.176:
	s_or_b64 exec, exec, s[6:7]
	s_waitcnt lgkmcnt(0)
	s_barrier
	s_and_saveexec_b64 s[6:7], s[2:3]
; %bb.177:
	ds_read_b32 v2, v5 offset:392
; %bb.178:
	s_or_b64 exec, exec, s[6:7]
	s_waitcnt lgkmcnt(0)
	ds_bpermute_b32 v3, v7, v2
	v_lshlrev_b32_e32 v1, 2, v1
	v_and_b32_e32 v1, 0x100, v1
	s_waitcnt lgkmcnt(0)
	v_add_f32_e32 v2, v2, v3
	ds_bpermute_b32 v1, v1, v2
	s_and_saveexec_b64 s[2:3], s[4:5]
	s_cbranch_execz .LBB225_181
; %bb.179:
	s_waitcnt lgkmcnt(0)
	v_add_f32_e32 v2, 0x358637bd, v1
	v_div_scale_f32 v1, s[4:5], v2, v2, 1.0
	v_div_scale_f32 v3, vcc, 1.0, v2, 1.0
	s_mov_b64 s[4:5], 0
	v_rcp_f32_e32 v4, v1
	v_fma_f32 v5, -v1, v4, 1.0
	v_fmac_f32_e32 v4, v5, v4
	v_mul_f32_e32 v5, v3, v4
	v_fma_f32 v6, -v1, v5, v3
	v_fmac_f32_e32 v5, v6, v4
	v_fma_f32 v1, -v1, v5, v3
	v_div_fmas_f32 v3, v1, v4, v5
	v_mov_b32_e32 v1, 0x190
	v_lshl_add_u32 v1, v0, 2, v1
	v_div_fixup_f32 v2, v3, v2, 1.0
	v_mov_b32_e32 v3, v0
.LBB225_180:                            ; =>This Inner Loop Header: Depth=1
	ds_read_b32 v4, v1
	v_add_u32_e32 v3, 0x80, v3
	v_cmp_le_i32_e32 vcc, s37, v3
	s_or_b64 s[4:5], vcc, s[4:5]
	s_waitcnt lgkmcnt(0)
	v_mul_f32_e32 v4, v2, v4
	ds_write_b32 v1, v4
	v_add_u32_e32 v1, 0x200, v1
	s_andn2_b64 exec, exec, s[4:5]
	s_cbranch_execnz .LBB225_180
.LBB225_181:
	s_or_b64 exec, exec, s[2:3]
	v_mov_b32_e32 v17, 0
	v_mov_b32_e32 v16, 0
	;; [unrolled: 1-line block ×3, first 2 shown]
	s_waitcnt lgkmcnt(0)
	s_barrier
	s_and_saveexec_b64 s[2:3], s[0:1]
	s_cbranch_execz .LBB225_337
; %bb.182:
	s_sub_i32 s37, s16, s21
	s_ashr_i32 s0, s20, 31
	s_add_u32 s6, s34, s20
	s_addc_u32 s7, s35, s0
	s_abs_i32 s22, s22
	v_cvt_f32_u32_e32 v1, s22
	s_sub_i32 s0, 0, s22
	v_lshlrev_b32_e32 v3, 3, v14
	s_add_i32 s35, s47, -1
	v_rcp_iflag_f32_e32 v1, v1
	v_mov_b32_e32 v6, s7
	v_add_co_u32_e32 v3, vcc, s6, v3
	v_mul_f32_e32 v1, 0x4f7ffffe, v1
	v_cvt_u32_f32_e32 v1, v1
	v_and_b32_e32 v5, 60, v8
	s_mov_b32 s4, -1
	s_mov_b32 s34, s17
	v_mul_lo_u32 v4, s0, v1
	s_lshl_b64 s[0:1], s[30:31], 2
	s_add_u32 s0, s28, s0
	s_addc_u32 s1, s29, s1
	v_mul_hi_u32 v7, v1, v4
	v_addc_co_u32_e32 v4, vcc, 0, v6, vcc
	v_add_co_u32_e32 v5, vcc, s0, v5
	v_add_u32_e32 v18, v1, v7
	v_mov_b32_e32 v1, s1
	v_addc_co_u32_e32 v6, vcc, 0, v1, vcc
	v_mov_b32_e32 v1, 0x190
	s_mov_b32 s5, 0xffffff
	v_mov_b32_e32 v2, 0
	v_lshl_add_u32 v19, v12, 5, v1
	s_mov_b64 s[6:7], 0
	s_movk_i32 s28, 0x80
	s_movk_i32 s29, 0x7f
	s_mov_b32 s30, 0x8000
	v_mov_b32_e32 v20, 0x2000
	v_mov_b32_e32 v15, 0
	;; [unrolled: 1-line block ×4, first 2 shown]
	s_branch .LBB225_185
.LBB225_183:                            ;   in Loop: Header=BB225_185 Depth=1
	s_or_b64 exec, exec, s[0:1]
	v_add_f32_e32 v9, v9, v10
	v_add_f32_e32 v16, v16, v9
	;; [unrolled: 1-line block ×3, first 2 shown]
	;;#ASMSTART
	v_pk_mul_f16 v7, v31, v7;

	;;#ASMEND
	;;#ASMSTART
	v_pk_mul_f16 v1, v30, v1;

	;;#ASMEND
	v_add_f32_e32 v17, v17, v9
	;;#ASMSTART
	v_pk_mul_f16 v8, v29, v8;

	;;#ASMEND
	;;#ASMSTART
	v_pk_mul_f16 v9, v28, v34;

	;;#ASMEND
	;;#ASMSTART
	v_pk_add_f16 v1, v7, v1;

	;;#ASMEND
	;;#ASMSTART
	v_pk_add_f16 v1, v1, v8;
	;; [unrolled: 4-line block ×3, first 2 shown]

	;;#ASMEND
	v_lshrrev_b32_e32 v7, 16, v1
	v_and_b32_e32 v1, 0xffff, v1
	;;#ASMSTART
	v_cvt_f32_f16 v1, v1;
	;;#ASMEND
	;;#ASMSTART
	v_cvt_f32_f16 v7, v7;
	;;#ASMEND
	v_add_f32_e32 v1, v1, v7
	v_add_f32_e32 v15, v15, v1
.LBB225_184:                            ;   in Loop: Header=BB225_185 Depth=1
	s_or_b64 exec, exec, s[12:13]
	v_add_co_u32_e32 v5, vcc, 8, v5
	v_add_u32_e32 v12, 2, v12
	v_addc_co_u32_e32 v6, vcc, 0, v6, vcc
	v_cmp_le_i32_e32 vcc, s47, v12
	v_add_u32_e32 v13, 16, v13
	s_or_b64 s[6:7], vcc, s[6:7]
	v_add_u32_e32 v19, 64, v19
	s_andn2_b64 exec, exec, s[6:7]
	s_cbranch_execz .LBB225_336
.LBB225_185:                            ; =>This Inner Loop Header: Depth=1
	v_mul_hi_u32 v1, v13, s46
	v_mul_lo_u32 v7, v1, s25
	v_add_u32_e32 v8, 1, v1
	v_sub_u32_e32 v7, v13, v7
	v_cmp_le_u32_e32 vcc, s25, v7
	v_cndmask_b32_e32 v1, v1, v8, vcc
	v_subrev_u32_e32 v8, s25, v7
	v_cndmask_b32_e32 v7, v7, v8, vcc
	v_add_u32_e32 v8, 1, v1
	v_cmp_le_u32_e32 vcc, s25, v7
	v_cndmask_b32_e32 v1, v1, v8, vcc
	v_xor_b32_e32 v1, s23, v1
	v_subrev_u32_e32 v1, s23, v1
	v_add_u32_e32 v7, s36, v1
	v_sub_u32_e32 v8, 0, v7
	v_max_i32_e32 v8, v7, v8
	v_mul_hi_u32 v9, v8, v18
	v_ashrrev_i32_e32 v7, 31, v7
	v_cmp_lt_i32_e64 s[0:1], s37, v1
	v_mul_lo_u32 v9, v9, s22
	v_sub_u32_e32 v8, v8, v9
	v_subrev_u32_e32 v9, s22, v8
	v_cmp_le_u32_e32 vcc, s22, v8
	v_cndmask_b32_e32 v8, v8, v9, vcc
	v_subrev_u32_e32 v9, s22, v8
	v_cmp_le_u32_e32 vcc, s22, v8
	v_cndmask_b32_e32 v8, v8, v9, vcc
	v_xor_b32_e32 v8, v8, v7
	v_sub_u32_e32 v7, v8, v7
	v_cmp_eq_u32_e32 vcc, 0, v7
	s_or_b64 s[0:1], vcc, s[0:1]
	s_and_saveexec_b64 s[12:13], s[0:1]
	s_cbranch_execz .LBB225_184
; %bb.186:                              ;   in Loop: Header=BB225_185 Depth=1
	global_load_dword v1, v[5:6], off
	ds_read2_b64 v[7:10], v19 offset1:1
	ds_read2_b64 v[21:24], v19 offset0:2 offset1:3
	s_waitcnt lgkmcnt(1)
	;;#ASMSTART
	v_cvt_f16_f32 v28, v7;

	;;#ASMEND
	;;#ASMSTART
	v_cvt_f16_f32 v29, v8;

	;;#ASMEND
	;; [unrolled: 4-line block ×4, first 2 shown]
	s_waitcnt lgkmcnt(0)
	;;#ASMSTART
	v_cvt_f16_f32 v33, v21;

	;;#ASMEND
	;;#ASMSTART
	v_cvt_f16_f32 v34, v22;

	;;#ASMEND
	;; [unrolled: 4-line block ×4, first 2 shown]
	v_mov_b32_e32 v22, 0
	global_load_dword v21, v22, s[14:15]
	v_mov_b32_e32 v23, 0
	s_waitcnt vmcnt(1)
	v_mad_i64_i32 v[7:8], s[0:1], v1, s34, v[3:4]
	global_load_dwordx2 v[9:10], v[7:8], off
	s_waitcnt vmcnt(0)
	v_cmp_ne_u16_sdwa s[16:17], v9, v2 src0_sel:BYTE_0 src1_sel:DWORD
	s_and_saveexec_b64 s[0:1], s[16:17]
	s_cbranch_execz .LBB225_192
; %bb.187:                              ;   in Loop: Header=BB225_185 Depth=1
	v_cmp_ne_u16_sdwa s[18:19], v9, s28 src0_sel:BYTE_0 src1_sel:DWORD
	v_mov_b32_e32 v23, 0x8000
	s_and_saveexec_b64 s[16:17], s[18:19]
	s_cbranch_execz .LBB225_191
; %bb.188:                              ;   in Loop: Header=BB225_185 Depth=1
	v_and_b32_e32 v1, 0x7f, v9
	v_cmp_ne_u32_e32 vcc, s29, v1
	v_mov_b32_e32 v23, 0x7c01
	s_and_saveexec_b64 s[18:19], vcc
	s_cbranch_execz .LBB225_190
; %bb.189:                              ;   in Loop: Header=BB225_185 Depth=1
	v_and_b32_e32 v25, 7, v9
	v_ffbh_u32_e32 v23, v25
	v_min_u32_e32 v27, 32, v23
	v_subrev_u32_e32 v23, 28, v27
	v_lshlrev_b64 v[23:24], v23, v[9:10]
	v_lshrrev_b32_e32 v26, 3, v1
	v_sub_u32_e32 v24, 29, v27
	v_cmp_gt_u32_e32 vcc, 8, v1
	v_cndmask_b32_e32 v1, v26, v24, vcc
	v_lshl_add_u32 v1, v1, 10, v20
	v_lshlrev_b32_e32 v24, 8, v9
	v_and_b32_e32 v23, 7, v23
	v_and_b32_e32 v1, 0xfc00, v1
	v_cndmask_b32_e32 v23, v25, v23, vcc
	v_and_or_b32 v1, v24, s30, v1
	v_lshl_or_b32 v23, v23, 7, v1
.LBB225_190:                            ;   in Loop: Header=BB225_185 Depth=1
	s_or_b64 exec, exec, s[18:19]
.LBB225_191:                            ;   in Loop: Header=BB225_185 Depth=1
	s_or_b64 exec, exec, s[16:17]
.LBB225_192:                            ;   in Loop: Header=BB225_185 Depth=1
	s_or_b64 exec, exec, s[0:1]
	v_lshrrev_b16_e32 v1, 8, v9
	v_cmp_ne_u16_e32 vcc, 0, v1
	s_and_saveexec_b64 s[0:1], vcc
	s_cbranch_execz .LBB225_198
; %bb.193:                              ;   in Loop: Header=BB225_185 Depth=1
	v_cmp_ne_u16_e32 vcc, s28, v1
	v_bfrev_b32_e32 v22, 1
	s_and_saveexec_b64 s[16:17], vcc
	s_cbranch_execz .LBB225_197
; %bb.194:                              ;   in Loop: Header=BB225_185 Depth=1
	v_and_b32_e32 v24, 0x7f, v1
	v_cmp_ne_u32_e32 vcc, s29, v24
	v_mov_b32_e32 v22, 0x7c010000
	s_and_saveexec_b64 s[18:19], vcc
	s_cbranch_execz .LBB225_196
; %bb.195:                              ;   in Loop: Header=BB225_185 Depth=1
	v_and_b32_e32 v22, 7, v1
	v_ffbh_u32_e32 v25, v22
	v_min_u32_e32 v31, 32, v25
	v_subrev_u32_e32 v25, 28, v31
	v_lshlrev_b64 v[25:26], v25, v[1:2]
	v_lshrrev_b32_e32 v27, 3, v24
	v_sub_u32_e32 v26, 29, v31
	v_cmp_gt_u32_e32 vcc, 8, v24
	v_cndmask_b32_e32 v24, v27, v26, vcc
	v_lshlrev_b32_e32 v1, 8, v1
	v_lshl_add_u32 v24, v24, 10, v20
	v_and_b32_e32 v25, 7, v25
	v_and_or_b32 v1, v1, s30, v24
	v_cndmask_b32_e32 v22, v22, v25, vcc
	v_lshlrev_b32_e32 v1, 16, v1
	v_lshl_or_b32 v22, v22, 23, v1
.LBB225_196:                            ;   in Loop: Header=BB225_185 Depth=1
	s_or_b64 exec, exec, s[18:19]
.LBB225_197:                            ;   in Loop: Header=BB225_185 Depth=1
	s_or_b64 exec, exec, s[16:17]
.LBB225_198:                            ;   in Loop: Header=BB225_185 Depth=1
	s_or_b64 exec, exec, s[0:1]
	v_lshrrev_b32_e32 v1, 16, v9
	v_cmp_ne_u16_sdwa s[16:17], v1, v2 src0_sel:BYTE_0 src1_sel:DWORD
	v_mov_b32_e32 v24, 0
	v_mov_b32_e32 v25, 0
	s_and_saveexec_b64 s[0:1], s[16:17]
	s_cbranch_execz .LBB225_204
; %bb.199:                              ;   in Loop: Header=BB225_185 Depth=1
	v_cmp_ne_u16_sdwa s[18:19], v1, s28 src0_sel:BYTE_0 src1_sel:DWORD
	v_mov_b32_e32 v25, 0x8000
	s_and_saveexec_b64 s[16:17], s[18:19]
	s_cbranch_execz .LBB225_203
; %bb.200:                              ;   in Loop: Header=BB225_185 Depth=1
	v_bfe_u32 v26, v9, 16, 7
	v_cmp_ne_u32_e32 vcc, s29, v26
	v_mov_b32_e32 v25, 0x7c01
	s_and_saveexec_b64 s[18:19], vcc
	s_cbranch_execz .LBB225_202
; %bb.201:                              ;   in Loop: Header=BB225_185 Depth=1
	v_and_b32_e32 v25, 7, v1
	v_ffbh_u32_e32 v31, v25
	v_min_u32_e32 v31, 32, v31
	v_lshrrev_b32_e32 v27, 3, v26
	v_subrev_u32_e32 v37, 28, v31
	v_sub_u32_e32 v31, 29, v31
	v_cmp_gt_u32_e32 vcc, 8, v26
	v_lshlrev_b64 v[37:38], v37, v[1:2]
	v_cndmask_b32_e32 v26, v27, v31, vcc
	v_lshl_add_u32 v26, v26, 10, v20
	v_lshlrev_b32_e32 v1, 8, v1
	v_and_b32_e32 v27, 7, v37
	v_and_b32_e32 v26, 0xfc00, v26
	v_cndmask_b32_e32 v25, v25, v27, vcc
	v_and_or_b32 v1, v1, s30, v26
	v_lshl_or_b32 v25, v25, 7, v1
.LBB225_202:                            ;   in Loop: Header=BB225_185 Depth=1
	s_or_b64 exec, exec, s[18:19]
.LBB225_203:                            ;   in Loop: Header=BB225_185 Depth=1
	s_or_b64 exec, exec, s[16:17]
.LBB225_204:                            ;   in Loop: Header=BB225_185 Depth=1
	s_or_b64 exec, exec, s[0:1]
	v_cmp_lt_u32_e32 vcc, s5, v9
	s_and_saveexec_b64 s[0:1], vcc
	s_cbranch_execz .LBB225_210
; %bb.205:                              ;   in Loop: Header=BB225_185 Depth=1
	v_lshrrev_b32_e32 v1, 24, v9
	v_cmp_ne_u32_e32 vcc, s28, v1
	v_bfrev_b32_e32 v24, 1
	s_and_saveexec_b64 s[16:17], vcc
	s_cbranch_execz .LBB225_209
; %bb.206:                              ;   in Loop: Header=BB225_185 Depth=1
	v_and_b32_e32 v26, 0x7f, v1
	v_cmp_ne_u32_e32 vcc, s29, v26
	v_mov_b32_e32 v24, 0x7c010000
	s_and_saveexec_b64 s[18:19], vcc
	s_cbranch_execz .LBB225_208
; %bb.207:                              ;   in Loop: Header=BB225_185 Depth=1
	v_and_b32_e32 v24, 7, v1
	v_ffbh_u32_e32 v31, v24
	v_min_u32_e32 v31, 32, v31
	v_lshrrev_b32_e32 v27, 3, v26
	v_subrev_u32_e32 v37, 28, v31
	v_sub_u32_e32 v31, 29, v31
	v_cmp_gt_u32_e32 vcc, 8, v26
	v_lshlrev_b64 v[37:38], v37, v[1:2]
	v_cndmask_b32_e32 v26, v27, v31, vcc
	v_lshlrev_b32_e32 v1, 8, v1
	v_lshl_add_u32 v26, v26, 10, v20
	v_and_b32_e32 v27, 7, v37
	v_and_or_b32 v1, v1, s30, v26
	v_cndmask_b32_e32 v24, v24, v27, vcc
	v_lshlrev_b32_e32 v1, 16, v1
	v_lshl_or_b32 v24, v24, 23, v1
.LBB225_208:                            ;   in Loop: Header=BB225_185 Depth=1
	s_or_b64 exec, exec, s[18:19]
.LBB225_209:                            ;   in Loop: Header=BB225_185 Depth=1
	s_or_b64 exec, exec, s[16:17]
.LBB225_210:                            ;   in Loop: Header=BB225_185 Depth=1
	s_or_b64 exec, exec, s[0:1]
	v_mov_b32_e32 v1, v10
	v_cmp_ne_u16_sdwa s[16:17], v10, v2 src0_sel:BYTE_0 src1_sel:DWORD
	v_mov_b32_e32 v26, 0
	v_mov_b32_e32 v27, 0
	s_and_saveexec_b64 s[0:1], s[16:17]
	s_cbranch_execz .LBB225_216
; %bb.211:                              ;   in Loop: Header=BB225_185 Depth=1
	v_cmp_ne_u16_sdwa s[18:19], v10, s28 src0_sel:BYTE_0 src1_sel:DWORD
	v_mov_b32_e32 v27, 0x8000
	s_and_saveexec_b64 s[16:17], s[18:19]
	s_cbranch_execz .LBB225_215
; %bb.212:                              ;   in Loop: Header=BB225_185 Depth=1
	v_and_b32_e32 v31, 0x7f, v10
	v_cmp_ne_u32_e32 vcc, s29, v31
	v_mov_b32_e32 v27, 0x7c01
	s_and_saveexec_b64 s[18:19], vcc
	s_cbranch_execz .LBB225_214
; %bb.213:                              ;   in Loop: Header=BB225_185 Depth=1
	v_and_b32_e32 v27, 7, v10
	v_ffbh_u32_e32 v37, v27
	v_min_u32_e32 v40, 32, v37
	v_subrev_u32_e32 v37, 28, v40
	v_lshlrev_b64 v[37:38], v37, v[1:2]
	v_lshrrev_b32_e32 v39, 3, v31
	v_sub_u32_e32 v38, 29, v40
	v_cmp_gt_u32_e32 vcc, 8, v31
	v_cndmask_b32_e32 v31, v39, v38, vcc
	v_lshl_add_u32 v31, v31, 10, v20
	v_lshlrev_b32_e32 v38, 8, v10
	v_and_b32_e32 v37, 7, v37
	v_and_b32_e32 v31, 0xfc00, v31
	v_cndmask_b32_e32 v27, v27, v37, vcc
	v_and_or_b32 v31, v38, s30, v31
	v_lshl_or_b32 v27, v27, 7, v31
.LBB225_214:                            ;   in Loop: Header=BB225_185 Depth=1
	s_or_b64 exec, exec, s[18:19]
.LBB225_215:                            ;   in Loop: Header=BB225_185 Depth=1
	s_or_b64 exec, exec, s[16:17]
.LBB225_216:                            ;   in Loop: Header=BB225_185 Depth=1
	s_or_b64 exec, exec, s[0:1]
	v_lshrrev_b16_e32 v1, 8, v1
	v_cmp_ne_u16_e32 vcc, 0, v1
	v_mov_b32_e32 v31, 0
	s_and_saveexec_b64 s[0:1], vcc
	s_cbranch_execz .LBB225_222
; %bb.217:                              ;   in Loop: Header=BB225_185 Depth=1
	v_cmp_ne_u16_e32 vcc, s28, v1
	v_bfrev_b32_e32 v31, 1
	s_and_saveexec_b64 s[16:17], vcc
	s_cbranch_execz .LBB225_221
; %bb.218:                              ;   in Loop: Header=BB225_185 Depth=1
	v_and_b32_e32 v37, 0x7f, v1
	v_cmp_ne_u32_e32 vcc, s29, v37
	v_mov_b32_e32 v31, 0x7c010000
	s_and_saveexec_b64 s[18:19], vcc
	s_cbranch_execz .LBB225_220
; %bb.219:                              ;   in Loop: Header=BB225_185 Depth=1
	v_and_b32_e32 v31, 7, v1
	v_ffbh_u32_e32 v38, v31
	v_min_u32_e32 v41, 32, v38
	v_subrev_u32_e32 v38, 28, v41
	v_lshlrev_b64 v[38:39], v38, v[1:2]
	v_lshrrev_b32_e32 v40, 3, v37
	v_sub_u32_e32 v39, 29, v41
	v_cmp_gt_u32_e32 vcc, 8, v37
	v_cndmask_b32_e32 v37, v40, v39, vcc
	v_lshlrev_b32_e32 v1, 8, v1
	v_lshl_add_u32 v37, v37, 10, v20
	v_and_b32_e32 v38, 7, v38
	v_and_or_b32 v1, v1, s30, v37
	v_cndmask_b32_e32 v31, v31, v38, vcc
	v_lshlrev_b32_e32 v1, 16, v1
	v_lshl_or_b32 v31, v31, 23, v1
.LBB225_220:                            ;   in Loop: Header=BB225_185 Depth=1
	s_or_b64 exec, exec, s[18:19]
.LBB225_221:                            ;   in Loop: Header=BB225_185 Depth=1
	s_or_b64 exec, exec, s[16:17]
.LBB225_222:                            ;   in Loop: Header=BB225_185 Depth=1
	s_or_b64 exec, exec, s[0:1]
	v_lshrrev_b32_e32 v1, 16, v10
	v_cmp_ne_u16_sdwa s[16:17], v1, v2 src0_sel:BYTE_0 src1_sel:DWORD
	s_and_saveexec_b64 s[0:1], s[16:17]
	s_cbranch_execz .LBB225_228
; %bb.223:                              ;   in Loop: Header=BB225_185 Depth=1
	v_cmp_ne_u16_sdwa s[18:19], v1, s28 src0_sel:BYTE_0 src1_sel:DWORD
	v_mov_b32_e32 v26, 0x8000
	s_and_saveexec_b64 s[16:17], s[18:19]
	s_cbranch_execz .LBB225_227
; %bb.224:                              ;   in Loop: Header=BB225_185 Depth=1
	v_bfe_u32 v37, v10, 16, 7
	v_cmp_ne_u32_e32 vcc, s29, v37
	v_mov_b32_e32 v26, 0x7c01
	s_and_saveexec_b64 s[18:19], vcc
	s_cbranch_execz .LBB225_226
; %bb.225:                              ;   in Loop: Header=BB225_185 Depth=1
	v_and_b32_e32 v26, 7, v1
	v_ffbh_u32_e32 v38, v26
	v_min_u32_e32 v41, 32, v38
	v_subrev_u32_e32 v38, 28, v41
	v_lshlrev_b64 v[38:39], v38, v[1:2]
	v_lshrrev_b32_e32 v40, 3, v37
	v_sub_u32_e32 v39, 29, v41
	v_cmp_gt_u32_e32 vcc, 8, v37
	v_cndmask_b32_e32 v37, v40, v39, vcc
	v_lshl_add_u32 v37, v37, 10, v20
	v_lshlrev_b32_e32 v1, 8, v1
	v_and_b32_e32 v38, 7, v38
	v_and_b32_e32 v37, 0xfc00, v37
	v_cndmask_b32_e32 v26, v26, v38, vcc
	v_and_or_b32 v1, v1, s30, v37
	v_lshl_or_b32 v26, v26, 7, v1
.LBB225_226:                            ;   in Loop: Header=BB225_185 Depth=1
	s_or_b64 exec, exec, s[18:19]
.LBB225_227:                            ;   in Loop: Header=BB225_185 Depth=1
	s_or_b64 exec, exec, s[16:17]
.LBB225_228:                            ;   in Loop: Header=BB225_185 Depth=1
	s_or_b64 exec, exec, s[0:1]
	v_cmp_lt_u64_e32 vcc, s[4:5], v[9:10]
	v_mov_b32_e32 v37, 0
	s_and_saveexec_b64 s[0:1], vcc
	s_cbranch_execz .LBB225_234
; %bb.229:                              ;   in Loop: Header=BB225_185 Depth=1
	v_lshrrev_b32_e32 v1, 24, v10
	v_cmp_ne_u32_e32 vcc, s28, v1
	v_bfrev_b32_e32 v37, 1
	s_and_saveexec_b64 s[16:17], vcc
	s_cbranch_execz .LBB225_233
; %bb.230:                              ;   in Loop: Header=BB225_185 Depth=1
	v_and_b32_e32 v9, 0x7f, v1
	v_cmp_ne_u32_e32 vcc, s29, v9
	v_mov_b32_e32 v37, 0x7c010000
	s_and_saveexec_b64 s[18:19], vcc
	s_cbranch_execz .LBB225_232
; %bb.231:                              ;   in Loop: Header=BB225_185 Depth=1
	v_and_b32_e32 v10, 7, v1
	v_ffbh_u32_e32 v37, v10
	v_min_u32_e32 v40, 32, v37
	v_subrev_u32_e32 v37, 28, v40
	v_lshlrev_b64 v[37:38], v37, v[1:2]
	v_lshrrev_b32_e32 v39, 3, v9
	v_sub_u32_e32 v38, 29, v40
	v_cmp_gt_u32_e32 vcc, 8, v9
	v_cndmask_b32_e32 v9, v39, v38, vcc
	v_lshlrev_b32_e32 v1, 8, v1
	v_lshl_add_u32 v9, v9, 10, v20
	v_and_b32_e32 v37, 7, v37
	v_and_or_b32 v1, v1, s30, v9
	v_cndmask_b32_e32 v10, v10, v37, vcc
	v_lshlrev_b32_e32 v1, 16, v1
	v_lshl_or_b32 v37, v10, 23, v1
.LBB225_232:                            ;   in Loop: Header=BB225_185 Depth=1
	s_or_b64 exec, exec, s[18:19]
.LBB225_233:                            ;   in Loop: Header=BB225_185 Depth=1
	s_or_b64 exec, exec, s[16:17]
.LBB225_234:                            ;   in Loop: Header=BB225_185 Depth=1
	s_or_b64 exec, exec, s[0:1]
	v_fma_mixlo_f16 v9, v21, v24, 0 op_sel:[0,1,0] op_sel_hi:[0,1,0]
	v_lshlrev_b32_e32 v38, 16, v9
	v_or_b32_e32 v9, v22, v23
	v_fma_mixlo_f16 v10, v21, v22, 0 op_sel:[0,1,0] op_sel_hi:[0,1,0]
	v_fma_mixlo_f16 v22, v21, v31, 0 op_sel:[0,1,0] op_sel_hi:[0,1,0]
	v_or_b32_e32 v1, v24, v25
	v_lshlrev_b32_e32 v41, 16, v10
	v_or_b32_e32 v10, v31, v27
	v_lshlrev_b32_e32 v31, 16, v22
	v_or_b32_e32 v22, v37, v26
	v_fma_mixlo_f16 v1, v21, v1, 0 op_sel_hi:[0,1,0]
	v_fma_mixlo_f16 v9, v21, v9, 0 op_sel_hi:[0,1,0]
	;; [unrolled: 1-line block ×4, first 2 shown]
	v_fma_mixlo_f16 v21, v21, v37, 0 op_sel:[0,1,0] op_sel_hi:[0,1,0]
	v_and_b32_e32 v39, 0xffff, v1
	v_and_b32_e32 v44, 0xffff, v9
	v_and_b32_e32 v42, 0xffff, v10
	v_lshlrev_b32_e32 v40, 16, v21
	v_and_b32_e32 v43, 0xffff, v22
	v_cmp_eq_u32_e32 vcc, s35, v12
	v_or_b32_e32 v1, v38, v39
	v_or_b32_e32 v9, v41, v44
	;; [unrolled: 1-line block ×4, first 2 shown]
	v_add_u32_e32 v27, 1, v13
	v_add_u32_e32 v26, 2, v13
	;; [unrolled: 1-line block ×7, first 2 shown]
	s_and_saveexec_b64 s[16:17], vcc
	s_cbranch_execz .LBB225_236
; %bb.235:                              ;   in Loop: Header=BB225_185 Depth=1
	v_cmp_gt_i32_e64 s[0:1], s33, v13
	v_cndmask_b32_e64 v1, 0, v44, s[0:1]
	v_cmp_gt_i32_e64 s[0:1], s33, v27
	v_cndmask_b32_e64 v9, 0, v41, s[0:1]
	v_cmp_gt_i32_e64 s[0:1], s33, v26
	v_or_b32_e32 v9, v9, v1
	v_cndmask_b32_e64 v1, 0, v39, s[0:1]
	v_cmp_gt_i32_e64 s[0:1], s33, v25
	v_cndmask_b32_e64 v10, 0, v38, s[0:1]
	v_cmp_gt_i32_e64 s[0:1], s33, v24
	v_or_b32_e32 v1, v10, v1
	;; [unrolled: 5-line block ×3, first 2 shown]
	v_cndmask_b32_e64 v31, 0, v43, s[0:1]
	v_cmp_gt_i32_e64 s[0:1], s33, v21
	v_cndmask_b32_e64 v37, 0, v40, s[0:1]
	v_or_b32_e32 v37, v37, v31
.LBB225_236:                            ;   in Loop: Header=BB225_185 Depth=1
	s_or_b64 exec, exec, s[16:17]
	v_and_b32_e32 v28, 0xffff, v28
	v_lshl_or_b32 v31, v29, 16, v28
	v_and_b32_e32 v28, 0xffff, v30
	v_lshl_or_b32 v30, v32, 16, v28
	;; [unrolled: 2-line block ×3, first 2 shown]
	v_and_b32_e32 v28, 0xffff, v35
	;;#ASMSTART
	v_pk_mul_f16 v9, v31, v9;

	;;#ASMEND
	;;#ASMSTART
	v_pk_mul_f16 v1, v30, v1;

	;;#ASMEND
	v_lshl_or_b32 v28, v36, 16, v28
	;;#ASMSTART
	v_pk_mul_f16 v10, v29, v10;

	;;#ASMEND
	;;#ASMSTART
	v_pk_mul_f16 v32, v28, v37;

	;;#ASMEND
	;;#ASMSTART
	v_pk_add_f16 v1, v9, v1;

	;;#ASMEND
	;;#ASMSTART
	v_pk_add_f16 v1, v1, v10;
	;; [unrolled: 4-line block ×3, first 2 shown]

	;;#ASMEND
	v_lshrrev_b32_e32 v9, 16, v1
	v_and_b32_e32 v1, 0xffff, v1
	;;#ASMSTART
	v_cvt_f32_f16 v32, v1;
	;;#ASMEND
	;;#ASMSTART
	v_cvt_f32_f16 v33, v9;
	;;#ASMEND
	global_load_dwordx2 v[9:10], v[7:8], off offset:512
	v_mov_b32_e32 v35, 0
	global_load_dword v34, v35, s[14:15]
	v_mov_b32_e32 v36, 0
	s_waitcnt vmcnt(1)
	v_cmp_ne_u16_sdwa s[0:1], v9, v2 src0_sel:BYTE_0 src1_sel:DWORD
	s_and_saveexec_b64 s[16:17], s[0:1]
	s_cbranch_execz .LBB225_242
; %bb.237:                              ;   in Loop: Header=BB225_185 Depth=1
	v_cmp_ne_u16_sdwa s[0:1], v9, s28 src0_sel:BYTE_0 src1_sel:DWORD
	v_mov_b32_e32 v36, 0x8000
	s_and_saveexec_b64 s[18:19], s[0:1]
	s_cbranch_execz .LBB225_241
; %bb.238:                              ;   in Loop: Header=BB225_185 Depth=1
	v_and_b32_e32 v1, 0x7f, v9
	v_cmp_ne_u32_e64 s[0:1], s29, v1
	v_mov_b32_e32 v36, 0x7c01
	s_and_saveexec_b64 s[20:21], s[0:1]
	s_cbranch_execz .LBB225_240
; %bb.239:                              ;   in Loop: Header=BB225_185 Depth=1
	v_and_b32_e32 v38, 7, v9
	v_ffbh_u32_e32 v36, v38
	v_min_u32_e32 v40, 32, v36
	v_subrev_u32_e32 v36, 28, v40
	v_lshlrev_b64 v[36:37], v36, v[9:10]
	v_lshrrev_b32_e32 v39, 3, v1
	v_sub_u32_e32 v37, 29, v40
	v_cmp_gt_u32_e64 s[0:1], 8, v1
	v_cndmask_b32_e64 v1, v39, v37, s[0:1]
	v_lshl_add_u32 v1, v1, 10, v20
	v_lshlrev_b32_e32 v37, 8, v9
	v_and_b32_e32 v36, 7, v36
	v_and_b32_e32 v1, 0xfc00, v1
	v_cndmask_b32_e64 v36, v38, v36, s[0:1]
	v_and_or_b32 v1, v37, s30, v1
	v_lshl_or_b32 v36, v36, 7, v1
.LBB225_240:                            ;   in Loop: Header=BB225_185 Depth=1
	s_or_b64 exec, exec, s[20:21]
.LBB225_241:                            ;   in Loop: Header=BB225_185 Depth=1
	s_or_b64 exec, exec, s[18:19]
.LBB225_242:                            ;   in Loop: Header=BB225_185 Depth=1
	s_or_b64 exec, exec, s[16:17]
	v_lshrrev_b16_e32 v1, 8, v9
	v_cmp_ne_u16_e64 s[0:1], 0, v1
	s_and_saveexec_b64 s[16:17], s[0:1]
	s_cbranch_execz .LBB225_248
; %bb.243:                              ;   in Loop: Header=BB225_185 Depth=1
	v_cmp_ne_u16_e64 s[0:1], s28, v1
	v_bfrev_b32_e32 v35, 1
	s_and_saveexec_b64 s[18:19], s[0:1]
	s_cbranch_execz .LBB225_247
; %bb.244:                              ;   in Loop: Header=BB225_185 Depth=1
	v_and_b32_e32 v37, 0x7f, v1
	v_cmp_ne_u32_e64 s[0:1], s29, v37
	v_mov_b32_e32 v35, 0x7c010000
	s_and_saveexec_b64 s[20:21], s[0:1]
	s_cbranch_execz .LBB225_246
; %bb.245:                              ;   in Loop: Header=BB225_185 Depth=1
	v_and_b32_e32 v35, 7, v1
	v_ffbh_u32_e32 v38, v35
	v_min_u32_e32 v41, 32, v38
	v_subrev_u32_e32 v38, 28, v41
	v_lshlrev_b64 v[38:39], v38, v[1:2]
	v_lshrrev_b32_e32 v40, 3, v37
	v_sub_u32_e32 v39, 29, v41
	v_cmp_gt_u32_e64 s[0:1], 8, v37
	v_cndmask_b32_e64 v37, v40, v39, s[0:1]
	v_lshlrev_b32_e32 v1, 8, v1
	v_lshl_add_u32 v37, v37, 10, v20
	v_and_b32_e32 v38, 7, v38
	v_and_or_b32 v1, v1, s30, v37
	v_cndmask_b32_e64 v35, v35, v38, s[0:1]
	v_lshlrev_b32_e32 v1, 16, v1
	v_lshl_or_b32 v35, v35, 23, v1
.LBB225_246:                            ;   in Loop: Header=BB225_185 Depth=1
	s_or_b64 exec, exec, s[20:21]
.LBB225_247:                            ;   in Loop: Header=BB225_185 Depth=1
	s_or_b64 exec, exec, s[18:19]
.LBB225_248:                            ;   in Loop: Header=BB225_185 Depth=1
	s_or_b64 exec, exec, s[16:17]
	v_lshrrev_b32_e32 v1, 16, v9
	v_cmp_ne_u16_sdwa s[0:1], v1, v2 src0_sel:BYTE_0 src1_sel:DWORD
	v_mov_b32_e32 v37, 0
	v_mov_b32_e32 v38, 0
	s_and_saveexec_b64 s[16:17], s[0:1]
	s_cbranch_execz .LBB225_254
; %bb.249:                              ;   in Loop: Header=BB225_185 Depth=1
	v_cmp_ne_u16_sdwa s[0:1], v1, s28 src0_sel:BYTE_0 src1_sel:DWORD
	v_mov_b32_e32 v38, 0x8000
	s_and_saveexec_b64 s[18:19], s[0:1]
	s_cbranch_execz .LBB225_253
; %bb.250:                              ;   in Loop: Header=BB225_185 Depth=1
	v_bfe_u32 v39, v9, 16, 7
	v_cmp_ne_u32_e64 s[0:1], s29, v39
	v_mov_b32_e32 v38, 0x7c01
	s_and_saveexec_b64 s[20:21], s[0:1]
	s_cbranch_execz .LBB225_252
; %bb.251:                              ;   in Loop: Header=BB225_185 Depth=1
	v_and_b32_e32 v38, 7, v1
	v_ffbh_u32_e32 v40, v38
	v_min_u32_e32 v43, 32, v40
	v_subrev_u32_e32 v40, 28, v43
	v_lshlrev_b64 v[40:41], v40, v[1:2]
	v_lshrrev_b32_e32 v42, 3, v39
	v_sub_u32_e32 v41, 29, v43
	v_cmp_gt_u32_e64 s[0:1], 8, v39
	v_cndmask_b32_e64 v39, v42, v41, s[0:1]
	v_lshl_add_u32 v39, v39, 10, v20
	v_lshlrev_b32_e32 v1, 8, v1
	v_and_b32_e32 v40, 7, v40
	v_and_b32_e32 v39, 0xfc00, v39
	v_cndmask_b32_e64 v38, v38, v40, s[0:1]
	v_and_or_b32 v1, v1, s30, v39
	v_lshl_or_b32 v38, v38, 7, v1
.LBB225_252:                            ;   in Loop: Header=BB225_185 Depth=1
	s_or_b64 exec, exec, s[20:21]
.LBB225_253:                            ;   in Loop: Header=BB225_185 Depth=1
	s_or_b64 exec, exec, s[18:19]
.LBB225_254:                            ;   in Loop: Header=BB225_185 Depth=1
	s_or_b64 exec, exec, s[16:17]
	v_cmp_lt_u32_e64 s[0:1], s5, v9
	s_and_saveexec_b64 s[16:17], s[0:1]
	s_cbranch_execz .LBB225_260
; %bb.255:                              ;   in Loop: Header=BB225_185 Depth=1
	v_lshrrev_b32_e32 v1, 24, v9
	v_cmp_ne_u32_e64 s[0:1], s28, v1
	v_bfrev_b32_e32 v37, 1
	s_and_saveexec_b64 s[18:19], s[0:1]
	s_cbranch_execz .LBB225_259
; %bb.256:                              ;   in Loop: Header=BB225_185 Depth=1
	v_and_b32_e32 v39, 0x7f, v1
	v_cmp_ne_u32_e64 s[0:1], s29, v39
	v_mov_b32_e32 v37, 0x7c010000
	s_and_saveexec_b64 s[20:21], s[0:1]
	s_cbranch_execz .LBB225_258
; %bb.257:                              ;   in Loop: Header=BB225_185 Depth=1
	v_and_b32_e32 v37, 7, v1
	v_ffbh_u32_e32 v40, v37
	v_min_u32_e32 v43, 32, v40
	v_subrev_u32_e32 v40, 28, v43
	v_lshlrev_b64 v[40:41], v40, v[1:2]
	v_lshrrev_b32_e32 v42, 3, v39
	v_sub_u32_e32 v41, 29, v43
	v_cmp_gt_u32_e64 s[0:1], 8, v39
	v_cndmask_b32_e64 v39, v42, v41, s[0:1]
	v_lshlrev_b32_e32 v1, 8, v1
	v_lshl_add_u32 v39, v39, 10, v20
	v_and_b32_e32 v40, 7, v40
	v_and_or_b32 v1, v1, s30, v39
	v_cndmask_b32_e64 v37, v37, v40, s[0:1]
	v_lshlrev_b32_e32 v1, 16, v1
	v_lshl_or_b32 v37, v37, 23, v1
.LBB225_258:                            ;   in Loop: Header=BB225_185 Depth=1
	s_or_b64 exec, exec, s[20:21]
.LBB225_259:                            ;   in Loop: Header=BB225_185 Depth=1
	s_or_b64 exec, exec, s[18:19]
.LBB225_260:                            ;   in Loop: Header=BB225_185 Depth=1
	s_or_b64 exec, exec, s[16:17]
	v_mov_b32_e32 v1, v10
	v_cmp_ne_u16_sdwa s[0:1], v10, v2 src0_sel:BYTE_0 src1_sel:DWORD
	v_mov_b32_e32 v39, 0
	v_mov_b32_e32 v40, 0
	s_and_saveexec_b64 s[16:17], s[0:1]
	s_cbranch_execz .LBB225_266
; %bb.261:                              ;   in Loop: Header=BB225_185 Depth=1
	v_cmp_ne_u16_sdwa s[0:1], v10, s28 src0_sel:BYTE_0 src1_sel:DWORD
	v_mov_b32_e32 v40, 0x8000
	s_and_saveexec_b64 s[18:19], s[0:1]
	s_cbranch_execz .LBB225_265
; %bb.262:                              ;   in Loop: Header=BB225_185 Depth=1
	v_and_b32_e32 v41, 0x7f, v10
	v_cmp_ne_u32_e64 s[0:1], s29, v41
	v_mov_b32_e32 v40, 0x7c01
	s_and_saveexec_b64 s[20:21], s[0:1]
	s_cbranch_execz .LBB225_264
; %bb.263:                              ;   in Loop: Header=BB225_185 Depth=1
	v_and_b32_e32 v40, 7, v10
	v_ffbh_u32_e32 v42, v40
	v_min_u32_e32 v45, 32, v42
	v_subrev_u32_e32 v42, 28, v45
	v_lshlrev_b64 v[42:43], v42, v[1:2]
	v_lshrrev_b32_e32 v44, 3, v41
	v_sub_u32_e32 v43, 29, v45
	v_cmp_gt_u32_e64 s[0:1], 8, v41
	v_cndmask_b32_e64 v41, v44, v43, s[0:1]
	v_lshl_add_u32 v41, v41, 10, v20
	v_lshlrev_b32_e32 v43, 8, v10
	v_and_b32_e32 v42, 7, v42
	v_and_b32_e32 v41, 0xfc00, v41
	v_cndmask_b32_e64 v40, v40, v42, s[0:1]
	v_and_or_b32 v41, v43, s30, v41
	v_lshl_or_b32 v40, v40, 7, v41
.LBB225_264:                            ;   in Loop: Header=BB225_185 Depth=1
	s_or_b64 exec, exec, s[20:21]
.LBB225_265:                            ;   in Loop: Header=BB225_185 Depth=1
	s_or_b64 exec, exec, s[18:19]
.LBB225_266:                            ;   in Loop: Header=BB225_185 Depth=1
	s_or_b64 exec, exec, s[16:17]
	v_lshrrev_b16_e32 v1, 8, v1
	v_cmp_ne_u16_e64 s[0:1], 0, v1
	v_mov_b32_e32 v41, 0
	s_and_saveexec_b64 s[16:17], s[0:1]
	s_cbranch_execz .LBB225_272
; %bb.267:                              ;   in Loop: Header=BB225_185 Depth=1
	v_cmp_ne_u16_e64 s[0:1], s28, v1
	v_bfrev_b32_e32 v41, 1
	s_and_saveexec_b64 s[18:19], s[0:1]
	s_cbranch_execz .LBB225_271
; %bb.268:                              ;   in Loop: Header=BB225_185 Depth=1
	v_and_b32_e32 v42, 0x7f, v1
	v_cmp_ne_u32_e64 s[0:1], s29, v42
	v_mov_b32_e32 v41, 0x7c010000
	s_and_saveexec_b64 s[20:21], s[0:1]
	s_cbranch_execz .LBB225_270
; %bb.269:                              ;   in Loop: Header=BB225_185 Depth=1
	v_and_b32_e32 v41, 7, v1
	v_ffbh_u32_e32 v43, v41
	v_min_u32_e32 v46, 32, v43
	v_subrev_u32_e32 v43, 28, v46
	v_lshlrev_b64 v[43:44], v43, v[1:2]
	v_lshrrev_b32_e32 v45, 3, v42
	v_sub_u32_e32 v44, 29, v46
	v_cmp_gt_u32_e64 s[0:1], 8, v42
	v_cndmask_b32_e64 v42, v45, v44, s[0:1]
	v_lshlrev_b32_e32 v1, 8, v1
	v_lshl_add_u32 v42, v42, 10, v20
	v_and_b32_e32 v43, 7, v43
	v_and_or_b32 v1, v1, s30, v42
	v_cndmask_b32_e64 v41, v41, v43, s[0:1]
	v_lshlrev_b32_e32 v1, 16, v1
	v_lshl_or_b32 v41, v41, 23, v1
.LBB225_270:                            ;   in Loop: Header=BB225_185 Depth=1
	s_or_b64 exec, exec, s[20:21]
.LBB225_271:                            ;   in Loop: Header=BB225_185 Depth=1
	s_or_b64 exec, exec, s[18:19]
.LBB225_272:                            ;   in Loop: Header=BB225_185 Depth=1
	s_or_b64 exec, exec, s[16:17]
	v_lshrrev_b32_e32 v1, 16, v10
	v_cmp_ne_u16_sdwa s[0:1], v1, v2 src0_sel:BYTE_0 src1_sel:DWORD
	s_and_saveexec_b64 s[16:17], s[0:1]
	s_cbranch_execz .LBB225_278
; %bb.273:                              ;   in Loop: Header=BB225_185 Depth=1
	v_cmp_ne_u16_sdwa s[0:1], v1, s28 src0_sel:BYTE_0 src1_sel:DWORD
	v_mov_b32_e32 v39, 0x8000
	s_and_saveexec_b64 s[18:19], s[0:1]
	s_cbranch_execz .LBB225_277
; %bb.274:                              ;   in Loop: Header=BB225_185 Depth=1
	v_bfe_u32 v42, v10, 16, 7
	v_cmp_ne_u32_e64 s[0:1], s29, v42
	v_mov_b32_e32 v39, 0x7c01
	s_and_saveexec_b64 s[20:21], s[0:1]
	s_cbranch_execz .LBB225_276
; %bb.275:                              ;   in Loop: Header=BB225_185 Depth=1
	v_and_b32_e32 v39, 7, v1
	v_ffbh_u32_e32 v43, v39
	v_min_u32_e32 v46, 32, v43
	v_subrev_u32_e32 v43, 28, v46
	v_lshlrev_b64 v[43:44], v43, v[1:2]
	v_lshrrev_b32_e32 v45, 3, v42
	v_sub_u32_e32 v44, 29, v46
	v_cmp_gt_u32_e64 s[0:1], 8, v42
	v_cndmask_b32_e64 v42, v45, v44, s[0:1]
	v_lshl_add_u32 v42, v42, 10, v20
	v_lshlrev_b32_e32 v1, 8, v1
	v_and_b32_e32 v43, 7, v43
	v_and_b32_e32 v42, 0xfc00, v42
	v_cndmask_b32_e64 v39, v39, v43, s[0:1]
	v_and_or_b32 v1, v1, s30, v42
	v_lshl_or_b32 v39, v39, 7, v1
.LBB225_276:                            ;   in Loop: Header=BB225_185 Depth=1
	s_or_b64 exec, exec, s[20:21]
.LBB225_277:                            ;   in Loop: Header=BB225_185 Depth=1
	s_or_b64 exec, exec, s[18:19]
.LBB225_278:                            ;   in Loop: Header=BB225_185 Depth=1
	s_or_b64 exec, exec, s[16:17]
	v_cmp_lt_u64_e64 s[0:1], s[4:5], v[9:10]
	v_mov_b32_e32 v9, 0
	s_and_saveexec_b64 s[16:17], s[0:1]
	s_cbranch_execz .LBB225_284
; %bb.279:                              ;   in Loop: Header=BB225_185 Depth=1
	v_lshrrev_b32_e32 v1, 24, v10
	v_cmp_ne_u32_e64 s[0:1], s28, v1
	v_bfrev_b32_e32 v9, 1
	s_and_saveexec_b64 s[18:19], s[0:1]
	s_cbranch_execz .LBB225_283
; %bb.280:                              ;   in Loop: Header=BB225_185 Depth=1
	v_and_b32_e32 v10, 0x7f, v1
	v_cmp_ne_u32_e64 s[0:1], s29, v10
	v_mov_b32_e32 v9, 0x7c010000
	s_and_saveexec_b64 s[20:21], s[0:1]
	s_cbranch_execz .LBB225_282
; %bb.281:                              ;   in Loop: Header=BB225_185 Depth=1
	v_and_b32_e32 v9, 7, v1
	v_ffbh_u32_e32 v42, v9
	v_min_u32_e32 v45, 32, v42
	v_subrev_u32_e32 v42, 28, v45
	v_lshlrev_b64 v[42:43], v42, v[1:2]
	v_lshrrev_b32_e32 v44, 3, v10
	v_sub_u32_e32 v43, 29, v45
	v_cmp_gt_u32_e64 s[0:1], 8, v10
	v_cndmask_b32_e64 v10, v44, v43, s[0:1]
	v_lshlrev_b32_e32 v1, 8, v1
	v_lshl_add_u32 v10, v10, 10, v20
	v_and_b32_e32 v42, 7, v42
	v_and_or_b32 v1, v1, s30, v10
	v_cndmask_b32_e64 v9, v9, v42, s[0:1]
	v_lshlrev_b32_e32 v1, 16, v1
	v_lshl_or_b32 v9, v9, 23, v1
.LBB225_282:                            ;   in Loop: Header=BB225_185 Depth=1
	s_or_b64 exec, exec, s[20:21]
.LBB225_283:                            ;   in Loop: Header=BB225_185 Depth=1
	s_or_b64 exec, exec, s[18:19]
.LBB225_284:                            ;   in Loop: Header=BB225_185 Depth=1
	s_or_b64 exec, exec, s[16:17]
	s_waitcnt vmcnt(0)
	v_fma_mixlo_f16 v10, v34, v37, 0 op_sel:[0,1,0] op_sel_hi:[0,1,0]
	v_or_b32_e32 v1, v37, v38
	v_lshlrev_b32_e32 v37, 16, v10
	v_or_b32_e32 v10, v35, v36
	v_fma_mixlo_f16 v35, v34, v35, 0 op_sel:[0,1,0] op_sel_hi:[0,1,0]
	v_lshlrev_b32_e32 v42, 16, v35
	v_or_b32_e32 v35, v41, v40
	v_or_b32_e32 v39, v9, v39
	v_fma_mixlo_f16 v1, v34, v1, 0 op_sel_hi:[0,1,0]
	v_fma_mixlo_f16 v10, v34, v10, 0 op_sel_hi:[0,1,0]
	v_fma_mixlo_f16 v36, v34, v41, 0 op_sel:[0,1,0] op_sel_hi:[0,1,0]
	v_fma_mixlo_f16 v35, v34, v35, 0 op_sel_hi:[0,1,0]
	v_fma_mixlo_f16 v39, v34, v39, 0 op_sel_hi:[0,1,0]
	v_fma_mixlo_f16 v9, v34, v9, 0 op_sel:[0,1,0] op_sel_hi:[0,1,0]
	v_and_b32_e32 v38, 0xffff, v1
	v_and_b32_e32 v43, 0xffff, v10
	v_lshlrev_b32_e32 v36, 16, v36
	v_and_b32_e32 v40, 0xffff, v35
	v_lshlrev_b32_e32 v9, 16, v9
	v_and_b32_e32 v34, 0xffff, v39
	v_or_b32_e32 v1, v37, v38
	v_or_b32_e32 v10, v42, v43
	;; [unrolled: 1-line block ×4, first 2 shown]
	s_and_saveexec_b64 s[16:17], vcc
	s_cbranch_execz .LBB225_286
; %bb.285:                              ;   in Loop: Header=BB225_185 Depth=1
	v_cmp_gt_i32_e64 s[0:1], s33, v13
	v_cndmask_b32_e64 v1, 0, v43, s[0:1]
	v_cmp_gt_i32_e64 s[0:1], s33, v27
	v_cndmask_b32_e64 v10, 0, v42, s[0:1]
	v_cmp_gt_i32_e64 s[0:1], s33, v26
	v_or_b32_e32 v10, v10, v1
	v_cndmask_b32_e64 v1, 0, v38, s[0:1]
	v_cmp_gt_i32_e64 s[0:1], s33, v25
	v_cndmask_b32_e64 v35, 0, v37, s[0:1]
	v_cmp_gt_i32_e64 s[0:1], s33, v24
	v_or_b32_e32 v1, v35, v1
	v_cndmask_b32_e64 v35, 0, v40, s[0:1]
	v_cmp_gt_i32_e64 s[0:1], s33, v23
	v_cndmask_b32_e64 v36, 0, v36, s[0:1]
	v_cmp_gt_i32_e64 s[0:1], s33, v22
	;; [unrolled: 2-line block ×3, first 2 shown]
	v_cndmask_b32_e64 v9, 0, v9, s[0:1]
	v_or_b32_e32 v35, v36, v35
	v_or_b32_e32 v39, v9, v34
.LBB225_286:                            ;   in Loop: Header=BB225_185 Depth=1
	s_or_b64 exec, exec, s[16:17]
	;;#ASMSTART
	v_pk_mul_f16 v9, v31, v10;

	;;#ASMEND
	;;#ASMSTART
	v_pk_mul_f16 v1, v30, v1;

	;;#ASMEND
	;; [unrolled: 4-line block ×4, first 2 shown]
	;;#ASMSTART
	v_pk_add_f16 v1, v9, v1;

	;;#ASMEND
	;;#ASMSTART
	v_pk_add_f16 v1, v1, v10;

	;;#ASMEND
	;;#ASMSTART
	v_pk_add_f16 v1, v1, v34;

	;;#ASMEND
	v_lshrrev_b32_e32 v10, 16, v1
	v_and_b32_e32 v1, 0xffff, v1
	;;#ASMSTART
	v_cvt_f32_f16 v9, v1;
	;;#ASMEND
	;;#ASMSTART
	v_cvt_f32_f16 v10, v10;
	;;#ASMEND
	global_load_dwordx2 v[7:8], v[7:8], off offset:1024
	v_mov_b32_e32 v35, 0
	global_load_dword v34, v35, s[14:15]
	v_mov_b32_e32 v36, 0
	s_waitcnt vmcnt(1)
	v_cmp_ne_u16_sdwa s[0:1], v7, v2 src0_sel:BYTE_0 src1_sel:DWORD
	s_and_saveexec_b64 s[16:17], s[0:1]
	s_cbranch_execz .LBB225_292
; %bb.287:                              ;   in Loop: Header=BB225_185 Depth=1
	v_cmp_ne_u16_sdwa s[0:1], v7, s28 src0_sel:BYTE_0 src1_sel:DWORD
	v_mov_b32_e32 v36, 0x8000
	s_and_saveexec_b64 s[18:19], s[0:1]
	s_cbranch_execz .LBB225_291
; %bb.288:                              ;   in Loop: Header=BB225_185 Depth=1
	v_and_b32_e32 v1, 0x7f, v7
	v_cmp_ne_u32_e64 s[0:1], s29, v1
	v_mov_b32_e32 v36, 0x7c01
	s_and_saveexec_b64 s[20:21], s[0:1]
	s_cbranch_execz .LBB225_290
; %bb.289:                              ;   in Loop: Header=BB225_185 Depth=1
	v_and_b32_e32 v38, 7, v7
	v_ffbh_u32_e32 v36, v38
	v_min_u32_e32 v40, 32, v36
	v_subrev_u32_e32 v36, 28, v40
	v_lshlrev_b64 v[36:37], v36, v[7:8]
	v_lshrrev_b32_e32 v39, 3, v1
	v_sub_u32_e32 v37, 29, v40
	v_cmp_gt_u32_e64 s[0:1], 8, v1
	v_cndmask_b32_e64 v1, v39, v37, s[0:1]
	v_lshl_add_u32 v1, v1, 10, v20
	v_lshlrev_b32_e32 v37, 8, v7
	v_and_b32_e32 v36, 7, v36
	v_and_b32_e32 v1, 0xfc00, v1
	v_cndmask_b32_e64 v36, v38, v36, s[0:1]
	v_and_or_b32 v1, v37, s30, v1
	v_lshl_or_b32 v36, v36, 7, v1
.LBB225_290:                            ;   in Loop: Header=BB225_185 Depth=1
	s_or_b64 exec, exec, s[20:21]
.LBB225_291:                            ;   in Loop: Header=BB225_185 Depth=1
	s_or_b64 exec, exec, s[18:19]
.LBB225_292:                            ;   in Loop: Header=BB225_185 Depth=1
	s_or_b64 exec, exec, s[16:17]
	v_lshrrev_b16_e32 v1, 8, v7
	v_cmp_ne_u16_e64 s[0:1], 0, v1
	s_and_saveexec_b64 s[16:17], s[0:1]
	s_cbranch_execz .LBB225_298
; %bb.293:                              ;   in Loop: Header=BB225_185 Depth=1
	v_cmp_ne_u16_e64 s[0:1], s28, v1
	v_bfrev_b32_e32 v35, 1
	s_and_saveexec_b64 s[18:19], s[0:1]
	s_cbranch_execz .LBB225_297
; %bb.294:                              ;   in Loop: Header=BB225_185 Depth=1
	v_and_b32_e32 v37, 0x7f, v1
	v_cmp_ne_u32_e64 s[0:1], s29, v37
	v_mov_b32_e32 v35, 0x7c010000
	s_and_saveexec_b64 s[20:21], s[0:1]
	s_cbranch_execz .LBB225_296
; %bb.295:                              ;   in Loop: Header=BB225_185 Depth=1
	v_and_b32_e32 v35, 7, v1
	v_ffbh_u32_e32 v38, v35
	v_min_u32_e32 v41, 32, v38
	v_subrev_u32_e32 v38, 28, v41
	v_lshlrev_b64 v[38:39], v38, v[1:2]
	v_lshrrev_b32_e32 v40, 3, v37
	v_sub_u32_e32 v39, 29, v41
	v_cmp_gt_u32_e64 s[0:1], 8, v37
	v_cndmask_b32_e64 v37, v40, v39, s[0:1]
	v_lshlrev_b32_e32 v1, 8, v1
	v_lshl_add_u32 v37, v37, 10, v20
	v_and_b32_e32 v38, 7, v38
	v_and_or_b32 v1, v1, s30, v37
	v_cndmask_b32_e64 v35, v35, v38, s[0:1]
	v_lshlrev_b32_e32 v1, 16, v1
	v_lshl_or_b32 v35, v35, 23, v1
.LBB225_296:                            ;   in Loop: Header=BB225_185 Depth=1
	s_or_b64 exec, exec, s[20:21]
.LBB225_297:                            ;   in Loop: Header=BB225_185 Depth=1
	s_or_b64 exec, exec, s[18:19]
.LBB225_298:                            ;   in Loop: Header=BB225_185 Depth=1
	s_or_b64 exec, exec, s[16:17]
	v_lshrrev_b32_e32 v1, 16, v7
	v_cmp_ne_u16_sdwa s[0:1], v1, v2 src0_sel:BYTE_0 src1_sel:DWORD
	v_mov_b32_e32 v37, 0
	v_mov_b32_e32 v38, 0
	s_and_saveexec_b64 s[16:17], s[0:1]
	s_cbranch_execz .LBB225_304
; %bb.299:                              ;   in Loop: Header=BB225_185 Depth=1
	v_cmp_ne_u16_sdwa s[0:1], v1, s28 src0_sel:BYTE_0 src1_sel:DWORD
	v_mov_b32_e32 v38, 0x8000
	s_and_saveexec_b64 s[18:19], s[0:1]
	s_cbranch_execz .LBB225_303
; %bb.300:                              ;   in Loop: Header=BB225_185 Depth=1
	v_bfe_u32 v39, v7, 16, 7
	v_cmp_ne_u32_e64 s[0:1], s29, v39
	v_mov_b32_e32 v38, 0x7c01
	s_and_saveexec_b64 s[20:21], s[0:1]
	s_cbranch_execz .LBB225_302
; %bb.301:                              ;   in Loop: Header=BB225_185 Depth=1
	v_and_b32_e32 v38, 7, v1
	v_ffbh_u32_e32 v40, v38
	v_min_u32_e32 v43, 32, v40
	v_subrev_u32_e32 v40, 28, v43
	v_lshlrev_b64 v[40:41], v40, v[1:2]
	v_lshrrev_b32_e32 v42, 3, v39
	v_sub_u32_e32 v41, 29, v43
	v_cmp_gt_u32_e64 s[0:1], 8, v39
	v_cndmask_b32_e64 v39, v42, v41, s[0:1]
	v_lshl_add_u32 v39, v39, 10, v20
	v_lshlrev_b32_e32 v1, 8, v1
	v_and_b32_e32 v40, 7, v40
	v_and_b32_e32 v39, 0xfc00, v39
	v_cndmask_b32_e64 v38, v38, v40, s[0:1]
	v_and_or_b32 v1, v1, s30, v39
	v_lshl_or_b32 v38, v38, 7, v1
.LBB225_302:                            ;   in Loop: Header=BB225_185 Depth=1
	s_or_b64 exec, exec, s[20:21]
.LBB225_303:                            ;   in Loop: Header=BB225_185 Depth=1
	s_or_b64 exec, exec, s[18:19]
.LBB225_304:                            ;   in Loop: Header=BB225_185 Depth=1
	s_or_b64 exec, exec, s[16:17]
	v_cmp_lt_u32_e64 s[0:1], s5, v7
	s_and_saveexec_b64 s[16:17], s[0:1]
	s_cbranch_execz .LBB225_310
; %bb.305:                              ;   in Loop: Header=BB225_185 Depth=1
	v_lshrrev_b32_e32 v1, 24, v7
	v_cmp_ne_u32_e64 s[0:1], s28, v1
	v_bfrev_b32_e32 v37, 1
	s_and_saveexec_b64 s[18:19], s[0:1]
	s_cbranch_execz .LBB225_309
; %bb.306:                              ;   in Loop: Header=BB225_185 Depth=1
	v_and_b32_e32 v39, 0x7f, v1
	v_cmp_ne_u32_e64 s[0:1], s29, v39
	v_mov_b32_e32 v37, 0x7c010000
	s_and_saveexec_b64 s[20:21], s[0:1]
	s_cbranch_execz .LBB225_308
; %bb.307:                              ;   in Loop: Header=BB225_185 Depth=1
	v_and_b32_e32 v37, 7, v1
	v_ffbh_u32_e32 v40, v37
	v_min_u32_e32 v43, 32, v40
	v_subrev_u32_e32 v40, 28, v43
	v_lshlrev_b64 v[40:41], v40, v[1:2]
	v_lshrrev_b32_e32 v42, 3, v39
	v_sub_u32_e32 v41, 29, v43
	v_cmp_gt_u32_e64 s[0:1], 8, v39
	v_cndmask_b32_e64 v39, v42, v41, s[0:1]
	v_lshlrev_b32_e32 v1, 8, v1
	v_lshl_add_u32 v39, v39, 10, v20
	v_and_b32_e32 v40, 7, v40
	v_and_or_b32 v1, v1, s30, v39
	v_cndmask_b32_e64 v37, v37, v40, s[0:1]
	v_lshlrev_b32_e32 v1, 16, v1
	v_lshl_or_b32 v37, v37, 23, v1
.LBB225_308:                            ;   in Loop: Header=BB225_185 Depth=1
	s_or_b64 exec, exec, s[20:21]
.LBB225_309:                            ;   in Loop: Header=BB225_185 Depth=1
	s_or_b64 exec, exec, s[18:19]
.LBB225_310:                            ;   in Loop: Header=BB225_185 Depth=1
	s_or_b64 exec, exec, s[16:17]
	v_mov_b32_e32 v1, v8
	v_cmp_ne_u16_sdwa s[0:1], v8, v2 src0_sel:BYTE_0 src1_sel:DWORD
	v_mov_b32_e32 v39, 0
	v_mov_b32_e32 v40, 0
	s_and_saveexec_b64 s[16:17], s[0:1]
	s_cbranch_execz .LBB225_316
; %bb.311:                              ;   in Loop: Header=BB225_185 Depth=1
	v_cmp_ne_u16_sdwa s[0:1], v8, s28 src0_sel:BYTE_0 src1_sel:DWORD
	v_mov_b32_e32 v40, 0x8000
	s_and_saveexec_b64 s[18:19], s[0:1]
	s_cbranch_execz .LBB225_315
; %bb.312:                              ;   in Loop: Header=BB225_185 Depth=1
	v_and_b32_e32 v41, 0x7f, v8
	v_cmp_ne_u32_e64 s[0:1], s29, v41
	v_mov_b32_e32 v40, 0x7c01
	s_and_saveexec_b64 s[20:21], s[0:1]
	s_cbranch_execz .LBB225_314
; %bb.313:                              ;   in Loop: Header=BB225_185 Depth=1
	v_and_b32_e32 v40, 7, v8
	v_ffbh_u32_e32 v42, v40
	v_min_u32_e32 v45, 32, v42
	v_subrev_u32_e32 v42, 28, v45
	v_lshlrev_b64 v[42:43], v42, v[1:2]
	v_lshrrev_b32_e32 v44, 3, v41
	v_sub_u32_e32 v43, 29, v45
	v_cmp_gt_u32_e64 s[0:1], 8, v41
	v_cndmask_b32_e64 v41, v44, v43, s[0:1]
	v_lshl_add_u32 v41, v41, 10, v20
	v_lshlrev_b32_e32 v43, 8, v8
	v_and_b32_e32 v42, 7, v42
	v_and_b32_e32 v41, 0xfc00, v41
	v_cndmask_b32_e64 v40, v40, v42, s[0:1]
	v_and_or_b32 v41, v43, s30, v41
	v_lshl_or_b32 v40, v40, 7, v41
.LBB225_314:                            ;   in Loop: Header=BB225_185 Depth=1
	s_or_b64 exec, exec, s[20:21]
.LBB225_315:                            ;   in Loop: Header=BB225_185 Depth=1
	s_or_b64 exec, exec, s[18:19]
.LBB225_316:                            ;   in Loop: Header=BB225_185 Depth=1
	s_or_b64 exec, exec, s[16:17]
	v_lshrrev_b16_e32 v1, 8, v1
	v_cmp_ne_u16_e64 s[0:1], 0, v1
	v_mov_b32_e32 v41, 0
	s_and_saveexec_b64 s[16:17], s[0:1]
	s_cbranch_execz .LBB225_322
; %bb.317:                              ;   in Loop: Header=BB225_185 Depth=1
	v_cmp_ne_u16_e64 s[0:1], s28, v1
	v_bfrev_b32_e32 v41, 1
	s_and_saveexec_b64 s[18:19], s[0:1]
	s_cbranch_execz .LBB225_321
; %bb.318:                              ;   in Loop: Header=BB225_185 Depth=1
	v_and_b32_e32 v42, 0x7f, v1
	v_cmp_ne_u32_e64 s[0:1], s29, v42
	v_mov_b32_e32 v41, 0x7c010000
	s_and_saveexec_b64 s[20:21], s[0:1]
	s_cbranch_execz .LBB225_320
; %bb.319:                              ;   in Loop: Header=BB225_185 Depth=1
	v_and_b32_e32 v41, 7, v1
	v_ffbh_u32_e32 v43, v41
	v_min_u32_e32 v46, 32, v43
	v_subrev_u32_e32 v43, 28, v46
	v_lshlrev_b64 v[43:44], v43, v[1:2]
	v_lshrrev_b32_e32 v45, 3, v42
	v_sub_u32_e32 v44, 29, v46
	v_cmp_gt_u32_e64 s[0:1], 8, v42
	v_cndmask_b32_e64 v42, v45, v44, s[0:1]
	v_lshlrev_b32_e32 v1, 8, v1
	v_lshl_add_u32 v42, v42, 10, v20
	v_and_b32_e32 v43, 7, v43
	v_and_or_b32 v1, v1, s30, v42
	v_cndmask_b32_e64 v41, v41, v43, s[0:1]
	v_lshlrev_b32_e32 v1, 16, v1
	v_lshl_or_b32 v41, v41, 23, v1
.LBB225_320:                            ;   in Loop: Header=BB225_185 Depth=1
	s_or_b64 exec, exec, s[20:21]
.LBB225_321:                            ;   in Loop: Header=BB225_185 Depth=1
	s_or_b64 exec, exec, s[18:19]
.LBB225_322:                            ;   in Loop: Header=BB225_185 Depth=1
	s_or_b64 exec, exec, s[16:17]
	v_lshrrev_b32_e32 v1, 16, v8
	v_cmp_ne_u16_sdwa s[0:1], v1, v2 src0_sel:BYTE_0 src1_sel:DWORD
	s_and_saveexec_b64 s[16:17], s[0:1]
	s_cbranch_execz .LBB225_328
; %bb.323:                              ;   in Loop: Header=BB225_185 Depth=1
	v_cmp_ne_u16_sdwa s[0:1], v1, s28 src0_sel:BYTE_0 src1_sel:DWORD
	v_mov_b32_e32 v39, 0x8000
	s_and_saveexec_b64 s[18:19], s[0:1]
	s_cbranch_execz .LBB225_327
; %bb.324:                              ;   in Loop: Header=BB225_185 Depth=1
	v_bfe_u32 v42, v8, 16, 7
	v_cmp_ne_u32_e64 s[0:1], s29, v42
	v_mov_b32_e32 v39, 0x7c01
	s_and_saveexec_b64 s[20:21], s[0:1]
	s_cbranch_execz .LBB225_326
; %bb.325:                              ;   in Loop: Header=BB225_185 Depth=1
	v_and_b32_e32 v39, 7, v1
	v_ffbh_u32_e32 v43, v39
	v_min_u32_e32 v46, 32, v43
	v_subrev_u32_e32 v43, 28, v46
	v_lshlrev_b64 v[43:44], v43, v[1:2]
	v_lshrrev_b32_e32 v45, 3, v42
	v_sub_u32_e32 v44, 29, v46
	v_cmp_gt_u32_e64 s[0:1], 8, v42
	v_cndmask_b32_e64 v42, v45, v44, s[0:1]
	v_lshl_add_u32 v42, v42, 10, v20
	v_lshlrev_b32_e32 v1, 8, v1
	v_and_b32_e32 v43, 7, v43
	v_and_b32_e32 v42, 0xfc00, v42
	v_cndmask_b32_e64 v39, v39, v43, s[0:1]
	v_and_or_b32 v1, v1, s30, v42
	v_lshl_or_b32 v39, v39, 7, v1
.LBB225_326:                            ;   in Loop: Header=BB225_185 Depth=1
	s_or_b64 exec, exec, s[20:21]
.LBB225_327:                            ;   in Loop: Header=BB225_185 Depth=1
	s_or_b64 exec, exec, s[18:19]
.LBB225_328:                            ;   in Loop: Header=BB225_185 Depth=1
	s_or_b64 exec, exec, s[16:17]
	v_cmp_lt_u64_e64 s[0:1], s[4:5], v[7:8]
	v_mov_b32_e32 v42, 0
	s_and_saveexec_b64 s[16:17], s[0:1]
	s_cbranch_execz .LBB225_334
; %bb.329:                              ;   in Loop: Header=BB225_185 Depth=1
	v_lshrrev_b32_e32 v1, 24, v8
	v_cmp_ne_u32_e64 s[0:1], s28, v1
	v_bfrev_b32_e32 v42, 1
	s_and_saveexec_b64 s[18:19], s[0:1]
	s_cbranch_execz .LBB225_333
; %bb.330:                              ;   in Loop: Header=BB225_185 Depth=1
	v_and_b32_e32 v7, 0x7f, v1
	v_cmp_ne_u32_e64 s[0:1], s29, v7
	v_mov_b32_e32 v42, 0x7c010000
	s_and_saveexec_b64 s[20:21], s[0:1]
	s_cbranch_execz .LBB225_332
; %bb.331:                              ;   in Loop: Header=BB225_185 Depth=1
	v_and_b32_e32 v8, 7, v1
	v_ffbh_u32_e32 v42, v8
	v_min_u32_e32 v45, 32, v42
	v_subrev_u32_e32 v42, 28, v45
	v_lshlrev_b64 v[42:43], v42, v[1:2]
	v_lshrrev_b32_e32 v44, 3, v7
	v_sub_u32_e32 v43, 29, v45
	v_cmp_gt_u32_e64 s[0:1], 8, v7
	v_cndmask_b32_e64 v7, v44, v43, s[0:1]
	v_lshlrev_b32_e32 v1, 8, v1
	v_lshl_add_u32 v7, v7, 10, v20
	v_and_b32_e32 v42, 7, v42
	v_and_or_b32 v1, v1, s30, v7
	v_cndmask_b32_e64 v8, v8, v42, s[0:1]
	v_lshlrev_b32_e32 v1, 16, v1
	v_lshl_or_b32 v42, v8, 23, v1
.LBB225_332:                            ;   in Loop: Header=BB225_185 Depth=1
	s_or_b64 exec, exec, s[20:21]
.LBB225_333:                            ;   in Loop: Header=BB225_185 Depth=1
	s_or_b64 exec, exec, s[18:19]
.LBB225_334:                            ;   in Loop: Header=BB225_185 Depth=1
	s_or_b64 exec, exec, s[16:17]
	s_waitcnt vmcnt(0)
	v_fma_mixlo_f16 v7, v34, v37, 0 op_sel:[0,1,0] op_sel_hi:[0,1,0]
	v_fma_mixlo_f16 v8, v34, v35, 0 op_sel:[0,1,0] op_sel_hi:[0,1,0]
	v_or_b32_e32 v1, v37, v38
	v_lshlrev_b32_e32 v37, 16, v7
	v_or_b32_e32 v7, v35, v36
	v_lshlrev_b32_e32 v43, 16, v8
	v_or_b32_e32 v8, v41, v40
	v_or_b32_e32 v36, v42, v39
	v_fma_mixlo_f16 v1, v34, v1, 0 op_sel_hi:[0,1,0]
	v_fma_mixlo_f16 v7, v34, v7, 0 op_sel_hi:[0,1,0]
	v_fma_mixlo_f16 v35, v34, v41, 0 op_sel:[0,1,0] op_sel_hi:[0,1,0]
	v_fma_mixlo_f16 v8, v34, v8, 0 op_sel_hi:[0,1,0]
	v_fma_mixlo_f16 v39, v34, v36, 0 op_sel_hi:[0,1,0]
	v_fma_mixlo_f16 v34, v34, v42, 0 op_sel:[0,1,0] op_sel_hi:[0,1,0]
	v_and_b32_e32 v38, 0xffff, v1
	v_and_b32_e32 v44, 0xffff, v7
	v_lshlrev_b32_e32 v35, 16, v35
	v_and_b32_e32 v40, 0xffff, v8
	v_lshlrev_b32_e32 v36, 16, v34
	v_and_b32_e32 v39, 0xffff, v39
	v_or_b32_e32 v1, v37, v38
	v_or_b32_e32 v7, v43, v44
	;; [unrolled: 1-line block ×4, first 2 shown]
	s_and_saveexec_b64 s[0:1], vcc
	s_cbranch_execz .LBB225_183
; %bb.335:                              ;   in Loop: Header=BB225_185 Depth=1
	v_cmp_gt_i32_e32 vcc, s33, v13
	v_cndmask_b32_e32 v1, 0, v44, vcc
	v_cmp_gt_i32_e32 vcc, s33, v27
	v_cndmask_b32_e32 v7, 0, v43, vcc
	v_cmp_gt_i32_e32 vcc, s33, v26
	v_or_b32_e32 v7, v7, v1
	v_cndmask_b32_e32 v1, 0, v38, vcc
	v_cmp_gt_i32_e32 vcc, s33, v25
	v_cndmask_b32_e32 v8, 0, v37, vcc
	v_cmp_gt_i32_e32 vcc, s33, v24
	v_or_b32_e32 v1, v8, v1
	v_cndmask_b32_e32 v8, 0, v40, vcc
	v_cmp_gt_i32_e32 vcc, s33, v23
	v_cndmask_b32_e32 v23, 0, v35, vcc
	v_cmp_gt_i32_e32 vcc, s33, v22
	;; [unrolled: 2-line block ×3, first 2 shown]
	v_cndmask_b32_e32 v21, 0, v36, vcc
	v_or_b32_e32 v8, v23, v8
	v_or_b32_e32 v34, v21, v22
	s_branch .LBB225_183
.LBB225_336:
	s_or_b64 exec, exec, s[6:7]
.LBB225_337:
	s_or_b64 exec, exec, s[2:3]
	v_and_b32_e32 v1, 0x3c0, v0
	v_cmp_eq_u32_e32 vcc, 64, v1
	s_barrier
	s_and_saveexec_b64 s[0:1], vcc
	s_cbranch_execz .LBB225_339
; %bb.338:
	v_mov_b32_e32 v1, 0x190
	v_lshl_add_u32 v1, v14, 2, v1
	ds_write2st64_b32 v1, v17, v16 offset1:1
	ds_write_b32 v1, v15 offset:512
.LBB225_339:
	s_or_b64 exec, exec, s[0:1]
	v_cmp_gt_u32_e32 vcc, 64, v0
	s_waitcnt lgkmcnt(0)
	s_barrier
	s_and_saveexec_b64 s[0:1], vcc
	s_cbranch_execz .LBB225_341
; %bb.340:
	v_mov_b32_e32 v1, 0x190
	v_lshl_add_u32 v2, v0, 2, v1
	ds_read2st64_b32 v[0:1], v2 offset1:1
	ds_read_b32 v2, v2 offset:512
	s_waitcnt lgkmcnt(1)
	v_add_f32_e32 v17, v17, v0
	v_add_f32_e32 v16, v16, v1
	s_waitcnt lgkmcnt(0)
	v_add_f32_e32 v15, v15, v2
.LBB225_341:
	s_or_b64 exec, exec, s[0:1]
	s_barrier
	s_and_saveexec_b64 s[0:1], vcc
	s_cbranch_execz .LBB225_343
; %bb.342:
	s_mul_i32 s0, s10, s11
	s_mul_i32 s0, s0, s9
	s_mulk_i32 s0, 0xc0
	s_ashr_i32 s1, s0, 31
	s_lshl_b64 s[0:1], s[0:1], 1
	s_add_u32 s2, s26, s0
	s_mul_i32 s0, s11, s24
	s_addc_u32 s3, s27, s1
	s_ashr_i32 s1, s0, 31
	s_lshl_b64 s[0:1], s[0:1], 1
	s_add_u32 s2, s2, s0
	s_mul_i32 s0, s8, 0xc0
	s_addc_u32 s3, s3, s1
	s_ashr_i32 s1, s0, 31
	s_lshl_b64 s[0:1], s[0:1], 1
	s_add_u32 s0, s2, s0
	s_addc_u32 s1, s3, s1
	;;#ASMSTART
	v_cvt_f16_f32 v0, v17;

	;;#ASMEND
	global_store_short v11, v0, s[0:1]
	;;#ASMSTART
	v_cvt_f16_f32 v0, v16;

	;;#ASMEND
	global_store_short v11, v0, s[0:1] offset:128
	;;#ASMSTART
	v_cvt_f16_f32 v0, v15;

	;;#ASMEND
	global_store_short v11, v0, s[0:1] offset:256
.LBB225_343:
	s_endpgm
	.section	.rodata,"a",@progbits
	.p2align	6, 0x0
	.amdhsa_kernel _ZN4vllm25paged_attention_v1_kernelIthLi192ELi8ELi128ELNS_18Fp8KVCacheDataTypeE1ELb1EEEvPT_PKS2_PKT0_S8_ifPKiSA_iPKfiiiSC_SC_iiiii
		.amdhsa_group_segment_fixed_size 400
		.amdhsa_private_segment_fixed_size 0
		.amdhsa_kernarg_size 384
		.amdhsa_user_sgpr_count 6
		.amdhsa_user_sgpr_private_segment_buffer 1
		.amdhsa_user_sgpr_dispatch_ptr 0
		.amdhsa_user_sgpr_queue_ptr 0
		.amdhsa_user_sgpr_kernarg_segment_ptr 1
		.amdhsa_user_sgpr_dispatch_id 0
		.amdhsa_user_sgpr_flat_scratch_init 0
		.amdhsa_user_sgpr_private_segment_size 0
		.amdhsa_uses_dynamic_stack 0
		.amdhsa_system_sgpr_private_segment_wavefront_offset 0
		.amdhsa_system_sgpr_workgroup_id_x 1
		.amdhsa_system_sgpr_workgroup_id_y 1
		.amdhsa_system_sgpr_workgroup_id_z 1
		.amdhsa_system_sgpr_workgroup_info 0
		.amdhsa_system_vgpr_workitem_id 0
		.amdhsa_next_free_vgpr 56
		.amdhsa_next_free_sgpr 54
		.amdhsa_reserve_vcc 1
		.amdhsa_reserve_flat_scratch 0
		.amdhsa_float_round_mode_32 0
		.amdhsa_float_round_mode_16_64 0
		.amdhsa_float_denorm_mode_32 3
		.amdhsa_float_denorm_mode_16_64 3
		.amdhsa_dx10_clamp 1
		.amdhsa_ieee_mode 1
		.amdhsa_fp16_overflow 0
		.amdhsa_exception_fp_ieee_invalid_op 0
		.amdhsa_exception_fp_denorm_src 0
		.amdhsa_exception_fp_ieee_div_zero 0
		.amdhsa_exception_fp_ieee_overflow 0
		.amdhsa_exception_fp_ieee_underflow 0
		.amdhsa_exception_fp_ieee_inexact 0
		.amdhsa_exception_int_div_zero 0
	.end_amdhsa_kernel
	.section	.text._ZN4vllm25paged_attention_v1_kernelIthLi192ELi8ELi128ELNS_18Fp8KVCacheDataTypeE1ELb1EEEvPT_PKS2_PKT0_S8_ifPKiSA_iPKfiiiSC_SC_iiiii,"axG",@progbits,_ZN4vllm25paged_attention_v1_kernelIthLi192ELi8ELi128ELNS_18Fp8KVCacheDataTypeE1ELb1EEEvPT_PKS2_PKT0_S8_ifPKiSA_iPKfiiiSC_SC_iiiii,comdat
.Lfunc_end225:
	.size	_ZN4vllm25paged_attention_v1_kernelIthLi192ELi8ELi128ELNS_18Fp8KVCacheDataTypeE1ELb1EEEvPT_PKS2_PKT0_S8_ifPKiSA_iPKfiiiSC_SC_iiiii, .Lfunc_end225-_ZN4vllm25paged_attention_v1_kernelIthLi192ELi8ELi128ELNS_18Fp8KVCacheDataTypeE1ELb1EEEvPT_PKS2_PKT0_S8_ifPKiSA_iPKfiiiSC_SC_iiiii
                                        ; -- End function
	.set _ZN4vllm25paged_attention_v1_kernelIthLi192ELi8ELi128ELNS_18Fp8KVCacheDataTypeE1ELb1EEEvPT_PKS2_PKT0_S8_ifPKiSA_iPKfiiiSC_SC_iiiii.num_vgpr, 56
	.set _ZN4vllm25paged_attention_v1_kernelIthLi192ELi8ELi128ELNS_18Fp8KVCacheDataTypeE1ELb1EEEvPT_PKS2_PKT0_S8_ifPKiSA_iPKfiiiSC_SC_iiiii.num_agpr, 0
	.set _ZN4vllm25paged_attention_v1_kernelIthLi192ELi8ELi128ELNS_18Fp8KVCacheDataTypeE1ELb1EEEvPT_PKS2_PKT0_S8_ifPKiSA_iPKfiiiSC_SC_iiiii.numbered_sgpr, 54
	.set _ZN4vllm25paged_attention_v1_kernelIthLi192ELi8ELi128ELNS_18Fp8KVCacheDataTypeE1ELb1EEEvPT_PKS2_PKT0_S8_ifPKiSA_iPKfiiiSC_SC_iiiii.num_named_barrier, 0
	.set _ZN4vllm25paged_attention_v1_kernelIthLi192ELi8ELi128ELNS_18Fp8KVCacheDataTypeE1ELb1EEEvPT_PKS2_PKT0_S8_ifPKiSA_iPKfiiiSC_SC_iiiii.private_seg_size, 0
	.set _ZN4vllm25paged_attention_v1_kernelIthLi192ELi8ELi128ELNS_18Fp8KVCacheDataTypeE1ELb1EEEvPT_PKS2_PKT0_S8_ifPKiSA_iPKfiiiSC_SC_iiiii.uses_vcc, 1
	.set _ZN4vllm25paged_attention_v1_kernelIthLi192ELi8ELi128ELNS_18Fp8KVCacheDataTypeE1ELb1EEEvPT_PKS2_PKT0_S8_ifPKiSA_iPKfiiiSC_SC_iiiii.uses_flat_scratch, 0
	.set _ZN4vllm25paged_attention_v1_kernelIthLi192ELi8ELi128ELNS_18Fp8KVCacheDataTypeE1ELb1EEEvPT_PKS2_PKT0_S8_ifPKiSA_iPKfiiiSC_SC_iiiii.has_dyn_sized_stack, 0
	.set _ZN4vllm25paged_attention_v1_kernelIthLi192ELi8ELi128ELNS_18Fp8KVCacheDataTypeE1ELb1EEEvPT_PKS2_PKT0_S8_ifPKiSA_iPKfiiiSC_SC_iiiii.has_recursion, 0
	.set _ZN4vllm25paged_attention_v1_kernelIthLi192ELi8ELi128ELNS_18Fp8KVCacheDataTypeE1ELb1EEEvPT_PKS2_PKT0_S8_ifPKiSA_iPKfiiiSC_SC_iiiii.has_indirect_call, 0
	.section	.AMDGPU.csdata,"",@progbits
; Kernel info:
; codeLenInByte = 14616
; TotalNumSgprs: 58
; NumVgprs: 56
; ScratchSize: 0
; MemoryBound: 0
; FloatMode: 240
; IeeeMode: 1
; LDSByteSize: 400 bytes/workgroup (compile time only)
; SGPRBlocks: 7
; VGPRBlocks: 13
; NumSGPRsForWavesPerEU: 58
; NumVGPRsForWavesPerEU: 56
; Occupancy: 4
; WaveLimiterHint : 1
; COMPUTE_PGM_RSRC2:SCRATCH_EN: 0
; COMPUTE_PGM_RSRC2:USER_SGPR: 6
; COMPUTE_PGM_RSRC2:TRAP_HANDLER: 0
; COMPUTE_PGM_RSRC2:TGID_X_EN: 1
; COMPUTE_PGM_RSRC2:TGID_Y_EN: 1
; COMPUTE_PGM_RSRC2:TGID_Z_EN: 1
; COMPUTE_PGM_RSRC2:TIDIG_COMP_CNT: 0
	.section	.text._ZN4vllm25paged_attention_v1_kernelIthLi256ELi8ELi128ELNS_18Fp8KVCacheDataTypeE1ELb1EEEvPT_PKS2_PKT0_S8_ifPKiSA_iPKfiiiSC_SC_iiiii,"axG",@progbits,_ZN4vllm25paged_attention_v1_kernelIthLi256ELi8ELi128ELNS_18Fp8KVCacheDataTypeE1ELb1EEEvPT_PKS2_PKT0_S8_ifPKiSA_iPKfiiiSC_SC_iiiii,comdat
	.protected	_ZN4vllm25paged_attention_v1_kernelIthLi256ELi8ELi128ELNS_18Fp8KVCacheDataTypeE1ELb1EEEvPT_PKS2_PKT0_S8_ifPKiSA_iPKfiiiSC_SC_iiiii ; -- Begin function _ZN4vllm25paged_attention_v1_kernelIthLi256ELi8ELi128ELNS_18Fp8KVCacheDataTypeE1ELb1EEEvPT_PKS2_PKT0_S8_ifPKiSA_iPKfiiiSC_SC_iiiii
	.globl	_ZN4vllm25paged_attention_v1_kernelIthLi256ELi8ELi128ELNS_18Fp8KVCacheDataTypeE1ELb1EEEvPT_PKS2_PKT0_S8_ifPKiSA_iPKfiiiSC_SC_iiiii
	.p2align	8
	.type	_ZN4vllm25paged_attention_v1_kernelIthLi256ELi8ELi128ELNS_18Fp8KVCacheDataTypeE1ELb1EEEvPT_PKS2_PKT0_S8_ifPKiSA_iPKfiiiSC_SC_iiiii,@function
_ZN4vllm25paged_attention_v1_kernelIthLi256ELi8ELi128ELNS_18Fp8KVCacheDataTypeE1ELb1EEEvPT_PKS2_PKT0_S8_ifPKiSA_iPKfiiiSC_SC_iiiii: ; @_ZN4vllm25paged_attention_v1_kernelIthLi256ELi8ELi128ELNS_18Fp8KVCacheDataTypeE1ELb1EEEvPT_PKS2_PKT0_S8_ifPKiSA_iPKfiiiSC_SC_iiiii
; %bb.0:
	s_load_dword s9, s[4:5], 0x80
	s_load_dwordx2 s[0:1], s[4:5], 0x30
	s_load_dwordx2 s[36:37], s[4:5], 0x20
	s_mov_b32 s10, s7
	s_ashr_i32 s11, s7, 31
	s_lshl_b64 s[2:3], s[10:11], 2
	s_waitcnt lgkmcnt(0)
	s_add_u32 s0, s0, s2
	s_addc_u32 s1, s1, s3
	s_abs_i32 s2, s36
	v_cvt_f32_u32_e32 v1, s2
	s_sub_i32 s11, 0, s2
	s_abs_i32 s7, s9
	s_xor_b32 s3, s9, s36
	v_rcp_iflag_f32_e32 v1, v1
	s_ashr_i32 s3, s3, 31
	s_mov_b32 s48, 0
	v_mul_f32_e32 v1, 0x4f7ffffe, v1
	v_cvt_u32_f32_e32 v1, v1
	v_readfirstlane_b32 s12, v1
	s_mul_i32 s11, s11, s12
	s_mul_hi_u32 s11, s12, s11
	s_add_i32 s12, s12, s11
	s_mul_hi_u32 s11, s7, s12
	s_mul_i32 s12, s11, s2
	s_sub_i32 s7, s7, s12
	s_add_i32 s12, s11, 1
	s_sub_i32 s13, s7, s2
	s_cmp_ge_u32 s7, s2
	s_cselect_b32 s11, s12, s11
	s_cselect_b32 s7, s13, s7
	s_add_i32 s12, s11, 1
	s_cmp_ge_u32 s7, s2
	s_cselect_b32 s2, s12, s11
	s_xor_b32 s2, s2, s3
	s_sub_i32 s11, s2, s3
	s_abs_i32 s12, s11
	v_cvt_f32_u32_e32 v1, s12
	s_load_dwordx2 s[2:3], s[4:5], 0x40
	s_sub_i32 s7, 0, s12
	s_abs_i32 s13, s6
	v_rcp_iflag_f32_e32 v1, v1
	v_mul_f32_e32 v1, 0x4f7ffffe, v1
	v_cvt_u32_f32_e32 v1, v1
	v_readfirstlane_b32 s14, v1
	s_mul_i32 s7, s7, s14
	s_mul_hi_u32 s7, s14, s7
	s_add_i32 s14, s14, s7
	s_waitcnt lgkmcnt(0)
	s_cmp_eq_u64 s[2:3], 0
	s_mul_hi_u32 s14, s13, s14
	s_cbranch_scc1 .LBB226_2
; %bb.1:
	s_ashr_i32 s7, s6, 31
	s_lshl_b64 s[16:17], s[6:7], 2
	s_add_u32 s2, s2, s16
	s_addc_u32 s3, s3, s17
	s_load_dword s48, s[2:3], 0x0
.LBB226_2:
	s_load_dword s33, s[0:1], 0x0
	s_ashr_i32 s15, s11, 31
	s_load_dword s11, s[4:5], 0x88
	s_load_dwordx4 s[16:19], s[4:5], 0x48
	s_movk_i32 s0, 0x100
	s_ashr_i32 s7, s6, 31
	v_and_b32_e32 v1, 7, v0
	s_lshl_b32 s24, s6, 8
	v_cmp_gt_u32_e32 vcc, s0, v0
	v_lshlrev_b32_e32 v11, 1, v0
	s_and_saveexec_b64 s[0:1], vcc
	s_cbranch_execz .LBB226_5
; %bb.3:
	s_load_dwordx2 s[2:3], s[4:5], 0x8
	s_waitcnt lgkmcnt(0)
	s_mul_i32 s20, s16, s10
	s_ashr_i32 s21, s20, 31
	s_lshl_b64 s[20:21], s[20:21], 1
	v_lshrrev_b32_e32 v2, 3, v0
	s_add_u32 s16, s2, s20
	s_addc_u32 s19, s3, s21
	s_ashr_i32 s25, s24, 31
	s_lshl_b64 s[2:3], s[24:25], 1
	s_add_u32 s2, s16, s2
	s_addc_u32 s3, s19, s3
	global_load_ushort v4, v11, s[2:3]
	s_movk_i32 s16, 0x80
	v_lshlrev_b32_e32 v3, 1, v2
	v_lshl_add_u32 v3, v1, 6, v3
	v_cmp_gt_u32_e32 vcc, s16, v0
	s_waitcnt vmcnt(0)
	ds_write_b16 v3, v4
	s_and_b64 exec, exec, vcc
	s_cbranch_execz .LBB226_5
; %bb.4:
	v_lshlrev_b32_e32 v2, 4, v2
	v_lshlrev_b32_e32 v4, 1, v1
	s_movk_i32 s16, 0x100
	v_or3_b32 v2, v2, v4, s16
	global_load_ushort v2, v2, s[2:3]
	s_waitcnt vmcnt(0)
	ds_write_b16 v3, v2 offset:32
.LBB226_5:
	s_or_b64 exec, exec, s[0:1]
	s_mul_i32 s1, s14, s12
	s_sub_i32 s1, s13, s1
	s_xor_b32 s0, s7, s15
	s_add_i32 s2, s14, 1
	s_sub_i32 s7, s1, s12
	s_load_dwordx4 s[20:23], s[4:5], 0x68
	s_load_dword s3, s[4:5], 0x78
	s_cmp_ge_u32 s1, s12
	s_cselect_b32 s2, s2, s14
	s_cselect_b32 s1, s7, s1
	s_add_i32 s7, s2, 1
	s_cmp_ge_u32 s1, s12
	s_cselect_b32 s1, s7, s2
	s_waitcnt lgkmcnt(0)
	s_abs_i32 s25, s23
	v_cvt_f32_u32_e32 v2, s25
	s_xor_b32 s1, s1, s0
	s_sub_i32 s2, s1, s0
	s_sub_i32 s0, 0, s25
	v_rcp_iflag_f32_e32 v2, v2
	s_add_i32 s12, s33, -1
	s_abs_i32 s7, s12
	v_mul_f32_e32 v2, 0x4f7ffffe, v2
	v_cvt_u32_f32_e32 v2, v2
	s_barrier
	v_readfirstlane_b32 s46, v2
	s_mul_i32 s0, s0, s46
	s_mul_hi_u32 s0, s46, s0
	s_add_i32 s46, s46, s0
	s_cmp_lt_i32 s3, 0
	s_mul_hi_u32 s16, s7, s46
	s_cbranch_scc0 .LBB226_7
; %bb.6:
	s_mul_i32 s0, s20, s36
	s_add_i32 s0, s2, s0
	s_mul_i32 s0, s0, s3
	s_sub_i32 s36, 1, s0
	s_mov_b64 s[0:1], 0
	s_branch .LBB226_8
.LBB226_7:
	s_mov_b64 s[0:1], -1
                                        ; implicit-def: $sgpr36
.LBB226_8:
	s_load_dwordx2 s[28:29], s[4:5], 0x28
	s_ashr_i32 s19, s12, 31
	s_andn2_b64 vcc, exec, s[0:1]
	s_ashr_i32 s23, s23, 31
	s_cbranch_vccnz .LBB226_10
; %bb.9:
	s_mul_i32 s0, s9, s20
	s_add_i32 s0, s0, s6
	s_mul_i32 s0, s0, s3
	s_add_i32 s36, s0, 1
.LBB226_10:
	s_load_dword s0, s[4:5], 0x38
	s_load_dwordx2 s[26:27], s[4:5], 0x0
	s_load_dwordx2 s[34:35], s[4:5], 0x18
	s_load_dwordx4 s[12:15], s[4:5], 0x58
	s_xor_b32 s1, s19, s23
	s_waitcnt lgkmcnt(0)
	s_mul_i32 s30, s0, s10
	s_mul_i32 s0, s16, s25
	s_sub_i32 s0, s7, s0
	s_ashr_i32 s31, s30, 31
	s_add_i32 s3, s16, 1
	s_sub_i32 s6, s0, s25
	s_cmp_ge_u32 s0, s25
	s_cselect_b32 s3, s3, s16
	s_cselect_b32 s0, s6, s0
	s_add_i32 s6, s3, 1
	s_cmp_ge_u32 s0, s25
	s_cselect_b32 s0, s6, s3
	s_xor_b32 s0, s0, s1
	s_sub_i32 s16, s0, s1
	s_add_i32 s0, s33, 7
	s_ashr_i32 s1, s0, 31
	s_lshr_b32 s1, s1, 29
	s_add_i32 s0, s0, s1
	s_ashr_i32 s47, s0, 3
	v_lshrrev_b32_e32 v12, 6, v0
	v_cmp_gt_i32_e64 s[0:1], s47, v12
	v_mov_b32_e32 v16, 0xff7fffff
	s_mul_i32 s20, s2, s18
	v_lshrrev_b32_e32 v8, 4, v0
	v_lshlrev_b32_e32 v13, 3, v12
	v_mbcnt_lo_u32_b32 v9, -1, 0
	s_and_saveexec_b64 s[18:19], s[0:1]
	s_cbranch_execz .LBB226_214
; %bb.11:
	s_load_dwordx2 s[2:3], s[4:5], 0x10
	s_sub_i32 s49, s16, s21
	s_ashr_i32 s4, s20, 31
	v_bfe_u32 v10, v0, 3, 3
	v_lshlrev_b32_e32 v4, 4, v10
	s_waitcnt lgkmcnt(0)
	s_add_u32 s5, s2, s20
	s_addc_u32 s4, s3, s4
	s_abs_i32 s50, s22
	v_cvt_f32_u32_e32 v2, s50
	s_sub_i32 s2, 0, s50
	v_mov_b32_e32 v5, s4
	v_add_co_u32_e64 v4, s[4:5], s5, v4
	v_rcp_iflag_f32_e32 v2, v2
	v_addc_co_u32_e64 v5, s[4:5], 0, v5, s[4:5]
	v_cmp_eq_u32_e32 vcc, 0, v1
	v_mul_f32_e32 v2, 0x4f7ffffe, v2
	v_cvt_u32_f32_e32 v2, v2
	v_lshlrev_b32_e32 v15, 6, v1
	v_add_co_u32_e64 v1, s[4:5], v4, v1
	v_mul_lo_u32 v3, s2, v2
	s_mov_b32 s51, s17
	v_mov_b32_e32 v14, 0
	v_cmp_neq_f32_e64 s[2:3], s48, 0
	v_mul_hi_u32 v3, v2, v3
	v_lshlrev_b32_e32 v18, 3, v12
	v_mov_b32_e32 v21, 0xff7fffff
	s_mov_b64 s[38:39], 0
	v_add_u32_e32 v17, v2, v3
	v_addc_co_u32_e64 v2, s[4:5], 0, v5, s[4:5]
	s_lshl_b64 s[4:5], s[30:31], 2
	s_add_u32 s4, s28, s4
	v_subrev_u32_e32 v5, s33, v10
	v_and_b32_e32 v3, 60, v8
	s_addc_u32 s5, s29, s5
	v_add_u32_e32 v19, 1, v5
	v_lshlrev_b32_e32 v5, 2, v10
	v_mov_b32_e32 v4, s5
	v_add_co_u32_e64 v3, s[4:5], s4, v3
	v_lshl_or_b32 v5, v12, 5, v5
	v_addc_co_u32_e64 v4, s[4:5], 0, v4, s[4:5]
	v_add_u32_e32 v20, 0x210, v5
	s_movk_i32 s52, 0x80
	s_movk_i32 s53, 0x7f
	v_bfrev_b32_e32 v22, 60
	v_mbcnt_hi_u32_b32 v23, -1, v9
	v_mov_b32_e32 v16, 0xff7fffff
	v_mov_b32_e32 v24, v12
	s_branch .LBB226_14
.LBB226_12:                             ;   in Loop: Header=BB226_14 Depth=1
	s_or_b64 exec, exec, s[40:41]
.LBB226_13:                             ;   in Loop: Header=BB226_14 Depth=1
	s_or_b64 exec, exec, s[6:7]
	v_add_co_u32_e64 v3, s[4:5], 8, v3
	v_add_u32_e32 v24, 2, v24
	v_addc_co_u32_e64 v4, s[4:5], 0, v4, s[4:5]
	v_cmp_le_i32_e64 s[4:5], s47, v24
	v_add_u32_e32 v18, 16, v18
	s_or_b64 s[38:39], s[4:5], s[38:39]
	v_add_u32_e32 v20, 64, v20
	s_andn2_b64 exec, exec, s[38:39]
	s_cbranch_execz .LBB226_213
.LBB226_14:                             ; =>This Inner Loop Header: Depth=1
	v_mul_hi_u32 v5, v18, s46
	s_waitcnt lgkmcnt(0)
	v_mul_lo_u32 v6, v5, s25
	v_add_u32_e32 v7, 1, v5
	v_sub_u32_e32 v6, v18, v6
	v_cmp_le_u32_e64 s[4:5], s25, v6
	v_cndmask_b32_e64 v5, v5, v7, s[4:5]
	v_subrev_u32_e32 v7, s25, v6
	v_cndmask_b32_e64 v6, v6, v7, s[4:5]
	v_add_u32_e32 v7, 1, v5
	v_cmp_le_u32_e64 s[4:5], s25, v6
	v_cndmask_b32_e64 v5, v5, v7, s[4:5]
	v_xor_b32_e32 v5, s23, v5
	v_subrev_u32_e32 v5, s23, v5
	v_add_u32_e32 v6, s36, v5
	v_sub_u32_e32 v7, 0, v6
	v_max_i32_e32 v7, v6, v7
	v_mul_hi_u32 v25, v7, v17
	v_ashrrev_i32_e32 v6, 31, v6
	v_cmp_ge_i32_e64 s[6:7], s49, v5
	v_mul_lo_u32 v25, v25, s50
	v_sub_u32_e32 v7, v7, v25
	v_subrev_u32_e32 v25, s50, v7
	v_cmp_le_u32_e64 s[4:5], s50, v7
	v_cndmask_b32_e64 v7, v7, v25, s[4:5]
	v_subrev_u32_e32 v25, s50, v7
	v_cmp_le_u32_e64 s[4:5], s50, v7
	v_cndmask_b32_e64 v7, v7, v25, s[4:5]
	v_xor_b32_e32 v7, v7, v6
	v_sub_u32_e32 v6, v7, v6
	v_cmp_ne_u32_e64 s[4:5], 0, v6
	s_and_b64 s[4:5], s[4:5], s[6:7]
	s_and_saveexec_b64 s[6:7], s[4:5]
	s_xor_b64 s[4:5], exec, s[6:7]
	s_cbranch_execz .LBB226_18
; %bb.15:                               ;   in Loop: Header=BB226_14 Depth=1
	s_and_saveexec_b64 s[6:7], vcc
; %bb.16:                               ;   in Loop: Header=BB226_14 Depth=1
	ds_write_b32 v20, v21
; %bb.17:                               ;   in Loop: Header=BB226_14 Depth=1
	s_or_b64 exec, exec, s[6:7]
.LBB226_18:                             ;   in Loop: Header=BB226_14 Depth=1
	s_andn2_saveexec_b64 s[6:7], s[4:5]
	s_cbranch_execz .LBB226_13
; %bb.19:                               ;   in Loop: Header=BB226_14 Depth=1
	global_load_dword v5, v[3:4], off
	v_mov_b32_e32 v26, 0
	v_mov_b32_e32 v27, 0
	s_waitcnt vmcnt(0)
	v_mad_i64_i32 v[5:6], s[4:5], v5, s51, v[1:2]
	global_load_ubyte v28, v[5:6], off
	global_load_dword v25, v14, s[12:13]
	s_waitcnt vmcnt(1)
	v_cmp_ne_u16_e64 s[4:5], 0, v28
	s_and_saveexec_b64 s[40:41], s[4:5]
	s_cbranch_execz .LBB226_25
; %bb.20:                               ;   in Loop: Header=BB226_14 Depth=1
	v_cmp_ne_u16_e64 s[4:5], s52, v28
	v_bfrev_b32_e32 v27, 1
	s_and_saveexec_b64 s[42:43], s[4:5]
	s_cbranch_execz .LBB226_24
; %bb.21:                               ;   in Loop: Header=BB226_14 Depth=1
	v_and_b32_e32 v7, 0xffff, v28
	v_and_b32_e32 v29, 0x7f, v7
	v_cmp_ne_u32_e64 s[4:5], s53, v29
	v_mov_b32_e32 v27, 0x7f800001
	s_and_saveexec_b64 s[44:45], s[4:5]
	s_cbranch_execz .LBB226_23
; %bb.22:                               ;   in Loop: Header=BB226_14 Depth=1
	v_and_b32_e32 v27, 7, v7
	v_ffbh_u32_e32 v30, v27
	v_min_u32_e32 v33, 32, v30
	v_subrev_u32_e32 v30, 28, v33
	v_lshlrev_b64 v[30:31], v30, v[7:8]
	v_lshrrev_b32_e32 v32, 3, v29
	v_sub_u32_e32 v7, 29, v33
	v_and_b32_e32 v30, 7, v30
	v_cmp_gt_u32_e64 s[4:5], 8, v29
	v_cndmask_b32_e64 v7, v32, v7, s[4:5]
	v_cndmask_b32_e64 v27, v27, v30, s[4:5]
	v_lshlrev_b32_e32 v28, 24, v28
	v_lshlrev_b32_e32 v27, 20, v27
	v_and_b32_e32 v28, 0x80000000, v28
	v_lshl_add_u32 v7, v7, 23, v22
	v_or3_b32 v27, v28, v7, v27
.LBB226_23:                             ;   in Loop: Header=BB226_14 Depth=1
	s_or_b64 exec, exec, s[44:45]
.LBB226_24:                             ;   in Loop: Header=BB226_14 Depth=1
	s_or_b64 exec, exec, s[42:43]
.LBB226_25:                             ;   in Loop: Header=BB226_14 Depth=1
	s_or_b64 exec, exec, s[40:41]
	global_load_ubyte v28, v[5:6], off offset:8
	s_waitcnt vmcnt(0)
	v_cmp_ne_u16_e64 s[4:5], 0, v28
	s_and_saveexec_b64 s[40:41], s[4:5]
	s_cbranch_execz .LBB226_31
; %bb.26:                               ;   in Loop: Header=BB226_14 Depth=1
	v_cmp_ne_u16_e64 s[4:5], s52, v28
	v_bfrev_b32_e32 v26, 1
	s_and_saveexec_b64 s[42:43], s[4:5]
	s_cbranch_execz .LBB226_30
; %bb.27:                               ;   in Loop: Header=BB226_14 Depth=1
	v_and_b32_e32 v7, 0xffff, v28
	v_and_b32_e32 v29, 0x7f, v7
	v_cmp_ne_u32_e64 s[4:5], s53, v29
	v_mov_b32_e32 v26, 0x7f800001
	s_and_saveexec_b64 s[44:45], s[4:5]
	s_cbranch_execz .LBB226_29
; %bb.28:                               ;   in Loop: Header=BB226_14 Depth=1
	v_and_b32_e32 v26, 7, v7
	v_ffbh_u32_e32 v30, v26
	v_min_u32_e32 v33, 32, v30
	v_subrev_u32_e32 v30, 28, v33
	v_lshlrev_b64 v[30:31], v30, v[7:8]
	v_lshrrev_b32_e32 v32, 3, v29
	v_sub_u32_e32 v7, 29, v33
	v_and_b32_e32 v30, 7, v30
	v_cmp_gt_u32_e64 s[4:5], 8, v29
	v_cndmask_b32_e64 v7, v32, v7, s[4:5]
	v_cndmask_b32_e64 v26, v26, v30, s[4:5]
	v_lshlrev_b32_e32 v28, 24, v28
	v_lshlrev_b32_e32 v26, 20, v26
	v_and_b32_e32 v28, 0x80000000, v28
	v_lshl_add_u32 v7, v7, 23, v22
	v_or3_b32 v26, v28, v7, v26
.LBB226_29:                             ;   in Loop: Header=BB226_14 Depth=1
	s_or_b64 exec, exec, s[44:45]
.LBB226_30:                             ;   in Loop: Header=BB226_14 Depth=1
	s_or_b64 exec, exec, s[42:43]
.LBB226_31:                             ;   in Loop: Header=BB226_14 Depth=1
	s_or_b64 exec, exec, s[40:41]
	global_load_ubyte v30, v[5:6], off offset:128
	v_mov_b32_e32 v28, 0
	v_mov_b32_e32 v29, 0
	s_waitcnt vmcnt(0)
	v_cmp_ne_u16_e64 s[4:5], 0, v30
	s_and_saveexec_b64 s[40:41], s[4:5]
	s_cbranch_execz .LBB226_37
; %bb.32:                               ;   in Loop: Header=BB226_14 Depth=1
	v_cmp_ne_u16_e64 s[4:5], s52, v30
	v_bfrev_b32_e32 v29, 1
	s_and_saveexec_b64 s[42:43], s[4:5]
	s_cbranch_execz .LBB226_36
; %bb.33:                               ;   in Loop: Header=BB226_14 Depth=1
	v_and_b32_e32 v7, 0xffff, v30
	v_and_b32_e32 v31, 0x7f, v7
	v_cmp_ne_u32_e64 s[4:5], s53, v31
	v_mov_b32_e32 v29, 0x7f800001
	s_and_saveexec_b64 s[44:45], s[4:5]
	s_cbranch_execz .LBB226_35
; %bb.34:                               ;   in Loop: Header=BB226_14 Depth=1
	v_and_b32_e32 v29, 7, v7
	v_ffbh_u32_e32 v32, v29
	v_min_u32_e32 v35, 32, v32
	v_subrev_u32_e32 v32, 28, v35
	v_lshlrev_b64 v[32:33], v32, v[7:8]
	v_lshrrev_b32_e32 v34, 3, v31
	v_sub_u32_e32 v7, 29, v35
	v_and_b32_e32 v32, 7, v32
	v_cmp_gt_u32_e64 s[4:5], 8, v31
	v_cndmask_b32_e64 v7, v34, v7, s[4:5]
	v_cndmask_b32_e64 v29, v29, v32, s[4:5]
	v_lshlrev_b32_e32 v30, 24, v30
	v_lshlrev_b32_e32 v29, 20, v29
	v_and_b32_e32 v30, 0x80000000, v30
	v_lshl_add_u32 v7, v7, 23, v22
	v_or3_b32 v29, v30, v7, v29
.LBB226_35:                             ;   in Loop: Header=BB226_14 Depth=1
	s_or_b64 exec, exec, s[44:45]
.LBB226_36:                             ;   in Loop: Header=BB226_14 Depth=1
	s_or_b64 exec, exec, s[42:43]
.LBB226_37:                             ;   in Loop: Header=BB226_14 Depth=1
	s_or_b64 exec, exec, s[40:41]
	global_load_ubyte v30, v[5:6], off offset:136
	s_waitcnt vmcnt(0)
	v_cmp_ne_u16_e64 s[4:5], 0, v30
	s_and_saveexec_b64 s[40:41], s[4:5]
	s_cbranch_execz .LBB226_43
; %bb.38:                               ;   in Loop: Header=BB226_14 Depth=1
	v_cmp_ne_u16_e64 s[4:5], s52, v30
	v_bfrev_b32_e32 v28, 1
	s_and_saveexec_b64 s[42:43], s[4:5]
	s_cbranch_execz .LBB226_42
; %bb.39:                               ;   in Loop: Header=BB226_14 Depth=1
	v_and_b32_e32 v7, 0xffff, v30
	v_and_b32_e32 v31, 0x7f, v7
	v_cmp_ne_u32_e64 s[4:5], s53, v31
	v_mov_b32_e32 v28, 0x7f800001
	s_and_saveexec_b64 s[44:45], s[4:5]
	s_cbranch_execz .LBB226_41
; %bb.40:                               ;   in Loop: Header=BB226_14 Depth=1
	v_and_b32_e32 v28, 7, v7
	v_ffbh_u32_e32 v32, v28
	v_min_u32_e32 v35, 32, v32
	v_subrev_u32_e32 v32, 28, v35
	v_lshlrev_b64 v[32:33], v32, v[7:8]
	v_lshrrev_b32_e32 v34, 3, v31
	v_sub_u32_e32 v7, 29, v35
	v_and_b32_e32 v32, 7, v32
	v_cmp_gt_u32_e64 s[4:5], 8, v31
	v_cndmask_b32_e64 v7, v34, v7, s[4:5]
	v_cndmask_b32_e64 v28, v28, v32, s[4:5]
	v_lshlrev_b32_e32 v30, 24, v30
	v_lshlrev_b32_e32 v28, 20, v28
	v_and_b32_e32 v30, 0x80000000, v30
	v_lshl_add_u32 v7, v7, 23, v22
	v_or3_b32 v28, v30, v7, v28
.LBB226_41:                             ;   in Loop: Header=BB226_14 Depth=1
	s_or_b64 exec, exec, s[44:45]
.LBB226_42:                             ;   in Loop: Header=BB226_14 Depth=1
	s_or_b64 exec, exec, s[42:43]
.LBB226_43:                             ;   in Loop: Header=BB226_14 Depth=1
	s_or_b64 exec, exec, s[40:41]
	global_load_ubyte v32, v[5:6], off offset:256
	v_mov_b32_e32 v30, 0
	v_mov_b32_e32 v31, 0
	s_waitcnt vmcnt(0)
	v_cmp_ne_u16_e64 s[4:5], 0, v32
	s_and_saveexec_b64 s[40:41], s[4:5]
	s_cbranch_execz .LBB226_49
; %bb.44:                               ;   in Loop: Header=BB226_14 Depth=1
	v_cmp_ne_u16_e64 s[4:5], s52, v32
	v_bfrev_b32_e32 v31, 1
	s_and_saveexec_b64 s[42:43], s[4:5]
	s_cbranch_execz .LBB226_48
; %bb.45:                               ;   in Loop: Header=BB226_14 Depth=1
	v_and_b32_e32 v7, 0xffff, v32
	v_and_b32_e32 v33, 0x7f, v7
	v_cmp_ne_u32_e64 s[4:5], s53, v33
	v_mov_b32_e32 v31, 0x7f800001
	s_and_saveexec_b64 s[44:45], s[4:5]
	s_cbranch_execz .LBB226_47
; %bb.46:                               ;   in Loop: Header=BB226_14 Depth=1
	v_and_b32_e32 v31, 7, v7
	v_ffbh_u32_e32 v34, v31
	v_min_u32_e32 v37, 32, v34
	v_subrev_u32_e32 v34, 28, v37
	v_lshlrev_b64 v[34:35], v34, v[7:8]
	v_lshrrev_b32_e32 v36, 3, v33
	v_sub_u32_e32 v7, 29, v37
	v_and_b32_e32 v34, 7, v34
	v_cmp_gt_u32_e64 s[4:5], 8, v33
	v_cndmask_b32_e64 v7, v36, v7, s[4:5]
	v_cndmask_b32_e64 v31, v31, v34, s[4:5]
	v_lshlrev_b32_e32 v32, 24, v32
	v_lshlrev_b32_e32 v31, 20, v31
	v_and_b32_e32 v32, 0x80000000, v32
	v_lshl_add_u32 v7, v7, 23, v22
	v_or3_b32 v31, v32, v7, v31
.LBB226_47:                             ;   in Loop: Header=BB226_14 Depth=1
	s_or_b64 exec, exec, s[44:45]
.LBB226_48:                             ;   in Loop: Header=BB226_14 Depth=1
	s_or_b64 exec, exec, s[42:43]
.LBB226_49:                             ;   in Loop: Header=BB226_14 Depth=1
	s_or_b64 exec, exec, s[40:41]
	global_load_ubyte v32, v[5:6], off offset:264
	s_waitcnt vmcnt(0)
	v_cmp_ne_u16_e64 s[4:5], 0, v32
	s_and_saveexec_b64 s[40:41], s[4:5]
	s_cbranch_execz .LBB226_55
; %bb.50:                               ;   in Loop: Header=BB226_14 Depth=1
	v_cmp_ne_u16_e64 s[4:5], s52, v32
	v_bfrev_b32_e32 v30, 1
	s_and_saveexec_b64 s[42:43], s[4:5]
	s_cbranch_execz .LBB226_54
; %bb.51:                               ;   in Loop: Header=BB226_14 Depth=1
	v_and_b32_e32 v7, 0xffff, v32
	v_and_b32_e32 v33, 0x7f, v7
	v_cmp_ne_u32_e64 s[4:5], s53, v33
	v_mov_b32_e32 v30, 0x7f800001
	s_and_saveexec_b64 s[44:45], s[4:5]
	s_cbranch_execz .LBB226_53
; %bb.52:                               ;   in Loop: Header=BB226_14 Depth=1
	v_and_b32_e32 v30, 7, v7
	v_ffbh_u32_e32 v34, v30
	v_min_u32_e32 v37, 32, v34
	v_subrev_u32_e32 v34, 28, v37
	v_lshlrev_b64 v[34:35], v34, v[7:8]
	v_lshrrev_b32_e32 v36, 3, v33
	v_sub_u32_e32 v7, 29, v37
	v_and_b32_e32 v34, 7, v34
	v_cmp_gt_u32_e64 s[4:5], 8, v33
	v_cndmask_b32_e64 v7, v36, v7, s[4:5]
	v_cndmask_b32_e64 v30, v30, v34, s[4:5]
	v_lshlrev_b32_e32 v32, 24, v32
	v_lshlrev_b32_e32 v30, 20, v30
	v_and_b32_e32 v32, 0x80000000, v32
	v_lshl_add_u32 v7, v7, 23, v22
	v_or3_b32 v30, v32, v7, v30
.LBB226_53:                             ;   in Loop: Header=BB226_14 Depth=1
	s_or_b64 exec, exec, s[44:45]
.LBB226_54:                             ;   in Loop: Header=BB226_14 Depth=1
	s_or_b64 exec, exec, s[42:43]
.LBB226_55:                             ;   in Loop: Header=BB226_14 Depth=1
	s_or_b64 exec, exec, s[40:41]
	global_load_ubyte v34, v[5:6], off offset:384
	v_mov_b32_e32 v32, 0
	v_mov_b32_e32 v33, 0
	s_waitcnt vmcnt(0)
	v_cmp_ne_u16_e64 s[4:5], 0, v34
	s_and_saveexec_b64 s[40:41], s[4:5]
	s_cbranch_execz .LBB226_61
; %bb.56:                               ;   in Loop: Header=BB226_14 Depth=1
	v_cmp_ne_u16_e64 s[4:5], s52, v34
	v_bfrev_b32_e32 v33, 1
	s_and_saveexec_b64 s[42:43], s[4:5]
	s_cbranch_execz .LBB226_60
; %bb.57:                               ;   in Loop: Header=BB226_14 Depth=1
	v_and_b32_e32 v7, 0xffff, v34
	v_and_b32_e32 v35, 0x7f, v7
	v_cmp_ne_u32_e64 s[4:5], s53, v35
	v_mov_b32_e32 v33, 0x7f800001
	s_and_saveexec_b64 s[44:45], s[4:5]
	s_cbranch_execz .LBB226_59
; %bb.58:                               ;   in Loop: Header=BB226_14 Depth=1
	v_and_b32_e32 v33, 7, v7
	v_ffbh_u32_e32 v36, v33
	v_min_u32_e32 v39, 32, v36
	v_subrev_u32_e32 v36, 28, v39
	v_lshlrev_b64 v[36:37], v36, v[7:8]
	v_lshrrev_b32_e32 v38, 3, v35
	v_sub_u32_e32 v7, 29, v39
	v_and_b32_e32 v36, 7, v36
	v_cmp_gt_u32_e64 s[4:5], 8, v35
	v_cndmask_b32_e64 v7, v38, v7, s[4:5]
	v_cndmask_b32_e64 v33, v33, v36, s[4:5]
	v_lshlrev_b32_e32 v34, 24, v34
	v_lshlrev_b32_e32 v33, 20, v33
	v_and_b32_e32 v34, 0x80000000, v34
	v_lshl_add_u32 v7, v7, 23, v22
	v_or3_b32 v33, v34, v7, v33
.LBB226_59:                             ;   in Loop: Header=BB226_14 Depth=1
	s_or_b64 exec, exec, s[44:45]
.LBB226_60:                             ;   in Loop: Header=BB226_14 Depth=1
	s_or_b64 exec, exec, s[42:43]
.LBB226_61:                             ;   in Loop: Header=BB226_14 Depth=1
	s_or_b64 exec, exec, s[40:41]
	global_load_ubyte v34, v[5:6], off offset:392
	s_waitcnt vmcnt(0)
	v_cmp_ne_u16_e64 s[4:5], 0, v34
	s_and_saveexec_b64 s[40:41], s[4:5]
	s_cbranch_execz .LBB226_67
; %bb.62:                               ;   in Loop: Header=BB226_14 Depth=1
	v_cmp_ne_u16_e64 s[4:5], s52, v34
	v_bfrev_b32_e32 v32, 1
	s_and_saveexec_b64 s[42:43], s[4:5]
	s_cbranch_execz .LBB226_66
; %bb.63:                               ;   in Loop: Header=BB226_14 Depth=1
	v_and_b32_e32 v7, 0xffff, v34
	v_and_b32_e32 v35, 0x7f, v7
	v_cmp_ne_u32_e64 s[4:5], s53, v35
	v_mov_b32_e32 v32, 0x7f800001
	s_and_saveexec_b64 s[44:45], s[4:5]
	s_cbranch_execz .LBB226_65
; %bb.64:                               ;   in Loop: Header=BB226_14 Depth=1
	v_and_b32_e32 v32, 7, v7
	v_ffbh_u32_e32 v36, v32
	v_min_u32_e32 v39, 32, v36
	v_subrev_u32_e32 v36, 28, v39
	v_lshlrev_b64 v[36:37], v36, v[7:8]
	v_lshrrev_b32_e32 v38, 3, v35
	v_sub_u32_e32 v7, 29, v39
	v_and_b32_e32 v36, 7, v36
	v_cmp_gt_u32_e64 s[4:5], 8, v35
	v_cndmask_b32_e64 v7, v38, v7, s[4:5]
	v_cndmask_b32_e64 v32, v32, v36, s[4:5]
	v_lshlrev_b32_e32 v34, 24, v34
	v_lshlrev_b32_e32 v32, 20, v32
	v_and_b32_e32 v34, 0x80000000, v34
	v_lshl_add_u32 v7, v7, 23, v22
	v_or3_b32 v32, v34, v7, v32
.LBB226_65:                             ;   in Loop: Header=BB226_14 Depth=1
	s_or_b64 exec, exec, s[44:45]
.LBB226_66:                             ;   in Loop: Header=BB226_14 Depth=1
	s_or_b64 exec, exec, s[42:43]
.LBB226_67:                             ;   in Loop: Header=BB226_14 Depth=1
	s_or_b64 exec, exec, s[40:41]
	global_load_ubyte v36, v[5:6], off offset:512
	v_mov_b32_e32 v34, 0
	v_mov_b32_e32 v35, 0
	s_waitcnt vmcnt(0)
	v_cmp_ne_u16_e64 s[4:5], 0, v36
	s_and_saveexec_b64 s[40:41], s[4:5]
	s_cbranch_execz .LBB226_73
; %bb.68:                               ;   in Loop: Header=BB226_14 Depth=1
	v_cmp_ne_u16_e64 s[4:5], s52, v36
	v_bfrev_b32_e32 v35, 1
	s_and_saveexec_b64 s[42:43], s[4:5]
	s_cbranch_execz .LBB226_72
; %bb.69:                               ;   in Loop: Header=BB226_14 Depth=1
	v_and_b32_e32 v7, 0xffff, v36
	v_and_b32_e32 v37, 0x7f, v7
	v_cmp_ne_u32_e64 s[4:5], s53, v37
	v_mov_b32_e32 v35, 0x7f800001
	s_and_saveexec_b64 s[44:45], s[4:5]
	s_cbranch_execz .LBB226_71
; %bb.70:                               ;   in Loop: Header=BB226_14 Depth=1
	v_and_b32_e32 v35, 7, v7
	v_ffbh_u32_e32 v38, v35
	v_min_u32_e32 v41, 32, v38
	v_subrev_u32_e32 v38, 28, v41
	v_lshlrev_b64 v[38:39], v38, v[7:8]
	v_lshrrev_b32_e32 v40, 3, v37
	v_sub_u32_e32 v7, 29, v41
	v_and_b32_e32 v38, 7, v38
	v_cmp_gt_u32_e64 s[4:5], 8, v37
	v_cndmask_b32_e64 v7, v40, v7, s[4:5]
	v_cndmask_b32_e64 v35, v35, v38, s[4:5]
	v_lshlrev_b32_e32 v36, 24, v36
	v_lshlrev_b32_e32 v35, 20, v35
	v_and_b32_e32 v36, 0x80000000, v36
	v_lshl_add_u32 v7, v7, 23, v22
	v_or3_b32 v35, v36, v7, v35
.LBB226_71:                             ;   in Loop: Header=BB226_14 Depth=1
	s_or_b64 exec, exec, s[44:45]
.LBB226_72:                             ;   in Loop: Header=BB226_14 Depth=1
	s_or_b64 exec, exec, s[42:43]
.LBB226_73:                             ;   in Loop: Header=BB226_14 Depth=1
	s_or_b64 exec, exec, s[40:41]
	global_load_ubyte v36, v[5:6], off offset:520
	s_waitcnt vmcnt(0)
	v_cmp_ne_u16_e64 s[4:5], 0, v36
	s_and_saveexec_b64 s[40:41], s[4:5]
	s_cbranch_execz .LBB226_79
; %bb.74:                               ;   in Loop: Header=BB226_14 Depth=1
	v_cmp_ne_u16_e64 s[4:5], s52, v36
	v_bfrev_b32_e32 v34, 1
	s_and_saveexec_b64 s[42:43], s[4:5]
	s_cbranch_execz .LBB226_78
; %bb.75:                               ;   in Loop: Header=BB226_14 Depth=1
	v_and_b32_e32 v7, 0xffff, v36
	v_and_b32_e32 v37, 0x7f, v7
	v_cmp_ne_u32_e64 s[4:5], s53, v37
	v_mov_b32_e32 v34, 0x7f800001
	s_and_saveexec_b64 s[44:45], s[4:5]
	s_cbranch_execz .LBB226_77
; %bb.76:                               ;   in Loop: Header=BB226_14 Depth=1
	v_and_b32_e32 v34, 7, v7
	v_ffbh_u32_e32 v38, v34
	v_min_u32_e32 v41, 32, v38
	v_subrev_u32_e32 v38, 28, v41
	v_lshlrev_b64 v[38:39], v38, v[7:8]
	v_lshrrev_b32_e32 v40, 3, v37
	v_sub_u32_e32 v7, 29, v41
	v_and_b32_e32 v38, 7, v38
	v_cmp_gt_u32_e64 s[4:5], 8, v37
	v_cndmask_b32_e64 v7, v40, v7, s[4:5]
	v_cndmask_b32_e64 v34, v34, v38, s[4:5]
	v_lshlrev_b32_e32 v36, 24, v36
	v_lshlrev_b32_e32 v34, 20, v34
	v_and_b32_e32 v36, 0x80000000, v36
	v_lshl_add_u32 v7, v7, 23, v22
	v_or3_b32 v34, v36, v7, v34
.LBB226_77:                             ;   in Loop: Header=BB226_14 Depth=1
	s_or_b64 exec, exec, s[44:45]
.LBB226_78:                             ;   in Loop: Header=BB226_14 Depth=1
	s_or_b64 exec, exec, s[42:43]
.LBB226_79:                             ;   in Loop: Header=BB226_14 Depth=1
	s_or_b64 exec, exec, s[40:41]
	global_load_ubyte v38, v[5:6], off offset:640
	v_mov_b32_e32 v36, 0
	v_mov_b32_e32 v37, 0
	s_waitcnt vmcnt(0)
	v_cmp_ne_u16_e64 s[4:5], 0, v38
	s_and_saveexec_b64 s[40:41], s[4:5]
	s_cbranch_execz .LBB226_85
; %bb.80:                               ;   in Loop: Header=BB226_14 Depth=1
	v_cmp_ne_u16_e64 s[4:5], s52, v38
	v_bfrev_b32_e32 v37, 1
	s_and_saveexec_b64 s[42:43], s[4:5]
	s_cbranch_execz .LBB226_84
; %bb.81:                               ;   in Loop: Header=BB226_14 Depth=1
	v_and_b32_e32 v7, 0xffff, v38
	v_and_b32_e32 v39, 0x7f, v7
	v_cmp_ne_u32_e64 s[4:5], s53, v39
	v_mov_b32_e32 v37, 0x7f800001
	s_and_saveexec_b64 s[44:45], s[4:5]
	s_cbranch_execz .LBB226_83
; %bb.82:                               ;   in Loop: Header=BB226_14 Depth=1
	v_and_b32_e32 v37, 7, v7
	v_ffbh_u32_e32 v40, v37
	v_min_u32_e32 v43, 32, v40
	v_subrev_u32_e32 v40, 28, v43
	v_lshlrev_b64 v[40:41], v40, v[7:8]
	v_lshrrev_b32_e32 v42, 3, v39
	v_sub_u32_e32 v7, 29, v43
	v_and_b32_e32 v40, 7, v40
	v_cmp_gt_u32_e64 s[4:5], 8, v39
	v_cndmask_b32_e64 v7, v42, v7, s[4:5]
	v_cndmask_b32_e64 v37, v37, v40, s[4:5]
	v_lshlrev_b32_e32 v38, 24, v38
	v_lshlrev_b32_e32 v37, 20, v37
	v_and_b32_e32 v38, 0x80000000, v38
	v_lshl_add_u32 v7, v7, 23, v22
	v_or3_b32 v37, v38, v7, v37
.LBB226_83:                             ;   in Loop: Header=BB226_14 Depth=1
	s_or_b64 exec, exec, s[44:45]
.LBB226_84:                             ;   in Loop: Header=BB226_14 Depth=1
	s_or_b64 exec, exec, s[42:43]
.LBB226_85:                             ;   in Loop: Header=BB226_14 Depth=1
	s_or_b64 exec, exec, s[40:41]
	global_load_ubyte v38, v[5:6], off offset:648
	s_waitcnt vmcnt(0)
	v_cmp_ne_u16_e64 s[4:5], 0, v38
	s_and_saveexec_b64 s[40:41], s[4:5]
	s_cbranch_execz .LBB226_91
; %bb.86:                               ;   in Loop: Header=BB226_14 Depth=1
	v_cmp_ne_u16_e64 s[4:5], s52, v38
	v_bfrev_b32_e32 v36, 1
	s_and_saveexec_b64 s[42:43], s[4:5]
	s_cbranch_execz .LBB226_90
; %bb.87:                               ;   in Loop: Header=BB226_14 Depth=1
	v_and_b32_e32 v7, 0xffff, v38
	v_and_b32_e32 v39, 0x7f, v7
	v_cmp_ne_u32_e64 s[4:5], s53, v39
	v_mov_b32_e32 v36, 0x7f800001
	s_and_saveexec_b64 s[44:45], s[4:5]
	s_cbranch_execz .LBB226_89
; %bb.88:                               ;   in Loop: Header=BB226_14 Depth=1
	v_and_b32_e32 v36, 7, v7
	v_ffbh_u32_e32 v40, v36
	v_min_u32_e32 v43, 32, v40
	v_subrev_u32_e32 v40, 28, v43
	v_lshlrev_b64 v[40:41], v40, v[7:8]
	v_lshrrev_b32_e32 v42, 3, v39
	v_sub_u32_e32 v7, 29, v43
	v_and_b32_e32 v40, 7, v40
	v_cmp_gt_u32_e64 s[4:5], 8, v39
	v_cndmask_b32_e64 v7, v42, v7, s[4:5]
	v_cndmask_b32_e64 v36, v36, v40, s[4:5]
	v_lshlrev_b32_e32 v38, 24, v38
	v_lshlrev_b32_e32 v36, 20, v36
	v_and_b32_e32 v38, 0x80000000, v38
	v_lshl_add_u32 v7, v7, 23, v22
	v_or3_b32 v36, v38, v7, v36
.LBB226_89:                             ;   in Loop: Header=BB226_14 Depth=1
	s_or_b64 exec, exec, s[44:45]
.LBB226_90:                             ;   in Loop: Header=BB226_14 Depth=1
	s_or_b64 exec, exec, s[42:43]
.LBB226_91:                             ;   in Loop: Header=BB226_14 Depth=1
	s_or_b64 exec, exec, s[40:41]
	global_load_ubyte v40, v[5:6], off offset:768
	v_mov_b32_e32 v38, 0
	v_mov_b32_e32 v39, 0
	s_waitcnt vmcnt(0)
	v_cmp_ne_u16_e64 s[4:5], 0, v40
	s_and_saveexec_b64 s[40:41], s[4:5]
	s_cbranch_execz .LBB226_97
; %bb.92:                               ;   in Loop: Header=BB226_14 Depth=1
	v_cmp_ne_u16_e64 s[4:5], s52, v40
	v_bfrev_b32_e32 v39, 1
	s_and_saveexec_b64 s[42:43], s[4:5]
	s_cbranch_execz .LBB226_96
; %bb.93:                               ;   in Loop: Header=BB226_14 Depth=1
	v_and_b32_e32 v7, 0xffff, v40
	v_and_b32_e32 v41, 0x7f, v7
	v_cmp_ne_u32_e64 s[4:5], s53, v41
	v_mov_b32_e32 v39, 0x7f800001
	s_and_saveexec_b64 s[44:45], s[4:5]
	s_cbranch_execz .LBB226_95
; %bb.94:                               ;   in Loop: Header=BB226_14 Depth=1
	v_and_b32_e32 v39, 7, v7
	v_ffbh_u32_e32 v42, v39
	v_min_u32_e32 v45, 32, v42
	v_subrev_u32_e32 v42, 28, v45
	v_lshlrev_b64 v[42:43], v42, v[7:8]
	v_lshrrev_b32_e32 v44, 3, v41
	v_sub_u32_e32 v7, 29, v45
	v_and_b32_e32 v42, 7, v42
	v_cmp_gt_u32_e64 s[4:5], 8, v41
	v_cndmask_b32_e64 v7, v44, v7, s[4:5]
	v_cndmask_b32_e64 v39, v39, v42, s[4:5]
	v_lshlrev_b32_e32 v40, 24, v40
	v_lshlrev_b32_e32 v39, 20, v39
	v_and_b32_e32 v40, 0x80000000, v40
	v_lshl_add_u32 v7, v7, 23, v22
	v_or3_b32 v39, v40, v7, v39
.LBB226_95:                             ;   in Loop: Header=BB226_14 Depth=1
	s_or_b64 exec, exec, s[44:45]
.LBB226_96:                             ;   in Loop: Header=BB226_14 Depth=1
	s_or_b64 exec, exec, s[42:43]
.LBB226_97:                             ;   in Loop: Header=BB226_14 Depth=1
	s_or_b64 exec, exec, s[40:41]
	global_load_ubyte v40, v[5:6], off offset:776
	s_waitcnt vmcnt(0)
	v_cmp_ne_u16_e64 s[4:5], 0, v40
	s_and_saveexec_b64 s[40:41], s[4:5]
	s_cbranch_execz .LBB226_103
; %bb.98:                               ;   in Loop: Header=BB226_14 Depth=1
	v_cmp_ne_u16_e64 s[4:5], s52, v40
	v_bfrev_b32_e32 v38, 1
	s_and_saveexec_b64 s[42:43], s[4:5]
	s_cbranch_execz .LBB226_102
; %bb.99:                               ;   in Loop: Header=BB226_14 Depth=1
	v_and_b32_e32 v7, 0xffff, v40
	v_and_b32_e32 v41, 0x7f, v7
	v_cmp_ne_u32_e64 s[4:5], s53, v41
	v_mov_b32_e32 v38, 0x7f800001
	s_and_saveexec_b64 s[44:45], s[4:5]
	s_cbranch_execz .LBB226_101
; %bb.100:                              ;   in Loop: Header=BB226_14 Depth=1
	v_and_b32_e32 v38, 7, v7
	v_ffbh_u32_e32 v42, v38
	v_min_u32_e32 v45, 32, v42
	v_subrev_u32_e32 v42, 28, v45
	v_lshlrev_b64 v[42:43], v42, v[7:8]
	v_lshrrev_b32_e32 v44, 3, v41
	v_sub_u32_e32 v7, 29, v45
	v_and_b32_e32 v42, 7, v42
	v_cmp_gt_u32_e64 s[4:5], 8, v41
	v_cndmask_b32_e64 v7, v44, v7, s[4:5]
	v_cndmask_b32_e64 v38, v38, v42, s[4:5]
	v_lshlrev_b32_e32 v40, 24, v40
	v_lshlrev_b32_e32 v38, 20, v38
	v_and_b32_e32 v40, 0x80000000, v40
	v_lshl_add_u32 v7, v7, 23, v22
	v_or3_b32 v38, v40, v7, v38
.LBB226_101:                            ;   in Loop: Header=BB226_14 Depth=1
	s_or_b64 exec, exec, s[44:45]
.LBB226_102:                            ;   in Loop: Header=BB226_14 Depth=1
	s_or_b64 exec, exec, s[42:43]
.LBB226_103:                            ;   in Loop: Header=BB226_14 Depth=1
	s_or_b64 exec, exec, s[40:41]
	global_load_ubyte v42, v[5:6], off offset:896
	v_mov_b32_e32 v40, 0
	v_mov_b32_e32 v41, 0
	s_waitcnt vmcnt(0)
	v_cmp_ne_u16_e64 s[4:5], 0, v42
	s_and_saveexec_b64 s[40:41], s[4:5]
	s_cbranch_execz .LBB226_109
; %bb.104:                              ;   in Loop: Header=BB226_14 Depth=1
	v_cmp_ne_u16_e64 s[4:5], s52, v42
	v_bfrev_b32_e32 v41, 1
	s_and_saveexec_b64 s[42:43], s[4:5]
	s_cbranch_execz .LBB226_108
; %bb.105:                              ;   in Loop: Header=BB226_14 Depth=1
	v_and_b32_e32 v7, 0xffff, v42
	v_and_b32_e32 v43, 0x7f, v7
	v_cmp_ne_u32_e64 s[4:5], s53, v43
	v_mov_b32_e32 v41, 0x7f800001
	s_and_saveexec_b64 s[44:45], s[4:5]
	s_cbranch_execz .LBB226_107
; %bb.106:                              ;   in Loop: Header=BB226_14 Depth=1
	v_and_b32_e32 v41, 7, v7
	v_ffbh_u32_e32 v44, v41
	v_min_u32_e32 v47, 32, v44
	v_subrev_u32_e32 v44, 28, v47
	v_lshlrev_b64 v[44:45], v44, v[7:8]
	v_lshrrev_b32_e32 v46, 3, v43
	v_sub_u32_e32 v7, 29, v47
	v_and_b32_e32 v44, 7, v44
	v_cmp_gt_u32_e64 s[4:5], 8, v43
	v_cndmask_b32_e64 v7, v46, v7, s[4:5]
	v_cndmask_b32_e64 v41, v41, v44, s[4:5]
	v_lshlrev_b32_e32 v42, 24, v42
	v_lshlrev_b32_e32 v41, 20, v41
	v_and_b32_e32 v42, 0x80000000, v42
	v_lshl_add_u32 v7, v7, 23, v22
	v_or3_b32 v41, v42, v7, v41
.LBB226_107:                            ;   in Loop: Header=BB226_14 Depth=1
	s_or_b64 exec, exec, s[44:45]
.LBB226_108:                            ;   in Loop: Header=BB226_14 Depth=1
	s_or_b64 exec, exec, s[42:43]
.LBB226_109:                            ;   in Loop: Header=BB226_14 Depth=1
	s_or_b64 exec, exec, s[40:41]
	global_load_ubyte v42, v[5:6], off offset:904
	s_waitcnt vmcnt(0)
	v_cmp_ne_u16_e64 s[4:5], 0, v42
	s_and_saveexec_b64 s[40:41], s[4:5]
	s_cbranch_execz .LBB226_115
; %bb.110:                              ;   in Loop: Header=BB226_14 Depth=1
	v_cmp_ne_u16_e64 s[4:5], s52, v42
	v_bfrev_b32_e32 v40, 1
	s_and_saveexec_b64 s[42:43], s[4:5]
	s_cbranch_execz .LBB226_114
; %bb.111:                              ;   in Loop: Header=BB226_14 Depth=1
	v_and_b32_e32 v7, 0xffff, v42
	v_and_b32_e32 v43, 0x7f, v7
	v_cmp_ne_u32_e64 s[4:5], s53, v43
	v_mov_b32_e32 v40, 0x7f800001
	s_and_saveexec_b64 s[44:45], s[4:5]
	s_cbranch_execz .LBB226_113
; %bb.112:                              ;   in Loop: Header=BB226_14 Depth=1
	v_and_b32_e32 v40, 7, v7
	v_ffbh_u32_e32 v44, v40
	v_min_u32_e32 v47, 32, v44
	v_subrev_u32_e32 v44, 28, v47
	v_lshlrev_b64 v[44:45], v44, v[7:8]
	v_lshrrev_b32_e32 v46, 3, v43
	v_sub_u32_e32 v7, 29, v47
	v_and_b32_e32 v44, 7, v44
	v_cmp_gt_u32_e64 s[4:5], 8, v43
	v_cndmask_b32_e64 v7, v46, v7, s[4:5]
	v_cndmask_b32_e64 v40, v40, v44, s[4:5]
	v_lshlrev_b32_e32 v42, 24, v42
	v_lshlrev_b32_e32 v40, 20, v40
	v_and_b32_e32 v42, 0x80000000, v42
	v_lshl_add_u32 v7, v7, 23, v22
	v_or3_b32 v40, v42, v7, v40
.LBB226_113:                            ;   in Loop: Header=BB226_14 Depth=1
	s_or_b64 exec, exec, s[44:45]
.LBB226_114:                            ;   in Loop: Header=BB226_14 Depth=1
	s_or_b64 exec, exec, s[42:43]
.LBB226_115:                            ;   in Loop: Header=BB226_14 Depth=1
	s_or_b64 exec, exec, s[40:41]
	global_load_ubyte v44, v[5:6], off offset:1024
	v_mov_b32_e32 v42, 0
	v_mov_b32_e32 v43, 0
	s_waitcnt vmcnt(0)
	v_cmp_ne_u16_e64 s[4:5], 0, v44
	s_and_saveexec_b64 s[40:41], s[4:5]
	s_cbranch_execz .LBB226_121
; %bb.116:                              ;   in Loop: Header=BB226_14 Depth=1
	v_cmp_ne_u16_e64 s[4:5], s52, v44
	v_bfrev_b32_e32 v43, 1
	s_and_saveexec_b64 s[42:43], s[4:5]
	s_cbranch_execz .LBB226_120
; %bb.117:                              ;   in Loop: Header=BB226_14 Depth=1
	v_and_b32_e32 v7, 0xffff, v44
	v_and_b32_e32 v45, 0x7f, v7
	v_cmp_ne_u32_e64 s[4:5], s53, v45
	v_mov_b32_e32 v43, 0x7f800001
	s_and_saveexec_b64 s[44:45], s[4:5]
	s_cbranch_execz .LBB226_119
; %bb.118:                              ;   in Loop: Header=BB226_14 Depth=1
	v_and_b32_e32 v43, 7, v7
	v_ffbh_u32_e32 v46, v43
	v_min_u32_e32 v49, 32, v46
	v_subrev_u32_e32 v46, 28, v49
	v_lshlrev_b64 v[46:47], v46, v[7:8]
	v_lshrrev_b32_e32 v48, 3, v45
	v_sub_u32_e32 v7, 29, v49
	v_and_b32_e32 v46, 7, v46
	v_cmp_gt_u32_e64 s[4:5], 8, v45
	v_cndmask_b32_e64 v7, v48, v7, s[4:5]
	v_cndmask_b32_e64 v43, v43, v46, s[4:5]
	v_lshlrev_b32_e32 v44, 24, v44
	v_lshlrev_b32_e32 v43, 20, v43
	v_and_b32_e32 v44, 0x80000000, v44
	v_lshl_add_u32 v7, v7, 23, v22
	v_or3_b32 v43, v44, v7, v43
.LBB226_119:                            ;   in Loop: Header=BB226_14 Depth=1
	s_or_b64 exec, exec, s[44:45]
.LBB226_120:                            ;   in Loop: Header=BB226_14 Depth=1
	s_or_b64 exec, exec, s[42:43]
.LBB226_121:                            ;   in Loop: Header=BB226_14 Depth=1
	s_or_b64 exec, exec, s[40:41]
	global_load_ubyte v44, v[5:6], off offset:1032
	s_waitcnt vmcnt(0)
	v_cmp_ne_u16_e64 s[4:5], 0, v44
	s_and_saveexec_b64 s[40:41], s[4:5]
	s_cbranch_execz .LBB226_127
; %bb.122:                              ;   in Loop: Header=BB226_14 Depth=1
	v_cmp_ne_u16_e64 s[4:5], s52, v44
	v_bfrev_b32_e32 v42, 1
	s_and_saveexec_b64 s[42:43], s[4:5]
	s_cbranch_execz .LBB226_126
; %bb.123:                              ;   in Loop: Header=BB226_14 Depth=1
	v_and_b32_e32 v7, 0xffff, v44
	v_and_b32_e32 v45, 0x7f, v7
	v_cmp_ne_u32_e64 s[4:5], s53, v45
	v_mov_b32_e32 v42, 0x7f800001
	s_and_saveexec_b64 s[44:45], s[4:5]
	s_cbranch_execz .LBB226_125
; %bb.124:                              ;   in Loop: Header=BB226_14 Depth=1
	v_and_b32_e32 v42, 7, v7
	v_ffbh_u32_e32 v46, v42
	v_min_u32_e32 v49, 32, v46
	v_subrev_u32_e32 v46, 28, v49
	v_lshlrev_b64 v[46:47], v46, v[7:8]
	v_lshrrev_b32_e32 v48, 3, v45
	v_sub_u32_e32 v7, 29, v49
	v_and_b32_e32 v46, 7, v46
	v_cmp_gt_u32_e64 s[4:5], 8, v45
	v_cndmask_b32_e64 v7, v48, v7, s[4:5]
	v_cndmask_b32_e64 v42, v42, v46, s[4:5]
	v_lshlrev_b32_e32 v44, 24, v44
	v_lshlrev_b32_e32 v42, 20, v42
	v_and_b32_e32 v44, 0x80000000, v44
	v_lshl_add_u32 v7, v7, 23, v22
	v_or3_b32 v42, v44, v7, v42
.LBB226_125:                            ;   in Loop: Header=BB226_14 Depth=1
	s_or_b64 exec, exec, s[44:45]
.LBB226_126:                            ;   in Loop: Header=BB226_14 Depth=1
	s_or_b64 exec, exec, s[42:43]
.LBB226_127:                            ;   in Loop: Header=BB226_14 Depth=1
	s_or_b64 exec, exec, s[40:41]
	global_load_ubyte v46, v[5:6], off offset:1152
	v_mov_b32_e32 v44, 0
	v_mov_b32_e32 v45, 0
	s_waitcnt vmcnt(0)
	v_cmp_ne_u16_e64 s[4:5], 0, v46
	s_and_saveexec_b64 s[40:41], s[4:5]
	s_cbranch_execz .LBB226_133
; %bb.128:                              ;   in Loop: Header=BB226_14 Depth=1
	v_cmp_ne_u16_e64 s[4:5], s52, v46
	v_bfrev_b32_e32 v45, 1
	s_and_saveexec_b64 s[42:43], s[4:5]
	s_cbranch_execz .LBB226_132
; %bb.129:                              ;   in Loop: Header=BB226_14 Depth=1
	v_and_b32_e32 v7, 0xffff, v46
	v_and_b32_e32 v47, 0x7f, v7
	v_cmp_ne_u32_e64 s[4:5], s53, v47
	v_mov_b32_e32 v45, 0x7f800001
	s_and_saveexec_b64 s[44:45], s[4:5]
	s_cbranch_execz .LBB226_131
; %bb.130:                              ;   in Loop: Header=BB226_14 Depth=1
	v_and_b32_e32 v45, 7, v7
	v_ffbh_u32_e32 v48, v45
	v_min_u32_e32 v51, 32, v48
	v_subrev_u32_e32 v48, 28, v51
	v_lshlrev_b64 v[48:49], v48, v[7:8]
	v_lshrrev_b32_e32 v50, 3, v47
	v_sub_u32_e32 v7, 29, v51
	v_and_b32_e32 v48, 7, v48
	v_cmp_gt_u32_e64 s[4:5], 8, v47
	v_cndmask_b32_e64 v7, v50, v7, s[4:5]
	v_cndmask_b32_e64 v45, v45, v48, s[4:5]
	v_lshlrev_b32_e32 v46, 24, v46
	v_lshlrev_b32_e32 v45, 20, v45
	v_and_b32_e32 v46, 0x80000000, v46
	v_lshl_add_u32 v7, v7, 23, v22
	v_or3_b32 v45, v46, v7, v45
.LBB226_131:                            ;   in Loop: Header=BB226_14 Depth=1
	s_or_b64 exec, exec, s[44:45]
.LBB226_132:                            ;   in Loop: Header=BB226_14 Depth=1
	s_or_b64 exec, exec, s[42:43]
.LBB226_133:                            ;   in Loop: Header=BB226_14 Depth=1
	s_or_b64 exec, exec, s[40:41]
	global_load_ubyte v46, v[5:6], off offset:1160
	s_waitcnt vmcnt(0)
	v_cmp_ne_u16_e64 s[4:5], 0, v46
	s_and_saveexec_b64 s[40:41], s[4:5]
	s_cbranch_execz .LBB226_139
; %bb.134:                              ;   in Loop: Header=BB226_14 Depth=1
	v_cmp_ne_u16_e64 s[4:5], s52, v46
	v_bfrev_b32_e32 v44, 1
	s_and_saveexec_b64 s[42:43], s[4:5]
	s_cbranch_execz .LBB226_138
; %bb.135:                              ;   in Loop: Header=BB226_14 Depth=1
	v_and_b32_e32 v7, 0xffff, v46
	v_and_b32_e32 v47, 0x7f, v7
	v_cmp_ne_u32_e64 s[4:5], s53, v47
	v_mov_b32_e32 v44, 0x7f800001
	s_and_saveexec_b64 s[44:45], s[4:5]
	s_cbranch_execz .LBB226_137
; %bb.136:                              ;   in Loop: Header=BB226_14 Depth=1
	v_and_b32_e32 v44, 7, v7
	v_ffbh_u32_e32 v48, v44
	v_min_u32_e32 v51, 32, v48
	v_subrev_u32_e32 v48, 28, v51
	v_lshlrev_b64 v[48:49], v48, v[7:8]
	v_lshrrev_b32_e32 v50, 3, v47
	v_sub_u32_e32 v7, 29, v51
	v_and_b32_e32 v48, 7, v48
	v_cmp_gt_u32_e64 s[4:5], 8, v47
	v_cndmask_b32_e64 v7, v50, v7, s[4:5]
	v_cndmask_b32_e64 v44, v44, v48, s[4:5]
	v_lshlrev_b32_e32 v46, 24, v46
	v_lshlrev_b32_e32 v44, 20, v44
	v_and_b32_e32 v46, 0x80000000, v46
	v_lshl_add_u32 v7, v7, 23, v22
	v_or3_b32 v44, v46, v7, v44
.LBB226_137:                            ;   in Loop: Header=BB226_14 Depth=1
	s_or_b64 exec, exec, s[44:45]
.LBB226_138:                            ;   in Loop: Header=BB226_14 Depth=1
	s_or_b64 exec, exec, s[42:43]
.LBB226_139:                            ;   in Loop: Header=BB226_14 Depth=1
	s_or_b64 exec, exec, s[40:41]
	global_load_ubyte v46, v[5:6], off offset:1280
	v_mov_b32_e32 v47, 0
	v_mov_b32_e32 v48, 0
	s_waitcnt vmcnt(0)
	v_cmp_ne_u16_e64 s[4:5], 0, v46
	s_and_saveexec_b64 s[40:41], s[4:5]
	s_cbranch_execz .LBB226_145
; %bb.140:                              ;   in Loop: Header=BB226_14 Depth=1
	v_cmp_ne_u16_e64 s[4:5], s52, v46
	v_bfrev_b32_e32 v48, 1
	s_and_saveexec_b64 s[42:43], s[4:5]
	s_cbranch_execz .LBB226_144
; %bb.141:                              ;   in Loop: Header=BB226_14 Depth=1
	v_and_b32_e32 v7, 0xffff, v46
	v_and_b32_e32 v49, 0x7f, v7
	v_cmp_ne_u32_e64 s[4:5], s53, v49
	v_mov_b32_e32 v48, 0x7f800001
	s_and_saveexec_b64 s[44:45], s[4:5]
	s_cbranch_execz .LBB226_143
; %bb.142:                              ;   in Loop: Header=BB226_14 Depth=1
	v_and_b32_e32 v48, 7, v7
	v_ffbh_u32_e32 v50, v48
	v_min_u32_e32 v53, 32, v50
	v_subrev_u32_e32 v50, 28, v53
	v_lshlrev_b64 v[50:51], v50, v[7:8]
	v_lshrrev_b32_e32 v52, 3, v49
	v_sub_u32_e32 v7, 29, v53
	v_and_b32_e32 v50, 7, v50
	v_cmp_gt_u32_e64 s[4:5], 8, v49
	v_cndmask_b32_e64 v7, v52, v7, s[4:5]
	v_cndmask_b32_e64 v48, v48, v50, s[4:5]
	v_lshlrev_b32_e32 v46, 24, v46
	v_lshlrev_b32_e32 v48, 20, v48
	v_and_b32_e32 v46, 0x80000000, v46
	v_lshl_add_u32 v7, v7, 23, v22
	v_or3_b32 v48, v46, v7, v48
.LBB226_143:                            ;   in Loop: Header=BB226_14 Depth=1
	s_or_b64 exec, exec, s[44:45]
.LBB226_144:                            ;   in Loop: Header=BB226_14 Depth=1
	s_or_b64 exec, exec, s[42:43]
.LBB226_145:                            ;   in Loop: Header=BB226_14 Depth=1
	s_or_b64 exec, exec, s[40:41]
	global_load_ubyte v46, v[5:6], off offset:1288
	s_waitcnt vmcnt(0)
	v_cmp_ne_u16_e64 s[4:5], 0, v46
	s_and_saveexec_b64 s[40:41], s[4:5]
	s_cbranch_execz .LBB226_151
; %bb.146:                              ;   in Loop: Header=BB226_14 Depth=1
	v_cmp_ne_u16_e64 s[4:5], s52, v46
	v_bfrev_b32_e32 v47, 1
	s_and_saveexec_b64 s[42:43], s[4:5]
	s_cbranch_execz .LBB226_150
; %bb.147:                              ;   in Loop: Header=BB226_14 Depth=1
	v_and_b32_e32 v7, 0xffff, v46
	v_and_b32_e32 v49, 0x7f, v7
	v_cmp_ne_u32_e64 s[4:5], s53, v49
	v_mov_b32_e32 v47, 0x7f800001
	s_and_saveexec_b64 s[44:45], s[4:5]
	s_cbranch_execz .LBB226_149
; %bb.148:                              ;   in Loop: Header=BB226_14 Depth=1
	v_and_b32_e32 v47, 7, v7
	v_ffbh_u32_e32 v50, v47
	v_min_u32_e32 v53, 32, v50
	v_subrev_u32_e32 v50, 28, v53
	v_lshlrev_b64 v[50:51], v50, v[7:8]
	v_lshrrev_b32_e32 v52, 3, v49
	v_sub_u32_e32 v7, 29, v53
	v_and_b32_e32 v50, 7, v50
	v_cmp_gt_u32_e64 s[4:5], 8, v49
	v_cndmask_b32_e64 v7, v52, v7, s[4:5]
	v_cndmask_b32_e64 v47, v47, v50, s[4:5]
	v_lshlrev_b32_e32 v46, 24, v46
	v_lshlrev_b32_e32 v47, 20, v47
	v_and_b32_e32 v46, 0x80000000, v46
	v_lshl_add_u32 v7, v7, 23, v22
	v_or3_b32 v47, v46, v7, v47
.LBB226_149:                            ;   in Loop: Header=BB226_14 Depth=1
	s_or_b64 exec, exec, s[44:45]
.LBB226_150:                            ;   in Loop: Header=BB226_14 Depth=1
	s_or_b64 exec, exec, s[42:43]
.LBB226_151:                            ;   in Loop: Header=BB226_14 Depth=1
	s_or_b64 exec, exec, s[40:41]
	global_load_ubyte v46, v[5:6], off offset:1408
	v_mov_b32_e32 v53, 0
	v_mov_b32_e32 v54, 0
	s_waitcnt vmcnt(0)
	v_cmp_ne_u16_e64 s[4:5], 0, v46
	s_and_saveexec_b64 s[40:41], s[4:5]
	s_cbranch_execz .LBB226_157
; %bb.152:                              ;   in Loop: Header=BB226_14 Depth=1
	v_cmp_ne_u16_e64 s[4:5], s52, v46
	v_bfrev_b32_e32 v54, 1
	s_and_saveexec_b64 s[42:43], s[4:5]
	s_cbranch_execz .LBB226_156
; %bb.153:                              ;   in Loop: Header=BB226_14 Depth=1
	v_and_b32_e32 v7, 0xffff, v46
	v_and_b32_e32 v49, 0x7f, v7
	v_cmp_ne_u32_e64 s[4:5], s53, v49
	v_mov_b32_e32 v54, 0x7f800001
	s_and_saveexec_b64 s[44:45], s[4:5]
	s_cbranch_execz .LBB226_155
; %bb.154:                              ;   in Loop: Header=BB226_14 Depth=1
	v_and_b32_e32 v52, 7, v7
	v_ffbh_u32_e32 v50, v52
	v_min_u32_e32 v55, 32, v50
	v_subrev_u32_e32 v50, 28, v55
	v_lshlrev_b64 v[50:51], v50, v[7:8]
	v_lshrrev_b32_e32 v54, 3, v49
	v_sub_u32_e32 v7, 29, v55
	v_and_b32_e32 v50, 7, v50
	v_cmp_gt_u32_e64 s[4:5], 8, v49
	v_cndmask_b32_e64 v7, v54, v7, s[4:5]
	v_cndmask_b32_e64 v49, v52, v50, s[4:5]
	v_lshlrev_b32_e32 v46, 24, v46
	v_lshlrev_b32_e32 v49, 20, v49
	v_and_b32_e32 v46, 0x80000000, v46
	v_lshl_add_u32 v7, v7, 23, v22
	v_or3_b32 v54, v46, v7, v49
.LBB226_155:                            ;   in Loop: Header=BB226_14 Depth=1
	s_or_b64 exec, exec, s[44:45]
.LBB226_156:                            ;   in Loop: Header=BB226_14 Depth=1
	s_or_b64 exec, exec, s[42:43]
.LBB226_157:                            ;   in Loop: Header=BB226_14 Depth=1
	s_or_b64 exec, exec, s[40:41]
	global_load_ubyte v46, v[5:6], off offset:1416
	s_waitcnt vmcnt(0)
	v_cmp_ne_u16_e64 s[4:5], 0, v46
	s_and_saveexec_b64 s[40:41], s[4:5]
	s_cbranch_execz .LBB226_163
; %bb.158:                              ;   in Loop: Header=BB226_14 Depth=1
	v_cmp_ne_u16_e64 s[4:5], s52, v46
	v_bfrev_b32_e32 v53, 1
	s_and_saveexec_b64 s[42:43], s[4:5]
	s_cbranch_execz .LBB226_162
; %bb.159:                              ;   in Loop: Header=BB226_14 Depth=1
	v_and_b32_e32 v7, 0xffff, v46
	v_and_b32_e32 v49, 0x7f, v7
	v_cmp_ne_u32_e64 s[4:5], s53, v49
	v_mov_b32_e32 v53, 0x7f800001
	s_and_saveexec_b64 s[44:45], s[4:5]
	s_cbranch_execz .LBB226_161
; %bb.160:                              ;   in Loop: Header=BB226_14 Depth=1
	v_and_b32_e32 v52, 7, v7
	v_ffbh_u32_e32 v50, v52
	v_min_u32_e32 v55, 32, v50
	v_subrev_u32_e32 v50, 28, v55
	v_lshlrev_b64 v[50:51], v50, v[7:8]
	v_lshrrev_b32_e32 v53, 3, v49
	v_sub_u32_e32 v7, 29, v55
	v_and_b32_e32 v50, 7, v50
	v_cmp_gt_u32_e64 s[4:5], 8, v49
	v_cndmask_b32_e64 v7, v53, v7, s[4:5]
	v_cndmask_b32_e64 v49, v52, v50, s[4:5]
	v_lshlrev_b32_e32 v46, 24, v46
	v_lshlrev_b32_e32 v49, 20, v49
	v_and_b32_e32 v46, 0x80000000, v46
	v_lshl_add_u32 v7, v7, 23, v22
	v_or3_b32 v53, v46, v7, v49
.LBB226_161:                            ;   in Loop: Header=BB226_14 Depth=1
	s_or_b64 exec, exec, s[44:45]
.LBB226_162:                            ;   in Loop: Header=BB226_14 Depth=1
	s_or_b64 exec, exec, s[42:43]
.LBB226_163:                            ;   in Loop: Header=BB226_14 Depth=1
	s_or_b64 exec, exec, s[40:41]
	global_load_ubyte v46, v[5:6], off offset:1536
	v_mov_b32_e32 v51, 0
	v_mov_b32_e32 v52, 0
	s_waitcnt vmcnt(0)
	v_cmp_ne_u16_e64 s[4:5], 0, v46
	s_and_saveexec_b64 s[40:41], s[4:5]
	s_cbranch_execz .LBB226_169
; %bb.164:                              ;   in Loop: Header=BB226_14 Depth=1
	v_cmp_ne_u16_e64 s[4:5], s52, v46
	v_bfrev_b32_e32 v52, 1
	s_and_saveexec_b64 s[42:43], s[4:5]
	s_cbranch_execz .LBB226_168
; %bb.165:                              ;   in Loop: Header=BB226_14 Depth=1
	v_and_b32_e32 v7, 0xffff, v46
	v_and_b32_e32 v49, 0x7f, v7
	v_cmp_ne_u32_e64 s[4:5], s53, v49
	v_mov_b32_e32 v52, 0x7f800001
	s_and_saveexec_b64 s[44:45], s[4:5]
	s_cbranch_execz .LBB226_167
; %bb.166:                              ;   in Loop: Header=BB226_14 Depth=1
	v_and_b32_e32 v50, 7, v7
	v_ffbh_u32_e32 v55, v50
	v_min_u32_e32 v57, 32, v55
	v_subrev_u32_e32 v55, 28, v57
	v_lshlrev_b64 v[55:56], v55, v[7:8]
	v_lshrrev_b32_e32 v52, 3, v49
	v_sub_u32_e32 v7, 29, v57
	v_and_b32_e32 v55, 7, v55
	v_cmp_gt_u32_e64 s[4:5], 8, v49
	v_cndmask_b32_e64 v7, v52, v7, s[4:5]
	v_cndmask_b32_e64 v49, v50, v55, s[4:5]
	v_lshlrev_b32_e32 v46, 24, v46
	v_lshlrev_b32_e32 v49, 20, v49
	v_and_b32_e32 v46, 0x80000000, v46
	v_lshl_add_u32 v7, v7, 23, v22
	v_or3_b32 v52, v46, v7, v49
.LBB226_167:                            ;   in Loop: Header=BB226_14 Depth=1
	s_or_b64 exec, exec, s[44:45]
.LBB226_168:                            ;   in Loop: Header=BB226_14 Depth=1
	s_or_b64 exec, exec, s[42:43]
.LBB226_169:                            ;   in Loop: Header=BB226_14 Depth=1
	s_or_b64 exec, exec, s[40:41]
	global_load_ubyte v46, v[5:6], off offset:1544
	s_waitcnt vmcnt(0)
	v_cmp_ne_u16_e64 s[4:5], 0, v46
	s_and_saveexec_b64 s[40:41], s[4:5]
	s_cbranch_execz .LBB226_175
; %bb.170:                              ;   in Loop: Header=BB226_14 Depth=1
	v_cmp_ne_u16_e64 s[4:5], s52, v46
	v_bfrev_b32_e32 v51, 1
	s_and_saveexec_b64 s[42:43], s[4:5]
	s_cbranch_execz .LBB226_174
; %bb.171:                              ;   in Loop: Header=BB226_14 Depth=1
	v_and_b32_e32 v7, 0xffff, v46
	v_and_b32_e32 v49, 0x7f, v7
	v_cmp_ne_u32_e64 s[4:5], s53, v49
	v_mov_b32_e32 v51, 0x7f800001
	s_and_saveexec_b64 s[44:45], s[4:5]
	s_cbranch_execz .LBB226_173
; %bb.172:                              ;   in Loop: Header=BB226_14 Depth=1
	v_and_b32_e32 v55, 7, v7
	v_ffbh_u32_e32 v50, v55
	v_min_u32_e32 v57, 32, v50
	v_subrev_u32_e32 v50, 28, v57
	v_lshlrev_b64 v[50:51], v50, v[7:8]
	v_lshrrev_b32_e32 v56, 3, v49
	v_sub_u32_e32 v7, 29, v57
	v_and_b32_e32 v50, 7, v50
	v_cmp_gt_u32_e64 s[4:5], 8, v49
	v_cndmask_b32_e64 v7, v56, v7, s[4:5]
	v_cndmask_b32_e64 v49, v55, v50, s[4:5]
	v_lshlrev_b32_e32 v46, 24, v46
	v_lshlrev_b32_e32 v49, 20, v49
	v_and_b32_e32 v46, 0x80000000, v46
	v_lshl_add_u32 v7, v7, 23, v22
	v_or3_b32 v51, v46, v7, v49
.LBB226_173:                            ;   in Loop: Header=BB226_14 Depth=1
	s_or_b64 exec, exec, s[44:45]
.LBB226_174:                            ;   in Loop: Header=BB226_14 Depth=1
	s_or_b64 exec, exec, s[42:43]
.LBB226_175:                            ;   in Loop: Header=BB226_14 Depth=1
	s_or_b64 exec, exec, s[40:41]
	global_load_ubyte v46, v[5:6], off offset:1664
	v_mov_b32_e32 v49, 0
	v_mov_b32_e32 v50, 0
	s_waitcnt vmcnt(0)
	v_cmp_ne_u16_e64 s[4:5], 0, v46
	s_and_saveexec_b64 s[40:41], s[4:5]
	s_cbranch_execz .LBB226_181
; %bb.176:                              ;   in Loop: Header=BB226_14 Depth=1
	v_cmp_ne_u16_e64 s[4:5], s52, v46
	v_bfrev_b32_e32 v50, 1
	s_and_saveexec_b64 s[42:43], s[4:5]
	s_cbranch_execz .LBB226_180
; %bb.177:                              ;   in Loop: Header=BB226_14 Depth=1
	v_and_b32_e32 v7, 0xffff, v46
	v_and_b32_e32 v55, 0x7f, v7
	v_cmp_ne_u32_e64 s[4:5], s53, v55
	v_mov_b32_e32 v50, 0x7f800001
	s_and_saveexec_b64 s[44:45], s[4:5]
	s_cbranch_execz .LBB226_179
; %bb.178:                              ;   in Loop: Header=BB226_14 Depth=1
	v_and_b32_e32 v50, 7, v7
	v_ffbh_u32_e32 v56, v50
	v_min_u32_e32 v59, 32, v56
	v_subrev_u32_e32 v56, 28, v59
	v_lshlrev_b64 v[56:57], v56, v[7:8]
	v_lshrrev_b32_e32 v58, 3, v55
	v_sub_u32_e32 v7, 29, v59
	v_and_b32_e32 v56, 7, v56
	v_cmp_gt_u32_e64 s[4:5], 8, v55
	v_cndmask_b32_e64 v7, v58, v7, s[4:5]
	v_cndmask_b32_e64 v50, v50, v56, s[4:5]
	v_lshlrev_b32_e32 v46, 24, v46
	v_lshlrev_b32_e32 v50, 20, v50
	v_and_b32_e32 v46, 0x80000000, v46
	v_lshl_add_u32 v7, v7, 23, v22
	v_or3_b32 v50, v46, v7, v50
.LBB226_179:                            ;   in Loop: Header=BB226_14 Depth=1
	s_or_b64 exec, exec, s[44:45]
.LBB226_180:                            ;   in Loop: Header=BB226_14 Depth=1
	s_or_b64 exec, exec, s[42:43]
.LBB226_181:                            ;   in Loop: Header=BB226_14 Depth=1
	s_or_b64 exec, exec, s[40:41]
	global_load_ubyte v46, v[5:6], off offset:1672
	s_waitcnt vmcnt(0)
	v_cmp_ne_u16_e64 s[4:5], 0, v46
	s_and_saveexec_b64 s[40:41], s[4:5]
	s_cbranch_execz .LBB226_187
; %bb.182:                              ;   in Loop: Header=BB226_14 Depth=1
	v_cmp_ne_u16_e64 s[4:5], s52, v46
	v_bfrev_b32_e32 v49, 1
	s_and_saveexec_b64 s[42:43], s[4:5]
	s_cbranch_execz .LBB226_186
; %bb.183:                              ;   in Loop: Header=BB226_14 Depth=1
	v_and_b32_e32 v7, 0xffff, v46
	v_and_b32_e32 v55, 0x7f, v7
	v_cmp_ne_u32_e64 s[4:5], s53, v55
	v_mov_b32_e32 v49, 0x7f800001
	s_and_saveexec_b64 s[44:45], s[4:5]
	s_cbranch_execz .LBB226_185
; %bb.184:                              ;   in Loop: Header=BB226_14 Depth=1
	v_and_b32_e32 v49, 7, v7
	v_ffbh_u32_e32 v56, v49
	v_min_u32_e32 v59, 32, v56
	v_subrev_u32_e32 v56, 28, v59
	v_lshlrev_b64 v[56:57], v56, v[7:8]
	v_lshrrev_b32_e32 v58, 3, v55
	v_sub_u32_e32 v7, 29, v59
	v_and_b32_e32 v56, 7, v56
	v_cmp_gt_u32_e64 s[4:5], 8, v55
	v_cndmask_b32_e64 v7, v58, v7, s[4:5]
	v_cndmask_b32_e64 v49, v49, v56, s[4:5]
	v_lshlrev_b32_e32 v46, 24, v46
	v_lshlrev_b32_e32 v49, 20, v49
	v_and_b32_e32 v46, 0x80000000, v46
	v_lshl_add_u32 v7, v7, 23, v22
	v_or3_b32 v49, v46, v7, v49
.LBB226_185:                            ;   in Loop: Header=BB226_14 Depth=1
	s_or_b64 exec, exec, s[44:45]
.LBB226_186:                            ;   in Loop: Header=BB226_14 Depth=1
	s_or_b64 exec, exec, s[42:43]
.LBB226_187:                            ;   in Loop: Header=BB226_14 Depth=1
	s_or_b64 exec, exec, s[40:41]
	global_load_ubyte v56, v[5:6], off offset:1792
	v_mov_b32_e32 v46, 0
	v_mov_b32_e32 v55, 0
	s_waitcnt vmcnt(0)
	v_cmp_ne_u16_e64 s[4:5], 0, v56
	s_and_saveexec_b64 s[40:41], s[4:5]
	s_cbranch_execz .LBB226_193
; %bb.188:                              ;   in Loop: Header=BB226_14 Depth=1
	v_cmp_ne_u16_e64 s[4:5], s52, v56
	v_bfrev_b32_e32 v55, 1
	s_and_saveexec_b64 s[42:43], s[4:5]
	s_cbranch_execz .LBB226_192
; %bb.189:                              ;   in Loop: Header=BB226_14 Depth=1
	v_and_b32_e32 v7, 0xffff, v56
	v_and_b32_e32 v57, 0x7f, v7
	v_cmp_ne_u32_e64 s[4:5], s53, v57
	v_mov_b32_e32 v55, 0x7f800001
	s_and_saveexec_b64 s[44:45], s[4:5]
	s_cbranch_execz .LBB226_191
; %bb.190:                              ;   in Loop: Header=BB226_14 Depth=1
	v_and_b32_e32 v55, 7, v7
	v_ffbh_u32_e32 v58, v55
	v_min_u32_e32 v61, 32, v58
	v_subrev_u32_e32 v58, 28, v61
	v_lshlrev_b64 v[58:59], v58, v[7:8]
	v_lshrrev_b32_e32 v60, 3, v57
	v_sub_u32_e32 v7, 29, v61
	v_and_b32_e32 v58, 7, v58
	v_cmp_gt_u32_e64 s[4:5], 8, v57
	v_cndmask_b32_e64 v7, v60, v7, s[4:5]
	v_cndmask_b32_e64 v55, v55, v58, s[4:5]
	v_lshlrev_b32_e32 v56, 24, v56
	v_lshlrev_b32_e32 v55, 20, v55
	v_and_b32_e32 v56, 0x80000000, v56
	v_lshl_add_u32 v7, v7, 23, v22
	v_or3_b32 v55, v56, v7, v55
.LBB226_191:                            ;   in Loop: Header=BB226_14 Depth=1
	s_or_b64 exec, exec, s[44:45]
.LBB226_192:                            ;   in Loop: Header=BB226_14 Depth=1
	s_or_b64 exec, exec, s[42:43]
.LBB226_193:                            ;   in Loop: Header=BB226_14 Depth=1
	s_or_b64 exec, exec, s[40:41]
	global_load_ubyte v56, v[5:6], off offset:1800
	s_waitcnt vmcnt(0)
	v_cmp_ne_u16_e64 s[4:5], 0, v56
	s_and_saveexec_b64 s[40:41], s[4:5]
	s_cbranch_execz .LBB226_199
; %bb.194:                              ;   in Loop: Header=BB226_14 Depth=1
	v_cmp_ne_u16_e64 s[4:5], s52, v56
	v_bfrev_b32_e32 v46, 1
	s_and_saveexec_b64 s[42:43], s[4:5]
	s_cbranch_execz .LBB226_198
; %bb.195:                              ;   in Loop: Header=BB226_14 Depth=1
	v_and_b32_e32 v7, 0xffff, v56
	v_and_b32_e32 v57, 0x7f, v7
	v_cmp_ne_u32_e64 s[4:5], s53, v57
	v_mov_b32_e32 v46, 0x7f800001
	s_and_saveexec_b64 s[44:45], s[4:5]
	s_cbranch_execz .LBB226_197
; %bb.196:                              ;   in Loop: Header=BB226_14 Depth=1
	v_and_b32_e32 v46, 7, v7
	v_ffbh_u32_e32 v58, v46
	v_min_u32_e32 v61, 32, v58
	v_subrev_u32_e32 v58, 28, v61
	v_lshlrev_b64 v[58:59], v58, v[7:8]
	v_lshrrev_b32_e32 v60, 3, v57
	v_sub_u32_e32 v7, 29, v61
	v_and_b32_e32 v58, 7, v58
	v_cmp_gt_u32_e64 s[4:5], 8, v57
	v_cndmask_b32_e64 v7, v60, v7, s[4:5]
	v_cndmask_b32_e64 v46, v46, v58, s[4:5]
	v_lshlrev_b32_e32 v56, 24, v56
	v_lshlrev_b32_e32 v46, 20, v46
	v_and_b32_e32 v56, 0x80000000, v56
	v_lshl_add_u32 v7, v7, 23, v22
	v_or3_b32 v46, v56, v7, v46
.LBB226_197:                            ;   in Loop: Header=BB226_14 Depth=1
	s_or_b64 exec, exec, s[44:45]
.LBB226_198:                            ;   in Loop: Header=BB226_14 Depth=1
	s_or_b64 exec, exec, s[42:43]
.LBB226_199:                            ;   in Loop: Header=BB226_14 Depth=1
	s_or_b64 exec, exec, s[40:41]
	global_load_ubyte v58, v[5:6], off offset:1920
	v_mov_b32_e32 v56, 0
	v_mov_b32_e32 v57, 0
	s_waitcnt vmcnt(0)
	v_cmp_ne_u16_e64 s[4:5], 0, v58
	s_and_saveexec_b64 s[40:41], s[4:5]
	s_cbranch_execz .LBB226_205
; %bb.200:                              ;   in Loop: Header=BB226_14 Depth=1
	v_cmp_ne_u16_e64 s[4:5], s52, v58
	v_bfrev_b32_e32 v57, 1
	s_and_saveexec_b64 s[42:43], s[4:5]
	s_cbranch_execz .LBB226_204
; %bb.201:                              ;   in Loop: Header=BB226_14 Depth=1
	v_and_b32_e32 v7, 0xffff, v58
	v_and_b32_e32 v59, 0x7f, v7
	v_cmp_ne_u32_e64 s[4:5], s53, v59
	v_mov_b32_e32 v57, 0x7f800001
	s_and_saveexec_b64 s[44:45], s[4:5]
	s_cbranch_execz .LBB226_203
; %bb.202:                              ;   in Loop: Header=BB226_14 Depth=1
	v_and_b32_e32 v57, 7, v7
	v_lshrrev_b32_e32 v61, 3, v59
	v_cmp_gt_u32_e64 s[4:5], 8, v59
	v_ffbh_u32_e32 v59, v57
	v_min_u32_e32 v62, 32, v59
	v_subrev_u32_e32 v59, 28, v62
	v_lshlrev_b64 v[59:60], v59, v[7:8]
	v_sub_u32_e32 v7, 29, v62
	v_and_b32_e32 v59, 7, v59
	v_cndmask_b32_e64 v7, v61, v7, s[4:5]
	v_cndmask_b32_e64 v57, v57, v59, s[4:5]
	v_lshlrev_b32_e32 v58, 24, v58
	v_lshlrev_b32_e32 v57, 20, v57
	v_and_b32_e32 v58, 0x80000000, v58
	v_lshl_add_u32 v7, v7, 23, v22
	v_or3_b32 v57, v58, v7, v57
.LBB226_203:                            ;   in Loop: Header=BB226_14 Depth=1
	s_or_b64 exec, exec, s[44:45]
.LBB226_204:                            ;   in Loop: Header=BB226_14 Depth=1
	s_or_b64 exec, exec, s[42:43]
.LBB226_205:                            ;   in Loop: Header=BB226_14 Depth=1
	s_or_b64 exec, exec, s[40:41]
	global_load_ubyte v6, v[5:6], off offset:1928
	s_waitcnt vmcnt(0)
	v_cmp_ne_u16_e64 s[4:5], 0, v6
	s_and_saveexec_b64 s[40:41], s[4:5]
	s_cbranch_execz .LBB226_211
; %bb.206:                              ;   in Loop: Header=BB226_14 Depth=1
	v_cmp_ne_u16_e64 s[4:5], s52, v6
	v_bfrev_b32_e32 v56, 1
	s_and_saveexec_b64 s[42:43], s[4:5]
	s_cbranch_execz .LBB226_210
; %bb.207:                              ;   in Loop: Header=BB226_14 Depth=1
	v_and_b32_e32 v5, 0xffff, v6
	v_and_b32_e32 v7, 0x7f, v5
	v_cmp_ne_u32_e64 s[4:5], s53, v7
	v_mov_b32_e32 v56, 0x7f800001
	s_and_saveexec_b64 s[44:45], s[4:5]
	s_cbranch_execz .LBB226_209
; %bb.208:                              ;   in Loop: Header=BB226_14 Depth=1
	v_and_b32_e32 v56, 7, v5
	v_ffbh_u32_e32 v58, v56
	v_min_u32_e32 v61, 32, v58
	v_subrev_u32_e32 v58, 28, v61
	v_lshlrev_b64 v[58:59], v58, v[5:6]
	v_lshrrev_b32_e32 v60, 3, v7
	v_sub_u32_e32 v5, 29, v61
	v_and_b32_e32 v58, 7, v58
	v_cmp_gt_u32_e64 s[4:5], 8, v7
	v_cndmask_b32_e64 v5, v60, v5, s[4:5]
	v_cndmask_b32_e64 v7, v56, v58, s[4:5]
	v_lshlrev_b32_e32 v6, 24, v6
	v_lshlrev_b32_e32 v7, 20, v7
	v_and_b32_e32 v6, 0x80000000, v6
	v_lshl_add_u32 v5, v5, 23, v22
	v_or3_b32 v56, v6, v5, v7
.LBB226_209:                            ;   in Loop: Header=BB226_14 Depth=1
	s_or_b64 exec, exec, s[44:45]
.LBB226_210:                            ;   in Loop: Header=BB226_14 Depth=1
	s_or_b64 exec, exec, s[42:43]
.LBB226_211:                            ;   in Loop: Header=BB226_14 Depth=1
	s_or_b64 exec, exec, s[40:41]
	v_fma_mixlo_f16 v5, v25, v57, 0
	v_fma_mixlo_f16 v7, v25, v46, 0
	;; [unrolled: 1-line block ×32, first 2 shown]
	ds_read_u16 v25, v15
	s_waitcnt lgkmcnt(0)
	;;#ASMSTART
	v_cvt_f32_f16 v55, v25;
	;;#ASMEND
	v_and_b32_e32 v25, 0xffff, v27
	;;#ASMSTART
	v_cvt_f32_f16 v27, v25;
	;;#ASMEND
	ds_read_u16 v25, v15 offset:2
	v_and_b32_e32 v26, 0xffff, v26
	s_waitcnt lgkmcnt(0)
	;;#ASMSTART
	v_cvt_f32_f16 v25, v25;
	;;#ASMEND
	;;#ASMSTART
	v_cvt_f32_f16 v26, v26;
	;;#ASMEND
	v_mul_f32_e32 v25, v25, v26
	ds_read_u16 v26, v15 offset:4
	v_fmac_f32_e32 v25, v55, v27
	s_waitcnt lgkmcnt(0)
	;;#ASMSTART
	v_cvt_f32_f16 v26, v26;
	;;#ASMEND
	v_and_b32_e32 v27, 0xffff, v29
	;;#ASMSTART
	v_cvt_f32_f16 v27, v27;
	;;#ASMEND
	v_fmac_f32_e32 v25, v26, v27
	ds_read_u16 v26, v15 offset:6
	s_waitcnt lgkmcnt(0)
	;;#ASMSTART
	v_cvt_f32_f16 v26, v26;
	;;#ASMEND
	v_and_b32_e32 v27, 0xffff, v28
	;;#ASMSTART
	v_cvt_f32_f16 v27, v27;
	;;#ASMEND
	v_fmac_f32_e32 v25, v26, v27
	ds_read_u16 v26, v15 offset:8
	;; [unrolled: 10-line block ×27, first 2 shown]
	v_and_b32_e32 v7, 0xffff, v7
	s_waitcnt lgkmcnt(0)
	;;#ASMSTART
	v_cvt_f32_f16 v26, v26;
	;;#ASMEND
	;;#ASMSTART
	v_cvt_f32_f16 v7, v7;
	;;#ASMEND
	v_fmac_f32_e32 v25, v26, v7
	ds_read_u16 v7, v15 offset:60
	v_and_b32_e32 v5, 0xffff, v5
	s_waitcnt lgkmcnt(0)
	;;#ASMSTART
	v_cvt_f32_f16 v7, v7;
	;;#ASMEND
	;;#ASMSTART
	v_cvt_f32_f16 v5, v5;
	;;#ASMEND
	v_fmac_f32_e32 v25, v7, v5
	ds_read_u16 v5, v15 offset:62
	s_waitcnt lgkmcnt(0)
	;;#ASMSTART
	v_cvt_f32_f16 v5, v5;
	;;#ASMEND
	v_and_b32_e32 v6, 0xffff, v6
	;;#ASMSTART
	v_cvt_f32_f16 v6, v6;
	;;#ASMEND
	v_fmac_f32_e32 v25, v5, v6
	v_and_b32_e32 v5, 64, v23
	v_add_u32_e32 v6, 64, v5
	v_xor_b32_e32 v5, 4, v23
	v_cmp_lt_i32_e64 s[4:5], v5, v6
	v_cndmask_b32_e64 v5, v23, v5, s[4:5]
	v_lshlrev_b32_e32 v5, 2, v5
	ds_bpermute_b32 v5, v5, v25
	v_xor_b32_e32 v7, 2, v23
	v_cmp_lt_i32_e64 s[4:5], v7, v6
	v_cndmask_b32_e64 v7, v23, v7, s[4:5]
	v_lshlrev_b32_e32 v7, 2, v7
	s_waitcnt lgkmcnt(0)
	v_add_f32_e32 v5, v25, v5
	ds_bpermute_b32 v7, v7, v5
	s_waitcnt lgkmcnt(0)
	v_add_f32_e32 v5, v5, v7
	v_xor_b32_e32 v7, 1, v23
	v_cmp_lt_i32_e64 s[4:5], v7, v6
	v_cndmask_b32_e64 v6, v23, v7, s[4:5]
	v_lshlrev_b32_e32 v6, 2, v6
	ds_bpermute_b32 v6, v6, v5
	s_and_saveexec_b64 s[40:41], vcc
	s_cbranch_execz .LBB226_12
; %bb.212:                              ;   in Loop: Header=BB226_14 Depth=1
	v_add_u32_e32 v7, v19, v18
	v_cvt_f32_i32_e32 v7, v7
	s_waitcnt lgkmcnt(0)
	v_add_f32_e32 v5, v5, v6
	v_add_u32_e32 v25, v10, v18
	v_cmp_gt_i32_e64 s[4:5], s33, v25
	v_mul_f32_e32 v6, s48, v7
	v_cndmask_b32_e64 v6, 0, v6, s[2:3]
	v_fmac_f32_e32 v6, s37, v5
	v_cndmask_b32_e64 v5, 0, v6, s[4:5]
	ds_write_b32 v20, v5
	v_max_f32_e32 v5, v16, v16
	v_max_f32_e32 v5, v5, v6
	v_cndmask_b32_e64 v16, v16, v5, s[4:5]
	s_branch .LBB226_12
.LBB226_213:
	s_or_b64 exec, exec, s[38:39]
.LBB226_214:
	s_or_b64 exec, exec, s[18:19]
	v_mbcnt_hi_u32_b32 v1, -1, v9
	v_and_b32_e32 v10, 64, v1
	v_add_u32_e32 v2, 64, v10
	v_xor_b32_e32 v3, 32, v1
	v_cmp_lt_i32_e32 vcc, v3, v2
	v_cndmask_b32_e32 v3, v1, v3, vcc
	v_lshlrev_b32_e32 v4, 2, v3
	ds_bpermute_b32 v3, v4, v16
	s_waitcnt lgkmcnt(1)
	v_xor_b32_e32 v6, 16, v1
	v_max_f32_e32 v5, v16, v16
	v_cmp_lt_i32_e32 vcc, v6, v2
	v_xor_b32_e32 v7, 8, v1
	s_waitcnt lgkmcnt(0)
	v_max_f32_e32 v3, v3, v3
	v_max_f32_e32 v3, v5, v3
	v_cndmask_b32_e32 v5, v1, v6, vcc
	v_lshlrev_b32_e32 v6, 2, v5
	ds_bpermute_b32 v5, v6, v3
	v_cmp_lt_i32_e32 vcc, v7, v2
	v_and_b32_e32 v14, 63, v0
	s_waitcnt lgkmcnt(0)
	v_max_f32_e32 v5, v5, v5
	v_max_f32_e32 v5, v3, v5
	v_cndmask_b32_e32 v3, v1, v7, vcc
	v_lshlrev_b32_e32 v9, 2, v3
	ds_bpermute_b32 v7, v9, v5
	v_cmp_eq_u32_e32 vcc, 0, v14
	v_lshlrev_b32_e32 v3, 2, v12
	s_and_saveexec_b64 s[2:3], vcc
	s_cbranch_execz .LBB226_216
; %bb.215:
	s_waitcnt lgkmcnt(0)
	v_max_f32_e32 v7, v7, v7
	v_max_f32_e32 v5, v5, v5
	;; [unrolled: 1-line block ×3, first 2 shown]
	ds_write_b32 v3, v5 offset:512
.LBB226_216:
	s_or_b64 exec, exec, s[2:3]
	v_cmp_gt_u32_e64 s[2:3], 2, v14
	v_mov_b32_e32 v15, 0xff7fffff
	v_lshlrev_b32_e32 v5, 2, v14
	s_waitcnt lgkmcnt(0)
	s_barrier
	s_and_saveexec_b64 s[4:5], s[2:3]
; %bb.217:
	ds_read_b32 v15, v5 offset:512
; %bb.218:
	s_or_b64 exec, exec, s[4:5]
	v_xor_b32_e32 v7, 1, v1
	v_cmp_lt_i32_e64 s[4:5], v7, v2
	v_cndmask_b32_e64 v7, v1, v7, s[4:5]
	v_lshlrev_b32_e32 v7, 2, v7
	s_waitcnt lgkmcnt(0)
	ds_bpermute_b32 v16, v7, v15
	v_max_f32_e32 v15, v15, v15
	v_lshlrev_b32_e32 v10, 2, v10
	s_lshl_b32 s4, s47, 3
	s_min_i32 s37, s4, s33
	s_waitcnt lgkmcnt(0)
	v_max_f32_e32 v16, v16, v16
	v_max_f32_e32 v15, v15, v16
	ds_bpermute_b32 v15, v10, v15
	v_cmp_gt_i32_e64 s[4:5], s37, v0
	v_mov_b32_e32 v10, 0
	s_and_saveexec_b64 s[12:13], s[4:5]
	s_cbranch_execz .LBB226_222
; %bb.219:
	v_mov_b32_e32 v10, 0x210
	v_lshl_add_u32 v16, v0, 2, v10
	v_mov_b32_e32 v10, 0
	s_mov_b64 s[18:19], 0
	v_mov_b32_e32 v17, v0
.LBB226_220:                            ; =>This Inner Loop Header: Depth=1
	ds_read_b32 v18, v16
	v_add_u32_e32 v17, 0x80, v17
	v_cmp_le_i32_e64 s[6:7], s37, v17
	s_or_b64 s[18:19], s[6:7], s[18:19]
	s_waitcnt lgkmcnt(0)
	v_sub_f32_e32 v18, v18, v15
	v_mul_f32_e32 v18, 0x3fb8aa3b, v18
	v_exp_f32_e32 v18, v18
	ds_write_b32 v16, v18
	v_add_f32_e32 v10, v10, v18
	v_add_u32_e32 v16, 0x200, v16
	s_andn2_b64 exec, exec, s[18:19]
	s_cbranch_execnz .LBB226_220
; %bb.221:
	s_or_b64 exec, exec, s[18:19]
.LBB226_222:
	s_or_b64 exec, exec, s[12:13]
	ds_bpermute_b32 v4, v4, v10
	s_waitcnt lgkmcnt(0)
	v_add_f32_e32 v4, v10, v4
	ds_bpermute_b32 v6, v6, v4
	s_waitcnt lgkmcnt(0)
	v_add_f32_e32 v4, v4, v6
	ds_bpermute_b32 v6, v9, v4
	v_xor_b32_e32 v9, 4, v1
	v_cmp_lt_i32_e64 s[6:7], v9, v2
	v_cndmask_b32_e64 v9, v1, v9, s[6:7]
	v_lshlrev_b32_e32 v9, 2, v9
	s_waitcnt lgkmcnt(0)
	v_add_f32_e32 v4, v4, v6
	ds_bpermute_b32 v6, v9, v4
	v_xor_b32_e32 v9, 2, v1
	v_cmp_lt_i32_e64 s[6:7], v9, v2
	v_cndmask_b32_e64 v2, v1, v9, s[6:7]
	v_lshlrev_b32_e32 v2, 2, v2
	s_waitcnt lgkmcnt(0)
	v_add_f32_e32 v4, v4, v6
	ds_bpermute_b32 v2, v2, v4
	s_waitcnt lgkmcnt(0)
	v_add_f32_e32 v2, v4, v2
	ds_bpermute_b32 v4, v7, v2
	s_waitcnt lgkmcnt(0)
	v_add_f32_e32 v2, v2, v4
	s_and_saveexec_b64 s[6:7], vcc
; %bb.223:
	ds_write_b32 v3, v2 offset:520
; %bb.224:
	s_or_b64 exec, exec, s[6:7]
	s_waitcnt lgkmcnt(0)
	s_barrier
	s_and_saveexec_b64 s[6:7], s[2:3]
; %bb.225:
	ds_read_b32 v2, v5 offset:520
; %bb.226:
	s_or_b64 exec, exec, s[6:7]
	s_waitcnt lgkmcnt(0)
	ds_bpermute_b32 v3, v7, v2
	v_lshlrev_b32_e32 v1, 2, v1
	v_and_b32_e32 v1, 0x100, v1
	s_waitcnt lgkmcnt(0)
	v_add_f32_e32 v2, v2, v3
	ds_bpermute_b32 v1, v1, v2
	s_and_saveexec_b64 s[2:3], s[4:5]
	s_cbranch_execz .LBB226_229
; %bb.227:
	s_waitcnt lgkmcnt(0)
	v_add_f32_e32 v2, 0x358637bd, v1
	v_div_scale_f32 v1, s[4:5], v2, v2, 1.0
	v_div_scale_f32 v3, vcc, 1.0, v2, 1.0
	s_mov_b64 s[4:5], 0
	v_rcp_f32_e32 v4, v1
	v_fma_f32 v5, -v1, v4, 1.0
	v_fmac_f32_e32 v4, v5, v4
	v_mul_f32_e32 v5, v3, v4
	v_fma_f32 v6, -v1, v5, v3
	v_fmac_f32_e32 v5, v6, v4
	v_fma_f32 v1, -v1, v5, v3
	v_div_fmas_f32 v3, v1, v4, v5
	v_mov_b32_e32 v1, 0x210
	v_lshl_add_u32 v1, v0, 2, v1
	v_div_fixup_f32 v2, v3, v2, 1.0
	v_mov_b32_e32 v3, v0
.LBB226_228:                            ; =>This Inner Loop Header: Depth=1
	ds_read_b32 v4, v1
	v_add_u32_e32 v3, 0x80, v3
	v_cmp_le_i32_e32 vcc, s37, v3
	s_or_b64 s[4:5], vcc, s[4:5]
	s_waitcnt lgkmcnt(0)
	v_mul_f32_e32 v4, v2, v4
	ds_write_b32 v1, v4
	v_add_u32_e32 v1, 0x200, v1
	s_andn2_b64 exec, exec, s[4:5]
	s_cbranch_execnz .LBB226_228
.LBB226_229:
	s_or_b64 exec, exec, s[2:3]
	v_mov_b32_e32 v18, 0
	v_mov_b32_e32 v17, 0
	;; [unrolled: 1-line block ×4, first 2 shown]
	s_waitcnt lgkmcnt(0)
	s_barrier
	s_and_saveexec_b64 s[2:3], s[0:1]
	s_cbranch_execz .LBB226_435
; %bb.230:
	s_sub_i32 s37, s16, s21
	s_ashr_i32 s0, s20, 31
	s_add_u32 s6, s34, s20
	s_addc_u32 s7, s35, s0
	s_abs_i32 s22, s22
	v_cvt_f32_u32_e32 v1, s22
	s_sub_i32 s0, 0, s22
	v_lshlrev_b32_e32 v3, 3, v14
	s_add_i32 s35, s47, -1
	v_rcp_iflag_f32_e32 v1, v1
	v_mov_b32_e32 v6, s7
	v_add_co_u32_e32 v3, vcc, s6, v3
	v_mul_f32_e32 v1, 0x4f7ffffe, v1
	v_cvt_u32_f32_e32 v1, v1
	v_and_b32_e32 v5, 60, v8
	s_mov_b32 s4, -1
	s_mov_b32 s34, s17
	v_mul_lo_u32 v4, s0, v1
	s_lshl_b64 s[0:1], s[30:31], 2
	s_add_u32 s0, s28, s0
	s_addc_u32 s1, s29, s1
	v_mul_hi_u32 v7, v1, v4
	v_addc_co_u32_e32 v4, vcc, 0, v6, vcc
	v_add_co_u32_e32 v5, vcc, s0, v5
	v_add_u32_e32 v19, v1, v7
	v_mov_b32_e32 v1, s1
	v_addc_co_u32_e32 v6, vcc, 0, v1, vcc
	v_mov_b32_e32 v1, 0x210
	s_mov_b32 s5, 0xffffff
	v_mov_b32_e32 v2, 0
	v_lshl_add_u32 v20, v12, 5, v1
	s_mov_b64 s[6:7], 0
	s_movk_i32 s28, 0x80
	s_movk_i32 s29, 0x7f
	s_mov_b32 s30, 0x8000
	v_mov_b32_e32 v21, 0x2000
	v_mov_b32_e32 v15, 0
	;; [unrolled: 1-line block ×5, first 2 shown]
	s_branch .LBB226_233
.LBB226_231:                            ;   in Loop: Header=BB226_233 Depth=1
	s_or_b64 exec, exec, s[0:1]
	v_add_f32_e32 v9, v9, v10
	v_add_f32_e32 v16, v16, v9
	;; [unrolled: 1-line block ×5, first 2 shown]
	;;#ASMSTART
	v_pk_mul_f16 v7, v32, v7;

	;;#ASMEND
	;;#ASMSTART
	v_pk_mul_f16 v1, v31, v1;

	;;#ASMEND
	v_add_f32_e32 v18, v18, v9
	;;#ASMSTART
	v_pk_mul_f16 v8, v30, v8;

	;;#ASMEND
	;;#ASMSTART
	v_pk_mul_f16 v9, v29, v37;

	;;#ASMEND
	;;#ASMSTART
	v_pk_add_f16 v1, v7, v1;

	;;#ASMEND
	;;#ASMSTART
	v_pk_add_f16 v1, v1, v8;
	;; [unrolled: 4-line block ×3, first 2 shown]

	;;#ASMEND
	v_lshrrev_b32_e32 v7, 16, v1
	v_and_b32_e32 v1, 0xffff, v1
	;;#ASMSTART
	v_cvt_f32_f16 v1, v1;
	;;#ASMEND
	;;#ASMSTART
	v_cvt_f32_f16 v7, v7;
	;;#ASMEND
	v_add_f32_e32 v1, v1, v7
	v_add_f32_e32 v15, v15, v1
.LBB226_232:                            ;   in Loop: Header=BB226_233 Depth=1
	s_or_b64 exec, exec, s[12:13]
	v_add_co_u32_e32 v5, vcc, 8, v5
	v_add_u32_e32 v12, 2, v12
	v_addc_co_u32_e32 v6, vcc, 0, v6, vcc
	v_cmp_le_i32_e32 vcc, s47, v12
	v_add_u32_e32 v13, 16, v13
	s_or_b64 s[6:7], vcc, s[6:7]
	v_add_u32_e32 v20, 64, v20
	s_andn2_b64 exec, exec, s[6:7]
	s_cbranch_execz .LBB226_434
.LBB226_233:                            ; =>This Inner Loop Header: Depth=1
	v_mul_hi_u32 v1, v13, s46
	v_mul_lo_u32 v7, v1, s25
	v_add_u32_e32 v8, 1, v1
	v_sub_u32_e32 v7, v13, v7
	v_cmp_le_u32_e32 vcc, s25, v7
	v_cndmask_b32_e32 v1, v1, v8, vcc
	v_subrev_u32_e32 v8, s25, v7
	v_cndmask_b32_e32 v7, v7, v8, vcc
	v_add_u32_e32 v8, 1, v1
	v_cmp_le_u32_e32 vcc, s25, v7
	v_cndmask_b32_e32 v1, v1, v8, vcc
	v_xor_b32_e32 v1, s23, v1
	v_subrev_u32_e32 v1, s23, v1
	v_add_u32_e32 v7, s36, v1
	v_sub_u32_e32 v8, 0, v7
	v_max_i32_e32 v8, v7, v8
	v_mul_hi_u32 v9, v8, v19
	v_ashrrev_i32_e32 v7, 31, v7
	v_cmp_lt_i32_e64 s[0:1], s37, v1
	v_mul_lo_u32 v9, v9, s22
	v_sub_u32_e32 v8, v8, v9
	v_subrev_u32_e32 v9, s22, v8
	v_cmp_le_u32_e32 vcc, s22, v8
	v_cndmask_b32_e32 v8, v8, v9, vcc
	v_subrev_u32_e32 v9, s22, v8
	v_cmp_le_u32_e32 vcc, s22, v8
	v_cndmask_b32_e32 v8, v8, v9, vcc
	v_xor_b32_e32 v8, v8, v7
	v_sub_u32_e32 v7, v8, v7
	v_cmp_eq_u32_e32 vcc, 0, v7
	s_or_b64 s[0:1], vcc, s[0:1]
	s_and_saveexec_b64 s[12:13], s[0:1]
	s_cbranch_execz .LBB226_232
; %bb.234:                              ;   in Loop: Header=BB226_233 Depth=1
	global_load_dword v1, v[5:6], off
	ds_read2_b64 v[7:10], v20 offset1:1
	ds_read2_b64 v[22:25], v20 offset0:2 offset1:3
	s_waitcnt lgkmcnt(1)
	;;#ASMSTART
	v_cvt_f16_f32 v29, v7;

	;;#ASMEND
	;;#ASMSTART
	v_cvt_f16_f32 v30, v8;

	;;#ASMEND
	;; [unrolled: 4-line block ×4, first 2 shown]
	s_waitcnt lgkmcnt(0)
	;;#ASMSTART
	v_cvt_f16_f32 v34, v22;

	;;#ASMEND
	;;#ASMSTART
	v_cvt_f16_f32 v35, v23;

	;;#ASMEND
	;; [unrolled: 4-line block ×4, first 2 shown]
	v_mov_b32_e32 v23, 0
	global_load_dword v22, v23, s[14:15]
	v_mov_b32_e32 v24, 0
	s_waitcnt vmcnt(1)
	v_mad_i64_i32 v[7:8], s[0:1], v1, s34, v[3:4]
	global_load_dwordx2 v[9:10], v[7:8], off
	s_waitcnt vmcnt(0)
	v_cmp_ne_u16_sdwa s[16:17], v9, v2 src0_sel:BYTE_0 src1_sel:DWORD
	s_and_saveexec_b64 s[0:1], s[16:17]
	s_cbranch_execz .LBB226_240
; %bb.235:                              ;   in Loop: Header=BB226_233 Depth=1
	v_cmp_ne_u16_sdwa s[18:19], v9, s28 src0_sel:BYTE_0 src1_sel:DWORD
	v_mov_b32_e32 v24, 0x8000
	s_and_saveexec_b64 s[16:17], s[18:19]
	s_cbranch_execz .LBB226_239
; %bb.236:                              ;   in Loop: Header=BB226_233 Depth=1
	v_and_b32_e32 v1, 0x7f, v9
	v_cmp_ne_u32_e32 vcc, s29, v1
	v_mov_b32_e32 v24, 0x7c01
	s_and_saveexec_b64 s[18:19], vcc
	s_cbranch_execz .LBB226_238
; %bb.237:                              ;   in Loop: Header=BB226_233 Depth=1
	v_and_b32_e32 v26, 7, v9
	v_ffbh_u32_e32 v24, v26
	v_min_u32_e32 v28, 32, v24
	v_subrev_u32_e32 v24, 28, v28
	v_lshlrev_b64 v[24:25], v24, v[9:10]
	v_lshrrev_b32_e32 v27, 3, v1
	v_sub_u32_e32 v25, 29, v28
	v_cmp_gt_u32_e32 vcc, 8, v1
	v_cndmask_b32_e32 v1, v27, v25, vcc
	v_lshl_add_u32 v1, v1, 10, v21
	v_lshlrev_b32_e32 v25, 8, v9
	v_and_b32_e32 v24, 7, v24
	v_and_b32_e32 v1, 0xfc00, v1
	v_cndmask_b32_e32 v24, v26, v24, vcc
	v_and_or_b32 v1, v25, s30, v1
	v_lshl_or_b32 v24, v24, 7, v1
.LBB226_238:                            ;   in Loop: Header=BB226_233 Depth=1
	s_or_b64 exec, exec, s[18:19]
.LBB226_239:                            ;   in Loop: Header=BB226_233 Depth=1
	s_or_b64 exec, exec, s[16:17]
.LBB226_240:                            ;   in Loop: Header=BB226_233 Depth=1
	s_or_b64 exec, exec, s[0:1]
	v_lshrrev_b16_e32 v1, 8, v9
	v_cmp_ne_u16_e32 vcc, 0, v1
	s_and_saveexec_b64 s[0:1], vcc
	s_cbranch_execz .LBB226_246
; %bb.241:                              ;   in Loop: Header=BB226_233 Depth=1
	v_cmp_ne_u16_e32 vcc, s28, v1
	v_bfrev_b32_e32 v23, 1
	s_and_saveexec_b64 s[16:17], vcc
	s_cbranch_execz .LBB226_245
; %bb.242:                              ;   in Loop: Header=BB226_233 Depth=1
	v_and_b32_e32 v25, 0x7f, v1
	v_cmp_ne_u32_e32 vcc, s29, v25
	v_mov_b32_e32 v23, 0x7c010000
	s_and_saveexec_b64 s[18:19], vcc
	s_cbranch_execz .LBB226_244
; %bb.243:                              ;   in Loop: Header=BB226_233 Depth=1
	v_and_b32_e32 v23, 7, v1
	v_ffbh_u32_e32 v26, v23
	v_min_u32_e32 v32, 32, v26
	v_subrev_u32_e32 v26, 28, v32
	v_lshlrev_b64 v[26:27], v26, v[1:2]
	v_lshrrev_b32_e32 v28, 3, v25
	v_sub_u32_e32 v27, 29, v32
	v_cmp_gt_u32_e32 vcc, 8, v25
	v_cndmask_b32_e32 v25, v28, v27, vcc
	v_lshlrev_b32_e32 v1, 8, v1
	v_lshl_add_u32 v25, v25, 10, v21
	v_and_b32_e32 v26, 7, v26
	v_and_or_b32 v1, v1, s30, v25
	v_cndmask_b32_e32 v23, v23, v26, vcc
	v_lshlrev_b32_e32 v1, 16, v1
	v_lshl_or_b32 v23, v23, 23, v1
.LBB226_244:                            ;   in Loop: Header=BB226_233 Depth=1
	s_or_b64 exec, exec, s[18:19]
.LBB226_245:                            ;   in Loop: Header=BB226_233 Depth=1
	s_or_b64 exec, exec, s[16:17]
.LBB226_246:                            ;   in Loop: Header=BB226_233 Depth=1
	s_or_b64 exec, exec, s[0:1]
	v_lshrrev_b32_e32 v1, 16, v9
	v_cmp_ne_u16_sdwa s[16:17], v1, v2 src0_sel:BYTE_0 src1_sel:DWORD
	v_mov_b32_e32 v25, 0
	v_mov_b32_e32 v26, 0
	s_and_saveexec_b64 s[0:1], s[16:17]
	s_cbranch_execz .LBB226_252
; %bb.247:                              ;   in Loop: Header=BB226_233 Depth=1
	v_cmp_ne_u16_sdwa s[18:19], v1, s28 src0_sel:BYTE_0 src1_sel:DWORD
	v_mov_b32_e32 v26, 0x8000
	s_and_saveexec_b64 s[16:17], s[18:19]
	s_cbranch_execz .LBB226_251
; %bb.248:                              ;   in Loop: Header=BB226_233 Depth=1
	v_bfe_u32 v27, v9, 16, 7
	v_cmp_ne_u32_e32 vcc, s29, v27
	v_mov_b32_e32 v26, 0x7c01
	s_and_saveexec_b64 s[18:19], vcc
	s_cbranch_execz .LBB226_250
; %bb.249:                              ;   in Loop: Header=BB226_233 Depth=1
	v_and_b32_e32 v26, 7, v1
	v_ffbh_u32_e32 v32, v26
	v_min_u32_e32 v32, 32, v32
	v_lshrrev_b32_e32 v28, 3, v27
	v_subrev_u32_e32 v38, 28, v32
	v_sub_u32_e32 v32, 29, v32
	v_cmp_gt_u32_e32 vcc, 8, v27
	v_lshlrev_b64 v[38:39], v38, v[1:2]
	v_cndmask_b32_e32 v27, v28, v32, vcc
	v_lshl_add_u32 v27, v27, 10, v21
	v_lshlrev_b32_e32 v1, 8, v1
	v_and_b32_e32 v28, 7, v38
	v_and_b32_e32 v27, 0xfc00, v27
	v_cndmask_b32_e32 v26, v26, v28, vcc
	v_and_or_b32 v1, v1, s30, v27
	v_lshl_or_b32 v26, v26, 7, v1
.LBB226_250:                            ;   in Loop: Header=BB226_233 Depth=1
	s_or_b64 exec, exec, s[18:19]
.LBB226_251:                            ;   in Loop: Header=BB226_233 Depth=1
	s_or_b64 exec, exec, s[16:17]
.LBB226_252:                            ;   in Loop: Header=BB226_233 Depth=1
	s_or_b64 exec, exec, s[0:1]
	v_cmp_lt_u32_e32 vcc, s5, v9
	s_and_saveexec_b64 s[0:1], vcc
	s_cbranch_execz .LBB226_258
; %bb.253:                              ;   in Loop: Header=BB226_233 Depth=1
	v_lshrrev_b32_e32 v1, 24, v9
	v_cmp_ne_u32_e32 vcc, s28, v1
	v_bfrev_b32_e32 v25, 1
	s_and_saveexec_b64 s[16:17], vcc
	s_cbranch_execz .LBB226_257
; %bb.254:                              ;   in Loop: Header=BB226_233 Depth=1
	v_and_b32_e32 v27, 0x7f, v1
	v_cmp_ne_u32_e32 vcc, s29, v27
	v_mov_b32_e32 v25, 0x7c010000
	s_and_saveexec_b64 s[18:19], vcc
	s_cbranch_execz .LBB226_256
; %bb.255:                              ;   in Loop: Header=BB226_233 Depth=1
	v_and_b32_e32 v25, 7, v1
	v_ffbh_u32_e32 v32, v25
	v_min_u32_e32 v32, 32, v32
	v_lshrrev_b32_e32 v28, 3, v27
	v_subrev_u32_e32 v38, 28, v32
	v_sub_u32_e32 v32, 29, v32
	v_cmp_gt_u32_e32 vcc, 8, v27
	v_lshlrev_b64 v[38:39], v38, v[1:2]
	v_cndmask_b32_e32 v27, v28, v32, vcc
	v_lshlrev_b32_e32 v1, 8, v1
	v_lshl_add_u32 v27, v27, 10, v21
	v_and_b32_e32 v28, 7, v38
	v_and_or_b32 v1, v1, s30, v27
	v_cndmask_b32_e32 v25, v25, v28, vcc
	v_lshlrev_b32_e32 v1, 16, v1
	v_lshl_or_b32 v25, v25, 23, v1
.LBB226_256:                            ;   in Loop: Header=BB226_233 Depth=1
	s_or_b64 exec, exec, s[18:19]
.LBB226_257:                            ;   in Loop: Header=BB226_233 Depth=1
	s_or_b64 exec, exec, s[16:17]
.LBB226_258:                            ;   in Loop: Header=BB226_233 Depth=1
	s_or_b64 exec, exec, s[0:1]
	v_mov_b32_e32 v1, v10
	v_cmp_ne_u16_sdwa s[16:17], v10, v2 src0_sel:BYTE_0 src1_sel:DWORD
	v_mov_b32_e32 v27, 0
	v_mov_b32_e32 v28, 0
	s_and_saveexec_b64 s[0:1], s[16:17]
	s_cbranch_execz .LBB226_264
; %bb.259:                              ;   in Loop: Header=BB226_233 Depth=1
	v_cmp_ne_u16_sdwa s[18:19], v10, s28 src0_sel:BYTE_0 src1_sel:DWORD
	v_mov_b32_e32 v28, 0x8000
	s_and_saveexec_b64 s[16:17], s[18:19]
	s_cbranch_execz .LBB226_263
; %bb.260:                              ;   in Loop: Header=BB226_233 Depth=1
	v_and_b32_e32 v32, 0x7f, v10
	v_cmp_ne_u32_e32 vcc, s29, v32
	v_mov_b32_e32 v28, 0x7c01
	s_and_saveexec_b64 s[18:19], vcc
	s_cbranch_execz .LBB226_262
; %bb.261:                              ;   in Loop: Header=BB226_233 Depth=1
	v_and_b32_e32 v28, 7, v10
	v_ffbh_u32_e32 v38, v28
	v_min_u32_e32 v41, 32, v38
	v_subrev_u32_e32 v38, 28, v41
	v_lshlrev_b64 v[38:39], v38, v[1:2]
	v_lshrrev_b32_e32 v40, 3, v32
	v_sub_u32_e32 v39, 29, v41
	v_cmp_gt_u32_e32 vcc, 8, v32
	v_cndmask_b32_e32 v32, v40, v39, vcc
	v_lshl_add_u32 v32, v32, 10, v21
	v_lshlrev_b32_e32 v39, 8, v10
	v_and_b32_e32 v38, 7, v38
	v_and_b32_e32 v32, 0xfc00, v32
	v_cndmask_b32_e32 v28, v28, v38, vcc
	v_and_or_b32 v32, v39, s30, v32
	v_lshl_or_b32 v28, v28, 7, v32
.LBB226_262:                            ;   in Loop: Header=BB226_233 Depth=1
	s_or_b64 exec, exec, s[18:19]
.LBB226_263:                            ;   in Loop: Header=BB226_233 Depth=1
	s_or_b64 exec, exec, s[16:17]
.LBB226_264:                            ;   in Loop: Header=BB226_233 Depth=1
	s_or_b64 exec, exec, s[0:1]
	v_lshrrev_b16_e32 v1, 8, v1
	v_cmp_ne_u16_e32 vcc, 0, v1
	v_mov_b32_e32 v32, 0
	s_and_saveexec_b64 s[0:1], vcc
	s_cbranch_execz .LBB226_270
; %bb.265:                              ;   in Loop: Header=BB226_233 Depth=1
	v_cmp_ne_u16_e32 vcc, s28, v1
	v_bfrev_b32_e32 v32, 1
	s_and_saveexec_b64 s[16:17], vcc
	s_cbranch_execz .LBB226_269
; %bb.266:                              ;   in Loop: Header=BB226_233 Depth=1
	v_and_b32_e32 v38, 0x7f, v1
	v_cmp_ne_u32_e32 vcc, s29, v38
	v_mov_b32_e32 v32, 0x7c010000
	s_and_saveexec_b64 s[18:19], vcc
	s_cbranch_execz .LBB226_268
; %bb.267:                              ;   in Loop: Header=BB226_233 Depth=1
	v_and_b32_e32 v32, 7, v1
	v_ffbh_u32_e32 v39, v32
	v_min_u32_e32 v42, 32, v39
	v_subrev_u32_e32 v39, 28, v42
	v_lshlrev_b64 v[39:40], v39, v[1:2]
	v_lshrrev_b32_e32 v41, 3, v38
	v_sub_u32_e32 v40, 29, v42
	v_cmp_gt_u32_e32 vcc, 8, v38
	v_cndmask_b32_e32 v38, v41, v40, vcc
	v_lshlrev_b32_e32 v1, 8, v1
	v_lshl_add_u32 v38, v38, 10, v21
	v_and_b32_e32 v39, 7, v39
	v_and_or_b32 v1, v1, s30, v38
	v_cndmask_b32_e32 v32, v32, v39, vcc
	v_lshlrev_b32_e32 v1, 16, v1
	v_lshl_or_b32 v32, v32, 23, v1
.LBB226_268:                            ;   in Loop: Header=BB226_233 Depth=1
	s_or_b64 exec, exec, s[18:19]
.LBB226_269:                            ;   in Loop: Header=BB226_233 Depth=1
	s_or_b64 exec, exec, s[16:17]
.LBB226_270:                            ;   in Loop: Header=BB226_233 Depth=1
	s_or_b64 exec, exec, s[0:1]
	v_lshrrev_b32_e32 v1, 16, v10
	v_cmp_ne_u16_sdwa s[16:17], v1, v2 src0_sel:BYTE_0 src1_sel:DWORD
	s_and_saveexec_b64 s[0:1], s[16:17]
	s_cbranch_execz .LBB226_276
; %bb.271:                              ;   in Loop: Header=BB226_233 Depth=1
	v_cmp_ne_u16_sdwa s[18:19], v1, s28 src0_sel:BYTE_0 src1_sel:DWORD
	v_mov_b32_e32 v27, 0x8000
	s_and_saveexec_b64 s[16:17], s[18:19]
	s_cbranch_execz .LBB226_275
; %bb.272:                              ;   in Loop: Header=BB226_233 Depth=1
	v_bfe_u32 v38, v10, 16, 7
	v_cmp_ne_u32_e32 vcc, s29, v38
	v_mov_b32_e32 v27, 0x7c01
	s_and_saveexec_b64 s[18:19], vcc
	s_cbranch_execz .LBB226_274
; %bb.273:                              ;   in Loop: Header=BB226_233 Depth=1
	v_and_b32_e32 v27, 7, v1
	v_ffbh_u32_e32 v39, v27
	v_min_u32_e32 v42, 32, v39
	v_subrev_u32_e32 v39, 28, v42
	v_lshlrev_b64 v[39:40], v39, v[1:2]
	v_lshrrev_b32_e32 v41, 3, v38
	v_sub_u32_e32 v40, 29, v42
	v_cmp_gt_u32_e32 vcc, 8, v38
	v_cndmask_b32_e32 v38, v41, v40, vcc
	v_lshl_add_u32 v38, v38, 10, v21
	v_lshlrev_b32_e32 v1, 8, v1
	v_and_b32_e32 v39, 7, v39
	v_and_b32_e32 v38, 0xfc00, v38
	v_cndmask_b32_e32 v27, v27, v39, vcc
	v_and_or_b32 v1, v1, s30, v38
	v_lshl_or_b32 v27, v27, 7, v1
.LBB226_274:                            ;   in Loop: Header=BB226_233 Depth=1
	s_or_b64 exec, exec, s[18:19]
.LBB226_275:                            ;   in Loop: Header=BB226_233 Depth=1
	s_or_b64 exec, exec, s[16:17]
.LBB226_276:                            ;   in Loop: Header=BB226_233 Depth=1
	s_or_b64 exec, exec, s[0:1]
	v_cmp_lt_u64_e32 vcc, s[4:5], v[9:10]
	v_mov_b32_e32 v38, 0
	s_and_saveexec_b64 s[0:1], vcc
	s_cbranch_execz .LBB226_282
; %bb.277:                              ;   in Loop: Header=BB226_233 Depth=1
	v_lshrrev_b32_e32 v1, 24, v10
	v_cmp_ne_u32_e32 vcc, s28, v1
	v_bfrev_b32_e32 v38, 1
	s_and_saveexec_b64 s[16:17], vcc
	s_cbranch_execz .LBB226_281
; %bb.278:                              ;   in Loop: Header=BB226_233 Depth=1
	v_and_b32_e32 v9, 0x7f, v1
	v_cmp_ne_u32_e32 vcc, s29, v9
	v_mov_b32_e32 v38, 0x7c010000
	s_and_saveexec_b64 s[18:19], vcc
	s_cbranch_execz .LBB226_280
; %bb.279:                              ;   in Loop: Header=BB226_233 Depth=1
	v_and_b32_e32 v10, 7, v1
	v_ffbh_u32_e32 v38, v10
	v_min_u32_e32 v41, 32, v38
	v_subrev_u32_e32 v38, 28, v41
	v_lshlrev_b64 v[38:39], v38, v[1:2]
	v_lshrrev_b32_e32 v40, 3, v9
	v_sub_u32_e32 v39, 29, v41
	v_cmp_gt_u32_e32 vcc, 8, v9
	v_cndmask_b32_e32 v9, v40, v39, vcc
	v_lshlrev_b32_e32 v1, 8, v1
	v_lshl_add_u32 v9, v9, 10, v21
	v_and_b32_e32 v38, 7, v38
	v_and_or_b32 v1, v1, s30, v9
	v_cndmask_b32_e32 v10, v10, v38, vcc
	v_lshlrev_b32_e32 v1, 16, v1
	v_lshl_or_b32 v38, v10, 23, v1
.LBB226_280:                            ;   in Loop: Header=BB226_233 Depth=1
	s_or_b64 exec, exec, s[18:19]
.LBB226_281:                            ;   in Loop: Header=BB226_233 Depth=1
	s_or_b64 exec, exec, s[16:17]
.LBB226_282:                            ;   in Loop: Header=BB226_233 Depth=1
	s_or_b64 exec, exec, s[0:1]
	v_fma_mixlo_f16 v9, v22, v25, 0 op_sel:[0,1,0] op_sel_hi:[0,1,0]
	v_lshlrev_b32_e32 v39, 16, v9
	v_or_b32_e32 v9, v23, v24
	v_fma_mixlo_f16 v10, v22, v23, 0 op_sel:[0,1,0] op_sel_hi:[0,1,0]
	v_fma_mixlo_f16 v23, v22, v32, 0 op_sel:[0,1,0] op_sel_hi:[0,1,0]
	v_or_b32_e32 v1, v25, v26
	v_lshlrev_b32_e32 v42, 16, v10
	v_or_b32_e32 v10, v32, v28
	v_lshlrev_b32_e32 v32, 16, v23
	v_or_b32_e32 v23, v38, v27
	v_fma_mixlo_f16 v1, v22, v1, 0 op_sel_hi:[0,1,0]
	v_fma_mixlo_f16 v9, v22, v9, 0 op_sel_hi:[0,1,0]
	;; [unrolled: 1-line block ×4, first 2 shown]
	v_fma_mixlo_f16 v22, v22, v38, 0 op_sel:[0,1,0] op_sel_hi:[0,1,0]
	v_and_b32_e32 v40, 0xffff, v1
	v_and_b32_e32 v45, 0xffff, v9
	;; [unrolled: 1-line block ×3, first 2 shown]
	v_lshlrev_b32_e32 v41, 16, v22
	v_and_b32_e32 v44, 0xffff, v23
	v_cmp_eq_u32_e32 vcc, s35, v12
	v_or_b32_e32 v1, v39, v40
	v_or_b32_e32 v9, v42, v45
	;; [unrolled: 1-line block ×4, first 2 shown]
	v_add_u32_e32 v28, 1, v13
	v_add_u32_e32 v27, 2, v13
	;; [unrolled: 1-line block ×7, first 2 shown]
	s_and_saveexec_b64 s[16:17], vcc
	s_cbranch_execz .LBB226_284
; %bb.283:                              ;   in Loop: Header=BB226_233 Depth=1
	v_cmp_gt_i32_e64 s[0:1], s33, v13
	v_cndmask_b32_e64 v1, 0, v45, s[0:1]
	v_cmp_gt_i32_e64 s[0:1], s33, v28
	v_cndmask_b32_e64 v9, 0, v42, s[0:1]
	v_cmp_gt_i32_e64 s[0:1], s33, v27
	v_or_b32_e32 v9, v9, v1
	v_cndmask_b32_e64 v1, 0, v40, s[0:1]
	v_cmp_gt_i32_e64 s[0:1], s33, v26
	v_cndmask_b32_e64 v10, 0, v39, s[0:1]
	v_cmp_gt_i32_e64 s[0:1], s33, v25
	v_or_b32_e32 v1, v10, v1
	;; [unrolled: 5-line block ×3, first 2 shown]
	v_cndmask_b32_e64 v32, 0, v44, s[0:1]
	v_cmp_gt_i32_e64 s[0:1], s33, v22
	v_cndmask_b32_e64 v38, 0, v41, s[0:1]
	v_or_b32_e32 v38, v38, v32
.LBB226_284:                            ;   in Loop: Header=BB226_233 Depth=1
	s_or_b64 exec, exec, s[16:17]
	v_and_b32_e32 v29, 0xffff, v29
	v_lshl_or_b32 v32, v30, 16, v29
	v_and_b32_e32 v29, 0xffff, v31
	v_lshl_or_b32 v31, v33, 16, v29
	;; [unrolled: 2-line block ×3, first 2 shown]
	v_and_b32_e32 v29, 0xffff, v36
	;;#ASMSTART
	v_pk_mul_f16 v9, v32, v9;

	;;#ASMEND
	;;#ASMSTART
	v_pk_mul_f16 v1, v31, v1;

	;;#ASMEND
	v_lshl_or_b32 v29, v37, 16, v29
	;;#ASMSTART
	v_pk_mul_f16 v10, v30, v10;

	;;#ASMEND
	;;#ASMSTART
	v_pk_mul_f16 v33, v29, v38;

	;;#ASMEND
	;;#ASMSTART
	v_pk_add_f16 v1, v9, v1;

	;;#ASMEND
	;;#ASMSTART
	v_pk_add_f16 v1, v1, v10;
	;; [unrolled: 4-line block ×3, first 2 shown]

	;;#ASMEND
	v_lshrrev_b32_e32 v9, 16, v1
	v_and_b32_e32 v1, 0xffff, v1
	;;#ASMSTART
	v_cvt_f32_f16 v33, v1;
	;;#ASMEND
	;;#ASMSTART
	v_cvt_f32_f16 v34, v9;
	;;#ASMEND
	global_load_dwordx2 v[9:10], v[7:8], off offset:512
	v_mov_b32_e32 v36, 0
	global_load_dword v35, v36, s[14:15]
	v_mov_b32_e32 v37, 0
	s_waitcnt vmcnt(1)
	v_cmp_ne_u16_sdwa s[0:1], v9, v2 src0_sel:BYTE_0 src1_sel:DWORD
	s_and_saveexec_b64 s[16:17], s[0:1]
	s_cbranch_execz .LBB226_290
; %bb.285:                              ;   in Loop: Header=BB226_233 Depth=1
	v_cmp_ne_u16_sdwa s[0:1], v9, s28 src0_sel:BYTE_0 src1_sel:DWORD
	v_mov_b32_e32 v37, 0x8000
	s_and_saveexec_b64 s[18:19], s[0:1]
	s_cbranch_execz .LBB226_289
; %bb.286:                              ;   in Loop: Header=BB226_233 Depth=1
	v_and_b32_e32 v1, 0x7f, v9
	v_cmp_ne_u32_e64 s[0:1], s29, v1
	v_mov_b32_e32 v37, 0x7c01
	s_and_saveexec_b64 s[20:21], s[0:1]
	s_cbranch_execz .LBB226_288
; %bb.287:                              ;   in Loop: Header=BB226_233 Depth=1
	v_and_b32_e32 v39, 7, v9
	v_ffbh_u32_e32 v37, v39
	v_min_u32_e32 v41, 32, v37
	v_subrev_u32_e32 v37, 28, v41
	v_lshlrev_b64 v[37:38], v37, v[9:10]
	v_lshrrev_b32_e32 v40, 3, v1
	v_sub_u32_e32 v38, 29, v41
	v_cmp_gt_u32_e64 s[0:1], 8, v1
	v_cndmask_b32_e64 v1, v40, v38, s[0:1]
	v_lshl_add_u32 v1, v1, 10, v21
	v_lshlrev_b32_e32 v38, 8, v9
	v_and_b32_e32 v37, 7, v37
	v_and_b32_e32 v1, 0xfc00, v1
	v_cndmask_b32_e64 v37, v39, v37, s[0:1]
	v_and_or_b32 v1, v38, s30, v1
	v_lshl_or_b32 v37, v37, 7, v1
.LBB226_288:                            ;   in Loop: Header=BB226_233 Depth=1
	s_or_b64 exec, exec, s[20:21]
.LBB226_289:                            ;   in Loop: Header=BB226_233 Depth=1
	s_or_b64 exec, exec, s[18:19]
.LBB226_290:                            ;   in Loop: Header=BB226_233 Depth=1
	s_or_b64 exec, exec, s[16:17]
	v_lshrrev_b16_e32 v1, 8, v9
	v_cmp_ne_u16_e64 s[0:1], 0, v1
	s_and_saveexec_b64 s[16:17], s[0:1]
	s_cbranch_execz .LBB226_296
; %bb.291:                              ;   in Loop: Header=BB226_233 Depth=1
	v_cmp_ne_u16_e64 s[0:1], s28, v1
	v_bfrev_b32_e32 v36, 1
	s_and_saveexec_b64 s[18:19], s[0:1]
	s_cbranch_execz .LBB226_295
; %bb.292:                              ;   in Loop: Header=BB226_233 Depth=1
	v_and_b32_e32 v38, 0x7f, v1
	v_cmp_ne_u32_e64 s[0:1], s29, v38
	v_mov_b32_e32 v36, 0x7c010000
	s_and_saveexec_b64 s[20:21], s[0:1]
	s_cbranch_execz .LBB226_294
; %bb.293:                              ;   in Loop: Header=BB226_233 Depth=1
	v_and_b32_e32 v36, 7, v1
	v_ffbh_u32_e32 v39, v36
	v_min_u32_e32 v42, 32, v39
	v_subrev_u32_e32 v39, 28, v42
	v_lshlrev_b64 v[39:40], v39, v[1:2]
	v_lshrrev_b32_e32 v41, 3, v38
	v_sub_u32_e32 v40, 29, v42
	v_cmp_gt_u32_e64 s[0:1], 8, v38
	v_cndmask_b32_e64 v38, v41, v40, s[0:1]
	v_lshlrev_b32_e32 v1, 8, v1
	v_lshl_add_u32 v38, v38, 10, v21
	v_and_b32_e32 v39, 7, v39
	v_and_or_b32 v1, v1, s30, v38
	v_cndmask_b32_e64 v36, v36, v39, s[0:1]
	v_lshlrev_b32_e32 v1, 16, v1
	v_lshl_or_b32 v36, v36, 23, v1
.LBB226_294:                            ;   in Loop: Header=BB226_233 Depth=1
	s_or_b64 exec, exec, s[20:21]
.LBB226_295:                            ;   in Loop: Header=BB226_233 Depth=1
	s_or_b64 exec, exec, s[18:19]
.LBB226_296:                            ;   in Loop: Header=BB226_233 Depth=1
	s_or_b64 exec, exec, s[16:17]
	v_lshrrev_b32_e32 v1, 16, v9
	v_cmp_ne_u16_sdwa s[0:1], v1, v2 src0_sel:BYTE_0 src1_sel:DWORD
	v_mov_b32_e32 v38, 0
	v_mov_b32_e32 v39, 0
	s_and_saveexec_b64 s[16:17], s[0:1]
	s_cbranch_execz .LBB226_302
; %bb.297:                              ;   in Loop: Header=BB226_233 Depth=1
	v_cmp_ne_u16_sdwa s[0:1], v1, s28 src0_sel:BYTE_0 src1_sel:DWORD
	v_mov_b32_e32 v39, 0x8000
	s_and_saveexec_b64 s[18:19], s[0:1]
	s_cbranch_execz .LBB226_301
; %bb.298:                              ;   in Loop: Header=BB226_233 Depth=1
	v_bfe_u32 v40, v9, 16, 7
	v_cmp_ne_u32_e64 s[0:1], s29, v40
	v_mov_b32_e32 v39, 0x7c01
	s_and_saveexec_b64 s[20:21], s[0:1]
	s_cbranch_execz .LBB226_300
; %bb.299:                              ;   in Loop: Header=BB226_233 Depth=1
	v_and_b32_e32 v39, 7, v1
	v_ffbh_u32_e32 v41, v39
	v_min_u32_e32 v44, 32, v41
	v_subrev_u32_e32 v41, 28, v44
	v_lshlrev_b64 v[41:42], v41, v[1:2]
	v_lshrrev_b32_e32 v43, 3, v40
	v_sub_u32_e32 v42, 29, v44
	v_cmp_gt_u32_e64 s[0:1], 8, v40
	v_cndmask_b32_e64 v40, v43, v42, s[0:1]
	v_lshl_add_u32 v40, v40, 10, v21
	v_lshlrev_b32_e32 v1, 8, v1
	v_and_b32_e32 v41, 7, v41
	v_and_b32_e32 v40, 0xfc00, v40
	v_cndmask_b32_e64 v39, v39, v41, s[0:1]
	v_and_or_b32 v1, v1, s30, v40
	v_lshl_or_b32 v39, v39, 7, v1
.LBB226_300:                            ;   in Loop: Header=BB226_233 Depth=1
	s_or_b64 exec, exec, s[20:21]
.LBB226_301:                            ;   in Loop: Header=BB226_233 Depth=1
	s_or_b64 exec, exec, s[18:19]
.LBB226_302:                            ;   in Loop: Header=BB226_233 Depth=1
	s_or_b64 exec, exec, s[16:17]
	v_cmp_lt_u32_e64 s[0:1], s5, v9
	s_and_saveexec_b64 s[16:17], s[0:1]
	s_cbranch_execz .LBB226_308
; %bb.303:                              ;   in Loop: Header=BB226_233 Depth=1
	v_lshrrev_b32_e32 v1, 24, v9
	v_cmp_ne_u32_e64 s[0:1], s28, v1
	v_bfrev_b32_e32 v38, 1
	s_and_saveexec_b64 s[18:19], s[0:1]
	s_cbranch_execz .LBB226_307
; %bb.304:                              ;   in Loop: Header=BB226_233 Depth=1
	v_and_b32_e32 v40, 0x7f, v1
	v_cmp_ne_u32_e64 s[0:1], s29, v40
	v_mov_b32_e32 v38, 0x7c010000
	s_and_saveexec_b64 s[20:21], s[0:1]
	s_cbranch_execz .LBB226_306
; %bb.305:                              ;   in Loop: Header=BB226_233 Depth=1
	v_and_b32_e32 v38, 7, v1
	v_ffbh_u32_e32 v41, v38
	v_min_u32_e32 v44, 32, v41
	v_subrev_u32_e32 v41, 28, v44
	v_lshlrev_b64 v[41:42], v41, v[1:2]
	v_lshrrev_b32_e32 v43, 3, v40
	v_sub_u32_e32 v42, 29, v44
	v_cmp_gt_u32_e64 s[0:1], 8, v40
	v_cndmask_b32_e64 v40, v43, v42, s[0:1]
	v_lshlrev_b32_e32 v1, 8, v1
	v_lshl_add_u32 v40, v40, 10, v21
	v_and_b32_e32 v41, 7, v41
	v_and_or_b32 v1, v1, s30, v40
	v_cndmask_b32_e64 v38, v38, v41, s[0:1]
	v_lshlrev_b32_e32 v1, 16, v1
	v_lshl_or_b32 v38, v38, 23, v1
.LBB226_306:                            ;   in Loop: Header=BB226_233 Depth=1
	s_or_b64 exec, exec, s[20:21]
.LBB226_307:                            ;   in Loop: Header=BB226_233 Depth=1
	s_or_b64 exec, exec, s[18:19]
.LBB226_308:                            ;   in Loop: Header=BB226_233 Depth=1
	s_or_b64 exec, exec, s[16:17]
	v_mov_b32_e32 v1, v10
	v_cmp_ne_u16_sdwa s[0:1], v10, v2 src0_sel:BYTE_0 src1_sel:DWORD
	v_mov_b32_e32 v40, 0
	v_mov_b32_e32 v41, 0
	s_and_saveexec_b64 s[16:17], s[0:1]
	s_cbranch_execz .LBB226_314
; %bb.309:                              ;   in Loop: Header=BB226_233 Depth=1
	v_cmp_ne_u16_sdwa s[0:1], v10, s28 src0_sel:BYTE_0 src1_sel:DWORD
	v_mov_b32_e32 v41, 0x8000
	s_and_saveexec_b64 s[18:19], s[0:1]
	s_cbranch_execz .LBB226_313
; %bb.310:                              ;   in Loop: Header=BB226_233 Depth=1
	v_and_b32_e32 v42, 0x7f, v10
	v_cmp_ne_u32_e64 s[0:1], s29, v42
	v_mov_b32_e32 v41, 0x7c01
	s_and_saveexec_b64 s[20:21], s[0:1]
	s_cbranch_execz .LBB226_312
; %bb.311:                              ;   in Loop: Header=BB226_233 Depth=1
	v_and_b32_e32 v41, 7, v10
	v_ffbh_u32_e32 v43, v41
	v_min_u32_e32 v46, 32, v43
	v_subrev_u32_e32 v43, 28, v46
	v_lshlrev_b64 v[43:44], v43, v[1:2]
	v_lshrrev_b32_e32 v45, 3, v42
	v_sub_u32_e32 v44, 29, v46
	v_cmp_gt_u32_e64 s[0:1], 8, v42
	v_cndmask_b32_e64 v42, v45, v44, s[0:1]
	v_lshl_add_u32 v42, v42, 10, v21
	v_lshlrev_b32_e32 v44, 8, v10
	v_and_b32_e32 v43, 7, v43
	v_and_b32_e32 v42, 0xfc00, v42
	v_cndmask_b32_e64 v41, v41, v43, s[0:1]
	v_and_or_b32 v42, v44, s30, v42
	v_lshl_or_b32 v41, v41, 7, v42
.LBB226_312:                            ;   in Loop: Header=BB226_233 Depth=1
	s_or_b64 exec, exec, s[20:21]
.LBB226_313:                            ;   in Loop: Header=BB226_233 Depth=1
	s_or_b64 exec, exec, s[18:19]
.LBB226_314:                            ;   in Loop: Header=BB226_233 Depth=1
	s_or_b64 exec, exec, s[16:17]
	v_lshrrev_b16_e32 v1, 8, v1
	v_cmp_ne_u16_e64 s[0:1], 0, v1
	v_mov_b32_e32 v42, 0
	s_and_saveexec_b64 s[16:17], s[0:1]
	s_cbranch_execz .LBB226_320
; %bb.315:                              ;   in Loop: Header=BB226_233 Depth=1
	v_cmp_ne_u16_e64 s[0:1], s28, v1
	v_bfrev_b32_e32 v42, 1
	s_and_saveexec_b64 s[18:19], s[0:1]
	s_cbranch_execz .LBB226_319
; %bb.316:                              ;   in Loop: Header=BB226_233 Depth=1
	v_and_b32_e32 v43, 0x7f, v1
	v_cmp_ne_u32_e64 s[0:1], s29, v43
	v_mov_b32_e32 v42, 0x7c010000
	s_and_saveexec_b64 s[20:21], s[0:1]
	s_cbranch_execz .LBB226_318
; %bb.317:                              ;   in Loop: Header=BB226_233 Depth=1
	v_and_b32_e32 v42, 7, v1
	v_ffbh_u32_e32 v44, v42
	v_min_u32_e32 v47, 32, v44
	v_subrev_u32_e32 v44, 28, v47
	v_lshlrev_b64 v[44:45], v44, v[1:2]
	v_lshrrev_b32_e32 v46, 3, v43
	v_sub_u32_e32 v45, 29, v47
	v_cmp_gt_u32_e64 s[0:1], 8, v43
	v_cndmask_b32_e64 v43, v46, v45, s[0:1]
	v_lshlrev_b32_e32 v1, 8, v1
	v_lshl_add_u32 v43, v43, 10, v21
	v_and_b32_e32 v44, 7, v44
	v_and_or_b32 v1, v1, s30, v43
	v_cndmask_b32_e64 v42, v42, v44, s[0:1]
	v_lshlrev_b32_e32 v1, 16, v1
	v_lshl_or_b32 v42, v42, 23, v1
.LBB226_318:                            ;   in Loop: Header=BB226_233 Depth=1
	s_or_b64 exec, exec, s[20:21]
.LBB226_319:                            ;   in Loop: Header=BB226_233 Depth=1
	s_or_b64 exec, exec, s[18:19]
.LBB226_320:                            ;   in Loop: Header=BB226_233 Depth=1
	s_or_b64 exec, exec, s[16:17]
	v_lshrrev_b32_e32 v1, 16, v10
	v_cmp_ne_u16_sdwa s[0:1], v1, v2 src0_sel:BYTE_0 src1_sel:DWORD
	s_and_saveexec_b64 s[16:17], s[0:1]
	s_cbranch_execz .LBB226_326
; %bb.321:                              ;   in Loop: Header=BB226_233 Depth=1
	v_cmp_ne_u16_sdwa s[0:1], v1, s28 src0_sel:BYTE_0 src1_sel:DWORD
	v_mov_b32_e32 v40, 0x8000
	s_and_saveexec_b64 s[18:19], s[0:1]
	s_cbranch_execz .LBB226_325
; %bb.322:                              ;   in Loop: Header=BB226_233 Depth=1
	v_bfe_u32 v43, v10, 16, 7
	v_cmp_ne_u32_e64 s[0:1], s29, v43
	v_mov_b32_e32 v40, 0x7c01
	s_and_saveexec_b64 s[20:21], s[0:1]
	s_cbranch_execz .LBB226_324
; %bb.323:                              ;   in Loop: Header=BB226_233 Depth=1
	v_and_b32_e32 v40, 7, v1
	v_ffbh_u32_e32 v44, v40
	v_min_u32_e32 v47, 32, v44
	v_subrev_u32_e32 v44, 28, v47
	v_lshlrev_b64 v[44:45], v44, v[1:2]
	v_lshrrev_b32_e32 v46, 3, v43
	v_sub_u32_e32 v45, 29, v47
	v_cmp_gt_u32_e64 s[0:1], 8, v43
	v_cndmask_b32_e64 v43, v46, v45, s[0:1]
	v_lshl_add_u32 v43, v43, 10, v21
	v_lshlrev_b32_e32 v1, 8, v1
	v_and_b32_e32 v44, 7, v44
	v_and_b32_e32 v43, 0xfc00, v43
	v_cndmask_b32_e64 v40, v40, v44, s[0:1]
	v_and_or_b32 v1, v1, s30, v43
	v_lshl_or_b32 v40, v40, 7, v1
.LBB226_324:                            ;   in Loop: Header=BB226_233 Depth=1
	s_or_b64 exec, exec, s[20:21]
.LBB226_325:                            ;   in Loop: Header=BB226_233 Depth=1
	s_or_b64 exec, exec, s[18:19]
.LBB226_326:                            ;   in Loop: Header=BB226_233 Depth=1
	s_or_b64 exec, exec, s[16:17]
	v_cmp_lt_u64_e64 s[0:1], s[4:5], v[9:10]
	v_mov_b32_e32 v9, 0
	s_and_saveexec_b64 s[16:17], s[0:1]
	s_cbranch_execz .LBB226_332
; %bb.327:                              ;   in Loop: Header=BB226_233 Depth=1
	v_lshrrev_b32_e32 v1, 24, v10
	v_cmp_ne_u32_e64 s[0:1], s28, v1
	v_bfrev_b32_e32 v9, 1
	s_and_saveexec_b64 s[18:19], s[0:1]
	s_cbranch_execz .LBB226_331
; %bb.328:                              ;   in Loop: Header=BB226_233 Depth=1
	v_and_b32_e32 v10, 0x7f, v1
	v_cmp_ne_u32_e64 s[0:1], s29, v10
	v_mov_b32_e32 v9, 0x7c010000
	s_and_saveexec_b64 s[20:21], s[0:1]
	s_cbranch_execz .LBB226_330
; %bb.329:                              ;   in Loop: Header=BB226_233 Depth=1
	v_and_b32_e32 v9, 7, v1
	v_ffbh_u32_e32 v43, v9
	v_min_u32_e32 v46, 32, v43
	v_subrev_u32_e32 v43, 28, v46
	v_lshlrev_b64 v[43:44], v43, v[1:2]
	v_lshrrev_b32_e32 v45, 3, v10
	v_sub_u32_e32 v44, 29, v46
	v_cmp_gt_u32_e64 s[0:1], 8, v10
	v_cndmask_b32_e64 v10, v45, v44, s[0:1]
	v_lshlrev_b32_e32 v1, 8, v1
	v_lshl_add_u32 v10, v10, 10, v21
	v_and_b32_e32 v43, 7, v43
	v_and_or_b32 v1, v1, s30, v10
	v_cndmask_b32_e64 v9, v9, v43, s[0:1]
	v_lshlrev_b32_e32 v1, 16, v1
	v_lshl_or_b32 v9, v9, 23, v1
.LBB226_330:                            ;   in Loop: Header=BB226_233 Depth=1
	s_or_b64 exec, exec, s[20:21]
.LBB226_331:                            ;   in Loop: Header=BB226_233 Depth=1
	s_or_b64 exec, exec, s[18:19]
.LBB226_332:                            ;   in Loop: Header=BB226_233 Depth=1
	s_or_b64 exec, exec, s[16:17]
	s_waitcnt vmcnt(0)
	v_fma_mixlo_f16 v10, v35, v38, 0 op_sel:[0,1,0] op_sel_hi:[0,1,0]
	v_or_b32_e32 v1, v38, v39
	v_lshlrev_b32_e32 v38, 16, v10
	v_or_b32_e32 v10, v36, v37
	v_fma_mixlo_f16 v36, v35, v36, 0 op_sel:[0,1,0] op_sel_hi:[0,1,0]
	v_lshlrev_b32_e32 v43, 16, v36
	v_or_b32_e32 v36, v42, v41
	v_or_b32_e32 v40, v9, v40
	v_fma_mixlo_f16 v1, v35, v1, 0 op_sel_hi:[0,1,0]
	v_fma_mixlo_f16 v10, v35, v10, 0 op_sel_hi:[0,1,0]
	v_fma_mixlo_f16 v37, v35, v42, 0 op_sel:[0,1,0] op_sel_hi:[0,1,0]
	v_fma_mixlo_f16 v36, v35, v36, 0 op_sel_hi:[0,1,0]
	v_fma_mixlo_f16 v40, v35, v40, 0 op_sel_hi:[0,1,0]
	v_fma_mixlo_f16 v9, v35, v9, 0 op_sel:[0,1,0] op_sel_hi:[0,1,0]
	v_and_b32_e32 v39, 0xffff, v1
	v_and_b32_e32 v44, 0xffff, v10
	v_lshlrev_b32_e32 v37, 16, v37
	v_and_b32_e32 v41, 0xffff, v36
	v_lshlrev_b32_e32 v9, 16, v9
	v_and_b32_e32 v35, 0xffff, v40
	v_or_b32_e32 v1, v38, v39
	v_or_b32_e32 v10, v43, v44
	;; [unrolled: 1-line block ×4, first 2 shown]
	s_and_saveexec_b64 s[16:17], vcc
	s_cbranch_execz .LBB226_334
; %bb.333:                              ;   in Loop: Header=BB226_233 Depth=1
	v_cmp_gt_i32_e64 s[0:1], s33, v13
	v_cndmask_b32_e64 v1, 0, v44, s[0:1]
	v_cmp_gt_i32_e64 s[0:1], s33, v28
	v_cndmask_b32_e64 v10, 0, v43, s[0:1]
	v_cmp_gt_i32_e64 s[0:1], s33, v27
	v_or_b32_e32 v10, v10, v1
	v_cndmask_b32_e64 v1, 0, v39, s[0:1]
	v_cmp_gt_i32_e64 s[0:1], s33, v26
	v_cndmask_b32_e64 v36, 0, v38, s[0:1]
	v_cmp_gt_i32_e64 s[0:1], s33, v25
	v_or_b32_e32 v1, v36, v1
	v_cndmask_b32_e64 v36, 0, v41, s[0:1]
	v_cmp_gt_i32_e64 s[0:1], s33, v24
	v_cndmask_b32_e64 v37, 0, v37, s[0:1]
	v_cmp_gt_i32_e64 s[0:1], s33, v23
	;; [unrolled: 2-line block ×3, first 2 shown]
	v_cndmask_b32_e64 v9, 0, v9, s[0:1]
	v_or_b32_e32 v36, v37, v36
	v_or_b32_e32 v40, v9, v35
.LBB226_334:                            ;   in Loop: Header=BB226_233 Depth=1
	s_or_b64 exec, exec, s[16:17]
	;;#ASMSTART
	v_pk_mul_f16 v9, v32, v10;

	;;#ASMEND
	;;#ASMSTART
	v_pk_mul_f16 v1, v31, v1;

	;;#ASMEND
	;; [unrolled: 4-line block ×4, first 2 shown]
	;;#ASMSTART
	v_pk_add_f16 v1, v9, v1;

	;;#ASMEND
	;;#ASMSTART
	v_pk_add_f16 v1, v1, v10;

	;;#ASMEND
	;; [unrolled: 4-line block ×3, first 2 shown]
	v_lshrrev_b32_e32 v9, 16, v1
	v_and_b32_e32 v1, 0xffff, v1
	;;#ASMSTART
	v_cvt_f32_f16 v35, v1;
	;;#ASMEND
	;;#ASMSTART
	v_cvt_f32_f16 v36, v9;
	;;#ASMEND
	global_load_dwordx2 v[9:10], v[7:8], off offset:1024
	v_mov_b32_e32 v38, 0
	global_load_dword v37, v38, s[14:15]
	v_mov_b32_e32 v39, 0
	s_waitcnt vmcnt(1)
	v_cmp_ne_u16_sdwa s[0:1], v9, v2 src0_sel:BYTE_0 src1_sel:DWORD
	s_and_saveexec_b64 s[16:17], s[0:1]
	s_cbranch_execz .LBB226_340
; %bb.335:                              ;   in Loop: Header=BB226_233 Depth=1
	v_cmp_ne_u16_sdwa s[0:1], v9, s28 src0_sel:BYTE_0 src1_sel:DWORD
	v_mov_b32_e32 v39, 0x8000
	s_and_saveexec_b64 s[18:19], s[0:1]
	s_cbranch_execz .LBB226_339
; %bb.336:                              ;   in Loop: Header=BB226_233 Depth=1
	v_and_b32_e32 v1, 0x7f, v9
	v_cmp_ne_u32_e64 s[0:1], s29, v1
	v_mov_b32_e32 v39, 0x7c01
	s_and_saveexec_b64 s[20:21], s[0:1]
	s_cbranch_execz .LBB226_338
; %bb.337:                              ;   in Loop: Header=BB226_233 Depth=1
	v_and_b32_e32 v41, 7, v9
	v_ffbh_u32_e32 v39, v41
	v_min_u32_e32 v43, 32, v39
	v_subrev_u32_e32 v39, 28, v43
	v_lshlrev_b64 v[39:40], v39, v[9:10]
	v_lshrrev_b32_e32 v42, 3, v1
	v_sub_u32_e32 v40, 29, v43
	v_cmp_gt_u32_e64 s[0:1], 8, v1
	v_cndmask_b32_e64 v1, v42, v40, s[0:1]
	v_lshl_add_u32 v1, v1, 10, v21
	v_lshlrev_b32_e32 v40, 8, v9
	v_and_b32_e32 v39, 7, v39
	v_and_b32_e32 v1, 0xfc00, v1
	v_cndmask_b32_e64 v39, v41, v39, s[0:1]
	v_and_or_b32 v1, v40, s30, v1
	v_lshl_or_b32 v39, v39, 7, v1
.LBB226_338:                            ;   in Loop: Header=BB226_233 Depth=1
	s_or_b64 exec, exec, s[20:21]
.LBB226_339:                            ;   in Loop: Header=BB226_233 Depth=1
	s_or_b64 exec, exec, s[18:19]
.LBB226_340:                            ;   in Loop: Header=BB226_233 Depth=1
	s_or_b64 exec, exec, s[16:17]
	v_lshrrev_b16_e32 v1, 8, v9
	v_cmp_ne_u16_e64 s[0:1], 0, v1
	s_and_saveexec_b64 s[16:17], s[0:1]
	s_cbranch_execz .LBB226_346
; %bb.341:                              ;   in Loop: Header=BB226_233 Depth=1
	v_cmp_ne_u16_e64 s[0:1], s28, v1
	v_bfrev_b32_e32 v38, 1
	s_and_saveexec_b64 s[18:19], s[0:1]
	s_cbranch_execz .LBB226_345
; %bb.342:                              ;   in Loop: Header=BB226_233 Depth=1
	v_and_b32_e32 v40, 0x7f, v1
	v_cmp_ne_u32_e64 s[0:1], s29, v40
	v_mov_b32_e32 v38, 0x7c010000
	s_and_saveexec_b64 s[20:21], s[0:1]
	s_cbranch_execz .LBB226_344
; %bb.343:                              ;   in Loop: Header=BB226_233 Depth=1
	v_and_b32_e32 v38, 7, v1
	v_ffbh_u32_e32 v41, v38
	v_min_u32_e32 v44, 32, v41
	v_subrev_u32_e32 v41, 28, v44
	v_lshlrev_b64 v[41:42], v41, v[1:2]
	v_lshrrev_b32_e32 v43, 3, v40
	v_sub_u32_e32 v42, 29, v44
	v_cmp_gt_u32_e64 s[0:1], 8, v40
	v_cndmask_b32_e64 v40, v43, v42, s[0:1]
	v_lshlrev_b32_e32 v1, 8, v1
	v_lshl_add_u32 v40, v40, 10, v21
	v_and_b32_e32 v41, 7, v41
	v_and_or_b32 v1, v1, s30, v40
	v_cndmask_b32_e64 v38, v38, v41, s[0:1]
	v_lshlrev_b32_e32 v1, 16, v1
	v_lshl_or_b32 v38, v38, 23, v1
.LBB226_344:                            ;   in Loop: Header=BB226_233 Depth=1
	s_or_b64 exec, exec, s[20:21]
.LBB226_345:                            ;   in Loop: Header=BB226_233 Depth=1
	s_or_b64 exec, exec, s[18:19]
.LBB226_346:                            ;   in Loop: Header=BB226_233 Depth=1
	s_or_b64 exec, exec, s[16:17]
	v_lshrrev_b32_e32 v1, 16, v9
	v_cmp_ne_u16_sdwa s[0:1], v1, v2 src0_sel:BYTE_0 src1_sel:DWORD
	v_mov_b32_e32 v40, 0
	v_mov_b32_e32 v41, 0
	s_and_saveexec_b64 s[16:17], s[0:1]
	s_cbranch_execz .LBB226_352
; %bb.347:                              ;   in Loop: Header=BB226_233 Depth=1
	v_cmp_ne_u16_sdwa s[0:1], v1, s28 src0_sel:BYTE_0 src1_sel:DWORD
	v_mov_b32_e32 v41, 0x8000
	s_and_saveexec_b64 s[18:19], s[0:1]
	s_cbranch_execz .LBB226_351
; %bb.348:                              ;   in Loop: Header=BB226_233 Depth=1
	v_bfe_u32 v42, v9, 16, 7
	v_cmp_ne_u32_e64 s[0:1], s29, v42
	v_mov_b32_e32 v41, 0x7c01
	s_and_saveexec_b64 s[20:21], s[0:1]
	s_cbranch_execz .LBB226_350
; %bb.349:                              ;   in Loop: Header=BB226_233 Depth=1
	v_and_b32_e32 v41, 7, v1
	v_ffbh_u32_e32 v43, v41
	v_min_u32_e32 v46, 32, v43
	v_subrev_u32_e32 v43, 28, v46
	v_lshlrev_b64 v[43:44], v43, v[1:2]
	v_lshrrev_b32_e32 v45, 3, v42
	v_sub_u32_e32 v44, 29, v46
	v_cmp_gt_u32_e64 s[0:1], 8, v42
	v_cndmask_b32_e64 v42, v45, v44, s[0:1]
	v_lshl_add_u32 v42, v42, 10, v21
	v_lshlrev_b32_e32 v1, 8, v1
	v_and_b32_e32 v43, 7, v43
	v_and_b32_e32 v42, 0xfc00, v42
	v_cndmask_b32_e64 v41, v41, v43, s[0:1]
	v_and_or_b32 v1, v1, s30, v42
	v_lshl_or_b32 v41, v41, 7, v1
.LBB226_350:                            ;   in Loop: Header=BB226_233 Depth=1
	s_or_b64 exec, exec, s[20:21]
.LBB226_351:                            ;   in Loop: Header=BB226_233 Depth=1
	s_or_b64 exec, exec, s[18:19]
.LBB226_352:                            ;   in Loop: Header=BB226_233 Depth=1
	s_or_b64 exec, exec, s[16:17]
	v_cmp_lt_u32_e64 s[0:1], s5, v9
	s_and_saveexec_b64 s[16:17], s[0:1]
	s_cbranch_execz .LBB226_358
; %bb.353:                              ;   in Loop: Header=BB226_233 Depth=1
	v_lshrrev_b32_e32 v1, 24, v9
	v_cmp_ne_u32_e64 s[0:1], s28, v1
	v_bfrev_b32_e32 v40, 1
	s_and_saveexec_b64 s[18:19], s[0:1]
	s_cbranch_execz .LBB226_357
; %bb.354:                              ;   in Loop: Header=BB226_233 Depth=1
	v_and_b32_e32 v42, 0x7f, v1
	v_cmp_ne_u32_e64 s[0:1], s29, v42
	v_mov_b32_e32 v40, 0x7c010000
	s_and_saveexec_b64 s[20:21], s[0:1]
	s_cbranch_execz .LBB226_356
; %bb.355:                              ;   in Loop: Header=BB226_233 Depth=1
	v_and_b32_e32 v40, 7, v1
	v_ffbh_u32_e32 v43, v40
	v_min_u32_e32 v46, 32, v43
	v_subrev_u32_e32 v43, 28, v46
	v_lshlrev_b64 v[43:44], v43, v[1:2]
	v_lshrrev_b32_e32 v45, 3, v42
	v_sub_u32_e32 v44, 29, v46
	v_cmp_gt_u32_e64 s[0:1], 8, v42
	v_cndmask_b32_e64 v42, v45, v44, s[0:1]
	v_lshlrev_b32_e32 v1, 8, v1
	v_lshl_add_u32 v42, v42, 10, v21
	v_and_b32_e32 v43, 7, v43
	v_and_or_b32 v1, v1, s30, v42
	v_cndmask_b32_e64 v40, v40, v43, s[0:1]
	v_lshlrev_b32_e32 v1, 16, v1
	v_lshl_or_b32 v40, v40, 23, v1
.LBB226_356:                            ;   in Loop: Header=BB226_233 Depth=1
	s_or_b64 exec, exec, s[20:21]
.LBB226_357:                            ;   in Loop: Header=BB226_233 Depth=1
	s_or_b64 exec, exec, s[18:19]
.LBB226_358:                            ;   in Loop: Header=BB226_233 Depth=1
	s_or_b64 exec, exec, s[16:17]
	v_mov_b32_e32 v1, v10
	v_cmp_ne_u16_sdwa s[0:1], v10, v2 src0_sel:BYTE_0 src1_sel:DWORD
	v_mov_b32_e32 v42, 0
	v_mov_b32_e32 v43, 0
	s_and_saveexec_b64 s[16:17], s[0:1]
	s_cbranch_execz .LBB226_364
; %bb.359:                              ;   in Loop: Header=BB226_233 Depth=1
	v_cmp_ne_u16_sdwa s[0:1], v10, s28 src0_sel:BYTE_0 src1_sel:DWORD
	v_mov_b32_e32 v43, 0x8000
	s_and_saveexec_b64 s[18:19], s[0:1]
	s_cbranch_execz .LBB226_363
; %bb.360:                              ;   in Loop: Header=BB226_233 Depth=1
	v_and_b32_e32 v44, 0x7f, v10
	v_cmp_ne_u32_e64 s[0:1], s29, v44
	v_mov_b32_e32 v43, 0x7c01
	s_and_saveexec_b64 s[20:21], s[0:1]
	s_cbranch_execz .LBB226_362
; %bb.361:                              ;   in Loop: Header=BB226_233 Depth=1
	v_and_b32_e32 v43, 7, v10
	v_ffbh_u32_e32 v45, v43
	v_min_u32_e32 v48, 32, v45
	v_subrev_u32_e32 v45, 28, v48
	v_lshlrev_b64 v[45:46], v45, v[1:2]
	v_lshrrev_b32_e32 v47, 3, v44
	v_sub_u32_e32 v46, 29, v48
	v_cmp_gt_u32_e64 s[0:1], 8, v44
	v_cndmask_b32_e64 v44, v47, v46, s[0:1]
	v_lshl_add_u32 v44, v44, 10, v21
	v_lshlrev_b32_e32 v46, 8, v10
	v_and_b32_e32 v45, 7, v45
	v_and_b32_e32 v44, 0xfc00, v44
	v_cndmask_b32_e64 v43, v43, v45, s[0:1]
	v_and_or_b32 v44, v46, s30, v44
	v_lshl_or_b32 v43, v43, 7, v44
.LBB226_362:                            ;   in Loop: Header=BB226_233 Depth=1
	s_or_b64 exec, exec, s[20:21]
.LBB226_363:                            ;   in Loop: Header=BB226_233 Depth=1
	s_or_b64 exec, exec, s[18:19]
.LBB226_364:                            ;   in Loop: Header=BB226_233 Depth=1
	s_or_b64 exec, exec, s[16:17]
	v_lshrrev_b16_e32 v1, 8, v1
	v_cmp_ne_u16_e64 s[0:1], 0, v1
	v_mov_b32_e32 v44, 0
	s_and_saveexec_b64 s[16:17], s[0:1]
	s_cbranch_execz .LBB226_370
; %bb.365:                              ;   in Loop: Header=BB226_233 Depth=1
	v_cmp_ne_u16_e64 s[0:1], s28, v1
	v_bfrev_b32_e32 v44, 1
	s_and_saveexec_b64 s[18:19], s[0:1]
	s_cbranch_execz .LBB226_369
; %bb.366:                              ;   in Loop: Header=BB226_233 Depth=1
	v_and_b32_e32 v45, 0x7f, v1
	v_cmp_ne_u32_e64 s[0:1], s29, v45
	v_mov_b32_e32 v44, 0x7c010000
	s_and_saveexec_b64 s[20:21], s[0:1]
	s_cbranch_execz .LBB226_368
; %bb.367:                              ;   in Loop: Header=BB226_233 Depth=1
	v_and_b32_e32 v44, 7, v1
	v_ffbh_u32_e32 v46, v44
	v_min_u32_e32 v49, 32, v46
	v_subrev_u32_e32 v46, 28, v49
	v_lshlrev_b64 v[46:47], v46, v[1:2]
	v_lshrrev_b32_e32 v48, 3, v45
	v_sub_u32_e32 v47, 29, v49
	v_cmp_gt_u32_e64 s[0:1], 8, v45
	v_cndmask_b32_e64 v45, v48, v47, s[0:1]
	v_lshlrev_b32_e32 v1, 8, v1
	v_lshl_add_u32 v45, v45, 10, v21
	v_and_b32_e32 v46, 7, v46
	v_and_or_b32 v1, v1, s30, v45
	v_cndmask_b32_e64 v44, v44, v46, s[0:1]
	v_lshlrev_b32_e32 v1, 16, v1
	v_lshl_or_b32 v44, v44, 23, v1
.LBB226_368:                            ;   in Loop: Header=BB226_233 Depth=1
	s_or_b64 exec, exec, s[20:21]
.LBB226_369:                            ;   in Loop: Header=BB226_233 Depth=1
	s_or_b64 exec, exec, s[18:19]
.LBB226_370:                            ;   in Loop: Header=BB226_233 Depth=1
	s_or_b64 exec, exec, s[16:17]
	v_lshrrev_b32_e32 v1, 16, v10
	v_cmp_ne_u16_sdwa s[0:1], v1, v2 src0_sel:BYTE_0 src1_sel:DWORD
	s_and_saveexec_b64 s[16:17], s[0:1]
	s_cbranch_execz .LBB226_376
; %bb.371:                              ;   in Loop: Header=BB226_233 Depth=1
	v_cmp_ne_u16_sdwa s[0:1], v1, s28 src0_sel:BYTE_0 src1_sel:DWORD
	v_mov_b32_e32 v42, 0x8000
	s_and_saveexec_b64 s[18:19], s[0:1]
	s_cbranch_execz .LBB226_375
; %bb.372:                              ;   in Loop: Header=BB226_233 Depth=1
	v_bfe_u32 v45, v10, 16, 7
	v_cmp_ne_u32_e64 s[0:1], s29, v45
	v_mov_b32_e32 v42, 0x7c01
	s_and_saveexec_b64 s[20:21], s[0:1]
	s_cbranch_execz .LBB226_374
; %bb.373:                              ;   in Loop: Header=BB226_233 Depth=1
	v_and_b32_e32 v42, 7, v1
	v_ffbh_u32_e32 v46, v42
	v_min_u32_e32 v49, 32, v46
	v_subrev_u32_e32 v46, 28, v49
	v_lshlrev_b64 v[46:47], v46, v[1:2]
	v_lshrrev_b32_e32 v48, 3, v45
	v_sub_u32_e32 v47, 29, v49
	v_cmp_gt_u32_e64 s[0:1], 8, v45
	v_cndmask_b32_e64 v45, v48, v47, s[0:1]
	v_lshl_add_u32 v45, v45, 10, v21
	v_lshlrev_b32_e32 v1, 8, v1
	v_and_b32_e32 v46, 7, v46
	v_and_b32_e32 v45, 0xfc00, v45
	v_cndmask_b32_e64 v42, v42, v46, s[0:1]
	v_and_or_b32 v1, v1, s30, v45
	v_lshl_or_b32 v42, v42, 7, v1
.LBB226_374:                            ;   in Loop: Header=BB226_233 Depth=1
	s_or_b64 exec, exec, s[20:21]
.LBB226_375:                            ;   in Loop: Header=BB226_233 Depth=1
	s_or_b64 exec, exec, s[18:19]
.LBB226_376:                            ;   in Loop: Header=BB226_233 Depth=1
	s_or_b64 exec, exec, s[16:17]
	v_cmp_lt_u64_e64 s[0:1], s[4:5], v[9:10]
	v_mov_b32_e32 v9, 0
	s_and_saveexec_b64 s[16:17], s[0:1]
	s_cbranch_execz .LBB226_382
; %bb.377:                              ;   in Loop: Header=BB226_233 Depth=1
	v_lshrrev_b32_e32 v1, 24, v10
	v_cmp_ne_u32_e64 s[0:1], s28, v1
	v_bfrev_b32_e32 v9, 1
	s_and_saveexec_b64 s[18:19], s[0:1]
	s_cbranch_execz .LBB226_381
; %bb.378:                              ;   in Loop: Header=BB226_233 Depth=1
	v_and_b32_e32 v10, 0x7f, v1
	v_cmp_ne_u32_e64 s[0:1], s29, v10
	v_mov_b32_e32 v9, 0x7c010000
	s_and_saveexec_b64 s[20:21], s[0:1]
	s_cbranch_execz .LBB226_380
; %bb.379:                              ;   in Loop: Header=BB226_233 Depth=1
	v_and_b32_e32 v9, 7, v1
	v_ffbh_u32_e32 v45, v9
	v_min_u32_e32 v48, 32, v45
	v_subrev_u32_e32 v45, 28, v48
	v_lshlrev_b64 v[45:46], v45, v[1:2]
	v_lshrrev_b32_e32 v47, 3, v10
	v_sub_u32_e32 v46, 29, v48
	v_cmp_gt_u32_e64 s[0:1], 8, v10
	v_cndmask_b32_e64 v10, v47, v46, s[0:1]
	v_lshlrev_b32_e32 v1, 8, v1
	v_lshl_add_u32 v10, v10, 10, v21
	v_and_b32_e32 v45, 7, v45
	v_and_or_b32 v1, v1, s30, v10
	v_cndmask_b32_e64 v9, v9, v45, s[0:1]
	v_lshlrev_b32_e32 v1, 16, v1
	v_lshl_or_b32 v9, v9, 23, v1
.LBB226_380:                            ;   in Loop: Header=BB226_233 Depth=1
	s_or_b64 exec, exec, s[20:21]
.LBB226_381:                            ;   in Loop: Header=BB226_233 Depth=1
	s_or_b64 exec, exec, s[18:19]
.LBB226_382:                            ;   in Loop: Header=BB226_233 Depth=1
	s_or_b64 exec, exec, s[16:17]
	s_waitcnt vmcnt(0)
	v_fma_mixlo_f16 v10, v37, v40, 0 op_sel:[0,1,0] op_sel_hi:[0,1,0]
	v_or_b32_e32 v1, v40, v41
	v_lshlrev_b32_e32 v40, 16, v10
	v_or_b32_e32 v10, v38, v39
	v_fma_mixlo_f16 v38, v37, v38, 0 op_sel:[0,1,0] op_sel_hi:[0,1,0]
	v_lshlrev_b32_e32 v45, 16, v38
	v_or_b32_e32 v38, v44, v43
	v_or_b32_e32 v42, v9, v42
	v_fma_mixlo_f16 v1, v37, v1, 0 op_sel_hi:[0,1,0]
	v_fma_mixlo_f16 v10, v37, v10, 0 op_sel_hi:[0,1,0]
	v_fma_mixlo_f16 v39, v37, v44, 0 op_sel:[0,1,0] op_sel_hi:[0,1,0]
	v_fma_mixlo_f16 v38, v37, v38, 0 op_sel_hi:[0,1,0]
	v_fma_mixlo_f16 v42, v37, v42, 0 op_sel_hi:[0,1,0]
	v_fma_mixlo_f16 v9, v37, v9, 0 op_sel:[0,1,0] op_sel_hi:[0,1,0]
	v_and_b32_e32 v41, 0xffff, v1
	v_and_b32_e32 v46, 0xffff, v10
	v_lshlrev_b32_e32 v39, 16, v39
	v_and_b32_e32 v43, 0xffff, v38
	v_lshlrev_b32_e32 v9, 16, v9
	v_and_b32_e32 v37, 0xffff, v42
	v_or_b32_e32 v1, v40, v41
	v_or_b32_e32 v10, v45, v46
	v_or_b32_e32 v38, v39, v43
	v_or_b32_e32 v42, v9, v37
	s_and_saveexec_b64 s[16:17], vcc
	s_cbranch_execz .LBB226_384
; %bb.383:                              ;   in Loop: Header=BB226_233 Depth=1
	v_cmp_gt_i32_e64 s[0:1], s33, v13
	v_cndmask_b32_e64 v1, 0, v46, s[0:1]
	v_cmp_gt_i32_e64 s[0:1], s33, v28
	v_cndmask_b32_e64 v10, 0, v45, s[0:1]
	v_cmp_gt_i32_e64 s[0:1], s33, v27
	v_or_b32_e32 v10, v10, v1
	v_cndmask_b32_e64 v1, 0, v41, s[0:1]
	v_cmp_gt_i32_e64 s[0:1], s33, v26
	v_cndmask_b32_e64 v38, 0, v40, s[0:1]
	v_cmp_gt_i32_e64 s[0:1], s33, v25
	v_or_b32_e32 v1, v38, v1
	v_cndmask_b32_e64 v38, 0, v43, s[0:1]
	v_cmp_gt_i32_e64 s[0:1], s33, v24
	v_cndmask_b32_e64 v39, 0, v39, s[0:1]
	v_cmp_gt_i32_e64 s[0:1], s33, v23
	;; [unrolled: 2-line block ×3, first 2 shown]
	v_cndmask_b32_e64 v9, 0, v9, s[0:1]
	v_or_b32_e32 v38, v39, v38
	v_or_b32_e32 v42, v9, v37
.LBB226_384:                            ;   in Loop: Header=BB226_233 Depth=1
	s_or_b64 exec, exec, s[16:17]
	;;#ASMSTART
	v_pk_mul_f16 v9, v32, v10;

	;;#ASMEND
	;;#ASMSTART
	v_pk_mul_f16 v1, v31, v1;

	;;#ASMEND
	;; [unrolled: 4-line block ×4, first 2 shown]
	;;#ASMSTART
	v_pk_add_f16 v1, v9, v1;

	;;#ASMEND
	;;#ASMSTART
	v_pk_add_f16 v1, v1, v10;

	;;#ASMEND
	;; [unrolled: 4-line block ×3, first 2 shown]
	v_lshrrev_b32_e32 v10, 16, v1
	v_and_b32_e32 v1, 0xffff, v1
	;;#ASMSTART
	v_cvt_f32_f16 v9, v1;
	;;#ASMEND
	;;#ASMSTART
	v_cvt_f32_f16 v10, v10;
	;;#ASMEND
	global_load_dwordx2 v[7:8], v[7:8], off offset:1536
	v_mov_b32_e32 v38, 0
	global_load_dword v37, v38, s[14:15]
	v_mov_b32_e32 v39, 0
	s_waitcnt vmcnt(1)
	v_cmp_ne_u16_sdwa s[0:1], v7, v2 src0_sel:BYTE_0 src1_sel:DWORD
	s_and_saveexec_b64 s[16:17], s[0:1]
	s_cbranch_execz .LBB226_390
; %bb.385:                              ;   in Loop: Header=BB226_233 Depth=1
	v_cmp_ne_u16_sdwa s[0:1], v7, s28 src0_sel:BYTE_0 src1_sel:DWORD
	v_mov_b32_e32 v39, 0x8000
	s_and_saveexec_b64 s[18:19], s[0:1]
	s_cbranch_execz .LBB226_389
; %bb.386:                              ;   in Loop: Header=BB226_233 Depth=1
	v_and_b32_e32 v1, 0x7f, v7
	v_cmp_ne_u32_e64 s[0:1], s29, v1
	v_mov_b32_e32 v39, 0x7c01
	s_and_saveexec_b64 s[20:21], s[0:1]
	s_cbranch_execz .LBB226_388
; %bb.387:                              ;   in Loop: Header=BB226_233 Depth=1
	v_and_b32_e32 v41, 7, v7
	v_ffbh_u32_e32 v39, v41
	v_min_u32_e32 v43, 32, v39
	v_subrev_u32_e32 v39, 28, v43
	v_lshlrev_b64 v[39:40], v39, v[7:8]
	v_lshrrev_b32_e32 v42, 3, v1
	v_sub_u32_e32 v40, 29, v43
	v_cmp_gt_u32_e64 s[0:1], 8, v1
	v_cndmask_b32_e64 v1, v42, v40, s[0:1]
	v_lshl_add_u32 v1, v1, 10, v21
	v_lshlrev_b32_e32 v40, 8, v7
	v_and_b32_e32 v39, 7, v39
	v_and_b32_e32 v1, 0xfc00, v1
	v_cndmask_b32_e64 v39, v41, v39, s[0:1]
	v_and_or_b32 v1, v40, s30, v1
	v_lshl_or_b32 v39, v39, 7, v1
.LBB226_388:                            ;   in Loop: Header=BB226_233 Depth=1
	s_or_b64 exec, exec, s[20:21]
.LBB226_389:                            ;   in Loop: Header=BB226_233 Depth=1
	s_or_b64 exec, exec, s[18:19]
.LBB226_390:                            ;   in Loop: Header=BB226_233 Depth=1
	s_or_b64 exec, exec, s[16:17]
	v_lshrrev_b16_e32 v1, 8, v7
	v_cmp_ne_u16_e64 s[0:1], 0, v1
	s_and_saveexec_b64 s[16:17], s[0:1]
	s_cbranch_execz .LBB226_396
; %bb.391:                              ;   in Loop: Header=BB226_233 Depth=1
	v_cmp_ne_u16_e64 s[0:1], s28, v1
	v_bfrev_b32_e32 v38, 1
	s_and_saveexec_b64 s[18:19], s[0:1]
	s_cbranch_execz .LBB226_395
; %bb.392:                              ;   in Loop: Header=BB226_233 Depth=1
	v_and_b32_e32 v40, 0x7f, v1
	v_cmp_ne_u32_e64 s[0:1], s29, v40
	v_mov_b32_e32 v38, 0x7c010000
	s_and_saveexec_b64 s[20:21], s[0:1]
	s_cbranch_execz .LBB226_394
; %bb.393:                              ;   in Loop: Header=BB226_233 Depth=1
	v_and_b32_e32 v38, 7, v1
	v_ffbh_u32_e32 v41, v38
	v_min_u32_e32 v44, 32, v41
	v_subrev_u32_e32 v41, 28, v44
	v_lshlrev_b64 v[41:42], v41, v[1:2]
	v_lshrrev_b32_e32 v43, 3, v40
	v_sub_u32_e32 v42, 29, v44
	v_cmp_gt_u32_e64 s[0:1], 8, v40
	v_cndmask_b32_e64 v40, v43, v42, s[0:1]
	v_lshlrev_b32_e32 v1, 8, v1
	v_lshl_add_u32 v40, v40, 10, v21
	v_and_b32_e32 v41, 7, v41
	v_and_or_b32 v1, v1, s30, v40
	v_cndmask_b32_e64 v38, v38, v41, s[0:1]
	v_lshlrev_b32_e32 v1, 16, v1
	v_lshl_or_b32 v38, v38, 23, v1
.LBB226_394:                            ;   in Loop: Header=BB226_233 Depth=1
	s_or_b64 exec, exec, s[20:21]
.LBB226_395:                            ;   in Loop: Header=BB226_233 Depth=1
	s_or_b64 exec, exec, s[18:19]
.LBB226_396:                            ;   in Loop: Header=BB226_233 Depth=1
	s_or_b64 exec, exec, s[16:17]
	v_lshrrev_b32_e32 v1, 16, v7
	v_cmp_ne_u16_sdwa s[0:1], v1, v2 src0_sel:BYTE_0 src1_sel:DWORD
	v_mov_b32_e32 v40, 0
	v_mov_b32_e32 v41, 0
	s_and_saveexec_b64 s[16:17], s[0:1]
	s_cbranch_execz .LBB226_402
; %bb.397:                              ;   in Loop: Header=BB226_233 Depth=1
	v_cmp_ne_u16_sdwa s[0:1], v1, s28 src0_sel:BYTE_0 src1_sel:DWORD
	v_mov_b32_e32 v41, 0x8000
	s_and_saveexec_b64 s[18:19], s[0:1]
	s_cbranch_execz .LBB226_401
; %bb.398:                              ;   in Loop: Header=BB226_233 Depth=1
	v_bfe_u32 v42, v7, 16, 7
	v_cmp_ne_u32_e64 s[0:1], s29, v42
	v_mov_b32_e32 v41, 0x7c01
	s_and_saveexec_b64 s[20:21], s[0:1]
	s_cbranch_execz .LBB226_400
; %bb.399:                              ;   in Loop: Header=BB226_233 Depth=1
	v_and_b32_e32 v41, 7, v1
	v_ffbh_u32_e32 v43, v41
	v_min_u32_e32 v46, 32, v43
	v_subrev_u32_e32 v43, 28, v46
	v_lshlrev_b64 v[43:44], v43, v[1:2]
	v_lshrrev_b32_e32 v45, 3, v42
	v_sub_u32_e32 v44, 29, v46
	v_cmp_gt_u32_e64 s[0:1], 8, v42
	v_cndmask_b32_e64 v42, v45, v44, s[0:1]
	v_lshl_add_u32 v42, v42, 10, v21
	v_lshlrev_b32_e32 v1, 8, v1
	v_and_b32_e32 v43, 7, v43
	v_and_b32_e32 v42, 0xfc00, v42
	v_cndmask_b32_e64 v41, v41, v43, s[0:1]
	v_and_or_b32 v1, v1, s30, v42
	v_lshl_or_b32 v41, v41, 7, v1
.LBB226_400:                            ;   in Loop: Header=BB226_233 Depth=1
	s_or_b64 exec, exec, s[20:21]
.LBB226_401:                            ;   in Loop: Header=BB226_233 Depth=1
	s_or_b64 exec, exec, s[18:19]
.LBB226_402:                            ;   in Loop: Header=BB226_233 Depth=1
	s_or_b64 exec, exec, s[16:17]
	v_cmp_lt_u32_e64 s[0:1], s5, v7
	s_and_saveexec_b64 s[16:17], s[0:1]
	s_cbranch_execz .LBB226_408
; %bb.403:                              ;   in Loop: Header=BB226_233 Depth=1
	v_lshrrev_b32_e32 v1, 24, v7
	v_cmp_ne_u32_e64 s[0:1], s28, v1
	v_bfrev_b32_e32 v40, 1
	s_and_saveexec_b64 s[18:19], s[0:1]
	s_cbranch_execz .LBB226_407
; %bb.404:                              ;   in Loop: Header=BB226_233 Depth=1
	v_and_b32_e32 v42, 0x7f, v1
	v_cmp_ne_u32_e64 s[0:1], s29, v42
	v_mov_b32_e32 v40, 0x7c010000
	s_and_saveexec_b64 s[20:21], s[0:1]
	s_cbranch_execz .LBB226_406
; %bb.405:                              ;   in Loop: Header=BB226_233 Depth=1
	v_and_b32_e32 v40, 7, v1
	v_ffbh_u32_e32 v43, v40
	v_min_u32_e32 v46, 32, v43
	v_subrev_u32_e32 v43, 28, v46
	v_lshlrev_b64 v[43:44], v43, v[1:2]
	v_lshrrev_b32_e32 v45, 3, v42
	v_sub_u32_e32 v44, 29, v46
	v_cmp_gt_u32_e64 s[0:1], 8, v42
	v_cndmask_b32_e64 v42, v45, v44, s[0:1]
	v_lshlrev_b32_e32 v1, 8, v1
	v_lshl_add_u32 v42, v42, 10, v21
	v_and_b32_e32 v43, 7, v43
	v_and_or_b32 v1, v1, s30, v42
	v_cndmask_b32_e64 v40, v40, v43, s[0:1]
	v_lshlrev_b32_e32 v1, 16, v1
	v_lshl_or_b32 v40, v40, 23, v1
.LBB226_406:                            ;   in Loop: Header=BB226_233 Depth=1
	s_or_b64 exec, exec, s[20:21]
.LBB226_407:                            ;   in Loop: Header=BB226_233 Depth=1
	s_or_b64 exec, exec, s[18:19]
.LBB226_408:                            ;   in Loop: Header=BB226_233 Depth=1
	s_or_b64 exec, exec, s[16:17]
	v_mov_b32_e32 v1, v8
	v_cmp_ne_u16_sdwa s[0:1], v8, v2 src0_sel:BYTE_0 src1_sel:DWORD
	v_mov_b32_e32 v42, 0
	v_mov_b32_e32 v43, 0
	s_and_saveexec_b64 s[16:17], s[0:1]
	s_cbranch_execz .LBB226_414
; %bb.409:                              ;   in Loop: Header=BB226_233 Depth=1
	v_cmp_ne_u16_sdwa s[0:1], v8, s28 src0_sel:BYTE_0 src1_sel:DWORD
	v_mov_b32_e32 v43, 0x8000
	s_and_saveexec_b64 s[18:19], s[0:1]
	s_cbranch_execz .LBB226_413
; %bb.410:                              ;   in Loop: Header=BB226_233 Depth=1
	v_and_b32_e32 v44, 0x7f, v8
	v_cmp_ne_u32_e64 s[0:1], s29, v44
	v_mov_b32_e32 v43, 0x7c01
	s_and_saveexec_b64 s[20:21], s[0:1]
	s_cbranch_execz .LBB226_412
; %bb.411:                              ;   in Loop: Header=BB226_233 Depth=1
	v_and_b32_e32 v43, 7, v8
	v_ffbh_u32_e32 v45, v43
	v_min_u32_e32 v48, 32, v45
	v_subrev_u32_e32 v45, 28, v48
	v_lshlrev_b64 v[45:46], v45, v[1:2]
	v_lshrrev_b32_e32 v47, 3, v44
	v_sub_u32_e32 v46, 29, v48
	v_cmp_gt_u32_e64 s[0:1], 8, v44
	v_cndmask_b32_e64 v44, v47, v46, s[0:1]
	v_lshl_add_u32 v44, v44, 10, v21
	v_lshlrev_b32_e32 v46, 8, v8
	v_and_b32_e32 v45, 7, v45
	v_and_b32_e32 v44, 0xfc00, v44
	v_cndmask_b32_e64 v43, v43, v45, s[0:1]
	v_and_or_b32 v44, v46, s30, v44
	v_lshl_or_b32 v43, v43, 7, v44
.LBB226_412:                            ;   in Loop: Header=BB226_233 Depth=1
	s_or_b64 exec, exec, s[20:21]
.LBB226_413:                            ;   in Loop: Header=BB226_233 Depth=1
	s_or_b64 exec, exec, s[18:19]
.LBB226_414:                            ;   in Loop: Header=BB226_233 Depth=1
	s_or_b64 exec, exec, s[16:17]
	v_lshrrev_b16_e32 v1, 8, v1
	v_cmp_ne_u16_e64 s[0:1], 0, v1
	v_mov_b32_e32 v44, 0
	s_and_saveexec_b64 s[16:17], s[0:1]
	s_cbranch_execz .LBB226_420
; %bb.415:                              ;   in Loop: Header=BB226_233 Depth=1
	v_cmp_ne_u16_e64 s[0:1], s28, v1
	v_bfrev_b32_e32 v44, 1
	s_and_saveexec_b64 s[18:19], s[0:1]
	s_cbranch_execz .LBB226_419
; %bb.416:                              ;   in Loop: Header=BB226_233 Depth=1
	v_and_b32_e32 v45, 0x7f, v1
	v_cmp_ne_u32_e64 s[0:1], s29, v45
	v_mov_b32_e32 v44, 0x7c010000
	s_and_saveexec_b64 s[20:21], s[0:1]
	s_cbranch_execz .LBB226_418
; %bb.417:                              ;   in Loop: Header=BB226_233 Depth=1
	v_and_b32_e32 v44, 7, v1
	v_ffbh_u32_e32 v46, v44
	v_min_u32_e32 v49, 32, v46
	v_subrev_u32_e32 v46, 28, v49
	v_lshlrev_b64 v[46:47], v46, v[1:2]
	v_lshrrev_b32_e32 v48, 3, v45
	v_sub_u32_e32 v47, 29, v49
	v_cmp_gt_u32_e64 s[0:1], 8, v45
	v_cndmask_b32_e64 v45, v48, v47, s[0:1]
	v_lshlrev_b32_e32 v1, 8, v1
	v_lshl_add_u32 v45, v45, 10, v21
	v_and_b32_e32 v46, 7, v46
	v_and_or_b32 v1, v1, s30, v45
	v_cndmask_b32_e64 v44, v44, v46, s[0:1]
	v_lshlrev_b32_e32 v1, 16, v1
	v_lshl_or_b32 v44, v44, 23, v1
.LBB226_418:                            ;   in Loop: Header=BB226_233 Depth=1
	s_or_b64 exec, exec, s[20:21]
.LBB226_419:                            ;   in Loop: Header=BB226_233 Depth=1
	s_or_b64 exec, exec, s[18:19]
.LBB226_420:                            ;   in Loop: Header=BB226_233 Depth=1
	s_or_b64 exec, exec, s[16:17]
	v_lshrrev_b32_e32 v1, 16, v8
	v_cmp_ne_u16_sdwa s[0:1], v1, v2 src0_sel:BYTE_0 src1_sel:DWORD
	s_and_saveexec_b64 s[16:17], s[0:1]
	s_cbranch_execz .LBB226_426
; %bb.421:                              ;   in Loop: Header=BB226_233 Depth=1
	v_cmp_ne_u16_sdwa s[0:1], v1, s28 src0_sel:BYTE_0 src1_sel:DWORD
	v_mov_b32_e32 v42, 0x8000
	s_and_saveexec_b64 s[18:19], s[0:1]
	s_cbranch_execz .LBB226_425
; %bb.422:                              ;   in Loop: Header=BB226_233 Depth=1
	v_bfe_u32 v45, v8, 16, 7
	v_cmp_ne_u32_e64 s[0:1], s29, v45
	v_mov_b32_e32 v42, 0x7c01
	s_and_saveexec_b64 s[20:21], s[0:1]
	s_cbranch_execz .LBB226_424
; %bb.423:                              ;   in Loop: Header=BB226_233 Depth=1
	v_and_b32_e32 v42, 7, v1
	v_ffbh_u32_e32 v46, v42
	v_min_u32_e32 v49, 32, v46
	v_subrev_u32_e32 v46, 28, v49
	v_lshlrev_b64 v[46:47], v46, v[1:2]
	v_lshrrev_b32_e32 v48, 3, v45
	v_sub_u32_e32 v47, 29, v49
	v_cmp_gt_u32_e64 s[0:1], 8, v45
	v_cndmask_b32_e64 v45, v48, v47, s[0:1]
	v_lshl_add_u32 v45, v45, 10, v21
	v_lshlrev_b32_e32 v1, 8, v1
	v_and_b32_e32 v46, 7, v46
	v_and_b32_e32 v45, 0xfc00, v45
	v_cndmask_b32_e64 v42, v42, v46, s[0:1]
	v_and_or_b32 v1, v1, s30, v45
	v_lshl_or_b32 v42, v42, 7, v1
.LBB226_424:                            ;   in Loop: Header=BB226_233 Depth=1
	s_or_b64 exec, exec, s[20:21]
.LBB226_425:                            ;   in Loop: Header=BB226_233 Depth=1
	s_or_b64 exec, exec, s[18:19]
.LBB226_426:                            ;   in Loop: Header=BB226_233 Depth=1
	s_or_b64 exec, exec, s[16:17]
	v_cmp_lt_u64_e64 s[0:1], s[4:5], v[7:8]
	v_mov_b32_e32 v45, 0
	s_and_saveexec_b64 s[16:17], s[0:1]
	s_cbranch_execz .LBB226_432
; %bb.427:                              ;   in Loop: Header=BB226_233 Depth=1
	v_lshrrev_b32_e32 v1, 24, v8
	v_cmp_ne_u32_e64 s[0:1], s28, v1
	v_bfrev_b32_e32 v45, 1
	s_and_saveexec_b64 s[18:19], s[0:1]
	s_cbranch_execz .LBB226_431
; %bb.428:                              ;   in Loop: Header=BB226_233 Depth=1
	v_and_b32_e32 v7, 0x7f, v1
	v_cmp_ne_u32_e64 s[0:1], s29, v7
	v_mov_b32_e32 v45, 0x7c010000
	s_and_saveexec_b64 s[20:21], s[0:1]
	s_cbranch_execz .LBB226_430
; %bb.429:                              ;   in Loop: Header=BB226_233 Depth=1
	v_and_b32_e32 v8, 7, v1
	v_ffbh_u32_e32 v45, v8
	v_min_u32_e32 v48, 32, v45
	v_subrev_u32_e32 v45, 28, v48
	v_lshlrev_b64 v[45:46], v45, v[1:2]
	v_lshrrev_b32_e32 v47, 3, v7
	v_sub_u32_e32 v46, 29, v48
	v_cmp_gt_u32_e64 s[0:1], 8, v7
	v_cndmask_b32_e64 v7, v47, v46, s[0:1]
	v_lshlrev_b32_e32 v1, 8, v1
	v_lshl_add_u32 v7, v7, 10, v21
	v_and_b32_e32 v45, 7, v45
	v_and_or_b32 v1, v1, s30, v7
	v_cndmask_b32_e64 v8, v8, v45, s[0:1]
	v_lshlrev_b32_e32 v1, 16, v1
	v_lshl_or_b32 v45, v8, 23, v1
.LBB226_430:                            ;   in Loop: Header=BB226_233 Depth=1
	s_or_b64 exec, exec, s[20:21]
.LBB226_431:                            ;   in Loop: Header=BB226_233 Depth=1
	s_or_b64 exec, exec, s[18:19]
.LBB226_432:                            ;   in Loop: Header=BB226_233 Depth=1
	s_or_b64 exec, exec, s[16:17]
	s_waitcnt vmcnt(0)
	v_fma_mixlo_f16 v7, v37, v40, 0 op_sel:[0,1,0] op_sel_hi:[0,1,0]
	v_fma_mixlo_f16 v8, v37, v38, 0 op_sel:[0,1,0] op_sel_hi:[0,1,0]
	v_or_b32_e32 v1, v40, v41
	v_lshlrev_b32_e32 v40, 16, v7
	v_or_b32_e32 v7, v38, v39
	v_lshlrev_b32_e32 v46, 16, v8
	v_or_b32_e32 v8, v44, v43
	v_or_b32_e32 v39, v45, v42
	v_fma_mixlo_f16 v1, v37, v1, 0 op_sel_hi:[0,1,0]
	v_fma_mixlo_f16 v7, v37, v7, 0 op_sel_hi:[0,1,0]
	v_fma_mixlo_f16 v38, v37, v44, 0 op_sel:[0,1,0] op_sel_hi:[0,1,0]
	v_fma_mixlo_f16 v8, v37, v8, 0 op_sel_hi:[0,1,0]
	v_fma_mixlo_f16 v42, v37, v39, 0 op_sel_hi:[0,1,0]
	v_fma_mixlo_f16 v37, v37, v45, 0 op_sel:[0,1,0] op_sel_hi:[0,1,0]
	v_and_b32_e32 v41, 0xffff, v1
	v_and_b32_e32 v47, 0xffff, v7
	v_lshlrev_b32_e32 v38, 16, v38
	v_and_b32_e32 v43, 0xffff, v8
	v_lshlrev_b32_e32 v39, 16, v37
	v_and_b32_e32 v42, 0xffff, v42
	v_or_b32_e32 v1, v40, v41
	v_or_b32_e32 v7, v46, v47
	;; [unrolled: 1-line block ×4, first 2 shown]
	s_and_saveexec_b64 s[0:1], vcc
	s_cbranch_execz .LBB226_231
; %bb.433:                              ;   in Loop: Header=BB226_233 Depth=1
	v_cmp_gt_i32_e32 vcc, s33, v13
	v_cndmask_b32_e32 v1, 0, v47, vcc
	v_cmp_gt_i32_e32 vcc, s33, v28
	v_cndmask_b32_e32 v7, 0, v46, vcc
	v_cmp_gt_i32_e32 vcc, s33, v27
	v_or_b32_e32 v7, v7, v1
	v_cndmask_b32_e32 v1, 0, v41, vcc
	v_cmp_gt_i32_e32 vcc, s33, v26
	v_cndmask_b32_e32 v8, 0, v40, vcc
	v_cmp_gt_i32_e32 vcc, s33, v25
	v_or_b32_e32 v1, v8, v1
	v_cndmask_b32_e32 v8, 0, v43, vcc
	v_cmp_gt_i32_e32 vcc, s33, v24
	v_cndmask_b32_e32 v24, 0, v38, vcc
	v_cmp_gt_i32_e32 vcc, s33, v23
	;; [unrolled: 2-line block ×3, first 2 shown]
	v_cndmask_b32_e32 v22, 0, v39, vcc
	v_or_b32_e32 v8, v24, v8
	v_or_b32_e32 v37, v22, v23
	s_branch .LBB226_231
.LBB226_434:
	s_or_b64 exec, exec, s[6:7]
.LBB226_435:
	s_or_b64 exec, exec, s[2:3]
	v_and_b32_e32 v1, 0x3c0, v0
	v_cmp_eq_u32_e32 vcc, 64, v1
	s_barrier
	s_and_saveexec_b64 s[0:1], vcc
	s_cbranch_execz .LBB226_437
; %bb.436:
	v_mov_b32_e32 v1, 0x210
	v_lshl_add_u32 v1, v14, 2, v1
	ds_write2st64_b32 v1, v18, v17 offset1:1
	ds_write2st64_b32 v1, v16, v15 offset0:2 offset1:3
.LBB226_437:
	s_or_b64 exec, exec, s[0:1]
	v_cmp_gt_u32_e32 vcc, 64, v0
	s_waitcnt lgkmcnt(0)
	s_barrier
	s_and_saveexec_b64 s[0:1], vcc
	s_cbranch_execz .LBB226_439
; %bb.438:
	v_mov_b32_e32 v1, 0x210
	v_lshl_add_u32 v2, v0, 2, v1
	ds_read2st64_b32 v[0:1], v2 offset1:1
	ds_read2st64_b32 v[2:3], v2 offset0:2 offset1:3
	s_waitcnt lgkmcnt(1)
	v_add_f32_e32 v18, v18, v0
	v_add_f32_e32 v17, v17, v1
	s_waitcnt lgkmcnt(0)
	v_add_f32_e32 v16, v16, v2
	v_add_f32_e32 v15, v15, v3
.LBB226_439:
	s_or_b64 exec, exec, s[0:1]
	s_barrier
	s_and_saveexec_b64 s[0:1], vcc
	s_cbranch_execz .LBB226_441
; %bb.440:
	s_mul_i32 s0, s10, s11
	s_mul_i32 s0, s0, s9
	s_lshl_b32 s0, s0, 8
	s_ashr_i32 s1, s0, 31
	s_lshl_b64 s[0:1], s[0:1], 1
	s_add_u32 s2, s26, s0
	s_mul_i32 s0, s11, s24
	s_addc_u32 s3, s27, s1
	s_ashr_i32 s1, s0, 31
	s_lshl_b64 s[0:1], s[0:1], 1
	s_add_u32 s2, s2, s0
	s_addc_u32 s3, s3, s1
	s_lshl_b32 s0, s8, 8
	s_ashr_i32 s1, s0, 31
	s_lshl_b64 s[0:1], s[0:1], 1
	s_add_u32 s0, s2, s0
	s_addc_u32 s1, s3, s1
	;;#ASMSTART
	v_cvt_f16_f32 v0, v18;

	;;#ASMEND
	global_store_short v11, v0, s[0:1]
	;;#ASMSTART
	v_cvt_f16_f32 v0, v17;

	;;#ASMEND
	global_store_short v11, v0, s[0:1] offset:128
	;;#ASMSTART
	v_cvt_f16_f32 v0, v16;

	;;#ASMEND
	global_store_short v11, v0, s[0:1] offset:256
	;;#ASMSTART
	v_cvt_f16_f32 v0, v15;

	;;#ASMEND
	global_store_short v11, v0, s[0:1] offset:384
.LBB226_441:
	s_endpgm
	.section	.rodata,"a",@progbits
	.p2align	6, 0x0
	.amdhsa_kernel _ZN4vllm25paged_attention_v1_kernelIthLi256ELi8ELi128ELNS_18Fp8KVCacheDataTypeE1ELb1EEEvPT_PKS2_PKT0_S8_ifPKiSA_iPKfiiiSC_SC_iiiii
		.amdhsa_group_segment_fixed_size 528
		.amdhsa_private_segment_fixed_size 0
		.amdhsa_kernarg_size 384
		.amdhsa_user_sgpr_count 6
		.amdhsa_user_sgpr_private_segment_buffer 1
		.amdhsa_user_sgpr_dispatch_ptr 0
		.amdhsa_user_sgpr_queue_ptr 0
		.amdhsa_user_sgpr_kernarg_segment_ptr 1
		.amdhsa_user_sgpr_dispatch_id 0
		.amdhsa_user_sgpr_flat_scratch_init 0
		.amdhsa_user_sgpr_private_segment_size 0
		.amdhsa_uses_dynamic_stack 0
		.amdhsa_system_sgpr_private_segment_wavefront_offset 0
		.amdhsa_system_sgpr_workgroup_id_x 1
		.amdhsa_system_sgpr_workgroup_id_y 1
		.amdhsa_system_sgpr_workgroup_id_z 1
		.amdhsa_system_sgpr_workgroup_info 0
		.amdhsa_system_vgpr_workitem_id 0
		.amdhsa_next_free_vgpr 63
		.amdhsa_next_free_sgpr 54
		.amdhsa_reserve_vcc 1
		.amdhsa_reserve_flat_scratch 0
		.amdhsa_float_round_mode_32 0
		.amdhsa_float_round_mode_16_64 0
		.amdhsa_float_denorm_mode_32 3
		.amdhsa_float_denorm_mode_16_64 3
		.amdhsa_dx10_clamp 1
		.amdhsa_ieee_mode 1
		.amdhsa_fp16_overflow 0
		.amdhsa_exception_fp_ieee_invalid_op 0
		.amdhsa_exception_fp_denorm_src 0
		.amdhsa_exception_fp_ieee_div_zero 0
		.amdhsa_exception_fp_ieee_overflow 0
		.amdhsa_exception_fp_ieee_underflow 0
		.amdhsa_exception_fp_ieee_inexact 0
		.amdhsa_exception_int_div_zero 0
	.end_amdhsa_kernel
	.section	.text._ZN4vllm25paged_attention_v1_kernelIthLi256ELi8ELi128ELNS_18Fp8KVCacheDataTypeE1ELb1EEEvPT_PKS2_PKT0_S8_ifPKiSA_iPKfiiiSC_SC_iiiii,"axG",@progbits,_ZN4vllm25paged_attention_v1_kernelIthLi256ELi8ELi128ELNS_18Fp8KVCacheDataTypeE1ELb1EEEvPT_PKS2_PKT0_S8_ifPKiSA_iPKfiiiSC_SC_iiiii,comdat
.Lfunc_end226:
	.size	_ZN4vllm25paged_attention_v1_kernelIthLi256ELi8ELi128ELNS_18Fp8KVCacheDataTypeE1ELb1EEEvPT_PKS2_PKT0_S8_ifPKiSA_iPKfiiiSC_SC_iiiii, .Lfunc_end226-_ZN4vllm25paged_attention_v1_kernelIthLi256ELi8ELi128ELNS_18Fp8KVCacheDataTypeE1ELb1EEEvPT_PKS2_PKT0_S8_ifPKiSA_iPKfiiiSC_SC_iiiii
                                        ; -- End function
	.set _ZN4vllm25paged_attention_v1_kernelIthLi256ELi8ELi128ELNS_18Fp8KVCacheDataTypeE1ELb1EEEvPT_PKS2_PKT0_S8_ifPKiSA_iPKfiiiSC_SC_iiiii.num_vgpr, 63
	.set _ZN4vllm25paged_attention_v1_kernelIthLi256ELi8ELi128ELNS_18Fp8KVCacheDataTypeE1ELb1EEEvPT_PKS2_PKT0_S8_ifPKiSA_iPKfiiiSC_SC_iiiii.num_agpr, 0
	.set _ZN4vllm25paged_attention_v1_kernelIthLi256ELi8ELi128ELNS_18Fp8KVCacheDataTypeE1ELb1EEEvPT_PKS2_PKT0_S8_ifPKiSA_iPKfiiiSC_SC_iiiii.numbered_sgpr, 54
	.set _ZN4vllm25paged_attention_v1_kernelIthLi256ELi8ELi128ELNS_18Fp8KVCacheDataTypeE1ELb1EEEvPT_PKS2_PKT0_S8_ifPKiSA_iPKfiiiSC_SC_iiiii.num_named_barrier, 0
	.set _ZN4vllm25paged_attention_v1_kernelIthLi256ELi8ELi128ELNS_18Fp8KVCacheDataTypeE1ELb1EEEvPT_PKS2_PKT0_S8_ifPKiSA_iPKfiiiSC_SC_iiiii.private_seg_size, 0
	.set _ZN4vllm25paged_attention_v1_kernelIthLi256ELi8ELi128ELNS_18Fp8KVCacheDataTypeE1ELb1EEEvPT_PKS2_PKT0_S8_ifPKiSA_iPKfiiiSC_SC_iiiii.uses_vcc, 1
	.set _ZN4vllm25paged_attention_v1_kernelIthLi256ELi8ELi128ELNS_18Fp8KVCacheDataTypeE1ELb1EEEvPT_PKS2_PKT0_S8_ifPKiSA_iPKfiiiSC_SC_iiiii.uses_flat_scratch, 0
	.set _ZN4vllm25paged_attention_v1_kernelIthLi256ELi8ELi128ELNS_18Fp8KVCacheDataTypeE1ELb1EEEvPT_PKS2_PKT0_S8_ifPKiSA_iPKfiiiSC_SC_iiiii.has_dyn_sized_stack, 0
	.set _ZN4vllm25paged_attention_v1_kernelIthLi256ELi8ELi128ELNS_18Fp8KVCacheDataTypeE1ELb1EEEvPT_PKS2_PKT0_S8_ifPKiSA_iPKfiiiSC_SC_iiiii.has_recursion, 0
	.set _ZN4vllm25paged_attention_v1_kernelIthLi256ELi8ELi128ELNS_18Fp8KVCacheDataTypeE1ELb1EEEvPT_PKS2_PKT0_S8_ifPKiSA_iPKfiiiSC_SC_iiiii.has_indirect_call, 0
	.section	.AMDGPU.csdata,"",@progbits
; Kernel info:
; codeLenInByte = 18476
; TotalNumSgprs: 58
; NumVgprs: 63
; ScratchSize: 0
; MemoryBound: 0
; FloatMode: 240
; IeeeMode: 1
; LDSByteSize: 528 bytes/workgroup (compile time only)
; SGPRBlocks: 7
; VGPRBlocks: 15
; NumSGPRsForWavesPerEU: 58
; NumVGPRsForWavesPerEU: 63
; Occupancy: 4
; WaveLimiterHint : 1
; COMPUTE_PGM_RSRC2:SCRATCH_EN: 0
; COMPUTE_PGM_RSRC2:USER_SGPR: 6
; COMPUTE_PGM_RSRC2:TRAP_HANDLER: 0
; COMPUTE_PGM_RSRC2:TGID_X_EN: 1
; COMPUTE_PGM_RSRC2:TGID_Y_EN: 1
; COMPUTE_PGM_RSRC2:TGID_Z_EN: 1
; COMPUTE_PGM_RSRC2:TIDIG_COMP_CNT: 0
	.section	.text._ZN4vllm25paged_attention_v1_kernelIthLi32ELi8ELi128ELNS_18Fp8KVCacheDataTypeE1ELb0EEEvPT_PKS2_PKT0_S8_ifPKiSA_iPKfiiiSC_SC_iiiii,"axG",@progbits,_ZN4vllm25paged_attention_v1_kernelIthLi32ELi8ELi128ELNS_18Fp8KVCacheDataTypeE1ELb0EEEvPT_PKS2_PKT0_S8_ifPKiSA_iPKfiiiSC_SC_iiiii,comdat
	.protected	_ZN4vllm25paged_attention_v1_kernelIthLi32ELi8ELi128ELNS_18Fp8KVCacheDataTypeE1ELb0EEEvPT_PKS2_PKT0_S8_ifPKiSA_iPKfiiiSC_SC_iiiii ; -- Begin function _ZN4vllm25paged_attention_v1_kernelIthLi32ELi8ELi128ELNS_18Fp8KVCacheDataTypeE1ELb0EEEvPT_PKS2_PKT0_S8_ifPKiSA_iPKfiiiSC_SC_iiiii
	.globl	_ZN4vllm25paged_attention_v1_kernelIthLi32ELi8ELi128ELNS_18Fp8KVCacheDataTypeE1ELb0EEEvPT_PKS2_PKT0_S8_ifPKiSA_iPKfiiiSC_SC_iiiii
	.p2align	8
	.type	_ZN4vllm25paged_attention_v1_kernelIthLi32ELi8ELi128ELNS_18Fp8KVCacheDataTypeE1ELb0EEEvPT_PKS2_PKT0_S8_ifPKiSA_iPKfiiiSC_SC_iiiii,@function
_ZN4vllm25paged_attention_v1_kernelIthLi32ELi8ELi128ELNS_18Fp8KVCacheDataTypeE1ELb0EEEvPT_PKS2_PKT0_S8_ifPKiSA_iPKfiiiSC_SC_iiiii: ; @_ZN4vllm25paged_attention_v1_kernelIthLi32ELi8ELi128ELNS_18Fp8KVCacheDataTypeE1ELb0EEEvPT_PKS2_PKT0_S8_ifPKiSA_iPKfiiiSC_SC_iiiii
; %bb.0:
	s_load_dword s9, s[4:5], 0x80
	s_load_dwordx2 s[0:1], s[4:5], 0x30
	s_load_dwordx2 s[30:31], s[4:5], 0x20
	s_mov_b32 s10, s7
	s_ashr_i32 s11, s7, 31
	s_lshl_b64 s[2:3], s[10:11], 2
	s_waitcnt lgkmcnt(0)
	s_add_u32 s0, s0, s2
	s_addc_u32 s1, s1, s3
	s_abs_i32 s2, s30
	v_cvt_f32_u32_e32 v1, s2
	s_sub_i32 s11, 0, s2
	s_abs_i32 s7, s9
	s_xor_b32 s3, s9, s30
	v_rcp_iflag_f32_e32 v1, v1
	s_ashr_i32 s3, s3, 31
	s_mov_b32 s33, 0
	v_mul_f32_e32 v1, 0x4f7ffffe, v1
	v_cvt_u32_f32_e32 v1, v1
	v_readfirstlane_b32 s12, v1
	s_mul_i32 s11, s11, s12
	s_mul_hi_u32 s11, s12, s11
	s_add_i32 s12, s12, s11
	s_mul_hi_u32 s11, s7, s12
	s_mul_i32 s12, s11, s2
	s_sub_i32 s7, s7, s12
	s_add_i32 s12, s11, 1
	s_sub_i32 s13, s7, s2
	s_cmp_ge_u32 s7, s2
	s_cselect_b32 s11, s12, s11
	s_cselect_b32 s7, s13, s7
	s_add_i32 s12, s11, 1
	s_cmp_ge_u32 s7, s2
	s_cselect_b32 s2, s12, s11
	s_xor_b32 s2, s2, s3
	s_sub_i32 s15, s2, s3
	s_abs_i32 s12, s15
	v_cvt_f32_u32_e32 v1, s12
	s_load_dwordx2 s[2:3], s[4:5], 0x40
	s_sub_i32 s7, 0, s12
	s_abs_i32 s13, s6
	v_rcp_iflag_f32_e32 v1, v1
	v_mul_f32_e32 v1, 0x4f7ffffe, v1
	v_cvt_u32_f32_e32 v1, v1
	v_readfirstlane_b32 s11, v1
	s_mul_i32 s7, s7, s11
	s_mul_hi_u32 s7, s11, s7
	s_add_i32 s11, s11, s7
	s_waitcnt lgkmcnt(0)
	s_cmp_eq_u64 s[2:3], 0
	s_mul_hi_u32 s14, s13, s11
	s_cbranch_scc1 .LBB227_2
; %bb.1:
	s_ashr_i32 s7, s6, 31
	s_lshl_b64 s[16:17], s[6:7], 2
	s_add_u32 s2, s2, s16
	s_addc_u32 s3, s3, s17
	s_load_dword s33, s[2:3], 0x0
.LBB227_2:
	s_load_dword s11, s[0:1], 0x0
	s_load_dwordx4 s[16:19], s[4:5], 0x48
	s_ashr_i32 s2, s6, 31
	s_ashr_i32 s3, s15, 31
	v_and_b32_e32 v1, 7, v0
	s_lshl_b32 s20, s6, 5
	v_cmp_gt_u32_e32 vcc, 32, v0
	s_and_saveexec_b64 s[0:1], vcc
	s_cbranch_execz .LBB227_4
; %bb.3:
	s_load_dwordx2 s[6:7], s[4:5], 0x8
	s_waitcnt lgkmcnt(0)
	s_mul_i32 s22, s16, s10
	s_ashr_i32 s23, s22, 31
	s_lshl_b64 s[22:23], s[22:23], 1
	v_lshlrev_b32_e32 v2, 1, v0
	s_add_u32 s15, s6, s22
	s_addc_u32 s16, s7, s23
	s_ashr_i32 s21, s20, 31
	s_lshl_b64 s[6:7], s[20:21], 1
	s_add_u32 s6, s15, s6
	s_addc_u32 s7, s16, s7
	global_load_ushort v2, v2, s[6:7]
	v_lshrrev_b32_e32 v3, 2, v0
	v_and_b32_e32 v3, 0xfe, v3
	v_lshl_add_u32 v3, v1, 3, v3
	s_waitcnt vmcnt(0)
	ds_write_b16 v3, v2
.LBB227_4:
	s_or_b64 exec, exec, s[0:1]
	s_waitcnt lgkmcnt(0)
	s_add_i32 s1, s11, 7
	s_ashr_i32 s6, s1, 31
	s_lshr_b32 s6, s6, 29
	s_add_i32 s1, s1, s6
	s_ashr_i32 s30, s1, 3
	s_xor_b32 s1, s2, s3
	s_mul_i32 s2, s14, s12
	s_sub_i32 s2, s13, s2
	s_add_i32 s3, s14, 1
	s_sub_i32 s6, s2, s12
	s_load_dwordx2 s[24:25], s[4:5], 0x28
	s_load_dword s0, s[4:5], 0x38
	s_cmp_ge_u32 s2, s12
	s_cselect_b32 s3, s3, s14
	s_cselect_b32 s2, s6, s2
	s_add_i32 s6, s3, 1
	s_cmp_ge_u32 s2, s12
	s_cselect_b32 s2, s6, s3
	v_lshrrev_b32_e32 v9, 6, v0
	s_xor_b32 s2, s2, s1
	s_waitcnt lgkmcnt(0)
	s_mul_i32 s26, s0, s10
	s_sub_i32 s16, s2, s1
	s_ashr_i32 s27, s26, 31
	v_cmp_gt_i32_e64 s[0:1], s30, v9
	v_cmp_le_i32_e32 vcc, s30, v9
	v_mbcnt_lo_u32_b32 v7, -1, 0
	s_barrier
                                        ; implicit-def: $vgpr11
                                        ; implicit-def: $vgpr6
                                        ; implicit-def: $vgpr5
	s_and_saveexec_b64 s[2:3], vcc
	s_xor_b64 s[2:3], exec, s[2:3]
; %bb.5:
	v_mbcnt_hi_u32_b32 v11, -1, v7
	v_and_b32_e32 v6, 64, v11
	v_add_u32_e32 v5, 64, v6
                                        ; implicit-def: $vgpr1
                                        ; implicit-def: $vgpr7
; %bb.6:
	s_or_saveexec_b64 s[6:7], s[2:3]
	s_load_dwordx2 s[22:23], s[4:5], 0x0
	s_load_dwordx2 s[28:29], s[4:5], 0x18
	s_load_dword s21, s[4:5], 0x88
	s_load_dwordx4 s[12:15], s[4:5], 0x58
	v_mov_b32_e32 v10, 0xff7fffff
	s_mul_i32 s16, s16, s18
	v_lshrrev_b32_e32 v8, 4, v0
	s_xor_b64 exec, exec, s[6:7]
	s_cbranch_execz .LBB227_36
; %bb.7:
	s_load_dwordx2 s[2:3], s[4:5], 0x10
	s_ashr_i32 s4, s16, 31
	v_bfe_u32 v3, v0, 3, 3
	v_lshlrev_b32_e32 v2, 4, v3
	v_lshlrev_b32_e32 v13, 3, v1
	s_waitcnt lgkmcnt(0)
	s_add_u32 s2, s2, s16
	s_addc_u32 s3, s3, s4
	v_mov_b32_e32 v4, s3
	v_add_co_u32_e32 v2, vcc, s2, v2
	v_addc_co_u32_e32 v4, vcc, 0, v4, vcc
	v_cmp_eq_u32_e32 vcc, 0, v1
	v_add_co_u32_e64 v1, s[4:5], v2, v1
	v_addc_co_u32_e64 v2, s[4:5], 0, v4, s[4:5]
	s_sub_i32 s41, 1, s11
	v_lshl_or_b32 v14, v9, 3, v3
	v_lshlrev_b32_e32 v3, 2, v3
	s_lshl_b64 s[4:5], s[26:27], 2
	v_lshl_or_b32 v3, v9, 5, v3
	s_add_u32 s4, s24, s4
	v_add_u32_e32 v15, 0x50, v3
	v_and_b32_e32 v3, 60, v8
	s_addc_u32 s5, s25, s5
	v_mov_b32_e32 v4, s5
	v_add_co_u32_e64 v3, s[4:5], s4, v3
	s_mov_b32 s40, s17
	v_mov_b32_e32 v12, 0
	v_cmp_neq_f32_e64 s[2:3], s33, 0
	v_addc_co_u32_e64 v4, s[4:5], 0, v4, s[4:5]
	v_mov_b32_e32 v10, 0xff7fffff
	s_mov_b64 s[18:19], 0
	s_movk_i32 s42, 0x80
	s_movk_i32 s43, 0x7f
	v_mbcnt_hi_u32_b32 v11, -1, v7
	v_bfrev_b32_e32 v16, 60
	v_mov_b32_e32 v17, v9
	s_branch .LBB227_9
.LBB227_8:                              ;   in Loop: Header=BB227_9 Depth=1
	s_or_b64 exec, exec, s[34:35]
	v_add_u32_e32 v17, 2, v17
	v_cmp_le_i32_e64 s[4:5], s30, v17
	s_or_b64 s[18:19], s[4:5], s[18:19]
	v_add_co_u32_e64 v3, s[4:5], 8, v3
	v_add_u32_e32 v14, 16, v14
	v_add_u32_e32 v15, 64, v15
	v_addc_co_u32_e64 v4, s[4:5], 0, v4, s[4:5]
	s_andn2_b64 exec, exec, s[18:19]
	s_cbranch_execz .LBB227_35
.LBB227_9:                              ; =>This Inner Loop Header: Depth=1
	global_load_dword v5, v[3:4], off
	v_mov_b32_e32 v19, 0
	s_waitcnt vmcnt(0)
	v_mad_i64_i32 v[5:6], s[4:5], v5, s40, v[1:2]
	global_load_ubyte v20, v[5:6], off
	s_waitcnt lgkmcnt(0)
	global_load_dword v18, v12, s[12:13]
	s_waitcnt vmcnt(1)
	v_cmp_ne_u16_e64 s[4:5], 0, v20
	s_and_saveexec_b64 s[34:35], s[4:5]
	s_cbranch_execz .LBB227_15
; %bb.10:                               ;   in Loop: Header=BB227_9 Depth=1
	v_cmp_ne_u16_e64 s[4:5], s42, v20
	v_bfrev_b32_e32 v19, 1
	s_and_saveexec_b64 s[36:37], s[4:5]
	s_cbranch_execz .LBB227_14
; %bb.11:                               ;   in Loop: Header=BB227_9 Depth=1
	v_and_b32_e32 v7, 0xffff, v20
	v_and_b32_e32 v21, 0x7f, v7
	v_cmp_ne_u32_e64 s[4:5], s43, v21
	v_mov_b32_e32 v19, 0x7f800001
	s_and_saveexec_b64 s[38:39], s[4:5]
	s_cbranch_execz .LBB227_13
; %bb.12:                               ;   in Loop: Header=BB227_9 Depth=1
	v_and_b32_e32 v19, 7, v7
	v_ffbh_u32_e32 v22, v19
	v_min_u32_e32 v25, 32, v22
	v_subrev_u32_e32 v22, 28, v25
	v_lshlrev_b64 v[22:23], v22, v[7:8]
	v_lshrrev_b32_e32 v24, 3, v21
	v_sub_u32_e32 v7, 29, v25
	v_and_b32_e32 v22, 7, v22
	v_cmp_gt_u32_e64 s[4:5], 8, v21
	v_cndmask_b32_e64 v7, v24, v7, s[4:5]
	v_cndmask_b32_e64 v19, v19, v22, s[4:5]
	v_lshlrev_b32_e32 v20, 24, v20
	v_lshlrev_b32_e32 v19, 20, v19
	v_and_b32_e32 v20, 0x80000000, v20
	v_lshl_add_u32 v7, v7, 23, v16
	v_or3_b32 v19, v20, v7, v19
.LBB227_13:                             ;   in Loop: Header=BB227_9 Depth=1
	s_or_b64 exec, exec, s[38:39]
.LBB227_14:                             ;   in Loop: Header=BB227_9 Depth=1
	s_or_b64 exec, exec, s[36:37]
.LBB227_15:                             ;   in Loop: Header=BB227_9 Depth=1
	s_or_b64 exec, exec, s[34:35]
	global_load_ubyte v22, v[5:6], off offset:8
	v_mov_b32_e32 v20, 0
	v_mov_b32_e32 v21, 0
	s_waitcnt vmcnt(0)
	v_cmp_ne_u16_e64 s[4:5], 0, v22
	s_and_saveexec_b64 s[34:35], s[4:5]
	s_cbranch_execz .LBB227_21
; %bb.16:                               ;   in Loop: Header=BB227_9 Depth=1
	v_cmp_ne_u16_e64 s[4:5], s42, v22
	v_bfrev_b32_e32 v21, 1
	s_and_saveexec_b64 s[36:37], s[4:5]
	s_cbranch_execz .LBB227_20
; %bb.17:                               ;   in Loop: Header=BB227_9 Depth=1
	v_and_b32_e32 v7, 0xffff, v22
	v_and_b32_e32 v23, 0x7f, v7
	v_cmp_ne_u32_e64 s[4:5], s43, v23
	v_mov_b32_e32 v21, 0x7f800001
	s_and_saveexec_b64 s[38:39], s[4:5]
	s_cbranch_execz .LBB227_19
; %bb.18:                               ;   in Loop: Header=BB227_9 Depth=1
	v_and_b32_e32 v21, 7, v7
	v_ffbh_u32_e32 v24, v21
	v_min_u32_e32 v27, 32, v24
	v_subrev_u32_e32 v24, 28, v27
	v_lshlrev_b64 v[24:25], v24, v[7:8]
	v_lshrrev_b32_e32 v26, 3, v23
	v_sub_u32_e32 v7, 29, v27
	v_and_b32_e32 v24, 7, v24
	v_cmp_gt_u32_e64 s[4:5], 8, v23
	v_cndmask_b32_e64 v7, v26, v7, s[4:5]
	v_cndmask_b32_e64 v21, v21, v24, s[4:5]
	v_lshlrev_b32_e32 v22, 24, v22
	v_lshlrev_b32_e32 v21, 20, v21
	v_and_b32_e32 v22, 0x80000000, v22
	v_lshl_add_u32 v7, v7, 23, v16
	v_or3_b32 v21, v22, v7, v21
.LBB227_19:                             ;   in Loop: Header=BB227_9 Depth=1
	s_or_b64 exec, exec, s[38:39]
.LBB227_20:                             ;   in Loop: Header=BB227_9 Depth=1
	s_or_b64 exec, exec, s[36:37]
.LBB227_21:                             ;   in Loop: Header=BB227_9 Depth=1
	s_or_b64 exec, exec, s[34:35]
	global_load_ubyte v22, v[5:6], off offset:128
	s_waitcnt vmcnt(0)
	v_cmp_ne_u16_e64 s[4:5], 0, v22
	s_and_saveexec_b64 s[34:35], s[4:5]
	s_cbranch_execz .LBB227_27
; %bb.22:                               ;   in Loop: Header=BB227_9 Depth=1
	v_cmp_ne_u16_e64 s[4:5], s42, v22
	v_bfrev_b32_e32 v20, 1
	s_and_saveexec_b64 s[36:37], s[4:5]
	s_cbranch_execz .LBB227_26
; %bb.23:                               ;   in Loop: Header=BB227_9 Depth=1
	v_and_b32_e32 v7, 0xffff, v22
	v_and_b32_e32 v23, 0x7f, v7
	v_cmp_ne_u32_e64 s[4:5], s43, v23
	v_mov_b32_e32 v20, 0x7f800001
	s_and_saveexec_b64 s[38:39], s[4:5]
	s_cbranch_execz .LBB227_25
; %bb.24:                               ;   in Loop: Header=BB227_9 Depth=1
	v_and_b32_e32 v20, 7, v7
	v_ffbh_u32_e32 v24, v20
	v_min_u32_e32 v27, 32, v24
	v_subrev_u32_e32 v24, 28, v27
	v_lshlrev_b64 v[24:25], v24, v[7:8]
	v_lshrrev_b32_e32 v26, 3, v23
	v_sub_u32_e32 v7, 29, v27
	v_and_b32_e32 v24, 7, v24
	v_cmp_gt_u32_e64 s[4:5], 8, v23
	v_cndmask_b32_e64 v7, v26, v7, s[4:5]
	v_cndmask_b32_e64 v20, v20, v24, s[4:5]
	v_lshlrev_b32_e32 v22, 24, v22
	v_lshlrev_b32_e32 v20, 20, v20
	v_and_b32_e32 v22, 0x80000000, v22
	v_lshl_add_u32 v7, v7, 23, v16
	v_or3_b32 v20, v22, v7, v20
.LBB227_25:                             ;   in Loop: Header=BB227_9 Depth=1
	s_or_b64 exec, exec, s[38:39]
.LBB227_26:                             ;   in Loop: Header=BB227_9 Depth=1
	s_or_b64 exec, exec, s[36:37]
.LBB227_27:                             ;   in Loop: Header=BB227_9 Depth=1
	s_or_b64 exec, exec, s[34:35]
	global_load_ubyte v7, v[5:6], off offset:136
	v_mov_b32_e32 v6, 0
	s_waitcnt vmcnt(0)
	v_cmp_ne_u16_e64 s[4:5], 0, v7
	s_and_saveexec_b64 s[34:35], s[4:5]
	s_cbranch_execz .LBB227_33
; %bb.28:                               ;   in Loop: Header=BB227_9 Depth=1
	v_cmp_ne_u16_e64 s[4:5], s42, v7
	v_bfrev_b32_e32 v6, 1
	s_and_saveexec_b64 s[36:37], s[4:5]
	s_cbranch_execz .LBB227_32
; %bb.29:                               ;   in Loop: Header=BB227_9 Depth=1
	v_and_b32_e32 v5, 0xffff, v7
	v_and_b32_e32 v22, 0x7f, v5
	v_cmp_ne_u32_e64 s[4:5], s43, v22
	v_mov_b32_e32 v6, 0x7f800001
	s_and_saveexec_b64 s[38:39], s[4:5]
	s_cbranch_execz .LBB227_31
; %bb.30:                               ;   in Loop: Header=BB227_9 Depth=1
	v_and_b32_e32 v23, 7, v5
	v_ffbh_u32_e32 v6, v23
	v_min_u32_e32 v25, 32, v6
	v_subrev_u32_e32 v6, 28, v25
	v_lshlrev_b64 v[5:6], v6, v[5:6]
	v_lshrrev_b32_e32 v24, 3, v22
	v_sub_u32_e32 v6, 29, v25
	v_and_b32_e32 v5, 7, v5
	v_cmp_gt_u32_e64 s[4:5], 8, v22
	v_cndmask_b32_e64 v6, v24, v6, s[4:5]
	v_cndmask_b32_e64 v5, v23, v5, s[4:5]
	v_lshlrev_b32_e32 v7, 24, v7
	v_lshlrev_b32_e32 v5, 20, v5
	v_and_b32_e32 v7, 0x80000000, v7
	v_lshl_add_u32 v6, v6, 23, v16
	v_or3_b32 v6, v7, v6, v5
.LBB227_31:                             ;   in Loop: Header=BB227_9 Depth=1
	s_or_b64 exec, exec, s[38:39]
.LBB227_32:                             ;   in Loop: Header=BB227_9 Depth=1
	s_or_b64 exec, exec, s[36:37]
.LBB227_33:                             ;   in Loop: Header=BB227_9 Depth=1
	s_or_b64 exec, exec, s[34:35]
	v_fma_mixlo_f16 v5, v18, v19, 0
	ds_read_u16 v7, v13
	v_and_b32_e32 v19, 0xffff, v5
	s_waitcnt lgkmcnt(0)
	;;#ASMSTART
	v_cvt_f32_f16 v5, v7;
	;;#ASMEND
	;;#ASMSTART
	v_cvt_f32_f16 v7, v19;
	;;#ASMEND
	v_fma_mixlo_f16 v19, v18, v21, 0
	v_and_b32_e32 v21, 0xffff, v19
	ds_read_u16 v22, v13 offset:2
	s_waitcnt lgkmcnt(0)
	;;#ASMSTART
	v_cvt_f32_f16 v19, v22;
	;;#ASMEND
	;;#ASMSTART
	v_cvt_f32_f16 v21, v21;
	;;#ASMEND
	v_fma_mixlo_f16 v20, v18, v20, 0
	v_fma_mixlo_f16 v6, v18, v6, 0
	v_mul_f32_e32 v18, v19, v21
	ds_read_u16 v22, v13 offset:4
	v_and_b32_e32 v23, 0xffff, v20
	v_fmac_f32_e32 v18, v5, v7
	v_and_b32_e32 v6, 0xffff, v6
	s_waitcnt lgkmcnt(0)
	;;#ASMSTART
	v_cvt_f32_f16 v20, v22;
	;;#ASMEND
	;;#ASMSTART
	v_cvt_f32_f16 v22, v23;
	;;#ASMEND
	ds_read_u16 v23, v13 offset:6
	v_fmac_f32_e32 v18, v20, v22
	s_waitcnt lgkmcnt(0)
	;;#ASMSTART
	v_cvt_f32_f16 v5, v23;
	;;#ASMEND
	;;#ASMSTART
	v_cvt_f32_f16 v6, v6;
	;;#ASMEND
	v_fmac_f32_e32 v18, v5, v6
	v_and_b32_e32 v6, 64, v11
	v_add_u32_e32 v5, 64, v6
	v_xor_b32_e32 v7, 4, v11
	v_cmp_lt_i32_e64 s[4:5], v7, v5
	v_cndmask_b32_e64 v7, v11, v7, s[4:5]
	v_lshlrev_b32_e32 v7, 2, v7
	ds_bpermute_b32 v7, v7, v18
	s_waitcnt lgkmcnt(0)
	v_add_f32_e32 v7, v18, v7
	v_xor_b32_e32 v18, 2, v11
	v_cmp_lt_i32_e64 s[4:5], v18, v5
	v_cndmask_b32_e64 v18, v11, v18, s[4:5]
	v_lshlrev_b32_e32 v18, 2, v18
	ds_bpermute_b32 v18, v18, v7
	s_waitcnt lgkmcnt(0)
	v_add_f32_e32 v7, v7, v18
	v_xor_b32_e32 v18, 1, v11
	v_cmp_lt_i32_e64 s[4:5], v18, v5
	v_cndmask_b32_e64 v18, v11, v18, s[4:5]
	v_lshlrev_b32_e32 v18, 2, v18
	ds_bpermute_b32 v18, v18, v7
	s_and_saveexec_b64 s[34:35], vcc
	s_cbranch_execz .LBB227_8
; %bb.34:                               ;   in Loop: Header=BB227_9 Depth=1
	v_add_u32_e32 v19, s41, v14
	v_cvt_f32_i32_e32 v19, v19
	s_waitcnt lgkmcnt(0)
	v_add_f32_e32 v7, v7, v18
	v_cmp_gt_i32_e64 s[4:5], s11, v14
	v_max_f32_e32 v18, v10, v10
	v_mul_f32_e32 v19, s33, v19
	v_cndmask_b32_e64 v19, 0, v19, s[2:3]
	v_fmac_f32_e32 v19, s31, v7
	v_cndmask_b32_e64 v7, 0, v19, s[4:5]
	ds_write_b32 v15, v7
	v_max_f32_e32 v7, v18, v19
	v_cndmask_b32_e64 v10, v10, v7, s[4:5]
	s_branch .LBB227_8
.LBB227_35:
	s_or_b64 exec, exec, s[18:19]
.LBB227_36:
	s_or_b64 exec, exec, s[6:7]
	v_xor_b32_e32 v1, 32, v11
	v_cmp_lt_i32_e32 vcc, v1, v5
	v_cndmask_b32_e32 v1, v11, v1, vcc
	v_lshlrev_b32_e32 v2, 2, v1
	ds_bpermute_b32 v1, v2, v10
	v_xor_b32_e32 v4, 16, v11
	v_max_f32_e32 v3, v10, v10
	v_cmp_lt_i32_e32 vcc, v4, v5
	v_xor_b32_e32 v7, 8, v11
	s_waitcnt lgkmcnt(0)
	v_max_f32_e32 v1, v1, v1
	v_max_f32_e32 v1, v3, v1
	v_cndmask_b32_e32 v3, v11, v4, vcc
	v_lshlrev_b32_e32 v4, 2, v3
	ds_bpermute_b32 v3, v4, v1
	v_cmp_lt_i32_e32 vcc, v7, v5
	v_and_b32_e32 v10, 63, v0
	s_waitcnt lgkmcnt(0)
	v_max_f32_e32 v3, v3, v3
	v_max_f32_e32 v3, v1, v3
	v_cndmask_b32_e32 v1, v11, v7, vcc
	v_lshlrev_b32_e32 v12, 2, v1
	ds_bpermute_b32 v7, v12, v3
	v_cmp_eq_u32_e32 vcc, 0, v10
	v_lshlrev_b32_e32 v1, 2, v9
	s_and_saveexec_b64 s[2:3], vcc
	s_cbranch_execz .LBB227_38
; %bb.37:
	s_waitcnt lgkmcnt(0)
	v_max_f32_e32 v7, v7, v7
	v_max_f32_e32 v3, v3, v3
	;; [unrolled: 1-line block ×3, first 2 shown]
	ds_write_b32 v1, v3 offset:64
.LBB227_38:
	s_or_b64 exec, exec, s[2:3]
	v_cmp_gt_u32_e64 s[2:3], 2, v10
	v_mov_b32_e32 v13, 0xff7fffff
	v_lshlrev_b32_e32 v3, 2, v10
	s_waitcnt lgkmcnt(0)
	s_barrier
	s_and_saveexec_b64 s[4:5], s[2:3]
; %bb.39:
	ds_read_b32 v13, v3 offset:64
; %bb.40:
	s_or_b64 exec, exec, s[4:5]
	v_xor_b32_e32 v7, 1, v11
	v_cmp_lt_i32_e64 s[4:5], v7, v5
	v_cndmask_b32_e64 v7, v11, v7, s[4:5]
	v_lshlrev_b32_e32 v7, 2, v7
	s_waitcnt lgkmcnt(0)
	ds_bpermute_b32 v14, v7, v13
	v_max_f32_e32 v13, v13, v13
	v_lshlrev_b32_e32 v6, 2, v6
	s_lshl_b32 s4, s30, 3
	s_min_i32 s31, s4, s11
	s_waitcnt lgkmcnt(0)
	v_max_f32_e32 v14, v14, v14
	v_max_f32_e32 v13, v13, v14
	ds_bpermute_b32 v13, v6, v13
	v_cmp_gt_i32_e64 s[4:5], s31, v0
	v_mov_b32_e32 v6, 0
	s_and_saveexec_b64 s[12:13], s[4:5]
	s_cbranch_execz .LBB227_44
; %bb.41:
	v_mov_b32_e32 v6, 0x50
	v_lshl_add_u32 v14, v0, 2, v6
	v_mov_b32_e32 v6, 0
	s_mov_b64 s[18:19], 0
	v_mov_b32_e32 v15, v0
.LBB227_42:                             ; =>This Inner Loop Header: Depth=1
	ds_read_b32 v16, v14
	v_add_u32_e32 v15, 0x80, v15
	v_cmp_le_i32_e64 s[6:7], s31, v15
	s_or_b64 s[18:19], s[6:7], s[18:19]
	s_waitcnt lgkmcnt(0)
	v_sub_f32_e32 v16, v16, v13
	v_mul_f32_e32 v16, 0x3fb8aa3b, v16
	v_exp_f32_e32 v16, v16
	ds_write_b32 v14, v16
	v_add_f32_e32 v6, v6, v16
	v_add_u32_e32 v14, 0x200, v14
	s_andn2_b64 exec, exec, s[18:19]
	s_cbranch_execnz .LBB227_42
; %bb.43:
	s_or_b64 exec, exec, s[18:19]
.LBB227_44:
	s_or_b64 exec, exec, s[12:13]
	ds_bpermute_b32 v2, v2, v6
	s_waitcnt lgkmcnt(0)
	v_add_f32_e32 v2, v6, v2
	ds_bpermute_b32 v4, v4, v2
	v_xor_b32_e32 v6, 4, v11
	v_cmp_lt_i32_e64 s[6:7], v6, v5
	v_cndmask_b32_e64 v6, v11, v6, s[6:7]
	v_lshlrev_b32_e32 v6, 2, v6
	s_waitcnt lgkmcnt(0)
	v_add_f32_e32 v2, v2, v4
	ds_bpermute_b32 v4, v12, v2
	s_waitcnt lgkmcnt(0)
	v_add_f32_e32 v2, v2, v4
	ds_bpermute_b32 v4, v6, v2
	v_xor_b32_e32 v6, 2, v11
	v_cmp_lt_i32_e64 s[6:7], v6, v5
	v_cndmask_b32_e64 v5, v11, v6, s[6:7]
	s_waitcnt lgkmcnt(0)
	v_add_f32_e32 v2, v2, v4
	v_lshlrev_b32_e32 v4, 2, v5
	ds_bpermute_b32 v4, v4, v2
	s_waitcnt lgkmcnt(0)
	v_add_f32_e32 v2, v2, v4
	ds_bpermute_b32 v4, v7, v2
	s_waitcnt lgkmcnt(0)
	v_add_f32_e32 v2, v2, v4
	s_and_saveexec_b64 s[6:7], vcc
; %bb.45:
	ds_write_b32 v1, v2 offset:72
; %bb.46:
	s_or_b64 exec, exec, s[6:7]
	s_waitcnt lgkmcnt(0)
	s_barrier
	s_and_saveexec_b64 s[6:7], s[2:3]
; %bb.47:
	ds_read_b32 v2, v3 offset:72
; %bb.48:
	s_or_b64 exec, exec, s[6:7]
	s_waitcnt lgkmcnt(0)
	ds_bpermute_b32 v1, v7, v2
	v_lshlrev_b32_e32 v3, 2, v11
	s_waitcnt lgkmcnt(0)
	v_add_f32_e32 v1, v2, v1
	v_and_b32_e32 v2, 0xffffff00, v3
	ds_bpermute_b32 v1, v2, v1
	s_and_saveexec_b64 s[2:3], s[4:5]
	s_cbranch_execz .LBB227_51
; %bb.49:
	s_waitcnt lgkmcnt(0)
	v_add_f32_e32 v2, 0x358637bd, v1
	v_div_scale_f32 v1, s[4:5], v2, v2, 1.0
	v_div_scale_f32 v3, vcc, 1.0, v2, 1.0
	s_mov_b64 s[4:5], 0
	v_rcp_f32_e32 v4, v1
	v_fma_f32 v5, -v1, v4, 1.0
	v_fmac_f32_e32 v4, v5, v4
	v_mul_f32_e32 v5, v3, v4
	v_fma_f32 v6, -v1, v5, v3
	v_fmac_f32_e32 v5, v6, v4
	v_fma_f32 v1, -v1, v5, v3
	v_div_fmas_f32 v3, v1, v4, v5
	v_mov_b32_e32 v1, 0x50
	v_lshl_add_u32 v1, v0, 2, v1
	v_div_fixup_f32 v2, v3, v2, 1.0
	v_mov_b32_e32 v3, v0
.LBB227_50:                             ; =>This Inner Loop Header: Depth=1
	ds_read_b32 v4, v1
	v_add_u32_e32 v3, 0x80, v3
	v_cmp_le_i32_e32 vcc, s31, v3
	s_or_b64 s[4:5], vcc, s[4:5]
	s_waitcnt lgkmcnt(0)
	v_mul_f32_e32 v4, v2, v4
	ds_write_b32 v1, v4
	v_add_u32_e32 v1, 0x200, v1
	s_andn2_b64 exec, exec, s[4:5]
	s_cbranch_execnz .LBB227_50
.LBB227_51:
	s_or_b64 exec, exec, s[2:3]
	v_mov_b32_e32 v11, 0
	s_waitcnt lgkmcnt(0)
	s_barrier
	s_and_saveexec_b64 s[2:3], s[0:1]
	s_cbranch_execz .LBB227_107
; %bb.52:
	s_ashr_i32 s0, s16, 31
	s_add_u32 s1, s28, s16
	s_addc_u32 s0, s29, s0
	v_lshlrev_b32_e32 v1, 3, v10
	v_mov_b32_e32 v4, s0
	v_add_co_u32_e64 v3, s[0:1], s1, v1
	v_addc_co_u32_e64 v4, s[0:1], 0, v4, s[0:1]
	s_add_i32 s28, s30, -1
	s_lshl_b64 s[0:1], s[26:27], 2
	v_mov_b32_e32 v1, 0x50
	s_add_u32 s0, s24, s0
	v_lshl_add_u32 v13, v9, 5, v1
	v_and_b32_e32 v1, 60, v8
	s_addc_u32 s1, s25, s1
	s_mov_b32 s4, -1
	v_mov_b32_e32 v6, s1
	v_add_co_u32_e64 v5, s[0:1], s0, v1
	s_mov_b32 s31, s17
	v_cmp_gt_u32_e32 vcc, 32, v10
	v_mov_b32_e32 v2, 0
	s_mov_b32 s5, 0xffffff
	v_lshl_or_b32 v12, v9, 3, 7
	v_addc_co_u32_e64 v6, s[0:1], 0, v6, s[0:1]
	s_mov_b64 s[6:7], 0
	s_movk_i32 s26, 0x80
	s_movk_i32 s27, 0x7f
	s_mov_b32 s29, 0x8000
	v_mov_b32_e32 v14, 0x2000
	v_mov_b32_e32 v11, 0
	s_branch .LBB227_55
.LBB227_53:                             ;   in Loop: Header=BB227_55 Depth=1
	s_or_b64 exec, exec, s[16:17]
	v_and_b32_e32 v15, 0xffff, v15
	v_lshl_or_b32 v15, v16, 16, v15
	v_and_b32_e32 v16, 0xffff, v17
	v_lshl_or_b32 v16, v18, 16, v16
	v_and_b32_e32 v17, 0xffff, v19
	v_and_b32_e32 v18, 0xffff, v21
	;;#ASMSTART
	v_pk_mul_f16 v7, v15, v7;

	;;#ASMEND
	;;#ASMSTART
	v_pk_mul_f16 v1, v16, v1;

	;;#ASMEND
	v_lshl_or_b32 v17, v20, 16, v17
	v_lshl_or_b32 v18, v22, 16, v18
	;;#ASMSTART
	v_pk_mul_f16 v8, v17, v8;

	;;#ASMEND
	;;#ASMSTART
	v_pk_mul_f16 v15, v18, v25;

	;;#ASMEND
	;;#ASMSTART
	v_pk_add_f16 v1, v7, v1;

	;;#ASMEND
	;;#ASMSTART
	v_pk_add_f16 v1, v1, v8;
	;; [unrolled: 4-line block ×3, first 2 shown]

	;;#ASMEND
	v_lshrrev_b32_e32 v7, 16, v1
	v_and_b32_e32 v1, 0xffff, v1
	;;#ASMSTART
	v_cvt_f32_f16 v1, v1;
	;;#ASMEND
	;;#ASMSTART
	v_cvt_f32_f16 v7, v7;
	;;#ASMEND
	v_add_f32_e32 v1, v1, v7
	v_add_f32_e32 v11, v11, v1
.LBB227_54:                             ;   in Loop: Header=BB227_55 Depth=1
	s_or_b64 exec, exec, s[12:13]
	v_add_u32_e32 v9, 2, v9
	v_cmp_le_i32_e64 s[0:1], s30, v9
	s_or_b64 s[6:7], s[0:1], s[6:7]
	v_add_co_u32_e64 v5, s[0:1], 8, v5
	v_add_u32_e32 v12, 16, v12
	v_add_u32_e32 v13, 64, v13
	v_addc_co_u32_e64 v6, s[0:1], 0, v6, s[0:1]
	s_andn2_b64 exec, exec, s[6:7]
	s_cbranch_execz .LBB227_106
.LBB227_55:                             ; =>This Inner Loop Header: Depth=1
	ds_read2_b64 v[15:18], v13 offset1:1
	ds_read2_b64 v[19:22], v13 offset0:2 offset1:3
	s_waitcnt lgkmcnt(1)
	;;#ASMSTART
	v_cvt_f16_f32 v15, v15;

	;;#ASMEND
	;;#ASMSTART
	v_cvt_f16_f32 v16, v16;

	;;#ASMEND
	;; [unrolled: 4-line block ×4, first 2 shown]
	s_waitcnt lgkmcnt(0)
	;;#ASMSTART
	v_cvt_f16_f32 v19, v19;

	;;#ASMEND
	;;#ASMSTART
	v_cvt_f16_f32 v20, v20;

	;;#ASMEND
	;; [unrolled: 4-line block ×4, first 2 shown]
	s_and_saveexec_b64 s[12:13], vcc
	s_cbranch_execz .LBB227_54
; %bb.56:                               ;   in Loop: Header=BB227_55 Depth=1
	global_load_dword v1, v[5:6], off
	v_mov_b32_e32 v24, 0
	global_load_dword v23, v24, s[14:15]
	v_mov_b32_e32 v25, 0
	s_waitcnt vmcnt(1)
	v_mad_i64_i32 v[7:8], s[0:1], v1, s31, v[3:4]
	global_load_dwordx2 v[7:8], v[7:8], off
	s_waitcnt vmcnt(0)
	v_cmp_ne_u16_sdwa s[0:1], v7, v2 src0_sel:BYTE_0 src1_sel:DWORD
	s_and_saveexec_b64 s[16:17], s[0:1]
	s_cbranch_execz .LBB227_62
; %bb.57:                               ;   in Loop: Header=BB227_55 Depth=1
	v_cmp_ne_u16_sdwa s[0:1], v7, s26 src0_sel:BYTE_0 src1_sel:DWORD
	v_mov_b32_e32 v25, 0x8000
	s_and_saveexec_b64 s[18:19], s[0:1]
	s_cbranch_execz .LBB227_61
; %bb.58:                               ;   in Loop: Header=BB227_55 Depth=1
	v_and_b32_e32 v1, 0x7f, v7
	v_cmp_ne_u32_e64 s[0:1], s27, v1
	v_mov_b32_e32 v25, 0x7c01
	s_and_saveexec_b64 s[24:25], s[0:1]
	s_cbranch_execz .LBB227_60
; %bb.59:                               ;   in Loop: Header=BB227_55 Depth=1
	v_and_b32_e32 v27, 7, v7
	v_ffbh_u32_e32 v25, v27
	v_min_u32_e32 v29, 32, v25
	v_subrev_u32_e32 v25, 28, v29
	v_lshlrev_b64 v[25:26], v25, v[7:8]
	v_lshrrev_b32_e32 v28, 3, v1
	v_sub_u32_e32 v26, 29, v29
	v_cmp_gt_u32_e64 s[0:1], 8, v1
	v_cndmask_b32_e64 v1, v28, v26, s[0:1]
	v_lshl_add_u32 v1, v1, 10, v14
	v_lshlrev_b32_e32 v26, 8, v7
	v_and_b32_e32 v25, 7, v25
	v_and_b32_e32 v1, 0xfc00, v1
	v_cndmask_b32_e64 v25, v27, v25, s[0:1]
	v_and_or_b32 v1, v26, s29, v1
	v_lshl_or_b32 v25, v25, 7, v1
.LBB227_60:                             ;   in Loop: Header=BB227_55 Depth=1
	s_or_b64 exec, exec, s[24:25]
.LBB227_61:                             ;   in Loop: Header=BB227_55 Depth=1
	s_or_b64 exec, exec, s[18:19]
.LBB227_62:                             ;   in Loop: Header=BB227_55 Depth=1
	s_or_b64 exec, exec, s[16:17]
	v_lshrrev_b16_e32 v1, 8, v7
	v_cmp_ne_u16_e64 s[0:1], 0, v1
	s_and_saveexec_b64 s[16:17], s[0:1]
	s_cbranch_execz .LBB227_68
; %bb.63:                               ;   in Loop: Header=BB227_55 Depth=1
	v_cmp_ne_u16_e64 s[0:1], s26, v1
	v_bfrev_b32_e32 v24, 1
	s_and_saveexec_b64 s[18:19], s[0:1]
	s_cbranch_execz .LBB227_67
; %bb.64:                               ;   in Loop: Header=BB227_55 Depth=1
	v_and_b32_e32 v26, 0x7f, v1
	v_cmp_ne_u32_e64 s[0:1], s27, v26
	v_mov_b32_e32 v24, 0x7c010000
	s_and_saveexec_b64 s[24:25], s[0:1]
	s_cbranch_execz .LBB227_66
; %bb.65:                               ;   in Loop: Header=BB227_55 Depth=1
	v_and_b32_e32 v24, 7, v1
	v_ffbh_u32_e32 v27, v24
	v_min_u32_e32 v30, 32, v27
	v_subrev_u32_e32 v27, 28, v30
	v_lshlrev_b64 v[27:28], v27, v[1:2]
	v_lshrrev_b32_e32 v29, 3, v26
	v_sub_u32_e32 v28, 29, v30
	v_cmp_gt_u32_e64 s[0:1], 8, v26
	v_cndmask_b32_e64 v26, v29, v28, s[0:1]
	v_lshlrev_b32_e32 v1, 8, v1
	v_lshl_add_u32 v26, v26, 10, v14
	v_and_b32_e32 v27, 7, v27
	v_and_or_b32 v1, v1, s29, v26
	v_cndmask_b32_e64 v24, v24, v27, s[0:1]
	v_lshlrev_b32_e32 v1, 16, v1
	v_lshl_or_b32 v24, v24, 23, v1
.LBB227_66:                             ;   in Loop: Header=BB227_55 Depth=1
	s_or_b64 exec, exec, s[24:25]
.LBB227_67:                             ;   in Loop: Header=BB227_55 Depth=1
	s_or_b64 exec, exec, s[18:19]
.LBB227_68:                             ;   in Loop: Header=BB227_55 Depth=1
	s_or_b64 exec, exec, s[16:17]
	v_lshrrev_b32_e32 v1, 16, v7
	v_cmp_ne_u16_sdwa s[0:1], v1, v2 src0_sel:BYTE_0 src1_sel:DWORD
	v_mov_b32_e32 v26, 0
	v_mov_b32_e32 v27, 0
	s_and_saveexec_b64 s[16:17], s[0:1]
	s_cbranch_execz .LBB227_74
; %bb.69:                               ;   in Loop: Header=BB227_55 Depth=1
	v_cmp_ne_u16_sdwa s[0:1], v1, s26 src0_sel:BYTE_0 src1_sel:DWORD
	v_mov_b32_e32 v27, 0x8000
	s_and_saveexec_b64 s[18:19], s[0:1]
	s_cbranch_execz .LBB227_73
; %bb.70:                               ;   in Loop: Header=BB227_55 Depth=1
	v_bfe_u32 v28, v7, 16, 7
	v_cmp_ne_u32_e64 s[0:1], s27, v28
	v_mov_b32_e32 v27, 0x7c01
	s_and_saveexec_b64 s[24:25], s[0:1]
	s_cbranch_execz .LBB227_72
; %bb.71:                               ;   in Loop: Header=BB227_55 Depth=1
	v_and_b32_e32 v27, 7, v1
	v_ffbh_u32_e32 v29, v27
	v_min_u32_e32 v32, 32, v29
	v_subrev_u32_e32 v29, 28, v32
	v_lshlrev_b64 v[29:30], v29, v[1:2]
	v_lshrrev_b32_e32 v31, 3, v28
	v_sub_u32_e32 v30, 29, v32
	v_cmp_gt_u32_e64 s[0:1], 8, v28
	v_cndmask_b32_e64 v28, v31, v30, s[0:1]
	v_lshl_add_u32 v28, v28, 10, v14
	v_lshlrev_b32_e32 v1, 8, v1
	v_and_b32_e32 v29, 7, v29
	v_and_b32_e32 v28, 0xfc00, v28
	v_cndmask_b32_e64 v27, v27, v29, s[0:1]
	v_and_or_b32 v1, v1, s29, v28
	v_lshl_or_b32 v27, v27, 7, v1
.LBB227_72:                             ;   in Loop: Header=BB227_55 Depth=1
	s_or_b64 exec, exec, s[24:25]
.LBB227_73:                             ;   in Loop: Header=BB227_55 Depth=1
	s_or_b64 exec, exec, s[18:19]
.LBB227_74:                             ;   in Loop: Header=BB227_55 Depth=1
	s_or_b64 exec, exec, s[16:17]
	v_cmp_lt_u32_e64 s[0:1], s5, v7
	s_and_saveexec_b64 s[16:17], s[0:1]
	s_cbranch_execz .LBB227_80
; %bb.75:                               ;   in Loop: Header=BB227_55 Depth=1
	v_lshrrev_b32_e32 v1, 24, v7
	v_cmp_ne_u32_e64 s[0:1], s26, v1
	v_bfrev_b32_e32 v26, 1
	s_and_saveexec_b64 s[18:19], s[0:1]
	s_cbranch_execz .LBB227_79
; %bb.76:                               ;   in Loop: Header=BB227_55 Depth=1
	v_and_b32_e32 v28, 0x7f, v1
	v_cmp_ne_u32_e64 s[0:1], s27, v28
	v_mov_b32_e32 v26, 0x7c010000
	s_and_saveexec_b64 s[24:25], s[0:1]
	s_cbranch_execz .LBB227_78
; %bb.77:                               ;   in Loop: Header=BB227_55 Depth=1
	v_and_b32_e32 v26, 7, v1
	v_ffbh_u32_e32 v29, v26
	v_min_u32_e32 v32, 32, v29
	v_subrev_u32_e32 v29, 28, v32
	v_lshlrev_b64 v[29:30], v29, v[1:2]
	v_lshrrev_b32_e32 v31, 3, v28
	v_sub_u32_e32 v30, 29, v32
	v_cmp_gt_u32_e64 s[0:1], 8, v28
	v_cndmask_b32_e64 v28, v31, v30, s[0:1]
	v_lshlrev_b32_e32 v1, 8, v1
	v_lshl_add_u32 v28, v28, 10, v14
	v_and_b32_e32 v29, 7, v29
	v_and_or_b32 v1, v1, s29, v28
	v_cndmask_b32_e64 v26, v26, v29, s[0:1]
	v_lshlrev_b32_e32 v1, 16, v1
	v_lshl_or_b32 v26, v26, 23, v1
.LBB227_78:                             ;   in Loop: Header=BB227_55 Depth=1
	s_or_b64 exec, exec, s[24:25]
.LBB227_79:                             ;   in Loop: Header=BB227_55 Depth=1
	s_or_b64 exec, exec, s[18:19]
.LBB227_80:                             ;   in Loop: Header=BB227_55 Depth=1
	s_or_b64 exec, exec, s[16:17]
	v_mov_b32_e32 v1, v8
	v_cmp_ne_u16_sdwa s[0:1], v8, v2 src0_sel:BYTE_0 src1_sel:DWORD
	v_mov_b32_e32 v28, 0
	v_mov_b32_e32 v29, 0
	s_and_saveexec_b64 s[16:17], s[0:1]
	s_cbranch_execz .LBB227_86
; %bb.81:                               ;   in Loop: Header=BB227_55 Depth=1
	v_cmp_ne_u16_sdwa s[0:1], v8, s26 src0_sel:BYTE_0 src1_sel:DWORD
	v_mov_b32_e32 v29, 0x8000
	s_and_saveexec_b64 s[18:19], s[0:1]
	s_cbranch_execz .LBB227_85
; %bb.82:                               ;   in Loop: Header=BB227_55 Depth=1
	v_and_b32_e32 v30, 0x7f, v8
	v_cmp_ne_u32_e64 s[0:1], s27, v30
	v_mov_b32_e32 v29, 0x7c01
	s_and_saveexec_b64 s[24:25], s[0:1]
	s_cbranch_execz .LBB227_84
; %bb.83:                               ;   in Loop: Header=BB227_55 Depth=1
	v_and_b32_e32 v29, 7, v8
	v_ffbh_u32_e32 v31, v29
	v_min_u32_e32 v34, 32, v31
	v_subrev_u32_e32 v31, 28, v34
	v_lshlrev_b64 v[31:32], v31, v[1:2]
	v_lshrrev_b32_e32 v33, 3, v30
	v_sub_u32_e32 v32, 29, v34
	v_cmp_gt_u32_e64 s[0:1], 8, v30
	v_cndmask_b32_e64 v30, v33, v32, s[0:1]
	v_lshl_add_u32 v30, v30, 10, v14
	v_lshlrev_b32_e32 v32, 8, v8
	v_and_b32_e32 v31, 7, v31
	v_and_b32_e32 v30, 0xfc00, v30
	v_cndmask_b32_e64 v29, v29, v31, s[0:1]
	v_and_or_b32 v30, v32, s29, v30
	v_lshl_or_b32 v29, v29, 7, v30
.LBB227_84:                             ;   in Loop: Header=BB227_55 Depth=1
	s_or_b64 exec, exec, s[24:25]
.LBB227_85:                             ;   in Loop: Header=BB227_55 Depth=1
	s_or_b64 exec, exec, s[18:19]
.LBB227_86:                             ;   in Loop: Header=BB227_55 Depth=1
	s_or_b64 exec, exec, s[16:17]
	v_lshrrev_b16_e32 v1, 8, v1
	v_cmp_ne_u16_e64 s[0:1], 0, v1
	v_mov_b32_e32 v30, 0
	s_and_saveexec_b64 s[16:17], s[0:1]
	s_cbranch_execz .LBB227_92
; %bb.87:                               ;   in Loop: Header=BB227_55 Depth=1
	v_cmp_ne_u16_e64 s[0:1], s26, v1
	v_bfrev_b32_e32 v30, 1
	s_and_saveexec_b64 s[18:19], s[0:1]
	s_cbranch_execz .LBB227_91
; %bb.88:                               ;   in Loop: Header=BB227_55 Depth=1
	v_and_b32_e32 v31, 0x7f, v1
	v_cmp_ne_u32_e64 s[0:1], s27, v31
	v_mov_b32_e32 v30, 0x7c010000
	s_and_saveexec_b64 s[24:25], s[0:1]
	s_cbranch_execz .LBB227_90
; %bb.89:                               ;   in Loop: Header=BB227_55 Depth=1
	v_and_b32_e32 v30, 7, v1
	v_ffbh_u32_e32 v32, v30
	v_min_u32_e32 v35, 32, v32
	v_subrev_u32_e32 v32, 28, v35
	v_lshlrev_b64 v[32:33], v32, v[1:2]
	v_lshrrev_b32_e32 v34, 3, v31
	v_sub_u32_e32 v33, 29, v35
	v_cmp_gt_u32_e64 s[0:1], 8, v31
	v_cndmask_b32_e64 v31, v34, v33, s[0:1]
	v_lshlrev_b32_e32 v1, 8, v1
	v_lshl_add_u32 v31, v31, 10, v14
	v_and_b32_e32 v32, 7, v32
	v_and_or_b32 v1, v1, s29, v31
	v_cndmask_b32_e64 v30, v30, v32, s[0:1]
	v_lshlrev_b32_e32 v1, 16, v1
	v_lshl_or_b32 v30, v30, 23, v1
.LBB227_90:                             ;   in Loop: Header=BB227_55 Depth=1
	s_or_b64 exec, exec, s[24:25]
.LBB227_91:                             ;   in Loop: Header=BB227_55 Depth=1
	s_or_b64 exec, exec, s[18:19]
.LBB227_92:                             ;   in Loop: Header=BB227_55 Depth=1
	s_or_b64 exec, exec, s[16:17]
	v_lshrrev_b32_e32 v1, 16, v8
	v_cmp_ne_u16_sdwa s[0:1], v1, v2 src0_sel:BYTE_0 src1_sel:DWORD
	s_and_saveexec_b64 s[16:17], s[0:1]
	s_cbranch_execz .LBB227_98
; %bb.93:                               ;   in Loop: Header=BB227_55 Depth=1
	v_cmp_ne_u16_sdwa s[0:1], v1, s26 src0_sel:BYTE_0 src1_sel:DWORD
	v_mov_b32_e32 v28, 0x8000
	s_and_saveexec_b64 s[18:19], s[0:1]
	s_cbranch_execz .LBB227_97
; %bb.94:                               ;   in Loop: Header=BB227_55 Depth=1
	v_bfe_u32 v31, v8, 16, 7
	v_cmp_ne_u32_e64 s[0:1], s27, v31
	v_mov_b32_e32 v28, 0x7c01
	s_and_saveexec_b64 s[24:25], s[0:1]
	s_cbranch_execz .LBB227_96
; %bb.95:                               ;   in Loop: Header=BB227_55 Depth=1
	v_and_b32_e32 v28, 7, v1
	v_ffbh_u32_e32 v32, v28
	v_min_u32_e32 v35, 32, v32
	v_subrev_u32_e32 v32, 28, v35
	v_lshlrev_b64 v[32:33], v32, v[1:2]
	v_lshrrev_b32_e32 v34, 3, v31
	v_sub_u32_e32 v33, 29, v35
	v_cmp_gt_u32_e64 s[0:1], 8, v31
	v_cndmask_b32_e64 v31, v34, v33, s[0:1]
	v_lshl_add_u32 v31, v31, 10, v14
	v_lshlrev_b32_e32 v1, 8, v1
	v_and_b32_e32 v32, 7, v32
	v_and_b32_e32 v31, 0xfc00, v31
	v_cndmask_b32_e64 v28, v28, v32, s[0:1]
	v_and_or_b32 v1, v1, s29, v31
	v_lshl_or_b32 v28, v28, 7, v1
.LBB227_96:                             ;   in Loop: Header=BB227_55 Depth=1
	s_or_b64 exec, exec, s[24:25]
.LBB227_97:                             ;   in Loop: Header=BB227_55 Depth=1
	s_or_b64 exec, exec, s[18:19]
.LBB227_98:                             ;   in Loop: Header=BB227_55 Depth=1
	s_or_b64 exec, exec, s[16:17]
	v_cmp_lt_u64_e64 s[0:1], s[4:5], v[7:8]
	v_mov_b32_e32 v31, 0
	s_and_saveexec_b64 s[16:17], s[0:1]
	s_cbranch_execz .LBB227_104
; %bb.99:                               ;   in Loop: Header=BB227_55 Depth=1
	v_lshrrev_b32_e32 v1, 24, v8
	v_cmp_ne_u32_e64 s[0:1], s26, v1
	v_bfrev_b32_e32 v31, 1
	s_and_saveexec_b64 s[18:19], s[0:1]
	s_cbranch_execz .LBB227_103
; %bb.100:                              ;   in Loop: Header=BB227_55 Depth=1
	v_and_b32_e32 v7, 0x7f, v1
	v_cmp_ne_u32_e64 s[0:1], s27, v7
	v_mov_b32_e32 v31, 0x7c010000
	s_and_saveexec_b64 s[24:25], s[0:1]
	s_cbranch_execz .LBB227_102
; %bb.101:                              ;   in Loop: Header=BB227_55 Depth=1
	v_and_b32_e32 v8, 7, v1
	v_ffbh_u32_e32 v31, v8
	v_min_u32_e32 v34, 32, v31
	v_subrev_u32_e32 v31, 28, v34
	v_lshlrev_b64 v[31:32], v31, v[1:2]
	v_lshrrev_b32_e32 v33, 3, v7
	v_sub_u32_e32 v32, 29, v34
	v_cmp_gt_u32_e64 s[0:1], 8, v7
	v_cndmask_b32_e64 v7, v33, v32, s[0:1]
	v_lshlrev_b32_e32 v1, 8, v1
	v_lshl_add_u32 v7, v7, 10, v14
	v_and_b32_e32 v31, 7, v31
	v_and_or_b32 v1, v1, s29, v7
	v_cndmask_b32_e64 v8, v8, v31, s[0:1]
	v_lshlrev_b32_e32 v1, 16, v1
	v_lshl_or_b32 v31, v8, 23, v1
.LBB227_102:                            ;   in Loop: Header=BB227_55 Depth=1
	s_or_b64 exec, exec, s[24:25]
.LBB227_103:                            ;   in Loop: Header=BB227_55 Depth=1
	s_or_b64 exec, exec, s[18:19]
.LBB227_104:                            ;   in Loop: Header=BB227_55 Depth=1
	s_or_b64 exec, exec, s[16:17]
	v_fma_mixlo_f16 v7, v23, v26, 0 op_sel:[0,1,0] op_sel_hi:[0,1,0]
	v_fma_mixlo_f16 v8, v23, v24, 0 op_sel:[0,1,0] op_sel_hi:[0,1,0]
	v_or_b32_e32 v1, v26, v27
	v_lshlrev_b32_e32 v26, 16, v7
	v_or_b32_e32 v7, v24, v25
	v_lshlrev_b32_e32 v32, 16, v8
	v_or_b32_e32 v8, v30, v29
	v_or_b32_e32 v25, v31, v28
	v_fma_mixlo_f16 v1, v23, v1, 0 op_sel_hi:[0,1,0]
	v_fma_mixlo_f16 v7, v23, v7, 0 op_sel_hi:[0,1,0]
	v_fma_mixlo_f16 v24, v23, v30, 0 op_sel:[0,1,0] op_sel_hi:[0,1,0]
	v_fma_mixlo_f16 v8, v23, v8, 0 op_sel_hi:[0,1,0]
	v_fma_mixlo_f16 v25, v23, v25, 0 op_sel_hi:[0,1,0]
	v_fma_mixlo_f16 v23, v23, v31, 0 op_sel:[0,1,0] op_sel_hi:[0,1,0]
	v_and_b32_e32 v27, 0xffff, v1
	v_and_b32_e32 v33, 0xffff, v7
	v_lshlrev_b32_e32 v24, 16, v24
	v_and_b32_e32 v29, 0xffff, v8
	v_lshlrev_b32_e32 v23, 16, v23
	v_and_b32_e32 v28, 0xffff, v25
	v_cmp_eq_u32_e64 s[0:1], s28, v9
	v_or_b32_e32 v1, v26, v27
	v_or_b32_e32 v7, v32, v33
	;; [unrolled: 1-line block ×4, first 2 shown]
	s_and_saveexec_b64 s[16:17], s[0:1]
	s_cbranch_execz .LBB227_53
; %bb.105:                              ;   in Loop: Header=BB227_55 Depth=1
	v_add_u32_e32 v1, -7, v12
	v_cmp_gt_i32_e64 s[0:1], s11, v1
	v_add_u32_e32 v7, -6, v12
	v_cndmask_b32_e64 v1, 0, v33, s[0:1]
	v_cmp_gt_i32_e64 s[0:1], s11, v7
	v_cndmask_b32_e64 v7, 0, v32, s[0:1]
	v_or_b32_e32 v7, v7, v1
	v_add_u32_e32 v1, -5, v12
	v_cmp_gt_i32_e64 s[0:1], s11, v1
	v_add_u32_e32 v8, -4, v12
	v_cndmask_b32_e64 v1, 0, v27, s[0:1]
	v_cmp_gt_i32_e64 s[0:1], s11, v8
	v_cndmask_b32_e64 v8, 0, v26, s[0:1]
	v_or_b32_e32 v1, v8, v1
	;; [unrolled: 7-line block ×3, first 2 shown]
	v_add_u32_e32 v24, -1, v12
	v_cmp_gt_i32_e64 s[0:1], s11, v24
	v_cndmask_b32_e64 v24, 0, v28, s[0:1]
	v_cmp_gt_i32_e64 s[0:1], s11, v12
	v_cndmask_b32_e64 v23, 0, v23, s[0:1]
	v_or_b32_e32 v25, v23, v24
	s_branch .LBB227_53
.LBB227_106:
	s_or_b64 exec, exec, s[6:7]
.LBB227_107:
	s_or_b64 exec, exec, s[2:3]
	v_and_b32_e32 v1, 0x3c0, v0
	v_cmp_eq_u32_e64 s[0:1], 64, v1
	v_cmp_gt_u32_e64 s[2:3], 32, v10
	v_mov_b32_e32 v1, 0x50
	v_cmp_lt_u32_e32 vcc, 31, v10
	v_lshl_add_u32 v1, v10, 2, v1
	s_and_b64 s[2:3], s[0:1], s[2:3]
	s_barrier
	s_and_saveexec_b64 s[0:1], s[2:3]
; %bb.108:
	ds_write_b32 v1, v11
; %bb.109:
	s_or_b64 exec, exec, s[0:1]
	v_cmp_gt_u32_e64 s[0:1], 64, v0
	s_xor_b64 s[2:3], vcc, -1
	s_and_b64 s[2:3], s[0:1], s[2:3]
	s_waitcnt lgkmcnt(0)
	s_barrier
	s_and_saveexec_b64 s[0:1], s[2:3]
	s_cbranch_execz .LBB227_111
; %bb.110:
	ds_read_b32 v1, v1
	s_waitcnt lgkmcnt(0)
	v_add_f32_e32 v11, v11, v1
.LBB227_111:
	s_or_b64 exec, exec, s[0:1]
	v_cmp_gt_u32_e32 vcc, 64, v0
	v_cmp_gt_u32_e64 s[0:1], 32, v10
	s_and_b64 s[0:1], vcc, s[0:1]
	s_barrier
	s_and_saveexec_b64 s[2:3], s[0:1]
	s_cbranch_execz .LBB227_113
; %bb.112:
	s_mul_i32 s0, s10, s21
	s_mul_i32 s0, s0, s9
	s_lshl_b32 s0, s0, 5
	s_ashr_i32 s1, s0, 31
	s_lshl_b64 s[0:1], s[0:1], 1
	s_add_u32 s2, s22, s0
	s_mul_i32 s0, s21, s20
	s_addc_u32 s3, s23, s1
	s_ashr_i32 s1, s0, 31
	s_lshl_b64 s[0:1], s[0:1], 1
	s_add_u32 s2, s2, s0
	s_addc_u32 s3, s3, s1
	s_lshl_b32 s0, s8, 5
	s_ashr_i32 s1, s0, 31
	s_lshl_b64 s[0:1], s[0:1], 1
	s_add_u32 s0, s2, s0
	s_addc_u32 s1, s3, s1
	v_lshlrev_b32_e32 v0, 1, v10
	;;#ASMSTART
	v_cvt_f16_f32 v1, v11;

	;;#ASMEND
	global_store_short v0, v1, s[0:1]
.LBB227_113:
	s_endpgm
	.section	.rodata,"a",@progbits
	.p2align	6, 0x0
	.amdhsa_kernel _ZN4vllm25paged_attention_v1_kernelIthLi32ELi8ELi128ELNS_18Fp8KVCacheDataTypeE1ELb0EEEvPT_PKS2_PKT0_S8_ifPKiSA_iPKfiiiSC_SC_iiiii
		.amdhsa_group_segment_fixed_size 80
		.amdhsa_private_segment_fixed_size 0
		.amdhsa_kernarg_size 384
		.amdhsa_user_sgpr_count 6
		.amdhsa_user_sgpr_private_segment_buffer 1
		.amdhsa_user_sgpr_dispatch_ptr 0
		.amdhsa_user_sgpr_queue_ptr 0
		.amdhsa_user_sgpr_kernarg_segment_ptr 1
		.amdhsa_user_sgpr_dispatch_id 0
		.amdhsa_user_sgpr_flat_scratch_init 0
		.amdhsa_user_sgpr_private_segment_size 0
		.amdhsa_uses_dynamic_stack 0
		.amdhsa_system_sgpr_private_segment_wavefront_offset 0
		.amdhsa_system_sgpr_workgroup_id_x 1
		.amdhsa_system_sgpr_workgroup_id_y 1
		.amdhsa_system_sgpr_workgroup_id_z 1
		.amdhsa_system_sgpr_workgroup_info 0
		.amdhsa_system_vgpr_workitem_id 0
		.amdhsa_next_free_vgpr 36
		.amdhsa_next_free_sgpr 44
		.amdhsa_reserve_vcc 1
		.amdhsa_reserve_flat_scratch 0
		.amdhsa_float_round_mode_32 0
		.amdhsa_float_round_mode_16_64 0
		.amdhsa_float_denorm_mode_32 3
		.amdhsa_float_denorm_mode_16_64 3
		.amdhsa_dx10_clamp 1
		.amdhsa_ieee_mode 1
		.amdhsa_fp16_overflow 0
		.amdhsa_exception_fp_ieee_invalid_op 0
		.amdhsa_exception_fp_denorm_src 0
		.amdhsa_exception_fp_ieee_div_zero 0
		.amdhsa_exception_fp_ieee_overflow 0
		.amdhsa_exception_fp_ieee_underflow 0
		.amdhsa_exception_fp_ieee_inexact 0
		.amdhsa_exception_int_div_zero 0
	.end_amdhsa_kernel
	.section	.text._ZN4vllm25paged_attention_v1_kernelIthLi32ELi8ELi128ELNS_18Fp8KVCacheDataTypeE1ELb0EEEvPT_PKS2_PKT0_S8_ifPKiSA_iPKfiiiSC_SC_iiiii,"axG",@progbits,_ZN4vllm25paged_attention_v1_kernelIthLi32ELi8ELi128ELNS_18Fp8KVCacheDataTypeE1ELb0EEEvPT_PKS2_PKT0_S8_ifPKiSA_iPKfiiiSC_SC_iiiii,comdat
.Lfunc_end227:
	.size	_ZN4vllm25paged_attention_v1_kernelIthLi32ELi8ELi128ELNS_18Fp8KVCacheDataTypeE1ELb0EEEvPT_PKS2_PKT0_S8_ifPKiSA_iPKfiiiSC_SC_iiiii, .Lfunc_end227-_ZN4vllm25paged_attention_v1_kernelIthLi32ELi8ELi128ELNS_18Fp8KVCacheDataTypeE1ELb0EEEvPT_PKS2_PKT0_S8_ifPKiSA_iPKfiiiSC_SC_iiiii
                                        ; -- End function
	.set _ZN4vllm25paged_attention_v1_kernelIthLi32ELi8ELi128ELNS_18Fp8KVCacheDataTypeE1ELb0EEEvPT_PKS2_PKT0_S8_ifPKiSA_iPKfiiiSC_SC_iiiii.num_vgpr, 36
	.set _ZN4vllm25paged_attention_v1_kernelIthLi32ELi8ELi128ELNS_18Fp8KVCacheDataTypeE1ELb0EEEvPT_PKS2_PKT0_S8_ifPKiSA_iPKfiiiSC_SC_iiiii.num_agpr, 0
	.set _ZN4vllm25paged_attention_v1_kernelIthLi32ELi8ELi128ELNS_18Fp8KVCacheDataTypeE1ELb0EEEvPT_PKS2_PKT0_S8_ifPKiSA_iPKfiiiSC_SC_iiiii.numbered_sgpr, 44
	.set _ZN4vllm25paged_attention_v1_kernelIthLi32ELi8ELi128ELNS_18Fp8KVCacheDataTypeE1ELb0EEEvPT_PKS2_PKT0_S8_ifPKiSA_iPKfiiiSC_SC_iiiii.num_named_barrier, 0
	.set _ZN4vllm25paged_attention_v1_kernelIthLi32ELi8ELi128ELNS_18Fp8KVCacheDataTypeE1ELb0EEEvPT_PKS2_PKT0_S8_ifPKiSA_iPKfiiiSC_SC_iiiii.private_seg_size, 0
	.set _ZN4vllm25paged_attention_v1_kernelIthLi32ELi8ELi128ELNS_18Fp8KVCacheDataTypeE1ELb0EEEvPT_PKS2_PKT0_S8_ifPKiSA_iPKfiiiSC_SC_iiiii.uses_vcc, 1
	.set _ZN4vllm25paged_attention_v1_kernelIthLi32ELi8ELi128ELNS_18Fp8KVCacheDataTypeE1ELb0EEEvPT_PKS2_PKT0_S8_ifPKiSA_iPKfiiiSC_SC_iiiii.uses_flat_scratch, 0
	.set _ZN4vllm25paged_attention_v1_kernelIthLi32ELi8ELi128ELNS_18Fp8KVCacheDataTypeE1ELb0EEEvPT_PKS2_PKT0_S8_ifPKiSA_iPKfiiiSC_SC_iiiii.has_dyn_sized_stack, 0
	.set _ZN4vllm25paged_attention_v1_kernelIthLi32ELi8ELi128ELNS_18Fp8KVCacheDataTypeE1ELb0EEEvPT_PKS2_PKT0_S8_ifPKiSA_iPKfiiiSC_SC_iiiii.has_recursion, 0
	.set _ZN4vllm25paged_attention_v1_kernelIthLi32ELi8ELi128ELNS_18Fp8KVCacheDataTypeE1ELb0EEEvPT_PKS2_PKT0_S8_ifPKiSA_iPKfiiiSC_SC_iiiii.has_indirect_call, 0
	.section	.AMDGPU.csdata,"",@progbits
; Kernel info:
; codeLenInByte = 5456
; TotalNumSgprs: 48
; NumVgprs: 36
; ScratchSize: 0
; MemoryBound: 0
; FloatMode: 240
; IeeeMode: 1
; LDSByteSize: 80 bytes/workgroup (compile time only)
; SGPRBlocks: 5
; VGPRBlocks: 8
; NumSGPRsForWavesPerEU: 48
; NumVGPRsForWavesPerEU: 36
; Occupancy: 7
; WaveLimiterHint : 1
; COMPUTE_PGM_RSRC2:SCRATCH_EN: 0
; COMPUTE_PGM_RSRC2:USER_SGPR: 6
; COMPUTE_PGM_RSRC2:TRAP_HANDLER: 0
; COMPUTE_PGM_RSRC2:TGID_X_EN: 1
; COMPUTE_PGM_RSRC2:TGID_Y_EN: 1
; COMPUTE_PGM_RSRC2:TGID_Z_EN: 1
; COMPUTE_PGM_RSRC2:TIDIG_COMP_CNT: 0
	.section	.text._ZN4vllm25paged_attention_v1_kernelIthLi64ELi8ELi128ELNS_18Fp8KVCacheDataTypeE1ELb0EEEvPT_PKS2_PKT0_S8_ifPKiSA_iPKfiiiSC_SC_iiiii,"axG",@progbits,_ZN4vllm25paged_attention_v1_kernelIthLi64ELi8ELi128ELNS_18Fp8KVCacheDataTypeE1ELb0EEEvPT_PKS2_PKT0_S8_ifPKiSA_iPKfiiiSC_SC_iiiii,comdat
	.protected	_ZN4vllm25paged_attention_v1_kernelIthLi64ELi8ELi128ELNS_18Fp8KVCacheDataTypeE1ELb0EEEvPT_PKS2_PKT0_S8_ifPKiSA_iPKfiiiSC_SC_iiiii ; -- Begin function _ZN4vllm25paged_attention_v1_kernelIthLi64ELi8ELi128ELNS_18Fp8KVCacheDataTypeE1ELb0EEEvPT_PKS2_PKT0_S8_ifPKiSA_iPKfiiiSC_SC_iiiii
	.globl	_ZN4vllm25paged_attention_v1_kernelIthLi64ELi8ELi128ELNS_18Fp8KVCacheDataTypeE1ELb0EEEvPT_PKS2_PKT0_S8_ifPKiSA_iPKfiiiSC_SC_iiiii
	.p2align	8
	.type	_ZN4vllm25paged_attention_v1_kernelIthLi64ELi8ELi128ELNS_18Fp8KVCacheDataTypeE1ELb0EEEvPT_PKS2_PKT0_S8_ifPKiSA_iPKfiiiSC_SC_iiiii,@function
_ZN4vllm25paged_attention_v1_kernelIthLi64ELi8ELi128ELNS_18Fp8KVCacheDataTypeE1ELb0EEEvPT_PKS2_PKT0_S8_ifPKiSA_iPKfiiiSC_SC_iiiii: ; @_ZN4vllm25paged_attention_v1_kernelIthLi64ELi8ELi128ELNS_18Fp8KVCacheDataTypeE1ELb0EEEvPT_PKS2_PKT0_S8_ifPKiSA_iPKfiiiSC_SC_iiiii
; %bb.0:
	s_load_dword s9, s[4:5], 0x80
	s_load_dwordx2 s[0:1], s[4:5], 0x30
	s_load_dwordx2 s[10:11], s[4:5], 0x20
	s_mov_b32 s20, s7
	s_ashr_i32 s21, s7, 31
	s_lshl_b64 s[2:3], s[20:21], 2
	s_waitcnt lgkmcnt(0)
	s_add_u32 s0, s0, s2
	s_addc_u32 s1, s1, s3
	s_abs_i32 s2, s10
	v_cvt_f32_u32_e32 v1, s2
	s_xor_b32 s3, s9, s10
	s_sub_i32 s10, 0, s2
	s_abs_i32 s7, s9
	v_rcp_iflag_f32_e32 v1, v1
	s_ashr_i32 s3, s3, 31
	v_mul_f32_e32 v1, 0x4f7ffffe, v1
	v_cvt_u32_f32_e32 v1, v1
	v_readfirstlane_b32 s12, v1
	s_mul_i32 s10, s10, s12
	s_mul_hi_u32 s10, s12, s10
	s_add_i32 s12, s12, s10
	s_mul_hi_u32 s10, s7, s12
	s_mul_i32 s12, s10, s2
	s_sub_i32 s7, s7, s12
	s_add_i32 s12, s10, 1
	s_sub_i32 s13, s7, s2
	s_cmp_ge_u32 s7, s2
	s_cselect_b32 s10, s12, s10
	s_cselect_b32 s7, s13, s7
	s_add_i32 s12, s10, 1
	s_cmp_ge_u32 s7, s2
	s_cselect_b32 s2, s12, s10
	s_xor_b32 s2, s2, s3
	s_sub_i32 s15, s2, s3
	s_abs_i32 s12, s15
	v_cvt_f32_u32_e32 v1, s12
	s_load_dwordx2 s[2:3], s[4:5], 0x40
	s_sub_i32 s7, 0, s12
	s_abs_i32 s13, s6
	v_rcp_iflag_f32_e32 v1, v1
	s_mov_b32 s10, 0
	v_mul_f32_e32 v1, 0x4f7ffffe, v1
	v_cvt_u32_f32_e32 v1, v1
	v_readfirstlane_b32 s14, v1
	s_mul_i32 s7, s7, s14
	s_mul_hi_u32 s7, s14, s7
	s_add_i32 s14, s14, s7
	s_waitcnt lgkmcnt(0)
	s_cmp_eq_u64 s[2:3], 0
	s_mul_hi_u32 s14, s13, s14
	s_cbranch_scc1 .LBB228_2
; %bb.1:
	s_ashr_i32 s7, s6, 31
	s_lshl_b64 s[16:17], s[6:7], 2
	s_add_u32 s2, s2, s16
	s_addc_u32 s3, s3, s17
	s_load_dword s10, s[2:3], 0x0
.LBB228_2:
	s_load_dword s21, s[0:1], 0x0
	s_load_dwordx4 s[16:19], s[4:5], 0x48
	s_ashr_i32 s7, s6, 31
	s_ashr_i32 s15, s15, 31
	v_and_b32_e32 v1, 7, v0
	s_lshl_b32 s22, s6, 6
	v_cmp_gt_u32_e64 s[0:1], 64, v0
	s_and_saveexec_b64 s[2:3], s[0:1]
	s_cbranch_execz .LBB228_4
; %bb.3:
	s_load_dwordx2 s[24:25], s[4:5], 0x8
	s_waitcnt lgkmcnt(0)
	s_mul_i32 s26, s16, s20
	s_ashr_i32 s27, s26, 31
	s_lshl_b64 s[26:27], s[26:27], 1
	v_lshlrev_b32_e32 v2, 1, v0
	s_add_u32 s6, s24, s26
	s_addc_u32 s16, s25, s27
	s_ashr_i32 s23, s22, 31
	s_lshl_b64 s[24:25], s[22:23], 1
	s_add_u32 s24, s6, s24
	s_addc_u32 s25, s16, s25
	global_load_ushort v2, v2, s[24:25]
	v_lshrrev_b32_e32 v3, 2, v0
	v_and_b32_e32 v3, 0xfe, v3
	v_lshl_add_u32 v3, v1, 4, v3
	s_waitcnt vmcnt(0)
	ds_write_b16 v3, v2
.LBB228_4:
	s_or_b64 exec, exec, s[2:3]
	s_waitcnt lgkmcnt(0)
	s_add_i32 s3, s21, 7
	s_ashr_i32 s6, s3, 31
	s_lshr_b32 s6, s6, 29
	s_add_i32 s3, s3, s6
	s_mul_i32 s6, s14, s12
	s_sub_i32 s6, s13, s6
	s_ashr_i32 s33, s3, 3
	s_xor_b32 s3, s7, s15
	s_add_i32 s7, s14, 1
	s_sub_i32 s13, s6, s12
	s_load_dwordx2 s[26:27], s[4:5], 0x28
	s_load_dword s2, s[4:5], 0x38
	s_cmp_ge_u32 s6, s12
	s_cselect_b32 s7, s7, s14
	s_cselect_b32 s6, s13, s6
	s_add_i32 s13, s7, 1
	s_cmp_ge_u32 s6, s12
	s_cselect_b32 s6, s13, s7
	v_lshrrev_b32_e32 v10, 6, v0
	s_xor_b32 s6, s6, s3
	s_waitcnt lgkmcnt(0)
	s_mul_i32 s28, s2, s20
	s_sub_i32 s16, s6, s3
	s_ashr_i32 s29, s28, 31
	v_cmp_gt_i32_e64 s[2:3], s33, v10
	v_cmp_le_i32_e32 vcc, s33, v10
	v_mbcnt_lo_u32_b32 v7, -1, 0
	s_barrier
                                        ; implicit-def: $vgpr9
                                        ; implicit-def: $vgpr6
                                        ; implicit-def: $vgpr5
	s_and_saveexec_b64 s[6:7], vcc
	s_xor_b64 s[6:7], exec, s[6:7]
; %bb.5:
	v_mbcnt_hi_u32_b32 v9, -1, v7
	v_and_b32_e32 v6, 64, v9
	v_add_u32_e32 v5, 64, v6
                                        ; implicit-def: $vgpr1
                                        ; implicit-def: $vgpr7
; %bb.6:
	s_or_saveexec_b64 s[34:35], s[6:7]
	s_load_dwordx2 s[24:25], s[4:5], 0x0
	s_load_dwordx2 s[30:31], s[4:5], 0x18
	s_load_dword s23, s[4:5], 0x88
	s_load_dwordx4 s[12:15], s[4:5], 0x58
	v_mov_b32_e32 v11, 0xff7fffff
	s_mul_i32 s16, s16, s18
	v_lshrrev_b32_e32 v8, 4, v0
	s_xor_b64 exec, exec, s[34:35]
	s_cbranch_execz .LBB228_60
; %bb.7:
	s_load_dwordx2 s[4:5], s[4:5], 0x10
	s_ashr_i32 s6, s16, 31
	v_bfe_u32 v3, v0, 3, 3
	v_lshlrev_b32_e32 v2, 4, v3
	v_lshlrev_b32_e32 v13, 4, v1
	s_waitcnt lgkmcnt(0)
	s_add_u32 s4, s4, s16
	s_addc_u32 s5, s5, s6
	v_mov_b32_e32 v4, s5
	v_add_co_u32_e32 v2, vcc, s4, v2
	v_addc_co_u32_e32 v4, vcc, 0, v4, vcc
	v_cmp_eq_u32_e32 vcc, 0, v1
	v_add_co_u32_e64 v1, s[6:7], v2, v1
	v_addc_co_u32_e64 v2, s[6:7], 0, v4, s[6:7]
	s_sub_i32 s43, 1, s21
	v_lshl_or_b32 v14, v10, 3, v3
	v_lshlrev_b32_e32 v3, 2, v3
	s_lshl_b64 s[6:7], s[28:29], 2
	v_lshl_or_b32 v3, v10, 5, v3
	s_add_u32 s6, s26, s6
	v_add_u32_e32 v15, 0x90, v3
	v_and_b32_e32 v3, 60, v8
	s_addc_u32 s7, s27, s7
	v_mov_b32_e32 v4, s7
	v_add_co_u32_e64 v3, s[6:7], s6, v3
	s_mov_b32 s42, s17
	v_mov_b32_e32 v12, 0
	v_cmp_neq_f32_e64 s[4:5], s10, 0
	v_addc_co_u32_e64 v4, s[6:7], 0, v4, s[6:7]
	v_mov_b32_e32 v11, 0xff7fffff
	s_mov_b64 s[18:19], 0
	s_movk_i32 s44, 0x80
	s_movk_i32 s45, 0x7f
	v_mbcnt_hi_u32_b32 v9, -1, v7
	v_bfrev_b32_e32 v16, 60
	v_mov_b32_e32 v17, v10
	s_branch .LBB228_9
.LBB228_8:                              ;   in Loop: Header=BB228_9 Depth=1
	s_or_b64 exec, exec, s[36:37]
	v_add_u32_e32 v17, 2, v17
	v_cmp_le_i32_e64 s[6:7], s33, v17
	s_or_b64 s[18:19], s[6:7], s[18:19]
	v_add_co_u32_e64 v3, s[6:7], 8, v3
	v_add_u32_e32 v14, 16, v14
	v_add_u32_e32 v15, 64, v15
	v_addc_co_u32_e64 v4, s[6:7], 0, v4, s[6:7]
	s_andn2_b64 exec, exec, s[18:19]
	s_cbranch_execz .LBB228_59
.LBB228_9:                              ; =>This Inner Loop Header: Depth=1
	global_load_dword v5, v[3:4], off
	v_mov_b32_e32 v19, 0
	s_waitcnt vmcnt(0)
	v_mad_i64_i32 v[5:6], s[6:7], v5, s42, v[1:2]
	global_load_ubyte v20, v[5:6], off
	s_waitcnt lgkmcnt(0)
	global_load_dword v18, v12, s[12:13]
	s_waitcnt vmcnt(1)
	v_cmp_ne_u16_e64 s[6:7], 0, v20
	s_and_saveexec_b64 s[36:37], s[6:7]
	s_cbranch_execz .LBB228_15
; %bb.10:                               ;   in Loop: Header=BB228_9 Depth=1
	v_cmp_ne_u16_e64 s[6:7], s44, v20
	v_bfrev_b32_e32 v19, 1
	s_and_saveexec_b64 s[38:39], s[6:7]
	s_cbranch_execz .LBB228_14
; %bb.11:                               ;   in Loop: Header=BB228_9 Depth=1
	v_and_b32_e32 v7, 0xffff, v20
	v_and_b32_e32 v21, 0x7f, v7
	v_cmp_ne_u32_e64 s[6:7], s45, v21
	v_mov_b32_e32 v19, 0x7f800001
	s_and_saveexec_b64 s[40:41], s[6:7]
	s_cbranch_execz .LBB228_13
; %bb.12:                               ;   in Loop: Header=BB228_9 Depth=1
	v_and_b32_e32 v19, 7, v7
	v_ffbh_u32_e32 v22, v19
	v_min_u32_e32 v25, 32, v22
	v_subrev_u32_e32 v22, 28, v25
	v_lshlrev_b64 v[22:23], v22, v[7:8]
	v_lshrrev_b32_e32 v24, 3, v21
	v_sub_u32_e32 v7, 29, v25
	v_and_b32_e32 v22, 7, v22
	v_cmp_gt_u32_e64 s[6:7], 8, v21
	v_cndmask_b32_e64 v7, v24, v7, s[6:7]
	v_cndmask_b32_e64 v19, v19, v22, s[6:7]
	v_lshlrev_b32_e32 v20, 24, v20
	v_lshlrev_b32_e32 v19, 20, v19
	v_and_b32_e32 v20, 0x80000000, v20
	v_lshl_add_u32 v7, v7, 23, v16
	v_or3_b32 v19, v20, v7, v19
.LBB228_13:                             ;   in Loop: Header=BB228_9 Depth=1
	s_or_b64 exec, exec, s[40:41]
.LBB228_14:                             ;   in Loop: Header=BB228_9 Depth=1
	s_or_b64 exec, exec, s[38:39]
.LBB228_15:                             ;   in Loop: Header=BB228_9 Depth=1
	s_or_b64 exec, exec, s[36:37]
	global_load_ubyte v22, v[5:6], off offset:8
	v_mov_b32_e32 v20, 0
	v_mov_b32_e32 v21, 0
	s_waitcnt vmcnt(0)
	v_cmp_ne_u16_e64 s[6:7], 0, v22
	s_and_saveexec_b64 s[36:37], s[6:7]
	s_cbranch_execz .LBB228_21
; %bb.16:                               ;   in Loop: Header=BB228_9 Depth=1
	v_cmp_ne_u16_e64 s[6:7], s44, v22
	v_bfrev_b32_e32 v21, 1
	s_and_saveexec_b64 s[38:39], s[6:7]
	s_cbranch_execz .LBB228_20
; %bb.17:                               ;   in Loop: Header=BB228_9 Depth=1
	v_and_b32_e32 v7, 0xffff, v22
	v_and_b32_e32 v23, 0x7f, v7
	v_cmp_ne_u32_e64 s[6:7], s45, v23
	v_mov_b32_e32 v21, 0x7f800001
	s_and_saveexec_b64 s[40:41], s[6:7]
	s_cbranch_execz .LBB228_19
; %bb.18:                               ;   in Loop: Header=BB228_9 Depth=1
	v_and_b32_e32 v21, 7, v7
	v_ffbh_u32_e32 v24, v21
	v_min_u32_e32 v27, 32, v24
	v_subrev_u32_e32 v24, 28, v27
	v_lshlrev_b64 v[24:25], v24, v[7:8]
	v_lshrrev_b32_e32 v26, 3, v23
	v_sub_u32_e32 v7, 29, v27
	v_and_b32_e32 v24, 7, v24
	v_cmp_gt_u32_e64 s[6:7], 8, v23
	v_cndmask_b32_e64 v7, v26, v7, s[6:7]
	v_cndmask_b32_e64 v21, v21, v24, s[6:7]
	v_lshlrev_b32_e32 v22, 24, v22
	v_lshlrev_b32_e32 v21, 20, v21
	v_and_b32_e32 v22, 0x80000000, v22
	v_lshl_add_u32 v7, v7, 23, v16
	v_or3_b32 v21, v22, v7, v21
.LBB228_19:                             ;   in Loop: Header=BB228_9 Depth=1
	s_or_b64 exec, exec, s[40:41]
.LBB228_20:                             ;   in Loop: Header=BB228_9 Depth=1
	s_or_b64 exec, exec, s[38:39]
.LBB228_21:                             ;   in Loop: Header=BB228_9 Depth=1
	s_or_b64 exec, exec, s[36:37]
	global_load_ubyte v22, v[5:6], off offset:128
	s_waitcnt vmcnt(0)
	v_cmp_ne_u16_e64 s[6:7], 0, v22
	s_and_saveexec_b64 s[36:37], s[6:7]
	s_cbranch_execz .LBB228_27
; %bb.22:                               ;   in Loop: Header=BB228_9 Depth=1
	v_cmp_ne_u16_e64 s[6:7], s44, v22
	v_bfrev_b32_e32 v20, 1
	s_and_saveexec_b64 s[38:39], s[6:7]
	s_cbranch_execz .LBB228_26
; %bb.23:                               ;   in Loop: Header=BB228_9 Depth=1
	v_and_b32_e32 v7, 0xffff, v22
	v_and_b32_e32 v23, 0x7f, v7
	v_cmp_ne_u32_e64 s[6:7], s45, v23
	v_mov_b32_e32 v20, 0x7f800001
	s_and_saveexec_b64 s[40:41], s[6:7]
	s_cbranch_execz .LBB228_25
; %bb.24:                               ;   in Loop: Header=BB228_9 Depth=1
	v_and_b32_e32 v20, 7, v7
	v_ffbh_u32_e32 v24, v20
	v_min_u32_e32 v27, 32, v24
	v_subrev_u32_e32 v24, 28, v27
	v_lshlrev_b64 v[24:25], v24, v[7:8]
	v_lshrrev_b32_e32 v26, 3, v23
	v_sub_u32_e32 v7, 29, v27
	v_and_b32_e32 v24, 7, v24
	v_cmp_gt_u32_e64 s[6:7], 8, v23
	v_cndmask_b32_e64 v7, v26, v7, s[6:7]
	v_cndmask_b32_e64 v20, v20, v24, s[6:7]
	v_lshlrev_b32_e32 v22, 24, v22
	v_lshlrev_b32_e32 v20, 20, v20
	v_and_b32_e32 v22, 0x80000000, v22
	v_lshl_add_u32 v7, v7, 23, v16
	v_or3_b32 v20, v22, v7, v20
.LBB228_25:                             ;   in Loop: Header=BB228_9 Depth=1
	s_or_b64 exec, exec, s[40:41]
.LBB228_26:                             ;   in Loop: Header=BB228_9 Depth=1
	s_or_b64 exec, exec, s[38:39]
.LBB228_27:                             ;   in Loop: Header=BB228_9 Depth=1
	s_or_b64 exec, exec, s[36:37]
	global_load_ubyte v24, v[5:6], off offset:136
	v_mov_b32_e32 v22, 0
	v_mov_b32_e32 v23, 0
	s_waitcnt vmcnt(0)
	v_cmp_ne_u16_e64 s[6:7], 0, v24
	s_and_saveexec_b64 s[36:37], s[6:7]
	s_cbranch_execz .LBB228_33
; %bb.28:                               ;   in Loop: Header=BB228_9 Depth=1
	v_cmp_ne_u16_e64 s[6:7], s44, v24
	v_bfrev_b32_e32 v23, 1
	s_and_saveexec_b64 s[38:39], s[6:7]
	s_cbranch_execz .LBB228_32
; %bb.29:                               ;   in Loop: Header=BB228_9 Depth=1
	v_and_b32_e32 v7, 0xffff, v24
	v_and_b32_e32 v25, 0x7f, v7
	v_cmp_ne_u32_e64 s[6:7], s45, v25
	v_mov_b32_e32 v23, 0x7f800001
	s_and_saveexec_b64 s[40:41], s[6:7]
	s_cbranch_execz .LBB228_31
; %bb.30:                               ;   in Loop: Header=BB228_9 Depth=1
	v_and_b32_e32 v23, 7, v7
	v_ffbh_u32_e32 v26, v23
	v_min_u32_e32 v29, 32, v26
	v_subrev_u32_e32 v26, 28, v29
	v_lshlrev_b64 v[26:27], v26, v[7:8]
	v_lshrrev_b32_e32 v28, 3, v25
	v_sub_u32_e32 v7, 29, v29
	v_and_b32_e32 v26, 7, v26
	v_cmp_gt_u32_e64 s[6:7], 8, v25
	v_cndmask_b32_e64 v7, v28, v7, s[6:7]
	v_cndmask_b32_e64 v23, v23, v26, s[6:7]
	v_lshlrev_b32_e32 v24, 24, v24
	v_lshlrev_b32_e32 v23, 20, v23
	v_and_b32_e32 v24, 0x80000000, v24
	v_lshl_add_u32 v7, v7, 23, v16
	v_or3_b32 v23, v24, v7, v23
.LBB228_31:                             ;   in Loop: Header=BB228_9 Depth=1
	s_or_b64 exec, exec, s[40:41]
.LBB228_32:                             ;   in Loop: Header=BB228_9 Depth=1
	s_or_b64 exec, exec, s[38:39]
.LBB228_33:                             ;   in Loop: Header=BB228_9 Depth=1
	s_or_b64 exec, exec, s[36:37]
	global_load_ubyte v24, v[5:6], off offset:256
	s_waitcnt vmcnt(0)
	v_cmp_ne_u16_e64 s[6:7], 0, v24
	s_and_saveexec_b64 s[36:37], s[6:7]
	s_cbranch_execz .LBB228_39
; %bb.34:                               ;   in Loop: Header=BB228_9 Depth=1
	v_cmp_ne_u16_e64 s[6:7], s44, v24
	v_bfrev_b32_e32 v22, 1
	s_and_saveexec_b64 s[38:39], s[6:7]
	s_cbranch_execz .LBB228_38
; %bb.35:                               ;   in Loop: Header=BB228_9 Depth=1
	v_and_b32_e32 v7, 0xffff, v24
	v_and_b32_e32 v25, 0x7f, v7
	v_cmp_ne_u32_e64 s[6:7], s45, v25
	v_mov_b32_e32 v22, 0x7f800001
	s_and_saveexec_b64 s[40:41], s[6:7]
	s_cbranch_execz .LBB228_37
; %bb.36:                               ;   in Loop: Header=BB228_9 Depth=1
	v_and_b32_e32 v22, 7, v7
	v_ffbh_u32_e32 v26, v22
	v_min_u32_e32 v29, 32, v26
	v_subrev_u32_e32 v26, 28, v29
	v_lshlrev_b64 v[26:27], v26, v[7:8]
	v_lshrrev_b32_e32 v28, 3, v25
	v_sub_u32_e32 v7, 29, v29
	v_and_b32_e32 v26, 7, v26
	v_cmp_gt_u32_e64 s[6:7], 8, v25
	v_cndmask_b32_e64 v7, v28, v7, s[6:7]
	v_cndmask_b32_e64 v22, v22, v26, s[6:7]
	v_lshlrev_b32_e32 v24, 24, v24
	v_lshlrev_b32_e32 v22, 20, v22
	v_and_b32_e32 v24, 0x80000000, v24
	v_lshl_add_u32 v7, v7, 23, v16
	v_or3_b32 v22, v24, v7, v22
.LBB228_37:                             ;   in Loop: Header=BB228_9 Depth=1
	s_or_b64 exec, exec, s[40:41]
.LBB228_38:                             ;   in Loop: Header=BB228_9 Depth=1
	s_or_b64 exec, exec, s[38:39]
.LBB228_39:                             ;   in Loop: Header=BB228_9 Depth=1
	s_or_b64 exec, exec, s[36:37]
	global_load_ubyte v26, v[5:6], off offset:264
	v_mov_b32_e32 v24, 0
	v_mov_b32_e32 v25, 0
	s_waitcnt vmcnt(0)
	v_cmp_ne_u16_e64 s[6:7], 0, v26
	s_and_saveexec_b64 s[36:37], s[6:7]
	s_cbranch_execz .LBB228_45
; %bb.40:                               ;   in Loop: Header=BB228_9 Depth=1
	v_cmp_ne_u16_e64 s[6:7], s44, v26
	v_bfrev_b32_e32 v25, 1
	s_and_saveexec_b64 s[38:39], s[6:7]
	s_cbranch_execz .LBB228_44
; %bb.41:                               ;   in Loop: Header=BB228_9 Depth=1
	v_and_b32_e32 v7, 0xffff, v26
	v_and_b32_e32 v27, 0x7f, v7
	v_cmp_ne_u32_e64 s[6:7], s45, v27
	v_mov_b32_e32 v25, 0x7f800001
	s_and_saveexec_b64 s[40:41], s[6:7]
	s_cbranch_execz .LBB228_43
; %bb.42:                               ;   in Loop: Header=BB228_9 Depth=1
	v_and_b32_e32 v25, 7, v7
	v_ffbh_u32_e32 v28, v25
	v_min_u32_e32 v31, 32, v28
	v_subrev_u32_e32 v28, 28, v31
	v_lshlrev_b64 v[28:29], v28, v[7:8]
	v_lshrrev_b32_e32 v30, 3, v27
	v_sub_u32_e32 v7, 29, v31
	v_and_b32_e32 v28, 7, v28
	v_cmp_gt_u32_e64 s[6:7], 8, v27
	v_cndmask_b32_e64 v7, v30, v7, s[6:7]
	v_cndmask_b32_e64 v25, v25, v28, s[6:7]
	v_lshlrev_b32_e32 v26, 24, v26
	v_lshlrev_b32_e32 v25, 20, v25
	v_and_b32_e32 v26, 0x80000000, v26
	v_lshl_add_u32 v7, v7, 23, v16
	v_or3_b32 v25, v26, v7, v25
.LBB228_43:                             ;   in Loop: Header=BB228_9 Depth=1
	s_or_b64 exec, exec, s[40:41]
.LBB228_44:                             ;   in Loop: Header=BB228_9 Depth=1
	s_or_b64 exec, exec, s[38:39]
.LBB228_45:                             ;   in Loop: Header=BB228_9 Depth=1
	s_or_b64 exec, exec, s[36:37]
	global_load_ubyte v26, v[5:6], off offset:384
	s_waitcnt vmcnt(0)
	v_cmp_ne_u16_e64 s[6:7], 0, v26
	s_and_saveexec_b64 s[36:37], s[6:7]
	s_cbranch_execz .LBB228_51
; %bb.46:                               ;   in Loop: Header=BB228_9 Depth=1
	v_cmp_ne_u16_e64 s[6:7], s44, v26
	v_bfrev_b32_e32 v24, 1
	s_and_saveexec_b64 s[38:39], s[6:7]
	s_cbranch_execz .LBB228_50
; %bb.47:                               ;   in Loop: Header=BB228_9 Depth=1
	v_and_b32_e32 v7, 0xffff, v26
	v_and_b32_e32 v27, 0x7f, v7
	v_cmp_ne_u32_e64 s[6:7], s45, v27
	v_mov_b32_e32 v24, 0x7f800001
	s_and_saveexec_b64 s[40:41], s[6:7]
	s_cbranch_execz .LBB228_49
; %bb.48:                               ;   in Loop: Header=BB228_9 Depth=1
	v_and_b32_e32 v24, 7, v7
	v_ffbh_u32_e32 v28, v24
	v_min_u32_e32 v31, 32, v28
	v_subrev_u32_e32 v28, 28, v31
	v_lshlrev_b64 v[28:29], v28, v[7:8]
	v_lshrrev_b32_e32 v30, 3, v27
	v_sub_u32_e32 v7, 29, v31
	v_and_b32_e32 v28, 7, v28
	v_cmp_gt_u32_e64 s[6:7], 8, v27
	v_cndmask_b32_e64 v7, v30, v7, s[6:7]
	v_cndmask_b32_e64 v24, v24, v28, s[6:7]
	v_lshlrev_b32_e32 v26, 24, v26
	v_lshlrev_b32_e32 v24, 20, v24
	v_and_b32_e32 v26, 0x80000000, v26
	v_lshl_add_u32 v7, v7, 23, v16
	v_or3_b32 v24, v26, v7, v24
.LBB228_49:                             ;   in Loop: Header=BB228_9 Depth=1
	s_or_b64 exec, exec, s[40:41]
.LBB228_50:                             ;   in Loop: Header=BB228_9 Depth=1
	s_or_b64 exec, exec, s[38:39]
.LBB228_51:                             ;   in Loop: Header=BB228_9 Depth=1
	s_or_b64 exec, exec, s[36:37]
	global_load_ubyte v7, v[5:6], off offset:392
	v_mov_b32_e32 v6, 0
	s_waitcnt vmcnt(0)
	v_cmp_ne_u16_e64 s[6:7], 0, v7
	s_and_saveexec_b64 s[36:37], s[6:7]
	s_cbranch_execz .LBB228_57
; %bb.52:                               ;   in Loop: Header=BB228_9 Depth=1
	v_cmp_ne_u16_e64 s[6:7], s44, v7
	v_bfrev_b32_e32 v6, 1
	s_and_saveexec_b64 s[38:39], s[6:7]
	s_cbranch_execz .LBB228_56
; %bb.53:                               ;   in Loop: Header=BB228_9 Depth=1
	v_and_b32_e32 v5, 0xffff, v7
	v_and_b32_e32 v26, 0x7f, v5
	v_cmp_ne_u32_e64 s[6:7], s45, v26
	v_mov_b32_e32 v6, 0x7f800001
	s_and_saveexec_b64 s[40:41], s[6:7]
	s_cbranch_execz .LBB228_55
; %bb.54:                               ;   in Loop: Header=BB228_9 Depth=1
	v_and_b32_e32 v27, 7, v5
	v_ffbh_u32_e32 v6, v27
	v_min_u32_e32 v29, 32, v6
	v_subrev_u32_e32 v6, 28, v29
	v_lshlrev_b64 v[5:6], v6, v[5:6]
	v_lshrrev_b32_e32 v28, 3, v26
	v_sub_u32_e32 v6, 29, v29
	v_and_b32_e32 v5, 7, v5
	v_cmp_gt_u32_e64 s[6:7], 8, v26
	v_cndmask_b32_e64 v6, v28, v6, s[6:7]
	v_cndmask_b32_e64 v5, v27, v5, s[6:7]
	v_lshlrev_b32_e32 v7, 24, v7
	v_lshlrev_b32_e32 v5, 20, v5
	v_and_b32_e32 v7, 0x80000000, v7
	v_lshl_add_u32 v6, v6, 23, v16
	v_or3_b32 v6, v7, v6, v5
.LBB228_55:                             ;   in Loop: Header=BB228_9 Depth=1
	s_or_b64 exec, exec, s[40:41]
.LBB228_56:                             ;   in Loop: Header=BB228_9 Depth=1
	s_or_b64 exec, exec, s[38:39]
.LBB228_57:                             ;   in Loop: Header=BB228_9 Depth=1
	s_or_b64 exec, exec, s[36:37]
	v_fma_mixlo_f16 v5, v18, v19, 0
	ds_read_u16 v7, v13
	v_and_b32_e32 v19, 0xffff, v5
	s_waitcnt lgkmcnt(0)
	;;#ASMSTART
	v_cvt_f32_f16 v5, v7;
	;;#ASMEND
	;;#ASMSTART
	v_cvt_f32_f16 v7, v19;
	;;#ASMEND
	v_fma_mixlo_f16 v19, v18, v21, 0
	v_and_b32_e32 v21, 0xffff, v19
	ds_read_u16 v26, v13 offset:2
	s_waitcnt lgkmcnt(0)
	;;#ASMSTART
	v_cvt_f32_f16 v19, v26;
	;;#ASMEND
	;;#ASMSTART
	v_cvt_f32_f16 v21, v21;
	;;#ASMEND
	v_fma_mixlo_f16 v20, v18, v20, 0
	v_fma_mixlo_f16 v23, v18, v23, 0
	;; [unrolled: 1-line block ×6, first 2 shown]
	v_mul_f32_e32 v18, v19, v21
	ds_read_u16 v26, v13 offset:4
	v_and_b32_e32 v27, 0xffff, v20
	v_fmac_f32_e32 v18, v5, v7
	s_waitcnt lgkmcnt(0)
	;;#ASMSTART
	v_cvt_f32_f16 v20, v26;
	;;#ASMEND
	;;#ASMSTART
	v_cvt_f32_f16 v26, v27;
	;;#ASMEND
	ds_read_u16 v27, v13 offset:6
	v_and_b32_e32 v28, 0xffff, v23
	v_fmac_f32_e32 v18, v20, v26
	s_waitcnt lgkmcnt(0)
	;;#ASMSTART
	v_cvt_f32_f16 v23, v27;
	;;#ASMEND
	;;#ASMSTART
	v_cvt_f32_f16 v27, v28;
	;;#ASMEND
	;; [unrolled: 10-line block ×4, first 2 shown]
	ds_read_u16 v30, v13 offset:12
	s_waitcnt lgkmcnt(0)
	;;#ASMSTART
	v_cvt_f32_f16 v5, v30;
	;;#ASMEND
	v_and_b32_e32 v7, 0xffff, v24
	v_fmac_f32_e32 v18, v25, v29
	v_and_b32_e32 v6, 0xffff, v6
	;;#ASMSTART
	v_cvt_f32_f16 v7, v7;
	;;#ASMEND
	ds_read_u16 v19, v13 offset:14
	v_fmac_f32_e32 v18, v5, v7
	s_waitcnt lgkmcnt(0)
	;;#ASMSTART
	v_cvt_f32_f16 v5, v19;
	;;#ASMEND
	;;#ASMSTART
	v_cvt_f32_f16 v6, v6;
	;;#ASMEND
	v_fmac_f32_e32 v18, v5, v6
	v_and_b32_e32 v6, 64, v9
	v_add_u32_e32 v5, 64, v6
	v_xor_b32_e32 v7, 4, v9
	v_cmp_lt_i32_e64 s[6:7], v7, v5
	v_cndmask_b32_e64 v7, v9, v7, s[6:7]
	v_lshlrev_b32_e32 v7, 2, v7
	ds_bpermute_b32 v7, v7, v18
	s_waitcnt lgkmcnt(0)
	v_add_f32_e32 v7, v18, v7
	v_xor_b32_e32 v18, 2, v9
	v_cmp_lt_i32_e64 s[6:7], v18, v5
	v_cndmask_b32_e64 v18, v9, v18, s[6:7]
	v_lshlrev_b32_e32 v18, 2, v18
	ds_bpermute_b32 v18, v18, v7
	s_waitcnt lgkmcnt(0)
	v_add_f32_e32 v7, v7, v18
	v_xor_b32_e32 v18, 1, v9
	v_cmp_lt_i32_e64 s[6:7], v18, v5
	v_cndmask_b32_e64 v18, v9, v18, s[6:7]
	v_lshlrev_b32_e32 v18, 2, v18
	ds_bpermute_b32 v18, v18, v7
	s_and_saveexec_b64 s[36:37], vcc
	s_cbranch_execz .LBB228_8
; %bb.58:                               ;   in Loop: Header=BB228_9 Depth=1
	v_add_u32_e32 v19, s43, v14
	v_cvt_f32_i32_e32 v19, v19
	s_waitcnt lgkmcnt(0)
	v_add_f32_e32 v7, v7, v18
	v_cmp_gt_i32_e64 s[6:7], s21, v14
	v_max_f32_e32 v18, v11, v11
	v_mul_f32_e32 v19, s10, v19
	v_cndmask_b32_e64 v19, 0, v19, s[4:5]
	v_fmac_f32_e32 v19, s11, v7
	v_cndmask_b32_e64 v7, 0, v19, s[6:7]
	ds_write_b32 v15, v7
	v_max_f32_e32 v7, v18, v19
	v_cndmask_b32_e64 v11, v11, v7, s[6:7]
	s_branch .LBB228_8
.LBB228_59:
	s_or_b64 exec, exec, s[18:19]
.LBB228_60:
	s_or_b64 exec, exec, s[34:35]
	v_xor_b32_e32 v1, 32, v9
	v_cmp_lt_i32_e32 vcc, v1, v5
	v_cndmask_b32_e32 v1, v9, v1, vcc
	v_lshlrev_b32_e32 v2, 2, v1
	ds_bpermute_b32 v1, v2, v11
	v_xor_b32_e32 v4, 16, v9
	v_max_f32_e32 v3, v11, v11
	v_cmp_lt_i32_e32 vcc, v4, v5
	v_xor_b32_e32 v7, 8, v9
	s_waitcnt lgkmcnt(0)
	v_max_f32_e32 v1, v1, v1
	v_max_f32_e32 v1, v3, v1
	v_cndmask_b32_e32 v3, v9, v4, vcc
	v_lshlrev_b32_e32 v4, 2, v3
	ds_bpermute_b32 v3, v4, v1
	v_cmp_lt_i32_e32 vcc, v7, v5
	v_and_b32_e32 v11, 63, v0
	s_waitcnt lgkmcnt(0)
	v_max_f32_e32 v3, v3, v3
	v_max_f32_e32 v3, v1, v3
	v_cndmask_b32_e32 v1, v9, v7, vcc
	v_lshlrev_b32_e32 v12, 2, v1
	ds_bpermute_b32 v7, v12, v3
	v_cmp_eq_u32_e32 vcc, 0, v11
	v_lshlrev_b32_e32 v1, 2, v10
	s_and_saveexec_b64 s[4:5], vcc
	s_cbranch_execz .LBB228_62
; %bb.61:
	s_waitcnt lgkmcnt(0)
	v_max_f32_e32 v7, v7, v7
	v_max_f32_e32 v3, v3, v3
	;; [unrolled: 1-line block ×3, first 2 shown]
	ds_write_b32 v1, v3 offset:128
.LBB228_62:
	s_or_b64 exec, exec, s[4:5]
	v_cmp_gt_u32_e64 s[4:5], 2, v11
	v_mov_b32_e32 v13, 0xff7fffff
	v_lshlrev_b32_e32 v3, 2, v11
	s_waitcnt lgkmcnt(0)
	s_barrier
	s_and_saveexec_b64 s[6:7], s[4:5]
; %bb.63:
	ds_read_b32 v13, v3 offset:128
; %bb.64:
	s_or_b64 exec, exec, s[6:7]
	v_xor_b32_e32 v7, 1, v9
	v_cmp_lt_i32_e64 s[6:7], v7, v5
	v_cndmask_b32_e64 v7, v9, v7, s[6:7]
	v_lshlrev_b32_e32 v7, 2, v7
	s_waitcnt lgkmcnt(0)
	ds_bpermute_b32 v14, v7, v13
	v_max_f32_e32 v13, v13, v13
	v_lshlrev_b32_e32 v6, 2, v6
	s_lshl_b32 s6, s33, 3
	s_min_i32 s34, s6, s21
	s_waitcnt lgkmcnt(0)
	v_max_f32_e32 v14, v14, v14
	v_max_f32_e32 v13, v13, v14
	ds_bpermute_b32 v13, v6, v13
	v_cmp_gt_i32_e64 s[6:7], s34, v0
	v_mov_b32_e32 v6, 0
	s_and_saveexec_b64 s[12:13], s[6:7]
	s_cbranch_execz .LBB228_68
; %bb.65:
	v_mov_b32_e32 v6, 0x90
	v_lshl_add_u32 v14, v0, 2, v6
	v_mov_b32_e32 v6, 0
	s_mov_b64 s[18:19], 0
	v_mov_b32_e32 v15, v0
.LBB228_66:                             ; =>This Inner Loop Header: Depth=1
	ds_read_b32 v16, v14
	v_add_u32_e32 v15, 0x80, v15
	v_cmp_le_i32_e64 s[10:11], s34, v15
	s_or_b64 s[18:19], s[10:11], s[18:19]
	s_waitcnt lgkmcnt(0)
	v_sub_f32_e32 v16, v16, v13
	v_mul_f32_e32 v16, 0x3fb8aa3b, v16
	v_exp_f32_e32 v16, v16
	ds_write_b32 v14, v16
	v_add_f32_e32 v6, v6, v16
	v_add_u32_e32 v14, 0x200, v14
	s_andn2_b64 exec, exec, s[18:19]
	s_cbranch_execnz .LBB228_66
; %bb.67:
	s_or_b64 exec, exec, s[18:19]
.LBB228_68:
	s_or_b64 exec, exec, s[12:13]
	ds_bpermute_b32 v2, v2, v6
	s_waitcnt lgkmcnt(0)
	v_add_f32_e32 v2, v6, v2
	ds_bpermute_b32 v4, v4, v2
	v_xor_b32_e32 v6, 4, v9
	v_cmp_lt_i32_e64 s[10:11], v6, v5
	v_cndmask_b32_e64 v6, v9, v6, s[10:11]
	v_lshlrev_b32_e32 v6, 2, v6
	s_waitcnt lgkmcnt(0)
	v_add_f32_e32 v2, v2, v4
	ds_bpermute_b32 v4, v12, v2
	s_waitcnt lgkmcnt(0)
	v_add_f32_e32 v2, v2, v4
	ds_bpermute_b32 v4, v6, v2
	v_xor_b32_e32 v6, 2, v9
	v_cmp_lt_i32_e64 s[10:11], v6, v5
	v_cndmask_b32_e64 v5, v9, v6, s[10:11]
	s_waitcnt lgkmcnt(0)
	v_add_f32_e32 v2, v2, v4
	v_lshlrev_b32_e32 v4, 2, v5
	ds_bpermute_b32 v4, v4, v2
	s_waitcnt lgkmcnt(0)
	v_add_f32_e32 v2, v2, v4
	ds_bpermute_b32 v4, v7, v2
	s_waitcnt lgkmcnt(0)
	v_add_f32_e32 v2, v2, v4
	s_and_saveexec_b64 s[10:11], vcc
; %bb.69:
	ds_write_b32 v1, v2 offset:136
; %bb.70:
	s_or_b64 exec, exec, s[10:11]
	s_waitcnt lgkmcnt(0)
	s_barrier
	s_and_saveexec_b64 s[10:11], s[4:5]
; %bb.71:
	ds_read_b32 v2, v3 offset:136
; %bb.72:
	s_or_b64 exec, exec, s[10:11]
	s_waitcnt lgkmcnt(0)
	ds_bpermute_b32 v1, v7, v2
	v_lshlrev_b32_e32 v3, 2, v9
	s_waitcnt lgkmcnt(0)
	v_add_f32_e32 v1, v2, v1
	v_and_b32_e32 v2, 0xffffff00, v3
	ds_bpermute_b32 v1, v2, v1
	s_and_saveexec_b64 s[4:5], s[6:7]
	s_cbranch_execz .LBB228_75
; %bb.73:
	s_waitcnt lgkmcnt(0)
	v_add_f32_e32 v2, 0x358637bd, v1
	v_div_scale_f32 v1, s[6:7], v2, v2, 1.0
	v_div_scale_f32 v3, vcc, 1.0, v2, 1.0
	s_mov_b64 s[6:7], 0
	v_rcp_f32_e32 v4, v1
	v_fma_f32 v5, -v1, v4, 1.0
	v_fmac_f32_e32 v4, v5, v4
	v_mul_f32_e32 v5, v3, v4
	v_fma_f32 v6, -v1, v5, v3
	v_fmac_f32_e32 v5, v6, v4
	v_fma_f32 v1, -v1, v5, v3
	v_div_fmas_f32 v3, v1, v4, v5
	v_mov_b32_e32 v1, 0x90
	v_lshl_add_u32 v1, v0, 2, v1
	v_div_fixup_f32 v2, v3, v2, 1.0
	v_mov_b32_e32 v3, v0
.LBB228_74:                             ; =>This Inner Loop Header: Depth=1
	ds_read_b32 v4, v1
	v_add_u32_e32 v3, 0x80, v3
	v_cmp_le_i32_e32 vcc, s34, v3
	s_or_b64 s[6:7], vcc, s[6:7]
	s_waitcnt lgkmcnt(0)
	v_mul_f32_e32 v4, v2, v4
	ds_write_b32 v1, v4
	v_add_u32_e32 v1, 0x200, v1
	s_andn2_b64 exec, exec, s[6:7]
	s_cbranch_execnz .LBB228_74
.LBB228_75:
	s_or_b64 exec, exec, s[4:5]
	v_mov_b32_e32 v12, 0
	s_waitcnt lgkmcnt(0)
	s_barrier
	s_and_saveexec_b64 s[4:5], s[2:3]
	s_cbranch_execz .LBB228_129
; %bb.76:
	s_ashr_i32 s2, s16, 31
	s_add_u32 s3, s30, s16
	s_addc_u32 s2, s31, s2
	v_lshlrev_b32_e32 v1, 3, v11
	v_mov_b32_e32 v4, s2
	v_add_co_u32_e32 v3, vcc, s3, v1
	s_add_i32 s19, s33, -1
	s_lshl_b64 s[2:3], s[28:29], 2
	v_mov_b32_e32 v1, 0x90
	s_add_u32 s2, s26, s2
	v_addc_co_u32_e32 v4, vcc, 0, v4, vcc
	v_lshl_add_u32 v14, v10, 5, v1
	v_and_b32_e32 v1, 60, v8
	s_addc_u32 s3, s27, s3
	s_mov_b32 s6, -1
	v_mov_b32_e32 v6, s3
	v_add_co_u32_e32 v5, vcc, s2, v1
	s_mov_b32 s18, s17
	v_mov_b32_e32 v2, 0
	s_mov_b32 s7, 0xffffff
	v_lshl_or_b32 v13, v10, 3, 7
	v_addc_co_u32_e32 v6, vcc, 0, v6, vcc
	s_mov_b64 s[10:11], 0
	s_movk_i32 s26, 0x7f
	s_movk_i32 s27, 0x80
	s_mov_b32 s28, 0xffff
	s_mov_b32 s29, 0x8000
	v_mov_b32_e32 v15, 0x2000
	v_mov_b32_e32 v16, 0x7c01
	;; [unrolled: 1-line block ×3, first 2 shown]
	v_bfrev_b32_e32 v18, 1
	v_mov_b32_e32 v12, 0
	s_branch .LBB228_78
.LBB228_77:                             ;   in Loop: Header=BB228_78 Depth=1
	s_or_b64 exec, exec, s[2:3]
	v_and_b32_e32 v8, 0xffff, v19
	v_and_b32_e32 v19, 0xffff, v21
	v_lshl_or_b32 v8, v20, 16, v8
	v_lshl_or_b32 v19, v22, 16, v19
	v_and_b32_e32 v20, 0xffff, v23
	v_and_b32_e32 v21, 0xffff, v25
	;;#ASMSTART
	v_pk_mul_f16 v7, v8, v7;

	;;#ASMEND
	;;#ASMSTART
	v_pk_mul_f16 v1, v19, v1;

	;;#ASMEND
	v_lshl_or_b32 v20, v24, 16, v20
	v_lshl_or_b32 v21, v26, 16, v21
	;;#ASMSTART
	v_pk_mul_f16 v8, v20, v9;

	;;#ASMEND
	;;#ASMSTART
	v_pk_mul_f16 v9, v21, v32;

	;;#ASMEND
	;;#ASMSTART
	v_pk_add_f16 v1, v7, v1;

	;;#ASMEND
	;;#ASMSTART
	v_pk_add_f16 v1, v1, v8;
	;; [unrolled: 4-line block ×3, first 2 shown]

	;;#ASMEND
	v_lshrrev_b32_e32 v7, 16, v1
	v_and_b32_e32 v1, 0xffff, v1
	v_add_u32_e32 v10, 2, v10
	;;#ASMSTART
	v_cvt_f32_f16 v1, v1;
	;;#ASMEND
	v_cmp_le_i32_e32 vcc, s33, v10
	;;#ASMSTART
	v_cvt_f32_f16 v7, v7;
	;;#ASMEND
	v_add_f32_e32 v1, v1, v7
	s_or_b64 s[10:11], vcc, s[10:11]
	v_add_co_u32_e32 v5, vcc, 8, v5
	v_add_f32_e32 v12, v12, v1
	v_add_u32_e32 v13, 16, v13
	v_add_u32_e32 v14, 64, v14
	v_addc_co_u32_e32 v6, vcc, 0, v6, vcc
	s_andn2_b64 exec, exec, s[10:11]
	s_cbranch_execz .LBB228_128
.LBB228_78:                             ; =>This Inner Loop Header: Depth=1
	ds_read2_b64 v[19:22], v14 offset1:1
	ds_read2_b64 v[23:26], v14 offset0:2 offset1:3
	s_waitcnt lgkmcnt(1)
	;;#ASMSTART
	v_cvt_f16_f32 v19, v19;

	;;#ASMEND
	;;#ASMSTART
	v_cvt_f16_f32 v20, v20;

	;;#ASMEND
	;; [unrolled: 4-line block ×4, first 2 shown]
	s_waitcnt lgkmcnt(0)
	;;#ASMSTART
	v_cvt_f16_f32 v23, v23;

	;;#ASMEND
	;;#ASMSTART
	v_cvt_f16_f32 v24, v24;

	;;#ASMEND
	;;#ASMSTART
	v_cvt_f16_f32 v25, v25;

	;;#ASMEND
	;;#ASMSTART
	v_cvt_f16_f32 v26, v26;

	;;#ASMEND
	global_load_dword v1, v[5:6], off
	s_waitcnt vmcnt(0)
	v_mad_i64_i32 v[28:29], s[2:3], v1, s18, v[3:4]
	global_load_dwordx2 v[7:8], v[28:29], off
	global_load_dword v27, v2, s[14:15]
	s_mov_b64 s[2:3], 0
	s_waitcnt vmcnt(1)
	v_cmp_gt_i16_sdwa s[12:13], v7, s26 src0_sel:BYTE_0 src1_sel:DWORD
	s_and_saveexec_b64 s[16:17], s[12:13]
	s_xor_b64 s[12:13], exec, s[16:17]
	s_cbranch_execnz .LBB228_104
; %bb.79:                               ;   in Loop: Header=BB228_78 Depth=1
	s_or_saveexec_b64 s[12:13], s[12:13]
	v_mov_b32_e32 v28, 0x8000
	s_xor_b64 exec, exec, s[12:13]
	s_cbranch_execnz .LBB228_107
.LBB228_80:                             ;   in Loop: Header=BB228_78 Depth=1
	s_or_b64 exec, exec, s[12:13]
	s_and_saveexec_b64 s[12:13], s[2:3]
	s_cbranch_execz .LBB228_82
.LBB228_81:                             ;   in Loop: Header=BB228_78 Depth=1
	v_and_b32_e32 v1, 7, v7
	v_ffbh_u32_e32 v9, v1
	v_min_u32_e32 v9, 32, v9
	v_subrev_u32_e32 v28, 28, v9
	v_lshlrev_b64 v[28:29], v28, v[7:8]
	v_and_b32_e32 v29, 0x7f, v7
	v_cmp_gt_u32_e32 vcc, 8, v29
	v_sub_u32_e32 v9, 29, v9
	v_bfe_u32 v30, v7, 3, 4
	v_cndmask_b32_e32 v9, v30, v9, vcc
	v_and_b32_e32 v28, 7, v28
	v_lshl_add_u32 v9, v9, 10, v15
	v_cndmask_b32_e32 v1, v1, v28, vcc
	v_lshlrev_b32_e32 v28, 8, v7
	v_and_b32_e32 v9, 0xfc00, v9
	v_and_or_b32 v9, v28, s29, v9
	v_lshl_or_b32 v1, v1, 7, v9
	v_cmp_ne_u32_e32 vcc, s26, v29
	v_cndmask_b32_e32 v28, v16, v1, vcc
.LBB228_82:                             ;   in Loop: Header=BB228_78 Depth=1
	s_or_b64 exec, exec, s[12:13]
	v_lshrrev_b16_e32 v1, 8, v7
	v_cmp_lt_i16_e32 vcc, s26, v1
	s_mov_b64 s[2:3], 0
	s_and_saveexec_b64 s[12:13], vcc
	s_xor_b64 s[12:13], exec, s[12:13]
	s_cbranch_execnz .LBB228_108
; %bb.83:                               ;   in Loop: Header=BB228_78 Depth=1
	s_or_saveexec_b64 s[12:13], s[12:13]
	v_bfrev_b32_e32 v29, 1
	s_xor_b64 exec, exec, s[12:13]
	s_cbranch_execnz .LBB228_111
.LBB228_84:                             ;   in Loop: Header=BB228_78 Depth=1
	s_or_b64 exec, exec, s[12:13]
	s_and_saveexec_b64 s[12:13], s[2:3]
	s_cbranch_execz .LBB228_86
.LBB228_85:                             ;   in Loop: Header=BB228_78 Depth=1
	v_and_b32_e32 v9, 7, v1
	v_ffbh_u32_e32 v29, v9
	v_min_u32_e32 v33, 32, v29
	v_subrev_u32_e32 v29, 28, v33
	v_and_b32_e32 v31, 0x7f, v1
	v_lshlrev_b64 v[29:30], v29, v[1:2]
	v_bfe_u32 v32, v1, 3, 4
	v_sub_u32_e32 v30, 29, v33
	v_cmp_gt_u32_e32 vcc, 8, v31
	v_cndmask_b32_e32 v30, v32, v30, vcc
	v_lshlrev_b32_e32 v1, 8, v1
	v_lshl_add_u32 v30, v30, 10, v15
	v_and_b32_e32 v29, 7, v29
	v_and_or_b32 v1, v1, s29, v30
	v_cndmask_b32_e32 v9, v9, v29, vcc
	v_lshlrev_b32_e32 v1, 16, v1
	v_lshl_or_b32 v1, v9, 23, v1
	v_cmp_ne_u32_e32 vcc, s26, v31
	v_cndmask_b32_e32 v29, v17, v1, vcc
.LBB228_86:                             ;   in Loop: Header=BB228_78 Depth=1
	s_or_b64 exec, exec, s[12:13]
	v_lshrrev_b32_e32 v9, 16, v7
	v_cmp_gt_i16_sdwa s[12:13], v9, s26 src0_sel:BYTE_0 src1_sel:DWORD
	s_mov_b64 s[2:3], 0
	s_and_saveexec_b64 s[16:17], s[12:13]
	s_xor_b64 s[12:13], exec, s[16:17]
	s_cbranch_execnz .LBB228_112
; %bb.87:                               ;   in Loop: Header=BB228_78 Depth=1
	s_or_saveexec_b64 s[12:13], s[12:13]
	v_mov_b32_e32 v30, 0x8000
	s_xor_b64 exec, exec, s[12:13]
	s_cbranch_execnz .LBB228_115
.LBB228_88:                             ;   in Loop: Header=BB228_78 Depth=1
	s_or_b64 exec, exec, s[12:13]
	s_and_saveexec_b64 s[12:13], s[2:3]
	s_cbranch_execz .LBB228_90
.LBB228_89:                             ;   in Loop: Header=BB228_78 Depth=1
	v_and_b32_e32 v1, 7, v9
	v_ffbh_u32_e32 v30, v1
	v_min_u32_e32 v34, 32, v30
	v_subrev_u32_e32 v30, 28, v34
	v_and_b32_e32 v32, 0x7f, v9
	v_lshlrev_b64 v[30:31], v30, v[9:10]
	v_bfe_u32 v33, v9, 3, 4
	v_sub_u32_e32 v31, 29, v34
	v_cmp_gt_u32_e32 vcc, 8, v32
	v_cndmask_b32_e32 v31, v33, v31, vcc
	v_lshl_add_u32 v31, v31, 10, v15
	v_and_b32_e32 v30, 7, v30
	v_lshlrev_b32_e32 v33, 8, v9
	v_cndmask_b32_e32 v1, v1, v30, vcc
	v_and_b32_e32 v30, 0xfc00, v31
	v_and_or_b32 v30, v33, s29, v30
	v_lshl_or_b32 v1, v1, 7, v30
	v_cmp_ne_u32_e32 vcc, s26, v32
	v_cndmask_b32_e32 v30, v16, v1, vcc
.LBB228_90:                             ;   in Loop: Header=BB228_78 Depth=1
	s_or_b64 exec, exec, s[12:13]
	v_cmp_gt_i16_sdwa s[12:13], v8, s26 src0_sel:BYTE_0 src1_sel:DWORD
	s_mov_b64 s[2:3], 0
	s_and_saveexec_b64 s[16:17], s[12:13]
	s_xor_b64 s[12:13], exec, s[16:17]
	s_cbranch_execnz .LBB228_116
; %bb.91:                               ;   in Loop: Header=BB228_78 Depth=1
	s_or_saveexec_b64 s[12:13], s[12:13]
	v_mov_b32_e32 v31, 0x8000
	s_xor_b64 exec, exec, s[12:13]
	s_cbranch_execnz .LBB228_119
.LBB228_92:                             ;   in Loop: Header=BB228_78 Depth=1
	s_or_b64 exec, exec, s[12:13]
	v_mov_b32_e32 v1, v8
	s_and_saveexec_b64 s[12:13], s[2:3]
	s_cbranch_execz .LBB228_94
.LBB228_93:                             ;   in Loop: Header=BB228_78 Depth=1
	v_and_b32_e32 v33, 7, v8
	v_ffbh_u32_e32 v31, v33
	v_min_u32_e32 v36, 32, v31
	v_subrev_u32_e32 v31, 28, v36
	v_and_b32_e32 v34, 0x7f, v8
	v_lshlrev_b64 v[31:32], v31, v[1:2]
	v_bfe_u32 v35, v8, 3, 4
	v_sub_u32_e32 v32, 29, v36
	v_cmp_gt_u32_e32 vcc, 8, v34
	v_cndmask_b32_e32 v32, v35, v32, vcc
	v_lshl_add_u32 v32, v32, 10, v15
	v_lshlrev_b32_e32 v35, 8, v8
	v_and_b32_e32 v31, 7, v31
	v_and_b32_e32 v32, 0xfc00, v32
	v_cndmask_b32_e32 v31, v33, v31, vcc
	v_and_or_b32 v32, v35, s29, v32
	v_lshl_or_b32 v31, v31, 7, v32
	v_cmp_ne_u32_e32 vcc, s26, v34
	v_cndmask_b32_e32 v31, v16, v31, vcc
.LBB228_94:                             ;   in Loop: Header=BB228_78 Depth=1
	s_or_b64 exec, exec, s[12:13]
	v_lshrrev_b16_e32 v1, 8, v1
	v_cmp_lt_i16_e32 vcc, s26, v1
	s_mov_b64 s[2:3], 0
	s_and_saveexec_b64 s[12:13], vcc
	s_xor_b64 s[12:13], exec, s[12:13]
	s_cbranch_execnz .LBB228_120
; %bb.95:                               ;   in Loop: Header=BB228_78 Depth=1
	s_or_saveexec_b64 s[12:13], s[12:13]
	v_bfrev_b32_e32 v32, 1
	s_xor_b64 exec, exec, s[12:13]
	s_cbranch_execnz .LBB228_123
.LBB228_96:                             ;   in Loop: Header=BB228_78 Depth=1
	s_or_b64 exec, exec, s[12:13]
	s_and_saveexec_b64 s[12:13], s[2:3]
	s_cbranch_execz .LBB228_98
.LBB228_97:                             ;   in Loop: Header=BB228_78 Depth=1
	v_and_b32_e32 v34, 7, v1
	v_ffbh_u32_e32 v32, v34
	v_min_u32_e32 v37, 32, v32
	v_subrev_u32_e32 v32, 28, v37
	v_and_b32_e32 v35, 0x7f, v1
	v_lshlrev_b64 v[32:33], v32, v[1:2]
	v_bfe_u32 v36, v1, 3, 4
	v_sub_u32_e32 v33, 29, v37
	v_cmp_gt_u32_e32 vcc, 8, v35
	v_cndmask_b32_e32 v33, v36, v33, vcc
	v_lshlrev_b32_e32 v1, 8, v1
	v_lshl_add_u32 v33, v33, 10, v15
	v_and_b32_e32 v32, 7, v32
	v_and_or_b32 v1, v1, s29, v33
	v_cndmask_b32_e32 v32, v34, v32, vcc
	v_lshlrev_b32_e32 v1, 16, v1
	v_lshl_or_b32 v1, v32, 23, v1
	v_cmp_ne_u32_e32 vcc, s26, v35
	v_cndmask_b32_e32 v32, v17, v1, vcc
.LBB228_98:                             ;   in Loop: Header=BB228_78 Depth=1
	s_or_b64 exec, exec, s[12:13]
	v_lshrrev_b32_e32 v1, 16, v8
	v_cmp_gt_i16_sdwa s[12:13], v1, s26 src0_sel:BYTE_0 src1_sel:DWORD
	s_mov_b64 s[2:3], 0
	s_and_saveexec_b64 s[16:17], s[12:13]
	s_xor_b64 s[12:13], exec, s[16:17]
	s_cbranch_execnz .LBB228_124
; %bb.99:                               ;   in Loop: Header=BB228_78 Depth=1
	s_or_saveexec_b64 s[12:13], s[12:13]
	v_mov_b32_e32 v33, 0x8000
	s_xor_b64 exec, exec, s[12:13]
	s_cbranch_execnz .LBB228_127
.LBB228_100:                            ;   in Loop: Header=BB228_78 Depth=1
	s_or_b64 exec, exec, s[12:13]
	s_and_saveexec_b64 s[12:13], s[2:3]
	s_cbranch_execz .LBB228_102
.LBB228_101:                            ;   in Loop: Header=BB228_78 Depth=1
	v_and_b32_e32 v35, 7, v1
	v_ffbh_u32_e32 v33, v35
	v_min_u32_e32 v38, 32, v33
	v_subrev_u32_e32 v33, 28, v38
	v_and_b32_e32 v36, 0x7f, v1
	v_lshlrev_b64 v[33:34], v33, v[1:2]
	v_bfe_u32 v37, v1, 3, 4
	v_sub_u32_e32 v34, 29, v38
	v_cmp_gt_u32_e32 vcc, 8, v36
	v_cndmask_b32_e32 v34, v37, v34, vcc
	v_lshl_add_u32 v34, v34, 10, v15
	v_lshlrev_b32_e32 v37, 8, v1
	v_and_b32_e32 v33, 7, v33
	v_and_b32_e32 v34, 0xfc00, v34
	v_cndmask_b32_e32 v33, v35, v33, vcc
	v_and_or_b32 v34, v37, s29, v34
	v_lshl_or_b32 v33, v33, 7, v34
	v_cmp_ne_u32_e32 vcc, s26, v36
	v_cndmask_b32_e32 v33, v16, v33, vcc
.LBB228_102:                            ;   in Loop: Header=BB228_78 Depth=1
	s_or_b64 exec, exec, s[12:13]
	v_bfe_u32 v37, v7, 24, 3
	v_ffbh_u32_e32 v35, v37
	v_min_u32_e32 v40, 32, v35
	v_lshrrev_b32_e32 v34, 24, v7
	v_subrev_u32_e32 v35, 28, v40
	v_bfe_u32 v38, v7, 24, 7
	v_lshlrev_b64 v[35:36], v35, v[34:35]
	v_bfe_u32 v39, v34, 3, 4
	v_sub_u32_e32 v36, 29, v40
	v_cmp_gt_u32_e32 vcc, 8, v38
	v_cndmask_b32_e32 v36, v39, v36, vcc
	v_lshl_add_u32 v36, v36, 10, v15
	v_and_b32_e32 v35, 7, v35
	v_and_or_b32 v9, v9, s29, v36
	v_cndmask_b32_e32 v35, v37, v35, vcc
	v_lshlrev_b32_e32 v9, 16, v9
	v_lshl_or_b32 v9, v35, 23, v9
	v_cmp_ne_u32_e32 vcc, s26, v38
	v_bfe_u32 v37, v8, 24, 3
	v_cndmask_b32_e32 v9, v17, v9, vcc
	v_cmp_ne_u32_e32 vcc, s27, v34
	v_ffbh_u32_e32 v34, v37
	v_cndmask_b32_e32 v9, v18, v9, vcc
	v_cmp_lt_u32_e32 vcc, s7, v7
	v_min_u32_e32 v40, 32, v34
	v_cndmask_b32_e32 v36, 0, v9, vcc
	v_lshrrev_b32_e32 v9, 24, v8
	v_subrev_u32_e32 v34, 28, v40
	v_bfe_u32 v38, v8, 24, 7
	v_lshlrev_b64 v[34:35], v34, v[9:10]
	v_bfe_u32 v39, v9, 3, 4
	v_sub_u32_e32 v35, 29, v40
	v_cmp_gt_u32_e32 vcc, 8, v38
	v_cndmask_b32_e32 v35, v39, v35, vcc
	v_lshl_add_u32 v35, v35, 10, v15
	v_and_b32_e32 v34, 7, v34
	v_and_or_b32 v1, v1, s29, v35
	v_cndmask_b32_e32 v34, v37, v34, vcc
	v_lshlrev_b32_e32 v1, 16, v1
	v_lshl_or_b32 v1, v34, 23, v1
	v_cmp_ne_u32_e64 s[2:3], s26, v38
	v_cndmask_b32_e64 v1, v17, v1, s[2:3]
	v_cmp_ne_u32_e64 s[2:3], s27, v9
	v_cndmask_b32_e64 v1, v18, v1, s[2:3]
	v_cmp_lt_u64_e64 s[2:3], s[6:7], v[7:8]
	s_waitcnt vmcnt(0)
	v_fma_mixlo_f16 v7, v27, v36, 0 op_sel:[0,1,0] op_sel_hi:[0,1,0]
	v_cndmask_b32_e64 v37, 0, v1, s[2:3]
	v_fma_mixlo_f16 v9, v27, v29, 0 op_sel:[0,1,0] op_sel_hi:[0,1,0]
	v_or_b32_e32 v1, v30, v36
	v_lshlrev_b32_e32 v8, 16, v7
	v_or_b32_e32 v7, v29, v28
	v_lshlrev_b32_e32 v34, 16, v9
	v_or_b32_e32 v9, v32, v31
	v_or_b32_e32 v29, v33, v37
	v_fma_mixlo_f16 v1, v27, v1, 0 op_sel_hi:[0,1,0]
	v_fma_mixlo_f16 v7, v27, v7, 0 op_sel_hi:[0,1,0]
	v_fma_mixlo_f16 v28, v27, v32, 0 op_sel:[0,1,0] op_sel_hi:[0,1,0]
	v_fma_mixlo_f16 v9, v27, v9, 0 op_sel_hi:[0,1,0]
	v_fma_mixlo_f16 v29, v27, v29, 0 op_sel_hi:[0,1,0]
	v_fma_mixlo_f16 v27, v27, v37, 0 op_sel:[0,1,0] op_sel_hi:[0,1,0]
	v_and_b32_e32 v30, 0xffff, v1
	v_and_b32_e32 v35, 0xffff, v7
	v_lshlrev_b32_e32 v28, 16, v28
	v_and_b32_e32 v31, 0xffff, v9
	v_lshlrev_b32_e32 v27, 16, v27
	v_and_b32_e32 v29, 0xffff, v29
	v_cmp_eq_u32_e32 vcc, s19, v10
	v_or_b32_e32 v1, v8, v30
	v_or_b32_e32 v7, v34, v35
	;; [unrolled: 1-line block ×4, first 2 shown]
	s_and_saveexec_b64 s[2:3], vcc
	s_cbranch_execz .LBB228_77
; %bb.103:                              ;   in Loop: Header=BB228_78 Depth=1
	v_add_u32_e32 v1, -7, v13
	v_cmp_gt_i32_e32 vcc, s21, v1
	v_add_u32_e32 v7, -6, v13
	v_cndmask_b32_e32 v1, 0, v35, vcc
	v_cmp_gt_i32_e32 vcc, s21, v7
	v_cndmask_b32_e32 v7, 0, v34, vcc
	v_or_b32_e32 v7, v7, v1
	v_add_u32_e32 v1, -5, v13
	v_cmp_gt_i32_e32 vcc, s21, v1
	v_add_u32_e32 v9, -4, v13
	v_cndmask_b32_e32 v1, 0, v30, vcc
	v_cmp_gt_i32_e32 vcc, s21, v9
	v_cndmask_b32_e32 v8, 0, v8, vcc
	v_or_b32_e32 v1, v8, v1
	;; [unrolled: 7-line block ×3, first 2 shown]
	v_add_u32_e32 v8, -1, v13
	v_cmp_gt_i32_e32 vcc, s21, v8
	v_cndmask_b32_e32 v8, 0, v29, vcc
	v_cmp_gt_i32_e32 vcc, s21, v13
	v_cndmask_b32_e32 v27, 0, v27, vcc
	v_or_b32_e32 v32, v27, v8
	s_branch .LBB228_77
.LBB228_104:                            ;   in Loop: Header=BB228_78 Depth=1
	v_cmp_eq_u16_sdwa s[30:31], v7, s27 src0_sel:BYTE_0 src1_sel:DWORD
	s_mov_b64 s[2:3], -1
	s_and_saveexec_b64 s[16:17], s[30:31]
; %bb.105:                              ;   in Loop: Header=BB228_78 Depth=1
	s_xor_b64 s[2:3], exec, -1
; %bb.106:                              ;   in Loop: Header=BB228_78 Depth=1
	s_or_b64 exec, exec, s[16:17]
	s_and_b64 s[2:3], s[2:3], exec
	s_or_saveexec_b64 s[12:13], s[12:13]
	v_mov_b32_e32 v28, 0x8000
	s_xor_b64 exec, exec, s[12:13]
	s_cbranch_execz .LBB228_80
.LBB228_107:                            ;   in Loop: Header=BB228_78 Depth=1
	v_cmp_ne_u16_sdwa s[16:17], v7, v2 src0_sel:BYTE_0 src1_sel:DWORD
	s_andn2_b64 s[2:3], s[2:3], exec
	s_and_b64 s[16:17], s[16:17], exec
	v_and_b32_sdwa v28, s28, v7 dst_sel:DWORD dst_unused:UNUSED_PAD src0_sel:DWORD src1_sel:BYTE_0
	s_or_b64 s[2:3], s[2:3], s[16:17]
	s_or_b64 exec, exec, s[12:13]
	s_and_saveexec_b64 s[12:13], s[2:3]
	s_cbranch_execnz .LBB228_81
	s_branch .LBB228_82
.LBB228_108:                            ;   in Loop: Header=BB228_78 Depth=1
	v_cmp_eq_u16_e32 vcc, s27, v1
	s_mov_b64 s[2:3], -1
	s_and_saveexec_b64 s[16:17], vcc
; %bb.109:                              ;   in Loop: Header=BB228_78 Depth=1
	s_xor_b64 s[2:3], exec, -1
; %bb.110:                              ;   in Loop: Header=BB228_78 Depth=1
	s_or_b64 exec, exec, s[16:17]
	s_and_b64 s[2:3], s[2:3], exec
	s_or_saveexec_b64 s[12:13], s[12:13]
	v_bfrev_b32_e32 v29, 1
	s_xor_b64 exec, exec, s[12:13]
	s_cbranch_execz .LBB228_84
.LBB228_111:                            ;   in Loop: Header=BB228_78 Depth=1
	v_cmp_ne_u16_e32 vcc, 0, v1
	s_andn2_b64 s[2:3], s[2:3], exec
	s_and_b64 s[16:17], vcc, exec
	s_or_b64 s[2:3], s[2:3], s[16:17]
	v_mov_b32_e32 v29, v1
	s_or_b64 exec, exec, s[12:13]
	s_and_saveexec_b64 s[12:13], s[2:3]
	s_cbranch_execnz .LBB228_85
	s_branch .LBB228_86
.LBB228_112:                            ;   in Loop: Header=BB228_78 Depth=1
	v_cmp_eq_u16_sdwa s[30:31], v9, s27 src0_sel:BYTE_0 src1_sel:DWORD
	s_mov_b64 s[2:3], -1
	s_and_saveexec_b64 s[16:17], s[30:31]
; %bb.113:                              ;   in Loop: Header=BB228_78 Depth=1
	s_xor_b64 s[2:3], exec, -1
; %bb.114:                              ;   in Loop: Header=BB228_78 Depth=1
	s_or_b64 exec, exec, s[16:17]
	s_and_b64 s[2:3], s[2:3], exec
	s_or_saveexec_b64 s[12:13], s[12:13]
	v_mov_b32_e32 v30, 0x8000
	s_xor_b64 exec, exec, s[12:13]
	s_cbranch_execz .LBB228_88
.LBB228_115:                            ;   in Loop: Header=BB228_78 Depth=1
	v_cmp_ne_u16_sdwa s[16:17], v9, v2 src0_sel:BYTE_0 src1_sel:DWORD
	s_andn2_b64 s[2:3], s[2:3], exec
	s_and_b64 s[16:17], s[16:17], exec
	v_and_b32_sdwa v30, s28, v9 dst_sel:DWORD dst_unused:UNUSED_PAD src0_sel:DWORD src1_sel:BYTE_0
	s_or_b64 s[2:3], s[2:3], s[16:17]
	s_or_b64 exec, exec, s[12:13]
	s_and_saveexec_b64 s[12:13], s[2:3]
	s_cbranch_execnz .LBB228_89
	s_branch .LBB228_90
.LBB228_116:                            ;   in Loop: Header=BB228_78 Depth=1
	v_cmp_eq_u16_sdwa s[30:31], v8, s27 src0_sel:BYTE_0 src1_sel:DWORD
	s_mov_b64 s[2:3], -1
	s_and_saveexec_b64 s[16:17], s[30:31]
; %bb.117:                              ;   in Loop: Header=BB228_78 Depth=1
	s_xor_b64 s[2:3], exec, -1
; %bb.118:                              ;   in Loop: Header=BB228_78 Depth=1
	s_or_b64 exec, exec, s[16:17]
	s_and_b64 s[2:3], s[2:3], exec
	s_or_saveexec_b64 s[12:13], s[12:13]
	v_mov_b32_e32 v31, 0x8000
	s_xor_b64 exec, exec, s[12:13]
	s_cbranch_execz .LBB228_92
.LBB228_119:                            ;   in Loop: Header=BB228_78 Depth=1
	v_cmp_ne_u16_sdwa s[16:17], v8, v2 src0_sel:BYTE_0 src1_sel:DWORD
	s_andn2_b64 s[2:3], s[2:3], exec
	s_and_b64 s[16:17], s[16:17], exec
	v_and_b32_sdwa v31, s28, v8 dst_sel:DWORD dst_unused:UNUSED_PAD src0_sel:DWORD src1_sel:BYTE_0
	s_or_b64 s[2:3], s[2:3], s[16:17]
	s_or_b64 exec, exec, s[12:13]
	v_mov_b32_e32 v1, v8
	s_and_saveexec_b64 s[12:13], s[2:3]
	s_cbranch_execnz .LBB228_93
	s_branch .LBB228_94
.LBB228_120:                            ;   in Loop: Header=BB228_78 Depth=1
	v_cmp_eq_u16_e32 vcc, s27, v1
	s_mov_b64 s[2:3], -1
	s_and_saveexec_b64 s[16:17], vcc
; %bb.121:                              ;   in Loop: Header=BB228_78 Depth=1
	s_xor_b64 s[2:3], exec, -1
; %bb.122:                              ;   in Loop: Header=BB228_78 Depth=1
	s_or_b64 exec, exec, s[16:17]
	s_and_b64 s[2:3], s[2:3], exec
	s_or_saveexec_b64 s[12:13], s[12:13]
	v_bfrev_b32_e32 v32, 1
	s_xor_b64 exec, exec, s[12:13]
	s_cbranch_execz .LBB228_96
.LBB228_123:                            ;   in Loop: Header=BB228_78 Depth=1
	v_cmp_ne_u16_e32 vcc, 0, v1
	s_andn2_b64 s[2:3], s[2:3], exec
	s_and_b64 s[16:17], vcc, exec
	s_or_b64 s[2:3], s[2:3], s[16:17]
	v_mov_b32_e32 v32, v1
	s_or_b64 exec, exec, s[12:13]
	s_and_saveexec_b64 s[12:13], s[2:3]
	s_cbranch_execnz .LBB228_97
	s_branch .LBB228_98
.LBB228_124:                            ;   in Loop: Header=BB228_78 Depth=1
	v_cmp_eq_u16_sdwa s[30:31], v1, s27 src0_sel:BYTE_0 src1_sel:DWORD
	s_mov_b64 s[2:3], -1
	s_and_saveexec_b64 s[16:17], s[30:31]
; %bb.125:                              ;   in Loop: Header=BB228_78 Depth=1
	s_xor_b64 s[2:3], exec, -1
; %bb.126:                              ;   in Loop: Header=BB228_78 Depth=1
	s_or_b64 exec, exec, s[16:17]
	s_and_b64 s[2:3], s[2:3], exec
	s_or_saveexec_b64 s[12:13], s[12:13]
	v_mov_b32_e32 v33, 0x8000
	s_xor_b64 exec, exec, s[12:13]
	s_cbranch_execz .LBB228_100
.LBB228_127:                            ;   in Loop: Header=BB228_78 Depth=1
	v_cmp_ne_u16_sdwa s[16:17], v1, v2 src0_sel:BYTE_0 src1_sel:DWORD
	s_andn2_b64 s[2:3], s[2:3], exec
	s_and_b64 s[16:17], s[16:17], exec
	v_and_b32_sdwa v33, s28, v1 dst_sel:DWORD dst_unused:UNUSED_PAD src0_sel:DWORD src1_sel:BYTE_0
	s_or_b64 s[2:3], s[2:3], s[16:17]
	s_or_b64 exec, exec, s[12:13]
	s_and_saveexec_b64 s[12:13], s[2:3]
	s_cbranch_execnz .LBB228_101
	s_branch .LBB228_102
.LBB228_128:
	s_or_b64 exec, exec, s[10:11]
.LBB228_129:
	s_or_b64 exec, exec, s[4:5]
	v_and_b32_e32 v0, 0x3c0, v0
	v_cmp_eq_u32_e32 vcc, 64, v0
	v_mov_b32_e32 v0, 0x90
	v_lshl_add_u32 v0, v11, 2, v0
	s_barrier
	s_and_saveexec_b64 s[2:3], vcc
; %bb.130:
	ds_write_b32 v0, v12
; %bb.131:
	s_or_b64 exec, exec, s[2:3]
	s_waitcnt lgkmcnt(0)
	s_barrier
	s_and_saveexec_b64 s[2:3], s[0:1]
	s_cbranch_execz .LBB228_133
; %bb.132:
	ds_read_b32 v0, v0
	s_waitcnt lgkmcnt(0)
	v_add_f32_e32 v12, v12, v0
.LBB228_133:
	s_or_b64 exec, exec, s[2:3]
	s_barrier
	s_and_saveexec_b64 s[2:3], s[0:1]
	s_cbranch_execz .LBB228_135
; %bb.134:
	s_mul_i32 s0, s20, s23
	s_mul_i32 s0, s0, s9
	s_lshl_b32 s0, s0, 6
	s_ashr_i32 s1, s0, 31
	s_lshl_b64 s[0:1], s[0:1], 1
	s_add_u32 s2, s24, s0
	s_mul_i32 s0, s23, s22
	s_addc_u32 s3, s25, s1
	s_ashr_i32 s1, s0, 31
	s_lshl_b64 s[0:1], s[0:1], 1
	s_add_u32 s2, s2, s0
	s_addc_u32 s3, s3, s1
	s_lshl_b32 s0, s8, 6
	s_ashr_i32 s1, s0, 31
	s_lshl_b64 s[0:1], s[0:1], 1
	s_add_u32 s0, s2, s0
	s_addc_u32 s1, s3, s1
	v_lshlrev_b32_e32 v0, 1, v11
	;;#ASMSTART
	v_cvt_f16_f32 v1, v12;

	;;#ASMEND
	global_store_short v0, v1, s[0:1]
.LBB228_135:
	s_endpgm
	.section	.rodata,"a",@progbits
	.p2align	6, 0x0
	.amdhsa_kernel _ZN4vllm25paged_attention_v1_kernelIthLi64ELi8ELi128ELNS_18Fp8KVCacheDataTypeE1ELb0EEEvPT_PKS2_PKT0_S8_ifPKiSA_iPKfiiiSC_SC_iiiii
		.amdhsa_group_segment_fixed_size 144
		.amdhsa_private_segment_fixed_size 0
		.amdhsa_kernarg_size 384
		.amdhsa_user_sgpr_count 6
		.amdhsa_user_sgpr_private_segment_buffer 1
		.amdhsa_user_sgpr_dispatch_ptr 0
		.amdhsa_user_sgpr_queue_ptr 0
		.amdhsa_user_sgpr_kernarg_segment_ptr 1
		.amdhsa_user_sgpr_dispatch_id 0
		.amdhsa_user_sgpr_flat_scratch_init 0
		.amdhsa_user_sgpr_private_segment_size 0
		.amdhsa_uses_dynamic_stack 0
		.amdhsa_system_sgpr_private_segment_wavefront_offset 0
		.amdhsa_system_sgpr_workgroup_id_x 1
		.amdhsa_system_sgpr_workgroup_id_y 1
		.amdhsa_system_sgpr_workgroup_id_z 1
		.amdhsa_system_sgpr_workgroup_info 0
		.amdhsa_system_vgpr_workitem_id 0
		.amdhsa_next_free_vgpr 41
		.amdhsa_next_free_sgpr 46
		.amdhsa_reserve_vcc 1
		.amdhsa_reserve_flat_scratch 0
		.amdhsa_float_round_mode_32 0
		.amdhsa_float_round_mode_16_64 0
		.amdhsa_float_denorm_mode_32 3
		.amdhsa_float_denorm_mode_16_64 3
		.amdhsa_dx10_clamp 1
		.amdhsa_ieee_mode 1
		.amdhsa_fp16_overflow 0
		.amdhsa_exception_fp_ieee_invalid_op 0
		.amdhsa_exception_fp_denorm_src 0
		.amdhsa_exception_fp_ieee_div_zero 0
		.amdhsa_exception_fp_ieee_overflow 0
		.amdhsa_exception_fp_ieee_underflow 0
		.amdhsa_exception_fp_ieee_inexact 0
		.amdhsa_exception_int_div_zero 0
	.end_amdhsa_kernel
	.section	.text._ZN4vllm25paged_attention_v1_kernelIthLi64ELi8ELi128ELNS_18Fp8KVCacheDataTypeE1ELb0EEEvPT_PKS2_PKT0_S8_ifPKiSA_iPKfiiiSC_SC_iiiii,"axG",@progbits,_ZN4vllm25paged_attention_v1_kernelIthLi64ELi8ELi128ELNS_18Fp8KVCacheDataTypeE1ELb0EEEvPT_PKS2_PKT0_S8_ifPKiSA_iPKfiiiSC_SC_iiiii,comdat
.Lfunc_end228:
	.size	_ZN4vllm25paged_attention_v1_kernelIthLi64ELi8ELi128ELNS_18Fp8KVCacheDataTypeE1ELb0EEEvPT_PKS2_PKT0_S8_ifPKiSA_iPKfiiiSC_SC_iiiii, .Lfunc_end228-_ZN4vllm25paged_attention_v1_kernelIthLi64ELi8ELi128ELNS_18Fp8KVCacheDataTypeE1ELb0EEEvPT_PKS2_PKT0_S8_ifPKiSA_iPKfiiiSC_SC_iiiii
                                        ; -- End function
	.set _ZN4vllm25paged_attention_v1_kernelIthLi64ELi8ELi128ELNS_18Fp8KVCacheDataTypeE1ELb0EEEvPT_PKS2_PKT0_S8_ifPKiSA_iPKfiiiSC_SC_iiiii.num_vgpr, 41
	.set _ZN4vllm25paged_attention_v1_kernelIthLi64ELi8ELi128ELNS_18Fp8KVCacheDataTypeE1ELb0EEEvPT_PKS2_PKT0_S8_ifPKiSA_iPKfiiiSC_SC_iiiii.num_agpr, 0
	.set _ZN4vllm25paged_attention_v1_kernelIthLi64ELi8ELi128ELNS_18Fp8KVCacheDataTypeE1ELb0EEEvPT_PKS2_PKT0_S8_ifPKiSA_iPKfiiiSC_SC_iiiii.numbered_sgpr, 46
	.set _ZN4vllm25paged_attention_v1_kernelIthLi64ELi8ELi128ELNS_18Fp8KVCacheDataTypeE1ELb0EEEvPT_PKS2_PKT0_S8_ifPKiSA_iPKfiiiSC_SC_iiiii.num_named_barrier, 0
	.set _ZN4vllm25paged_attention_v1_kernelIthLi64ELi8ELi128ELNS_18Fp8KVCacheDataTypeE1ELb0EEEvPT_PKS2_PKT0_S8_ifPKiSA_iPKfiiiSC_SC_iiiii.private_seg_size, 0
	.set _ZN4vllm25paged_attention_v1_kernelIthLi64ELi8ELi128ELNS_18Fp8KVCacheDataTypeE1ELb0EEEvPT_PKS2_PKT0_S8_ifPKiSA_iPKfiiiSC_SC_iiiii.uses_vcc, 1
	.set _ZN4vllm25paged_attention_v1_kernelIthLi64ELi8ELi128ELNS_18Fp8KVCacheDataTypeE1ELb0EEEvPT_PKS2_PKT0_S8_ifPKiSA_iPKfiiiSC_SC_iiiii.uses_flat_scratch, 0
	.set _ZN4vllm25paged_attention_v1_kernelIthLi64ELi8ELi128ELNS_18Fp8KVCacheDataTypeE1ELb0EEEvPT_PKS2_PKT0_S8_ifPKiSA_iPKfiiiSC_SC_iiiii.has_dyn_sized_stack, 0
	.set _ZN4vllm25paged_attention_v1_kernelIthLi64ELi8ELi128ELNS_18Fp8KVCacheDataTypeE1ELb0EEEvPT_PKS2_PKT0_S8_ifPKiSA_iPKfiiiSC_SC_iiiii.has_recursion, 0
	.set _ZN4vllm25paged_attention_v1_kernelIthLi64ELi8ELi128ELNS_18Fp8KVCacheDataTypeE1ELb0EEEvPT_PKS2_PKT0_S8_ifPKiSA_iPKfiiiSC_SC_iiiii.has_indirect_call, 0
	.section	.AMDGPU.csdata,"",@progbits
; Kernel info:
; codeLenInByte = 6604
; TotalNumSgprs: 50
; NumVgprs: 41
; ScratchSize: 0
; MemoryBound: 0
; FloatMode: 240
; IeeeMode: 1
; LDSByteSize: 144 bytes/workgroup (compile time only)
; SGPRBlocks: 6
; VGPRBlocks: 10
; NumSGPRsForWavesPerEU: 50
; NumVGPRsForWavesPerEU: 41
; Occupancy: 5
; WaveLimiterHint : 1
; COMPUTE_PGM_RSRC2:SCRATCH_EN: 0
; COMPUTE_PGM_RSRC2:USER_SGPR: 6
; COMPUTE_PGM_RSRC2:TRAP_HANDLER: 0
; COMPUTE_PGM_RSRC2:TGID_X_EN: 1
; COMPUTE_PGM_RSRC2:TGID_Y_EN: 1
; COMPUTE_PGM_RSRC2:TGID_Z_EN: 1
; COMPUTE_PGM_RSRC2:TIDIG_COMP_CNT: 0
	.section	.text._ZN4vllm25paged_attention_v1_kernelIthLi80ELi8ELi128ELNS_18Fp8KVCacheDataTypeE1ELb0EEEvPT_PKS2_PKT0_S8_ifPKiSA_iPKfiiiSC_SC_iiiii,"axG",@progbits,_ZN4vllm25paged_attention_v1_kernelIthLi80ELi8ELi128ELNS_18Fp8KVCacheDataTypeE1ELb0EEEvPT_PKS2_PKT0_S8_ifPKiSA_iPKfiiiSC_SC_iiiii,comdat
	.protected	_ZN4vllm25paged_attention_v1_kernelIthLi80ELi8ELi128ELNS_18Fp8KVCacheDataTypeE1ELb0EEEvPT_PKS2_PKT0_S8_ifPKiSA_iPKfiiiSC_SC_iiiii ; -- Begin function _ZN4vllm25paged_attention_v1_kernelIthLi80ELi8ELi128ELNS_18Fp8KVCacheDataTypeE1ELb0EEEvPT_PKS2_PKT0_S8_ifPKiSA_iPKfiiiSC_SC_iiiii
	.globl	_ZN4vllm25paged_attention_v1_kernelIthLi80ELi8ELi128ELNS_18Fp8KVCacheDataTypeE1ELb0EEEvPT_PKS2_PKT0_S8_ifPKiSA_iPKfiiiSC_SC_iiiii
	.p2align	8
	.type	_ZN4vllm25paged_attention_v1_kernelIthLi80ELi8ELi128ELNS_18Fp8KVCacheDataTypeE1ELb0EEEvPT_PKS2_PKT0_S8_ifPKiSA_iPKfiiiSC_SC_iiiii,@function
_ZN4vllm25paged_attention_v1_kernelIthLi80ELi8ELi128ELNS_18Fp8KVCacheDataTypeE1ELb0EEEvPT_PKS2_PKT0_S8_ifPKiSA_iPKfiiiSC_SC_iiiii: ; @_ZN4vllm25paged_attention_v1_kernelIthLi80ELi8ELi128ELNS_18Fp8KVCacheDataTypeE1ELb0EEEvPT_PKS2_PKT0_S8_ifPKiSA_iPKfiiiSC_SC_iiiii
; %bb.0:
	s_load_dword s9, s[4:5], 0x80
	s_load_dwordx2 s[0:1], s[4:5], 0x30
	s_load_dwordx2 s[10:11], s[4:5], 0x20
	s_mov_b32 s20, s7
	s_ashr_i32 s21, s7, 31
	s_lshl_b64 s[2:3], s[20:21], 2
	s_waitcnt lgkmcnt(0)
	s_add_u32 s0, s0, s2
	s_addc_u32 s1, s1, s3
	s_abs_i32 s2, s10
	v_cvt_f32_u32_e32 v1, s2
	s_xor_b32 s3, s9, s10
	s_sub_i32 s10, 0, s2
	s_abs_i32 s7, s9
	v_rcp_iflag_f32_e32 v1, v1
	s_ashr_i32 s3, s3, 31
	v_mul_f32_e32 v1, 0x4f7ffffe, v1
	v_cvt_u32_f32_e32 v1, v1
	v_readfirstlane_b32 s12, v1
	s_mul_i32 s10, s10, s12
	s_mul_hi_u32 s10, s12, s10
	s_add_i32 s12, s12, s10
	s_mul_hi_u32 s10, s7, s12
	s_mul_i32 s12, s10, s2
	s_sub_i32 s7, s7, s12
	s_add_i32 s12, s10, 1
	s_sub_i32 s13, s7, s2
	s_cmp_ge_u32 s7, s2
	s_cselect_b32 s10, s12, s10
	s_cselect_b32 s7, s13, s7
	s_add_i32 s12, s10, 1
	s_cmp_ge_u32 s7, s2
	s_cselect_b32 s2, s12, s10
	s_xor_b32 s2, s2, s3
	s_sub_i32 s15, s2, s3
	s_abs_i32 s12, s15
	v_cvt_f32_u32_e32 v1, s12
	s_load_dwordx2 s[2:3], s[4:5], 0x40
	s_sub_i32 s7, 0, s12
	s_abs_i32 s13, s6
	v_rcp_iflag_f32_e32 v1, v1
	s_mov_b32 s10, 0
	v_mul_f32_e32 v1, 0x4f7ffffe, v1
	v_cvt_u32_f32_e32 v1, v1
	v_readfirstlane_b32 s14, v1
	s_mul_i32 s7, s7, s14
	s_mul_hi_u32 s7, s14, s7
	s_add_i32 s14, s14, s7
	s_waitcnt lgkmcnt(0)
	s_cmp_eq_u64 s[2:3], 0
	s_mul_hi_u32 s14, s13, s14
	s_cbranch_scc1 .LBB229_2
; %bb.1:
	s_ashr_i32 s7, s6, 31
	s_lshl_b64 s[16:17], s[6:7], 2
	s_add_u32 s2, s2, s16
	s_addc_u32 s3, s3, s17
	s_load_dword s10, s[2:3], 0x0
.LBB229_2:
	s_load_dword s21, s[0:1], 0x0
	s_load_dwordx4 s[16:19], s[4:5], 0x48
	s_movk_i32 s0, 0x50
	s_ashr_i32 s7, s6, 31
	s_ashr_i32 s15, s15, 31
	v_and_b32_e32 v1, 7, v0
	s_mul_i32 s22, s6, 0x50
	v_cmp_gt_u32_e64 s[0:1], s0, v0
	v_lshlrev_b32_e32 v11, 1, v0
	s_and_saveexec_b64 s[2:3], s[0:1]
	s_cbranch_execz .LBB229_4
; %bb.3:
	s_load_dwordx2 s[24:25], s[4:5], 0x8
	s_waitcnt lgkmcnt(0)
	s_mul_i32 s26, s16, s20
	s_ashr_i32 s27, s26, 31
	s_lshl_b64 s[26:27], s[26:27], 1
	v_lshrrev_b32_e32 v3, 2, v0
	s_add_u32 s6, s24, s26
	s_addc_u32 s16, s25, s27
	s_ashr_i32 s23, s22, 31
	s_lshl_b64 s[24:25], s[22:23], 1
	s_add_u32 s24, s6, s24
	s_addc_u32 s25, s16, s25
	global_load_ushort v2, v11, s[24:25]
	v_and_b32_e32 v3, 0xfe, v3
	v_mad_u32_u24 v3, v1, 20, v3
	s_waitcnt vmcnt(0)
	ds_write_b16 v3, v2
.LBB229_4:
	s_or_b64 exec, exec, s[2:3]
	s_waitcnt lgkmcnt(0)
	s_add_i32 s3, s21, 7
	s_ashr_i32 s6, s3, 31
	s_lshr_b32 s6, s6, 29
	s_add_i32 s3, s3, s6
	s_mul_i32 s6, s14, s12
	s_sub_i32 s6, s13, s6
	s_ashr_i32 s33, s3, 3
	s_xor_b32 s3, s7, s15
	s_add_i32 s7, s14, 1
	s_sub_i32 s13, s6, s12
	s_load_dwordx2 s[26:27], s[4:5], 0x28
	s_load_dword s2, s[4:5], 0x38
	s_cmp_ge_u32 s6, s12
	s_cselect_b32 s7, s7, s14
	s_cselect_b32 s6, s13, s6
	s_add_i32 s13, s7, 1
	s_cmp_ge_u32 s6, s12
	s_cselect_b32 s6, s13, s7
	v_lshrrev_b32_e32 v12, 6, v0
	s_xor_b32 s6, s6, s3
	s_waitcnt lgkmcnt(0)
	s_mul_i32 s28, s2, s20
	s_sub_i32 s16, s6, s3
	s_ashr_i32 s29, s28, 31
	v_cmp_gt_i32_e64 s[2:3], s33, v12
	v_cmp_le_i32_e32 vcc, s33, v12
	v_mbcnt_lo_u32_b32 v7, -1, 0
	s_barrier
                                        ; implicit-def: $vgpr9
                                        ; implicit-def: $vgpr6
                                        ; implicit-def: $vgpr5
	s_and_saveexec_b64 s[6:7], vcc
	s_xor_b64 s[6:7], exec, s[6:7]
; %bb.5:
	v_mbcnt_hi_u32_b32 v9, -1, v7
	v_and_b32_e32 v6, 64, v9
	v_add_u32_e32 v5, 64, v6
                                        ; implicit-def: $vgpr1
                                        ; implicit-def: $vgpr7
; %bb.6:
	s_or_saveexec_b64 s[34:35], s[6:7]
	s_load_dwordx2 s[24:25], s[4:5], 0x0
	s_load_dwordx2 s[30:31], s[4:5], 0x18
	s_load_dword s23, s[4:5], 0x88
	s_load_dwordx4 s[12:15], s[4:5], 0x58
	v_mov_b32_e32 v10, 0xff7fffff
	s_mul_i32 s16, s16, s18
	v_lshrrev_b32_e32 v8, 4, v0
	s_xor_b64 exec, exec, s[34:35]
	s_cbranch_execz .LBB229_72
; %bb.7:
	s_load_dwordx2 s[4:5], s[4:5], 0x10
	s_ashr_i32 s6, s16, 31
	v_bfe_u32 v3, v0, 3, 3
	v_lshlrev_b32_e32 v2, 4, v3
	v_mul_u32_u24_e32 v14, 20, v1
	s_waitcnt lgkmcnt(0)
	s_add_u32 s4, s4, s16
	s_addc_u32 s5, s5, s6
	v_mov_b32_e32 v4, s5
	v_add_co_u32_e32 v2, vcc, s4, v2
	v_addc_co_u32_e32 v4, vcc, 0, v4, vcc
	v_cmp_eq_u32_e32 vcc, 0, v1
	v_add_co_u32_e64 v1, s[6:7], v2, v1
	v_addc_co_u32_e64 v2, s[6:7], 0, v4, s[6:7]
	s_sub_i32 s43, 1, s21
	v_lshl_or_b32 v15, v12, 3, v3
	v_lshlrev_b32_e32 v3, 2, v3
	s_lshl_b64 s[6:7], s[28:29], 2
	v_lshl_or_b32 v3, v12, 5, v3
	s_add_u32 s6, s26, s6
	v_add_u32_e32 v16, 0xb0, v3
	v_and_b32_e32 v3, 60, v8
	s_addc_u32 s7, s27, s7
	v_mov_b32_e32 v4, s7
	v_add_co_u32_e64 v3, s[6:7], s6, v3
	s_mov_b32 s42, s17
	v_mov_b32_e32 v13, 0
	v_cmp_neq_f32_e64 s[4:5], s10, 0
	v_addc_co_u32_e64 v4, s[6:7], 0, v4, s[6:7]
	v_mov_b32_e32 v10, 0xff7fffff
	s_mov_b64 s[18:19], 0
	s_movk_i32 s44, 0x80
	s_movk_i32 s45, 0x7f
	v_mbcnt_hi_u32_b32 v9, -1, v7
	v_bfrev_b32_e32 v17, 60
	v_mov_b32_e32 v18, v12
	s_branch .LBB229_9
.LBB229_8:                              ;   in Loop: Header=BB229_9 Depth=1
	s_or_b64 exec, exec, s[36:37]
	v_add_u32_e32 v18, 2, v18
	v_cmp_le_i32_e64 s[6:7], s33, v18
	s_or_b64 s[18:19], s[6:7], s[18:19]
	v_add_co_u32_e64 v3, s[6:7], 8, v3
	v_add_u32_e32 v15, 16, v15
	v_add_u32_e32 v16, 64, v16
	v_addc_co_u32_e64 v4, s[6:7], 0, v4, s[6:7]
	s_andn2_b64 exec, exec, s[18:19]
	s_cbranch_execz .LBB229_71
.LBB229_9:                              ; =>This Inner Loop Header: Depth=1
	global_load_dword v5, v[3:4], off
	v_mov_b32_e32 v20, 0
	s_waitcnt vmcnt(0)
	v_mad_i64_i32 v[5:6], s[6:7], v5, s42, v[1:2]
	global_load_ubyte v21, v[5:6], off
	s_waitcnt lgkmcnt(0)
	global_load_dword v19, v13, s[12:13]
	s_waitcnt vmcnt(1)
	v_cmp_ne_u16_e64 s[6:7], 0, v21
	s_and_saveexec_b64 s[36:37], s[6:7]
	s_cbranch_execz .LBB229_15
; %bb.10:                               ;   in Loop: Header=BB229_9 Depth=1
	v_cmp_ne_u16_e64 s[6:7], s44, v21
	v_bfrev_b32_e32 v20, 1
	s_and_saveexec_b64 s[38:39], s[6:7]
	s_cbranch_execz .LBB229_14
; %bb.11:                               ;   in Loop: Header=BB229_9 Depth=1
	v_and_b32_e32 v7, 0xffff, v21
	v_and_b32_e32 v22, 0x7f, v7
	v_cmp_ne_u32_e64 s[6:7], s45, v22
	v_mov_b32_e32 v20, 0x7f800001
	s_and_saveexec_b64 s[40:41], s[6:7]
	s_cbranch_execz .LBB229_13
; %bb.12:                               ;   in Loop: Header=BB229_9 Depth=1
	v_and_b32_e32 v20, 7, v7
	v_ffbh_u32_e32 v23, v20
	v_min_u32_e32 v26, 32, v23
	v_subrev_u32_e32 v23, 28, v26
	v_lshlrev_b64 v[23:24], v23, v[7:8]
	v_lshrrev_b32_e32 v25, 3, v22
	v_sub_u32_e32 v7, 29, v26
	v_and_b32_e32 v23, 7, v23
	v_cmp_gt_u32_e64 s[6:7], 8, v22
	v_cndmask_b32_e64 v7, v25, v7, s[6:7]
	v_cndmask_b32_e64 v20, v20, v23, s[6:7]
	v_lshlrev_b32_e32 v21, 24, v21
	v_lshlrev_b32_e32 v20, 20, v20
	v_and_b32_e32 v21, 0x80000000, v21
	v_lshl_add_u32 v7, v7, 23, v17
	v_or3_b32 v20, v21, v7, v20
.LBB229_13:                             ;   in Loop: Header=BB229_9 Depth=1
	s_or_b64 exec, exec, s[40:41]
.LBB229_14:                             ;   in Loop: Header=BB229_9 Depth=1
	s_or_b64 exec, exec, s[38:39]
.LBB229_15:                             ;   in Loop: Header=BB229_9 Depth=1
	s_or_b64 exec, exec, s[36:37]
	global_load_ubyte v23, v[5:6], off offset:8
	v_mov_b32_e32 v21, 0
	v_mov_b32_e32 v22, 0
	s_waitcnt vmcnt(0)
	v_cmp_ne_u16_e64 s[6:7], 0, v23
	s_and_saveexec_b64 s[36:37], s[6:7]
	s_cbranch_execz .LBB229_21
; %bb.16:                               ;   in Loop: Header=BB229_9 Depth=1
	v_cmp_ne_u16_e64 s[6:7], s44, v23
	v_bfrev_b32_e32 v22, 1
	s_and_saveexec_b64 s[38:39], s[6:7]
	s_cbranch_execz .LBB229_20
; %bb.17:                               ;   in Loop: Header=BB229_9 Depth=1
	v_and_b32_e32 v7, 0xffff, v23
	v_and_b32_e32 v24, 0x7f, v7
	v_cmp_ne_u32_e64 s[6:7], s45, v24
	v_mov_b32_e32 v22, 0x7f800001
	s_and_saveexec_b64 s[40:41], s[6:7]
	s_cbranch_execz .LBB229_19
; %bb.18:                               ;   in Loop: Header=BB229_9 Depth=1
	v_and_b32_e32 v22, 7, v7
	v_ffbh_u32_e32 v25, v22
	v_min_u32_e32 v28, 32, v25
	v_subrev_u32_e32 v25, 28, v28
	v_lshlrev_b64 v[25:26], v25, v[7:8]
	v_lshrrev_b32_e32 v27, 3, v24
	v_sub_u32_e32 v7, 29, v28
	v_and_b32_e32 v25, 7, v25
	v_cmp_gt_u32_e64 s[6:7], 8, v24
	v_cndmask_b32_e64 v7, v27, v7, s[6:7]
	v_cndmask_b32_e64 v22, v22, v25, s[6:7]
	v_lshlrev_b32_e32 v23, 24, v23
	v_lshlrev_b32_e32 v22, 20, v22
	v_and_b32_e32 v23, 0x80000000, v23
	v_lshl_add_u32 v7, v7, 23, v17
	v_or3_b32 v22, v23, v7, v22
.LBB229_19:                             ;   in Loop: Header=BB229_9 Depth=1
	s_or_b64 exec, exec, s[40:41]
.LBB229_20:                             ;   in Loop: Header=BB229_9 Depth=1
	s_or_b64 exec, exec, s[38:39]
.LBB229_21:                             ;   in Loop: Header=BB229_9 Depth=1
	s_or_b64 exec, exec, s[36:37]
	global_load_ubyte v23, v[5:6], off offset:128
	s_waitcnt vmcnt(0)
	v_cmp_ne_u16_e64 s[6:7], 0, v23
	s_and_saveexec_b64 s[36:37], s[6:7]
	s_cbranch_execz .LBB229_27
; %bb.22:                               ;   in Loop: Header=BB229_9 Depth=1
	v_cmp_ne_u16_e64 s[6:7], s44, v23
	v_bfrev_b32_e32 v21, 1
	s_and_saveexec_b64 s[38:39], s[6:7]
	s_cbranch_execz .LBB229_26
; %bb.23:                               ;   in Loop: Header=BB229_9 Depth=1
	v_and_b32_e32 v7, 0xffff, v23
	v_and_b32_e32 v24, 0x7f, v7
	v_cmp_ne_u32_e64 s[6:7], s45, v24
	v_mov_b32_e32 v21, 0x7f800001
	s_and_saveexec_b64 s[40:41], s[6:7]
	s_cbranch_execz .LBB229_25
; %bb.24:                               ;   in Loop: Header=BB229_9 Depth=1
	v_and_b32_e32 v21, 7, v7
	v_ffbh_u32_e32 v25, v21
	v_min_u32_e32 v28, 32, v25
	v_subrev_u32_e32 v25, 28, v28
	v_lshlrev_b64 v[25:26], v25, v[7:8]
	v_lshrrev_b32_e32 v27, 3, v24
	v_sub_u32_e32 v7, 29, v28
	v_and_b32_e32 v25, 7, v25
	v_cmp_gt_u32_e64 s[6:7], 8, v24
	v_cndmask_b32_e64 v7, v27, v7, s[6:7]
	v_cndmask_b32_e64 v21, v21, v25, s[6:7]
	v_lshlrev_b32_e32 v23, 24, v23
	v_lshlrev_b32_e32 v21, 20, v21
	v_and_b32_e32 v23, 0x80000000, v23
	v_lshl_add_u32 v7, v7, 23, v17
	v_or3_b32 v21, v23, v7, v21
.LBB229_25:                             ;   in Loop: Header=BB229_9 Depth=1
	s_or_b64 exec, exec, s[40:41]
.LBB229_26:                             ;   in Loop: Header=BB229_9 Depth=1
	s_or_b64 exec, exec, s[38:39]
.LBB229_27:                             ;   in Loop: Header=BB229_9 Depth=1
	s_or_b64 exec, exec, s[36:37]
	global_load_ubyte v25, v[5:6], off offset:136
	v_mov_b32_e32 v23, 0
	v_mov_b32_e32 v24, 0
	s_waitcnt vmcnt(0)
	v_cmp_ne_u16_e64 s[6:7], 0, v25
	s_and_saveexec_b64 s[36:37], s[6:7]
	s_cbranch_execz .LBB229_33
; %bb.28:                               ;   in Loop: Header=BB229_9 Depth=1
	v_cmp_ne_u16_e64 s[6:7], s44, v25
	v_bfrev_b32_e32 v24, 1
	s_and_saveexec_b64 s[38:39], s[6:7]
	s_cbranch_execz .LBB229_32
; %bb.29:                               ;   in Loop: Header=BB229_9 Depth=1
	v_and_b32_e32 v7, 0xffff, v25
	v_and_b32_e32 v26, 0x7f, v7
	v_cmp_ne_u32_e64 s[6:7], s45, v26
	v_mov_b32_e32 v24, 0x7f800001
	s_and_saveexec_b64 s[40:41], s[6:7]
	s_cbranch_execz .LBB229_31
; %bb.30:                               ;   in Loop: Header=BB229_9 Depth=1
	v_and_b32_e32 v24, 7, v7
	v_ffbh_u32_e32 v27, v24
	v_min_u32_e32 v30, 32, v27
	v_subrev_u32_e32 v27, 28, v30
	v_lshlrev_b64 v[27:28], v27, v[7:8]
	v_lshrrev_b32_e32 v29, 3, v26
	v_sub_u32_e32 v7, 29, v30
	v_and_b32_e32 v27, 7, v27
	v_cmp_gt_u32_e64 s[6:7], 8, v26
	v_cndmask_b32_e64 v7, v29, v7, s[6:7]
	v_cndmask_b32_e64 v24, v24, v27, s[6:7]
	v_lshlrev_b32_e32 v25, 24, v25
	v_lshlrev_b32_e32 v24, 20, v24
	v_and_b32_e32 v25, 0x80000000, v25
	v_lshl_add_u32 v7, v7, 23, v17
	v_or3_b32 v24, v25, v7, v24
.LBB229_31:                             ;   in Loop: Header=BB229_9 Depth=1
	s_or_b64 exec, exec, s[40:41]
.LBB229_32:                             ;   in Loop: Header=BB229_9 Depth=1
	s_or_b64 exec, exec, s[38:39]
.LBB229_33:                             ;   in Loop: Header=BB229_9 Depth=1
	s_or_b64 exec, exec, s[36:37]
	global_load_ubyte v25, v[5:6], off offset:256
	s_waitcnt vmcnt(0)
	v_cmp_ne_u16_e64 s[6:7], 0, v25
	s_and_saveexec_b64 s[36:37], s[6:7]
	s_cbranch_execz .LBB229_39
; %bb.34:                               ;   in Loop: Header=BB229_9 Depth=1
	v_cmp_ne_u16_e64 s[6:7], s44, v25
	v_bfrev_b32_e32 v23, 1
	s_and_saveexec_b64 s[38:39], s[6:7]
	s_cbranch_execz .LBB229_38
; %bb.35:                               ;   in Loop: Header=BB229_9 Depth=1
	v_and_b32_e32 v7, 0xffff, v25
	v_and_b32_e32 v26, 0x7f, v7
	v_cmp_ne_u32_e64 s[6:7], s45, v26
	v_mov_b32_e32 v23, 0x7f800001
	s_and_saveexec_b64 s[40:41], s[6:7]
	s_cbranch_execz .LBB229_37
; %bb.36:                               ;   in Loop: Header=BB229_9 Depth=1
	v_and_b32_e32 v23, 7, v7
	v_ffbh_u32_e32 v27, v23
	v_min_u32_e32 v30, 32, v27
	v_subrev_u32_e32 v27, 28, v30
	v_lshlrev_b64 v[27:28], v27, v[7:8]
	v_lshrrev_b32_e32 v29, 3, v26
	v_sub_u32_e32 v7, 29, v30
	v_and_b32_e32 v27, 7, v27
	v_cmp_gt_u32_e64 s[6:7], 8, v26
	v_cndmask_b32_e64 v7, v29, v7, s[6:7]
	v_cndmask_b32_e64 v23, v23, v27, s[6:7]
	v_lshlrev_b32_e32 v25, 24, v25
	v_lshlrev_b32_e32 v23, 20, v23
	v_and_b32_e32 v25, 0x80000000, v25
	v_lshl_add_u32 v7, v7, 23, v17
	v_or3_b32 v23, v25, v7, v23
.LBB229_37:                             ;   in Loop: Header=BB229_9 Depth=1
	s_or_b64 exec, exec, s[40:41]
.LBB229_38:                             ;   in Loop: Header=BB229_9 Depth=1
	s_or_b64 exec, exec, s[38:39]
.LBB229_39:                             ;   in Loop: Header=BB229_9 Depth=1
	s_or_b64 exec, exec, s[36:37]
	global_load_ubyte v27, v[5:6], off offset:264
	v_mov_b32_e32 v25, 0
	v_mov_b32_e32 v26, 0
	s_waitcnt vmcnt(0)
	v_cmp_ne_u16_e64 s[6:7], 0, v27
	s_and_saveexec_b64 s[36:37], s[6:7]
	s_cbranch_execz .LBB229_45
; %bb.40:                               ;   in Loop: Header=BB229_9 Depth=1
	v_cmp_ne_u16_e64 s[6:7], s44, v27
	v_bfrev_b32_e32 v26, 1
	s_and_saveexec_b64 s[38:39], s[6:7]
	s_cbranch_execz .LBB229_44
; %bb.41:                               ;   in Loop: Header=BB229_9 Depth=1
	v_and_b32_e32 v7, 0xffff, v27
	v_and_b32_e32 v28, 0x7f, v7
	v_cmp_ne_u32_e64 s[6:7], s45, v28
	v_mov_b32_e32 v26, 0x7f800001
	s_and_saveexec_b64 s[40:41], s[6:7]
	s_cbranch_execz .LBB229_43
; %bb.42:                               ;   in Loop: Header=BB229_9 Depth=1
	v_and_b32_e32 v26, 7, v7
	v_ffbh_u32_e32 v29, v26
	v_min_u32_e32 v32, 32, v29
	v_subrev_u32_e32 v29, 28, v32
	v_lshlrev_b64 v[29:30], v29, v[7:8]
	v_lshrrev_b32_e32 v31, 3, v28
	v_sub_u32_e32 v7, 29, v32
	v_and_b32_e32 v29, 7, v29
	v_cmp_gt_u32_e64 s[6:7], 8, v28
	v_cndmask_b32_e64 v7, v31, v7, s[6:7]
	v_cndmask_b32_e64 v26, v26, v29, s[6:7]
	v_lshlrev_b32_e32 v27, 24, v27
	v_lshlrev_b32_e32 v26, 20, v26
	v_and_b32_e32 v27, 0x80000000, v27
	v_lshl_add_u32 v7, v7, 23, v17
	v_or3_b32 v26, v27, v7, v26
.LBB229_43:                             ;   in Loop: Header=BB229_9 Depth=1
	s_or_b64 exec, exec, s[40:41]
.LBB229_44:                             ;   in Loop: Header=BB229_9 Depth=1
	s_or_b64 exec, exec, s[38:39]
.LBB229_45:                             ;   in Loop: Header=BB229_9 Depth=1
	s_or_b64 exec, exec, s[36:37]
	global_load_ubyte v27, v[5:6], off offset:384
	s_waitcnt vmcnt(0)
	v_cmp_ne_u16_e64 s[6:7], 0, v27
	s_and_saveexec_b64 s[36:37], s[6:7]
	s_cbranch_execz .LBB229_51
; %bb.46:                               ;   in Loop: Header=BB229_9 Depth=1
	v_cmp_ne_u16_e64 s[6:7], s44, v27
	v_bfrev_b32_e32 v25, 1
	s_and_saveexec_b64 s[38:39], s[6:7]
	s_cbranch_execz .LBB229_50
; %bb.47:                               ;   in Loop: Header=BB229_9 Depth=1
	v_and_b32_e32 v7, 0xffff, v27
	v_and_b32_e32 v28, 0x7f, v7
	v_cmp_ne_u32_e64 s[6:7], s45, v28
	v_mov_b32_e32 v25, 0x7f800001
	s_and_saveexec_b64 s[40:41], s[6:7]
	s_cbranch_execz .LBB229_49
; %bb.48:                               ;   in Loop: Header=BB229_9 Depth=1
	v_and_b32_e32 v25, 7, v7
	v_ffbh_u32_e32 v29, v25
	v_min_u32_e32 v32, 32, v29
	v_subrev_u32_e32 v29, 28, v32
	v_lshlrev_b64 v[29:30], v29, v[7:8]
	v_lshrrev_b32_e32 v31, 3, v28
	v_sub_u32_e32 v7, 29, v32
	v_and_b32_e32 v29, 7, v29
	v_cmp_gt_u32_e64 s[6:7], 8, v28
	v_cndmask_b32_e64 v7, v31, v7, s[6:7]
	v_cndmask_b32_e64 v25, v25, v29, s[6:7]
	v_lshlrev_b32_e32 v27, 24, v27
	v_lshlrev_b32_e32 v25, 20, v25
	v_and_b32_e32 v27, 0x80000000, v27
	v_lshl_add_u32 v7, v7, 23, v17
	v_or3_b32 v25, v27, v7, v25
.LBB229_49:                             ;   in Loop: Header=BB229_9 Depth=1
	s_or_b64 exec, exec, s[40:41]
.LBB229_50:                             ;   in Loop: Header=BB229_9 Depth=1
	s_or_b64 exec, exec, s[38:39]
.LBB229_51:                             ;   in Loop: Header=BB229_9 Depth=1
	s_or_b64 exec, exec, s[36:37]
	global_load_ubyte v29, v[5:6], off offset:392
	v_mov_b32_e32 v27, 0
	v_mov_b32_e32 v28, 0
	s_waitcnt vmcnt(0)
	v_cmp_ne_u16_e64 s[6:7], 0, v29
	s_and_saveexec_b64 s[36:37], s[6:7]
	s_cbranch_execz .LBB229_57
; %bb.52:                               ;   in Loop: Header=BB229_9 Depth=1
	v_cmp_ne_u16_e64 s[6:7], s44, v29
	v_bfrev_b32_e32 v28, 1
	s_and_saveexec_b64 s[38:39], s[6:7]
	s_cbranch_execz .LBB229_56
; %bb.53:                               ;   in Loop: Header=BB229_9 Depth=1
	v_and_b32_e32 v7, 0xffff, v29
	v_and_b32_e32 v30, 0x7f, v7
	v_cmp_ne_u32_e64 s[6:7], s45, v30
	v_mov_b32_e32 v28, 0x7f800001
	s_and_saveexec_b64 s[40:41], s[6:7]
	s_cbranch_execz .LBB229_55
; %bb.54:                               ;   in Loop: Header=BB229_9 Depth=1
	v_and_b32_e32 v28, 7, v7
	v_ffbh_u32_e32 v31, v28
	v_min_u32_e32 v34, 32, v31
	v_subrev_u32_e32 v31, 28, v34
	v_lshlrev_b64 v[31:32], v31, v[7:8]
	v_lshrrev_b32_e32 v33, 3, v30
	v_sub_u32_e32 v7, 29, v34
	v_and_b32_e32 v31, 7, v31
	v_cmp_gt_u32_e64 s[6:7], 8, v30
	v_cndmask_b32_e64 v7, v33, v7, s[6:7]
	v_cndmask_b32_e64 v28, v28, v31, s[6:7]
	v_lshlrev_b32_e32 v29, 24, v29
	v_lshlrev_b32_e32 v28, 20, v28
	v_and_b32_e32 v29, 0x80000000, v29
	v_lshl_add_u32 v7, v7, 23, v17
	v_or3_b32 v28, v29, v7, v28
.LBB229_55:                             ;   in Loop: Header=BB229_9 Depth=1
	s_or_b64 exec, exec, s[40:41]
.LBB229_56:                             ;   in Loop: Header=BB229_9 Depth=1
	s_or_b64 exec, exec, s[38:39]
.LBB229_57:                             ;   in Loop: Header=BB229_9 Depth=1
	s_or_b64 exec, exec, s[36:37]
	global_load_ubyte v29, v[5:6], off offset:512
	s_waitcnt vmcnt(0)
	v_cmp_ne_u16_e64 s[6:7], 0, v29
	s_and_saveexec_b64 s[36:37], s[6:7]
	s_cbranch_execz .LBB229_63
; %bb.58:                               ;   in Loop: Header=BB229_9 Depth=1
	v_cmp_ne_u16_e64 s[6:7], s44, v29
	v_bfrev_b32_e32 v27, 1
	s_and_saveexec_b64 s[38:39], s[6:7]
	s_cbranch_execz .LBB229_62
; %bb.59:                               ;   in Loop: Header=BB229_9 Depth=1
	v_and_b32_e32 v7, 0xffff, v29
	v_and_b32_e32 v30, 0x7f, v7
	v_cmp_ne_u32_e64 s[6:7], s45, v30
	v_mov_b32_e32 v27, 0x7f800001
	s_and_saveexec_b64 s[40:41], s[6:7]
	s_cbranch_execz .LBB229_61
; %bb.60:                               ;   in Loop: Header=BB229_9 Depth=1
	v_and_b32_e32 v27, 7, v7
	v_ffbh_u32_e32 v31, v27
	v_min_u32_e32 v34, 32, v31
	v_subrev_u32_e32 v31, 28, v34
	v_lshlrev_b64 v[31:32], v31, v[7:8]
	v_lshrrev_b32_e32 v33, 3, v30
	v_sub_u32_e32 v7, 29, v34
	v_and_b32_e32 v31, 7, v31
	v_cmp_gt_u32_e64 s[6:7], 8, v30
	v_cndmask_b32_e64 v7, v33, v7, s[6:7]
	v_cndmask_b32_e64 v27, v27, v31, s[6:7]
	v_lshlrev_b32_e32 v29, 24, v29
	v_lshlrev_b32_e32 v27, 20, v27
	v_and_b32_e32 v29, 0x80000000, v29
	v_lshl_add_u32 v7, v7, 23, v17
	v_or3_b32 v27, v29, v7, v27
.LBB229_61:                             ;   in Loop: Header=BB229_9 Depth=1
	s_or_b64 exec, exec, s[40:41]
.LBB229_62:                             ;   in Loop: Header=BB229_9 Depth=1
	s_or_b64 exec, exec, s[38:39]
.LBB229_63:                             ;   in Loop: Header=BB229_9 Depth=1
	s_or_b64 exec, exec, s[36:37]
	global_load_ubyte v7, v[5:6], off offset:520
	v_mov_b32_e32 v6, 0
	s_waitcnt vmcnt(0)
	v_cmp_ne_u16_e64 s[6:7], 0, v7
	s_and_saveexec_b64 s[36:37], s[6:7]
	s_cbranch_execz .LBB229_69
; %bb.64:                               ;   in Loop: Header=BB229_9 Depth=1
	v_cmp_ne_u16_e64 s[6:7], s44, v7
	v_bfrev_b32_e32 v6, 1
	s_and_saveexec_b64 s[38:39], s[6:7]
	s_cbranch_execz .LBB229_68
; %bb.65:                               ;   in Loop: Header=BB229_9 Depth=1
	v_and_b32_e32 v5, 0xffff, v7
	v_and_b32_e32 v29, 0x7f, v5
	v_cmp_ne_u32_e64 s[6:7], s45, v29
	v_mov_b32_e32 v6, 0x7f800001
	s_and_saveexec_b64 s[40:41], s[6:7]
	s_cbranch_execz .LBB229_67
; %bb.66:                               ;   in Loop: Header=BB229_9 Depth=1
	v_and_b32_e32 v30, 7, v5
	v_ffbh_u32_e32 v6, v30
	v_min_u32_e32 v32, 32, v6
	v_subrev_u32_e32 v6, 28, v32
	v_lshlrev_b64 v[5:6], v6, v[5:6]
	v_lshrrev_b32_e32 v31, 3, v29
	v_sub_u32_e32 v6, 29, v32
	v_and_b32_e32 v5, 7, v5
	v_cmp_gt_u32_e64 s[6:7], 8, v29
	v_cndmask_b32_e64 v6, v31, v6, s[6:7]
	v_cndmask_b32_e64 v5, v30, v5, s[6:7]
	v_lshlrev_b32_e32 v7, 24, v7
	v_lshlrev_b32_e32 v5, 20, v5
	v_and_b32_e32 v7, 0x80000000, v7
	v_lshl_add_u32 v6, v6, 23, v17
	v_or3_b32 v6, v7, v6, v5
.LBB229_67:                             ;   in Loop: Header=BB229_9 Depth=1
	s_or_b64 exec, exec, s[40:41]
.LBB229_68:                             ;   in Loop: Header=BB229_9 Depth=1
	s_or_b64 exec, exec, s[38:39]
.LBB229_69:                             ;   in Loop: Header=BB229_9 Depth=1
	s_or_b64 exec, exec, s[36:37]
	v_fma_mixlo_f16 v5, v19, v20, 0
	ds_read_u16 v7, v14
	v_and_b32_e32 v20, 0xffff, v5
	s_waitcnt lgkmcnt(0)
	;;#ASMSTART
	v_cvt_f32_f16 v5, v7;
	;;#ASMEND
	;;#ASMSTART
	v_cvt_f32_f16 v7, v20;
	;;#ASMEND
	v_fma_mixlo_f16 v20, v19, v22, 0
	v_and_b32_e32 v22, 0xffff, v20
	ds_read_u16 v29, v14 offset:2
	s_waitcnt lgkmcnt(0)
	;;#ASMSTART
	v_cvt_f32_f16 v20, v29;
	;;#ASMEND
	;;#ASMSTART
	v_cvt_f32_f16 v22, v22;
	;;#ASMEND
	v_fma_mixlo_f16 v21, v19, v21, 0
	v_fma_mixlo_f16 v24, v19, v24, 0
	;; [unrolled: 1-line block ×8, first 2 shown]
	v_mul_f32_e32 v19, v20, v22
	ds_read_u16 v29, v14 offset:4
	v_and_b32_e32 v30, 0xffff, v21
	v_fmac_f32_e32 v19, v5, v7
	s_waitcnt lgkmcnt(0)
	;;#ASMSTART
	v_cvt_f32_f16 v21, v29;
	;;#ASMEND
	;;#ASMSTART
	v_cvt_f32_f16 v29, v30;
	;;#ASMEND
	ds_read_u16 v30, v14 offset:6
	v_and_b32_e32 v31, 0xffff, v24
	v_fmac_f32_e32 v19, v21, v29
	s_waitcnt lgkmcnt(0)
	;;#ASMSTART
	v_cvt_f32_f16 v24, v30;
	;;#ASMEND
	;;#ASMSTART
	v_cvt_f32_f16 v30, v31;
	;;#ASMEND
	;; [unrolled: 10-line block ×4, first 2 shown]
	ds_read_u16 v33, v14 offset:12
	v_fmac_f32_e32 v19, v26, v32
	v_and_b32_e32 v34, 0xffff, v25
	s_waitcnt lgkmcnt(0)
	;;#ASMSTART
	v_cvt_f32_f16 v25, v33;
	;;#ASMEND
	;;#ASMSTART
	v_cvt_f32_f16 v33, v34;
	;;#ASMEND
	v_and_b32_e32 v22, 0xffff, v28
	v_fmac_f32_e32 v19, v25, v33
	ds_read_u16 v34, v14 offset:14
	s_waitcnt lgkmcnt(0)
	;;#ASMSTART
	v_cvt_f32_f16 v20, v34;
	;;#ASMEND
	;;#ASMSTART
	v_cvt_f32_f16 v22, v22;
	;;#ASMEND
	ds_read_u16 v28, v14 offset:16
	s_waitcnt lgkmcnt(0)
	;;#ASMSTART
	v_cvt_f32_f16 v5, v28;
	;;#ASMEND
	v_and_b32_e32 v7, 0xffff, v27
	v_fmac_f32_e32 v19, v20, v22
	v_and_b32_e32 v6, 0xffff, v6
	;;#ASMSTART
	v_cvt_f32_f16 v7, v7;
	;;#ASMEND
	ds_read_u16 v21, v14 offset:18
	v_fmac_f32_e32 v19, v5, v7
	s_waitcnt lgkmcnt(0)
	;;#ASMSTART
	v_cvt_f32_f16 v5, v21;
	;;#ASMEND
	;;#ASMSTART
	v_cvt_f32_f16 v6, v6;
	;;#ASMEND
	v_fmac_f32_e32 v19, v5, v6
	v_and_b32_e32 v6, 64, v9
	v_add_u32_e32 v5, 64, v6
	v_xor_b32_e32 v7, 4, v9
	v_cmp_lt_i32_e64 s[6:7], v7, v5
	v_cndmask_b32_e64 v7, v9, v7, s[6:7]
	v_lshlrev_b32_e32 v7, 2, v7
	ds_bpermute_b32 v7, v7, v19
	s_waitcnt lgkmcnt(0)
	v_add_f32_e32 v7, v19, v7
	v_xor_b32_e32 v19, 2, v9
	v_cmp_lt_i32_e64 s[6:7], v19, v5
	v_cndmask_b32_e64 v19, v9, v19, s[6:7]
	v_lshlrev_b32_e32 v19, 2, v19
	ds_bpermute_b32 v19, v19, v7
	s_waitcnt lgkmcnt(0)
	v_add_f32_e32 v7, v7, v19
	v_xor_b32_e32 v19, 1, v9
	v_cmp_lt_i32_e64 s[6:7], v19, v5
	v_cndmask_b32_e64 v19, v9, v19, s[6:7]
	v_lshlrev_b32_e32 v19, 2, v19
	ds_bpermute_b32 v19, v19, v7
	s_and_saveexec_b64 s[36:37], vcc
	s_cbranch_execz .LBB229_8
; %bb.70:                               ;   in Loop: Header=BB229_9 Depth=1
	v_add_u32_e32 v20, s43, v15
	v_cvt_f32_i32_e32 v20, v20
	s_waitcnt lgkmcnt(0)
	v_add_f32_e32 v7, v7, v19
	v_cmp_gt_i32_e64 s[6:7], s21, v15
	v_max_f32_e32 v19, v10, v10
	v_mul_f32_e32 v20, s10, v20
	v_cndmask_b32_e64 v20, 0, v20, s[4:5]
	v_fmac_f32_e32 v20, s11, v7
	v_cndmask_b32_e64 v7, 0, v20, s[6:7]
	ds_write_b32 v16, v7
	v_max_f32_e32 v7, v19, v20
	v_cndmask_b32_e64 v10, v10, v7, s[6:7]
	s_branch .LBB229_8
.LBB229_71:
	s_or_b64 exec, exec, s[18:19]
.LBB229_72:
	s_or_b64 exec, exec, s[34:35]
	v_xor_b32_e32 v1, 32, v9
	v_cmp_lt_i32_e32 vcc, v1, v5
	v_cndmask_b32_e32 v1, v9, v1, vcc
	v_lshlrev_b32_e32 v2, 2, v1
	ds_bpermute_b32 v1, v2, v10
	v_xor_b32_e32 v4, 16, v9
	v_max_f32_e32 v3, v10, v10
	v_cmp_lt_i32_e32 vcc, v4, v5
	v_xor_b32_e32 v7, 8, v9
	s_waitcnt lgkmcnt(0)
	v_max_f32_e32 v1, v1, v1
	v_max_f32_e32 v1, v3, v1
	v_cndmask_b32_e32 v3, v9, v4, vcc
	v_lshlrev_b32_e32 v4, 2, v3
	ds_bpermute_b32 v3, v4, v1
	v_cmp_lt_i32_e32 vcc, v7, v5
	v_and_b32_e32 v13, 63, v0
	s_waitcnt lgkmcnt(0)
	v_max_f32_e32 v3, v3, v3
	v_max_f32_e32 v3, v1, v3
	v_cndmask_b32_e32 v1, v9, v7, vcc
	v_lshlrev_b32_e32 v10, 2, v1
	ds_bpermute_b32 v7, v10, v3
	v_cmp_eq_u32_e32 vcc, 0, v13
	v_lshlrev_b32_e32 v1, 2, v12
	s_and_saveexec_b64 s[4:5], vcc
	s_cbranch_execz .LBB229_74
; %bb.73:
	s_waitcnt lgkmcnt(0)
	v_max_f32_e32 v7, v7, v7
	v_max_f32_e32 v3, v3, v3
	;; [unrolled: 1-line block ×3, first 2 shown]
	ds_write_b32 v1, v3 offset:160
.LBB229_74:
	s_or_b64 exec, exec, s[4:5]
	v_cmp_gt_u32_e64 s[4:5], 2, v13
	v_mov_b32_e32 v14, 0xff7fffff
	v_lshlrev_b32_e32 v3, 2, v13
	s_waitcnt lgkmcnt(0)
	s_barrier
	s_and_saveexec_b64 s[6:7], s[4:5]
; %bb.75:
	ds_read_b32 v14, v3 offset:160
; %bb.76:
	s_or_b64 exec, exec, s[6:7]
	v_xor_b32_e32 v7, 1, v9
	v_cmp_lt_i32_e64 s[6:7], v7, v5
	v_cndmask_b32_e64 v7, v9, v7, s[6:7]
	v_lshlrev_b32_e32 v7, 2, v7
	s_waitcnt lgkmcnt(0)
	ds_bpermute_b32 v15, v7, v14
	v_max_f32_e32 v14, v14, v14
	v_lshlrev_b32_e32 v6, 2, v6
	s_lshl_b32 s6, s33, 3
	s_min_i32 s34, s6, s21
	s_waitcnt lgkmcnt(0)
	v_max_f32_e32 v15, v15, v15
	v_max_f32_e32 v14, v14, v15
	ds_bpermute_b32 v14, v6, v14
	v_cmp_gt_i32_e64 s[6:7], s34, v0
	v_mov_b32_e32 v6, 0
	s_and_saveexec_b64 s[12:13], s[6:7]
	s_cbranch_execz .LBB229_80
; %bb.77:
	v_mov_b32_e32 v6, 0xb0
	v_lshl_add_u32 v15, v0, 2, v6
	v_mov_b32_e32 v6, 0
	s_mov_b64 s[18:19], 0
	v_mov_b32_e32 v16, v0
.LBB229_78:                             ; =>This Inner Loop Header: Depth=1
	ds_read_b32 v17, v15
	v_add_u32_e32 v16, 0x80, v16
	v_cmp_le_i32_e64 s[10:11], s34, v16
	s_or_b64 s[18:19], s[10:11], s[18:19]
	s_waitcnt lgkmcnt(0)
	v_sub_f32_e32 v17, v17, v14
	v_mul_f32_e32 v17, 0x3fb8aa3b, v17
	v_exp_f32_e32 v17, v17
	ds_write_b32 v15, v17
	v_add_f32_e32 v6, v6, v17
	v_add_u32_e32 v15, 0x200, v15
	s_andn2_b64 exec, exec, s[18:19]
	s_cbranch_execnz .LBB229_78
; %bb.79:
	s_or_b64 exec, exec, s[18:19]
.LBB229_80:
	s_or_b64 exec, exec, s[12:13]
	ds_bpermute_b32 v2, v2, v6
	s_waitcnt lgkmcnt(0)
	v_add_f32_e32 v2, v6, v2
	ds_bpermute_b32 v4, v4, v2
	v_xor_b32_e32 v6, 4, v9
	v_cmp_lt_i32_e64 s[10:11], v6, v5
	v_cndmask_b32_e64 v6, v9, v6, s[10:11]
	v_lshlrev_b32_e32 v6, 2, v6
	s_waitcnt lgkmcnt(0)
	v_add_f32_e32 v2, v2, v4
	ds_bpermute_b32 v4, v10, v2
	s_waitcnt lgkmcnt(0)
	v_add_f32_e32 v2, v2, v4
	ds_bpermute_b32 v4, v6, v2
	v_xor_b32_e32 v6, 2, v9
	v_cmp_lt_i32_e64 s[10:11], v6, v5
	v_cndmask_b32_e64 v5, v9, v6, s[10:11]
	s_waitcnt lgkmcnt(0)
	v_add_f32_e32 v2, v2, v4
	v_lshlrev_b32_e32 v4, 2, v5
	ds_bpermute_b32 v4, v4, v2
	s_waitcnt lgkmcnt(0)
	v_add_f32_e32 v2, v2, v4
	ds_bpermute_b32 v4, v7, v2
	s_waitcnt lgkmcnt(0)
	v_add_f32_e32 v2, v2, v4
	s_and_saveexec_b64 s[10:11], vcc
; %bb.81:
	ds_write_b32 v1, v2 offset:168
; %bb.82:
	s_or_b64 exec, exec, s[10:11]
	s_waitcnt lgkmcnt(0)
	s_barrier
	s_and_saveexec_b64 s[10:11], s[4:5]
; %bb.83:
	ds_read_b32 v2, v3 offset:168
; %bb.84:
	s_or_b64 exec, exec, s[10:11]
	s_waitcnt lgkmcnt(0)
	ds_bpermute_b32 v1, v7, v2
	v_lshlrev_b32_e32 v3, 2, v9
	s_waitcnt lgkmcnt(0)
	v_add_f32_e32 v1, v2, v1
	v_and_b32_e32 v2, 0xffffff00, v3
	ds_bpermute_b32 v1, v2, v1
	s_and_saveexec_b64 s[4:5], s[6:7]
	s_cbranch_execz .LBB229_87
; %bb.85:
	s_waitcnt lgkmcnt(0)
	v_add_f32_e32 v2, 0x358637bd, v1
	v_div_scale_f32 v1, s[6:7], v2, v2, 1.0
	v_div_scale_f32 v3, vcc, 1.0, v2, 1.0
	s_mov_b64 s[6:7], 0
	v_rcp_f32_e32 v4, v1
	v_fma_f32 v5, -v1, v4, 1.0
	v_fmac_f32_e32 v4, v5, v4
	v_mul_f32_e32 v5, v3, v4
	v_fma_f32 v6, -v1, v5, v3
	v_fmac_f32_e32 v5, v6, v4
	v_fma_f32 v1, -v1, v5, v3
	v_div_fmas_f32 v3, v1, v4, v5
	v_mov_b32_e32 v1, 0xb0
	v_lshl_add_u32 v1, v0, 2, v1
	v_div_fixup_f32 v2, v3, v2, 1.0
	v_mov_b32_e32 v3, v0
.LBB229_86:                             ; =>This Inner Loop Header: Depth=1
	ds_read_b32 v4, v1
	v_add_u32_e32 v3, 0x80, v3
	v_cmp_le_i32_e32 vcc, s34, v3
	s_or_b64 s[6:7], vcc, s[6:7]
	s_waitcnt lgkmcnt(0)
	v_mul_f32_e32 v4, v2, v4
	ds_write_b32 v1, v4
	v_add_u32_e32 v1, 0x200, v1
	s_andn2_b64 exec, exec, s[6:7]
	s_cbranch_execnz .LBB229_86
.LBB229_87:
	s_or_b64 exec, exec, s[4:5]
	v_mov_b32_e32 v15, 0
	v_mov_b32_e32 v14, 0
	s_waitcnt lgkmcnt(0)
	s_barrier
	s_and_saveexec_b64 s[6:7], s[2:3]
	s_cbranch_execz .LBB229_193
; %bb.88:
	s_ashr_i32 s2, s16, 31
	s_add_u32 s4, s30, s16
	s_addc_u32 s5, s31, s2
	v_or_b32_e32 v1, 64, v13
	s_movk_i32 s2, 0x50
	s_add_i32 s30, s33, -1
	v_cmp_gt_u32_e32 vcc, s2, v1
	s_lshl_b64 s[2:3], s[28:29], 2
	v_lshlrev_b32_e32 v17, 3, v1
	v_mov_b32_e32 v1, 0xb0
	s_add_u32 s2, s26, s2
	v_lshl_add_u32 v19, v12, 5, v1
	v_and_b32_e32 v1, 60, v8
	s_addc_u32 s3, s27, s3
	s_mov_b32 s10, -1
	v_mov_b32_e32 v4, s3
	v_add_co_u32_e64 v3, s[2:3], s2, v1
	v_mov_b32_e32 v6, s5
	s_mov_b32 s34, s17
	s_mov_b32 s11, 0xffffff
	v_lshlrev_b32_e32 v16, 3, v13
	v_mov_b32_e32 v2, 0
	v_lshl_or_b32 v18, v12, 3, 7
	v_addc_co_u32_e64 v4, s[2:3], 0, v4, s[2:3]
	s_mov_b64 s[12:13], 0
	v_mov_b32_e32 v5, s4
	s_movk_i32 s31, 0x80
	s_movk_i32 s35, 0x7f
	s_mov_b32 s36, 0x8000
	v_mov_b32_e32 v20, 0x2000
	v_mov_b32_e32 v14, 0
	;; [unrolled: 1-line block ×3, first 2 shown]
	s_branch .LBB229_91
.LBB229_89:                             ;   in Loop: Header=BB229_91 Depth=1
	s_or_b64 exec, exec, s[4:5]
	;;#ASMSTART
	v_pk_mul_f16 v7, v25, v7;

	;;#ASMEND
	;;#ASMSTART
	v_pk_mul_f16 v1, v24, v1;

	;;#ASMEND
	;; [unrolled: 4-line block ×4, first 2 shown]
	;;#ASMSTART
	v_pk_add_f16 v1, v7, v1;

	;;#ASMEND
	;;#ASMSTART
	v_pk_add_f16 v1, v1, v8;

	;;#ASMEND
	;;#ASMSTART
	v_pk_add_f16 v1, v1, v9;

	;;#ASMEND
	v_lshrrev_b32_e32 v7, 16, v1
	v_and_b32_e32 v1, 0xffff, v1
	;;#ASMSTART
	v_cvt_f32_f16 v1, v1;
	;;#ASMEND
	;;#ASMSTART
	v_cvt_f32_f16 v7, v7;
	;;#ASMEND
	v_add_f32_e32 v1, v1, v7
	v_add_f32_e32 v14, v14, v1
.LBB229_90:                             ;   in Loop: Header=BB229_91 Depth=1
	s_or_b64 exec, exec, s[16:17]
	v_add_u32_e32 v12, 2, v12
	v_cmp_le_i32_e64 s[2:3], s33, v12
	v_add_f32_e32 v1, v10, v21
	s_or_b64 s[12:13], s[2:3], s[12:13]
	v_add_co_u32_e64 v3, s[2:3], 8, v3
	v_add_f32_e32 v15, v15, v1
	v_add_u32_e32 v18, 16, v18
	v_add_u32_e32 v19, 64, v19
	v_addc_co_u32_e64 v4, s[2:3], 0, v4, s[2:3]
	s_andn2_b64 exec, exec, s[12:13]
	s_cbranch_execz .LBB229_192
.LBB229_91:                             ; =>This Inner Loop Header: Depth=1
	global_load_dword v1, v[3:4], off
	ds_read2_b64 v[7:10], v19 offset1:1
	ds_read2_b64 v[26:29], v19 offset0:2 offset1:3
	s_waitcnt lgkmcnt(1)
	;;#ASMSTART
	v_cvt_f16_f32 v21, v7;

	;;#ASMEND
	;;#ASMSTART
	v_cvt_f16_f32 v22, v8;

	;;#ASMEND
	;; [unrolled: 4-line block ×4, first 2 shown]
	s_waitcnt lgkmcnt(0)
	;;#ASMSTART
	v_cvt_f16_f32 v26, v26;

	;;#ASMEND
	;;#ASMSTART
	v_cvt_f16_f32 v27, v27;

	;;#ASMEND
	;; [unrolled: 4-line block ×4, first 2 shown]
	s_waitcnt vmcnt(0)
	v_mad_i64_i32 v[7:8], s[2:3], v1, s34, v[5:6]
	v_add_co_u32_e64 v30, s[2:3], v7, v16
	v_addc_co_u32_e64 v31, s[2:3], 0, v8, s[2:3]
	global_load_dwordx2 v[9:10], v[30:31], off
	global_load_dword v25, v2, s[14:15]
	v_mov_b32_e32 v30, 0
	s_waitcnt vmcnt(1)
	v_cmp_ne_u16_sdwa s[2:3], v9, v2 src0_sel:BYTE_0 src1_sel:DWORD
	s_and_saveexec_b64 s[4:5], s[2:3]
	s_cbranch_execz .LBB229_97
; %bb.92:                               ;   in Loop: Header=BB229_91 Depth=1
	v_cmp_ne_u16_sdwa s[2:3], v9, s31 src0_sel:BYTE_0 src1_sel:DWORD
	v_mov_b32_e32 v30, 0x8000
	s_and_saveexec_b64 s[16:17], s[2:3]
	s_cbranch_execz .LBB229_96
; %bb.93:                               ;   in Loop: Header=BB229_91 Depth=1
	v_and_b32_e32 v1, 0x7f, v9
	v_cmp_ne_u32_e64 s[2:3], s35, v1
	v_mov_b32_e32 v30, 0x7c01
	s_and_saveexec_b64 s[18:19], s[2:3]
	s_cbranch_execz .LBB229_95
; %bb.94:                               ;   in Loop: Header=BB229_91 Depth=1
	v_and_b32_e32 v32, 7, v9
	v_ffbh_u32_e32 v30, v32
	v_min_u32_e32 v34, 32, v30
	v_subrev_u32_e32 v30, 28, v34
	v_lshlrev_b64 v[30:31], v30, v[9:10]
	v_lshrrev_b32_e32 v33, 3, v1
	v_sub_u32_e32 v31, 29, v34
	v_cmp_gt_u32_e64 s[2:3], 8, v1
	v_cndmask_b32_e64 v1, v33, v31, s[2:3]
	v_lshl_add_u32 v1, v1, 10, v20
	v_lshlrev_b32_e32 v31, 8, v9
	v_and_b32_e32 v30, 7, v30
	v_and_b32_e32 v1, 0xfc00, v1
	v_cndmask_b32_e64 v30, v32, v30, s[2:3]
	v_and_or_b32 v1, v31, s36, v1
	v_lshl_or_b32 v30, v30, 7, v1
.LBB229_95:                             ;   in Loop: Header=BB229_91 Depth=1
	s_or_b64 exec, exec, s[18:19]
.LBB229_96:                             ;   in Loop: Header=BB229_91 Depth=1
	s_or_b64 exec, exec, s[16:17]
.LBB229_97:                             ;   in Loop: Header=BB229_91 Depth=1
	s_or_b64 exec, exec, s[4:5]
	v_lshrrev_b16_e32 v1, 8, v9
	v_cmp_ne_u16_e64 s[2:3], 0, v1
	v_mov_b32_e32 v32, 0
	v_mov_b32_e32 v31, 0
	s_and_saveexec_b64 s[4:5], s[2:3]
	s_cbranch_execz .LBB229_103
; %bb.98:                               ;   in Loop: Header=BB229_91 Depth=1
	v_cmp_ne_u16_e64 s[2:3], s31, v1
	v_bfrev_b32_e32 v31, 1
	s_and_saveexec_b64 s[16:17], s[2:3]
	s_cbranch_execz .LBB229_102
; %bb.99:                               ;   in Loop: Header=BB229_91 Depth=1
	v_and_b32_e32 v33, 0x7f, v1
	v_cmp_ne_u32_e64 s[2:3], s35, v33
	v_mov_b32_e32 v31, 0x7c010000
	s_and_saveexec_b64 s[18:19], s[2:3]
	s_cbranch_execz .LBB229_101
; %bb.100:                              ;   in Loop: Header=BB229_91 Depth=1
	v_and_b32_e32 v31, 7, v1
	v_ffbh_u32_e32 v34, v31
	v_min_u32_e32 v37, 32, v34
	v_subrev_u32_e32 v34, 28, v37
	v_lshlrev_b64 v[34:35], v34, v[1:2]
	v_lshrrev_b32_e32 v36, 3, v33
	v_sub_u32_e32 v35, 29, v37
	v_cmp_gt_u32_e64 s[2:3], 8, v33
	v_cndmask_b32_e64 v33, v36, v35, s[2:3]
	v_lshlrev_b32_e32 v1, 8, v1
	v_lshl_add_u32 v33, v33, 10, v20
	v_and_b32_e32 v34, 7, v34
	v_and_or_b32 v1, v1, s36, v33
	v_cndmask_b32_e64 v31, v31, v34, s[2:3]
	v_lshlrev_b32_e32 v1, 16, v1
	v_lshl_or_b32 v31, v31, 23, v1
.LBB229_101:                            ;   in Loop: Header=BB229_91 Depth=1
	s_or_b64 exec, exec, s[18:19]
.LBB229_102:                            ;   in Loop: Header=BB229_91 Depth=1
	s_or_b64 exec, exec, s[16:17]
.LBB229_103:                            ;   in Loop: Header=BB229_91 Depth=1
	s_or_b64 exec, exec, s[4:5]
	v_lshrrev_b32_e32 v1, 16, v9
	v_cmp_ne_u16_sdwa s[2:3], v1, v2 src0_sel:BYTE_0 src1_sel:DWORD
	s_and_saveexec_b64 s[4:5], s[2:3]
	s_cbranch_execz .LBB229_109
; %bb.104:                              ;   in Loop: Header=BB229_91 Depth=1
	v_cmp_ne_u16_sdwa s[2:3], v1, s31 src0_sel:BYTE_0 src1_sel:DWORD
	v_mov_b32_e32 v32, 0x8000
	s_and_saveexec_b64 s[16:17], s[2:3]
	s_cbranch_execz .LBB229_108
; %bb.105:                              ;   in Loop: Header=BB229_91 Depth=1
	v_bfe_u32 v33, v9, 16, 7
	v_cmp_ne_u32_e64 s[2:3], s35, v33
	v_mov_b32_e32 v32, 0x7c01
	s_and_saveexec_b64 s[18:19], s[2:3]
	s_cbranch_execz .LBB229_107
; %bb.106:                              ;   in Loop: Header=BB229_91 Depth=1
	v_and_b32_e32 v32, 7, v1
	v_ffbh_u32_e32 v34, v32
	v_min_u32_e32 v37, 32, v34
	v_subrev_u32_e32 v34, 28, v37
	v_lshlrev_b64 v[34:35], v34, v[1:2]
	v_lshrrev_b32_e32 v36, 3, v33
	v_sub_u32_e32 v35, 29, v37
	v_cmp_gt_u32_e64 s[2:3], 8, v33
	v_cndmask_b32_e64 v33, v36, v35, s[2:3]
	v_lshl_add_u32 v33, v33, 10, v20
	v_lshlrev_b32_e32 v1, 8, v1
	v_and_b32_e32 v34, 7, v34
	v_and_b32_e32 v33, 0xfc00, v33
	v_cndmask_b32_e64 v32, v32, v34, s[2:3]
	v_and_or_b32 v1, v1, s36, v33
	v_lshl_or_b32 v32, v32, 7, v1
.LBB229_107:                            ;   in Loop: Header=BB229_91 Depth=1
	s_or_b64 exec, exec, s[18:19]
.LBB229_108:                            ;   in Loop: Header=BB229_91 Depth=1
	s_or_b64 exec, exec, s[16:17]
.LBB229_109:                            ;   in Loop: Header=BB229_91 Depth=1
	s_or_b64 exec, exec, s[4:5]
	v_cmp_lt_u32_e64 s[2:3], s11, v9
	v_mov_b32_e32 v33, 0
	v_mov_b32_e32 v34, 0
	s_and_saveexec_b64 s[4:5], s[2:3]
	s_cbranch_execz .LBB229_115
; %bb.110:                              ;   in Loop: Header=BB229_91 Depth=1
	v_lshrrev_b32_e32 v1, 24, v9
	v_cmp_ne_u32_e64 s[2:3], s31, v1
	v_bfrev_b32_e32 v34, 1
	s_and_saveexec_b64 s[16:17], s[2:3]
	s_cbranch_execz .LBB229_114
; %bb.111:                              ;   in Loop: Header=BB229_91 Depth=1
	v_and_b32_e32 v35, 0x7f, v1
	v_cmp_ne_u32_e64 s[2:3], s35, v35
	v_mov_b32_e32 v34, 0x7c010000
	s_and_saveexec_b64 s[18:19], s[2:3]
	s_cbranch_execz .LBB229_113
; %bb.112:                              ;   in Loop: Header=BB229_91 Depth=1
	v_and_b32_e32 v34, 7, v1
	v_ffbh_u32_e32 v36, v34
	v_min_u32_e32 v39, 32, v36
	v_subrev_u32_e32 v36, 28, v39
	v_lshlrev_b64 v[36:37], v36, v[1:2]
	v_lshrrev_b32_e32 v38, 3, v35
	v_sub_u32_e32 v37, 29, v39
	v_cmp_gt_u32_e64 s[2:3], 8, v35
	v_cndmask_b32_e64 v35, v38, v37, s[2:3]
	v_lshlrev_b32_e32 v1, 8, v1
	v_lshl_add_u32 v35, v35, 10, v20
	v_and_b32_e32 v36, 7, v36
	v_and_or_b32 v1, v1, s36, v35
	v_cndmask_b32_e64 v34, v34, v36, s[2:3]
	v_lshlrev_b32_e32 v1, 16, v1
	v_lshl_or_b32 v34, v34, 23, v1
.LBB229_113:                            ;   in Loop: Header=BB229_91 Depth=1
	s_or_b64 exec, exec, s[18:19]
.LBB229_114:                            ;   in Loop: Header=BB229_91 Depth=1
	s_or_b64 exec, exec, s[16:17]
.LBB229_115:                            ;   in Loop: Header=BB229_91 Depth=1
	s_or_b64 exec, exec, s[4:5]
	v_mov_b32_e32 v1, v10
	v_cmp_ne_u16_sdwa s[2:3], v10, v2 src0_sel:BYTE_0 src1_sel:DWORD
	s_and_saveexec_b64 s[4:5], s[2:3]
	s_cbranch_execz .LBB229_121
; %bb.116:                              ;   in Loop: Header=BB229_91 Depth=1
	v_cmp_ne_u16_sdwa s[2:3], v10, s31 src0_sel:BYTE_0 src1_sel:DWORD
	v_mov_b32_e32 v33, 0x8000
	s_and_saveexec_b64 s[16:17], s[2:3]
	s_cbranch_execz .LBB229_120
; %bb.117:                              ;   in Loop: Header=BB229_91 Depth=1
	v_and_b32_e32 v35, 0x7f, v10
	v_cmp_ne_u32_e64 s[2:3], s35, v35
	v_mov_b32_e32 v33, 0x7c01
	s_and_saveexec_b64 s[18:19], s[2:3]
	s_cbranch_execz .LBB229_119
; %bb.118:                              ;   in Loop: Header=BB229_91 Depth=1
	v_and_b32_e32 v33, 7, v10
	v_ffbh_u32_e32 v36, v33
	v_min_u32_e32 v39, 32, v36
	v_subrev_u32_e32 v36, 28, v39
	v_lshlrev_b64 v[36:37], v36, v[1:2]
	v_lshrrev_b32_e32 v38, 3, v35
	v_sub_u32_e32 v37, 29, v39
	v_cmp_gt_u32_e64 s[2:3], 8, v35
	v_cndmask_b32_e64 v35, v38, v37, s[2:3]
	v_lshl_add_u32 v35, v35, 10, v20
	v_lshlrev_b32_e32 v37, 8, v10
	v_and_b32_e32 v36, 7, v36
	v_and_b32_e32 v35, 0xfc00, v35
	v_cndmask_b32_e64 v33, v33, v36, s[2:3]
	v_and_or_b32 v35, v37, s36, v35
	v_lshl_or_b32 v33, v33, 7, v35
.LBB229_119:                            ;   in Loop: Header=BB229_91 Depth=1
	s_or_b64 exec, exec, s[18:19]
.LBB229_120:                            ;   in Loop: Header=BB229_91 Depth=1
	s_or_b64 exec, exec, s[16:17]
.LBB229_121:                            ;   in Loop: Header=BB229_91 Depth=1
	s_or_b64 exec, exec, s[4:5]
	v_lshrrev_b16_e32 v1, 8, v1
	v_cmp_ne_u16_e64 s[2:3], 0, v1
	v_mov_b32_e32 v35, 0
	v_mov_b32_e32 v36, 0
	s_and_saveexec_b64 s[4:5], s[2:3]
	s_cbranch_execz .LBB229_127
; %bb.122:                              ;   in Loop: Header=BB229_91 Depth=1
	v_cmp_ne_u16_e64 s[2:3], s31, v1
	v_bfrev_b32_e32 v36, 1
	s_and_saveexec_b64 s[16:17], s[2:3]
	s_cbranch_execz .LBB229_126
; %bb.123:                              ;   in Loop: Header=BB229_91 Depth=1
	v_and_b32_e32 v37, 0x7f, v1
	v_cmp_ne_u32_e64 s[2:3], s35, v37
	v_mov_b32_e32 v36, 0x7c010000
	s_and_saveexec_b64 s[18:19], s[2:3]
	s_cbranch_execz .LBB229_125
; %bb.124:                              ;   in Loop: Header=BB229_91 Depth=1
	v_and_b32_e32 v36, 7, v1
	v_ffbh_u32_e32 v38, v36
	v_min_u32_e32 v41, 32, v38
	v_subrev_u32_e32 v38, 28, v41
	v_lshlrev_b64 v[38:39], v38, v[1:2]
	v_lshrrev_b32_e32 v40, 3, v37
	v_sub_u32_e32 v39, 29, v41
	v_cmp_gt_u32_e64 s[2:3], 8, v37
	v_cndmask_b32_e64 v37, v40, v39, s[2:3]
	v_lshlrev_b32_e32 v1, 8, v1
	v_lshl_add_u32 v37, v37, 10, v20
	v_and_b32_e32 v38, 7, v38
	v_and_or_b32 v1, v1, s36, v37
	v_cndmask_b32_e64 v36, v36, v38, s[2:3]
	v_lshlrev_b32_e32 v1, 16, v1
	v_lshl_or_b32 v36, v36, 23, v1
.LBB229_125:                            ;   in Loop: Header=BB229_91 Depth=1
	s_or_b64 exec, exec, s[18:19]
.LBB229_126:                            ;   in Loop: Header=BB229_91 Depth=1
	s_or_b64 exec, exec, s[16:17]
.LBB229_127:                            ;   in Loop: Header=BB229_91 Depth=1
	s_or_b64 exec, exec, s[4:5]
	v_lshrrev_b32_e32 v1, 16, v10
	v_cmp_ne_u16_sdwa s[2:3], v1, v2 src0_sel:BYTE_0 src1_sel:DWORD
	s_and_saveexec_b64 s[4:5], s[2:3]
	s_cbranch_execz .LBB229_133
; %bb.128:                              ;   in Loop: Header=BB229_91 Depth=1
	v_cmp_ne_u16_sdwa s[2:3], v1, s31 src0_sel:BYTE_0 src1_sel:DWORD
	v_mov_b32_e32 v35, 0x8000
	s_and_saveexec_b64 s[16:17], s[2:3]
	s_cbranch_execz .LBB229_132
; %bb.129:                              ;   in Loop: Header=BB229_91 Depth=1
	v_bfe_u32 v37, v10, 16, 7
	v_cmp_ne_u32_e64 s[2:3], s35, v37
	v_mov_b32_e32 v35, 0x7c01
	s_and_saveexec_b64 s[18:19], s[2:3]
	s_cbranch_execz .LBB229_131
; %bb.130:                              ;   in Loop: Header=BB229_91 Depth=1
	v_and_b32_e32 v35, 7, v1
	v_ffbh_u32_e32 v38, v35
	v_min_u32_e32 v41, 32, v38
	v_subrev_u32_e32 v38, 28, v41
	v_lshlrev_b64 v[38:39], v38, v[1:2]
	v_lshrrev_b32_e32 v40, 3, v37
	v_sub_u32_e32 v39, 29, v41
	v_cmp_gt_u32_e64 s[2:3], 8, v37
	v_cndmask_b32_e64 v37, v40, v39, s[2:3]
	v_lshl_add_u32 v37, v37, 10, v20
	v_lshlrev_b32_e32 v1, 8, v1
	v_and_b32_e32 v38, 7, v38
	v_and_b32_e32 v37, 0xfc00, v37
	v_cndmask_b32_e64 v35, v35, v38, s[2:3]
	v_and_or_b32 v1, v1, s36, v37
	v_lshl_or_b32 v35, v35, 7, v1
.LBB229_131:                            ;   in Loop: Header=BB229_91 Depth=1
	s_or_b64 exec, exec, s[18:19]
.LBB229_132:                            ;   in Loop: Header=BB229_91 Depth=1
	s_or_b64 exec, exec, s[16:17]
.LBB229_133:                            ;   in Loop: Header=BB229_91 Depth=1
	s_or_b64 exec, exec, s[4:5]
	v_cmp_lt_u64_e64 s[2:3], s[10:11], v[9:10]
	v_mov_b32_e32 v37, 0
	s_and_saveexec_b64 s[4:5], s[2:3]
	s_cbranch_execz .LBB229_139
; %bb.134:                              ;   in Loop: Header=BB229_91 Depth=1
	v_lshrrev_b32_e32 v1, 24, v10
	v_cmp_ne_u32_e64 s[2:3], s31, v1
	v_bfrev_b32_e32 v37, 1
	s_and_saveexec_b64 s[16:17], s[2:3]
	s_cbranch_execz .LBB229_138
; %bb.135:                              ;   in Loop: Header=BB229_91 Depth=1
	v_and_b32_e32 v9, 0x7f, v1
	v_cmp_ne_u32_e64 s[2:3], s35, v9
	v_mov_b32_e32 v37, 0x7c010000
	s_and_saveexec_b64 s[18:19], s[2:3]
	s_cbranch_execz .LBB229_137
; %bb.136:                              ;   in Loop: Header=BB229_91 Depth=1
	v_and_b32_e32 v10, 7, v1
	v_ffbh_u32_e32 v37, v10
	v_min_u32_e32 v40, 32, v37
	v_subrev_u32_e32 v37, 28, v40
	v_lshlrev_b64 v[37:38], v37, v[1:2]
	v_lshrrev_b32_e32 v39, 3, v9
	v_sub_u32_e32 v38, 29, v40
	v_cmp_gt_u32_e64 s[2:3], 8, v9
	v_cndmask_b32_e64 v9, v39, v38, s[2:3]
	v_lshlrev_b32_e32 v1, 8, v1
	v_lshl_add_u32 v9, v9, 10, v20
	v_and_b32_e32 v37, 7, v37
	v_and_or_b32 v1, v1, s36, v9
	v_cndmask_b32_e64 v10, v10, v37, s[2:3]
	v_lshlrev_b32_e32 v1, 16, v1
	v_lshl_or_b32 v37, v10, 23, v1
.LBB229_137:                            ;   in Loop: Header=BB229_91 Depth=1
	s_or_b64 exec, exec, s[18:19]
.LBB229_138:                            ;   in Loop: Header=BB229_91 Depth=1
	s_or_b64 exec, exec, s[16:17]
.LBB229_139:                            ;   in Loop: Header=BB229_91 Depth=1
	s_or_b64 exec, exec, s[4:5]
	s_waitcnt vmcnt(0)
	v_fma_mixlo_f16 v10, v25, v34, 0 op_sel:[0,1,0] op_sel_hi:[0,1,0]
	v_or_b32_e32 v1, v34, v32
	v_lshlrev_b32_e32 v32, 16, v10
	v_or_b32_e32 v10, v31, v30
	v_fma_mixlo_f16 v30, v25, v31, 0 op_sel:[0,1,0] op_sel_hi:[0,1,0]
	v_lshlrev_b32_e32 v38, 16, v30
	v_or_b32_e32 v30, v36, v33
	v_or_b32_e32 v33, v37, v35
	v_fma_mixlo_f16 v1, v25, v1, 0 op_sel_hi:[0,1,0]
	v_fma_mixlo_f16 v10, v25, v10, 0 op_sel_hi:[0,1,0]
	v_fma_mixlo_f16 v31, v25, v36, 0 op_sel:[0,1,0] op_sel_hi:[0,1,0]
	v_fma_mixlo_f16 v30, v25, v30, 0 op_sel_hi:[0,1,0]
	v_fma_mixlo_f16 v33, v25, v33, 0 op_sel_hi:[0,1,0]
	v_fma_mixlo_f16 v25, v25, v37, 0 op_sel:[0,1,0] op_sel_hi:[0,1,0]
	v_and_b32_e32 v34, 0xffff, v1
	v_and_b32_e32 v39, 0xffff, v10
	v_lshlrev_b32_e32 v31, 16, v31
	v_and_b32_e32 v36, 0xffff, v30
	v_lshlrev_b32_e32 v25, 16, v25
	v_and_b32_e32 v33, 0xffff, v33
	v_add_u32_e32 v9, -7, v18
	v_cmp_eq_u32_e64 s[2:3], s30, v12
	v_or_b32_e32 v1, v32, v34
	v_or_b32_e32 v10, v38, v39
	;; [unrolled: 1-line block ×4, first 2 shown]
	s_and_saveexec_b64 s[16:17], s[2:3]
	s_cbranch_execz .LBB229_141
; %bb.140:                              ;   in Loop: Header=BB229_91 Depth=1
	v_cmp_gt_i32_e64 s[4:5], s21, v9
	v_add_u32_e32 v10, -6, v18
	v_cndmask_b32_e64 v1, 0, v39, s[4:5]
	v_cmp_gt_i32_e64 s[4:5], s21, v10
	v_cndmask_b32_e64 v10, 0, v38, s[4:5]
	v_or_b32_e32 v10, v10, v1
	v_add_u32_e32 v1, -5, v18
	v_cmp_gt_i32_e64 s[4:5], s21, v1
	v_add_u32_e32 v30, -4, v18
	v_cndmask_b32_e64 v1, 0, v34, s[4:5]
	v_cmp_gt_i32_e64 s[4:5], s21, v30
	v_cndmask_b32_e64 v30, 0, v32, s[4:5]
	v_or_b32_e32 v1, v30, v1
	v_add_u32_e32 v30, -3, v18
	;; [unrolled: 7-line block ×3, first 2 shown]
	v_cmp_gt_i32_e64 s[4:5], s21, v31
	v_cndmask_b32_e64 v31, 0, v33, s[4:5]
	v_cmp_gt_i32_e64 s[4:5], s21, v18
	v_cndmask_b32_e64 v25, 0, v25, s[4:5]
	v_or_b32_e32 v35, v25, v31
.LBB229_141:                            ;   in Loop: Header=BB229_91 Depth=1
	s_or_b64 exec, exec, s[16:17]
	v_and_b32_e32 v21, 0xffff, v21
	v_lshl_or_b32 v25, v22, 16, v21
	v_and_b32_e32 v21, 0xffff, v23
	v_lshl_or_b32 v24, v24, 16, v21
	;; [unrolled: 2-line block ×3, first 2 shown]
	v_and_b32_e32 v21, 0xffff, v28
	;;#ASMSTART
	v_pk_mul_f16 v10, v25, v10;

	;;#ASMEND
	;;#ASMSTART
	v_pk_mul_f16 v1, v24, v1;

	;;#ASMEND
	v_lshl_or_b32 v22, v29, 16, v21
	;;#ASMSTART
	v_pk_mul_f16 v21, v23, v30;

	;;#ASMEND
	;;#ASMSTART
	v_pk_mul_f16 v26, v22, v35;

	;;#ASMEND
	;;#ASMSTART
	v_pk_add_f16 v1, v10, v1;

	;;#ASMEND
	;;#ASMSTART
	v_pk_add_f16 v1, v1, v21;
	;; [unrolled: 4-line block ×3, first 2 shown]

	;;#ASMEND
	v_lshrrev_b32_e32 v21, 16, v1
	v_and_b32_e32 v1, 0xffff, v1
	;;#ASMSTART
	v_cvt_f32_f16 v10, v1;
	;;#ASMEND
	;;#ASMSTART
	v_cvt_f32_f16 v21, v21;
	;;#ASMEND
	s_and_saveexec_b64 s[16:17], vcc
	s_cbranch_execz .LBB229_90
; %bb.142:                              ;   in Loop: Header=BB229_91 Depth=1
	v_add_co_u32_e64 v7, s[4:5], v7, v17
	v_addc_co_u32_e64 v8, s[4:5], 0, v8, s[4:5]
	global_load_dwordx2 v[7:8], v[7:8], off
	v_mov_b32_e32 v27, 0
	global_load_dword v26, v27, s[14:15]
	v_mov_b32_e32 v28, 0
	s_waitcnt vmcnt(1)
	v_cmp_ne_u16_sdwa s[4:5], v7, v2 src0_sel:BYTE_0 src1_sel:DWORD
	s_and_saveexec_b64 s[18:19], s[4:5]
	s_cbranch_execz .LBB229_148
; %bb.143:                              ;   in Loop: Header=BB229_91 Depth=1
	v_cmp_ne_u16_sdwa s[4:5], v7, s31 src0_sel:BYTE_0 src1_sel:DWORD
	v_mov_b32_e32 v28, 0x8000
	s_and_saveexec_b64 s[26:27], s[4:5]
	s_cbranch_execz .LBB229_147
; %bb.144:                              ;   in Loop: Header=BB229_91 Depth=1
	v_and_b32_e32 v1, 0x7f, v7
	v_cmp_ne_u32_e64 s[4:5], s35, v1
	v_mov_b32_e32 v28, 0x7c01
	s_and_saveexec_b64 s[28:29], s[4:5]
	s_cbranch_execz .LBB229_146
; %bb.145:                              ;   in Loop: Header=BB229_91 Depth=1
	v_and_b32_e32 v30, 7, v7
	v_ffbh_u32_e32 v28, v30
	v_min_u32_e32 v32, 32, v28
	v_subrev_u32_e32 v28, 28, v32
	v_lshlrev_b64 v[28:29], v28, v[7:8]
	v_lshrrev_b32_e32 v31, 3, v1
	v_sub_u32_e32 v29, 29, v32
	v_cmp_gt_u32_e64 s[4:5], 8, v1
	v_cndmask_b32_e64 v1, v31, v29, s[4:5]
	v_lshl_add_u32 v1, v1, 10, v20
	v_lshlrev_b32_e32 v29, 8, v7
	v_and_b32_e32 v28, 7, v28
	v_and_b32_e32 v1, 0xfc00, v1
	v_cndmask_b32_e64 v28, v30, v28, s[4:5]
	v_and_or_b32 v1, v29, s36, v1
	v_lshl_or_b32 v28, v28, 7, v1
.LBB229_146:                            ;   in Loop: Header=BB229_91 Depth=1
	s_or_b64 exec, exec, s[28:29]
.LBB229_147:                            ;   in Loop: Header=BB229_91 Depth=1
	s_or_b64 exec, exec, s[26:27]
.LBB229_148:                            ;   in Loop: Header=BB229_91 Depth=1
	s_or_b64 exec, exec, s[18:19]
	v_lshrrev_b16_e32 v1, 8, v7
	v_cmp_ne_u16_e64 s[4:5], 0, v1
	s_and_saveexec_b64 s[18:19], s[4:5]
	s_cbranch_execz .LBB229_154
; %bb.149:                              ;   in Loop: Header=BB229_91 Depth=1
	v_cmp_ne_u16_e64 s[4:5], s31, v1
	v_bfrev_b32_e32 v27, 1
	s_and_saveexec_b64 s[26:27], s[4:5]
	s_cbranch_execz .LBB229_153
; %bb.150:                              ;   in Loop: Header=BB229_91 Depth=1
	v_and_b32_e32 v29, 0x7f, v1
	v_cmp_ne_u32_e64 s[4:5], s35, v29
	v_mov_b32_e32 v27, 0x7c010000
	s_and_saveexec_b64 s[28:29], s[4:5]
	s_cbranch_execz .LBB229_152
; %bb.151:                              ;   in Loop: Header=BB229_91 Depth=1
	v_and_b32_e32 v27, 7, v1
	v_ffbh_u32_e32 v30, v27
	v_min_u32_e32 v33, 32, v30
	v_subrev_u32_e32 v30, 28, v33
	v_lshlrev_b64 v[30:31], v30, v[1:2]
	v_lshrrev_b32_e32 v32, 3, v29
	v_sub_u32_e32 v31, 29, v33
	v_cmp_gt_u32_e64 s[4:5], 8, v29
	v_cndmask_b32_e64 v29, v32, v31, s[4:5]
	v_lshlrev_b32_e32 v1, 8, v1
	v_lshl_add_u32 v29, v29, 10, v20
	v_and_b32_e32 v30, 7, v30
	v_and_or_b32 v1, v1, s36, v29
	v_cndmask_b32_e64 v27, v27, v30, s[4:5]
	v_lshlrev_b32_e32 v1, 16, v1
	v_lshl_or_b32 v27, v27, 23, v1
.LBB229_152:                            ;   in Loop: Header=BB229_91 Depth=1
	s_or_b64 exec, exec, s[28:29]
.LBB229_153:                            ;   in Loop: Header=BB229_91 Depth=1
	s_or_b64 exec, exec, s[26:27]
.LBB229_154:                            ;   in Loop: Header=BB229_91 Depth=1
	s_or_b64 exec, exec, s[18:19]
	v_lshrrev_b32_e32 v1, 16, v7
	v_cmp_ne_u16_sdwa s[4:5], v1, v2 src0_sel:BYTE_0 src1_sel:DWORD
	v_mov_b32_e32 v29, 0
	v_mov_b32_e32 v30, 0
	s_and_saveexec_b64 s[18:19], s[4:5]
	s_cbranch_execz .LBB229_160
; %bb.155:                              ;   in Loop: Header=BB229_91 Depth=1
	v_cmp_ne_u16_sdwa s[4:5], v1, s31 src0_sel:BYTE_0 src1_sel:DWORD
	v_mov_b32_e32 v30, 0x8000
	s_and_saveexec_b64 s[26:27], s[4:5]
	s_cbranch_execz .LBB229_159
; %bb.156:                              ;   in Loop: Header=BB229_91 Depth=1
	v_bfe_u32 v31, v7, 16, 7
	v_cmp_ne_u32_e64 s[4:5], s35, v31
	v_mov_b32_e32 v30, 0x7c01
	s_and_saveexec_b64 s[28:29], s[4:5]
	s_cbranch_execz .LBB229_158
; %bb.157:                              ;   in Loop: Header=BB229_91 Depth=1
	v_and_b32_e32 v30, 7, v1
	v_ffbh_u32_e32 v32, v30
	v_min_u32_e32 v35, 32, v32
	v_subrev_u32_e32 v32, 28, v35
	v_lshlrev_b64 v[32:33], v32, v[1:2]
	v_lshrrev_b32_e32 v34, 3, v31
	v_sub_u32_e32 v33, 29, v35
	v_cmp_gt_u32_e64 s[4:5], 8, v31
	v_cndmask_b32_e64 v31, v34, v33, s[4:5]
	v_lshl_add_u32 v31, v31, 10, v20
	v_lshlrev_b32_e32 v1, 8, v1
	v_and_b32_e32 v32, 7, v32
	v_and_b32_e32 v31, 0xfc00, v31
	v_cndmask_b32_e64 v30, v30, v32, s[4:5]
	v_and_or_b32 v1, v1, s36, v31
	v_lshl_or_b32 v30, v30, 7, v1
.LBB229_158:                            ;   in Loop: Header=BB229_91 Depth=1
	s_or_b64 exec, exec, s[28:29]
.LBB229_159:                            ;   in Loop: Header=BB229_91 Depth=1
	s_or_b64 exec, exec, s[26:27]
.LBB229_160:                            ;   in Loop: Header=BB229_91 Depth=1
	s_or_b64 exec, exec, s[18:19]
	v_cmp_lt_u32_e64 s[4:5], s11, v7
	s_and_saveexec_b64 s[18:19], s[4:5]
	s_cbranch_execz .LBB229_166
; %bb.161:                              ;   in Loop: Header=BB229_91 Depth=1
	v_lshrrev_b32_e32 v1, 24, v7
	v_cmp_ne_u32_e64 s[4:5], s31, v1
	v_bfrev_b32_e32 v29, 1
	s_and_saveexec_b64 s[26:27], s[4:5]
	s_cbranch_execz .LBB229_165
; %bb.162:                              ;   in Loop: Header=BB229_91 Depth=1
	v_and_b32_e32 v31, 0x7f, v1
	v_cmp_ne_u32_e64 s[4:5], s35, v31
	v_mov_b32_e32 v29, 0x7c010000
	s_and_saveexec_b64 s[28:29], s[4:5]
	s_cbranch_execz .LBB229_164
; %bb.163:                              ;   in Loop: Header=BB229_91 Depth=1
	v_and_b32_e32 v29, 7, v1
	v_ffbh_u32_e32 v32, v29
	v_min_u32_e32 v35, 32, v32
	v_subrev_u32_e32 v32, 28, v35
	v_lshlrev_b64 v[32:33], v32, v[1:2]
	v_lshrrev_b32_e32 v34, 3, v31
	v_sub_u32_e32 v33, 29, v35
	v_cmp_gt_u32_e64 s[4:5], 8, v31
	v_cndmask_b32_e64 v31, v34, v33, s[4:5]
	v_lshlrev_b32_e32 v1, 8, v1
	v_lshl_add_u32 v31, v31, 10, v20
	v_and_b32_e32 v32, 7, v32
	v_and_or_b32 v1, v1, s36, v31
	v_cndmask_b32_e64 v29, v29, v32, s[4:5]
	v_lshlrev_b32_e32 v1, 16, v1
	v_lshl_or_b32 v29, v29, 23, v1
.LBB229_164:                            ;   in Loop: Header=BB229_91 Depth=1
	s_or_b64 exec, exec, s[28:29]
.LBB229_165:                            ;   in Loop: Header=BB229_91 Depth=1
	s_or_b64 exec, exec, s[26:27]
.LBB229_166:                            ;   in Loop: Header=BB229_91 Depth=1
	s_or_b64 exec, exec, s[18:19]
	v_mov_b32_e32 v1, v8
	v_cmp_ne_u16_sdwa s[4:5], v8, v2 src0_sel:BYTE_0 src1_sel:DWORD
	v_mov_b32_e32 v31, 0
	v_mov_b32_e32 v32, 0
	s_and_saveexec_b64 s[18:19], s[4:5]
	s_cbranch_execz .LBB229_172
; %bb.167:                              ;   in Loop: Header=BB229_91 Depth=1
	v_cmp_ne_u16_sdwa s[4:5], v8, s31 src0_sel:BYTE_0 src1_sel:DWORD
	v_mov_b32_e32 v32, 0x8000
	s_and_saveexec_b64 s[26:27], s[4:5]
	s_cbranch_execz .LBB229_171
; %bb.168:                              ;   in Loop: Header=BB229_91 Depth=1
	v_and_b32_e32 v33, 0x7f, v8
	v_cmp_ne_u32_e64 s[4:5], s35, v33
	v_mov_b32_e32 v32, 0x7c01
	s_and_saveexec_b64 s[28:29], s[4:5]
	s_cbranch_execz .LBB229_170
; %bb.169:                              ;   in Loop: Header=BB229_91 Depth=1
	v_and_b32_e32 v32, 7, v8
	v_ffbh_u32_e32 v34, v32
	v_min_u32_e32 v37, 32, v34
	v_subrev_u32_e32 v34, 28, v37
	v_lshlrev_b64 v[34:35], v34, v[1:2]
	v_lshrrev_b32_e32 v36, 3, v33
	v_sub_u32_e32 v35, 29, v37
	v_cmp_gt_u32_e64 s[4:5], 8, v33
	v_cndmask_b32_e64 v33, v36, v35, s[4:5]
	v_lshl_add_u32 v33, v33, 10, v20
	v_lshlrev_b32_e32 v35, 8, v8
	v_and_b32_e32 v34, 7, v34
	v_and_b32_e32 v33, 0xfc00, v33
	v_cndmask_b32_e64 v32, v32, v34, s[4:5]
	v_and_or_b32 v33, v35, s36, v33
	v_lshl_or_b32 v32, v32, 7, v33
.LBB229_170:                            ;   in Loop: Header=BB229_91 Depth=1
	s_or_b64 exec, exec, s[28:29]
.LBB229_171:                            ;   in Loop: Header=BB229_91 Depth=1
	s_or_b64 exec, exec, s[26:27]
.LBB229_172:                            ;   in Loop: Header=BB229_91 Depth=1
	s_or_b64 exec, exec, s[18:19]
	v_lshrrev_b16_e32 v1, 8, v1
	v_cmp_ne_u16_e64 s[4:5], 0, v1
	v_mov_b32_e32 v33, 0
	s_and_saveexec_b64 s[18:19], s[4:5]
	s_cbranch_execz .LBB229_178
; %bb.173:                              ;   in Loop: Header=BB229_91 Depth=1
	v_cmp_ne_u16_e64 s[4:5], s31, v1
	v_bfrev_b32_e32 v33, 1
	s_and_saveexec_b64 s[26:27], s[4:5]
	s_cbranch_execz .LBB229_177
; %bb.174:                              ;   in Loop: Header=BB229_91 Depth=1
	v_and_b32_e32 v34, 0x7f, v1
	v_cmp_ne_u32_e64 s[4:5], s35, v34
	v_mov_b32_e32 v33, 0x7c010000
	s_and_saveexec_b64 s[28:29], s[4:5]
	s_cbranch_execz .LBB229_176
; %bb.175:                              ;   in Loop: Header=BB229_91 Depth=1
	v_and_b32_e32 v33, 7, v1
	v_ffbh_u32_e32 v35, v33
	v_min_u32_e32 v38, 32, v35
	v_subrev_u32_e32 v35, 28, v38
	v_lshlrev_b64 v[35:36], v35, v[1:2]
	v_lshrrev_b32_e32 v37, 3, v34
	v_sub_u32_e32 v36, 29, v38
	v_cmp_gt_u32_e64 s[4:5], 8, v34
	v_cndmask_b32_e64 v34, v37, v36, s[4:5]
	v_lshlrev_b32_e32 v1, 8, v1
	v_lshl_add_u32 v34, v34, 10, v20
	v_and_b32_e32 v35, 7, v35
	v_and_or_b32 v1, v1, s36, v34
	v_cndmask_b32_e64 v33, v33, v35, s[4:5]
	v_lshlrev_b32_e32 v1, 16, v1
	v_lshl_or_b32 v33, v33, 23, v1
.LBB229_176:                            ;   in Loop: Header=BB229_91 Depth=1
	s_or_b64 exec, exec, s[28:29]
.LBB229_177:                            ;   in Loop: Header=BB229_91 Depth=1
	s_or_b64 exec, exec, s[26:27]
.LBB229_178:                            ;   in Loop: Header=BB229_91 Depth=1
	s_or_b64 exec, exec, s[18:19]
	v_lshrrev_b32_e32 v1, 16, v8
	v_cmp_ne_u16_sdwa s[4:5], v1, v2 src0_sel:BYTE_0 src1_sel:DWORD
	s_and_saveexec_b64 s[18:19], s[4:5]
	s_cbranch_execz .LBB229_184
; %bb.179:                              ;   in Loop: Header=BB229_91 Depth=1
	v_cmp_ne_u16_sdwa s[4:5], v1, s31 src0_sel:BYTE_0 src1_sel:DWORD
	v_mov_b32_e32 v31, 0x8000
	s_and_saveexec_b64 s[26:27], s[4:5]
	s_cbranch_execz .LBB229_183
; %bb.180:                              ;   in Loop: Header=BB229_91 Depth=1
	v_bfe_u32 v34, v8, 16, 7
	v_cmp_ne_u32_e64 s[4:5], s35, v34
	v_mov_b32_e32 v31, 0x7c01
	s_and_saveexec_b64 s[28:29], s[4:5]
	s_cbranch_execz .LBB229_182
; %bb.181:                              ;   in Loop: Header=BB229_91 Depth=1
	v_and_b32_e32 v31, 7, v1
	v_ffbh_u32_e32 v35, v31
	v_min_u32_e32 v38, 32, v35
	v_subrev_u32_e32 v35, 28, v38
	v_lshlrev_b64 v[35:36], v35, v[1:2]
	v_lshrrev_b32_e32 v37, 3, v34
	v_sub_u32_e32 v36, 29, v38
	v_cmp_gt_u32_e64 s[4:5], 8, v34
	v_cndmask_b32_e64 v34, v37, v36, s[4:5]
	v_lshl_add_u32 v34, v34, 10, v20
	v_lshlrev_b32_e32 v1, 8, v1
	v_and_b32_e32 v35, 7, v35
	v_and_b32_e32 v34, 0xfc00, v34
	v_cndmask_b32_e64 v31, v31, v35, s[4:5]
	v_and_or_b32 v1, v1, s36, v34
	v_lshl_or_b32 v31, v31, 7, v1
.LBB229_182:                            ;   in Loop: Header=BB229_91 Depth=1
	s_or_b64 exec, exec, s[28:29]
.LBB229_183:                            ;   in Loop: Header=BB229_91 Depth=1
	s_or_b64 exec, exec, s[26:27]
.LBB229_184:                            ;   in Loop: Header=BB229_91 Depth=1
	s_or_b64 exec, exec, s[18:19]
	v_cmp_lt_u64_e64 s[4:5], s[10:11], v[7:8]
	v_mov_b32_e32 v34, 0
	s_and_saveexec_b64 s[18:19], s[4:5]
	s_cbranch_execz .LBB229_190
; %bb.185:                              ;   in Loop: Header=BB229_91 Depth=1
	v_lshrrev_b32_e32 v1, 24, v8
	v_cmp_ne_u32_e64 s[4:5], s31, v1
	v_bfrev_b32_e32 v34, 1
	s_and_saveexec_b64 s[26:27], s[4:5]
	s_cbranch_execz .LBB229_189
; %bb.186:                              ;   in Loop: Header=BB229_91 Depth=1
	v_and_b32_e32 v7, 0x7f, v1
	v_cmp_ne_u32_e64 s[4:5], s35, v7
	v_mov_b32_e32 v34, 0x7c010000
	s_and_saveexec_b64 s[28:29], s[4:5]
	s_cbranch_execz .LBB229_188
; %bb.187:                              ;   in Loop: Header=BB229_91 Depth=1
	v_and_b32_e32 v8, 7, v1
	v_ffbh_u32_e32 v34, v8
	v_min_u32_e32 v37, 32, v34
	v_subrev_u32_e32 v34, 28, v37
	v_lshlrev_b64 v[34:35], v34, v[1:2]
	v_lshrrev_b32_e32 v36, 3, v7
	v_sub_u32_e32 v35, 29, v37
	v_cmp_gt_u32_e64 s[4:5], 8, v7
	v_cndmask_b32_e64 v7, v36, v35, s[4:5]
	v_lshlrev_b32_e32 v1, 8, v1
	v_lshl_add_u32 v7, v7, 10, v20
	v_and_b32_e32 v34, 7, v34
	v_and_or_b32 v1, v1, s36, v7
	v_cndmask_b32_e64 v8, v8, v34, s[4:5]
	v_lshlrev_b32_e32 v1, 16, v1
	v_lshl_or_b32 v34, v8, 23, v1
.LBB229_188:                            ;   in Loop: Header=BB229_91 Depth=1
	s_or_b64 exec, exec, s[28:29]
.LBB229_189:                            ;   in Loop: Header=BB229_91 Depth=1
	s_or_b64 exec, exec, s[26:27]
.LBB229_190:                            ;   in Loop: Header=BB229_91 Depth=1
	s_or_b64 exec, exec, s[18:19]
	s_waitcnt vmcnt(0)
	v_fma_mixlo_f16 v7, v26, v29, 0 op_sel:[0,1,0] op_sel_hi:[0,1,0]
	v_lshlrev_b32_e32 v8, 16, v7
	v_or_b32_e32 v7, v27, v28
	v_fma_mixlo_f16 v27, v26, v27, 0 op_sel:[0,1,0] op_sel_hi:[0,1,0]
	v_or_b32_e32 v1, v29, v30
	v_lshlrev_b32_e32 v35, 16, v27
	v_or_b32_e32 v27, v33, v32
	v_or_b32_e32 v30, v34, v31
	v_fma_mixlo_f16 v1, v26, v1, 0 op_sel_hi:[0,1,0]
	v_fma_mixlo_f16 v7, v26, v7, 0 op_sel_hi:[0,1,0]
	v_fma_mixlo_f16 v28, v26, v33, 0 op_sel:[0,1,0] op_sel_hi:[0,1,0]
	v_fma_mixlo_f16 v27, v26, v27, 0 op_sel_hi:[0,1,0]
	v_fma_mixlo_f16 v30, v26, v30, 0 op_sel_hi:[0,1,0]
	v_fma_mixlo_f16 v26, v26, v34, 0 op_sel:[0,1,0] op_sel_hi:[0,1,0]
	v_and_b32_e32 v29, 0xffff, v1
	v_and_b32_e32 v36, 0xffff, v7
	v_lshlrev_b32_e32 v28, 16, v28
	v_and_b32_e32 v32, 0xffff, v27
	v_lshlrev_b32_e32 v26, 16, v26
	v_and_b32_e32 v30, 0xffff, v30
	v_or_b32_e32 v1, v8, v29
	v_or_b32_e32 v7, v35, v36
	;; [unrolled: 1-line block ×4, first 2 shown]
	s_and_saveexec_b64 s[4:5], s[2:3]
	s_cbranch_execz .LBB229_89
; %bb.191:                              ;   in Loop: Header=BB229_91 Depth=1
	v_cmp_gt_i32_e64 s[2:3], s21, v9
	v_add_u32_e32 v7, -6, v18
	v_cndmask_b32_e64 v1, 0, v36, s[2:3]
	v_cmp_gt_i32_e64 s[2:3], s21, v7
	v_cndmask_b32_e64 v7, 0, v35, s[2:3]
	v_or_b32_e32 v7, v7, v1
	v_add_u32_e32 v1, -5, v18
	v_cmp_gt_i32_e64 s[2:3], s21, v1
	v_add_u32_e32 v9, -4, v18
	v_cndmask_b32_e64 v1, 0, v29, s[2:3]
	v_cmp_gt_i32_e64 s[2:3], s21, v9
	v_cndmask_b32_e64 v8, 0, v8, s[2:3]
	v_or_b32_e32 v1, v8, v1
	v_add_u32_e32 v8, -3, v18
	;; [unrolled: 7-line block ×3, first 2 shown]
	v_cmp_gt_i32_e64 s[2:3], s21, v8
	v_cndmask_b32_e64 v8, 0, v30, s[2:3]
	v_cmp_gt_i32_e64 s[2:3], s21, v18
	v_cndmask_b32_e64 v9, 0, v26, s[2:3]
	v_or_b32_e32 v31, v9, v8
	s_branch .LBB229_89
.LBB229_192:
	s_or_b64 exec, exec, s[12:13]
.LBB229_193:
	s_or_b64 exec, exec, s[6:7]
	v_and_b32_e32 v1, 0x3c0, v0
	v_cmp_eq_u32_e32 vcc, 64, v1
	s_barrier
	s_and_saveexec_b64 s[2:3], vcc
	s_cbranch_execz .LBB229_196
; %bb.194:
	v_mov_b32_e32 v1, 0xb0
	v_lshl_add_u32 v2, v13, 2, v1
	ds_write_b32 v2, v15
	s_and_b64 exec, exec, s[0:1]
; %bb.195:
	v_lshl_add_u32 v1, v0, 2, v1
	ds_write_b32 v1, v14
.LBB229_196:
	s_or_b64 exec, exec, s[2:3]
	v_cmp_gt_u32_e32 vcc, 64, v0
	v_or_b32_e32 v1, 64, v0
	s_waitcnt lgkmcnt(0)
	s_barrier
	s_and_saveexec_b64 s[2:3], vcc
	s_cbranch_execz .LBB229_200
; %bb.197:
	v_mov_b32_e32 v2, 0xb0
	v_lshl_add_u32 v2, v0, 2, v2
	ds_read_b32 v0, v2
	s_movk_i32 s0, 0x50
	v_cmp_gt_u32_e64 s[0:1], s0, v1
	s_and_saveexec_b64 s[4:5], s[0:1]
	s_cbranch_execz .LBB229_199
; %bb.198:
	ds_read_b32 v2, v2 offset:256
	s_waitcnt lgkmcnt(0)
	v_add_f32_e32 v14, v14, v2
.LBB229_199:
	s_or_b64 exec, exec, s[4:5]
	s_waitcnt lgkmcnt(0)
	v_add_f32_e32 v15, v15, v0
.LBB229_200:
	s_or_b64 exec, exec, s[2:3]
	s_barrier
	s_and_saveexec_b64 s[0:1], vcc
	s_cbranch_execz .LBB229_203
; %bb.201:
	s_mul_i32 s0, s20, s23
	s_mul_i32 s0, s0, s9
	s_mulk_i32 s0, 0x50
	s_ashr_i32 s1, s0, 31
	s_lshl_b64 s[0:1], s[0:1], 1
	s_add_u32 s3, s24, s0
	s_mul_i32 s0, s23, s22
	s_addc_u32 s4, s25, s1
	s_ashr_i32 s1, s0, 31
	s_lshl_b64 s[0:1], s[0:1], 1
	s_add_u32 s3, s3, s0
	s_mul_i32 s0, s8, 0x50
	s_addc_u32 s4, s4, s1
	s_ashr_i32 s1, s0, 31
	s_lshl_b64 s[0:1], s[0:1], 1
	s_movk_i32 s2, 0x50
	s_add_u32 s0, s3, s0
	s_addc_u32 s1, s4, s1
	v_cmp_gt_u32_e32 vcc, s2, v1
	;;#ASMSTART
	v_cvt_f16_f32 v0, v15;

	;;#ASMEND
	global_store_short v11, v0, s[0:1]
	s_and_b64 exec, exec, vcc
	s_cbranch_execz .LBB229_203
; %bb.202:
	v_mov_b32_e32 v1, s1
	v_add_co_u32_e32 v0, vcc, s0, v11
	v_addc_co_u32_e32 v1, vcc, 0, v1, vcc
	;;#ASMSTART
	v_cvt_f16_f32 v2, v14;

	;;#ASMEND
	global_store_short v[0:1], v2, off offset:128
.LBB229_203:
	s_endpgm
	.section	.rodata,"a",@progbits
	.p2align	6, 0x0
	.amdhsa_kernel _ZN4vllm25paged_attention_v1_kernelIthLi80ELi8ELi128ELNS_18Fp8KVCacheDataTypeE1ELb0EEEvPT_PKS2_PKT0_S8_ifPKiSA_iPKfiiiSC_SC_iiiii
		.amdhsa_group_segment_fixed_size 176
		.amdhsa_private_segment_fixed_size 0
		.amdhsa_kernarg_size 384
		.amdhsa_user_sgpr_count 6
		.amdhsa_user_sgpr_private_segment_buffer 1
		.amdhsa_user_sgpr_dispatch_ptr 0
		.amdhsa_user_sgpr_queue_ptr 0
		.amdhsa_user_sgpr_kernarg_segment_ptr 1
		.amdhsa_user_sgpr_dispatch_id 0
		.amdhsa_user_sgpr_flat_scratch_init 0
		.amdhsa_user_sgpr_private_segment_size 0
		.amdhsa_uses_dynamic_stack 0
		.amdhsa_system_sgpr_private_segment_wavefront_offset 0
		.amdhsa_system_sgpr_workgroup_id_x 1
		.amdhsa_system_sgpr_workgroup_id_y 1
		.amdhsa_system_sgpr_workgroup_id_z 1
		.amdhsa_system_sgpr_workgroup_info 0
		.amdhsa_system_vgpr_workitem_id 0
		.amdhsa_next_free_vgpr 42
		.amdhsa_next_free_sgpr 46
		.amdhsa_reserve_vcc 1
		.amdhsa_reserve_flat_scratch 0
		.amdhsa_float_round_mode_32 0
		.amdhsa_float_round_mode_16_64 0
		.amdhsa_float_denorm_mode_32 3
		.amdhsa_float_denorm_mode_16_64 3
		.amdhsa_dx10_clamp 1
		.amdhsa_ieee_mode 1
		.amdhsa_fp16_overflow 0
		.amdhsa_exception_fp_ieee_invalid_op 0
		.amdhsa_exception_fp_denorm_src 0
		.amdhsa_exception_fp_ieee_div_zero 0
		.amdhsa_exception_fp_ieee_overflow 0
		.amdhsa_exception_fp_ieee_underflow 0
		.amdhsa_exception_fp_ieee_inexact 0
		.amdhsa_exception_int_div_zero 0
	.end_amdhsa_kernel
	.section	.text._ZN4vllm25paged_attention_v1_kernelIthLi80ELi8ELi128ELNS_18Fp8KVCacheDataTypeE1ELb0EEEvPT_PKS2_PKT0_S8_ifPKiSA_iPKfiiiSC_SC_iiiii,"axG",@progbits,_ZN4vllm25paged_attention_v1_kernelIthLi80ELi8ELi128ELNS_18Fp8KVCacheDataTypeE1ELb0EEEvPT_PKS2_PKT0_S8_ifPKiSA_iPKfiiiSC_SC_iiiii,comdat
.Lfunc_end229:
	.size	_ZN4vllm25paged_attention_v1_kernelIthLi80ELi8ELi128ELNS_18Fp8KVCacheDataTypeE1ELb0EEEvPT_PKS2_PKT0_S8_ifPKiSA_iPKfiiiSC_SC_iiiii, .Lfunc_end229-_ZN4vllm25paged_attention_v1_kernelIthLi80ELi8ELi128ELNS_18Fp8KVCacheDataTypeE1ELb0EEEvPT_PKS2_PKT0_S8_ifPKiSA_iPKfiiiSC_SC_iiiii
                                        ; -- End function
	.set _ZN4vllm25paged_attention_v1_kernelIthLi80ELi8ELi128ELNS_18Fp8KVCacheDataTypeE1ELb0EEEvPT_PKS2_PKT0_S8_ifPKiSA_iPKfiiiSC_SC_iiiii.num_vgpr, 42
	.set _ZN4vllm25paged_attention_v1_kernelIthLi80ELi8ELi128ELNS_18Fp8KVCacheDataTypeE1ELb0EEEvPT_PKS2_PKT0_S8_ifPKiSA_iPKfiiiSC_SC_iiiii.num_agpr, 0
	.set _ZN4vllm25paged_attention_v1_kernelIthLi80ELi8ELi128ELNS_18Fp8KVCacheDataTypeE1ELb0EEEvPT_PKS2_PKT0_S8_ifPKiSA_iPKfiiiSC_SC_iiiii.numbered_sgpr, 46
	.set _ZN4vllm25paged_attention_v1_kernelIthLi80ELi8ELi128ELNS_18Fp8KVCacheDataTypeE1ELb0EEEvPT_PKS2_PKT0_S8_ifPKiSA_iPKfiiiSC_SC_iiiii.num_named_barrier, 0
	.set _ZN4vllm25paged_attention_v1_kernelIthLi80ELi8ELi128ELNS_18Fp8KVCacheDataTypeE1ELb0EEEvPT_PKS2_PKT0_S8_ifPKiSA_iPKfiiiSC_SC_iiiii.private_seg_size, 0
	.set _ZN4vllm25paged_attention_v1_kernelIthLi80ELi8ELi128ELNS_18Fp8KVCacheDataTypeE1ELb0EEEvPT_PKS2_PKT0_S8_ifPKiSA_iPKfiiiSC_SC_iiiii.uses_vcc, 1
	.set _ZN4vllm25paged_attention_v1_kernelIthLi80ELi8ELi128ELNS_18Fp8KVCacheDataTypeE1ELb0EEEvPT_PKS2_PKT0_S8_ifPKiSA_iPKfiiiSC_SC_iiiii.uses_flat_scratch, 0
	.set _ZN4vllm25paged_attention_v1_kernelIthLi80ELi8ELi128ELNS_18Fp8KVCacheDataTypeE1ELb0EEEvPT_PKS2_PKT0_S8_ifPKiSA_iPKfiiiSC_SC_iiiii.has_dyn_sized_stack, 0
	.set _ZN4vllm25paged_attention_v1_kernelIthLi80ELi8ELi128ELNS_18Fp8KVCacheDataTypeE1ELb0EEEvPT_PKS2_PKT0_S8_ifPKiSA_iPKfiiiSC_SC_iiiii.has_recursion, 0
	.set _ZN4vllm25paged_attention_v1_kernelIthLi80ELi8ELi128ELNS_18Fp8KVCacheDataTypeE1ELb0EEEvPT_PKS2_PKT0_S8_ifPKiSA_iPKfiiiSC_SC_iiiii.has_indirect_call, 0
	.section	.AMDGPU.csdata,"",@progbits
; Kernel info:
; codeLenInByte = 8964
; TotalNumSgprs: 50
; NumVgprs: 42
; ScratchSize: 0
; MemoryBound: 0
; FloatMode: 240
; IeeeMode: 1
; LDSByteSize: 176 bytes/workgroup (compile time only)
; SGPRBlocks: 6
; VGPRBlocks: 10
; NumSGPRsForWavesPerEU: 50
; NumVGPRsForWavesPerEU: 42
; Occupancy: 5
; WaveLimiterHint : 1
; COMPUTE_PGM_RSRC2:SCRATCH_EN: 0
; COMPUTE_PGM_RSRC2:USER_SGPR: 6
; COMPUTE_PGM_RSRC2:TRAP_HANDLER: 0
; COMPUTE_PGM_RSRC2:TGID_X_EN: 1
; COMPUTE_PGM_RSRC2:TGID_Y_EN: 1
; COMPUTE_PGM_RSRC2:TGID_Z_EN: 1
; COMPUTE_PGM_RSRC2:TIDIG_COMP_CNT: 0
	.section	.text._ZN4vllm25paged_attention_v1_kernelIthLi96ELi8ELi128ELNS_18Fp8KVCacheDataTypeE1ELb0EEEvPT_PKS2_PKT0_S8_ifPKiSA_iPKfiiiSC_SC_iiiii,"axG",@progbits,_ZN4vllm25paged_attention_v1_kernelIthLi96ELi8ELi128ELNS_18Fp8KVCacheDataTypeE1ELb0EEEvPT_PKS2_PKT0_S8_ifPKiSA_iPKfiiiSC_SC_iiiii,comdat
	.protected	_ZN4vllm25paged_attention_v1_kernelIthLi96ELi8ELi128ELNS_18Fp8KVCacheDataTypeE1ELb0EEEvPT_PKS2_PKT0_S8_ifPKiSA_iPKfiiiSC_SC_iiiii ; -- Begin function _ZN4vllm25paged_attention_v1_kernelIthLi96ELi8ELi128ELNS_18Fp8KVCacheDataTypeE1ELb0EEEvPT_PKS2_PKT0_S8_ifPKiSA_iPKfiiiSC_SC_iiiii
	.globl	_ZN4vllm25paged_attention_v1_kernelIthLi96ELi8ELi128ELNS_18Fp8KVCacheDataTypeE1ELb0EEEvPT_PKS2_PKT0_S8_ifPKiSA_iPKfiiiSC_SC_iiiii
	.p2align	8
	.type	_ZN4vllm25paged_attention_v1_kernelIthLi96ELi8ELi128ELNS_18Fp8KVCacheDataTypeE1ELb0EEEvPT_PKS2_PKT0_S8_ifPKiSA_iPKfiiiSC_SC_iiiii,@function
_ZN4vllm25paged_attention_v1_kernelIthLi96ELi8ELi128ELNS_18Fp8KVCacheDataTypeE1ELb0EEEvPT_PKS2_PKT0_S8_ifPKiSA_iPKfiiiSC_SC_iiiii: ; @_ZN4vllm25paged_attention_v1_kernelIthLi96ELi8ELi128ELNS_18Fp8KVCacheDataTypeE1ELb0EEEvPT_PKS2_PKT0_S8_ifPKiSA_iPKfiiiSC_SC_iiiii
; %bb.0:
	s_load_dword s9, s[4:5], 0x80
	s_load_dwordx2 s[0:1], s[4:5], 0x30
	s_load_dwordx2 s[10:11], s[4:5], 0x20
	s_mov_b32 s20, s7
	s_ashr_i32 s21, s7, 31
	s_lshl_b64 s[2:3], s[20:21], 2
	s_waitcnt lgkmcnt(0)
	s_add_u32 s0, s0, s2
	s_addc_u32 s1, s1, s3
	s_abs_i32 s2, s10
	v_cvt_f32_u32_e32 v1, s2
	s_xor_b32 s3, s9, s10
	s_sub_i32 s10, 0, s2
	s_abs_i32 s7, s9
	v_rcp_iflag_f32_e32 v1, v1
	s_ashr_i32 s3, s3, 31
	v_mul_f32_e32 v1, 0x4f7ffffe, v1
	v_cvt_u32_f32_e32 v1, v1
	v_readfirstlane_b32 s12, v1
	s_mul_i32 s10, s10, s12
	s_mul_hi_u32 s10, s12, s10
	s_add_i32 s12, s12, s10
	s_mul_hi_u32 s10, s7, s12
	s_mul_i32 s12, s10, s2
	s_sub_i32 s7, s7, s12
	s_add_i32 s12, s10, 1
	s_sub_i32 s13, s7, s2
	s_cmp_ge_u32 s7, s2
	s_cselect_b32 s10, s12, s10
	s_cselect_b32 s7, s13, s7
	s_add_i32 s12, s10, 1
	s_cmp_ge_u32 s7, s2
	s_cselect_b32 s2, s12, s10
	s_xor_b32 s2, s2, s3
	s_sub_i32 s15, s2, s3
	s_abs_i32 s12, s15
	v_cvt_f32_u32_e32 v1, s12
	s_load_dwordx2 s[2:3], s[4:5], 0x40
	s_sub_i32 s7, 0, s12
	s_abs_i32 s13, s6
	v_rcp_iflag_f32_e32 v1, v1
	s_mov_b32 s10, 0
	v_mul_f32_e32 v1, 0x4f7ffffe, v1
	v_cvt_u32_f32_e32 v1, v1
	v_readfirstlane_b32 s14, v1
	s_mul_i32 s7, s7, s14
	s_mul_hi_u32 s7, s14, s7
	s_add_i32 s14, s14, s7
	s_waitcnt lgkmcnt(0)
	s_cmp_eq_u64 s[2:3], 0
	s_mul_hi_u32 s14, s13, s14
	s_cbranch_scc1 .LBB230_2
; %bb.1:
	s_ashr_i32 s7, s6, 31
	s_lshl_b64 s[16:17], s[6:7], 2
	s_add_u32 s2, s2, s16
	s_addc_u32 s3, s3, s17
	s_load_dword s10, s[2:3], 0x0
.LBB230_2:
	s_load_dword s21, s[0:1], 0x0
	s_load_dwordx4 s[16:19], s[4:5], 0x48
	s_movk_i32 s0, 0x60
	s_ashr_i32 s7, s6, 31
	s_ashr_i32 s15, s15, 31
	v_and_b32_e32 v1, 7, v0
	s_mul_i32 s22, s6, 0x60
	v_cmp_gt_u32_e64 s[0:1], s0, v0
	v_lshlrev_b32_e32 v11, 1, v0
	s_and_saveexec_b64 s[2:3], s[0:1]
	s_cbranch_execz .LBB230_4
; %bb.3:
	s_load_dwordx2 s[24:25], s[4:5], 0x8
	s_waitcnt lgkmcnt(0)
	s_mul_i32 s26, s16, s20
	s_ashr_i32 s27, s26, 31
	s_lshl_b64 s[26:27], s[26:27], 1
	v_lshrrev_b32_e32 v3, 2, v0
	s_add_u32 s6, s24, s26
	s_addc_u32 s16, s25, s27
	s_ashr_i32 s23, s22, 31
	s_lshl_b64 s[24:25], s[22:23], 1
	s_add_u32 s24, s6, s24
	s_addc_u32 s25, s16, s25
	global_load_ushort v2, v11, s[24:25]
	v_and_b32_e32 v3, 0xfe, v3
	v_mad_u32_u24 v3, v1, 24, v3
	s_waitcnt vmcnt(0)
	ds_write_b16 v3, v2
.LBB230_4:
	s_or_b64 exec, exec, s[2:3]
	s_waitcnt lgkmcnt(0)
	s_add_i32 s3, s21, 7
	s_ashr_i32 s6, s3, 31
	s_lshr_b32 s6, s6, 29
	s_add_i32 s3, s3, s6
	s_mul_i32 s6, s14, s12
	s_sub_i32 s6, s13, s6
	s_ashr_i32 s33, s3, 3
	s_xor_b32 s3, s7, s15
	s_add_i32 s7, s14, 1
	s_sub_i32 s13, s6, s12
	s_load_dwordx2 s[26:27], s[4:5], 0x28
	s_load_dword s2, s[4:5], 0x38
	s_cmp_ge_u32 s6, s12
	s_cselect_b32 s7, s7, s14
	s_cselect_b32 s6, s13, s6
	s_add_i32 s13, s7, 1
	s_cmp_ge_u32 s6, s12
	s_cselect_b32 s6, s13, s7
	v_lshrrev_b32_e32 v12, 6, v0
	s_xor_b32 s6, s6, s3
	s_waitcnt lgkmcnt(0)
	s_mul_i32 s28, s2, s20
	s_sub_i32 s16, s6, s3
	s_ashr_i32 s29, s28, 31
	v_cmp_gt_i32_e64 s[2:3], s33, v12
	v_cmp_le_i32_e32 vcc, s33, v12
	v_mbcnt_lo_u32_b32 v7, -1, 0
	s_barrier
                                        ; implicit-def: $vgpr9
                                        ; implicit-def: $vgpr6
                                        ; implicit-def: $vgpr5
	s_and_saveexec_b64 s[6:7], vcc
	s_xor_b64 s[6:7], exec, s[6:7]
; %bb.5:
	v_mbcnt_hi_u32_b32 v9, -1, v7
	v_and_b32_e32 v6, 64, v9
	v_add_u32_e32 v5, 64, v6
                                        ; implicit-def: $vgpr1
                                        ; implicit-def: $vgpr7
; %bb.6:
	s_or_saveexec_b64 s[34:35], s[6:7]
	s_load_dwordx2 s[24:25], s[4:5], 0x0
	s_load_dwordx2 s[30:31], s[4:5], 0x18
	s_load_dword s23, s[4:5], 0x88
	s_load_dwordx4 s[12:15], s[4:5], 0x58
	v_mov_b32_e32 v10, 0xff7fffff
	s_mul_i32 s16, s16, s18
	v_lshrrev_b32_e32 v8, 4, v0
	s_xor_b64 exec, exec, s[34:35]
	s_cbranch_execz .LBB230_84
; %bb.7:
	s_load_dwordx2 s[4:5], s[4:5], 0x10
	s_ashr_i32 s6, s16, 31
	v_bfe_u32 v3, v0, 3, 3
	v_lshlrev_b32_e32 v2, 4, v3
	v_mul_u32_u24_e32 v14, 24, v1
	s_waitcnt lgkmcnt(0)
	s_add_u32 s4, s4, s16
	s_addc_u32 s5, s5, s6
	v_mov_b32_e32 v4, s5
	v_add_co_u32_e32 v2, vcc, s4, v2
	v_addc_co_u32_e32 v4, vcc, 0, v4, vcc
	v_cmp_eq_u32_e32 vcc, 0, v1
	v_add_co_u32_e64 v1, s[6:7], v2, v1
	v_addc_co_u32_e64 v2, s[6:7], 0, v4, s[6:7]
	s_sub_i32 s43, 1, s21
	v_lshl_or_b32 v15, v12, 3, v3
	v_lshlrev_b32_e32 v3, 2, v3
	s_lshl_b64 s[6:7], s[28:29], 2
	v_lshl_or_b32 v3, v12, 5, v3
	s_add_u32 s6, s26, s6
	v_add_u32_e32 v16, 0xd0, v3
	v_and_b32_e32 v3, 60, v8
	s_addc_u32 s7, s27, s7
	v_mov_b32_e32 v4, s7
	v_add_co_u32_e64 v3, s[6:7], s6, v3
	s_mov_b32 s42, s17
	v_mov_b32_e32 v13, 0
	v_cmp_neq_f32_e64 s[4:5], s10, 0
	v_addc_co_u32_e64 v4, s[6:7], 0, v4, s[6:7]
	v_mov_b32_e32 v10, 0xff7fffff
	s_mov_b64 s[18:19], 0
	s_movk_i32 s44, 0x80
	s_movk_i32 s45, 0x7f
	v_mbcnt_hi_u32_b32 v9, -1, v7
	v_bfrev_b32_e32 v17, 60
	v_mov_b32_e32 v18, v12
	s_branch .LBB230_9
.LBB230_8:                              ;   in Loop: Header=BB230_9 Depth=1
	s_or_b64 exec, exec, s[36:37]
	v_add_u32_e32 v18, 2, v18
	v_cmp_le_i32_e64 s[6:7], s33, v18
	s_or_b64 s[18:19], s[6:7], s[18:19]
	v_add_co_u32_e64 v3, s[6:7], 8, v3
	v_add_u32_e32 v15, 16, v15
	v_add_u32_e32 v16, 64, v16
	v_addc_co_u32_e64 v4, s[6:7], 0, v4, s[6:7]
	s_andn2_b64 exec, exec, s[18:19]
	s_cbranch_execz .LBB230_83
.LBB230_9:                              ; =>This Inner Loop Header: Depth=1
	global_load_dword v5, v[3:4], off
	v_mov_b32_e32 v20, 0
	s_waitcnt vmcnt(0)
	v_mad_i64_i32 v[5:6], s[6:7], v5, s42, v[1:2]
	global_load_ubyte v21, v[5:6], off
	s_waitcnt lgkmcnt(0)
	global_load_dword v19, v13, s[12:13]
	s_waitcnt vmcnt(1)
	v_cmp_ne_u16_e64 s[6:7], 0, v21
	s_and_saveexec_b64 s[36:37], s[6:7]
	s_cbranch_execz .LBB230_15
; %bb.10:                               ;   in Loop: Header=BB230_9 Depth=1
	v_cmp_ne_u16_e64 s[6:7], s44, v21
	v_bfrev_b32_e32 v20, 1
	s_and_saveexec_b64 s[38:39], s[6:7]
	s_cbranch_execz .LBB230_14
; %bb.11:                               ;   in Loop: Header=BB230_9 Depth=1
	v_and_b32_e32 v7, 0xffff, v21
	v_and_b32_e32 v22, 0x7f, v7
	v_cmp_ne_u32_e64 s[6:7], s45, v22
	v_mov_b32_e32 v20, 0x7f800001
	s_and_saveexec_b64 s[40:41], s[6:7]
	s_cbranch_execz .LBB230_13
; %bb.12:                               ;   in Loop: Header=BB230_9 Depth=1
	v_and_b32_e32 v20, 7, v7
	v_ffbh_u32_e32 v23, v20
	v_min_u32_e32 v26, 32, v23
	v_subrev_u32_e32 v23, 28, v26
	v_lshlrev_b64 v[23:24], v23, v[7:8]
	v_lshrrev_b32_e32 v25, 3, v22
	v_sub_u32_e32 v7, 29, v26
	v_and_b32_e32 v23, 7, v23
	v_cmp_gt_u32_e64 s[6:7], 8, v22
	v_cndmask_b32_e64 v7, v25, v7, s[6:7]
	v_cndmask_b32_e64 v20, v20, v23, s[6:7]
	v_lshlrev_b32_e32 v21, 24, v21
	v_lshlrev_b32_e32 v20, 20, v20
	v_and_b32_e32 v21, 0x80000000, v21
	v_lshl_add_u32 v7, v7, 23, v17
	v_or3_b32 v20, v21, v7, v20
.LBB230_13:                             ;   in Loop: Header=BB230_9 Depth=1
	s_or_b64 exec, exec, s[40:41]
.LBB230_14:                             ;   in Loop: Header=BB230_9 Depth=1
	s_or_b64 exec, exec, s[38:39]
.LBB230_15:                             ;   in Loop: Header=BB230_9 Depth=1
	s_or_b64 exec, exec, s[36:37]
	global_load_ubyte v23, v[5:6], off offset:8
	v_mov_b32_e32 v21, 0
	v_mov_b32_e32 v22, 0
	s_waitcnt vmcnt(0)
	v_cmp_ne_u16_e64 s[6:7], 0, v23
	s_and_saveexec_b64 s[36:37], s[6:7]
	s_cbranch_execz .LBB230_21
; %bb.16:                               ;   in Loop: Header=BB230_9 Depth=1
	v_cmp_ne_u16_e64 s[6:7], s44, v23
	v_bfrev_b32_e32 v22, 1
	s_and_saveexec_b64 s[38:39], s[6:7]
	s_cbranch_execz .LBB230_20
; %bb.17:                               ;   in Loop: Header=BB230_9 Depth=1
	v_and_b32_e32 v7, 0xffff, v23
	v_and_b32_e32 v24, 0x7f, v7
	v_cmp_ne_u32_e64 s[6:7], s45, v24
	v_mov_b32_e32 v22, 0x7f800001
	s_and_saveexec_b64 s[40:41], s[6:7]
	s_cbranch_execz .LBB230_19
; %bb.18:                               ;   in Loop: Header=BB230_9 Depth=1
	v_and_b32_e32 v22, 7, v7
	v_ffbh_u32_e32 v25, v22
	v_min_u32_e32 v28, 32, v25
	v_subrev_u32_e32 v25, 28, v28
	v_lshlrev_b64 v[25:26], v25, v[7:8]
	v_lshrrev_b32_e32 v27, 3, v24
	v_sub_u32_e32 v7, 29, v28
	v_and_b32_e32 v25, 7, v25
	v_cmp_gt_u32_e64 s[6:7], 8, v24
	v_cndmask_b32_e64 v7, v27, v7, s[6:7]
	v_cndmask_b32_e64 v22, v22, v25, s[6:7]
	v_lshlrev_b32_e32 v23, 24, v23
	v_lshlrev_b32_e32 v22, 20, v22
	v_and_b32_e32 v23, 0x80000000, v23
	v_lshl_add_u32 v7, v7, 23, v17
	v_or3_b32 v22, v23, v7, v22
.LBB230_19:                             ;   in Loop: Header=BB230_9 Depth=1
	s_or_b64 exec, exec, s[40:41]
.LBB230_20:                             ;   in Loop: Header=BB230_9 Depth=1
	s_or_b64 exec, exec, s[38:39]
.LBB230_21:                             ;   in Loop: Header=BB230_9 Depth=1
	s_or_b64 exec, exec, s[36:37]
	global_load_ubyte v23, v[5:6], off offset:128
	s_waitcnt vmcnt(0)
	v_cmp_ne_u16_e64 s[6:7], 0, v23
	s_and_saveexec_b64 s[36:37], s[6:7]
	s_cbranch_execz .LBB230_27
; %bb.22:                               ;   in Loop: Header=BB230_9 Depth=1
	v_cmp_ne_u16_e64 s[6:7], s44, v23
	v_bfrev_b32_e32 v21, 1
	s_and_saveexec_b64 s[38:39], s[6:7]
	s_cbranch_execz .LBB230_26
; %bb.23:                               ;   in Loop: Header=BB230_9 Depth=1
	v_and_b32_e32 v7, 0xffff, v23
	v_and_b32_e32 v24, 0x7f, v7
	v_cmp_ne_u32_e64 s[6:7], s45, v24
	v_mov_b32_e32 v21, 0x7f800001
	s_and_saveexec_b64 s[40:41], s[6:7]
	s_cbranch_execz .LBB230_25
; %bb.24:                               ;   in Loop: Header=BB230_9 Depth=1
	v_and_b32_e32 v21, 7, v7
	v_ffbh_u32_e32 v25, v21
	v_min_u32_e32 v28, 32, v25
	v_subrev_u32_e32 v25, 28, v28
	v_lshlrev_b64 v[25:26], v25, v[7:8]
	v_lshrrev_b32_e32 v27, 3, v24
	v_sub_u32_e32 v7, 29, v28
	v_and_b32_e32 v25, 7, v25
	v_cmp_gt_u32_e64 s[6:7], 8, v24
	v_cndmask_b32_e64 v7, v27, v7, s[6:7]
	v_cndmask_b32_e64 v21, v21, v25, s[6:7]
	v_lshlrev_b32_e32 v23, 24, v23
	v_lshlrev_b32_e32 v21, 20, v21
	v_and_b32_e32 v23, 0x80000000, v23
	v_lshl_add_u32 v7, v7, 23, v17
	v_or3_b32 v21, v23, v7, v21
.LBB230_25:                             ;   in Loop: Header=BB230_9 Depth=1
	s_or_b64 exec, exec, s[40:41]
.LBB230_26:                             ;   in Loop: Header=BB230_9 Depth=1
	s_or_b64 exec, exec, s[38:39]
.LBB230_27:                             ;   in Loop: Header=BB230_9 Depth=1
	s_or_b64 exec, exec, s[36:37]
	global_load_ubyte v25, v[5:6], off offset:136
	v_mov_b32_e32 v23, 0
	v_mov_b32_e32 v24, 0
	s_waitcnt vmcnt(0)
	v_cmp_ne_u16_e64 s[6:7], 0, v25
	s_and_saveexec_b64 s[36:37], s[6:7]
	s_cbranch_execz .LBB230_33
; %bb.28:                               ;   in Loop: Header=BB230_9 Depth=1
	v_cmp_ne_u16_e64 s[6:7], s44, v25
	v_bfrev_b32_e32 v24, 1
	s_and_saveexec_b64 s[38:39], s[6:7]
	s_cbranch_execz .LBB230_32
; %bb.29:                               ;   in Loop: Header=BB230_9 Depth=1
	v_and_b32_e32 v7, 0xffff, v25
	v_and_b32_e32 v26, 0x7f, v7
	v_cmp_ne_u32_e64 s[6:7], s45, v26
	v_mov_b32_e32 v24, 0x7f800001
	s_and_saveexec_b64 s[40:41], s[6:7]
	s_cbranch_execz .LBB230_31
; %bb.30:                               ;   in Loop: Header=BB230_9 Depth=1
	v_and_b32_e32 v24, 7, v7
	v_ffbh_u32_e32 v27, v24
	v_min_u32_e32 v30, 32, v27
	v_subrev_u32_e32 v27, 28, v30
	v_lshlrev_b64 v[27:28], v27, v[7:8]
	v_lshrrev_b32_e32 v29, 3, v26
	v_sub_u32_e32 v7, 29, v30
	v_and_b32_e32 v27, 7, v27
	v_cmp_gt_u32_e64 s[6:7], 8, v26
	v_cndmask_b32_e64 v7, v29, v7, s[6:7]
	v_cndmask_b32_e64 v24, v24, v27, s[6:7]
	v_lshlrev_b32_e32 v25, 24, v25
	v_lshlrev_b32_e32 v24, 20, v24
	v_and_b32_e32 v25, 0x80000000, v25
	v_lshl_add_u32 v7, v7, 23, v17
	v_or3_b32 v24, v25, v7, v24
.LBB230_31:                             ;   in Loop: Header=BB230_9 Depth=1
	s_or_b64 exec, exec, s[40:41]
.LBB230_32:                             ;   in Loop: Header=BB230_9 Depth=1
	s_or_b64 exec, exec, s[38:39]
.LBB230_33:                             ;   in Loop: Header=BB230_9 Depth=1
	s_or_b64 exec, exec, s[36:37]
	global_load_ubyte v25, v[5:6], off offset:256
	s_waitcnt vmcnt(0)
	v_cmp_ne_u16_e64 s[6:7], 0, v25
	s_and_saveexec_b64 s[36:37], s[6:7]
	s_cbranch_execz .LBB230_39
; %bb.34:                               ;   in Loop: Header=BB230_9 Depth=1
	v_cmp_ne_u16_e64 s[6:7], s44, v25
	v_bfrev_b32_e32 v23, 1
	s_and_saveexec_b64 s[38:39], s[6:7]
	s_cbranch_execz .LBB230_38
; %bb.35:                               ;   in Loop: Header=BB230_9 Depth=1
	v_and_b32_e32 v7, 0xffff, v25
	v_and_b32_e32 v26, 0x7f, v7
	v_cmp_ne_u32_e64 s[6:7], s45, v26
	v_mov_b32_e32 v23, 0x7f800001
	s_and_saveexec_b64 s[40:41], s[6:7]
	s_cbranch_execz .LBB230_37
; %bb.36:                               ;   in Loop: Header=BB230_9 Depth=1
	v_and_b32_e32 v23, 7, v7
	v_ffbh_u32_e32 v27, v23
	v_min_u32_e32 v30, 32, v27
	v_subrev_u32_e32 v27, 28, v30
	v_lshlrev_b64 v[27:28], v27, v[7:8]
	v_lshrrev_b32_e32 v29, 3, v26
	v_sub_u32_e32 v7, 29, v30
	v_and_b32_e32 v27, 7, v27
	v_cmp_gt_u32_e64 s[6:7], 8, v26
	v_cndmask_b32_e64 v7, v29, v7, s[6:7]
	v_cndmask_b32_e64 v23, v23, v27, s[6:7]
	v_lshlrev_b32_e32 v25, 24, v25
	v_lshlrev_b32_e32 v23, 20, v23
	v_and_b32_e32 v25, 0x80000000, v25
	v_lshl_add_u32 v7, v7, 23, v17
	v_or3_b32 v23, v25, v7, v23
.LBB230_37:                             ;   in Loop: Header=BB230_9 Depth=1
	s_or_b64 exec, exec, s[40:41]
.LBB230_38:                             ;   in Loop: Header=BB230_9 Depth=1
	s_or_b64 exec, exec, s[38:39]
.LBB230_39:                             ;   in Loop: Header=BB230_9 Depth=1
	s_or_b64 exec, exec, s[36:37]
	global_load_ubyte v27, v[5:6], off offset:264
	v_mov_b32_e32 v25, 0
	v_mov_b32_e32 v26, 0
	s_waitcnt vmcnt(0)
	v_cmp_ne_u16_e64 s[6:7], 0, v27
	s_and_saveexec_b64 s[36:37], s[6:7]
	s_cbranch_execz .LBB230_45
; %bb.40:                               ;   in Loop: Header=BB230_9 Depth=1
	v_cmp_ne_u16_e64 s[6:7], s44, v27
	v_bfrev_b32_e32 v26, 1
	s_and_saveexec_b64 s[38:39], s[6:7]
	s_cbranch_execz .LBB230_44
; %bb.41:                               ;   in Loop: Header=BB230_9 Depth=1
	v_and_b32_e32 v7, 0xffff, v27
	v_and_b32_e32 v28, 0x7f, v7
	v_cmp_ne_u32_e64 s[6:7], s45, v28
	v_mov_b32_e32 v26, 0x7f800001
	s_and_saveexec_b64 s[40:41], s[6:7]
	s_cbranch_execz .LBB230_43
; %bb.42:                               ;   in Loop: Header=BB230_9 Depth=1
	v_and_b32_e32 v26, 7, v7
	v_ffbh_u32_e32 v29, v26
	v_min_u32_e32 v32, 32, v29
	v_subrev_u32_e32 v29, 28, v32
	v_lshlrev_b64 v[29:30], v29, v[7:8]
	v_lshrrev_b32_e32 v31, 3, v28
	v_sub_u32_e32 v7, 29, v32
	v_and_b32_e32 v29, 7, v29
	v_cmp_gt_u32_e64 s[6:7], 8, v28
	v_cndmask_b32_e64 v7, v31, v7, s[6:7]
	v_cndmask_b32_e64 v26, v26, v29, s[6:7]
	v_lshlrev_b32_e32 v27, 24, v27
	v_lshlrev_b32_e32 v26, 20, v26
	v_and_b32_e32 v27, 0x80000000, v27
	v_lshl_add_u32 v7, v7, 23, v17
	v_or3_b32 v26, v27, v7, v26
.LBB230_43:                             ;   in Loop: Header=BB230_9 Depth=1
	s_or_b64 exec, exec, s[40:41]
.LBB230_44:                             ;   in Loop: Header=BB230_9 Depth=1
	s_or_b64 exec, exec, s[38:39]
.LBB230_45:                             ;   in Loop: Header=BB230_9 Depth=1
	s_or_b64 exec, exec, s[36:37]
	global_load_ubyte v27, v[5:6], off offset:384
	s_waitcnt vmcnt(0)
	v_cmp_ne_u16_e64 s[6:7], 0, v27
	s_and_saveexec_b64 s[36:37], s[6:7]
	s_cbranch_execz .LBB230_51
; %bb.46:                               ;   in Loop: Header=BB230_9 Depth=1
	v_cmp_ne_u16_e64 s[6:7], s44, v27
	v_bfrev_b32_e32 v25, 1
	s_and_saveexec_b64 s[38:39], s[6:7]
	s_cbranch_execz .LBB230_50
; %bb.47:                               ;   in Loop: Header=BB230_9 Depth=1
	v_and_b32_e32 v7, 0xffff, v27
	v_and_b32_e32 v28, 0x7f, v7
	v_cmp_ne_u32_e64 s[6:7], s45, v28
	v_mov_b32_e32 v25, 0x7f800001
	s_and_saveexec_b64 s[40:41], s[6:7]
	s_cbranch_execz .LBB230_49
; %bb.48:                               ;   in Loop: Header=BB230_9 Depth=1
	v_and_b32_e32 v25, 7, v7
	v_ffbh_u32_e32 v29, v25
	v_min_u32_e32 v32, 32, v29
	v_subrev_u32_e32 v29, 28, v32
	v_lshlrev_b64 v[29:30], v29, v[7:8]
	v_lshrrev_b32_e32 v31, 3, v28
	v_sub_u32_e32 v7, 29, v32
	v_and_b32_e32 v29, 7, v29
	v_cmp_gt_u32_e64 s[6:7], 8, v28
	v_cndmask_b32_e64 v7, v31, v7, s[6:7]
	v_cndmask_b32_e64 v25, v25, v29, s[6:7]
	v_lshlrev_b32_e32 v27, 24, v27
	v_lshlrev_b32_e32 v25, 20, v25
	v_and_b32_e32 v27, 0x80000000, v27
	v_lshl_add_u32 v7, v7, 23, v17
	v_or3_b32 v25, v27, v7, v25
.LBB230_49:                             ;   in Loop: Header=BB230_9 Depth=1
	s_or_b64 exec, exec, s[40:41]
.LBB230_50:                             ;   in Loop: Header=BB230_9 Depth=1
	s_or_b64 exec, exec, s[38:39]
.LBB230_51:                             ;   in Loop: Header=BB230_9 Depth=1
	s_or_b64 exec, exec, s[36:37]
	global_load_ubyte v29, v[5:6], off offset:392
	v_mov_b32_e32 v27, 0
	v_mov_b32_e32 v28, 0
	s_waitcnt vmcnt(0)
	v_cmp_ne_u16_e64 s[6:7], 0, v29
	s_and_saveexec_b64 s[36:37], s[6:7]
	s_cbranch_execz .LBB230_57
; %bb.52:                               ;   in Loop: Header=BB230_9 Depth=1
	v_cmp_ne_u16_e64 s[6:7], s44, v29
	v_bfrev_b32_e32 v28, 1
	s_and_saveexec_b64 s[38:39], s[6:7]
	s_cbranch_execz .LBB230_56
; %bb.53:                               ;   in Loop: Header=BB230_9 Depth=1
	v_and_b32_e32 v7, 0xffff, v29
	v_and_b32_e32 v30, 0x7f, v7
	v_cmp_ne_u32_e64 s[6:7], s45, v30
	v_mov_b32_e32 v28, 0x7f800001
	s_and_saveexec_b64 s[40:41], s[6:7]
	s_cbranch_execz .LBB230_55
; %bb.54:                               ;   in Loop: Header=BB230_9 Depth=1
	v_and_b32_e32 v28, 7, v7
	v_ffbh_u32_e32 v31, v28
	v_min_u32_e32 v34, 32, v31
	v_subrev_u32_e32 v31, 28, v34
	v_lshlrev_b64 v[31:32], v31, v[7:8]
	v_lshrrev_b32_e32 v33, 3, v30
	v_sub_u32_e32 v7, 29, v34
	v_and_b32_e32 v31, 7, v31
	v_cmp_gt_u32_e64 s[6:7], 8, v30
	v_cndmask_b32_e64 v7, v33, v7, s[6:7]
	v_cndmask_b32_e64 v28, v28, v31, s[6:7]
	v_lshlrev_b32_e32 v29, 24, v29
	v_lshlrev_b32_e32 v28, 20, v28
	v_and_b32_e32 v29, 0x80000000, v29
	v_lshl_add_u32 v7, v7, 23, v17
	v_or3_b32 v28, v29, v7, v28
.LBB230_55:                             ;   in Loop: Header=BB230_9 Depth=1
	s_or_b64 exec, exec, s[40:41]
.LBB230_56:                             ;   in Loop: Header=BB230_9 Depth=1
	s_or_b64 exec, exec, s[38:39]
.LBB230_57:                             ;   in Loop: Header=BB230_9 Depth=1
	s_or_b64 exec, exec, s[36:37]
	global_load_ubyte v29, v[5:6], off offset:512
	s_waitcnt vmcnt(0)
	v_cmp_ne_u16_e64 s[6:7], 0, v29
	s_and_saveexec_b64 s[36:37], s[6:7]
	s_cbranch_execz .LBB230_63
; %bb.58:                               ;   in Loop: Header=BB230_9 Depth=1
	v_cmp_ne_u16_e64 s[6:7], s44, v29
	v_bfrev_b32_e32 v27, 1
	s_and_saveexec_b64 s[38:39], s[6:7]
	s_cbranch_execz .LBB230_62
; %bb.59:                               ;   in Loop: Header=BB230_9 Depth=1
	v_and_b32_e32 v7, 0xffff, v29
	v_and_b32_e32 v30, 0x7f, v7
	v_cmp_ne_u32_e64 s[6:7], s45, v30
	v_mov_b32_e32 v27, 0x7f800001
	s_and_saveexec_b64 s[40:41], s[6:7]
	s_cbranch_execz .LBB230_61
; %bb.60:                               ;   in Loop: Header=BB230_9 Depth=1
	v_and_b32_e32 v27, 7, v7
	v_ffbh_u32_e32 v31, v27
	v_min_u32_e32 v34, 32, v31
	v_subrev_u32_e32 v31, 28, v34
	v_lshlrev_b64 v[31:32], v31, v[7:8]
	v_lshrrev_b32_e32 v33, 3, v30
	v_sub_u32_e32 v7, 29, v34
	v_and_b32_e32 v31, 7, v31
	v_cmp_gt_u32_e64 s[6:7], 8, v30
	v_cndmask_b32_e64 v7, v33, v7, s[6:7]
	v_cndmask_b32_e64 v27, v27, v31, s[6:7]
	v_lshlrev_b32_e32 v29, 24, v29
	v_lshlrev_b32_e32 v27, 20, v27
	v_and_b32_e32 v29, 0x80000000, v29
	v_lshl_add_u32 v7, v7, 23, v17
	v_or3_b32 v27, v29, v7, v27
.LBB230_61:                             ;   in Loop: Header=BB230_9 Depth=1
	s_or_b64 exec, exec, s[40:41]
.LBB230_62:                             ;   in Loop: Header=BB230_9 Depth=1
	s_or_b64 exec, exec, s[38:39]
.LBB230_63:                             ;   in Loop: Header=BB230_9 Depth=1
	s_or_b64 exec, exec, s[36:37]
	global_load_ubyte v31, v[5:6], off offset:520
	v_mov_b32_e32 v29, 0
	v_mov_b32_e32 v30, 0
	s_waitcnt vmcnt(0)
	v_cmp_ne_u16_e64 s[6:7], 0, v31
	s_and_saveexec_b64 s[36:37], s[6:7]
	s_cbranch_execz .LBB230_69
; %bb.64:                               ;   in Loop: Header=BB230_9 Depth=1
	v_cmp_ne_u16_e64 s[6:7], s44, v31
	v_bfrev_b32_e32 v30, 1
	s_and_saveexec_b64 s[38:39], s[6:7]
	s_cbranch_execz .LBB230_68
; %bb.65:                               ;   in Loop: Header=BB230_9 Depth=1
	v_and_b32_e32 v7, 0xffff, v31
	v_and_b32_e32 v32, 0x7f, v7
	v_cmp_ne_u32_e64 s[6:7], s45, v32
	v_mov_b32_e32 v30, 0x7f800001
	s_and_saveexec_b64 s[40:41], s[6:7]
	s_cbranch_execz .LBB230_67
; %bb.66:                               ;   in Loop: Header=BB230_9 Depth=1
	v_and_b32_e32 v30, 7, v7
	v_ffbh_u32_e32 v33, v30
	v_min_u32_e32 v36, 32, v33
	v_subrev_u32_e32 v33, 28, v36
	v_lshlrev_b64 v[33:34], v33, v[7:8]
	v_lshrrev_b32_e32 v35, 3, v32
	v_sub_u32_e32 v7, 29, v36
	v_and_b32_e32 v33, 7, v33
	v_cmp_gt_u32_e64 s[6:7], 8, v32
	v_cndmask_b32_e64 v7, v35, v7, s[6:7]
	v_cndmask_b32_e64 v30, v30, v33, s[6:7]
	v_lshlrev_b32_e32 v31, 24, v31
	v_lshlrev_b32_e32 v30, 20, v30
	v_and_b32_e32 v31, 0x80000000, v31
	v_lshl_add_u32 v7, v7, 23, v17
	v_or3_b32 v30, v31, v7, v30
.LBB230_67:                             ;   in Loop: Header=BB230_9 Depth=1
	s_or_b64 exec, exec, s[40:41]
.LBB230_68:                             ;   in Loop: Header=BB230_9 Depth=1
	s_or_b64 exec, exec, s[38:39]
.LBB230_69:                             ;   in Loop: Header=BB230_9 Depth=1
	s_or_b64 exec, exec, s[36:37]
	global_load_ubyte v31, v[5:6], off offset:640
	s_waitcnt vmcnt(0)
	v_cmp_ne_u16_e64 s[6:7], 0, v31
	s_and_saveexec_b64 s[36:37], s[6:7]
	s_cbranch_execz .LBB230_75
; %bb.70:                               ;   in Loop: Header=BB230_9 Depth=1
	v_cmp_ne_u16_e64 s[6:7], s44, v31
	v_bfrev_b32_e32 v29, 1
	s_and_saveexec_b64 s[38:39], s[6:7]
	s_cbranch_execz .LBB230_74
; %bb.71:                               ;   in Loop: Header=BB230_9 Depth=1
	v_and_b32_e32 v7, 0xffff, v31
	v_and_b32_e32 v32, 0x7f, v7
	v_cmp_ne_u32_e64 s[6:7], s45, v32
	v_mov_b32_e32 v29, 0x7f800001
	s_and_saveexec_b64 s[40:41], s[6:7]
	s_cbranch_execz .LBB230_73
; %bb.72:                               ;   in Loop: Header=BB230_9 Depth=1
	v_and_b32_e32 v29, 7, v7
	v_ffbh_u32_e32 v33, v29
	v_min_u32_e32 v36, 32, v33
	v_subrev_u32_e32 v33, 28, v36
	v_lshlrev_b64 v[33:34], v33, v[7:8]
	v_lshrrev_b32_e32 v35, 3, v32
	v_sub_u32_e32 v7, 29, v36
	v_and_b32_e32 v33, 7, v33
	v_cmp_gt_u32_e64 s[6:7], 8, v32
	v_cndmask_b32_e64 v7, v35, v7, s[6:7]
	v_cndmask_b32_e64 v29, v29, v33, s[6:7]
	v_lshlrev_b32_e32 v31, 24, v31
	v_lshlrev_b32_e32 v29, 20, v29
	v_and_b32_e32 v31, 0x80000000, v31
	v_lshl_add_u32 v7, v7, 23, v17
	v_or3_b32 v29, v31, v7, v29
.LBB230_73:                             ;   in Loop: Header=BB230_9 Depth=1
	s_or_b64 exec, exec, s[40:41]
.LBB230_74:                             ;   in Loop: Header=BB230_9 Depth=1
	s_or_b64 exec, exec, s[38:39]
.LBB230_75:                             ;   in Loop: Header=BB230_9 Depth=1
	s_or_b64 exec, exec, s[36:37]
	global_load_ubyte v7, v[5:6], off offset:648
	v_mov_b32_e32 v6, 0
	s_waitcnt vmcnt(0)
	v_cmp_ne_u16_e64 s[6:7], 0, v7
	s_and_saveexec_b64 s[36:37], s[6:7]
	s_cbranch_execz .LBB230_81
; %bb.76:                               ;   in Loop: Header=BB230_9 Depth=1
	v_cmp_ne_u16_e64 s[6:7], s44, v7
	v_bfrev_b32_e32 v6, 1
	s_and_saveexec_b64 s[38:39], s[6:7]
	s_cbranch_execz .LBB230_80
; %bb.77:                               ;   in Loop: Header=BB230_9 Depth=1
	v_and_b32_e32 v5, 0xffff, v7
	v_and_b32_e32 v31, 0x7f, v5
	v_cmp_ne_u32_e64 s[6:7], s45, v31
	v_mov_b32_e32 v6, 0x7f800001
	s_and_saveexec_b64 s[40:41], s[6:7]
	s_cbranch_execz .LBB230_79
; %bb.78:                               ;   in Loop: Header=BB230_9 Depth=1
	v_and_b32_e32 v32, 7, v5
	v_ffbh_u32_e32 v6, v32
	v_min_u32_e32 v34, 32, v6
	v_subrev_u32_e32 v6, 28, v34
	v_lshlrev_b64 v[5:6], v6, v[5:6]
	v_lshrrev_b32_e32 v33, 3, v31
	v_sub_u32_e32 v6, 29, v34
	v_and_b32_e32 v5, 7, v5
	v_cmp_gt_u32_e64 s[6:7], 8, v31
	v_cndmask_b32_e64 v6, v33, v6, s[6:7]
	v_cndmask_b32_e64 v5, v32, v5, s[6:7]
	v_lshlrev_b32_e32 v7, 24, v7
	v_lshlrev_b32_e32 v5, 20, v5
	v_and_b32_e32 v7, 0x80000000, v7
	v_lshl_add_u32 v6, v6, 23, v17
	v_or3_b32 v6, v7, v6, v5
.LBB230_79:                             ;   in Loop: Header=BB230_9 Depth=1
	s_or_b64 exec, exec, s[40:41]
.LBB230_80:                             ;   in Loop: Header=BB230_9 Depth=1
	s_or_b64 exec, exec, s[38:39]
.LBB230_81:                             ;   in Loop: Header=BB230_9 Depth=1
	s_or_b64 exec, exec, s[36:37]
	v_fma_mixlo_f16 v5, v19, v20, 0
	ds_read_u16 v7, v14
	v_and_b32_e32 v20, 0xffff, v5
	s_waitcnt lgkmcnt(0)
	;;#ASMSTART
	v_cvt_f32_f16 v5, v7;
	;;#ASMEND
	;;#ASMSTART
	v_cvt_f32_f16 v7, v20;
	;;#ASMEND
	v_fma_mixlo_f16 v20, v19, v22, 0
	v_and_b32_e32 v22, 0xffff, v20
	ds_read_u16 v31, v14 offset:2
	s_waitcnt lgkmcnt(0)
	;;#ASMSTART
	v_cvt_f32_f16 v20, v31;
	;;#ASMEND
	;;#ASMSTART
	v_cvt_f32_f16 v22, v22;
	;;#ASMEND
	v_fma_mixlo_f16 v21, v19, v21, 0
	v_fma_mixlo_f16 v24, v19, v24, 0
	v_fma_mixlo_f16 v23, v19, v23, 0
	v_fma_mixlo_f16 v26, v19, v26, 0
	v_fma_mixlo_f16 v25, v19, v25, 0
	v_fma_mixlo_f16 v28, v19, v28, 0
	v_fma_mixlo_f16 v29, v19, v29, 0
	v_fma_mixlo_f16 v30, v19, v30, 0
	v_fma_mixlo_f16 v27, v19, v27, 0
	v_fma_mixlo_f16 v6, v19, v6, 0
	v_mul_f32_e32 v19, v20, v22
	ds_read_u16 v31, v14 offset:4
	v_and_b32_e32 v32, 0xffff, v21
	v_fmac_f32_e32 v19, v5, v7
	s_waitcnt lgkmcnt(0)
	;;#ASMSTART
	v_cvt_f32_f16 v21, v31;
	;;#ASMEND
	;;#ASMSTART
	v_cvt_f32_f16 v31, v32;
	;;#ASMEND
	ds_read_u16 v32, v14 offset:6
	v_and_b32_e32 v33, 0xffff, v24
	v_fmac_f32_e32 v19, v21, v31
	s_waitcnt lgkmcnt(0)
	;;#ASMSTART
	v_cvt_f32_f16 v24, v32;
	;;#ASMEND
	;;#ASMSTART
	v_cvt_f32_f16 v32, v33;
	;;#ASMEND
	;; [unrolled: 10-line block ×6, first 2 shown]
	ds_read_u16 v37, v14 offset:16
	v_fmac_f32_e32 v19, v28, v36
	v_and_b32_e32 v38, 0xffff, v27
	s_waitcnt lgkmcnt(0)
	;;#ASMSTART
	v_cvt_f32_f16 v27, v37;
	;;#ASMEND
	;;#ASMSTART
	v_cvt_f32_f16 v37, v38;
	;;#ASMEND
	v_and_b32_e32 v7, 0xffff, v30
	v_fmac_f32_e32 v19, v27, v37
	ds_read_u16 v38, v14 offset:18
	s_waitcnt lgkmcnt(0)
	;;#ASMSTART
	v_cvt_f32_f16 v5, v38;
	;;#ASMEND
	;;#ASMSTART
	v_cvt_f32_f16 v7, v7;
	;;#ASMEND
	ds_read_u16 v20, v14 offset:20
	v_and_b32_e32 v21, 0xffff, v29
	v_fmac_f32_e32 v19, v5, v7
	v_and_b32_e32 v6, 0xffff, v6
	s_waitcnt lgkmcnt(0)
	;;#ASMSTART
	v_cvt_f32_f16 v20, v20;
	;;#ASMEND
	;;#ASMSTART
	v_cvt_f32_f16 v21, v21;
	;;#ASMEND
	ds_read_u16 v22, v14 offset:22
	v_fmac_f32_e32 v19, v20, v21
	s_waitcnt lgkmcnt(0)
	;;#ASMSTART
	v_cvt_f32_f16 v5, v22;
	;;#ASMEND
	;;#ASMSTART
	v_cvt_f32_f16 v6, v6;
	;;#ASMEND
	v_fmac_f32_e32 v19, v5, v6
	v_and_b32_e32 v6, 64, v9
	v_add_u32_e32 v5, 64, v6
	v_xor_b32_e32 v7, 4, v9
	v_cmp_lt_i32_e64 s[6:7], v7, v5
	v_cndmask_b32_e64 v7, v9, v7, s[6:7]
	v_lshlrev_b32_e32 v7, 2, v7
	ds_bpermute_b32 v7, v7, v19
	s_waitcnt lgkmcnt(0)
	v_add_f32_e32 v7, v19, v7
	v_xor_b32_e32 v19, 2, v9
	v_cmp_lt_i32_e64 s[6:7], v19, v5
	v_cndmask_b32_e64 v19, v9, v19, s[6:7]
	v_lshlrev_b32_e32 v19, 2, v19
	ds_bpermute_b32 v19, v19, v7
	s_waitcnt lgkmcnt(0)
	v_add_f32_e32 v7, v7, v19
	v_xor_b32_e32 v19, 1, v9
	v_cmp_lt_i32_e64 s[6:7], v19, v5
	v_cndmask_b32_e64 v19, v9, v19, s[6:7]
	v_lshlrev_b32_e32 v19, 2, v19
	ds_bpermute_b32 v19, v19, v7
	s_and_saveexec_b64 s[36:37], vcc
	s_cbranch_execz .LBB230_8
; %bb.82:                               ;   in Loop: Header=BB230_9 Depth=1
	v_add_u32_e32 v20, s43, v15
	v_cvt_f32_i32_e32 v20, v20
	s_waitcnt lgkmcnt(0)
	v_add_f32_e32 v7, v7, v19
	v_cmp_gt_i32_e64 s[6:7], s21, v15
	v_max_f32_e32 v19, v10, v10
	v_mul_f32_e32 v20, s10, v20
	v_cndmask_b32_e64 v20, 0, v20, s[4:5]
	v_fmac_f32_e32 v20, s11, v7
	v_cndmask_b32_e64 v7, 0, v20, s[6:7]
	ds_write_b32 v16, v7
	v_max_f32_e32 v7, v19, v20
	v_cndmask_b32_e64 v10, v10, v7, s[6:7]
	s_branch .LBB230_8
.LBB230_83:
	s_or_b64 exec, exec, s[18:19]
.LBB230_84:
	s_or_b64 exec, exec, s[34:35]
	v_xor_b32_e32 v1, 32, v9
	v_cmp_lt_i32_e32 vcc, v1, v5
	v_cndmask_b32_e32 v1, v9, v1, vcc
	v_lshlrev_b32_e32 v2, 2, v1
	ds_bpermute_b32 v1, v2, v10
	v_xor_b32_e32 v4, 16, v9
	v_max_f32_e32 v3, v10, v10
	v_cmp_lt_i32_e32 vcc, v4, v5
	v_xor_b32_e32 v7, 8, v9
	s_waitcnt lgkmcnt(0)
	v_max_f32_e32 v1, v1, v1
	v_max_f32_e32 v1, v3, v1
	v_cndmask_b32_e32 v3, v9, v4, vcc
	v_lshlrev_b32_e32 v4, 2, v3
	ds_bpermute_b32 v3, v4, v1
	v_cmp_lt_i32_e32 vcc, v7, v5
	v_and_b32_e32 v13, 63, v0
	s_waitcnt lgkmcnt(0)
	v_max_f32_e32 v3, v3, v3
	v_max_f32_e32 v3, v1, v3
	v_cndmask_b32_e32 v1, v9, v7, vcc
	v_lshlrev_b32_e32 v10, 2, v1
	ds_bpermute_b32 v7, v10, v3
	v_cmp_eq_u32_e32 vcc, 0, v13
	v_lshlrev_b32_e32 v1, 2, v12
	s_and_saveexec_b64 s[4:5], vcc
	s_cbranch_execz .LBB230_86
; %bb.85:
	s_waitcnt lgkmcnt(0)
	v_max_f32_e32 v7, v7, v7
	v_max_f32_e32 v3, v3, v3
	;; [unrolled: 1-line block ×3, first 2 shown]
	ds_write_b32 v1, v3 offset:192
.LBB230_86:
	s_or_b64 exec, exec, s[4:5]
	v_cmp_gt_u32_e64 s[4:5], 2, v13
	v_mov_b32_e32 v14, 0xff7fffff
	v_lshlrev_b32_e32 v3, 2, v13
	s_waitcnt lgkmcnt(0)
	s_barrier
	s_and_saveexec_b64 s[6:7], s[4:5]
; %bb.87:
	ds_read_b32 v14, v3 offset:192
; %bb.88:
	s_or_b64 exec, exec, s[6:7]
	v_xor_b32_e32 v7, 1, v9
	v_cmp_lt_i32_e64 s[6:7], v7, v5
	v_cndmask_b32_e64 v7, v9, v7, s[6:7]
	v_lshlrev_b32_e32 v7, 2, v7
	s_waitcnt lgkmcnt(0)
	ds_bpermute_b32 v15, v7, v14
	v_max_f32_e32 v14, v14, v14
	v_lshlrev_b32_e32 v6, 2, v6
	s_lshl_b32 s6, s33, 3
	s_min_i32 s34, s6, s21
	s_waitcnt lgkmcnt(0)
	v_max_f32_e32 v15, v15, v15
	v_max_f32_e32 v14, v14, v15
	ds_bpermute_b32 v14, v6, v14
	v_cmp_gt_i32_e64 s[6:7], s34, v0
	v_mov_b32_e32 v6, 0
	s_and_saveexec_b64 s[12:13], s[6:7]
	s_cbranch_execz .LBB230_92
; %bb.89:
	v_mov_b32_e32 v6, 0xd0
	v_lshl_add_u32 v15, v0, 2, v6
	v_mov_b32_e32 v6, 0
	s_mov_b64 s[18:19], 0
	v_mov_b32_e32 v16, v0
.LBB230_90:                             ; =>This Inner Loop Header: Depth=1
	ds_read_b32 v17, v15
	v_add_u32_e32 v16, 0x80, v16
	v_cmp_le_i32_e64 s[10:11], s34, v16
	s_or_b64 s[18:19], s[10:11], s[18:19]
	s_waitcnt lgkmcnt(0)
	v_sub_f32_e32 v17, v17, v14
	v_mul_f32_e32 v17, 0x3fb8aa3b, v17
	v_exp_f32_e32 v17, v17
	ds_write_b32 v15, v17
	v_add_f32_e32 v6, v6, v17
	v_add_u32_e32 v15, 0x200, v15
	s_andn2_b64 exec, exec, s[18:19]
	s_cbranch_execnz .LBB230_90
; %bb.91:
	s_or_b64 exec, exec, s[18:19]
.LBB230_92:
	s_or_b64 exec, exec, s[12:13]
	ds_bpermute_b32 v2, v2, v6
	s_waitcnt lgkmcnt(0)
	v_add_f32_e32 v2, v6, v2
	ds_bpermute_b32 v4, v4, v2
	v_xor_b32_e32 v6, 4, v9
	v_cmp_lt_i32_e64 s[10:11], v6, v5
	v_cndmask_b32_e64 v6, v9, v6, s[10:11]
	v_lshlrev_b32_e32 v6, 2, v6
	s_waitcnt lgkmcnt(0)
	v_add_f32_e32 v2, v2, v4
	ds_bpermute_b32 v4, v10, v2
	s_waitcnt lgkmcnt(0)
	v_add_f32_e32 v2, v2, v4
	ds_bpermute_b32 v4, v6, v2
	v_xor_b32_e32 v6, 2, v9
	v_cmp_lt_i32_e64 s[10:11], v6, v5
	v_cndmask_b32_e64 v5, v9, v6, s[10:11]
	s_waitcnt lgkmcnt(0)
	v_add_f32_e32 v2, v2, v4
	v_lshlrev_b32_e32 v4, 2, v5
	ds_bpermute_b32 v4, v4, v2
	s_waitcnt lgkmcnt(0)
	v_add_f32_e32 v2, v2, v4
	ds_bpermute_b32 v4, v7, v2
	s_waitcnt lgkmcnt(0)
	v_add_f32_e32 v2, v2, v4
	s_and_saveexec_b64 s[10:11], vcc
; %bb.93:
	ds_write_b32 v1, v2 offset:200
; %bb.94:
	s_or_b64 exec, exec, s[10:11]
	s_waitcnt lgkmcnt(0)
	s_barrier
	s_and_saveexec_b64 s[10:11], s[4:5]
; %bb.95:
	ds_read_b32 v2, v3 offset:200
; %bb.96:
	s_or_b64 exec, exec, s[10:11]
	s_waitcnt lgkmcnt(0)
	ds_bpermute_b32 v1, v7, v2
	v_lshlrev_b32_e32 v3, 2, v9
	s_waitcnt lgkmcnt(0)
	v_add_f32_e32 v1, v2, v1
	v_and_b32_e32 v2, 0xffffff00, v3
	ds_bpermute_b32 v1, v2, v1
	s_and_saveexec_b64 s[4:5], s[6:7]
	s_cbranch_execz .LBB230_99
; %bb.97:
	s_waitcnt lgkmcnt(0)
	v_add_f32_e32 v2, 0x358637bd, v1
	v_div_scale_f32 v1, s[6:7], v2, v2, 1.0
	v_div_scale_f32 v3, vcc, 1.0, v2, 1.0
	s_mov_b64 s[6:7], 0
	v_rcp_f32_e32 v4, v1
	v_fma_f32 v5, -v1, v4, 1.0
	v_fmac_f32_e32 v4, v5, v4
	v_mul_f32_e32 v5, v3, v4
	v_fma_f32 v6, -v1, v5, v3
	v_fmac_f32_e32 v5, v6, v4
	v_fma_f32 v1, -v1, v5, v3
	v_div_fmas_f32 v3, v1, v4, v5
	v_mov_b32_e32 v1, 0xd0
	v_lshl_add_u32 v1, v0, 2, v1
	v_div_fixup_f32 v2, v3, v2, 1.0
	v_mov_b32_e32 v3, v0
.LBB230_98:                             ; =>This Inner Loop Header: Depth=1
	ds_read_b32 v4, v1
	v_add_u32_e32 v3, 0x80, v3
	v_cmp_le_i32_e32 vcc, s34, v3
	s_or_b64 s[6:7], vcc, s[6:7]
	s_waitcnt lgkmcnt(0)
	v_mul_f32_e32 v4, v2, v4
	ds_write_b32 v1, v4
	v_add_u32_e32 v1, 0x200, v1
	s_andn2_b64 exec, exec, s[6:7]
	s_cbranch_execnz .LBB230_98
.LBB230_99:
	s_or_b64 exec, exec, s[4:5]
	v_mov_b32_e32 v15, 0
	v_mov_b32_e32 v14, 0
	s_waitcnt lgkmcnt(0)
	s_barrier
	s_and_saveexec_b64 s[6:7], s[2:3]
	s_cbranch_execz .LBB230_205
; %bb.100:
	s_ashr_i32 s2, s16, 31
	s_add_u32 s4, s30, s16
	s_addc_u32 s5, s31, s2
	v_or_b32_e32 v1, 64, v13
	s_movk_i32 s2, 0x60
	s_add_i32 s30, s33, -1
	v_cmp_gt_u32_e32 vcc, s2, v1
	s_lshl_b64 s[2:3], s[28:29], 2
	v_lshlrev_b32_e32 v17, 3, v1
	v_mov_b32_e32 v1, 0xd0
	s_add_u32 s2, s26, s2
	v_lshl_add_u32 v19, v12, 5, v1
	v_and_b32_e32 v1, 60, v8
	s_addc_u32 s3, s27, s3
	s_mov_b32 s10, -1
	v_mov_b32_e32 v4, s3
	v_add_co_u32_e64 v3, s[2:3], s2, v1
	v_mov_b32_e32 v6, s5
	s_mov_b32 s34, s17
	s_mov_b32 s11, 0xffffff
	v_lshlrev_b32_e32 v16, 3, v13
	v_mov_b32_e32 v2, 0
	v_lshl_or_b32 v18, v12, 3, 7
	v_addc_co_u32_e64 v4, s[2:3], 0, v4, s[2:3]
	s_mov_b64 s[12:13], 0
	v_mov_b32_e32 v5, s4
	s_movk_i32 s31, 0x80
	s_movk_i32 s35, 0x7f
	s_mov_b32 s36, 0x8000
	v_mov_b32_e32 v20, 0x2000
	v_mov_b32_e32 v14, 0
	;; [unrolled: 1-line block ×3, first 2 shown]
	s_branch .LBB230_103
.LBB230_101:                            ;   in Loop: Header=BB230_103 Depth=1
	s_or_b64 exec, exec, s[4:5]
	;;#ASMSTART
	v_pk_mul_f16 v7, v25, v7;

	;;#ASMEND
	;;#ASMSTART
	v_pk_mul_f16 v1, v24, v1;

	;;#ASMEND
	;; [unrolled: 4-line block ×4, first 2 shown]
	;;#ASMSTART
	v_pk_add_f16 v1, v7, v1;

	;;#ASMEND
	;;#ASMSTART
	v_pk_add_f16 v1, v1, v8;

	;;#ASMEND
	;;#ASMSTART
	v_pk_add_f16 v1, v1, v9;

	;;#ASMEND
	v_lshrrev_b32_e32 v7, 16, v1
	v_and_b32_e32 v1, 0xffff, v1
	;;#ASMSTART
	v_cvt_f32_f16 v1, v1;
	;;#ASMEND
	;;#ASMSTART
	v_cvt_f32_f16 v7, v7;
	;;#ASMEND
	v_add_f32_e32 v1, v1, v7
	v_add_f32_e32 v14, v14, v1
.LBB230_102:                            ;   in Loop: Header=BB230_103 Depth=1
	s_or_b64 exec, exec, s[16:17]
	v_add_u32_e32 v12, 2, v12
	v_cmp_le_i32_e64 s[2:3], s33, v12
	v_add_f32_e32 v1, v10, v21
	s_or_b64 s[12:13], s[2:3], s[12:13]
	v_add_co_u32_e64 v3, s[2:3], 8, v3
	v_add_f32_e32 v15, v15, v1
	v_add_u32_e32 v18, 16, v18
	v_add_u32_e32 v19, 64, v19
	v_addc_co_u32_e64 v4, s[2:3], 0, v4, s[2:3]
	s_andn2_b64 exec, exec, s[12:13]
	s_cbranch_execz .LBB230_204
.LBB230_103:                            ; =>This Inner Loop Header: Depth=1
	global_load_dword v1, v[3:4], off
	ds_read2_b64 v[7:10], v19 offset1:1
	ds_read2_b64 v[26:29], v19 offset0:2 offset1:3
	s_waitcnt lgkmcnt(1)
	;;#ASMSTART
	v_cvt_f16_f32 v21, v7;

	;;#ASMEND
	;;#ASMSTART
	v_cvt_f16_f32 v22, v8;

	;;#ASMEND
	;; [unrolled: 4-line block ×4, first 2 shown]
	s_waitcnt lgkmcnt(0)
	;;#ASMSTART
	v_cvt_f16_f32 v26, v26;

	;;#ASMEND
	;;#ASMSTART
	v_cvt_f16_f32 v27, v27;

	;;#ASMEND
	;; [unrolled: 4-line block ×4, first 2 shown]
	s_waitcnt vmcnt(0)
	v_mad_i64_i32 v[7:8], s[2:3], v1, s34, v[5:6]
	v_add_co_u32_e64 v30, s[2:3], v7, v16
	v_addc_co_u32_e64 v31, s[2:3], 0, v8, s[2:3]
	global_load_dwordx2 v[9:10], v[30:31], off
	global_load_dword v25, v2, s[14:15]
	v_mov_b32_e32 v30, 0
	s_waitcnt vmcnt(1)
	v_cmp_ne_u16_sdwa s[2:3], v9, v2 src0_sel:BYTE_0 src1_sel:DWORD
	s_and_saveexec_b64 s[4:5], s[2:3]
	s_cbranch_execz .LBB230_109
; %bb.104:                              ;   in Loop: Header=BB230_103 Depth=1
	v_cmp_ne_u16_sdwa s[2:3], v9, s31 src0_sel:BYTE_0 src1_sel:DWORD
	v_mov_b32_e32 v30, 0x8000
	s_and_saveexec_b64 s[16:17], s[2:3]
	s_cbranch_execz .LBB230_108
; %bb.105:                              ;   in Loop: Header=BB230_103 Depth=1
	v_and_b32_e32 v1, 0x7f, v9
	v_cmp_ne_u32_e64 s[2:3], s35, v1
	v_mov_b32_e32 v30, 0x7c01
	s_and_saveexec_b64 s[18:19], s[2:3]
	s_cbranch_execz .LBB230_107
; %bb.106:                              ;   in Loop: Header=BB230_103 Depth=1
	v_and_b32_e32 v32, 7, v9
	v_ffbh_u32_e32 v30, v32
	v_min_u32_e32 v34, 32, v30
	v_subrev_u32_e32 v30, 28, v34
	v_lshlrev_b64 v[30:31], v30, v[9:10]
	v_lshrrev_b32_e32 v33, 3, v1
	v_sub_u32_e32 v31, 29, v34
	v_cmp_gt_u32_e64 s[2:3], 8, v1
	v_cndmask_b32_e64 v1, v33, v31, s[2:3]
	v_lshl_add_u32 v1, v1, 10, v20
	v_lshlrev_b32_e32 v31, 8, v9
	v_and_b32_e32 v30, 7, v30
	v_and_b32_e32 v1, 0xfc00, v1
	v_cndmask_b32_e64 v30, v32, v30, s[2:3]
	v_and_or_b32 v1, v31, s36, v1
	v_lshl_or_b32 v30, v30, 7, v1
.LBB230_107:                            ;   in Loop: Header=BB230_103 Depth=1
	s_or_b64 exec, exec, s[18:19]
.LBB230_108:                            ;   in Loop: Header=BB230_103 Depth=1
	s_or_b64 exec, exec, s[16:17]
.LBB230_109:                            ;   in Loop: Header=BB230_103 Depth=1
	s_or_b64 exec, exec, s[4:5]
	v_lshrrev_b16_e32 v1, 8, v9
	v_cmp_ne_u16_e64 s[2:3], 0, v1
	v_mov_b32_e32 v32, 0
	v_mov_b32_e32 v31, 0
	s_and_saveexec_b64 s[4:5], s[2:3]
	s_cbranch_execz .LBB230_115
; %bb.110:                              ;   in Loop: Header=BB230_103 Depth=1
	v_cmp_ne_u16_e64 s[2:3], s31, v1
	v_bfrev_b32_e32 v31, 1
	s_and_saveexec_b64 s[16:17], s[2:3]
	s_cbranch_execz .LBB230_114
; %bb.111:                              ;   in Loop: Header=BB230_103 Depth=1
	v_and_b32_e32 v33, 0x7f, v1
	v_cmp_ne_u32_e64 s[2:3], s35, v33
	v_mov_b32_e32 v31, 0x7c010000
	s_and_saveexec_b64 s[18:19], s[2:3]
	s_cbranch_execz .LBB230_113
; %bb.112:                              ;   in Loop: Header=BB230_103 Depth=1
	v_and_b32_e32 v31, 7, v1
	v_ffbh_u32_e32 v34, v31
	v_min_u32_e32 v37, 32, v34
	v_subrev_u32_e32 v34, 28, v37
	v_lshlrev_b64 v[34:35], v34, v[1:2]
	v_lshrrev_b32_e32 v36, 3, v33
	v_sub_u32_e32 v35, 29, v37
	v_cmp_gt_u32_e64 s[2:3], 8, v33
	v_cndmask_b32_e64 v33, v36, v35, s[2:3]
	v_lshlrev_b32_e32 v1, 8, v1
	v_lshl_add_u32 v33, v33, 10, v20
	v_and_b32_e32 v34, 7, v34
	v_and_or_b32 v1, v1, s36, v33
	v_cndmask_b32_e64 v31, v31, v34, s[2:3]
	v_lshlrev_b32_e32 v1, 16, v1
	v_lshl_or_b32 v31, v31, 23, v1
.LBB230_113:                            ;   in Loop: Header=BB230_103 Depth=1
	s_or_b64 exec, exec, s[18:19]
.LBB230_114:                            ;   in Loop: Header=BB230_103 Depth=1
	s_or_b64 exec, exec, s[16:17]
.LBB230_115:                            ;   in Loop: Header=BB230_103 Depth=1
	s_or_b64 exec, exec, s[4:5]
	v_lshrrev_b32_e32 v1, 16, v9
	v_cmp_ne_u16_sdwa s[2:3], v1, v2 src0_sel:BYTE_0 src1_sel:DWORD
	s_and_saveexec_b64 s[4:5], s[2:3]
	s_cbranch_execz .LBB230_121
; %bb.116:                              ;   in Loop: Header=BB230_103 Depth=1
	v_cmp_ne_u16_sdwa s[2:3], v1, s31 src0_sel:BYTE_0 src1_sel:DWORD
	v_mov_b32_e32 v32, 0x8000
	s_and_saveexec_b64 s[16:17], s[2:3]
	s_cbranch_execz .LBB230_120
; %bb.117:                              ;   in Loop: Header=BB230_103 Depth=1
	v_bfe_u32 v33, v9, 16, 7
	v_cmp_ne_u32_e64 s[2:3], s35, v33
	v_mov_b32_e32 v32, 0x7c01
	s_and_saveexec_b64 s[18:19], s[2:3]
	s_cbranch_execz .LBB230_119
; %bb.118:                              ;   in Loop: Header=BB230_103 Depth=1
	v_and_b32_e32 v32, 7, v1
	v_ffbh_u32_e32 v34, v32
	v_min_u32_e32 v37, 32, v34
	v_subrev_u32_e32 v34, 28, v37
	v_lshlrev_b64 v[34:35], v34, v[1:2]
	v_lshrrev_b32_e32 v36, 3, v33
	v_sub_u32_e32 v35, 29, v37
	v_cmp_gt_u32_e64 s[2:3], 8, v33
	v_cndmask_b32_e64 v33, v36, v35, s[2:3]
	v_lshl_add_u32 v33, v33, 10, v20
	v_lshlrev_b32_e32 v1, 8, v1
	v_and_b32_e32 v34, 7, v34
	v_and_b32_e32 v33, 0xfc00, v33
	v_cndmask_b32_e64 v32, v32, v34, s[2:3]
	v_and_or_b32 v1, v1, s36, v33
	v_lshl_or_b32 v32, v32, 7, v1
.LBB230_119:                            ;   in Loop: Header=BB230_103 Depth=1
	s_or_b64 exec, exec, s[18:19]
.LBB230_120:                            ;   in Loop: Header=BB230_103 Depth=1
	s_or_b64 exec, exec, s[16:17]
.LBB230_121:                            ;   in Loop: Header=BB230_103 Depth=1
	s_or_b64 exec, exec, s[4:5]
	v_cmp_lt_u32_e64 s[2:3], s11, v9
	v_mov_b32_e32 v33, 0
	v_mov_b32_e32 v34, 0
	s_and_saveexec_b64 s[4:5], s[2:3]
	s_cbranch_execz .LBB230_127
; %bb.122:                              ;   in Loop: Header=BB230_103 Depth=1
	v_lshrrev_b32_e32 v1, 24, v9
	v_cmp_ne_u32_e64 s[2:3], s31, v1
	v_bfrev_b32_e32 v34, 1
	s_and_saveexec_b64 s[16:17], s[2:3]
	s_cbranch_execz .LBB230_126
; %bb.123:                              ;   in Loop: Header=BB230_103 Depth=1
	v_and_b32_e32 v35, 0x7f, v1
	v_cmp_ne_u32_e64 s[2:3], s35, v35
	v_mov_b32_e32 v34, 0x7c010000
	s_and_saveexec_b64 s[18:19], s[2:3]
	s_cbranch_execz .LBB230_125
; %bb.124:                              ;   in Loop: Header=BB230_103 Depth=1
	v_and_b32_e32 v34, 7, v1
	v_ffbh_u32_e32 v36, v34
	v_min_u32_e32 v39, 32, v36
	v_subrev_u32_e32 v36, 28, v39
	v_lshlrev_b64 v[36:37], v36, v[1:2]
	v_lshrrev_b32_e32 v38, 3, v35
	v_sub_u32_e32 v37, 29, v39
	v_cmp_gt_u32_e64 s[2:3], 8, v35
	v_cndmask_b32_e64 v35, v38, v37, s[2:3]
	v_lshlrev_b32_e32 v1, 8, v1
	v_lshl_add_u32 v35, v35, 10, v20
	v_and_b32_e32 v36, 7, v36
	v_and_or_b32 v1, v1, s36, v35
	v_cndmask_b32_e64 v34, v34, v36, s[2:3]
	v_lshlrev_b32_e32 v1, 16, v1
	v_lshl_or_b32 v34, v34, 23, v1
.LBB230_125:                            ;   in Loop: Header=BB230_103 Depth=1
	s_or_b64 exec, exec, s[18:19]
.LBB230_126:                            ;   in Loop: Header=BB230_103 Depth=1
	s_or_b64 exec, exec, s[16:17]
.LBB230_127:                            ;   in Loop: Header=BB230_103 Depth=1
	s_or_b64 exec, exec, s[4:5]
	v_mov_b32_e32 v1, v10
	v_cmp_ne_u16_sdwa s[2:3], v10, v2 src0_sel:BYTE_0 src1_sel:DWORD
	s_and_saveexec_b64 s[4:5], s[2:3]
	s_cbranch_execz .LBB230_133
; %bb.128:                              ;   in Loop: Header=BB230_103 Depth=1
	v_cmp_ne_u16_sdwa s[2:3], v10, s31 src0_sel:BYTE_0 src1_sel:DWORD
	v_mov_b32_e32 v33, 0x8000
	s_and_saveexec_b64 s[16:17], s[2:3]
	s_cbranch_execz .LBB230_132
; %bb.129:                              ;   in Loop: Header=BB230_103 Depth=1
	v_and_b32_e32 v35, 0x7f, v10
	v_cmp_ne_u32_e64 s[2:3], s35, v35
	v_mov_b32_e32 v33, 0x7c01
	s_and_saveexec_b64 s[18:19], s[2:3]
	s_cbranch_execz .LBB230_131
; %bb.130:                              ;   in Loop: Header=BB230_103 Depth=1
	v_and_b32_e32 v33, 7, v10
	v_ffbh_u32_e32 v36, v33
	v_min_u32_e32 v39, 32, v36
	v_subrev_u32_e32 v36, 28, v39
	v_lshlrev_b64 v[36:37], v36, v[1:2]
	v_lshrrev_b32_e32 v38, 3, v35
	v_sub_u32_e32 v37, 29, v39
	v_cmp_gt_u32_e64 s[2:3], 8, v35
	v_cndmask_b32_e64 v35, v38, v37, s[2:3]
	v_lshl_add_u32 v35, v35, 10, v20
	v_lshlrev_b32_e32 v37, 8, v10
	v_and_b32_e32 v36, 7, v36
	v_and_b32_e32 v35, 0xfc00, v35
	v_cndmask_b32_e64 v33, v33, v36, s[2:3]
	v_and_or_b32 v35, v37, s36, v35
	v_lshl_or_b32 v33, v33, 7, v35
.LBB230_131:                            ;   in Loop: Header=BB230_103 Depth=1
	s_or_b64 exec, exec, s[18:19]
.LBB230_132:                            ;   in Loop: Header=BB230_103 Depth=1
	s_or_b64 exec, exec, s[16:17]
.LBB230_133:                            ;   in Loop: Header=BB230_103 Depth=1
	s_or_b64 exec, exec, s[4:5]
	v_lshrrev_b16_e32 v1, 8, v1
	v_cmp_ne_u16_e64 s[2:3], 0, v1
	v_mov_b32_e32 v35, 0
	v_mov_b32_e32 v36, 0
	s_and_saveexec_b64 s[4:5], s[2:3]
	s_cbranch_execz .LBB230_139
; %bb.134:                              ;   in Loop: Header=BB230_103 Depth=1
	v_cmp_ne_u16_e64 s[2:3], s31, v1
	v_bfrev_b32_e32 v36, 1
	s_and_saveexec_b64 s[16:17], s[2:3]
	s_cbranch_execz .LBB230_138
; %bb.135:                              ;   in Loop: Header=BB230_103 Depth=1
	v_and_b32_e32 v37, 0x7f, v1
	v_cmp_ne_u32_e64 s[2:3], s35, v37
	v_mov_b32_e32 v36, 0x7c010000
	s_and_saveexec_b64 s[18:19], s[2:3]
	s_cbranch_execz .LBB230_137
; %bb.136:                              ;   in Loop: Header=BB230_103 Depth=1
	v_and_b32_e32 v36, 7, v1
	v_ffbh_u32_e32 v38, v36
	v_min_u32_e32 v41, 32, v38
	v_subrev_u32_e32 v38, 28, v41
	v_lshlrev_b64 v[38:39], v38, v[1:2]
	v_lshrrev_b32_e32 v40, 3, v37
	v_sub_u32_e32 v39, 29, v41
	v_cmp_gt_u32_e64 s[2:3], 8, v37
	v_cndmask_b32_e64 v37, v40, v39, s[2:3]
	v_lshlrev_b32_e32 v1, 8, v1
	v_lshl_add_u32 v37, v37, 10, v20
	v_and_b32_e32 v38, 7, v38
	v_and_or_b32 v1, v1, s36, v37
	v_cndmask_b32_e64 v36, v36, v38, s[2:3]
	v_lshlrev_b32_e32 v1, 16, v1
	v_lshl_or_b32 v36, v36, 23, v1
.LBB230_137:                            ;   in Loop: Header=BB230_103 Depth=1
	s_or_b64 exec, exec, s[18:19]
.LBB230_138:                            ;   in Loop: Header=BB230_103 Depth=1
	s_or_b64 exec, exec, s[16:17]
.LBB230_139:                            ;   in Loop: Header=BB230_103 Depth=1
	s_or_b64 exec, exec, s[4:5]
	v_lshrrev_b32_e32 v1, 16, v10
	v_cmp_ne_u16_sdwa s[2:3], v1, v2 src0_sel:BYTE_0 src1_sel:DWORD
	s_and_saveexec_b64 s[4:5], s[2:3]
	s_cbranch_execz .LBB230_145
; %bb.140:                              ;   in Loop: Header=BB230_103 Depth=1
	v_cmp_ne_u16_sdwa s[2:3], v1, s31 src0_sel:BYTE_0 src1_sel:DWORD
	v_mov_b32_e32 v35, 0x8000
	s_and_saveexec_b64 s[16:17], s[2:3]
	s_cbranch_execz .LBB230_144
; %bb.141:                              ;   in Loop: Header=BB230_103 Depth=1
	v_bfe_u32 v37, v10, 16, 7
	v_cmp_ne_u32_e64 s[2:3], s35, v37
	v_mov_b32_e32 v35, 0x7c01
	s_and_saveexec_b64 s[18:19], s[2:3]
	s_cbranch_execz .LBB230_143
; %bb.142:                              ;   in Loop: Header=BB230_103 Depth=1
	v_and_b32_e32 v35, 7, v1
	v_ffbh_u32_e32 v38, v35
	v_min_u32_e32 v41, 32, v38
	v_subrev_u32_e32 v38, 28, v41
	v_lshlrev_b64 v[38:39], v38, v[1:2]
	v_lshrrev_b32_e32 v40, 3, v37
	v_sub_u32_e32 v39, 29, v41
	v_cmp_gt_u32_e64 s[2:3], 8, v37
	v_cndmask_b32_e64 v37, v40, v39, s[2:3]
	v_lshl_add_u32 v37, v37, 10, v20
	v_lshlrev_b32_e32 v1, 8, v1
	v_and_b32_e32 v38, 7, v38
	v_and_b32_e32 v37, 0xfc00, v37
	v_cndmask_b32_e64 v35, v35, v38, s[2:3]
	v_and_or_b32 v1, v1, s36, v37
	v_lshl_or_b32 v35, v35, 7, v1
.LBB230_143:                            ;   in Loop: Header=BB230_103 Depth=1
	s_or_b64 exec, exec, s[18:19]
.LBB230_144:                            ;   in Loop: Header=BB230_103 Depth=1
	s_or_b64 exec, exec, s[16:17]
.LBB230_145:                            ;   in Loop: Header=BB230_103 Depth=1
	s_or_b64 exec, exec, s[4:5]
	v_cmp_lt_u64_e64 s[2:3], s[10:11], v[9:10]
	v_mov_b32_e32 v37, 0
	s_and_saveexec_b64 s[4:5], s[2:3]
	s_cbranch_execz .LBB230_151
; %bb.146:                              ;   in Loop: Header=BB230_103 Depth=1
	v_lshrrev_b32_e32 v1, 24, v10
	v_cmp_ne_u32_e64 s[2:3], s31, v1
	v_bfrev_b32_e32 v37, 1
	s_and_saveexec_b64 s[16:17], s[2:3]
	s_cbranch_execz .LBB230_150
; %bb.147:                              ;   in Loop: Header=BB230_103 Depth=1
	v_and_b32_e32 v9, 0x7f, v1
	v_cmp_ne_u32_e64 s[2:3], s35, v9
	v_mov_b32_e32 v37, 0x7c010000
	s_and_saveexec_b64 s[18:19], s[2:3]
	s_cbranch_execz .LBB230_149
; %bb.148:                              ;   in Loop: Header=BB230_103 Depth=1
	v_and_b32_e32 v10, 7, v1
	v_ffbh_u32_e32 v37, v10
	v_min_u32_e32 v40, 32, v37
	v_subrev_u32_e32 v37, 28, v40
	v_lshlrev_b64 v[37:38], v37, v[1:2]
	v_lshrrev_b32_e32 v39, 3, v9
	v_sub_u32_e32 v38, 29, v40
	v_cmp_gt_u32_e64 s[2:3], 8, v9
	v_cndmask_b32_e64 v9, v39, v38, s[2:3]
	v_lshlrev_b32_e32 v1, 8, v1
	v_lshl_add_u32 v9, v9, 10, v20
	v_and_b32_e32 v37, 7, v37
	v_and_or_b32 v1, v1, s36, v9
	v_cndmask_b32_e64 v10, v10, v37, s[2:3]
	v_lshlrev_b32_e32 v1, 16, v1
	v_lshl_or_b32 v37, v10, 23, v1
.LBB230_149:                            ;   in Loop: Header=BB230_103 Depth=1
	s_or_b64 exec, exec, s[18:19]
.LBB230_150:                            ;   in Loop: Header=BB230_103 Depth=1
	s_or_b64 exec, exec, s[16:17]
.LBB230_151:                            ;   in Loop: Header=BB230_103 Depth=1
	s_or_b64 exec, exec, s[4:5]
	s_waitcnt vmcnt(0)
	v_fma_mixlo_f16 v10, v25, v34, 0 op_sel:[0,1,0] op_sel_hi:[0,1,0]
	v_or_b32_e32 v1, v34, v32
	v_lshlrev_b32_e32 v32, 16, v10
	v_or_b32_e32 v10, v31, v30
	v_fma_mixlo_f16 v30, v25, v31, 0 op_sel:[0,1,0] op_sel_hi:[0,1,0]
	v_lshlrev_b32_e32 v38, 16, v30
	v_or_b32_e32 v30, v36, v33
	v_or_b32_e32 v33, v37, v35
	v_fma_mixlo_f16 v1, v25, v1, 0 op_sel_hi:[0,1,0]
	v_fma_mixlo_f16 v10, v25, v10, 0 op_sel_hi:[0,1,0]
	v_fma_mixlo_f16 v31, v25, v36, 0 op_sel:[0,1,0] op_sel_hi:[0,1,0]
	v_fma_mixlo_f16 v30, v25, v30, 0 op_sel_hi:[0,1,0]
	v_fma_mixlo_f16 v33, v25, v33, 0 op_sel_hi:[0,1,0]
	v_fma_mixlo_f16 v25, v25, v37, 0 op_sel:[0,1,0] op_sel_hi:[0,1,0]
	v_and_b32_e32 v34, 0xffff, v1
	v_and_b32_e32 v39, 0xffff, v10
	v_lshlrev_b32_e32 v31, 16, v31
	v_and_b32_e32 v36, 0xffff, v30
	v_lshlrev_b32_e32 v25, 16, v25
	v_and_b32_e32 v33, 0xffff, v33
	v_add_u32_e32 v9, -7, v18
	v_cmp_eq_u32_e64 s[2:3], s30, v12
	v_or_b32_e32 v1, v32, v34
	v_or_b32_e32 v10, v38, v39
	;; [unrolled: 1-line block ×4, first 2 shown]
	s_and_saveexec_b64 s[16:17], s[2:3]
	s_cbranch_execz .LBB230_153
; %bb.152:                              ;   in Loop: Header=BB230_103 Depth=1
	v_cmp_gt_i32_e64 s[4:5], s21, v9
	v_add_u32_e32 v10, -6, v18
	v_cndmask_b32_e64 v1, 0, v39, s[4:5]
	v_cmp_gt_i32_e64 s[4:5], s21, v10
	v_cndmask_b32_e64 v10, 0, v38, s[4:5]
	v_or_b32_e32 v10, v10, v1
	v_add_u32_e32 v1, -5, v18
	v_cmp_gt_i32_e64 s[4:5], s21, v1
	v_add_u32_e32 v30, -4, v18
	v_cndmask_b32_e64 v1, 0, v34, s[4:5]
	v_cmp_gt_i32_e64 s[4:5], s21, v30
	v_cndmask_b32_e64 v30, 0, v32, s[4:5]
	v_or_b32_e32 v1, v30, v1
	v_add_u32_e32 v30, -3, v18
	v_cmp_gt_i32_e64 s[4:5], s21, v30
	v_add_u32_e32 v32, -2, v18
	v_cndmask_b32_e64 v30, 0, v36, s[4:5]
	v_cmp_gt_i32_e64 s[4:5], s21, v32
	v_cndmask_b32_e64 v31, 0, v31, s[4:5]
	v_or_b32_e32 v30, v31, v30
	v_add_u32_e32 v31, -1, v18
	v_cmp_gt_i32_e64 s[4:5], s21, v31
	v_cndmask_b32_e64 v31, 0, v33, s[4:5]
	v_cmp_gt_i32_e64 s[4:5], s21, v18
	v_cndmask_b32_e64 v25, 0, v25, s[4:5]
	v_or_b32_e32 v35, v25, v31
.LBB230_153:                            ;   in Loop: Header=BB230_103 Depth=1
	s_or_b64 exec, exec, s[16:17]
	v_and_b32_e32 v21, 0xffff, v21
	v_lshl_or_b32 v25, v22, 16, v21
	v_and_b32_e32 v21, 0xffff, v23
	v_lshl_or_b32 v24, v24, 16, v21
	;; [unrolled: 2-line block ×3, first 2 shown]
	v_and_b32_e32 v21, 0xffff, v28
	;;#ASMSTART
	v_pk_mul_f16 v10, v25, v10;

	;;#ASMEND
	;;#ASMSTART
	v_pk_mul_f16 v1, v24, v1;

	;;#ASMEND
	v_lshl_or_b32 v22, v29, 16, v21
	;;#ASMSTART
	v_pk_mul_f16 v21, v23, v30;

	;;#ASMEND
	;;#ASMSTART
	v_pk_mul_f16 v26, v22, v35;

	;;#ASMEND
	;;#ASMSTART
	v_pk_add_f16 v1, v10, v1;

	;;#ASMEND
	;;#ASMSTART
	v_pk_add_f16 v1, v1, v21;
	;; [unrolled: 4-line block ×3, first 2 shown]

	;;#ASMEND
	v_lshrrev_b32_e32 v21, 16, v1
	v_and_b32_e32 v1, 0xffff, v1
	;;#ASMSTART
	v_cvt_f32_f16 v10, v1;
	;;#ASMEND
	;;#ASMSTART
	v_cvt_f32_f16 v21, v21;
	;;#ASMEND
	s_and_saveexec_b64 s[16:17], vcc
	s_cbranch_execz .LBB230_102
; %bb.154:                              ;   in Loop: Header=BB230_103 Depth=1
	v_add_co_u32_e64 v7, s[4:5], v7, v17
	v_addc_co_u32_e64 v8, s[4:5], 0, v8, s[4:5]
	global_load_dwordx2 v[7:8], v[7:8], off
	v_mov_b32_e32 v27, 0
	global_load_dword v26, v27, s[14:15]
	v_mov_b32_e32 v28, 0
	s_waitcnt vmcnt(1)
	v_cmp_ne_u16_sdwa s[4:5], v7, v2 src0_sel:BYTE_0 src1_sel:DWORD
	s_and_saveexec_b64 s[18:19], s[4:5]
	s_cbranch_execz .LBB230_160
; %bb.155:                              ;   in Loop: Header=BB230_103 Depth=1
	v_cmp_ne_u16_sdwa s[4:5], v7, s31 src0_sel:BYTE_0 src1_sel:DWORD
	v_mov_b32_e32 v28, 0x8000
	s_and_saveexec_b64 s[26:27], s[4:5]
	s_cbranch_execz .LBB230_159
; %bb.156:                              ;   in Loop: Header=BB230_103 Depth=1
	v_and_b32_e32 v1, 0x7f, v7
	v_cmp_ne_u32_e64 s[4:5], s35, v1
	v_mov_b32_e32 v28, 0x7c01
	s_and_saveexec_b64 s[28:29], s[4:5]
	s_cbranch_execz .LBB230_158
; %bb.157:                              ;   in Loop: Header=BB230_103 Depth=1
	v_and_b32_e32 v30, 7, v7
	v_ffbh_u32_e32 v28, v30
	v_min_u32_e32 v32, 32, v28
	v_subrev_u32_e32 v28, 28, v32
	v_lshlrev_b64 v[28:29], v28, v[7:8]
	v_lshrrev_b32_e32 v31, 3, v1
	v_sub_u32_e32 v29, 29, v32
	v_cmp_gt_u32_e64 s[4:5], 8, v1
	v_cndmask_b32_e64 v1, v31, v29, s[4:5]
	v_lshl_add_u32 v1, v1, 10, v20
	v_lshlrev_b32_e32 v29, 8, v7
	v_and_b32_e32 v28, 7, v28
	v_and_b32_e32 v1, 0xfc00, v1
	v_cndmask_b32_e64 v28, v30, v28, s[4:5]
	v_and_or_b32 v1, v29, s36, v1
	v_lshl_or_b32 v28, v28, 7, v1
.LBB230_158:                            ;   in Loop: Header=BB230_103 Depth=1
	s_or_b64 exec, exec, s[28:29]
.LBB230_159:                            ;   in Loop: Header=BB230_103 Depth=1
	s_or_b64 exec, exec, s[26:27]
.LBB230_160:                            ;   in Loop: Header=BB230_103 Depth=1
	s_or_b64 exec, exec, s[18:19]
	v_lshrrev_b16_e32 v1, 8, v7
	v_cmp_ne_u16_e64 s[4:5], 0, v1
	s_and_saveexec_b64 s[18:19], s[4:5]
	s_cbranch_execz .LBB230_166
; %bb.161:                              ;   in Loop: Header=BB230_103 Depth=1
	v_cmp_ne_u16_e64 s[4:5], s31, v1
	v_bfrev_b32_e32 v27, 1
	s_and_saveexec_b64 s[26:27], s[4:5]
	s_cbranch_execz .LBB230_165
; %bb.162:                              ;   in Loop: Header=BB230_103 Depth=1
	v_and_b32_e32 v29, 0x7f, v1
	v_cmp_ne_u32_e64 s[4:5], s35, v29
	v_mov_b32_e32 v27, 0x7c010000
	s_and_saveexec_b64 s[28:29], s[4:5]
	s_cbranch_execz .LBB230_164
; %bb.163:                              ;   in Loop: Header=BB230_103 Depth=1
	v_and_b32_e32 v27, 7, v1
	v_ffbh_u32_e32 v30, v27
	v_min_u32_e32 v33, 32, v30
	v_subrev_u32_e32 v30, 28, v33
	v_lshlrev_b64 v[30:31], v30, v[1:2]
	v_lshrrev_b32_e32 v32, 3, v29
	v_sub_u32_e32 v31, 29, v33
	v_cmp_gt_u32_e64 s[4:5], 8, v29
	v_cndmask_b32_e64 v29, v32, v31, s[4:5]
	v_lshlrev_b32_e32 v1, 8, v1
	v_lshl_add_u32 v29, v29, 10, v20
	v_and_b32_e32 v30, 7, v30
	v_and_or_b32 v1, v1, s36, v29
	v_cndmask_b32_e64 v27, v27, v30, s[4:5]
	v_lshlrev_b32_e32 v1, 16, v1
	v_lshl_or_b32 v27, v27, 23, v1
.LBB230_164:                            ;   in Loop: Header=BB230_103 Depth=1
	s_or_b64 exec, exec, s[28:29]
.LBB230_165:                            ;   in Loop: Header=BB230_103 Depth=1
	s_or_b64 exec, exec, s[26:27]
.LBB230_166:                            ;   in Loop: Header=BB230_103 Depth=1
	s_or_b64 exec, exec, s[18:19]
	v_lshrrev_b32_e32 v1, 16, v7
	v_cmp_ne_u16_sdwa s[4:5], v1, v2 src0_sel:BYTE_0 src1_sel:DWORD
	v_mov_b32_e32 v29, 0
	v_mov_b32_e32 v30, 0
	s_and_saveexec_b64 s[18:19], s[4:5]
	s_cbranch_execz .LBB230_172
; %bb.167:                              ;   in Loop: Header=BB230_103 Depth=1
	v_cmp_ne_u16_sdwa s[4:5], v1, s31 src0_sel:BYTE_0 src1_sel:DWORD
	v_mov_b32_e32 v30, 0x8000
	s_and_saveexec_b64 s[26:27], s[4:5]
	s_cbranch_execz .LBB230_171
; %bb.168:                              ;   in Loop: Header=BB230_103 Depth=1
	v_bfe_u32 v31, v7, 16, 7
	v_cmp_ne_u32_e64 s[4:5], s35, v31
	v_mov_b32_e32 v30, 0x7c01
	s_and_saveexec_b64 s[28:29], s[4:5]
	s_cbranch_execz .LBB230_170
; %bb.169:                              ;   in Loop: Header=BB230_103 Depth=1
	v_and_b32_e32 v30, 7, v1
	v_ffbh_u32_e32 v32, v30
	v_min_u32_e32 v35, 32, v32
	v_subrev_u32_e32 v32, 28, v35
	v_lshlrev_b64 v[32:33], v32, v[1:2]
	v_lshrrev_b32_e32 v34, 3, v31
	v_sub_u32_e32 v33, 29, v35
	v_cmp_gt_u32_e64 s[4:5], 8, v31
	v_cndmask_b32_e64 v31, v34, v33, s[4:5]
	v_lshl_add_u32 v31, v31, 10, v20
	v_lshlrev_b32_e32 v1, 8, v1
	v_and_b32_e32 v32, 7, v32
	v_and_b32_e32 v31, 0xfc00, v31
	v_cndmask_b32_e64 v30, v30, v32, s[4:5]
	v_and_or_b32 v1, v1, s36, v31
	v_lshl_or_b32 v30, v30, 7, v1
.LBB230_170:                            ;   in Loop: Header=BB230_103 Depth=1
	s_or_b64 exec, exec, s[28:29]
.LBB230_171:                            ;   in Loop: Header=BB230_103 Depth=1
	s_or_b64 exec, exec, s[26:27]
.LBB230_172:                            ;   in Loop: Header=BB230_103 Depth=1
	s_or_b64 exec, exec, s[18:19]
	v_cmp_lt_u32_e64 s[4:5], s11, v7
	s_and_saveexec_b64 s[18:19], s[4:5]
	s_cbranch_execz .LBB230_178
; %bb.173:                              ;   in Loop: Header=BB230_103 Depth=1
	v_lshrrev_b32_e32 v1, 24, v7
	v_cmp_ne_u32_e64 s[4:5], s31, v1
	v_bfrev_b32_e32 v29, 1
	s_and_saveexec_b64 s[26:27], s[4:5]
	s_cbranch_execz .LBB230_177
; %bb.174:                              ;   in Loop: Header=BB230_103 Depth=1
	v_and_b32_e32 v31, 0x7f, v1
	v_cmp_ne_u32_e64 s[4:5], s35, v31
	v_mov_b32_e32 v29, 0x7c010000
	s_and_saveexec_b64 s[28:29], s[4:5]
	s_cbranch_execz .LBB230_176
; %bb.175:                              ;   in Loop: Header=BB230_103 Depth=1
	v_and_b32_e32 v29, 7, v1
	v_ffbh_u32_e32 v32, v29
	v_min_u32_e32 v35, 32, v32
	v_subrev_u32_e32 v32, 28, v35
	v_lshlrev_b64 v[32:33], v32, v[1:2]
	v_lshrrev_b32_e32 v34, 3, v31
	v_sub_u32_e32 v33, 29, v35
	v_cmp_gt_u32_e64 s[4:5], 8, v31
	v_cndmask_b32_e64 v31, v34, v33, s[4:5]
	v_lshlrev_b32_e32 v1, 8, v1
	v_lshl_add_u32 v31, v31, 10, v20
	v_and_b32_e32 v32, 7, v32
	v_and_or_b32 v1, v1, s36, v31
	v_cndmask_b32_e64 v29, v29, v32, s[4:5]
	v_lshlrev_b32_e32 v1, 16, v1
	v_lshl_or_b32 v29, v29, 23, v1
.LBB230_176:                            ;   in Loop: Header=BB230_103 Depth=1
	s_or_b64 exec, exec, s[28:29]
.LBB230_177:                            ;   in Loop: Header=BB230_103 Depth=1
	s_or_b64 exec, exec, s[26:27]
.LBB230_178:                            ;   in Loop: Header=BB230_103 Depth=1
	s_or_b64 exec, exec, s[18:19]
	v_mov_b32_e32 v1, v8
	v_cmp_ne_u16_sdwa s[4:5], v8, v2 src0_sel:BYTE_0 src1_sel:DWORD
	v_mov_b32_e32 v31, 0
	v_mov_b32_e32 v32, 0
	s_and_saveexec_b64 s[18:19], s[4:5]
	s_cbranch_execz .LBB230_184
; %bb.179:                              ;   in Loop: Header=BB230_103 Depth=1
	v_cmp_ne_u16_sdwa s[4:5], v8, s31 src0_sel:BYTE_0 src1_sel:DWORD
	v_mov_b32_e32 v32, 0x8000
	s_and_saveexec_b64 s[26:27], s[4:5]
	s_cbranch_execz .LBB230_183
; %bb.180:                              ;   in Loop: Header=BB230_103 Depth=1
	v_and_b32_e32 v33, 0x7f, v8
	v_cmp_ne_u32_e64 s[4:5], s35, v33
	v_mov_b32_e32 v32, 0x7c01
	s_and_saveexec_b64 s[28:29], s[4:5]
	s_cbranch_execz .LBB230_182
; %bb.181:                              ;   in Loop: Header=BB230_103 Depth=1
	v_and_b32_e32 v32, 7, v8
	v_ffbh_u32_e32 v34, v32
	v_min_u32_e32 v37, 32, v34
	v_subrev_u32_e32 v34, 28, v37
	v_lshlrev_b64 v[34:35], v34, v[1:2]
	v_lshrrev_b32_e32 v36, 3, v33
	v_sub_u32_e32 v35, 29, v37
	v_cmp_gt_u32_e64 s[4:5], 8, v33
	v_cndmask_b32_e64 v33, v36, v35, s[4:5]
	v_lshl_add_u32 v33, v33, 10, v20
	v_lshlrev_b32_e32 v35, 8, v8
	v_and_b32_e32 v34, 7, v34
	v_and_b32_e32 v33, 0xfc00, v33
	v_cndmask_b32_e64 v32, v32, v34, s[4:5]
	v_and_or_b32 v33, v35, s36, v33
	v_lshl_or_b32 v32, v32, 7, v33
.LBB230_182:                            ;   in Loop: Header=BB230_103 Depth=1
	s_or_b64 exec, exec, s[28:29]
.LBB230_183:                            ;   in Loop: Header=BB230_103 Depth=1
	s_or_b64 exec, exec, s[26:27]
.LBB230_184:                            ;   in Loop: Header=BB230_103 Depth=1
	s_or_b64 exec, exec, s[18:19]
	v_lshrrev_b16_e32 v1, 8, v1
	v_cmp_ne_u16_e64 s[4:5], 0, v1
	v_mov_b32_e32 v33, 0
	s_and_saveexec_b64 s[18:19], s[4:5]
	s_cbranch_execz .LBB230_190
; %bb.185:                              ;   in Loop: Header=BB230_103 Depth=1
	v_cmp_ne_u16_e64 s[4:5], s31, v1
	v_bfrev_b32_e32 v33, 1
	s_and_saveexec_b64 s[26:27], s[4:5]
	s_cbranch_execz .LBB230_189
; %bb.186:                              ;   in Loop: Header=BB230_103 Depth=1
	v_and_b32_e32 v34, 0x7f, v1
	v_cmp_ne_u32_e64 s[4:5], s35, v34
	v_mov_b32_e32 v33, 0x7c010000
	s_and_saveexec_b64 s[28:29], s[4:5]
	s_cbranch_execz .LBB230_188
; %bb.187:                              ;   in Loop: Header=BB230_103 Depth=1
	v_and_b32_e32 v33, 7, v1
	v_ffbh_u32_e32 v35, v33
	v_min_u32_e32 v38, 32, v35
	v_subrev_u32_e32 v35, 28, v38
	v_lshlrev_b64 v[35:36], v35, v[1:2]
	v_lshrrev_b32_e32 v37, 3, v34
	v_sub_u32_e32 v36, 29, v38
	v_cmp_gt_u32_e64 s[4:5], 8, v34
	v_cndmask_b32_e64 v34, v37, v36, s[4:5]
	v_lshlrev_b32_e32 v1, 8, v1
	v_lshl_add_u32 v34, v34, 10, v20
	v_and_b32_e32 v35, 7, v35
	v_and_or_b32 v1, v1, s36, v34
	v_cndmask_b32_e64 v33, v33, v35, s[4:5]
	v_lshlrev_b32_e32 v1, 16, v1
	v_lshl_or_b32 v33, v33, 23, v1
.LBB230_188:                            ;   in Loop: Header=BB230_103 Depth=1
	s_or_b64 exec, exec, s[28:29]
.LBB230_189:                            ;   in Loop: Header=BB230_103 Depth=1
	s_or_b64 exec, exec, s[26:27]
.LBB230_190:                            ;   in Loop: Header=BB230_103 Depth=1
	s_or_b64 exec, exec, s[18:19]
	v_lshrrev_b32_e32 v1, 16, v8
	v_cmp_ne_u16_sdwa s[4:5], v1, v2 src0_sel:BYTE_0 src1_sel:DWORD
	s_and_saveexec_b64 s[18:19], s[4:5]
	s_cbranch_execz .LBB230_196
; %bb.191:                              ;   in Loop: Header=BB230_103 Depth=1
	v_cmp_ne_u16_sdwa s[4:5], v1, s31 src0_sel:BYTE_0 src1_sel:DWORD
	v_mov_b32_e32 v31, 0x8000
	s_and_saveexec_b64 s[26:27], s[4:5]
	s_cbranch_execz .LBB230_195
; %bb.192:                              ;   in Loop: Header=BB230_103 Depth=1
	v_bfe_u32 v34, v8, 16, 7
	v_cmp_ne_u32_e64 s[4:5], s35, v34
	v_mov_b32_e32 v31, 0x7c01
	s_and_saveexec_b64 s[28:29], s[4:5]
	s_cbranch_execz .LBB230_194
; %bb.193:                              ;   in Loop: Header=BB230_103 Depth=1
	v_and_b32_e32 v31, 7, v1
	v_ffbh_u32_e32 v35, v31
	v_min_u32_e32 v38, 32, v35
	v_subrev_u32_e32 v35, 28, v38
	v_lshlrev_b64 v[35:36], v35, v[1:2]
	v_lshrrev_b32_e32 v37, 3, v34
	v_sub_u32_e32 v36, 29, v38
	v_cmp_gt_u32_e64 s[4:5], 8, v34
	v_cndmask_b32_e64 v34, v37, v36, s[4:5]
	v_lshl_add_u32 v34, v34, 10, v20
	v_lshlrev_b32_e32 v1, 8, v1
	v_and_b32_e32 v35, 7, v35
	v_and_b32_e32 v34, 0xfc00, v34
	v_cndmask_b32_e64 v31, v31, v35, s[4:5]
	v_and_or_b32 v1, v1, s36, v34
	v_lshl_or_b32 v31, v31, 7, v1
.LBB230_194:                            ;   in Loop: Header=BB230_103 Depth=1
	s_or_b64 exec, exec, s[28:29]
.LBB230_195:                            ;   in Loop: Header=BB230_103 Depth=1
	s_or_b64 exec, exec, s[26:27]
.LBB230_196:                            ;   in Loop: Header=BB230_103 Depth=1
	s_or_b64 exec, exec, s[18:19]
	v_cmp_lt_u64_e64 s[4:5], s[10:11], v[7:8]
	v_mov_b32_e32 v34, 0
	s_and_saveexec_b64 s[18:19], s[4:5]
	s_cbranch_execz .LBB230_202
; %bb.197:                              ;   in Loop: Header=BB230_103 Depth=1
	v_lshrrev_b32_e32 v1, 24, v8
	v_cmp_ne_u32_e64 s[4:5], s31, v1
	v_bfrev_b32_e32 v34, 1
	s_and_saveexec_b64 s[26:27], s[4:5]
	s_cbranch_execz .LBB230_201
; %bb.198:                              ;   in Loop: Header=BB230_103 Depth=1
	v_and_b32_e32 v7, 0x7f, v1
	v_cmp_ne_u32_e64 s[4:5], s35, v7
	v_mov_b32_e32 v34, 0x7c010000
	s_and_saveexec_b64 s[28:29], s[4:5]
	s_cbranch_execz .LBB230_200
; %bb.199:                              ;   in Loop: Header=BB230_103 Depth=1
	v_and_b32_e32 v8, 7, v1
	v_ffbh_u32_e32 v34, v8
	v_min_u32_e32 v37, 32, v34
	v_subrev_u32_e32 v34, 28, v37
	v_lshlrev_b64 v[34:35], v34, v[1:2]
	v_lshrrev_b32_e32 v36, 3, v7
	v_sub_u32_e32 v35, 29, v37
	v_cmp_gt_u32_e64 s[4:5], 8, v7
	v_cndmask_b32_e64 v7, v36, v35, s[4:5]
	v_lshlrev_b32_e32 v1, 8, v1
	v_lshl_add_u32 v7, v7, 10, v20
	v_and_b32_e32 v34, 7, v34
	v_and_or_b32 v1, v1, s36, v7
	v_cndmask_b32_e64 v8, v8, v34, s[4:5]
	v_lshlrev_b32_e32 v1, 16, v1
	v_lshl_or_b32 v34, v8, 23, v1
.LBB230_200:                            ;   in Loop: Header=BB230_103 Depth=1
	s_or_b64 exec, exec, s[28:29]
.LBB230_201:                            ;   in Loop: Header=BB230_103 Depth=1
	s_or_b64 exec, exec, s[26:27]
.LBB230_202:                            ;   in Loop: Header=BB230_103 Depth=1
	s_or_b64 exec, exec, s[18:19]
	s_waitcnt vmcnt(0)
	v_fma_mixlo_f16 v7, v26, v29, 0 op_sel:[0,1,0] op_sel_hi:[0,1,0]
	v_lshlrev_b32_e32 v8, 16, v7
	v_or_b32_e32 v7, v27, v28
	v_fma_mixlo_f16 v27, v26, v27, 0 op_sel:[0,1,0] op_sel_hi:[0,1,0]
	v_or_b32_e32 v1, v29, v30
	v_lshlrev_b32_e32 v35, 16, v27
	v_or_b32_e32 v27, v33, v32
	v_or_b32_e32 v30, v34, v31
	v_fma_mixlo_f16 v1, v26, v1, 0 op_sel_hi:[0,1,0]
	v_fma_mixlo_f16 v7, v26, v7, 0 op_sel_hi:[0,1,0]
	v_fma_mixlo_f16 v28, v26, v33, 0 op_sel:[0,1,0] op_sel_hi:[0,1,0]
	v_fma_mixlo_f16 v27, v26, v27, 0 op_sel_hi:[0,1,0]
	v_fma_mixlo_f16 v30, v26, v30, 0 op_sel_hi:[0,1,0]
	v_fma_mixlo_f16 v26, v26, v34, 0 op_sel:[0,1,0] op_sel_hi:[0,1,0]
	v_and_b32_e32 v29, 0xffff, v1
	v_and_b32_e32 v36, 0xffff, v7
	v_lshlrev_b32_e32 v28, 16, v28
	v_and_b32_e32 v32, 0xffff, v27
	v_lshlrev_b32_e32 v26, 16, v26
	v_and_b32_e32 v30, 0xffff, v30
	v_or_b32_e32 v1, v8, v29
	v_or_b32_e32 v7, v35, v36
	;; [unrolled: 1-line block ×4, first 2 shown]
	s_and_saveexec_b64 s[4:5], s[2:3]
	s_cbranch_execz .LBB230_101
; %bb.203:                              ;   in Loop: Header=BB230_103 Depth=1
	v_cmp_gt_i32_e64 s[2:3], s21, v9
	v_add_u32_e32 v7, -6, v18
	v_cndmask_b32_e64 v1, 0, v36, s[2:3]
	v_cmp_gt_i32_e64 s[2:3], s21, v7
	v_cndmask_b32_e64 v7, 0, v35, s[2:3]
	v_or_b32_e32 v7, v7, v1
	v_add_u32_e32 v1, -5, v18
	v_cmp_gt_i32_e64 s[2:3], s21, v1
	v_add_u32_e32 v9, -4, v18
	v_cndmask_b32_e64 v1, 0, v29, s[2:3]
	v_cmp_gt_i32_e64 s[2:3], s21, v9
	v_cndmask_b32_e64 v8, 0, v8, s[2:3]
	v_or_b32_e32 v1, v8, v1
	v_add_u32_e32 v8, -3, v18
	;; [unrolled: 7-line block ×3, first 2 shown]
	v_cmp_gt_i32_e64 s[2:3], s21, v8
	v_cndmask_b32_e64 v8, 0, v30, s[2:3]
	v_cmp_gt_i32_e64 s[2:3], s21, v18
	v_cndmask_b32_e64 v9, 0, v26, s[2:3]
	v_or_b32_e32 v31, v9, v8
	s_branch .LBB230_101
.LBB230_204:
	s_or_b64 exec, exec, s[12:13]
.LBB230_205:
	s_or_b64 exec, exec, s[6:7]
	v_and_b32_e32 v1, 0x3c0, v0
	v_cmp_eq_u32_e32 vcc, 64, v1
	s_barrier
	s_and_saveexec_b64 s[2:3], vcc
	s_cbranch_execz .LBB230_208
; %bb.206:
	v_mov_b32_e32 v1, 0xd0
	v_lshl_add_u32 v2, v13, 2, v1
	ds_write_b32 v2, v15
	s_and_b64 exec, exec, s[0:1]
; %bb.207:
	v_lshl_add_u32 v1, v0, 2, v1
	ds_write_b32 v1, v14
.LBB230_208:
	s_or_b64 exec, exec, s[2:3]
	v_cmp_gt_u32_e32 vcc, 64, v0
	v_or_b32_e32 v1, 64, v0
	s_waitcnt lgkmcnt(0)
	s_barrier
	s_and_saveexec_b64 s[2:3], vcc
	s_cbranch_execz .LBB230_212
; %bb.209:
	v_mov_b32_e32 v2, 0xd0
	v_lshl_add_u32 v2, v0, 2, v2
	ds_read_b32 v0, v2
	s_movk_i32 s0, 0x60
	v_cmp_gt_u32_e64 s[0:1], s0, v1
	s_and_saveexec_b64 s[4:5], s[0:1]
	s_cbranch_execz .LBB230_211
; %bb.210:
	ds_read_b32 v2, v2 offset:256
	s_waitcnt lgkmcnt(0)
	v_add_f32_e32 v14, v14, v2
.LBB230_211:
	s_or_b64 exec, exec, s[4:5]
	s_waitcnt lgkmcnt(0)
	v_add_f32_e32 v15, v15, v0
.LBB230_212:
	s_or_b64 exec, exec, s[2:3]
	s_barrier
	s_and_saveexec_b64 s[0:1], vcc
	s_cbranch_execz .LBB230_215
; %bb.213:
	s_mul_i32 s0, s20, s23
	s_mul_i32 s0, s0, s9
	s_mulk_i32 s0, 0x60
	s_ashr_i32 s1, s0, 31
	s_lshl_b64 s[0:1], s[0:1], 1
	s_add_u32 s3, s24, s0
	s_mul_i32 s0, s23, s22
	s_addc_u32 s4, s25, s1
	s_ashr_i32 s1, s0, 31
	s_lshl_b64 s[0:1], s[0:1], 1
	s_add_u32 s3, s3, s0
	s_mul_i32 s0, s8, 0x60
	s_addc_u32 s4, s4, s1
	s_ashr_i32 s1, s0, 31
	s_lshl_b64 s[0:1], s[0:1], 1
	s_movk_i32 s2, 0x60
	s_add_u32 s0, s3, s0
	s_addc_u32 s1, s4, s1
	v_cmp_gt_u32_e32 vcc, s2, v1
	;;#ASMSTART
	v_cvt_f16_f32 v0, v15;

	;;#ASMEND
	global_store_short v11, v0, s[0:1]
	s_and_b64 exec, exec, vcc
	s_cbranch_execz .LBB230_215
; %bb.214:
	v_mov_b32_e32 v1, s1
	v_add_co_u32_e32 v0, vcc, s0, v11
	v_addc_co_u32_e32 v1, vcc, 0, v1, vcc
	;;#ASMSTART
	v_cvt_f16_f32 v2, v14;

	;;#ASMEND
	global_store_short v[0:1], v2, off offset:128
.LBB230_215:
	s_endpgm
	.section	.rodata,"a",@progbits
	.p2align	6, 0x0
	.amdhsa_kernel _ZN4vllm25paged_attention_v1_kernelIthLi96ELi8ELi128ELNS_18Fp8KVCacheDataTypeE1ELb0EEEvPT_PKS2_PKT0_S8_ifPKiSA_iPKfiiiSC_SC_iiiii
		.amdhsa_group_segment_fixed_size 208
		.amdhsa_private_segment_fixed_size 0
		.amdhsa_kernarg_size 384
		.amdhsa_user_sgpr_count 6
		.amdhsa_user_sgpr_private_segment_buffer 1
		.amdhsa_user_sgpr_dispatch_ptr 0
		.amdhsa_user_sgpr_queue_ptr 0
		.amdhsa_user_sgpr_kernarg_segment_ptr 1
		.amdhsa_user_sgpr_dispatch_id 0
		.amdhsa_user_sgpr_flat_scratch_init 0
		.amdhsa_user_sgpr_private_segment_size 0
		.amdhsa_uses_dynamic_stack 0
		.amdhsa_system_sgpr_private_segment_wavefront_offset 0
		.amdhsa_system_sgpr_workgroup_id_x 1
		.amdhsa_system_sgpr_workgroup_id_y 1
		.amdhsa_system_sgpr_workgroup_id_z 1
		.amdhsa_system_sgpr_workgroup_info 0
		.amdhsa_system_vgpr_workitem_id 0
		.amdhsa_next_free_vgpr 42
		.amdhsa_next_free_sgpr 46
		.amdhsa_reserve_vcc 1
		.amdhsa_reserve_flat_scratch 0
		.amdhsa_float_round_mode_32 0
		.amdhsa_float_round_mode_16_64 0
		.amdhsa_float_denorm_mode_32 3
		.amdhsa_float_denorm_mode_16_64 3
		.amdhsa_dx10_clamp 1
		.amdhsa_ieee_mode 1
		.amdhsa_fp16_overflow 0
		.amdhsa_exception_fp_ieee_invalid_op 0
		.amdhsa_exception_fp_denorm_src 0
		.amdhsa_exception_fp_ieee_div_zero 0
		.amdhsa_exception_fp_ieee_overflow 0
		.amdhsa_exception_fp_ieee_underflow 0
		.amdhsa_exception_fp_ieee_inexact 0
		.amdhsa_exception_int_div_zero 0
	.end_amdhsa_kernel
	.section	.text._ZN4vllm25paged_attention_v1_kernelIthLi96ELi8ELi128ELNS_18Fp8KVCacheDataTypeE1ELb0EEEvPT_PKS2_PKT0_S8_ifPKiSA_iPKfiiiSC_SC_iiiii,"axG",@progbits,_ZN4vllm25paged_attention_v1_kernelIthLi96ELi8ELi128ELNS_18Fp8KVCacheDataTypeE1ELb0EEEvPT_PKS2_PKT0_S8_ifPKiSA_iPKfiiiSC_SC_iiiii,comdat
.Lfunc_end230:
	.size	_ZN4vllm25paged_attention_v1_kernelIthLi96ELi8ELi128ELNS_18Fp8KVCacheDataTypeE1ELb0EEEvPT_PKS2_PKT0_S8_ifPKiSA_iPKfiiiSC_SC_iiiii, .Lfunc_end230-_ZN4vllm25paged_attention_v1_kernelIthLi96ELi8ELi128ELNS_18Fp8KVCacheDataTypeE1ELb0EEEvPT_PKS2_PKT0_S8_ifPKiSA_iPKfiiiSC_SC_iiiii
                                        ; -- End function
	.set _ZN4vllm25paged_attention_v1_kernelIthLi96ELi8ELi128ELNS_18Fp8KVCacheDataTypeE1ELb0EEEvPT_PKS2_PKT0_S8_ifPKiSA_iPKfiiiSC_SC_iiiii.num_vgpr, 42
	.set _ZN4vllm25paged_attention_v1_kernelIthLi96ELi8ELi128ELNS_18Fp8KVCacheDataTypeE1ELb0EEEvPT_PKS2_PKT0_S8_ifPKiSA_iPKfiiiSC_SC_iiiii.num_agpr, 0
	.set _ZN4vllm25paged_attention_v1_kernelIthLi96ELi8ELi128ELNS_18Fp8KVCacheDataTypeE1ELb0EEEvPT_PKS2_PKT0_S8_ifPKiSA_iPKfiiiSC_SC_iiiii.numbered_sgpr, 46
	.set _ZN4vllm25paged_attention_v1_kernelIthLi96ELi8ELi128ELNS_18Fp8KVCacheDataTypeE1ELb0EEEvPT_PKS2_PKT0_S8_ifPKiSA_iPKfiiiSC_SC_iiiii.num_named_barrier, 0
	.set _ZN4vllm25paged_attention_v1_kernelIthLi96ELi8ELi128ELNS_18Fp8KVCacheDataTypeE1ELb0EEEvPT_PKS2_PKT0_S8_ifPKiSA_iPKfiiiSC_SC_iiiii.private_seg_size, 0
	.set _ZN4vllm25paged_attention_v1_kernelIthLi96ELi8ELi128ELNS_18Fp8KVCacheDataTypeE1ELb0EEEvPT_PKS2_PKT0_S8_ifPKiSA_iPKfiiiSC_SC_iiiii.uses_vcc, 1
	.set _ZN4vllm25paged_attention_v1_kernelIthLi96ELi8ELi128ELNS_18Fp8KVCacheDataTypeE1ELb0EEEvPT_PKS2_PKT0_S8_ifPKiSA_iPKfiiiSC_SC_iiiii.uses_flat_scratch, 0
	.set _ZN4vllm25paged_attention_v1_kernelIthLi96ELi8ELi128ELNS_18Fp8KVCacheDataTypeE1ELb0EEEvPT_PKS2_PKT0_S8_ifPKiSA_iPKfiiiSC_SC_iiiii.has_dyn_sized_stack, 0
	.set _ZN4vllm25paged_attention_v1_kernelIthLi96ELi8ELi128ELNS_18Fp8KVCacheDataTypeE1ELb0EEEvPT_PKS2_PKT0_S8_ifPKiSA_iPKfiiiSC_SC_iiiii.has_recursion, 0
	.set _ZN4vllm25paged_attention_v1_kernelIthLi96ELi8ELi128ELNS_18Fp8KVCacheDataTypeE1ELb0EEEvPT_PKS2_PKT0_S8_ifPKiSA_iPKfiiiSC_SC_iiiii.has_indirect_call, 0
	.section	.AMDGPU.csdata,"",@progbits
; Kernel info:
; codeLenInByte = 9452
; TotalNumSgprs: 50
; NumVgprs: 42
; ScratchSize: 0
; MemoryBound: 0
; FloatMode: 240
; IeeeMode: 1
; LDSByteSize: 208 bytes/workgroup (compile time only)
; SGPRBlocks: 6
; VGPRBlocks: 10
; NumSGPRsForWavesPerEU: 50
; NumVGPRsForWavesPerEU: 42
; Occupancy: 5
; WaveLimiterHint : 1
; COMPUTE_PGM_RSRC2:SCRATCH_EN: 0
; COMPUTE_PGM_RSRC2:USER_SGPR: 6
; COMPUTE_PGM_RSRC2:TRAP_HANDLER: 0
; COMPUTE_PGM_RSRC2:TGID_X_EN: 1
; COMPUTE_PGM_RSRC2:TGID_Y_EN: 1
; COMPUTE_PGM_RSRC2:TGID_Z_EN: 1
; COMPUTE_PGM_RSRC2:TIDIG_COMP_CNT: 0
	.section	.text._ZN4vllm25paged_attention_v1_kernelIthLi112ELi8ELi128ELNS_18Fp8KVCacheDataTypeE1ELb0EEEvPT_PKS2_PKT0_S8_ifPKiSA_iPKfiiiSC_SC_iiiii,"axG",@progbits,_ZN4vllm25paged_attention_v1_kernelIthLi112ELi8ELi128ELNS_18Fp8KVCacheDataTypeE1ELb0EEEvPT_PKS2_PKT0_S8_ifPKiSA_iPKfiiiSC_SC_iiiii,comdat
	.protected	_ZN4vllm25paged_attention_v1_kernelIthLi112ELi8ELi128ELNS_18Fp8KVCacheDataTypeE1ELb0EEEvPT_PKS2_PKT0_S8_ifPKiSA_iPKfiiiSC_SC_iiiii ; -- Begin function _ZN4vllm25paged_attention_v1_kernelIthLi112ELi8ELi128ELNS_18Fp8KVCacheDataTypeE1ELb0EEEvPT_PKS2_PKT0_S8_ifPKiSA_iPKfiiiSC_SC_iiiii
	.globl	_ZN4vllm25paged_attention_v1_kernelIthLi112ELi8ELi128ELNS_18Fp8KVCacheDataTypeE1ELb0EEEvPT_PKS2_PKT0_S8_ifPKiSA_iPKfiiiSC_SC_iiiii
	.p2align	8
	.type	_ZN4vllm25paged_attention_v1_kernelIthLi112ELi8ELi128ELNS_18Fp8KVCacheDataTypeE1ELb0EEEvPT_PKS2_PKT0_S8_ifPKiSA_iPKfiiiSC_SC_iiiii,@function
_ZN4vllm25paged_attention_v1_kernelIthLi112ELi8ELi128ELNS_18Fp8KVCacheDataTypeE1ELb0EEEvPT_PKS2_PKT0_S8_ifPKiSA_iPKfiiiSC_SC_iiiii: ; @_ZN4vllm25paged_attention_v1_kernelIthLi112ELi8ELi128ELNS_18Fp8KVCacheDataTypeE1ELb0EEEvPT_PKS2_PKT0_S8_ifPKiSA_iPKfiiiSC_SC_iiiii
; %bb.0:
	s_load_dword s9, s[4:5], 0x80
	s_load_dwordx2 s[0:1], s[4:5], 0x30
	s_load_dwordx2 s[10:11], s[4:5], 0x20
	s_mov_b32 s20, s7
	s_ashr_i32 s21, s7, 31
	s_lshl_b64 s[2:3], s[20:21], 2
	s_waitcnt lgkmcnt(0)
	s_add_u32 s0, s0, s2
	s_addc_u32 s1, s1, s3
	s_abs_i32 s2, s10
	v_cvt_f32_u32_e32 v1, s2
	s_xor_b32 s3, s9, s10
	s_sub_i32 s10, 0, s2
	s_abs_i32 s7, s9
	v_rcp_iflag_f32_e32 v1, v1
	s_ashr_i32 s3, s3, 31
	v_mul_f32_e32 v1, 0x4f7ffffe, v1
	v_cvt_u32_f32_e32 v1, v1
	v_readfirstlane_b32 s12, v1
	s_mul_i32 s10, s10, s12
	s_mul_hi_u32 s10, s12, s10
	s_add_i32 s12, s12, s10
	s_mul_hi_u32 s10, s7, s12
	s_mul_i32 s12, s10, s2
	s_sub_i32 s7, s7, s12
	s_add_i32 s12, s10, 1
	s_sub_i32 s13, s7, s2
	s_cmp_ge_u32 s7, s2
	s_cselect_b32 s10, s12, s10
	s_cselect_b32 s7, s13, s7
	s_add_i32 s12, s10, 1
	s_cmp_ge_u32 s7, s2
	s_cselect_b32 s2, s12, s10
	s_xor_b32 s2, s2, s3
	s_sub_i32 s15, s2, s3
	s_abs_i32 s12, s15
	v_cvt_f32_u32_e32 v1, s12
	s_load_dwordx2 s[2:3], s[4:5], 0x40
	s_sub_i32 s7, 0, s12
	s_abs_i32 s13, s6
	v_rcp_iflag_f32_e32 v1, v1
	s_mov_b32 s10, 0
	v_mul_f32_e32 v1, 0x4f7ffffe, v1
	v_cvt_u32_f32_e32 v1, v1
	v_readfirstlane_b32 s14, v1
	s_mul_i32 s7, s7, s14
	s_mul_hi_u32 s7, s14, s7
	s_add_i32 s14, s14, s7
	s_waitcnt lgkmcnt(0)
	s_cmp_eq_u64 s[2:3], 0
	s_mul_hi_u32 s14, s13, s14
	s_cbranch_scc1 .LBB231_2
; %bb.1:
	s_ashr_i32 s7, s6, 31
	s_lshl_b64 s[16:17], s[6:7], 2
	s_add_u32 s2, s2, s16
	s_addc_u32 s3, s3, s17
	s_load_dword s10, s[2:3], 0x0
.LBB231_2:
	s_load_dword s21, s[0:1], 0x0
	s_load_dwordx4 s[16:19], s[4:5], 0x48
	s_movk_i32 s0, 0x70
	s_ashr_i32 s7, s6, 31
	s_ashr_i32 s15, s15, 31
	v_and_b32_e32 v1, 7, v0
	s_mul_i32 s22, s6, 0x70
	v_cmp_gt_u32_e64 s[0:1], s0, v0
	v_lshlrev_b32_e32 v11, 1, v0
	s_and_saveexec_b64 s[2:3], s[0:1]
	s_cbranch_execz .LBB231_4
; %bb.3:
	s_load_dwordx2 s[24:25], s[4:5], 0x8
	s_waitcnt lgkmcnt(0)
	s_mul_i32 s26, s16, s20
	s_ashr_i32 s27, s26, 31
	s_lshl_b64 s[26:27], s[26:27], 1
	v_lshrrev_b32_e32 v3, 2, v0
	s_add_u32 s6, s24, s26
	s_addc_u32 s16, s25, s27
	s_ashr_i32 s23, s22, 31
	s_lshl_b64 s[24:25], s[22:23], 1
	s_add_u32 s24, s6, s24
	s_addc_u32 s25, s16, s25
	global_load_ushort v2, v11, s[24:25]
	v_and_b32_e32 v3, 0xfe, v3
	v_mad_u32_u24 v3, v1, 28, v3
	s_waitcnt vmcnt(0)
	ds_write_b16 v3, v2
.LBB231_4:
	s_or_b64 exec, exec, s[2:3]
	s_waitcnt lgkmcnt(0)
	s_add_i32 s3, s21, 7
	s_ashr_i32 s6, s3, 31
	s_lshr_b32 s6, s6, 29
	s_add_i32 s3, s3, s6
	s_mul_i32 s6, s14, s12
	s_sub_i32 s6, s13, s6
	s_ashr_i32 s33, s3, 3
	s_xor_b32 s3, s7, s15
	s_add_i32 s7, s14, 1
	s_sub_i32 s13, s6, s12
	s_load_dwordx2 s[26:27], s[4:5], 0x28
	s_load_dword s2, s[4:5], 0x38
	s_cmp_ge_u32 s6, s12
	s_cselect_b32 s7, s7, s14
	s_cselect_b32 s6, s13, s6
	s_add_i32 s13, s7, 1
	s_cmp_ge_u32 s6, s12
	s_cselect_b32 s6, s13, s7
	v_lshrrev_b32_e32 v12, 6, v0
	s_xor_b32 s6, s6, s3
	s_waitcnt lgkmcnt(0)
	s_mul_i32 s28, s2, s20
	s_sub_i32 s16, s6, s3
	s_ashr_i32 s29, s28, 31
	v_cmp_gt_i32_e64 s[2:3], s33, v12
	v_cmp_le_i32_e32 vcc, s33, v12
	v_mbcnt_lo_u32_b32 v7, -1, 0
	s_barrier
                                        ; implicit-def: $vgpr9
                                        ; implicit-def: $vgpr6
                                        ; implicit-def: $vgpr5
	s_and_saveexec_b64 s[6:7], vcc
	s_xor_b64 s[6:7], exec, s[6:7]
; %bb.5:
	v_mbcnt_hi_u32_b32 v9, -1, v7
	v_and_b32_e32 v6, 64, v9
	v_add_u32_e32 v5, 64, v6
                                        ; implicit-def: $vgpr1
                                        ; implicit-def: $vgpr7
; %bb.6:
	s_or_saveexec_b64 s[34:35], s[6:7]
	s_load_dwordx2 s[24:25], s[4:5], 0x0
	s_load_dwordx2 s[30:31], s[4:5], 0x18
	s_load_dword s23, s[4:5], 0x88
	s_load_dwordx4 s[12:15], s[4:5], 0x58
	v_mov_b32_e32 v10, 0xff7fffff
	s_mul_i32 s16, s16, s18
	v_lshrrev_b32_e32 v8, 4, v0
	s_xor_b64 exec, exec, s[34:35]
	s_cbranch_execz .LBB231_96
; %bb.7:
	s_load_dwordx2 s[4:5], s[4:5], 0x10
	s_ashr_i32 s6, s16, 31
	v_bfe_u32 v3, v0, 3, 3
	v_lshlrev_b32_e32 v2, 4, v3
	v_mul_u32_u24_e32 v14, 28, v1
	s_waitcnt lgkmcnt(0)
	s_add_u32 s4, s4, s16
	s_addc_u32 s5, s5, s6
	v_mov_b32_e32 v4, s5
	v_add_co_u32_e32 v2, vcc, s4, v2
	v_addc_co_u32_e32 v4, vcc, 0, v4, vcc
	v_cmp_eq_u32_e32 vcc, 0, v1
	v_add_co_u32_e64 v1, s[6:7], v2, v1
	v_addc_co_u32_e64 v2, s[6:7], 0, v4, s[6:7]
	s_sub_i32 s43, 1, s21
	v_lshl_or_b32 v15, v12, 3, v3
	v_lshlrev_b32_e32 v3, 2, v3
	s_lshl_b64 s[6:7], s[28:29], 2
	v_lshl_or_b32 v3, v12, 5, v3
	s_add_u32 s6, s26, s6
	v_add_u32_e32 v16, 0xf0, v3
	v_and_b32_e32 v3, 60, v8
	s_addc_u32 s7, s27, s7
	v_mov_b32_e32 v4, s7
	v_add_co_u32_e64 v3, s[6:7], s6, v3
	s_mov_b32 s42, s17
	v_mov_b32_e32 v13, 0
	v_cmp_neq_f32_e64 s[4:5], s10, 0
	v_addc_co_u32_e64 v4, s[6:7], 0, v4, s[6:7]
	v_mov_b32_e32 v10, 0xff7fffff
	s_mov_b64 s[18:19], 0
	s_movk_i32 s44, 0x80
	s_movk_i32 s45, 0x7f
	v_mbcnt_hi_u32_b32 v9, -1, v7
	v_bfrev_b32_e32 v17, 60
	v_mov_b32_e32 v18, v12
	s_branch .LBB231_9
.LBB231_8:                              ;   in Loop: Header=BB231_9 Depth=1
	s_or_b64 exec, exec, s[36:37]
	v_add_u32_e32 v18, 2, v18
	v_cmp_le_i32_e64 s[6:7], s33, v18
	s_or_b64 s[18:19], s[6:7], s[18:19]
	v_add_co_u32_e64 v3, s[6:7], 8, v3
	v_add_u32_e32 v15, 16, v15
	v_add_u32_e32 v16, 64, v16
	v_addc_co_u32_e64 v4, s[6:7], 0, v4, s[6:7]
	s_andn2_b64 exec, exec, s[18:19]
	s_cbranch_execz .LBB231_95
.LBB231_9:                              ; =>This Inner Loop Header: Depth=1
	global_load_dword v5, v[3:4], off
	v_mov_b32_e32 v20, 0
	s_waitcnt vmcnt(0)
	v_mad_i64_i32 v[5:6], s[6:7], v5, s42, v[1:2]
	global_load_ubyte v21, v[5:6], off
	s_waitcnt lgkmcnt(0)
	global_load_dword v19, v13, s[12:13]
	s_waitcnt vmcnt(1)
	v_cmp_ne_u16_e64 s[6:7], 0, v21
	s_and_saveexec_b64 s[36:37], s[6:7]
	s_cbranch_execz .LBB231_15
; %bb.10:                               ;   in Loop: Header=BB231_9 Depth=1
	v_cmp_ne_u16_e64 s[6:7], s44, v21
	v_bfrev_b32_e32 v20, 1
	s_and_saveexec_b64 s[38:39], s[6:7]
	s_cbranch_execz .LBB231_14
; %bb.11:                               ;   in Loop: Header=BB231_9 Depth=1
	v_and_b32_e32 v7, 0xffff, v21
	v_and_b32_e32 v22, 0x7f, v7
	v_cmp_ne_u32_e64 s[6:7], s45, v22
	v_mov_b32_e32 v20, 0x7f800001
	s_and_saveexec_b64 s[40:41], s[6:7]
	s_cbranch_execz .LBB231_13
; %bb.12:                               ;   in Loop: Header=BB231_9 Depth=1
	v_and_b32_e32 v20, 7, v7
	v_ffbh_u32_e32 v23, v20
	v_min_u32_e32 v26, 32, v23
	v_subrev_u32_e32 v23, 28, v26
	v_lshlrev_b64 v[23:24], v23, v[7:8]
	v_lshrrev_b32_e32 v25, 3, v22
	v_sub_u32_e32 v7, 29, v26
	v_and_b32_e32 v23, 7, v23
	v_cmp_gt_u32_e64 s[6:7], 8, v22
	v_cndmask_b32_e64 v7, v25, v7, s[6:7]
	v_cndmask_b32_e64 v20, v20, v23, s[6:7]
	v_lshlrev_b32_e32 v21, 24, v21
	v_lshlrev_b32_e32 v20, 20, v20
	v_and_b32_e32 v21, 0x80000000, v21
	v_lshl_add_u32 v7, v7, 23, v17
	v_or3_b32 v20, v21, v7, v20
.LBB231_13:                             ;   in Loop: Header=BB231_9 Depth=1
	s_or_b64 exec, exec, s[40:41]
.LBB231_14:                             ;   in Loop: Header=BB231_9 Depth=1
	s_or_b64 exec, exec, s[38:39]
.LBB231_15:                             ;   in Loop: Header=BB231_9 Depth=1
	s_or_b64 exec, exec, s[36:37]
	global_load_ubyte v23, v[5:6], off offset:8
	v_mov_b32_e32 v21, 0
	v_mov_b32_e32 v22, 0
	s_waitcnt vmcnt(0)
	v_cmp_ne_u16_e64 s[6:7], 0, v23
	s_and_saveexec_b64 s[36:37], s[6:7]
	s_cbranch_execz .LBB231_21
; %bb.16:                               ;   in Loop: Header=BB231_9 Depth=1
	v_cmp_ne_u16_e64 s[6:7], s44, v23
	v_bfrev_b32_e32 v22, 1
	s_and_saveexec_b64 s[38:39], s[6:7]
	s_cbranch_execz .LBB231_20
; %bb.17:                               ;   in Loop: Header=BB231_9 Depth=1
	v_and_b32_e32 v7, 0xffff, v23
	v_and_b32_e32 v24, 0x7f, v7
	v_cmp_ne_u32_e64 s[6:7], s45, v24
	v_mov_b32_e32 v22, 0x7f800001
	s_and_saveexec_b64 s[40:41], s[6:7]
	s_cbranch_execz .LBB231_19
; %bb.18:                               ;   in Loop: Header=BB231_9 Depth=1
	v_and_b32_e32 v22, 7, v7
	v_ffbh_u32_e32 v25, v22
	v_min_u32_e32 v28, 32, v25
	v_subrev_u32_e32 v25, 28, v28
	v_lshlrev_b64 v[25:26], v25, v[7:8]
	v_lshrrev_b32_e32 v27, 3, v24
	v_sub_u32_e32 v7, 29, v28
	v_and_b32_e32 v25, 7, v25
	v_cmp_gt_u32_e64 s[6:7], 8, v24
	v_cndmask_b32_e64 v7, v27, v7, s[6:7]
	v_cndmask_b32_e64 v22, v22, v25, s[6:7]
	v_lshlrev_b32_e32 v23, 24, v23
	v_lshlrev_b32_e32 v22, 20, v22
	v_and_b32_e32 v23, 0x80000000, v23
	v_lshl_add_u32 v7, v7, 23, v17
	v_or3_b32 v22, v23, v7, v22
.LBB231_19:                             ;   in Loop: Header=BB231_9 Depth=1
	s_or_b64 exec, exec, s[40:41]
.LBB231_20:                             ;   in Loop: Header=BB231_9 Depth=1
	s_or_b64 exec, exec, s[38:39]
.LBB231_21:                             ;   in Loop: Header=BB231_9 Depth=1
	s_or_b64 exec, exec, s[36:37]
	global_load_ubyte v23, v[5:6], off offset:128
	s_waitcnt vmcnt(0)
	v_cmp_ne_u16_e64 s[6:7], 0, v23
	s_and_saveexec_b64 s[36:37], s[6:7]
	s_cbranch_execz .LBB231_27
; %bb.22:                               ;   in Loop: Header=BB231_9 Depth=1
	v_cmp_ne_u16_e64 s[6:7], s44, v23
	v_bfrev_b32_e32 v21, 1
	s_and_saveexec_b64 s[38:39], s[6:7]
	s_cbranch_execz .LBB231_26
; %bb.23:                               ;   in Loop: Header=BB231_9 Depth=1
	v_and_b32_e32 v7, 0xffff, v23
	v_and_b32_e32 v24, 0x7f, v7
	v_cmp_ne_u32_e64 s[6:7], s45, v24
	v_mov_b32_e32 v21, 0x7f800001
	s_and_saveexec_b64 s[40:41], s[6:7]
	s_cbranch_execz .LBB231_25
; %bb.24:                               ;   in Loop: Header=BB231_9 Depth=1
	v_and_b32_e32 v21, 7, v7
	v_ffbh_u32_e32 v25, v21
	v_min_u32_e32 v28, 32, v25
	v_subrev_u32_e32 v25, 28, v28
	v_lshlrev_b64 v[25:26], v25, v[7:8]
	v_lshrrev_b32_e32 v27, 3, v24
	v_sub_u32_e32 v7, 29, v28
	v_and_b32_e32 v25, 7, v25
	v_cmp_gt_u32_e64 s[6:7], 8, v24
	v_cndmask_b32_e64 v7, v27, v7, s[6:7]
	v_cndmask_b32_e64 v21, v21, v25, s[6:7]
	v_lshlrev_b32_e32 v23, 24, v23
	v_lshlrev_b32_e32 v21, 20, v21
	v_and_b32_e32 v23, 0x80000000, v23
	v_lshl_add_u32 v7, v7, 23, v17
	v_or3_b32 v21, v23, v7, v21
.LBB231_25:                             ;   in Loop: Header=BB231_9 Depth=1
	s_or_b64 exec, exec, s[40:41]
.LBB231_26:                             ;   in Loop: Header=BB231_9 Depth=1
	s_or_b64 exec, exec, s[38:39]
.LBB231_27:                             ;   in Loop: Header=BB231_9 Depth=1
	s_or_b64 exec, exec, s[36:37]
	global_load_ubyte v25, v[5:6], off offset:136
	v_mov_b32_e32 v23, 0
	v_mov_b32_e32 v24, 0
	s_waitcnt vmcnt(0)
	v_cmp_ne_u16_e64 s[6:7], 0, v25
	s_and_saveexec_b64 s[36:37], s[6:7]
	s_cbranch_execz .LBB231_33
; %bb.28:                               ;   in Loop: Header=BB231_9 Depth=1
	v_cmp_ne_u16_e64 s[6:7], s44, v25
	v_bfrev_b32_e32 v24, 1
	s_and_saveexec_b64 s[38:39], s[6:7]
	s_cbranch_execz .LBB231_32
; %bb.29:                               ;   in Loop: Header=BB231_9 Depth=1
	v_and_b32_e32 v7, 0xffff, v25
	v_and_b32_e32 v26, 0x7f, v7
	v_cmp_ne_u32_e64 s[6:7], s45, v26
	v_mov_b32_e32 v24, 0x7f800001
	s_and_saveexec_b64 s[40:41], s[6:7]
	s_cbranch_execz .LBB231_31
; %bb.30:                               ;   in Loop: Header=BB231_9 Depth=1
	v_and_b32_e32 v24, 7, v7
	v_ffbh_u32_e32 v27, v24
	v_min_u32_e32 v30, 32, v27
	v_subrev_u32_e32 v27, 28, v30
	v_lshlrev_b64 v[27:28], v27, v[7:8]
	v_lshrrev_b32_e32 v29, 3, v26
	v_sub_u32_e32 v7, 29, v30
	v_and_b32_e32 v27, 7, v27
	v_cmp_gt_u32_e64 s[6:7], 8, v26
	v_cndmask_b32_e64 v7, v29, v7, s[6:7]
	v_cndmask_b32_e64 v24, v24, v27, s[6:7]
	v_lshlrev_b32_e32 v25, 24, v25
	v_lshlrev_b32_e32 v24, 20, v24
	v_and_b32_e32 v25, 0x80000000, v25
	v_lshl_add_u32 v7, v7, 23, v17
	v_or3_b32 v24, v25, v7, v24
.LBB231_31:                             ;   in Loop: Header=BB231_9 Depth=1
	s_or_b64 exec, exec, s[40:41]
.LBB231_32:                             ;   in Loop: Header=BB231_9 Depth=1
	s_or_b64 exec, exec, s[38:39]
.LBB231_33:                             ;   in Loop: Header=BB231_9 Depth=1
	s_or_b64 exec, exec, s[36:37]
	global_load_ubyte v25, v[5:6], off offset:256
	s_waitcnt vmcnt(0)
	v_cmp_ne_u16_e64 s[6:7], 0, v25
	s_and_saveexec_b64 s[36:37], s[6:7]
	s_cbranch_execz .LBB231_39
; %bb.34:                               ;   in Loop: Header=BB231_9 Depth=1
	v_cmp_ne_u16_e64 s[6:7], s44, v25
	v_bfrev_b32_e32 v23, 1
	s_and_saveexec_b64 s[38:39], s[6:7]
	s_cbranch_execz .LBB231_38
; %bb.35:                               ;   in Loop: Header=BB231_9 Depth=1
	v_and_b32_e32 v7, 0xffff, v25
	v_and_b32_e32 v26, 0x7f, v7
	v_cmp_ne_u32_e64 s[6:7], s45, v26
	v_mov_b32_e32 v23, 0x7f800001
	s_and_saveexec_b64 s[40:41], s[6:7]
	s_cbranch_execz .LBB231_37
; %bb.36:                               ;   in Loop: Header=BB231_9 Depth=1
	v_and_b32_e32 v23, 7, v7
	v_ffbh_u32_e32 v27, v23
	v_min_u32_e32 v30, 32, v27
	v_subrev_u32_e32 v27, 28, v30
	v_lshlrev_b64 v[27:28], v27, v[7:8]
	v_lshrrev_b32_e32 v29, 3, v26
	v_sub_u32_e32 v7, 29, v30
	v_and_b32_e32 v27, 7, v27
	v_cmp_gt_u32_e64 s[6:7], 8, v26
	v_cndmask_b32_e64 v7, v29, v7, s[6:7]
	v_cndmask_b32_e64 v23, v23, v27, s[6:7]
	v_lshlrev_b32_e32 v25, 24, v25
	v_lshlrev_b32_e32 v23, 20, v23
	v_and_b32_e32 v25, 0x80000000, v25
	v_lshl_add_u32 v7, v7, 23, v17
	v_or3_b32 v23, v25, v7, v23
.LBB231_37:                             ;   in Loop: Header=BB231_9 Depth=1
	s_or_b64 exec, exec, s[40:41]
.LBB231_38:                             ;   in Loop: Header=BB231_9 Depth=1
	s_or_b64 exec, exec, s[38:39]
.LBB231_39:                             ;   in Loop: Header=BB231_9 Depth=1
	s_or_b64 exec, exec, s[36:37]
	global_load_ubyte v27, v[5:6], off offset:264
	v_mov_b32_e32 v25, 0
	v_mov_b32_e32 v26, 0
	s_waitcnt vmcnt(0)
	v_cmp_ne_u16_e64 s[6:7], 0, v27
	s_and_saveexec_b64 s[36:37], s[6:7]
	s_cbranch_execz .LBB231_45
; %bb.40:                               ;   in Loop: Header=BB231_9 Depth=1
	v_cmp_ne_u16_e64 s[6:7], s44, v27
	v_bfrev_b32_e32 v26, 1
	s_and_saveexec_b64 s[38:39], s[6:7]
	s_cbranch_execz .LBB231_44
; %bb.41:                               ;   in Loop: Header=BB231_9 Depth=1
	v_and_b32_e32 v7, 0xffff, v27
	v_and_b32_e32 v28, 0x7f, v7
	v_cmp_ne_u32_e64 s[6:7], s45, v28
	v_mov_b32_e32 v26, 0x7f800001
	s_and_saveexec_b64 s[40:41], s[6:7]
	s_cbranch_execz .LBB231_43
; %bb.42:                               ;   in Loop: Header=BB231_9 Depth=1
	v_and_b32_e32 v26, 7, v7
	v_ffbh_u32_e32 v29, v26
	v_min_u32_e32 v32, 32, v29
	v_subrev_u32_e32 v29, 28, v32
	v_lshlrev_b64 v[29:30], v29, v[7:8]
	v_lshrrev_b32_e32 v31, 3, v28
	v_sub_u32_e32 v7, 29, v32
	v_and_b32_e32 v29, 7, v29
	v_cmp_gt_u32_e64 s[6:7], 8, v28
	v_cndmask_b32_e64 v7, v31, v7, s[6:7]
	v_cndmask_b32_e64 v26, v26, v29, s[6:7]
	v_lshlrev_b32_e32 v27, 24, v27
	v_lshlrev_b32_e32 v26, 20, v26
	v_and_b32_e32 v27, 0x80000000, v27
	v_lshl_add_u32 v7, v7, 23, v17
	v_or3_b32 v26, v27, v7, v26
.LBB231_43:                             ;   in Loop: Header=BB231_9 Depth=1
	s_or_b64 exec, exec, s[40:41]
.LBB231_44:                             ;   in Loop: Header=BB231_9 Depth=1
	s_or_b64 exec, exec, s[38:39]
.LBB231_45:                             ;   in Loop: Header=BB231_9 Depth=1
	s_or_b64 exec, exec, s[36:37]
	global_load_ubyte v27, v[5:6], off offset:384
	s_waitcnt vmcnt(0)
	v_cmp_ne_u16_e64 s[6:7], 0, v27
	s_and_saveexec_b64 s[36:37], s[6:7]
	s_cbranch_execz .LBB231_51
; %bb.46:                               ;   in Loop: Header=BB231_9 Depth=1
	v_cmp_ne_u16_e64 s[6:7], s44, v27
	v_bfrev_b32_e32 v25, 1
	s_and_saveexec_b64 s[38:39], s[6:7]
	s_cbranch_execz .LBB231_50
; %bb.47:                               ;   in Loop: Header=BB231_9 Depth=1
	v_and_b32_e32 v7, 0xffff, v27
	v_and_b32_e32 v28, 0x7f, v7
	v_cmp_ne_u32_e64 s[6:7], s45, v28
	v_mov_b32_e32 v25, 0x7f800001
	s_and_saveexec_b64 s[40:41], s[6:7]
	s_cbranch_execz .LBB231_49
; %bb.48:                               ;   in Loop: Header=BB231_9 Depth=1
	v_and_b32_e32 v25, 7, v7
	v_ffbh_u32_e32 v29, v25
	v_min_u32_e32 v32, 32, v29
	v_subrev_u32_e32 v29, 28, v32
	v_lshlrev_b64 v[29:30], v29, v[7:8]
	v_lshrrev_b32_e32 v31, 3, v28
	v_sub_u32_e32 v7, 29, v32
	v_and_b32_e32 v29, 7, v29
	v_cmp_gt_u32_e64 s[6:7], 8, v28
	v_cndmask_b32_e64 v7, v31, v7, s[6:7]
	v_cndmask_b32_e64 v25, v25, v29, s[6:7]
	v_lshlrev_b32_e32 v27, 24, v27
	v_lshlrev_b32_e32 v25, 20, v25
	v_and_b32_e32 v27, 0x80000000, v27
	v_lshl_add_u32 v7, v7, 23, v17
	v_or3_b32 v25, v27, v7, v25
.LBB231_49:                             ;   in Loop: Header=BB231_9 Depth=1
	s_or_b64 exec, exec, s[40:41]
.LBB231_50:                             ;   in Loop: Header=BB231_9 Depth=1
	s_or_b64 exec, exec, s[38:39]
.LBB231_51:                             ;   in Loop: Header=BB231_9 Depth=1
	s_or_b64 exec, exec, s[36:37]
	global_load_ubyte v29, v[5:6], off offset:392
	v_mov_b32_e32 v27, 0
	v_mov_b32_e32 v28, 0
	s_waitcnt vmcnt(0)
	v_cmp_ne_u16_e64 s[6:7], 0, v29
	s_and_saveexec_b64 s[36:37], s[6:7]
	s_cbranch_execz .LBB231_57
; %bb.52:                               ;   in Loop: Header=BB231_9 Depth=1
	v_cmp_ne_u16_e64 s[6:7], s44, v29
	v_bfrev_b32_e32 v28, 1
	s_and_saveexec_b64 s[38:39], s[6:7]
	s_cbranch_execz .LBB231_56
; %bb.53:                               ;   in Loop: Header=BB231_9 Depth=1
	v_and_b32_e32 v7, 0xffff, v29
	v_and_b32_e32 v30, 0x7f, v7
	v_cmp_ne_u32_e64 s[6:7], s45, v30
	v_mov_b32_e32 v28, 0x7f800001
	s_and_saveexec_b64 s[40:41], s[6:7]
	s_cbranch_execz .LBB231_55
; %bb.54:                               ;   in Loop: Header=BB231_9 Depth=1
	v_and_b32_e32 v28, 7, v7
	v_ffbh_u32_e32 v31, v28
	v_min_u32_e32 v34, 32, v31
	v_subrev_u32_e32 v31, 28, v34
	v_lshlrev_b64 v[31:32], v31, v[7:8]
	v_lshrrev_b32_e32 v33, 3, v30
	v_sub_u32_e32 v7, 29, v34
	v_and_b32_e32 v31, 7, v31
	v_cmp_gt_u32_e64 s[6:7], 8, v30
	v_cndmask_b32_e64 v7, v33, v7, s[6:7]
	v_cndmask_b32_e64 v28, v28, v31, s[6:7]
	v_lshlrev_b32_e32 v29, 24, v29
	v_lshlrev_b32_e32 v28, 20, v28
	v_and_b32_e32 v29, 0x80000000, v29
	v_lshl_add_u32 v7, v7, 23, v17
	v_or3_b32 v28, v29, v7, v28
.LBB231_55:                             ;   in Loop: Header=BB231_9 Depth=1
	s_or_b64 exec, exec, s[40:41]
.LBB231_56:                             ;   in Loop: Header=BB231_9 Depth=1
	s_or_b64 exec, exec, s[38:39]
.LBB231_57:                             ;   in Loop: Header=BB231_9 Depth=1
	s_or_b64 exec, exec, s[36:37]
	global_load_ubyte v29, v[5:6], off offset:512
	s_waitcnt vmcnt(0)
	v_cmp_ne_u16_e64 s[6:7], 0, v29
	s_and_saveexec_b64 s[36:37], s[6:7]
	s_cbranch_execz .LBB231_63
; %bb.58:                               ;   in Loop: Header=BB231_9 Depth=1
	v_cmp_ne_u16_e64 s[6:7], s44, v29
	v_bfrev_b32_e32 v27, 1
	s_and_saveexec_b64 s[38:39], s[6:7]
	s_cbranch_execz .LBB231_62
; %bb.59:                               ;   in Loop: Header=BB231_9 Depth=1
	v_and_b32_e32 v7, 0xffff, v29
	v_and_b32_e32 v30, 0x7f, v7
	v_cmp_ne_u32_e64 s[6:7], s45, v30
	v_mov_b32_e32 v27, 0x7f800001
	s_and_saveexec_b64 s[40:41], s[6:7]
	s_cbranch_execz .LBB231_61
; %bb.60:                               ;   in Loop: Header=BB231_9 Depth=1
	v_and_b32_e32 v27, 7, v7
	v_ffbh_u32_e32 v31, v27
	v_min_u32_e32 v34, 32, v31
	v_subrev_u32_e32 v31, 28, v34
	v_lshlrev_b64 v[31:32], v31, v[7:8]
	v_lshrrev_b32_e32 v33, 3, v30
	v_sub_u32_e32 v7, 29, v34
	v_and_b32_e32 v31, 7, v31
	v_cmp_gt_u32_e64 s[6:7], 8, v30
	v_cndmask_b32_e64 v7, v33, v7, s[6:7]
	v_cndmask_b32_e64 v27, v27, v31, s[6:7]
	v_lshlrev_b32_e32 v29, 24, v29
	v_lshlrev_b32_e32 v27, 20, v27
	v_and_b32_e32 v29, 0x80000000, v29
	v_lshl_add_u32 v7, v7, 23, v17
	v_or3_b32 v27, v29, v7, v27
.LBB231_61:                             ;   in Loop: Header=BB231_9 Depth=1
	s_or_b64 exec, exec, s[40:41]
.LBB231_62:                             ;   in Loop: Header=BB231_9 Depth=1
	s_or_b64 exec, exec, s[38:39]
.LBB231_63:                             ;   in Loop: Header=BB231_9 Depth=1
	s_or_b64 exec, exec, s[36:37]
	global_load_ubyte v31, v[5:6], off offset:520
	v_mov_b32_e32 v29, 0
	v_mov_b32_e32 v30, 0
	s_waitcnt vmcnt(0)
	v_cmp_ne_u16_e64 s[6:7], 0, v31
	s_and_saveexec_b64 s[36:37], s[6:7]
	s_cbranch_execz .LBB231_69
; %bb.64:                               ;   in Loop: Header=BB231_9 Depth=1
	v_cmp_ne_u16_e64 s[6:7], s44, v31
	v_bfrev_b32_e32 v30, 1
	s_and_saveexec_b64 s[38:39], s[6:7]
	s_cbranch_execz .LBB231_68
; %bb.65:                               ;   in Loop: Header=BB231_9 Depth=1
	v_and_b32_e32 v7, 0xffff, v31
	v_and_b32_e32 v32, 0x7f, v7
	v_cmp_ne_u32_e64 s[6:7], s45, v32
	v_mov_b32_e32 v30, 0x7f800001
	s_and_saveexec_b64 s[40:41], s[6:7]
	s_cbranch_execz .LBB231_67
; %bb.66:                               ;   in Loop: Header=BB231_9 Depth=1
	v_and_b32_e32 v30, 7, v7
	v_ffbh_u32_e32 v33, v30
	v_min_u32_e32 v36, 32, v33
	v_subrev_u32_e32 v33, 28, v36
	v_lshlrev_b64 v[33:34], v33, v[7:8]
	v_lshrrev_b32_e32 v35, 3, v32
	v_sub_u32_e32 v7, 29, v36
	v_and_b32_e32 v33, 7, v33
	v_cmp_gt_u32_e64 s[6:7], 8, v32
	v_cndmask_b32_e64 v7, v35, v7, s[6:7]
	v_cndmask_b32_e64 v30, v30, v33, s[6:7]
	v_lshlrev_b32_e32 v31, 24, v31
	v_lshlrev_b32_e32 v30, 20, v30
	v_and_b32_e32 v31, 0x80000000, v31
	v_lshl_add_u32 v7, v7, 23, v17
	v_or3_b32 v30, v31, v7, v30
.LBB231_67:                             ;   in Loop: Header=BB231_9 Depth=1
	s_or_b64 exec, exec, s[40:41]
.LBB231_68:                             ;   in Loop: Header=BB231_9 Depth=1
	s_or_b64 exec, exec, s[38:39]
.LBB231_69:                             ;   in Loop: Header=BB231_9 Depth=1
	s_or_b64 exec, exec, s[36:37]
	global_load_ubyte v31, v[5:6], off offset:640
	s_waitcnt vmcnt(0)
	v_cmp_ne_u16_e64 s[6:7], 0, v31
	s_and_saveexec_b64 s[36:37], s[6:7]
	s_cbranch_execz .LBB231_75
; %bb.70:                               ;   in Loop: Header=BB231_9 Depth=1
	v_cmp_ne_u16_e64 s[6:7], s44, v31
	v_bfrev_b32_e32 v29, 1
	s_and_saveexec_b64 s[38:39], s[6:7]
	s_cbranch_execz .LBB231_74
; %bb.71:                               ;   in Loop: Header=BB231_9 Depth=1
	v_and_b32_e32 v7, 0xffff, v31
	v_and_b32_e32 v32, 0x7f, v7
	v_cmp_ne_u32_e64 s[6:7], s45, v32
	v_mov_b32_e32 v29, 0x7f800001
	s_and_saveexec_b64 s[40:41], s[6:7]
	s_cbranch_execz .LBB231_73
; %bb.72:                               ;   in Loop: Header=BB231_9 Depth=1
	v_and_b32_e32 v29, 7, v7
	v_ffbh_u32_e32 v33, v29
	v_min_u32_e32 v36, 32, v33
	v_subrev_u32_e32 v33, 28, v36
	v_lshlrev_b64 v[33:34], v33, v[7:8]
	v_lshrrev_b32_e32 v35, 3, v32
	v_sub_u32_e32 v7, 29, v36
	v_and_b32_e32 v33, 7, v33
	v_cmp_gt_u32_e64 s[6:7], 8, v32
	v_cndmask_b32_e64 v7, v35, v7, s[6:7]
	v_cndmask_b32_e64 v29, v29, v33, s[6:7]
	v_lshlrev_b32_e32 v31, 24, v31
	v_lshlrev_b32_e32 v29, 20, v29
	v_and_b32_e32 v31, 0x80000000, v31
	v_lshl_add_u32 v7, v7, 23, v17
	v_or3_b32 v29, v31, v7, v29
.LBB231_73:                             ;   in Loop: Header=BB231_9 Depth=1
	s_or_b64 exec, exec, s[40:41]
.LBB231_74:                             ;   in Loop: Header=BB231_9 Depth=1
	s_or_b64 exec, exec, s[38:39]
.LBB231_75:                             ;   in Loop: Header=BB231_9 Depth=1
	s_or_b64 exec, exec, s[36:37]
	global_load_ubyte v33, v[5:6], off offset:648
	v_mov_b32_e32 v32, 0
	v_mov_b32_e32 v31, 0
	s_waitcnt vmcnt(0)
	v_cmp_ne_u16_e64 s[6:7], 0, v33
	s_and_saveexec_b64 s[36:37], s[6:7]
	s_cbranch_execz .LBB231_81
; %bb.76:                               ;   in Loop: Header=BB231_9 Depth=1
	v_cmp_ne_u16_e64 s[6:7], s44, v33
	v_bfrev_b32_e32 v31, 1
	s_and_saveexec_b64 s[38:39], s[6:7]
	s_cbranch_execz .LBB231_80
; %bb.77:                               ;   in Loop: Header=BB231_9 Depth=1
	v_and_b32_e32 v7, 0xffff, v33
	v_and_b32_e32 v34, 0x7f, v7
	v_cmp_ne_u32_e64 s[6:7], s45, v34
	v_mov_b32_e32 v31, 0x7f800001
	s_and_saveexec_b64 s[40:41], s[6:7]
	s_cbranch_execz .LBB231_79
; %bb.78:                               ;   in Loop: Header=BB231_9 Depth=1
	v_and_b32_e32 v31, 7, v7
	v_ffbh_u32_e32 v35, v31
	v_min_u32_e32 v38, 32, v35
	v_subrev_u32_e32 v35, 28, v38
	v_lshlrev_b64 v[35:36], v35, v[7:8]
	v_lshrrev_b32_e32 v37, 3, v34
	v_sub_u32_e32 v7, 29, v38
	v_and_b32_e32 v35, 7, v35
	v_cmp_gt_u32_e64 s[6:7], 8, v34
	v_cndmask_b32_e64 v7, v37, v7, s[6:7]
	v_cndmask_b32_e64 v31, v31, v35, s[6:7]
	v_lshlrev_b32_e32 v33, 24, v33
	v_lshlrev_b32_e32 v31, 20, v31
	v_and_b32_e32 v33, 0x80000000, v33
	v_lshl_add_u32 v7, v7, 23, v17
	v_or3_b32 v31, v33, v7, v31
.LBB231_79:                             ;   in Loop: Header=BB231_9 Depth=1
	s_or_b64 exec, exec, s[40:41]
.LBB231_80:                             ;   in Loop: Header=BB231_9 Depth=1
	s_or_b64 exec, exec, s[38:39]
.LBB231_81:                             ;   in Loop: Header=BB231_9 Depth=1
	s_or_b64 exec, exec, s[36:37]
	global_load_ubyte v33, v[5:6], off offset:768
	s_waitcnt vmcnt(0)
	v_cmp_ne_u16_e64 s[6:7], 0, v33
	s_and_saveexec_b64 s[36:37], s[6:7]
	s_cbranch_execz .LBB231_87
; %bb.82:                               ;   in Loop: Header=BB231_9 Depth=1
	v_cmp_ne_u16_e64 s[6:7], s44, v33
	v_bfrev_b32_e32 v32, 1
	s_and_saveexec_b64 s[38:39], s[6:7]
	s_cbranch_execz .LBB231_86
; %bb.83:                               ;   in Loop: Header=BB231_9 Depth=1
	v_and_b32_e32 v7, 0xffff, v33
	v_and_b32_e32 v34, 0x7f, v7
	v_cmp_ne_u32_e64 s[6:7], s45, v34
	v_mov_b32_e32 v32, 0x7f800001
	s_and_saveexec_b64 s[40:41], s[6:7]
	s_cbranch_execz .LBB231_85
; %bb.84:                               ;   in Loop: Header=BB231_9 Depth=1
	v_and_b32_e32 v32, 7, v7
	v_ffbh_u32_e32 v35, v32
	v_min_u32_e32 v38, 32, v35
	v_subrev_u32_e32 v35, 28, v38
	v_lshlrev_b64 v[35:36], v35, v[7:8]
	v_lshrrev_b32_e32 v37, 3, v34
	v_sub_u32_e32 v7, 29, v38
	v_and_b32_e32 v35, 7, v35
	v_cmp_gt_u32_e64 s[6:7], 8, v34
	v_cndmask_b32_e64 v7, v37, v7, s[6:7]
	v_cndmask_b32_e64 v32, v32, v35, s[6:7]
	v_lshlrev_b32_e32 v33, 24, v33
	v_lshlrev_b32_e32 v32, 20, v32
	v_and_b32_e32 v33, 0x80000000, v33
	v_lshl_add_u32 v7, v7, 23, v17
	v_or3_b32 v32, v33, v7, v32
.LBB231_85:                             ;   in Loop: Header=BB231_9 Depth=1
	s_or_b64 exec, exec, s[40:41]
.LBB231_86:                             ;   in Loop: Header=BB231_9 Depth=1
	s_or_b64 exec, exec, s[38:39]
.LBB231_87:                             ;   in Loop: Header=BB231_9 Depth=1
	s_or_b64 exec, exec, s[36:37]
	global_load_ubyte v7, v[5:6], off offset:776
	v_mov_b32_e32 v6, 0
	s_waitcnt vmcnt(0)
	v_cmp_ne_u16_e64 s[6:7], 0, v7
	s_and_saveexec_b64 s[36:37], s[6:7]
	s_cbranch_execz .LBB231_93
; %bb.88:                               ;   in Loop: Header=BB231_9 Depth=1
	v_cmp_ne_u16_e64 s[6:7], s44, v7
	v_bfrev_b32_e32 v6, 1
	s_and_saveexec_b64 s[38:39], s[6:7]
	s_cbranch_execz .LBB231_92
; %bb.89:                               ;   in Loop: Header=BB231_9 Depth=1
	v_and_b32_e32 v5, 0xffff, v7
	v_and_b32_e32 v33, 0x7f, v5
	v_cmp_ne_u32_e64 s[6:7], s45, v33
	v_mov_b32_e32 v6, 0x7f800001
	s_and_saveexec_b64 s[40:41], s[6:7]
	s_cbranch_execz .LBB231_91
; %bb.90:                               ;   in Loop: Header=BB231_9 Depth=1
	v_and_b32_e32 v34, 7, v5
	v_ffbh_u32_e32 v6, v34
	v_min_u32_e32 v36, 32, v6
	v_subrev_u32_e32 v6, 28, v36
	v_lshlrev_b64 v[5:6], v6, v[5:6]
	v_lshrrev_b32_e32 v35, 3, v33
	v_sub_u32_e32 v6, 29, v36
	v_and_b32_e32 v5, 7, v5
	v_cmp_gt_u32_e64 s[6:7], 8, v33
	v_cndmask_b32_e64 v6, v35, v6, s[6:7]
	v_cndmask_b32_e64 v5, v34, v5, s[6:7]
	v_lshlrev_b32_e32 v7, 24, v7
	v_lshlrev_b32_e32 v5, 20, v5
	v_and_b32_e32 v7, 0x80000000, v7
	v_lshl_add_u32 v6, v6, 23, v17
	v_or3_b32 v6, v7, v6, v5
.LBB231_91:                             ;   in Loop: Header=BB231_9 Depth=1
	s_or_b64 exec, exec, s[40:41]
.LBB231_92:                             ;   in Loop: Header=BB231_9 Depth=1
	s_or_b64 exec, exec, s[38:39]
.LBB231_93:                             ;   in Loop: Header=BB231_9 Depth=1
	s_or_b64 exec, exec, s[36:37]
	v_fma_mixlo_f16 v5, v19, v20, 0
	ds_read_u16 v7, v14
	v_and_b32_e32 v20, 0xffff, v5
	s_waitcnt lgkmcnt(0)
	;;#ASMSTART
	v_cvt_f32_f16 v5, v7;
	;;#ASMEND
	;;#ASMSTART
	v_cvt_f32_f16 v7, v20;
	;;#ASMEND
	v_fma_mixlo_f16 v20, v19, v22, 0
	v_and_b32_e32 v22, 0xffff, v20
	ds_read_u16 v33, v14 offset:2
	s_waitcnt lgkmcnt(0)
	;;#ASMSTART
	v_cvt_f32_f16 v20, v33;
	;;#ASMEND
	;;#ASMSTART
	v_cvt_f32_f16 v22, v22;
	;;#ASMEND
	v_fma_mixlo_f16 v21, v19, v21, 0
	v_fma_mixlo_f16 v24, v19, v24, 0
	;; [unrolled: 1-line block ×12, first 2 shown]
	v_mul_f32_e32 v19, v20, v22
	ds_read_u16 v33, v14 offset:4
	v_and_b32_e32 v34, 0xffff, v21
	v_fmac_f32_e32 v19, v5, v7
	s_waitcnt lgkmcnt(0)
	;;#ASMSTART
	v_cvt_f32_f16 v21, v33;
	;;#ASMEND
	;;#ASMSTART
	v_cvt_f32_f16 v33, v34;
	;;#ASMEND
	ds_read_u16 v34, v14 offset:6
	v_and_b32_e32 v35, 0xffff, v24
	v_fmac_f32_e32 v19, v21, v33
	s_waitcnt lgkmcnt(0)
	;;#ASMSTART
	v_cvt_f32_f16 v24, v34;
	;;#ASMEND
	;;#ASMSTART
	v_cvt_f32_f16 v34, v35;
	;;#ASMEND
	;; [unrolled: 10-line block ×7, first 2 shown]
	ds_read_u16 v40, v14 offset:18
	v_fmac_f32_e32 v19, v27, v39
	v_and_b32_e32 v41, 0xffff, v30
	s_waitcnt lgkmcnt(0)
	;;#ASMSTART
	v_cvt_f32_f16 v30, v40;
	;;#ASMEND
	;;#ASMSTART
	v_cvt_f32_f16 v40, v41;
	;;#ASMEND
	v_and_b32_e32 v22, 0xffff, v29
	v_fmac_f32_e32 v19, v30, v40
	ds_read_u16 v41, v14 offset:20
	s_waitcnt lgkmcnt(0)
	;;#ASMSTART
	v_cvt_f32_f16 v20, v41;
	;;#ASMEND
	;;#ASMSTART
	v_cvt_f32_f16 v22, v22;
	;;#ASMEND
	v_and_b32_e32 v7, 0xffff, v31
	v_fmac_f32_e32 v19, v20, v22
	ds_read_u16 v29, v14 offset:22
	s_waitcnt lgkmcnt(0)
	;;#ASMSTART
	v_cvt_f32_f16 v5, v29;
	;;#ASMEND
	;;#ASMSTART
	v_cvt_f32_f16 v7, v7;
	;;#ASMEND
	ds_read_u16 v21, v14 offset:24
	v_and_b32_e32 v23, 0xffff, v32
	v_fmac_f32_e32 v19, v5, v7
	v_and_b32_e32 v6, 0xffff, v6
	s_waitcnt lgkmcnt(0)
	;;#ASMSTART
	v_cvt_f32_f16 v21, v21;
	;;#ASMEND
	;;#ASMSTART
	v_cvt_f32_f16 v23, v23;
	;;#ASMEND
	ds_read_u16 v24, v14 offset:26
	v_fmac_f32_e32 v19, v21, v23
	s_waitcnt lgkmcnt(0)
	;;#ASMSTART
	v_cvt_f32_f16 v5, v24;
	;;#ASMEND
	;;#ASMSTART
	v_cvt_f32_f16 v6, v6;
	;;#ASMEND
	v_fmac_f32_e32 v19, v5, v6
	v_and_b32_e32 v6, 64, v9
	v_add_u32_e32 v5, 64, v6
	v_xor_b32_e32 v7, 4, v9
	v_cmp_lt_i32_e64 s[6:7], v7, v5
	v_cndmask_b32_e64 v7, v9, v7, s[6:7]
	v_lshlrev_b32_e32 v7, 2, v7
	ds_bpermute_b32 v7, v7, v19
	s_waitcnt lgkmcnt(0)
	v_add_f32_e32 v7, v19, v7
	v_xor_b32_e32 v19, 2, v9
	v_cmp_lt_i32_e64 s[6:7], v19, v5
	v_cndmask_b32_e64 v19, v9, v19, s[6:7]
	v_lshlrev_b32_e32 v19, 2, v19
	ds_bpermute_b32 v19, v19, v7
	s_waitcnt lgkmcnt(0)
	v_add_f32_e32 v7, v7, v19
	v_xor_b32_e32 v19, 1, v9
	v_cmp_lt_i32_e64 s[6:7], v19, v5
	v_cndmask_b32_e64 v19, v9, v19, s[6:7]
	v_lshlrev_b32_e32 v19, 2, v19
	ds_bpermute_b32 v19, v19, v7
	s_and_saveexec_b64 s[36:37], vcc
	s_cbranch_execz .LBB231_8
; %bb.94:                               ;   in Loop: Header=BB231_9 Depth=1
	v_add_u32_e32 v20, s43, v15
	v_cvt_f32_i32_e32 v20, v20
	s_waitcnt lgkmcnt(0)
	v_add_f32_e32 v7, v7, v19
	v_cmp_gt_i32_e64 s[6:7], s21, v15
	v_max_f32_e32 v19, v10, v10
	v_mul_f32_e32 v20, s10, v20
	v_cndmask_b32_e64 v20, 0, v20, s[4:5]
	v_fmac_f32_e32 v20, s11, v7
	v_cndmask_b32_e64 v7, 0, v20, s[6:7]
	ds_write_b32 v16, v7
	v_max_f32_e32 v7, v19, v20
	v_cndmask_b32_e64 v10, v10, v7, s[6:7]
	s_branch .LBB231_8
.LBB231_95:
	s_or_b64 exec, exec, s[18:19]
.LBB231_96:
	s_or_b64 exec, exec, s[34:35]
	v_xor_b32_e32 v1, 32, v9
	v_cmp_lt_i32_e32 vcc, v1, v5
	v_cndmask_b32_e32 v1, v9, v1, vcc
	v_lshlrev_b32_e32 v2, 2, v1
	ds_bpermute_b32 v1, v2, v10
	v_xor_b32_e32 v4, 16, v9
	v_max_f32_e32 v3, v10, v10
	v_cmp_lt_i32_e32 vcc, v4, v5
	v_xor_b32_e32 v7, 8, v9
	s_waitcnt lgkmcnt(0)
	v_max_f32_e32 v1, v1, v1
	v_max_f32_e32 v1, v3, v1
	v_cndmask_b32_e32 v3, v9, v4, vcc
	v_lshlrev_b32_e32 v4, 2, v3
	ds_bpermute_b32 v3, v4, v1
	v_cmp_lt_i32_e32 vcc, v7, v5
	v_and_b32_e32 v13, 63, v0
	s_waitcnt lgkmcnt(0)
	v_max_f32_e32 v3, v3, v3
	v_max_f32_e32 v3, v1, v3
	v_cndmask_b32_e32 v1, v9, v7, vcc
	v_lshlrev_b32_e32 v10, 2, v1
	ds_bpermute_b32 v7, v10, v3
	v_cmp_eq_u32_e32 vcc, 0, v13
	v_lshlrev_b32_e32 v1, 2, v12
	s_and_saveexec_b64 s[4:5], vcc
	s_cbranch_execz .LBB231_98
; %bb.97:
	s_waitcnt lgkmcnt(0)
	v_max_f32_e32 v7, v7, v7
	v_max_f32_e32 v3, v3, v3
	;; [unrolled: 1-line block ×3, first 2 shown]
	ds_write_b32 v1, v3 offset:224
.LBB231_98:
	s_or_b64 exec, exec, s[4:5]
	v_cmp_gt_u32_e64 s[4:5], 2, v13
	v_mov_b32_e32 v14, 0xff7fffff
	v_lshlrev_b32_e32 v3, 2, v13
	s_waitcnt lgkmcnt(0)
	s_barrier
	s_and_saveexec_b64 s[6:7], s[4:5]
; %bb.99:
	ds_read_b32 v14, v3 offset:224
; %bb.100:
	s_or_b64 exec, exec, s[6:7]
	v_xor_b32_e32 v7, 1, v9
	v_cmp_lt_i32_e64 s[6:7], v7, v5
	v_cndmask_b32_e64 v7, v9, v7, s[6:7]
	v_lshlrev_b32_e32 v7, 2, v7
	s_waitcnt lgkmcnt(0)
	ds_bpermute_b32 v15, v7, v14
	v_max_f32_e32 v14, v14, v14
	v_lshlrev_b32_e32 v6, 2, v6
	s_lshl_b32 s6, s33, 3
	s_min_i32 s34, s6, s21
	s_waitcnt lgkmcnt(0)
	v_max_f32_e32 v15, v15, v15
	v_max_f32_e32 v14, v14, v15
	ds_bpermute_b32 v14, v6, v14
	v_cmp_gt_i32_e64 s[6:7], s34, v0
	v_mov_b32_e32 v6, 0
	s_and_saveexec_b64 s[12:13], s[6:7]
	s_cbranch_execz .LBB231_104
; %bb.101:
	v_mov_b32_e32 v6, 0xf0
	v_lshl_add_u32 v15, v0, 2, v6
	v_mov_b32_e32 v6, 0
	s_mov_b64 s[18:19], 0
	v_mov_b32_e32 v16, v0
.LBB231_102:                            ; =>This Inner Loop Header: Depth=1
	ds_read_b32 v17, v15
	v_add_u32_e32 v16, 0x80, v16
	v_cmp_le_i32_e64 s[10:11], s34, v16
	s_or_b64 s[18:19], s[10:11], s[18:19]
	s_waitcnt lgkmcnt(0)
	v_sub_f32_e32 v17, v17, v14
	v_mul_f32_e32 v17, 0x3fb8aa3b, v17
	v_exp_f32_e32 v17, v17
	ds_write_b32 v15, v17
	v_add_f32_e32 v6, v6, v17
	v_add_u32_e32 v15, 0x200, v15
	s_andn2_b64 exec, exec, s[18:19]
	s_cbranch_execnz .LBB231_102
; %bb.103:
	s_or_b64 exec, exec, s[18:19]
.LBB231_104:
	s_or_b64 exec, exec, s[12:13]
	ds_bpermute_b32 v2, v2, v6
	s_waitcnt lgkmcnt(0)
	v_add_f32_e32 v2, v6, v2
	ds_bpermute_b32 v4, v4, v2
	v_xor_b32_e32 v6, 4, v9
	v_cmp_lt_i32_e64 s[10:11], v6, v5
	v_cndmask_b32_e64 v6, v9, v6, s[10:11]
	v_lshlrev_b32_e32 v6, 2, v6
	s_waitcnt lgkmcnt(0)
	v_add_f32_e32 v2, v2, v4
	ds_bpermute_b32 v4, v10, v2
	s_waitcnt lgkmcnt(0)
	v_add_f32_e32 v2, v2, v4
	ds_bpermute_b32 v4, v6, v2
	v_xor_b32_e32 v6, 2, v9
	v_cmp_lt_i32_e64 s[10:11], v6, v5
	v_cndmask_b32_e64 v5, v9, v6, s[10:11]
	s_waitcnt lgkmcnt(0)
	v_add_f32_e32 v2, v2, v4
	v_lshlrev_b32_e32 v4, 2, v5
	ds_bpermute_b32 v4, v4, v2
	s_waitcnt lgkmcnt(0)
	v_add_f32_e32 v2, v2, v4
	ds_bpermute_b32 v4, v7, v2
	s_waitcnt lgkmcnt(0)
	v_add_f32_e32 v2, v2, v4
	s_and_saveexec_b64 s[10:11], vcc
; %bb.105:
	ds_write_b32 v1, v2 offset:232
; %bb.106:
	s_or_b64 exec, exec, s[10:11]
	s_waitcnt lgkmcnt(0)
	s_barrier
	s_and_saveexec_b64 s[10:11], s[4:5]
; %bb.107:
	ds_read_b32 v2, v3 offset:232
; %bb.108:
	s_or_b64 exec, exec, s[10:11]
	s_waitcnt lgkmcnt(0)
	ds_bpermute_b32 v1, v7, v2
	v_lshlrev_b32_e32 v3, 2, v9
	s_waitcnt lgkmcnt(0)
	v_add_f32_e32 v1, v2, v1
	v_and_b32_e32 v2, 0xffffff00, v3
	ds_bpermute_b32 v1, v2, v1
	s_and_saveexec_b64 s[4:5], s[6:7]
	s_cbranch_execz .LBB231_111
; %bb.109:
	s_waitcnt lgkmcnt(0)
	v_add_f32_e32 v2, 0x358637bd, v1
	v_div_scale_f32 v1, s[6:7], v2, v2, 1.0
	v_div_scale_f32 v3, vcc, 1.0, v2, 1.0
	s_mov_b64 s[6:7], 0
	v_rcp_f32_e32 v4, v1
	v_fma_f32 v5, -v1, v4, 1.0
	v_fmac_f32_e32 v4, v5, v4
	v_mul_f32_e32 v5, v3, v4
	v_fma_f32 v6, -v1, v5, v3
	v_fmac_f32_e32 v5, v6, v4
	v_fma_f32 v1, -v1, v5, v3
	v_div_fmas_f32 v3, v1, v4, v5
	v_mov_b32_e32 v1, 0xf0
	v_lshl_add_u32 v1, v0, 2, v1
	v_div_fixup_f32 v2, v3, v2, 1.0
	v_mov_b32_e32 v3, v0
.LBB231_110:                            ; =>This Inner Loop Header: Depth=1
	ds_read_b32 v4, v1
	v_add_u32_e32 v3, 0x80, v3
	v_cmp_le_i32_e32 vcc, s34, v3
	s_or_b64 s[6:7], vcc, s[6:7]
	s_waitcnt lgkmcnt(0)
	v_mul_f32_e32 v4, v2, v4
	ds_write_b32 v1, v4
	v_add_u32_e32 v1, 0x200, v1
	s_andn2_b64 exec, exec, s[6:7]
	s_cbranch_execnz .LBB231_110
.LBB231_111:
	s_or_b64 exec, exec, s[4:5]
	v_mov_b32_e32 v15, 0
	v_mov_b32_e32 v14, 0
	s_waitcnt lgkmcnt(0)
	s_barrier
	s_and_saveexec_b64 s[6:7], s[2:3]
	s_cbranch_execz .LBB231_217
; %bb.112:
	s_ashr_i32 s2, s16, 31
	s_add_u32 s4, s30, s16
	s_addc_u32 s5, s31, s2
	v_or_b32_e32 v1, 64, v13
	s_movk_i32 s2, 0x70
	s_add_i32 s30, s33, -1
	v_cmp_gt_u32_e32 vcc, s2, v1
	s_lshl_b64 s[2:3], s[28:29], 2
	v_lshlrev_b32_e32 v17, 3, v1
	v_mov_b32_e32 v1, 0xf0
	s_add_u32 s2, s26, s2
	v_lshl_add_u32 v19, v12, 5, v1
	v_and_b32_e32 v1, 60, v8
	s_addc_u32 s3, s27, s3
	s_mov_b32 s10, -1
	v_mov_b32_e32 v4, s3
	v_add_co_u32_e64 v3, s[2:3], s2, v1
	v_mov_b32_e32 v6, s5
	s_mov_b32 s34, s17
	s_mov_b32 s11, 0xffffff
	v_lshlrev_b32_e32 v16, 3, v13
	v_mov_b32_e32 v2, 0
	v_lshl_or_b32 v18, v12, 3, 7
	v_addc_co_u32_e64 v4, s[2:3], 0, v4, s[2:3]
	s_mov_b64 s[12:13], 0
	v_mov_b32_e32 v5, s4
	s_movk_i32 s31, 0x80
	s_movk_i32 s35, 0x7f
	s_mov_b32 s36, 0x8000
	v_mov_b32_e32 v20, 0x2000
	v_mov_b32_e32 v14, 0
	;; [unrolled: 1-line block ×3, first 2 shown]
	s_branch .LBB231_115
.LBB231_113:                            ;   in Loop: Header=BB231_115 Depth=1
	s_or_b64 exec, exec, s[4:5]
	;;#ASMSTART
	v_pk_mul_f16 v7, v25, v7;

	;;#ASMEND
	;;#ASMSTART
	v_pk_mul_f16 v1, v24, v1;

	;;#ASMEND
	;; [unrolled: 4-line block ×4, first 2 shown]
	;;#ASMSTART
	v_pk_add_f16 v1, v7, v1;

	;;#ASMEND
	;;#ASMSTART
	v_pk_add_f16 v1, v1, v8;

	;;#ASMEND
	;; [unrolled: 4-line block ×3, first 2 shown]
	v_lshrrev_b32_e32 v7, 16, v1
	v_and_b32_e32 v1, 0xffff, v1
	;;#ASMSTART
	v_cvt_f32_f16 v1, v1;
	;;#ASMEND
	;;#ASMSTART
	v_cvt_f32_f16 v7, v7;
	;;#ASMEND
	v_add_f32_e32 v1, v1, v7
	v_add_f32_e32 v14, v14, v1
.LBB231_114:                            ;   in Loop: Header=BB231_115 Depth=1
	s_or_b64 exec, exec, s[16:17]
	v_add_u32_e32 v12, 2, v12
	v_cmp_le_i32_e64 s[2:3], s33, v12
	v_add_f32_e32 v1, v10, v21
	s_or_b64 s[12:13], s[2:3], s[12:13]
	v_add_co_u32_e64 v3, s[2:3], 8, v3
	v_add_f32_e32 v15, v15, v1
	v_add_u32_e32 v18, 16, v18
	v_add_u32_e32 v19, 64, v19
	v_addc_co_u32_e64 v4, s[2:3], 0, v4, s[2:3]
	s_andn2_b64 exec, exec, s[12:13]
	s_cbranch_execz .LBB231_216
.LBB231_115:                            ; =>This Inner Loop Header: Depth=1
	global_load_dword v1, v[3:4], off
	ds_read2_b64 v[7:10], v19 offset1:1
	ds_read2_b64 v[26:29], v19 offset0:2 offset1:3
	s_waitcnt lgkmcnt(1)
	;;#ASMSTART
	v_cvt_f16_f32 v21, v7;

	;;#ASMEND
	;;#ASMSTART
	v_cvt_f16_f32 v22, v8;

	;;#ASMEND
	;; [unrolled: 4-line block ×4, first 2 shown]
	s_waitcnt lgkmcnt(0)
	;;#ASMSTART
	v_cvt_f16_f32 v26, v26;

	;;#ASMEND
	;;#ASMSTART
	v_cvt_f16_f32 v27, v27;

	;;#ASMEND
	;; [unrolled: 4-line block ×4, first 2 shown]
	s_waitcnt vmcnt(0)
	v_mad_i64_i32 v[7:8], s[2:3], v1, s34, v[5:6]
	v_add_co_u32_e64 v30, s[2:3], v7, v16
	v_addc_co_u32_e64 v31, s[2:3], 0, v8, s[2:3]
	global_load_dwordx2 v[9:10], v[30:31], off
	global_load_dword v25, v2, s[14:15]
	v_mov_b32_e32 v30, 0
	s_waitcnt vmcnt(1)
	v_cmp_ne_u16_sdwa s[2:3], v9, v2 src0_sel:BYTE_0 src1_sel:DWORD
	s_and_saveexec_b64 s[4:5], s[2:3]
	s_cbranch_execz .LBB231_121
; %bb.116:                              ;   in Loop: Header=BB231_115 Depth=1
	v_cmp_ne_u16_sdwa s[2:3], v9, s31 src0_sel:BYTE_0 src1_sel:DWORD
	v_mov_b32_e32 v30, 0x8000
	s_and_saveexec_b64 s[16:17], s[2:3]
	s_cbranch_execz .LBB231_120
; %bb.117:                              ;   in Loop: Header=BB231_115 Depth=1
	v_and_b32_e32 v1, 0x7f, v9
	v_cmp_ne_u32_e64 s[2:3], s35, v1
	v_mov_b32_e32 v30, 0x7c01
	s_and_saveexec_b64 s[18:19], s[2:3]
	s_cbranch_execz .LBB231_119
; %bb.118:                              ;   in Loop: Header=BB231_115 Depth=1
	v_and_b32_e32 v32, 7, v9
	v_ffbh_u32_e32 v30, v32
	v_min_u32_e32 v34, 32, v30
	v_subrev_u32_e32 v30, 28, v34
	v_lshlrev_b64 v[30:31], v30, v[9:10]
	v_lshrrev_b32_e32 v33, 3, v1
	v_sub_u32_e32 v31, 29, v34
	v_cmp_gt_u32_e64 s[2:3], 8, v1
	v_cndmask_b32_e64 v1, v33, v31, s[2:3]
	v_lshl_add_u32 v1, v1, 10, v20
	v_lshlrev_b32_e32 v31, 8, v9
	v_and_b32_e32 v30, 7, v30
	v_and_b32_e32 v1, 0xfc00, v1
	v_cndmask_b32_e64 v30, v32, v30, s[2:3]
	v_and_or_b32 v1, v31, s36, v1
	v_lshl_or_b32 v30, v30, 7, v1
.LBB231_119:                            ;   in Loop: Header=BB231_115 Depth=1
	s_or_b64 exec, exec, s[18:19]
.LBB231_120:                            ;   in Loop: Header=BB231_115 Depth=1
	s_or_b64 exec, exec, s[16:17]
.LBB231_121:                            ;   in Loop: Header=BB231_115 Depth=1
	s_or_b64 exec, exec, s[4:5]
	v_lshrrev_b16_e32 v1, 8, v9
	v_cmp_ne_u16_e64 s[2:3], 0, v1
	v_mov_b32_e32 v32, 0
	v_mov_b32_e32 v31, 0
	s_and_saveexec_b64 s[4:5], s[2:3]
	s_cbranch_execz .LBB231_127
; %bb.122:                              ;   in Loop: Header=BB231_115 Depth=1
	v_cmp_ne_u16_e64 s[2:3], s31, v1
	v_bfrev_b32_e32 v31, 1
	s_and_saveexec_b64 s[16:17], s[2:3]
	s_cbranch_execz .LBB231_126
; %bb.123:                              ;   in Loop: Header=BB231_115 Depth=1
	v_and_b32_e32 v33, 0x7f, v1
	v_cmp_ne_u32_e64 s[2:3], s35, v33
	v_mov_b32_e32 v31, 0x7c010000
	s_and_saveexec_b64 s[18:19], s[2:3]
	s_cbranch_execz .LBB231_125
; %bb.124:                              ;   in Loop: Header=BB231_115 Depth=1
	v_and_b32_e32 v31, 7, v1
	v_ffbh_u32_e32 v34, v31
	v_min_u32_e32 v37, 32, v34
	v_subrev_u32_e32 v34, 28, v37
	v_lshlrev_b64 v[34:35], v34, v[1:2]
	v_lshrrev_b32_e32 v36, 3, v33
	v_sub_u32_e32 v35, 29, v37
	v_cmp_gt_u32_e64 s[2:3], 8, v33
	v_cndmask_b32_e64 v33, v36, v35, s[2:3]
	v_lshlrev_b32_e32 v1, 8, v1
	v_lshl_add_u32 v33, v33, 10, v20
	v_and_b32_e32 v34, 7, v34
	v_and_or_b32 v1, v1, s36, v33
	v_cndmask_b32_e64 v31, v31, v34, s[2:3]
	v_lshlrev_b32_e32 v1, 16, v1
	v_lshl_or_b32 v31, v31, 23, v1
.LBB231_125:                            ;   in Loop: Header=BB231_115 Depth=1
	s_or_b64 exec, exec, s[18:19]
.LBB231_126:                            ;   in Loop: Header=BB231_115 Depth=1
	s_or_b64 exec, exec, s[16:17]
.LBB231_127:                            ;   in Loop: Header=BB231_115 Depth=1
	s_or_b64 exec, exec, s[4:5]
	v_lshrrev_b32_e32 v1, 16, v9
	v_cmp_ne_u16_sdwa s[2:3], v1, v2 src0_sel:BYTE_0 src1_sel:DWORD
	s_and_saveexec_b64 s[4:5], s[2:3]
	s_cbranch_execz .LBB231_133
; %bb.128:                              ;   in Loop: Header=BB231_115 Depth=1
	v_cmp_ne_u16_sdwa s[2:3], v1, s31 src0_sel:BYTE_0 src1_sel:DWORD
	v_mov_b32_e32 v32, 0x8000
	s_and_saveexec_b64 s[16:17], s[2:3]
	s_cbranch_execz .LBB231_132
; %bb.129:                              ;   in Loop: Header=BB231_115 Depth=1
	v_bfe_u32 v33, v9, 16, 7
	v_cmp_ne_u32_e64 s[2:3], s35, v33
	v_mov_b32_e32 v32, 0x7c01
	s_and_saveexec_b64 s[18:19], s[2:3]
	s_cbranch_execz .LBB231_131
; %bb.130:                              ;   in Loop: Header=BB231_115 Depth=1
	v_and_b32_e32 v32, 7, v1
	v_ffbh_u32_e32 v34, v32
	v_min_u32_e32 v37, 32, v34
	v_subrev_u32_e32 v34, 28, v37
	v_lshlrev_b64 v[34:35], v34, v[1:2]
	v_lshrrev_b32_e32 v36, 3, v33
	v_sub_u32_e32 v35, 29, v37
	v_cmp_gt_u32_e64 s[2:3], 8, v33
	v_cndmask_b32_e64 v33, v36, v35, s[2:3]
	v_lshl_add_u32 v33, v33, 10, v20
	v_lshlrev_b32_e32 v1, 8, v1
	v_and_b32_e32 v34, 7, v34
	v_and_b32_e32 v33, 0xfc00, v33
	v_cndmask_b32_e64 v32, v32, v34, s[2:3]
	v_and_or_b32 v1, v1, s36, v33
	v_lshl_or_b32 v32, v32, 7, v1
.LBB231_131:                            ;   in Loop: Header=BB231_115 Depth=1
	s_or_b64 exec, exec, s[18:19]
.LBB231_132:                            ;   in Loop: Header=BB231_115 Depth=1
	s_or_b64 exec, exec, s[16:17]
.LBB231_133:                            ;   in Loop: Header=BB231_115 Depth=1
	s_or_b64 exec, exec, s[4:5]
	v_cmp_lt_u32_e64 s[2:3], s11, v9
	v_mov_b32_e32 v33, 0
	v_mov_b32_e32 v34, 0
	s_and_saveexec_b64 s[4:5], s[2:3]
	s_cbranch_execz .LBB231_139
; %bb.134:                              ;   in Loop: Header=BB231_115 Depth=1
	v_lshrrev_b32_e32 v1, 24, v9
	v_cmp_ne_u32_e64 s[2:3], s31, v1
	v_bfrev_b32_e32 v34, 1
	s_and_saveexec_b64 s[16:17], s[2:3]
	s_cbranch_execz .LBB231_138
; %bb.135:                              ;   in Loop: Header=BB231_115 Depth=1
	v_and_b32_e32 v35, 0x7f, v1
	v_cmp_ne_u32_e64 s[2:3], s35, v35
	v_mov_b32_e32 v34, 0x7c010000
	s_and_saveexec_b64 s[18:19], s[2:3]
	s_cbranch_execz .LBB231_137
; %bb.136:                              ;   in Loop: Header=BB231_115 Depth=1
	v_and_b32_e32 v34, 7, v1
	v_ffbh_u32_e32 v36, v34
	v_min_u32_e32 v39, 32, v36
	v_subrev_u32_e32 v36, 28, v39
	v_lshlrev_b64 v[36:37], v36, v[1:2]
	v_lshrrev_b32_e32 v38, 3, v35
	v_sub_u32_e32 v37, 29, v39
	v_cmp_gt_u32_e64 s[2:3], 8, v35
	v_cndmask_b32_e64 v35, v38, v37, s[2:3]
	v_lshlrev_b32_e32 v1, 8, v1
	v_lshl_add_u32 v35, v35, 10, v20
	v_and_b32_e32 v36, 7, v36
	v_and_or_b32 v1, v1, s36, v35
	v_cndmask_b32_e64 v34, v34, v36, s[2:3]
	v_lshlrev_b32_e32 v1, 16, v1
	v_lshl_or_b32 v34, v34, 23, v1
.LBB231_137:                            ;   in Loop: Header=BB231_115 Depth=1
	s_or_b64 exec, exec, s[18:19]
.LBB231_138:                            ;   in Loop: Header=BB231_115 Depth=1
	s_or_b64 exec, exec, s[16:17]
.LBB231_139:                            ;   in Loop: Header=BB231_115 Depth=1
	s_or_b64 exec, exec, s[4:5]
	v_mov_b32_e32 v1, v10
	v_cmp_ne_u16_sdwa s[2:3], v10, v2 src0_sel:BYTE_0 src1_sel:DWORD
	s_and_saveexec_b64 s[4:5], s[2:3]
	s_cbranch_execz .LBB231_145
; %bb.140:                              ;   in Loop: Header=BB231_115 Depth=1
	v_cmp_ne_u16_sdwa s[2:3], v10, s31 src0_sel:BYTE_0 src1_sel:DWORD
	v_mov_b32_e32 v33, 0x8000
	s_and_saveexec_b64 s[16:17], s[2:3]
	s_cbranch_execz .LBB231_144
; %bb.141:                              ;   in Loop: Header=BB231_115 Depth=1
	v_and_b32_e32 v35, 0x7f, v10
	v_cmp_ne_u32_e64 s[2:3], s35, v35
	v_mov_b32_e32 v33, 0x7c01
	s_and_saveexec_b64 s[18:19], s[2:3]
	s_cbranch_execz .LBB231_143
; %bb.142:                              ;   in Loop: Header=BB231_115 Depth=1
	v_and_b32_e32 v33, 7, v10
	v_ffbh_u32_e32 v36, v33
	v_min_u32_e32 v39, 32, v36
	v_subrev_u32_e32 v36, 28, v39
	v_lshlrev_b64 v[36:37], v36, v[1:2]
	v_lshrrev_b32_e32 v38, 3, v35
	v_sub_u32_e32 v37, 29, v39
	v_cmp_gt_u32_e64 s[2:3], 8, v35
	v_cndmask_b32_e64 v35, v38, v37, s[2:3]
	v_lshl_add_u32 v35, v35, 10, v20
	v_lshlrev_b32_e32 v37, 8, v10
	v_and_b32_e32 v36, 7, v36
	v_and_b32_e32 v35, 0xfc00, v35
	v_cndmask_b32_e64 v33, v33, v36, s[2:3]
	v_and_or_b32 v35, v37, s36, v35
	v_lshl_or_b32 v33, v33, 7, v35
.LBB231_143:                            ;   in Loop: Header=BB231_115 Depth=1
	s_or_b64 exec, exec, s[18:19]
.LBB231_144:                            ;   in Loop: Header=BB231_115 Depth=1
	s_or_b64 exec, exec, s[16:17]
.LBB231_145:                            ;   in Loop: Header=BB231_115 Depth=1
	s_or_b64 exec, exec, s[4:5]
	v_lshrrev_b16_e32 v1, 8, v1
	v_cmp_ne_u16_e64 s[2:3], 0, v1
	v_mov_b32_e32 v35, 0
	v_mov_b32_e32 v36, 0
	s_and_saveexec_b64 s[4:5], s[2:3]
	s_cbranch_execz .LBB231_151
; %bb.146:                              ;   in Loop: Header=BB231_115 Depth=1
	v_cmp_ne_u16_e64 s[2:3], s31, v1
	v_bfrev_b32_e32 v36, 1
	s_and_saveexec_b64 s[16:17], s[2:3]
	s_cbranch_execz .LBB231_150
; %bb.147:                              ;   in Loop: Header=BB231_115 Depth=1
	v_and_b32_e32 v37, 0x7f, v1
	v_cmp_ne_u32_e64 s[2:3], s35, v37
	v_mov_b32_e32 v36, 0x7c010000
	s_and_saveexec_b64 s[18:19], s[2:3]
	s_cbranch_execz .LBB231_149
; %bb.148:                              ;   in Loop: Header=BB231_115 Depth=1
	v_and_b32_e32 v36, 7, v1
	v_ffbh_u32_e32 v38, v36
	v_min_u32_e32 v41, 32, v38
	v_subrev_u32_e32 v38, 28, v41
	v_lshlrev_b64 v[38:39], v38, v[1:2]
	v_lshrrev_b32_e32 v40, 3, v37
	v_sub_u32_e32 v39, 29, v41
	v_cmp_gt_u32_e64 s[2:3], 8, v37
	v_cndmask_b32_e64 v37, v40, v39, s[2:3]
	v_lshlrev_b32_e32 v1, 8, v1
	v_lshl_add_u32 v37, v37, 10, v20
	v_and_b32_e32 v38, 7, v38
	v_and_or_b32 v1, v1, s36, v37
	v_cndmask_b32_e64 v36, v36, v38, s[2:3]
	v_lshlrev_b32_e32 v1, 16, v1
	v_lshl_or_b32 v36, v36, 23, v1
.LBB231_149:                            ;   in Loop: Header=BB231_115 Depth=1
	s_or_b64 exec, exec, s[18:19]
.LBB231_150:                            ;   in Loop: Header=BB231_115 Depth=1
	s_or_b64 exec, exec, s[16:17]
.LBB231_151:                            ;   in Loop: Header=BB231_115 Depth=1
	s_or_b64 exec, exec, s[4:5]
	v_lshrrev_b32_e32 v1, 16, v10
	v_cmp_ne_u16_sdwa s[2:3], v1, v2 src0_sel:BYTE_0 src1_sel:DWORD
	s_and_saveexec_b64 s[4:5], s[2:3]
	s_cbranch_execz .LBB231_157
; %bb.152:                              ;   in Loop: Header=BB231_115 Depth=1
	v_cmp_ne_u16_sdwa s[2:3], v1, s31 src0_sel:BYTE_0 src1_sel:DWORD
	v_mov_b32_e32 v35, 0x8000
	s_and_saveexec_b64 s[16:17], s[2:3]
	s_cbranch_execz .LBB231_156
; %bb.153:                              ;   in Loop: Header=BB231_115 Depth=1
	v_bfe_u32 v37, v10, 16, 7
	v_cmp_ne_u32_e64 s[2:3], s35, v37
	v_mov_b32_e32 v35, 0x7c01
	s_and_saveexec_b64 s[18:19], s[2:3]
	s_cbranch_execz .LBB231_155
; %bb.154:                              ;   in Loop: Header=BB231_115 Depth=1
	v_and_b32_e32 v35, 7, v1
	v_ffbh_u32_e32 v38, v35
	v_min_u32_e32 v41, 32, v38
	v_subrev_u32_e32 v38, 28, v41
	v_lshlrev_b64 v[38:39], v38, v[1:2]
	v_lshrrev_b32_e32 v40, 3, v37
	v_sub_u32_e32 v39, 29, v41
	v_cmp_gt_u32_e64 s[2:3], 8, v37
	v_cndmask_b32_e64 v37, v40, v39, s[2:3]
	v_lshl_add_u32 v37, v37, 10, v20
	v_lshlrev_b32_e32 v1, 8, v1
	v_and_b32_e32 v38, 7, v38
	v_and_b32_e32 v37, 0xfc00, v37
	v_cndmask_b32_e64 v35, v35, v38, s[2:3]
	v_and_or_b32 v1, v1, s36, v37
	v_lshl_or_b32 v35, v35, 7, v1
.LBB231_155:                            ;   in Loop: Header=BB231_115 Depth=1
	s_or_b64 exec, exec, s[18:19]
.LBB231_156:                            ;   in Loop: Header=BB231_115 Depth=1
	s_or_b64 exec, exec, s[16:17]
.LBB231_157:                            ;   in Loop: Header=BB231_115 Depth=1
	s_or_b64 exec, exec, s[4:5]
	v_cmp_lt_u64_e64 s[2:3], s[10:11], v[9:10]
	v_mov_b32_e32 v37, 0
	s_and_saveexec_b64 s[4:5], s[2:3]
	s_cbranch_execz .LBB231_163
; %bb.158:                              ;   in Loop: Header=BB231_115 Depth=1
	v_lshrrev_b32_e32 v1, 24, v10
	v_cmp_ne_u32_e64 s[2:3], s31, v1
	v_bfrev_b32_e32 v37, 1
	s_and_saveexec_b64 s[16:17], s[2:3]
	s_cbranch_execz .LBB231_162
; %bb.159:                              ;   in Loop: Header=BB231_115 Depth=1
	v_and_b32_e32 v9, 0x7f, v1
	v_cmp_ne_u32_e64 s[2:3], s35, v9
	v_mov_b32_e32 v37, 0x7c010000
	s_and_saveexec_b64 s[18:19], s[2:3]
	s_cbranch_execz .LBB231_161
; %bb.160:                              ;   in Loop: Header=BB231_115 Depth=1
	v_and_b32_e32 v10, 7, v1
	v_ffbh_u32_e32 v37, v10
	v_min_u32_e32 v40, 32, v37
	v_subrev_u32_e32 v37, 28, v40
	v_lshlrev_b64 v[37:38], v37, v[1:2]
	v_lshrrev_b32_e32 v39, 3, v9
	v_sub_u32_e32 v38, 29, v40
	v_cmp_gt_u32_e64 s[2:3], 8, v9
	v_cndmask_b32_e64 v9, v39, v38, s[2:3]
	v_lshlrev_b32_e32 v1, 8, v1
	v_lshl_add_u32 v9, v9, 10, v20
	v_and_b32_e32 v37, 7, v37
	v_and_or_b32 v1, v1, s36, v9
	v_cndmask_b32_e64 v10, v10, v37, s[2:3]
	v_lshlrev_b32_e32 v1, 16, v1
	v_lshl_or_b32 v37, v10, 23, v1
.LBB231_161:                            ;   in Loop: Header=BB231_115 Depth=1
	s_or_b64 exec, exec, s[18:19]
.LBB231_162:                            ;   in Loop: Header=BB231_115 Depth=1
	s_or_b64 exec, exec, s[16:17]
.LBB231_163:                            ;   in Loop: Header=BB231_115 Depth=1
	s_or_b64 exec, exec, s[4:5]
	s_waitcnt vmcnt(0)
	v_fma_mixlo_f16 v10, v25, v34, 0 op_sel:[0,1,0] op_sel_hi:[0,1,0]
	v_or_b32_e32 v1, v34, v32
	v_lshlrev_b32_e32 v32, 16, v10
	v_or_b32_e32 v10, v31, v30
	v_fma_mixlo_f16 v30, v25, v31, 0 op_sel:[0,1,0] op_sel_hi:[0,1,0]
	v_lshlrev_b32_e32 v38, 16, v30
	v_or_b32_e32 v30, v36, v33
	v_or_b32_e32 v33, v37, v35
	v_fma_mixlo_f16 v1, v25, v1, 0 op_sel_hi:[0,1,0]
	v_fma_mixlo_f16 v10, v25, v10, 0 op_sel_hi:[0,1,0]
	v_fma_mixlo_f16 v31, v25, v36, 0 op_sel:[0,1,0] op_sel_hi:[0,1,0]
	v_fma_mixlo_f16 v30, v25, v30, 0 op_sel_hi:[0,1,0]
	v_fma_mixlo_f16 v33, v25, v33, 0 op_sel_hi:[0,1,0]
	v_fma_mixlo_f16 v25, v25, v37, 0 op_sel:[0,1,0] op_sel_hi:[0,1,0]
	v_and_b32_e32 v34, 0xffff, v1
	v_and_b32_e32 v39, 0xffff, v10
	v_lshlrev_b32_e32 v31, 16, v31
	v_and_b32_e32 v36, 0xffff, v30
	v_lshlrev_b32_e32 v25, 16, v25
	v_and_b32_e32 v33, 0xffff, v33
	v_add_u32_e32 v9, -7, v18
	v_cmp_eq_u32_e64 s[2:3], s30, v12
	v_or_b32_e32 v1, v32, v34
	v_or_b32_e32 v10, v38, v39
	;; [unrolled: 1-line block ×4, first 2 shown]
	s_and_saveexec_b64 s[16:17], s[2:3]
	s_cbranch_execz .LBB231_165
; %bb.164:                              ;   in Loop: Header=BB231_115 Depth=1
	v_cmp_gt_i32_e64 s[4:5], s21, v9
	v_add_u32_e32 v10, -6, v18
	v_cndmask_b32_e64 v1, 0, v39, s[4:5]
	v_cmp_gt_i32_e64 s[4:5], s21, v10
	v_cndmask_b32_e64 v10, 0, v38, s[4:5]
	v_or_b32_e32 v10, v10, v1
	v_add_u32_e32 v1, -5, v18
	v_cmp_gt_i32_e64 s[4:5], s21, v1
	v_add_u32_e32 v30, -4, v18
	v_cndmask_b32_e64 v1, 0, v34, s[4:5]
	v_cmp_gt_i32_e64 s[4:5], s21, v30
	v_cndmask_b32_e64 v30, 0, v32, s[4:5]
	v_or_b32_e32 v1, v30, v1
	v_add_u32_e32 v30, -3, v18
	;; [unrolled: 7-line block ×3, first 2 shown]
	v_cmp_gt_i32_e64 s[4:5], s21, v31
	v_cndmask_b32_e64 v31, 0, v33, s[4:5]
	v_cmp_gt_i32_e64 s[4:5], s21, v18
	v_cndmask_b32_e64 v25, 0, v25, s[4:5]
	v_or_b32_e32 v35, v25, v31
.LBB231_165:                            ;   in Loop: Header=BB231_115 Depth=1
	s_or_b64 exec, exec, s[16:17]
	v_and_b32_e32 v21, 0xffff, v21
	v_lshl_or_b32 v25, v22, 16, v21
	v_and_b32_e32 v21, 0xffff, v23
	v_lshl_or_b32 v24, v24, 16, v21
	;; [unrolled: 2-line block ×3, first 2 shown]
	v_and_b32_e32 v21, 0xffff, v28
	;;#ASMSTART
	v_pk_mul_f16 v10, v25, v10;

	;;#ASMEND
	;;#ASMSTART
	v_pk_mul_f16 v1, v24, v1;

	;;#ASMEND
	v_lshl_or_b32 v22, v29, 16, v21
	;;#ASMSTART
	v_pk_mul_f16 v21, v23, v30;

	;;#ASMEND
	;;#ASMSTART
	v_pk_mul_f16 v26, v22, v35;

	;;#ASMEND
	;;#ASMSTART
	v_pk_add_f16 v1, v10, v1;

	;;#ASMEND
	;;#ASMSTART
	v_pk_add_f16 v1, v1, v21;
	;; [unrolled: 4-line block ×3, first 2 shown]

	;;#ASMEND
	v_lshrrev_b32_e32 v21, 16, v1
	v_and_b32_e32 v1, 0xffff, v1
	;;#ASMSTART
	v_cvt_f32_f16 v10, v1;
	;;#ASMEND
	;;#ASMSTART
	v_cvt_f32_f16 v21, v21;
	;;#ASMEND
	s_and_saveexec_b64 s[16:17], vcc
	s_cbranch_execz .LBB231_114
; %bb.166:                              ;   in Loop: Header=BB231_115 Depth=1
	v_add_co_u32_e64 v7, s[4:5], v7, v17
	v_addc_co_u32_e64 v8, s[4:5], 0, v8, s[4:5]
	global_load_dwordx2 v[7:8], v[7:8], off
	v_mov_b32_e32 v27, 0
	global_load_dword v26, v27, s[14:15]
	v_mov_b32_e32 v28, 0
	s_waitcnt vmcnt(1)
	v_cmp_ne_u16_sdwa s[4:5], v7, v2 src0_sel:BYTE_0 src1_sel:DWORD
	s_and_saveexec_b64 s[18:19], s[4:5]
	s_cbranch_execz .LBB231_172
; %bb.167:                              ;   in Loop: Header=BB231_115 Depth=1
	v_cmp_ne_u16_sdwa s[4:5], v7, s31 src0_sel:BYTE_0 src1_sel:DWORD
	v_mov_b32_e32 v28, 0x8000
	s_and_saveexec_b64 s[26:27], s[4:5]
	s_cbranch_execz .LBB231_171
; %bb.168:                              ;   in Loop: Header=BB231_115 Depth=1
	v_and_b32_e32 v1, 0x7f, v7
	v_cmp_ne_u32_e64 s[4:5], s35, v1
	v_mov_b32_e32 v28, 0x7c01
	s_and_saveexec_b64 s[28:29], s[4:5]
	s_cbranch_execz .LBB231_170
; %bb.169:                              ;   in Loop: Header=BB231_115 Depth=1
	v_and_b32_e32 v30, 7, v7
	v_ffbh_u32_e32 v28, v30
	v_min_u32_e32 v32, 32, v28
	v_subrev_u32_e32 v28, 28, v32
	v_lshlrev_b64 v[28:29], v28, v[7:8]
	v_lshrrev_b32_e32 v31, 3, v1
	v_sub_u32_e32 v29, 29, v32
	v_cmp_gt_u32_e64 s[4:5], 8, v1
	v_cndmask_b32_e64 v1, v31, v29, s[4:5]
	v_lshl_add_u32 v1, v1, 10, v20
	v_lshlrev_b32_e32 v29, 8, v7
	v_and_b32_e32 v28, 7, v28
	v_and_b32_e32 v1, 0xfc00, v1
	v_cndmask_b32_e64 v28, v30, v28, s[4:5]
	v_and_or_b32 v1, v29, s36, v1
	v_lshl_or_b32 v28, v28, 7, v1
.LBB231_170:                            ;   in Loop: Header=BB231_115 Depth=1
	s_or_b64 exec, exec, s[28:29]
.LBB231_171:                            ;   in Loop: Header=BB231_115 Depth=1
	s_or_b64 exec, exec, s[26:27]
.LBB231_172:                            ;   in Loop: Header=BB231_115 Depth=1
	s_or_b64 exec, exec, s[18:19]
	v_lshrrev_b16_e32 v1, 8, v7
	v_cmp_ne_u16_e64 s[4:5], 0, v1
	s_and_saveexec_b64 s[18:19], s[4:5]
	s_cbranch_execz .LBB231_178
; %bb.173:                              ;   in Loop: Header=BB231_115 Depth=1
	v_cmp_ne_u16_e64 s[4:5], s31, v1
	v_bfrev_b32_e32 v27, 1
	s_and_saveexec_b64 s[26:27], s[4:5]
	s_cbranch_execz .LBB231_177
; %bb.174:                              ;   in Loop: Header=BB231_115 Depth=1
	v_and_b32_e32 v29, 0x7f, v1
	v_cmp_ne_u32_e64 s[4:5], s35, v29
	v_mov_b32_e32 v27, 0x7c010000
	s_and_saveexec_b64 s[28:29], s[4:5]
	s_cbranch_execz .LBB231_176
; %bb.175:                              ;   in Loop: Header=BB231_115 Depth=1
	v_and_b32_e32 v27, 7, v1
	v_ffbh_u32_e32 v30, v27
	v_min_u32_e32 v33, 32, v30
	v_subrev_u32_e32 v30, 28, v33
	v_lshlrev_b64 v[30:31], v30, v[1:2]
	v_lshrrev_b32_e32 v32, 3, v29
	v_sub_u32_e32 v31, 29, v33
	v_cmp_gt_u32_e64 s[4:5], 8, v29
	v_cndmask_b32_e64 v29, v32, v31, s[4:5]
	v_lshlrev_b32_e32 v1, 8, v1
	v_lshl_add_u32 v29, v29, 10, v20
	v_and_b32_e32 v30, 7, v30
	v_and_or_b32 v1, v1, s36, v29
	v_cndmask_b32_e64 v27, v27, v30, s[4:5]
	v_lshlrev_b32_e32 v1, 16, v1
	v_lshl_or_b32 v27, v27, 23, v1
.LBB231_176:                            ;   in Loop: Header=BB231_115 Depth=1
	s_or_b64 exec, exec, s[28:29]
.LBB231_177:                            ;   in Loop: Header=BB231_115 Depth=1
	s_or_b64 exec, exec, s[26:27]
.LBB231_178:                            ;   in Loop: Header=BB231_115 Depth=1
	s_or_b64 exec, exec, s[18:19]
	v_lshrrev_b32_e32 v1, 16, v7
	v_cmp_ne_u16_sdwa s[4:5], v1, v2 src0_sel:BYTE_0 src1_sel:DWORD
	v_mov_b32_e32 v29, 0
	v_mov_b32_e32 v30, 0
	s_and_saveexec_b64 s[18:19], s[4:5]
	s_cbranch_execz .LBB231_184
; %bb.179:                              ;   in Loop: Header=BB231_115 Depth=1
	v_cmp_ne_u16_sdwa s[4:5], v1, s31 src0_sel:BYTE_0 src1_sel:DWORD
	v_mov_b32_e32 v30, 0x8000
	s_and_saveexec_b64 s[26:27], s[4:5]
	s_cbranch_execz .LBB231_183
; %bb.180:                              ;   in Loop: Header=BB231_115 Depth=1
	v_bfe_u32 v31, v7, 16, 7
	v_cmp_ne_u32_e64 s[4:5], s35, v31
	v_mov_b32_e32 v30, 0x7c01
	s_and_saveexec_b64 s[28:29], s[4:5]
	s_cbranch_execz .LBB231_182
; %bb.181:                              ;   in Loop: Header=BB231_115 Depth=1
	v_and_b32_e32 v30, 7, v1
	v_ffbh_u32_e32 v32, v30
	v_min_u32_e32 v35, 32, v32
	v_subrev_u32_e32 v32, 28, v35
	v_lshlrev_b64 v[32:33], v32, v[1:2]
	v_lshrrev_b32_e32 v34, 3, v31
	v_sub_u32_e32 v33, 29, v35
	v_cmp_gt_u32_e64 s[4:5], 8, v31
	v_cndmask_b32_e64 v31, v34, v33, s[4:5]
	v_lshl_add_u32 v31, v31, 10, v20
	v_lshlrev_b32_e32 v1, 8, v1
	v_and_b32_e32 v32, 7, v32
	v_and_b32_e32 v31, 0xfc00, v31
	v_cndmask_b32_e64 v30, v30, v32, s[4:5]
	v_and_or_b32 v1, v1, s36, v31
	v_lshl_or_b32 v30, v30, 7, v1
.LBB231_182:                            ;   in Loop: Header=BB231_115 Depth=1
	s_or_b64 exec, exec, s[28:29]
.LBB231_183:                            ;   in Loop: Header=BB231_115 Depth=1
	s_or_b64 exec, exec, s[26:27]
.LBB231_184:                            ;   in Loop: Header=BB231_115 Depth=1
	s_or_b64 exec, exec, s[18:19]
	v_cmp_lt_u32_e64 s[4:5], s11, v7
	s_and_saveexec_b64 s[18:19], s[4:5]
	s_cbranch_execz .LBB231_190
; %bb.185:                              ;   in Loop: Header=BB231_115 Depth=1
	v_lshrrev_b32_e32 v1, 24, v7
	v_cmp_ne_u32_e64 s[4:5], s31, v1
	v_bfrev_b32_e32 v29, 1
	s_and_saveexec_b64 s[26:27], s[4:5]
	s_cbranch_execz .LBB231_189
; %bb.186:                              ;   in Loop: Header=BB231_115 Depth=1
	v_and_b32_e32 v31, 0x7f, v1
	v_cmp_ne_u32_e64 s[4:5], s35, v31
	v_mov_b32_e32 v29, 0x7c010000
	s_and_saveexec_b64 s[28:29], s[4:5]
	s_cbranch_execz .LBB231_188
; %bb.187:                              ;   in Loop: Header=BB231_115 Depth=1
	v_and_b32_e32 v29, 7, v1
	v_ffbh_u32_e32 v32, v29
	v_min_u32_e32 v35, 32, v32
	v_subrev_u32_e32 v32, 28, v35
	v_lshlrev_b64 v[32:33], v32, v[1:2]
	v_lshrrev_b32_e32 v34, 3, v31
	v_sub_u32_e32 v33, 29, v35
	v_cmp_gt_u32_e64 s[4:5], 8, v31
	v_cndmask_b32_e64 v31, v34, v33, s[4:5]
	v_lshlrev_b32_e32 v1, 8, v1
	v_lshl_add_u32 v31, v31, 10, v20
	v_and_b32_e32 v32, 7, v32
	v_and_or_b32 v1, v1, s36, v31
	v_cndmask_b32_e64 v29, v29, v32, s[4:5]
	v_lshlrev_b32_e32 v1, 16, v1
	v_lshl_or_b32 v29, v29, 23, v1
.LBB231_188:                            ;   in Loop: Header=BB231_115 Depth=1
	s_or_b64 exec, exec, s[28:29]
.LBB231_189:                            ;   in Loop: Header=BB231_115 Depth=1
	s_or_b64 exec, exec, s[26:27]
.LBB231_190:                            ;   in Loop: Header=BB231_115 Depth=1
	s_or_b64 exec, exec, s[18:19]
	v_mov_b32_e32 v1, v8
	v_cmp_ne_u16_sdwa s[4:5], v8, v2 src0_sel:BYTE_0 src1_sel:DWORD
	v_mov_b32_e32 v31, 0
	v_mov_b32_e32 v32, 0
	s_and_saveexec_b64 s[18:19], s[4:5]
	s_cbranch_execz .LBB231_196
; %bb.191:                              ;   in Loop: Header=BB231_115 Depth=1
	v_cmp_ne_u16_sdwa s[4:5], v8, s31 src0_sel:BYTE_0 src1_sel:DWORD
	v_mov_b32_e32 v32, 0x8000
	s_and_saveexec_b64 s[26:27], s[4:5]
	s_cbranch_execz .LBB231_195
; %bb.192:                              ;   in Loop: Header=BB231_115 Depth=1
	v_and_b32_e32 v33, 0x7f, v8
	v_cmp_ne_u32_e64 s[4:5], s35, v33
	v_mov_b32_e32 v32, 0x7c01
	s_and_saveexec_b64 s[28:29], s[4:5]
	s_cbranch_execz .LBB231_194
; %bb.193:                              ;   in Loop: Header=BB231_115 Depth=1
	v_and_b32_e32 v32, 7, v8
	v_ffbh_u32_e32 v34, v32
	v_min_u32_e32 v37, 32, v34
	v_subrev_u32_e32 v34, 28, v37
	v_lshlrev_b64 v[34:35], v34, v[1:2]
	v_lshrrev_b32_e32 v36, 3, v33
	v_sub_u32_e32 v35, 29, v37
	v_cmp_gt_u32_e64 s[4:5], 8, v33
	v_cndmask_b32_e64 v33, v36, v35, s[4:5]
	v_lshl_add_u32 v33, v33, 10, v20
	v_lshlrev_b32_e32 v35, 8, v8
	v_and_b32_e32 v34, 7, v34
	v_and_b32_e32 v33, 0xfc00, v33
	v_cndmask_b32_e64 v32, v32, v34, s[4:5]
	v_and_or_b32 v33, v35, s36, v33
	v_lshl_or_b32 v32, v32, 7, v33
.LBB231_194:                            ;   in Loop: Header=BB231_115 Depth=1
	s_or_b64 exec, exec, s[28:29]
.LBB231_195:                            ;   in Loop: Header=BB231_115 Depth=1
	s_or_b64 exec, exec, s[26:27]
.LBB231_196:                            ;   in Loop: Header=BB231_115 Depth=1
	s_or_b64 exec, exec, s[18:19]
	v_lshrrev_b16_e32 v1, 8, v1
	v_cmp_ne_u16_e64 s[4:5], 0, v1
	v_mov_b32_e32 v33, 0
	s_and_saveexec_b64 s[18:19], s[4:5]
	s_cbranch_execz .LBB231_202
; %bb.197:                              ;   in Loop: Header=BB231_115 Depth=1
	v_cmp_ne_u16_e64 s[4:5], s31, v1
	v_bfrev_b32_e32 v33, 1
	s_and_saveexec_b64 s[26:27], s[4:5]
	s_cbranch_execz .LBB231_201
; %bb.198:                              ;   in Loop: Header=BB231_115 Depth=1
	v_and_b32_e32 v34, 0x7f, v1
	v_cmp_ne_u32_e64 s[4:5], s35, v34
	v_mov_b32_e32 v33, 0x7c010000
	s_and_saveexec_b64 s[28:29], s[4:5]
	s_cbranch_execz .LBB231_200
; %bb.199:                              ;   in Loop: Header=BB231_115 Depth=1
	v_and_b32_e32 v33, 7, v1
	v_ffbh_u32_e32 v35, v33
	v_min_u32_e32 v38, 32, v35
	v_subrev_u32_e32 v35, 28, v38
	v_lshlrev_b64 v[35:36], v35, v[1:2]
	v_lshrrev_b32_e32 v37, 3, v34
	v_sub_u32_e32 v36, 29, v38
	v_cmp_gt_u32_e64 s[4:5], 8, v34
	v_cndmask_b32_e64 v34, v37, v36, s[4:5]
	v_lshlrev_b32_e32 v1, 8, v1
	v_lshl_add_u32 v34, v34, 10, v20
	v_and_b32_e32 v35, 7, v35
	v_and_or_b32 v1, v1, s36, v34
	v_cndmask_b32_e64 v33, v33, v35, s[4:5]
	v_lshlrev_b32_e32 v1, 16, v1
	v_lshl_or_b32 v33, v33, 23, v1
.LBB231_200:                            ;   in Loop: Header=BB231_115 Depth=1
	s_or_b64 exec, exec, s[28:29]
.LBB231_201:                            ;   in Loop: Header=BB231_115 Depth=1
	s_or_b64 exec, exec, s[26:27]
.LBB231_202:                            ;   in Loop: Header=BB231_115 Depth=1
	s_or_b64 exec, exec, s[18:19]
	v_lshrrev_b32_e32 v1, 16, v8
	v_cmp_ne_u16_sdwa s[4:5], v1, v2 src0_sel:BYTE_0 src1_sel:DWORD
	s_and_saveexec_b64 s[18:19], s[4:5]
	s_cbranch_execz .LBB231_208
; %bb.203:                              ;   in Loop: Header=BB231_115 Depth=1
	v_cmp_ne_u16_sdwa s[4:5], v1, s31 src0_sel:BYTE_0 src1_sel:DWORD
	v_mov_b32_e32 v31, 0x8000
	s_and_saveexec_b64 s[26:27], s[4:5]
	s_cbranch_execz .LBB231_207
; %bb.204:                              ;   in Loop: Header=BB231_115 Depth=1
	v_bfe_u32 v34, v8, 16, 7
	v_cmp_ne_u32_e64 s[4:5], s35, v34
	v_mov_b32_e32 v31, 0x7c01
	s_and_saveexec_b64 s[28:29], s[4:5]
	s_cbranch_execz .LBB231_206
; %bb.205:                              ;   in Loop: Header=BB231_115 Depth=1
	v_and_b32_e32 v31, 7, v1
	v_ffbh_u32_e32 v35, v31
	v_min_u32_e32 v38, 32, v35
	v_subrev_u32_e32 v35, 28, v38
	v_lshlrev_b64 v[35:36], v35, v[1:2]
	v_lshrrev_b32_e32 v37, 3, v34
	v_sub_u32_e32 v36, 29, v38
	v_cmp_gt_u32_e64 s[4:5], 8, v34
	v_cndmask_b32_e64 v34, v37, v36, s[4:5]
	v_lshl_add_u32 v34, v34, 10, v20
	v_lshlrev_b32_e32 v1, 8, v1
	v_and_b32_e32 v35, 7, v35
	v_and_b32_e32 v34, 0xfc00, v34
	v_cndmask_b32_e64 v31, v31, v35, s[4:5]
	v_and_or_b32 v1, v1, s36, v34
	v_lshl_or_b32 v31, v31, 7, v1
.LBB231_206:                            ;   in Loop: Header=BB231_115 Depth=1
	s_or_b64 exec, exec, s[28:29]
.LBB231_207:                            ;   in Loop: Header=BB231_115 Depth=1
	s_or_b64 exec, exec, s[26:27]
.LBB231_208:                            ;   in Loop: Header=BB231_115 Depth=1
	s_or_b64 exec, exec, s[18:19]
	v_cmp_lt_u64_e64 s[4:5], s[10:11], v[7:8]
	v_mov_b32_e32 v34, 0
	s_and_saveexec_b64 s[18:19], s[4:5]
	s_cbranch_execz .LBB231_214
; %bb.209:                              ;   in Loop: Header=BB231_115 Depth=1
	v_lshrrev_b32_e32 v1, 24, v8
	v_cmp_ne_u32_e64 s[4:5], s31, v1
	v_bfrev_b32_e32 v34, 1
	s_and_saveexec_b64 s[26:27], s[4:5]
	s_cbranch_execz .LBB231_213
; %bb.210:                              ;   in Loop: Header=BB231_115 Depth=1
	v_and_b32_e32 v7, 0x7f, v1
	v_cmp_ne_u32_e64 s[4:5], s35, v7
	v_mov_b32_e32 v34, 0x7c010000
	s_and_saveexec_b64 s[28:29], s[4:5]
	s_cbranch_execz .LBB231_212
; %bb.211:                              ;   in Loop: Header=BB231_115 Depth=1
	v_and_b32_e32 v8, 7, v1
	v_ffbh_u32_e32 v34, v8
	v_min_u32_e32 v37, 32, v34
	v_subrev_u32_e32 v34, 28, v37
	v_lshlrev_b64 v[34:35], v34, v[1:2]
	v_lshrrev_b32_e32 v36, 3, v7
	v_sub_u32_e32 v35, 29, v37
	v_cmp_gt_u32_e64 s[4:5], 8, v7
	v_cndmask_b32_e64 v7, v36, v35, s[4:5]
	v_lshlrev_b32_e32 v1, 8, v1
	v_lshl_add_u32 v7, v7, 10, v20
	v_and_b32_e32 v34, 7, v34
	v_and_or_b32 v1, v1, s36, v7
	v_cndmask_b32_e64 v8, v8, v34, s[4:5]
	v_lshlrev_b32_e32 v1, 16, v1
	v_lshl_or_b32 v34, v8, 23, v1
.LBB231_212:                            ;   in Loop: Header=BB231_115 Depth=1
	s_or_b64 exec, exec, s[28:29]
.LBB231_213:                            ;   in Loop: Header=BB231_115 Depth=1
	s_or_b64 exec, exec, s[26:27]
.LBB231_214:                            ;   in Loop: Header=BB231_115 Depth=1
	s_or_b64 exec, exec, s[18:19]
	s_waitcnt vmcnt(0)
	v_fma_mixlo_f16 v7, v26, v29, 0 op_sel:[0,1,0] op_sel_hi:[0,1,0]
	v_lshlrev_b32_e32 v8, 16, v7
	v_or_b32_e32 v7, v27, v28
	v_fma_mixlo_f16 v27, v26, v27, 0 op_sel:[0,1,0] op_sel_hi:[0,1,0]
	v_or_b32_e32 v1, v29, v30
	v_lshlrev_b32_e32 v35, 16, v27
	v_or_b32_e32 v27, v33, v32
	v_or_b32_e32 v30, v34, v31
	v_fma_mixlo_f16 v1, v26, v1, 0 op_sel_hi:[0,1,0]
	v_fma_mixlo_f16 v7, v26, v7, 0 op_sel_hi:[0,1,0]
	v_fma_mixlo_f16 v28, v26, v33, 0 op_sel:[0,1,0] op_sel_hi:[0,1,0]
	v_fma_mixlo_f16 v27, v26, v27, 0 op_sel_hi:[0,1,0]
	v_fma_mixlo_f16 v30, v26, v30, 0 op_sel_hi:[0,1,0]
	v_fma_mixlo_f16 v26, v26, v34, 0 op_sel:[0,1,0] op_sel_hi:[0,1,0]
	v_and_b32_e32 v29, 0xffff, v1
	v_and_b32_e32 v36, 0xffff, v7
	v_lshlrev_b32_e32 v28, 16, v28
	v_and_b32_e32 v32, 0xffff, v27
	v_lshlrev_b32_e32 v26, 16, v26
	v_and_b32_e32 v30, 0xffff, v30
	v_or_b32_e32 v1, v8, v29
	v_or_b32_e32 v7, v35, v36
	;; [unrolled: 1-line block ×4, first 2 shown]
	s_and_saveexec_b64 s[4:5], s[2:3]
	s_cbranch_execz .LBB231_113
; %bb.215:                              ;   in Loop: Header=BB231_115 Depth=1
	v_cmp_gt_i32_e64 s[2:3], s21, v9
	v_add_u32_e32 v7, -6, v18
	v_cndmask_b32_e64 v1, 0, v36, s[2:3]
	v_cmp_gt_i32_e64 s[2:3], s21, v7
	v_cndmask_b32_e64 v7, 0, v35, s[2:3]
	v_or_b32_e32 v7, v7, v1
	v_add_u32_e32 v1, -5, v18
	v_cmp_gt_i32_e64 s[2:3], s21, v1
	v_add_u32_e32 v9, -4, v18
	v_cndmask_b32_e64 v1, 0, v29, s[2:3]
	v_cmp_gt_i32_e64 s[2:3], s21, v9
	v_cndmask_b32_e64 v8, 0, v8, s[2:3]
	v_or_b32_e32 v1, v8, v1
	v_add_u32_e32 v8, -3, v18
	;; [unrolled: 7-line block ×3, first 2 shown]
	v_cmp_gt_i32_e64 s[2:3], s21, v8
	v_cndmask_b32_e64 v8, 0, v30, s[2:3]
	v_cmp_gt_i32_e64 s[2:3], s21, v18
	v_cndmask_b32_e64 v9, 0, v26, s[2:3]
	v_or_b32_e32 v31, v9, v8
	s_branch .LBB231_113
.LBB231_216:
	s_or_b64 exec, exec, s[12:13]
.LBB231_217:
	s_or_b64 exec, exec, s[6:7]
	v_and_b32_e32 v1, 0x3c0, v0
	v_cmp_eq_u32_e32 vcc, 64, v1
	s_barrier
	s_and_saveexec_b64 s[2:3], vcc
	s_cbranch_execz .LBB231_220
; %bb.218:
	v_mov_b32_e32 v1, 0xf0
	v_lshl_add_u32 v2, v13, 2, v1
	ds_write_b32 v2, v15
	s_and_b64 exec, exec, s[0:1]
; %bb.219:
	v_lshl_add_u32 v1, v0, 2, v1
	ds_write_b32 v1, v14
.LBB231_220:
	s_or_b64 exec, exec, s[2:3]
	v_cmp_gt_u32_e32 vcc, 64, v0
	v_or_b32_e32 v1, 64, v0
	s_waitcnt lgkmcnt(0)
	s_barrier
	s_and_saveexec_b64 s[2:3], vcc
	s_cbranch_execz .LBB231_224
; %bb.221:
	v_mov_b32_e32 v2, 0xf0
	v_lshl_add_u32 v2, v0, 2, v2
	ds_read_b32 v0, v2
	s_movk_i32 s0, 0x70
	v_cmp_gt_u32_e64 s[0:1], s0, v1
	s_and_saveexec_b64 s[4:5], s[0:1]
	s_cbranch_execz .LBB231_223
; %bb.222:
	ds_read_b32 v2, v2 offset:256
	s_waitcnt lgkmcnt(0)
	v_add_f32_e32 v14, v14, v2
.LBB231_223:
	s_or_b64 exec, exec, s[4:5]
	s_waitcnt lgkmcnt(0)
	v_add_f32_e32 v15, v15, v0
.LBB231_224:
	s_or_b64 exec, exec, s[2:3]
	s_barrier
	s_and_saveexec_b64 s[0:1], vcc
	s_cbranch_execz .LBB231_227
; %bb.225:
	s_mul_i32 s0, s20, s23
	s_mul_i32 s0, s0, s9
	s_mulk_i32 s0, 0x70
	s_ashr_i32 s1, s0, 31
	s_lshl_b64 s[0:1], s[0:1], 1
	s_add_u32 s3, s24, s0
	s_mul_i32 s0, s23, s22
	s_addc_u32 s4, s25, s1
	s_ashr_i32 s1, s0, 31
	s_lshl_b64 s[0:1], s[0:1], 1
	s_add_u32 s3, s3, s0
	s_mul_i32 s0, s8, 0x70
	s_addc_u32 s4, s4, s1
	s_ashr_i32 s1, s0, 31
	s_lshl_b64 s[0:1], s[0:1], 1
	s_movk_i32 s2, 0x70
	s_add_u32 s0, s3, s0
	s_addc_u32 s1, s4, s1
	v_cmp_gt_u32_e32 vcc, s2, v1
	;;#ASMSTART
	v_cvt_f16_f32 v0, v15;

	;;#ASMEND
	global_store_short v11, v0, s[0:1]
	s_and_b64 exec, exec, vcc
	s_cbranch_execz .LBB231_227
; %bb.226:
	v_mov_b32_e32 v1, s1
	v_add_co_u32_e32 v0, vcc, s0, v11
	v_addc_co_u32_e32 v1, vcc, 0, v1, vcc
	;;#ASMSTART
	v_cvt_f16_f32 v2, v14;

	;;#ASMEND
	global_store_short v[0:1], v2, off offset:128
.LBB231_227:
	s_endpgm
	.section	.rodata,"a",@progbits
	.p2align	6, 0x0
	.amdhsa_kernel _ZN4vllm25paged_attention_v1_kernelIthLi112ELi8ELi128ELNS_18Fp8KVCacheDataTypeE1ELb0EEEvPT_PKS2_PKT0_S8_ifPKiSA_iPKfiiiSC_SC_iiiii
		.amdhsa_group_segment_fixed_size 240
		.amdhsa_private_segment_fixed_size 0
		.amdhsa_kernarg_size 384
		.amdhsa_user_sgpr_count 6
		.amdhsa_user_sgpr_private_segment_buffer 1
		.amdhsa_user_sgpr_dispatch_ptr 0
		.amdhsa_user_sgpr_queue_ptr 0
		.amdhsa_user_sgpr_kernarg_segment_ptr 1
		.amdhsa_user_sgpr_dispatch_id 0
		.amdhsa_user_sgpr_flat_scratch_init 0
		.amdhsa_user_sgpr_private_segment_size 0
		.amdhsa_uses_dynamic_stack 0
		.amdhsa_system_sgpr_private_segment_wavefront_offset 0
		.amdhsa_system_sgpr_workgroup_id_x 1
		.amdhsa_system_sgpr_workgroup_id_y 1
		.amdhsa_system_sgpr_workgroup_id_z 1
		.amdhsa_system_sgpr_workgroup_info 0
		.amdhsa_system_vgpr_workitem_id 0
		.amdhsa_next_free_vgpr 42
		.amdhsa_next_free_sgpr 46
		.amdhsa_reserve_vcc 1
		.amdhsa_reserve_flat_scratch 0
		.amdhsa_float_round_mode_32 0
		.amdhsa_float_round_mode_16_64 0
		.amdhsa_float_denorm_mode_32 3
		.amdhsa_float_denorm_mode_16_64 3
		.amdhsa_dx10_clamp 1
		.amdhsa_ieee_mode 1
		.amdhsa_fp16_overflow 0
		.amdhsa_exception_fp_ieee_invalid_op 0
		.amdhsa_exception_fp_denorm_src 0
		.amdhsa_exception_fp_ieee_div_zero 0
		.amdhsa_exception_fp_ieee_overflow 0
		.amdhsa_exception_fp_ieee_underflow 0
		.amdhsa_exception_fp_ieee_inexact 0
		.amdhsa_exception_int_div_zero 0
	.end_amdhsa_kernel
	.section	.text._ZN4vllm25paged_attention_v1_kernelIthLi112ELi8ELi128ELNS_18Fp8KVCacheDataTypeE1ELb0EEEvPT_PKS2_PKT0_S8_ifPKiSA_iPKfiiiSC_SC_iiiii,"axG",@progbits,_ZN4vllm25paged_attention_v1_kernelIthLi112ELi8ELi128ELNS_18Fp8KVCacheDataTypeE1ELb0EEEvPT_PKS2_PKT0_S8_ifPKiSA_iPKfiiiSC_SC_iiiii,comdat
.Lfunc_end231:
	.size	_ZN4vllm25paged_attention_v1_kernelIthLi112ELi8ELi128ELNS_18Fp8KVCacheDataTypeE1ELb0EEEvPT_PKS2_PKT0_S8_ifPKiSA_iPKfiiiSC_SC_iiiii, .Lfunc_end231-_ZN4vllm25paged_attention_v1_kernelIthLi112ELi8ELi128ELNS_18Fp8KVCacheDataTypeE1ELb0EEEvPT_PKS2_PKT0_S8_ifPKiSA_iPKfiiiSC_SC_iiiii
                                        ; -- End function
	.set _ZN4vllm25paged_attention_v1_kernelIthLi112ELi8ELi128ELNS_18Fp8KVCacheDataTypeE1ELb0EEEvPT_PKS2_PKT0_S8_ifPKiSA_iPKfiiiSC_SC_iiiii.num_vgpr, 42
	.set _ZN4vllm25paged_attention_v1_kernelIthLi112ELi8ELi128ELNS_18Fp8KVCacheDataTypeE1ELb0EEEvPT_PKS2_PKT0_S8_ifPKiSA_iPKfiiiSC_SC_iiiii.num_agpr, 0
	.set _ZN4vllm25paged_attention_v1_kernelIthLi112ELi8ELi128ELNS_18Fp8KVCacheDataTypeE1ELb0EEEvPT_PKS2_PKT0_S8_ifPKiSA_iPKfiiiSC_SC_iiiii.numbered_sgpr, 46
	.set _ZN4vllm25paged_attention_v1_kernelIthLi112ELi8ELi128ELNS_18Fp8KVCacheDataTypeE1ELb0EEEvPT_PKS2_PKT0_S8_ifPKiSA_iPKfiiiSC_SC_iiiii.num_named_barrier, 0
	.set _ZN4vllm25paged_attention_v1_kernelIthLi112ELi8ELi128ELNS_18Fp8KVCacheDataTypeE1ELb0EEEvPT_PKS2_PKT0_S8_ifPKiSA_iPKfiiiSC_SC_iiiii.private_seg_size, 0
	.set _ZN4vllm25paged_attention_v1_kernelIthLi112ELi8ELi128ELNS_18Fp8KVCacheDataTypeE1ELb0EEEvPT_PKS2_PKT0_S8_ifPKiSA_iPKfiiiSC_SC_iiiii.uses_vcc, 1
	.set _ZN4vllm25paged_attention_v1_kernelIthLi112ELi8ELi128ELNS_18Fp8KVCacheDataTypeE1ELb0EEEvPT_PKS2_PKT0_S8_ifPKiSA_iPKfiiiSC_SC_iiiii.uses_flat_scratch, 0
	.set _ZN4vllm25paged_attention_v1_kernelIthLi112ELi8ELi128ELNS_18Fp8KVCacheDataTypeE1ELb0EEEvPT_PKS2_PKT0_S8_ifPKiSA_iPKfiiiSC_SC_iiiii.has_dyn_sized_stack, 0
	.set _ZN4vllm25paged_attention_v1_kernelIthLi112ELi8ELi128ELNS_18Fp8KVCacheDataTypeE1ELb0EEEvPT_PKS2_PKT0_S8_ifPKiSA_iPKfiiiSC_SC_iiiii.has_recursion, 0
	.set _ZN4vllm25paged_attention_v1_kernelIthLi112ELi8ELi128ELNS_18Fp8KVCacheDataTypeE1ELb0EEEvPT_PKS2_PKT0_S8_ifPKiSA_iPKfiiiSC_SC_iiiii.has_indirect_call, 0
	.section	.AMDGPU.csdata,"",@progbits
; Kernel info:
; codeLenInByte = 9940
; TotalNumSgprs: 50
; NumVgprs: 42
; ScratchSize: 0
; MemoryBound: 0
; FloatMode: 240
; IeeeMode: 1
; LDSByteSize: 240 bytes/workgroup (compile time only)
; SGPRBlocks: 6
; VGPRBlocks: 10
; NumSGPRsForWavesPerEU: 50
; NumVGPRsForWavesPerEU: 42
; Occupancy: 5
; WaveLimiterHint : 1
; COMPUTE_PGM_RSRC2:SCRATCH_EN: 0
; COMPUTE_PGM_RSRC2:USER_SGPR: 6
; COMPUTE_PGM_RSRC2:TRAP_HANDLER: 0
; COMPUTE_PGM_RSRC2:TGID_X_EN: 1
; COMPUTE_PGM_RSRC2:TGID_Y_EN: 1
; COMPUTE_PGM_RSRC2:TGID_Z_EN: 1
; COMPUTE_PGM_RSRC2:TIDIG_COMP_CNT: 0
	.section	.text._ZN4vllm25paged_attention_v1_kernelIthLi120ELi8ELi128ELNS_18Fp8KVCacheDataTypeE1ELb0EEEvPT_PKS2_PKT0_S8_ifPKiSA_iPKfiiiSC_SC_iiiii,"axG",@progbits,_ZN4vllm25paged_attention_v1_kernelIthLi120ELi8ELi128ELNS_18Fp8KVCacheDataTypeE1ELb0EEEvPT_PKS2_PKT0_S8_ifPKiSA_iPKfiiiSC_SC_iiiii,comdat
	.protected	_ZN4vllm25paged_attention_v1_kernelIthLi120ELi8ELi128ELNS_18Fp8KVCacheDataTypeE1ELb0EEEvPT_PKS2_PKT0_S8_ifPKiSA_iPKfiiiSC_SC_iiiii ; -- Begin function _ZN4vllm25paged_attention_v1_kernelIthLi120ELi8ELi128ELNS_18Fp8KVCacheDataTypeE1ELb0EEEvPT_PKS2_PKT0_S8_ifPKiSA_iPKfiiiSC_SC_iiiii
	.globl	_ZN4vllm25paged_attention_v1_kernelIthLi120ELi8ELi128ELNS_18Fp8KVCacheDataTypeE1ELb0EEEvPT_PKS2_PKT0_S8_ifPKiSA_iPKfiiiSC_SC_iiiii
	.p2align	8
	.type	_ZN4vllm25paged_attention_v1_kernelIthLi120ELi8ELi128ELNS_18Fp8KVCacheDataTypeE1ELb0EEEvPT_PKS2_PKT0_S8_ifPKiSA_iPKfiiiSC_SC_iiiii,@function
_ZN4vllm25paged_attention_v1_kernelIthLi120ELi8ELi128ELNS_18Fp8KVCacheDataTypeE1ELb0EEEvPT_PKS2_PKT0_S8_ifPKiSA_iPKfiiiSC_SC_iiiii: ; @_ZN4vllm25paged_attention_v1_kernelIthLi120ELi8ELi128ELNS_18Fp8KVCacheDataTypeE1ELb0EEEvPT_PKS2_PKT0_S8_ifPKiSA_iPKfiiiSC_SC_iiiii
; %bb.0:
	s_load_dword s9, s[4:5], 0x80
	s_load_dwordx2 s[0:1], s[4:5], 0x30
	s_load_dwordx2 s[10:11], s[4:5], 0x20
	s_mov_b32 s20, s7
	s_ashr_i32 s21, s7, 31
	s_lshl_b64 s[2:3], s[20:21], 2
	s_waitcnt lgkmcnt(0)
	s_add_u32 s0, s0, s2
	s_addc_u32 s1, s1, s3
	s_abs_i32 s2, s10
	v_cvt_f32_u32_e32 v1, s2
	s_xor_b32 s3, s9, s10
	s_sub_i32 s10, 0, s2
	s_abs_i32 s7, s9
	v_rcp_iflag_f32_e32 v1, v1
	s_ashr_i32 s3, s3, 31
	v_mul_f32_e32 v1, 0x4f7ffffe, v1
	v_cvt_u32_f32_e32 v1, v1
	v_readfirstlane_b32 s12, v1
	s_mul_i32 s10, s10, s12
	s_mul_hi_u32 s10, s12, s10
	s_add_i32 s12, s12, s10
	s_mul_hi_u32 s10, s7, s12
	s_mul_i32 s12, s10, s2
	s_sub_i32 s7, s7, s12
	s_add_i32 s12, s10, 1
	s_sub_i32 s13, s7, s2
	s_cmp_ge_u32 s7, s2
	s_cselect_b32 s10, s12, s10
	s_cselect_b32 s7, s13, s7
	s_add_i32 s12, s10, 1
	s_cmp_ge_u32 s7, s2
	s_cselect_b32 s2, s12, s10
	s_xor_b32 s2, s2, s3
	s_sub_i32 s15, s2, s3
	s_abs_i32 s12, s15
	v_cvt_f32_u32_e32 v1, s12
	s_load_dwordx2 s[2:3], s[4:5], 0x40
	s_sub_i32 s7, 0, s12
	s_abs_i32 s13, s6
	v_rcp_iflag_f32_e32 v1, v1
	s_mov_b32 s10, 0
	v_mul_f32_e32 v1, 0x4f7ffffe, v1
	v_cvt_u32_f32_e32 v1, v1
	v_readfirstlane_b32 s14, v1
	s_mul_i32 s7, s7, s14
	s_mul_hi_u32 s7, s14, s7
	s_add_i32 s14, s14, s7
	s_waitcnt lgkmcnt(0)
	s_cmp_eq_u64 s[2:3], 0
	s_mul_hi_u32 s14, s13, s14
	s_cbranch_scc1 .LBB232_2
; %bb.1:
	s_ashr_i32 s7, s6, 31
	s_lshl_b64 s[16:17], s[6:7], 2
	s_add_u32 s2, s2, s16
	s_addc_u32 s3, s3, s17
	s_load_dword s10, s[2:3], 0x0
.LBB232_2:
	s_load_dword s21, s[0:1], 0x0
	s_load_dwordx4 s[16:19], s[4:5], 0x48
	s_movk_i32 s0, 0x78
	s_ashr_i32 s7, s6, 31
	s_ashr_i32 s15, s15, 31
	v_and_b32_e32 v1, 7, v0
	s_mul_i32 s22, s6, 0x78
	v_cmp_gt_u32_e64 s[0:1], s0, v0
	v_lshlrev_b32_e32 v11, 1, v0
	s_and_saveexec_b64 s[2:3], s[0:1]
	s_cbranch_execz .LBB232_4
; %bb.3:
	s_load_dwordx2 s[24:25], s[4:5], 0x8
	s_waitcnt lgkmcnt(0)
	s_mul_i32 s26, s16, s20
	s_ashr_i32 s27, s26, 31
	s_lshl_b64 s[26:27], s[26:27], 1
	v_lshrrev_b32_e32 v3, 2, v0
	s_add_u32 s6, s24, s26
	s_addc_u32 s16, s25, s27
	s_ashr_i32 s23, s22, 31
	s_lshl_b64 s[24:25], s[22:23], 1
	s_add_u32 s24, s6, s24
	s_addc_u32 s25, s16, s25
	global_load_ushort v2, v11, s[24:25]
	v_and_b32_e32 v3, 0xfe, v3
	v_mad_u32_u24 v3, v1, 30, v3
	s_waitcnt vmcnt(0)
	ds_write_b16 v3, v2
.LBB232_4:
	s_or_b64 exec, exec, s[2:3]
	s_waitcnt lgkmcnt(0)
	s_add_i32 s3, s21, 7
	s_ashr_i32 s6, s3, 31
	s_lshr_b32 s6, s6, 29
	s_add_i32 s3, s3, s6
	s_mul_i32 s6, s14, s12
	s_sub_i32 s6, s13, s6
	s_ashr_i32 s33, s3, 3
	s_xor_b32 s3, s7, s15
	s_add_i32 s7, s14, 1
	s_sub_i32 s13, s6, s12
	s_load_dwordx2 s[26:27], s[4:5], 0x28
	s_load_dword s2, s[4:5], 0x38
	s_cmp_ge_u32 s6, s12
	s_cselect_b32 s7, s7, s14
	s_cselect_b32 s6, s13, s6
	s_add_i32 s13, s7, 1
	s_cmp_ge_u32 s6, s12
	s_cselect_b32 s6, s13, s7
	v_lshrrev_b32_e32 v12, 6, v0
	s_xor_b32 s6, s6, s3
	s_waitcnt lgkmcnt(0)
	s_mul_i32 s28, s2, s20
	s_sub_i32 s16, s6, s3
	s_ashr_i32 s29, s28, 31
	v_cmp_gt_i32_e64 s[2:3], s33, v12
	v_cmp_le_i32_e32 vcc, s33, v12
	v_mbcnt_lo_u32_b32 v7, -1, 0
	s_barrier
                                        ; implicit-def: $vgpr9
                                        ; implicit-def: $vgpr6
                                        ; implicit-def: $vgpr5
	s_and_saveexec_b64 s[6:7], vcc
	s_xor_b64 s[6:7], exec, s[6:7]
; %bb.5:
	v_mbcnt_hi_u32_b32 v9, -1, v7
	v_and_b32_e32 v6, 64, v9
	v_add_u32_e32 v5, 64, v6
                                        ; implicit-def: $vgpr1
                                        ; implicit-def: $vgpr7
; %bb.6:
	s_or_saveexec_b64 s[34:35], s[6:7]
	s_load_dwordx2 s[24:25], s[4:5], 0x0
	s_load_dwordx2 s[30:31], s[4:5], 0x18
	s_load_dword s23, s[4:5], 0x88
	s_load_dwordx4 s[12:15], s[4:5], 0x58
	v_mov_b32_e32 v10, 0xff7fffff
	s_mul_i32 s16, s16, s18
	v_lshrrev_b32_e32 v8, 4, v0
	s_xor_b64 exec, exec, s[34:35]
	s_cbranch_execz .LBB232_102
; %bb.7:
	s_load_dwordx2 s[4:5], s[4:5], 0x10
	s_ashr_i32 s6, s16, 31
	v_bfe_u32 v3, v0, 3, 3
	v_lshlrev_b32_e32 v2, 4, v3
	v_mul_u32_u24_e32 v14, 30, v1
	s_waitcnt lgkmcnt(0)
	s_add_u32 s4, s4, s16
	s_addc_u32 s5, s5, s6
	v_mov_b32_e32 v4, s5
	v_add_co_u32_e32 v2, vcc, s4, v2
	v_addc_co_u32_e32 v4, vcc, 0, v4, vcc
	v_cmp_eq_u32_e32 vcc, 0, v1
	v_add_co_u32_e64 v1, s[6:7], v2, v1
	v_addc_co_u32_e64 v2, s[6:7], 0, v4, s[6:7]
	s_sub_i32 s43, 1, s21
	v_lshl_or_b32 v15, v12, 3, v3
	v_lshlrev_b32_e32 v3, 2, v3
	s_lshl_b64 s[6:7], s[28:29], 2
	v_lshl_or_b32 v3, v12, 5, v3
	s_add_u32 s6, s26, s6
	v_add_u32_e32 v16, 0x100, v3
	v_and_b32_e32 v3, 60, v8
	s_addc_u32 s7, s27, s7
	v_mov_b32_e32 v4, s7
	v_add_co_u32_e64 v3, s[6:7], s6, v3
	s_mov_b32 s42, s17
	v_mov_b32_e32 v13, 0
	v_cmp_neq_f32_e64 s[4:5], s10, 0
	v_addc_co_u32_e64 v4, s[6:7], 0, v4, s[6:7]
	v_mov_b32_e32 v10, 0xff7fffff
	s_mov_b64 s[18:19], 0
	s_movk_i32 s44, 0x80
	s_movk_i32 s45, 0x7f
	v_mbcnt_hi_u32_b32 v9, -1, v7
	v_bfrev_b32_e32 v17, 60
	v_mov_b32_e32 v18, v12
	s_branch .LBB232_9
.LBB232_8:                              ;   in Loop: Header=BB232_9 Depth=1
	s_or_b64 exec, exec, s[36:37]
	v_add_u32_e32 v18, 2, v18
	v_cmp_le_i32_e64 s[6:7], s33, v18
	s_or_b64 s[18:19], s[6:7], s[18:19]
	v_add_co_u32_e64 v3, s[6:7], 8, v3
	v_add_u32_e32 v15, 16, v15
	v_add_u32_e32 v16, 64, v16
	v_addc_co_u32_e64 v4, s[6:7], 0, v4, s[6:7]
	s_andn2_b64 exec, exec, s[18:19]
	s_cbranch_execz .LBB232_101
.LBB232_9:                              ; =>This Inner Loop Header: Depth=1
	global_load_dword v5, v[3:4], off
	v_mov_b32_e32 v20, 0
	s_waitcnt vmcnt(0)
	v_mad_i64_i32 v[5:6], s[6:7], v5, s42, v[1:2]
	global_load_ubyte v21, v[5:6], off
	s_waitcnt lgkmcnt(0)
	global_load_dword v19, v13, s[12:13]
	s_waitcnt vmcnt(1)
	v_cmp_ne_u16_e64 s[6:7], 0, v21
	s_and_saveexec_b64 s[36:37], s[6:7]
	s_cbranch_execz .LBB232_15
; %bb.10:                               ;   in Loop: Header=BB232_9 Depth=1
	v_cmp_ne_u16_e64 s[6:7], s44, v21
	v_bfrev_b32_e32 v20, 1
	s_and_saveexec_b64 s[38:39], s[6:7]
	s_cbranch_execz .LBB232_14
; %bb.11:                               ;   in Loop: Header=BB232_9 Depth=1
	v_and_b32_e32 v7, 0xffff, v21
	v_and_b32_e32 v22, 0x7f, v7
	v_cmp_ne_u32_e64 s[6:7], s45, v22
	v_mov_b32_e32 v20, 0x7f800001
	s_and_saveexec_b64 s[40:41], s[6:7]
	s_cbranch_execz .LBB232_13
; %bb.12:                               ;   in Loop: Header=BB232_9 Depth=1
	v_and_b32_e32 v20, 7, v7
	v_ffbh_u32_e32 v23, v20
	v_min_u32_e32 v26, 32, v23
	v_subrev_u32_e32 v23, 28, v26
	v_lshlrev_b64 v[23:24], v23, v[7:8]
	v_lshrrev_b32_e32 v25, 3, v22
	v_sub_u32_e32 v7, 29, v26
	v_and_b32_e32 v23, 7, v23
	v_cmp_gt_u32_e64 s[6:7], 8, v22
	v_cndmask_b32_e64 v7, v25, v7, s[6:7]
	v_cndmask_b32_e64 v20, v20, v23, s[6:7]
	v_lshlrev_b32_e32 v21, 24, v21
	v_lshlrev_b32_e32 v20, 20, v20
	v_and_b32_e32 v21, 0x80000000, v21
	v_lshl_add_u32 v7, v7, 23, v17
	v_or3_b32 v20, v21, v7, v20
.LBB232_13:                             ;   in Loop: Header=BB232_9 Depth=1
	s_or_b64 exec, exec, s[40:41]
.LBB232_14:                             ;   in Loop: Header=BB232_9 Depth=1
	s_or_b64 exec, exec, s[38:39]
.LBB232_15:                             ;   in Loop: Header=BB232_9 Depth=1
	s_or_b64 exec, exec, s[36:37]
	global_load_ubyte v23, v[5:6], off offset:8
	v_mov_b32_e32 v21, 0
	v_mov_b32_e32 v22, 0
	s_waitcnt vmcnt(0)
	v_cmp_ne_u16_e64 s[6:7], 0, v23
	s_and_saveexec_b64 s[36:37], s[6:7]
	s_cbranch_execz .LBB232_21
; %bb.16:                               ;   in Loop: Header=BB232_9 Depth=1
	v_cmp_ne_u16_e64 s[6:7], s44, v23
	v_bfrev_b32_e32 v22, 1
	s_and_saveexec_b64 s[38:39], s[6:7]
	s_cbranch_execz .LBB232_20
; %bb.17:                               ;   in Loop: Header=BB232_9 Depth=1
	v_and_b32_e32 v7, 0xffff, v23
	v_and_b32_e32 v24, 0x7f, v7
	v_cmp_ne_u32_e64 s[6:7], s45, v24
	v_mov_b32_e32 v22, 0x7f800001
	s_and_saveexec_b64 s[40:41], s[6:7]
	s_cbranch_execz .LBB232_19
; %bb.18:                               ;   in Loop: Header=BB232_9 Depth=1
	v_and_b32_e32 v22, 7, v7
	v_ffbh_u32_e32 v25, v22
	v_min_u32_e32 v28, 32, v25
	v_subrev_u32_e32 v25, 28, v28
	v_lshlrev_b64 v[25:26], v25, v[7:8]
	v_lshrrev_b32_e32 v27, 3, v24
	v_sub_u32_e32 v7, 29, v28
	v_and_b32_e32 v25, 7, v25
	v_cmp_gt_u32_e64 s[6:7], 8, v24
	v_cndmask_b32_e64 v7, v27, v7, s[6:7]
	v_cndmask_b32_e64 v22, v22, v25, s[6:7]
	v_lshlrev_b32_e32 v23, 24, v23
	v_lshlrev_b32_e32 v22, 20, v22
	v_and_b32_e32 v23, 0x80000000, v23
	v_lshl_add_u32 v7, v7, 23, v17
	v_or3_b32 v22, v23, v7, v22
.LBB232_19:                             ;   in Loop: Header=BB232_9 Depth=1
	s_or_b64 exec, exec, s[40:41]
.LBB232_20:                             ;   in Loop: Header=BB232_9 Depth=1
	s_or_b64 exec, exec, s[38:39]
.LBB232_21:                             ;   in Loop: Header=BB232_9 Depth=1
	s_or_b64 exec, exec, s[36:37]
	global_load_ubyte v23, v[5:6], off offset:128
	s_waitcnt vmcnt(0)
	v_cmp_ne_u16_e64 s[6:7], 0, v23
	s_and_saveexec_b64 s[36:37], s[6:7]
	s_cbranch_execz .LBB232_27
; %bb.22:                               ;   in Loop: Header=BB232_9 Depth=1
	v_cmp_ne_u16_e64 s[6:7], s44, v23
	v_bfrev_b32_e32 v21, 1
	s_and_saveexec_b64 s[38:39], s[6:7]
	s_cbranch_execz .LBB232_26
; %bb.23:                               ;   in Loop: Header=BB232_9 Depth=1
	v_and_b32_e32 v7, 0xffff, v23
	v_and_b32_e32 v24, 0x7f, v7
	v_cmp_ne_u32_e64 s[6:7], s45, v24
	v_mov_b32_e32 v21, 0x7f800001
	s_and_saveexec_b64 s[40:41], s[6:7]
	s_cbranch_execz .LBB232_25
; %bb.24:                               ;   in Loop: Header=BB232_9 Depth=1
	v_and_b32_e32 v21, 7, v7
	v_ffbh_u32_e32 v25, v21
	v_min_u32_e32 v28, 32, v25
	v_subrev_u32_e32 v25, 28, v28
	v_lshlrev_b64 v[25:26], v25, v[7:8]
	v_lshrrev_b32_e32 v27, 3, v24
	v_sub_u32_e32 v7, 29, v28
	v_and_b32_e32 v25, 7, v25
	v_cmp_gt_u32_e64 s[6:7], 8, v24
	v_cndmask_b32_e64 v7, v27, v7, s[6:7]
	v_cndmask_b32_e64 v21, v21, v25, s[6:7]
	v_lshlrev_b32_e32 v23, 24, v23
	v_lshlrev_b32_e32 v21, 20, v21
	v_and_b32_e32 v23, 0x80000000, v23
	v_lshl_add_u32 v7, v7, 23, v17
	v_or3_b32 v21, v23, v7, v21
.LBB232_25:                             ;   in Loop: Header=BB232_9 Depth=1
	s_or_b64 exec, exec, s[40:41]
.LBB232_26:                             ;   in Loop: Header=BB232_9 Depth=1
	s_or_b64 exec, exec, s[38:39]
.LBB232_27:                             ;   in Loop: Header=BB232_9 Depth=1
	s_or_b64 exec, exec, s[36:37]
	global_load_ubyte v25, v[5:6], off offset:136
	v_mov_b32_e32 v23, 0
	v_mov_b32_e32 v24, 0
	s_waitcnt vmcnt(0)
	v_cmp_ne_u16_e64 s[6:7], 0, v25
	s_and_saveexec_b64 s[36:37], s[6:7]
	s_cbranch_execz .LBB232_33
; %bb.28:                               ;   in Loop: Header=BB232_9 Depth=1
	v_cmp_ne_u16_e64 s[6:7], s44, v25
	v_bfrev_b32_e32 v24, 1
	s_and_saveexec_b64 s[38:39], s[6:7]
	s_cbranch_execz .LBB232_32
; %bb.29:                               ;   in Loop: Header=BB232_9 Depth=1
	v_and_b32_e32 v7, 0xffff, v25
	v_and_b32_e32 v26, 0x7f, v7
	v_cmp_ne_u32_e64 s[6:7], s45, v26
	v_mov_b32_e32 v24, 0x7f800001
	s_and_saveexec_b64 s[40:41], s[6:7]
	s_cbranch_execz .LBB232_31
; %bb.30:                               ;   in Loop: Header=BB232_9 Depth=1
	v_and_b32_e32 v24, 7, v7
	v_ffbh_u32_e32 v27, v24
	v_min_u32_e32 v30, 32, v27
	v_subrev_u32_e32 v27, 28, v30
	v_lshlrev_b64 v[27:28], v27, v[7:8]
	v_lshrrev_b32_e32 v29, 3, v26
	v_sub_u32_e32 v7, 29, v30
	v_and_b32_e32 v27, 7, v27
	v_cmp_gt_u32_e64 s[6:7], 8, v26
	v_cndmask_b32_e64 v7, v29, v7, s[6:7]
	v_cndmask_b32_e64 v24, v24, v27, s[6:7]
	v_lshlrev_b32_e32 v25, 24, v25
	v_lshlrev_b32_e32 v24, 20, v24
	v_and_b32_e32 v25, 0x80000000, v25
	v_lshl_add_u32 v7, v7, 23, v17
	v_or3_b32 v24, v25, v7, v24
.LBB232_31:                             ;   in Loop: Header=BB232_9 Depth=1
	s_or_b64 exec, exec, s[40:41]
.LBB232_32:                             ;   in Loop: Header=BB232_9 Depth=1
	s_or_b64 exec, exec, s[38:39]
.LBB232_33:                             ;   in Loop: Header=BB232_9 Depth=1
	s_or_b64 exec, exec, s[36:37]
	global_load_ubyte v25, v[5:6], off offset:256
	s_waitcnt vmcnt(0)
	v_cmp_ne_u16_e64 s[6:7], 0, v25
	s_and_saveexec_b64 s[36:37], s[6:7]
	s_cbranch_execz .LBB232_39
; %bb.34:                               ;   in Loop: Header=BB232_9 Depth=1
	v_cmp_ne_u16_e64 s[6:7], s44, v25
	v_bfrev_b32_e32 v23, 1
	s_and_saveexec_b64 s[38:39], s[6:7]
	s_cbranch_execz .LBB232_38
; %bb.35:                               ;   in Loop: Header=BB232_9 Depth=1
	v_and_b32_e32 v7, 0xffff, v25
	v_and_b32_e32 v26, 0x7f, v7
	v_cmp_ne_u32_e64 s[6:7], s45, v26
	v_mov_b32_e32 v23, 0x7f800001
	s_and_saveexec_b64 s[40:41], s[6:7]
	s_cbranch_execz .LBB232_37
; %bb.36:                               ;   in Loop: Header=BB232_9 Depth=1
	v_and_b32_e32 v23, 7, v7
	v_ffbh_u32_e32 v27, v23
	v_min_u32_e32 v30, 32, v27
	v_subrev_u32_e32 v27, 28, v30
	v_lshlrev_b64 v[27:28], v27, v[7:8]
	v_lshrrev_b32_e32 v29, 3, v26
	v_sub_u32_e32 v7, 29, v30
	v_and_b32_e32 v27, 7, v27
	v_cmp_gt_u32_e64 s[6:7], 8, v26
	v_cndmask_b32_e64 v7, v29, v7, s[6:7]
	v_cndmask_b32_e64 v23, v23, v27, s[6:7]
	v_lshlrev_b32_e32 v25, 24, v25
	v_lshlrev_b32_e32 v23, 20, v23
	v_and_b32_e32 v25, 0x80000000, v25
	v_lshl_add_u32 v7, v7, 23, v17
	v_or3_b32 v23, v25, v7, v23
.LBB232_37:                             ;   in Loop: Header=BB232_9 Depth=1
	s_or_b64 exec, exec, s[40:41]
.LBB232_38:                             ;   in Loop: Header=BB232_9 Depth=1
	s_or_b64 exec, exec, s[38:39]
.LBB232_39:                             ;   in Loop: Header=BB232_9 Depth=1
	s_or_b64 exec, exec, s[36:37]
	global_load_ubyte v27, v[5:6], off offset:264
	v_mov_b32_e32 v25, 0
	v_mov_b32_e32 v26, 0
	s_waitcnt vmcnt(0)
	v_cmp_ne_u16_e64 s[6:7], 0, v27
	s_and_saveexec_b64 s[36:37], s[6:7]
	s_cbranch_execz .LBB232_45
; %bb.40:                               ;   in Loop: Header=BB232_9 Depth=1
	v_cmp_ne_u16_e64 s[6:7], s44, v27
	v_bfrev_b32_e32 v26, 1
	s_and_saveexec_b64 s[38:39], s[6:7]
	s_cbranch_execz .LBB232_44
; %bb.41:                               ;   in Loop: Header=BB232_9 Depth=1
	v_and_b32_e32 v7, 0xffff, v27
	v_and_b32_e32 v28, 0x7f, v7
	v_cmp_ne_u32_e64 s[6:7], s45, v28
	v_mov_b32_e32 v26, 0x7f800001
	s_and_saveexec_b64 s[40:41], s[6:7]
	s_cbranch_execz .LBB232_43
; %bb.42:                               ;   in Loop: Header=BB232_9 Depth=1
	v_and_b32_e32 v26, 7, v7
	v_ffbh_u32_e32 v29, v26
	v_min_u32_e32 v32, 32, v29
	v_subrev_u32_e32 v29, 28, v32
	v_lshlrev_b64 v[29:30], v29, v[7:8]
	v_lshrrev_b32_e32 v31, 3, v28
	v_sub_u32_e32 v7, 29, v32
	v_and_b32_e32 v29, 7, v29
	v_cmp_gt_u32_e64 s[6:7], 8, v28
	v_cndmask_b32_e64 v7, v31, v7, s[6:7]
	v_cndmask_b32_e64 v26, v26, v29, s[6:7]
	v_lshlrev_b32_e32 v27, 24, v27
	v_lshlrev_b32_e32 v26, 20, v26
	v_and_b32_e32 v27, 0x80000000, v27
	v_lshl_add_u32 v7, v7, 23, v17
	v_or3_b32 v26, v27, v7, v26
.LBB232_43:                             ;   in Loop: Header=BB232_9 Depth=1
	s_or_b64 exec, exec, s[40:41]
.LBB232_44:                             ;   in Loop: Header=BB232_9 Depth=1
	s_or_b64 exec, exec, s[38:39]
.LBB232_45:                             ;   in Loop: Header=BB232_9 Depth=1
	s_or_b64 exec, exec, s[36:37]
	global_load_ubyte v27, v[5:6], off offset:384
	s_waitcnt vmcnt(0)
	v_cmp_ne_u16_e64 s[6:7], 0, v27
	s_and_saveexec_b64 s[36:37], s[6:7]
	s_cbranch_execz .LBB232_51
; %bb.46:                               ;   in Loop: Header=BB232_9 Depth=1
	v_cmp_ne_u16_e64 s[6:7], s44, v27
	v_bfrev_b32_e32 v25, 1
	s_and_saveexec_b64 s[38:39], s[6:7]
	s_cbranch_execz .LBB232_50
; %bb.47:                               ;   in Loop: Header=BB232_9 Depth=1
	v_and_b32_e32 v7, 0xffff, v27
	v_and_b32_e32 v28, 0x7f, v7
	v_cmp_ne_u32_e64 s[6:7], s45, v28
	v_mov_b32_e32 v25, 0x7f800001
	s_and_saveexec_b64 s[40:41], s[6:7]
	s_cbranch_execz .LBB232_49
; %bb.48:                               ;   in Loop: Header=BB232_9 Depth=1
	v_and_b32_e32 v25, 7, v7
	v_ffbh_u32_e32 v29, v25
	v_min_u32_e32 v32, 32, v29
	v_subrev_u32_e32 v29, 28, v32
	v_lshlrev_b64 v[29:30], v29, v[7:8]
	v_lshrrev_b32_e32 v31, 3, v28
	v_sub_u32_e32 v7, 29, v32
	v_and_b32_e32 v29, 7, v29
	v_cmp_gt_u32_e64 s[6:7], 8, v28
	v_cndmask_b32_e64 v7, v31, v7, s[6:7]
	v_cndmask_b32_e64 v25, v25, v29, s[6:7]
	v_lshlrev_b32_e32 v27, 24, v27
	v_lshlrev_b32_e32 v25, 20, v25
	v_and_b32_e32 v27, 0x80000000, v27
	v_lshl_add_u32 v7, v7, 23, v17
	v_or3_b32 v25, v27, v7, v25
.LBB232_49:                             ;   in Loop: Header=BB232_9 Depth=1
	s_or_b64 exec, exec, s[40:41]
.LBB232_50:                             ;   in Loop: Header=BB232_9 Depth=1
	s_or_b64 exec, exec, s[38:39]
.LBB232_51:                             ;   in Loop: Header=BB232_9 Depth=1
	s_or_b64 exec, exec, s[36:37]
	global_load_ubyte v29, v[5:6], off offset:392
	v_mov_b32_e32 v27, 0
	v_mov_b32_e32 v28, 0
	s_waitcnt vmcnt(0)
	v_cmp_ne_u16_e64 s[6:7], 0, v29
	s_and_saveexec_b64 s[36:37], s[6:7]
	s_cbranch_execz .LBB232_57
; %bb.52:                               ;   in Loop: Header=BB232_9 Depth=1
	v_cmp_ne_u16_e64 s[6:7], s44, v29
	v_bfrev_b32_e32 v28, 1
	s_and_saveexec_b64 s[38:39], s[6:7]
	s_cbranch_execz .LBB232_56
; %bb.53:                               ;   in Loop: Header=BB232_9 Depth=1
	v_and_b32_e32 v7, 0xffff, v29
	v_and_b32_e32 v30, 0x7f, v7
	v_cmp_ne_u32_e64 s[6:7], s45, v30
	v_mov_b32_e32 v28, 0x7f800001
	s_and_saveexec_b64 s[40:41], s[6:7]
	s_cbranch_execz .LBB232_55
; %bb.54:                               ;   in Loop: Header=BB232_9 Depth=1
	v_and_b32_e32 v28, 7, v7
	v_ffbh_u32_e32 v31, v28
	v_min_u32_e32 v34, 32, v31
	v_subrev_u32_e32 v31, 28, v34
	v_lshlrev_b64 v[31:32], v31, v[7:8]
	v_lshrrev_b32_e32 v33, 3, v30
	v_sub_u32_e32 v7, 29, v34
	v_and_b32_e32 v31, 7, v31
	v_cmp_gt_u32_e64 s[6:7], 8, v30
	v_cndmask_b32_e64 v7, v33, v7, s[6:7]
	v_cndmask_b32_e64 v28, v28, v31, s[6:7]
	v_lshlrev_b32_e32 v29, 24, v29
	v_lshlrev_b32_e32 v28, 20, v28
	v_and_b32_e32 v29, 0x80000000, v29
	v_lshl_add_u32 v7, v7, 23, v17
	v_or3_b32 v28, v29, v7, v28
.LBB232_55:                             ;   in Loop: Header=BB232_9 Depth=1
	s_or_b64 exec, exec, s[40:41]
.LBB232_56:                             ;   in Loop: Header=BB232_9 Depth=1
	s_or_b64 exec, exec, s[38:39]
.LBB232_57:                             ;   in Loop: Header=BB232_9 Depth=1
	s_or_b64 exec, exec, s[36:37]
	global_load_ubyte v29, v[5:6], off offset:512
	s_waitcnt vmcnt(0)
	v_cmp_ne_u16_e64 s[6:7], 0, v29
	s_and_saveexec_b64 s[36:37], s[6:7]
	s_cbranch_execz .LBB232_63
; %bb.58:                               ;   in Loop: Header=BB232_9 Depth=1
	v_cmp_ne_u16_e64 s[6:7], s44, v29
	v_bfrev_b32_e32 v27, 1
	s_and_saveexec_b64 s[38:39], s[6:7]
	s_cbranch_execz .LBB232_62
; %bb.59:                               ;   in Loop: Header=BB232_9 Depth=1
	v_and_b32_e32 v7, 0xffff, v29
	v_and_b32_e32 v30, 0x7f, v7
	v_cmp_ne_u32_e64 s[6:7], s45, v30
	v_mov_b32_e32 v27, 0x7f800001
	s_and_saveexec_b64 s[40:41], s[6:7]
	s_cbranch_execz .LBB232_61
; %bb.60:                               ;   in Loop: Header=BB232_9 Depth=1
	v_and_b32_e32 v27, 7, v7
	v_ffbh_u32_e32 v31, v27
	v_min_u32_e32 v34, 32, v31
	v_subrev_u32_e32 v31, 28, v34
	v_lshlrev_b64 v[31:32], v31, v[7:8]
	v_lshrrev_b32_e32 v33, 3, v30
	v_sub_u32_e32 v7, 29, v34
	v_and_b32_e32 v31, 7, v31
	v_cmp_gt_u32_e64 s[6:7], 8, v30
	v_cndmask_b32_e64 v7, v33, v7, s[6:7]
	v_cndmask_b32_e64 v27, v27, v31, s[6:7]
	v_lshlrev_b32_e32 v29, 24, v29
	v_lshlrev_b32_e32 v27, 20, v27
	v_and_b32_e32 v29, 0x80000000, v29
	v_lshl_add_u32 v7, v7, 23, v17
	v_or3_b32 v27, v29, v7, v27
.LBB232_61:                             ;   in Loop: Header=BB232_9 Depth=1
	s_or_b64 exec, exec, s[40:41]
.LBB232_62:                             ;   in Loop: Header=BB232_9 Depth=1
	s_or_b64 exec, exec, s[38:39]
.LBB232_63:                             ;   in Loop: Header=BB232_9 Depth=1
	s_or_b64 exec, exec, s[36:37]
	global_load_ubyte v31, v[5:6], off offset:520
	v_mov_b32_e32 v29, 0
	v_mov_b32_e32 v30, 0
	s_waitcnt vmcnt(0)
	v_cmp_ne_u16_e64 s[6:7], 0, v31
	s_and_saveexec_b64 s[36:37], s[6:7]
	s_cbranch_execz .LBB232_69
; %bb.64:                               ;   in Loop: Header=BB232_9 Depth=1
	v_cmp_ne_u16_e64 s[6:7], s44, v31
	v_bfrev_b32_e32 v30, 1
	s_and_saveexec_b64 s[38:39], s[6:7]
	s_cbranch_execz .LBB232_68
; %bb.65:                               ;   in Loop: Header=BB232_9 Depth=1
	v_and_b32_e32 v7, 0xffff, v31
	v_and_b32_e32 v32, 0x7f, v7
	v_cmp_ne_u32_e64 s[6:7], s45, v32
	v_mov_b32_e32 v30, 0x7f800001
	s_and_saveexec_b64 s[40:41], s[6:7]
	s_cbranch_execz .LBB232_67
; %bb.66:                               ;   in Loop: Header=BB232_9 Depth=1
	v_and_b32_e32 v30, 7, v7
	v_ffbh_u32_e32 v33, v30
	v_min_u32_e32 v36, 32, v33
	v_subrev_u32_e32 v33, 28, v36
	v_lshlrev_b64 v[33:34], v33, v[7:8]
	v_lshrrev_b32_e32 v35, 3, v32
	v_sub_u32_e32 v7, 29, v36
	v_and_b32_e32 v33, 7, v33
	v_cmp_gt_u32_e64 s[6:7], 8, v32
	v_cndmask_b32_e64 v7, v35, v7, s[6:7]
	v_cndmask_b32_e64 v30, v30, v33, s[6:7]
	v_lshlrev_b32_e32 v31, 24, v31
	v_lshlrev_b32_e32 v30, 20, v30
	v_and_b32_e32 v31, 0x80000000, v31
	v_lshl_add_u32 v7, v7, 23, v17
	v_or3_b32 v30, v31, v7, v30
.LBB232_67:                             ;   in Loop: Header=BB232_9 Depth=1
	s_or_b64 exec, exec, s[40:41]
.LBB232_68:                             ;   in Loop: Header=BB232_9 Depth=1
	s_or_b64 exec, exec, s[38:39]
.LBB232_69:                             ;   in Loop: Header=BB232_9 Depth=1
	s_or_b64 exec, exec, s[36:37]
	global_load_ubyte v31, v[5:6], off offset:640
	s_waitcnt vmcnt(0)
	v_cmp_ne_u16_e64 s[6:7], 0, v31
	s_and_saveexec_b64 s[36:37], s[6:7]
	s_cbranch_execz .LBB232_75
; %bb.70:                               ;   in Loop: Header=BB232_9 Depth=1
	v_cmp_ne_u16_e64 s[6:7], s44, v31
	v_bfrev_b32_e32 v29, 1
	s_and_saveexec_b64 s[38:39], s[6:7]
	s_cbranch_execz .LBB232_74
; %bb.71:                               ;   in Loop: Header=BB232_9 Depth=1
	v_and_b32_e32 v7, 0xffff, v31
	v_and_b32_e32 v32, 0x7f, v7
	v_cmp_ne_u32_e64 s[6:7], s45, v32
	v_mov_b32_e32 v29, 0x7f800001
	s_and_saveexec_b64 s[40:41], s[6:7]
	s_cbranch_execz .LBB232_73
; %bb.72:                               ;   in Loop: Header=BB232_9 Depth=1
	v_and_b32_e32 v29, 7, v7
	v_ffbh_u32_e32 v33, v29
	v_min_u32_e32 v36, 32, v33
	v_subrev_u32_e32 v33, 28, v36
	v_lshlrev_b64 v[33:34], v33, v[7:8]
	v_lshrrev_b32_e32 v35, 3, v32
	v_sub_u32_e32 v7, 29, v36
	v_and_b32_e32 v33, 7, v33
	v_cmp_gt_u32_e64 s[6:7], 8, v32
	v_cndmask_b32_e64 v7, v35, v7, s[6:7]
	v_cndmask_b32_e64 v29, v29, v33, s[6:7]
	v_lshlrev_b32_e32 v31, 24, v31
	v_lshlrev_b32_e32 v29, 20, v29
	v_and_b32_e32 v31, 0x80000000, v31
	v_lshl_add_u32 v7, v7, 23, v17
	v_or3_b32 v29, v31, v7, v29
.LBB232_73:                             ;   in Loop: Header=BB232_9 Depth=1
	s_or_b64 exec, exec, s[40:41]
.LBB232_74:                             ;   in Loop: Header=BB232_9 Depth=1
	s_or_b64 exec, exec, s[38:39]
.LBB232_75:                             ;   in Loop: Header=BB232_9 Depth=1
	s_or_b64 exec, exec, s[36:37]
	global_load_ubyte v33, v[5:6], off offset:648
	v_mov_b32_e32 v32, 0
	v_mov_b32_e32 v31, 0
	s_waitcnt vmcnt(0)
	v_cmp_ne_u16_e64 s[6:7], 0, v33
	s_and_saveexec_b64 s[36:37], s[6:7]
	s_cbranch_execz .LBB232_81
; %bb.76:                               ;   in Loop: Header=BB232_9 Depth=1
	v_cmp_ne_u16_e64 s[6:7], s44, v33
	v_bfrev_b32_e32 v31, 1
	s_and_saveexec_b64 s[38:39], s[6:7]
	s_cbranch_execz .LBB232_80
; %bb.77:                               ;   in Loop: Header=BB232_9 Depth=1
	v_and_b32_e32 v7, 0xffff, v33
	v_and_b32_e32 v34, 0x7f, v7
	v_cmp_ne_u32_e64 s[6:7], s45, v34
	v_mov_b32_e32 v31, 0x7f800001
	s_and_saveexec_b64 s[40:41], s[6:7]
	s_cbranch_execz .LBB232_79
; %bb.78:                               ;   in Loop: Header=BB232_9 Depth=1
	v_and_b32_e32 v31, 7, v7
	v_ffbh_u32_e32 v35, v31
	v_min_u32_e32 v38, 32, v35
	v_subrev_u32_e32 v35, 28, v38
	v_lshlrev_b64 v[35:36], v35, v[7:8]
	v_lshrrev_b32_e32 v37, 3, v34
	v_sub_u32_e32 v7, 29, v38
	v_and_b32_e32 v35, 7, v35
	v_cmp_gt_u32_e64 s[6:7], 8, v34
	v_cndmask_b32_e64 v7, v37, v7, s[6:7]
	v_cndmask_b32_e64 v31, v31, v35, s[6:7]
	v_lshlrev_b32_e32 v33, 24, v33
	v_lshlrev_b32_e32 v31, 20, v31
	v_and_b32_e32 v33, 0x80000000, v33
	v_lshl_add_u32 v7, v7, 23, v17
	v_or3_b32 v31, v33, v7, v31
.LBB232_79:                             ;   in Loop: Header=BB232_9 Depth=1
	s_or_b64 exec, exec, s[40:41]
.LBB232_80:                             ;   in Loop: Header=BB232_9 Depth=1
	s_or_b64 exec, exec, s[38:39]
.LBB232_81:                             ;   in Loop: Header=BB232_9 Depth=1
	s_or_b64 exec, exec, s[36:37]
	global_load_ubyte v33, v[5:6], off offset:768
	s_waitcnt vmcnt(0)
	v_cmp_ne_u16_e64 s[6:7], 0, v33
	s_and_saveexec_b64 s[36:37], s[6:7]
	s_cbranch_execz .LBB232_87
; %bb.82:                               ;   in Loop: Header=BB232_9 Depth=1
	v_cmp_ne_u16_e64 s[6:7], s44, v33
	v_bfrev_b32_e32 v32, 1
	s_and_saveexec_b64 s[38:39], s[6:7]
	s_cbranch_execz .LBB232_86
; %bb.83:                               ;   in Loop: Header=BB232_9 Depth=1
	v_and_b32_e32 v7, 0xffff, v33
	v_and_b32_e32 v34, 0x7f, v7
	v_cmp_ne_u32_e64 s[6:7], s45, v34
	v_mov_b32_e32 v32, 0x7f800001
	s_and_saveexec_b64 s[40:41], s[6:7]
	s_cbranch_execz .LBB232_85
; %bb.84:                               ;   in Loop: Header=BB232_9 Depth=1
	v_and_b32_e32 v32, 7, v7
	v_ffbh_u32_e32 v35, v32
	v_min_u32_e32 v38, 32, v35
	v_subrev_u32_e32 v35, 28, v38
	v_lshlrev_b64 v[35:36], v35, v[7:8]
	v_lshrrev_b32_e32 v37, 3, v34
	v_sub_u32_e32 v7, 29, v38
	v_and_b32_e32 v35, 7, v35
	v_cmp_gt_u32_e64 s[6:7], 8, v34
	v_cndmask_b32_e64 v7, v37, v7, s[6:7]
	v_cndmask_b32_e64 v32, v32, v35, s[6:7]
	v_lshlrev_b32_e32 v33, 24, v33
	v_lshlrev_b32_e32 v32, 20, v32
	v_and_b32_e32 v33, 0x80000000, v33
	v_lshl_add_u32 v7, v7, 23, v17
	v_or3_b32 v32, v33, v7, v32
.LBB232_85:                             ;   in Loop: Header=BB232_9 Depth=1
	s_or_b64 exec, exec, s[40:41]
.LBB232_86:                             ;   in Loop: Header=BB232_9 Depth=1
	s_or_b64 exec, exec, s[38:39]
.LBB232_87:                             ;   in Loop: Header=BB232_9 Depth=1
	s_or_b64 exec, exec, s[36:37]
	global_load_ubyte v35, v[5:6], off offset:776
	v_mov_b32_e32 v33, 0
	v_mov_b32_e32 v34, 0
	s_waitcnt vmcnt(0)
	v_cmp_ne_u16_e64 s[6:7], 0, v35
	s_and_saveexec_b64 s[36:37], s[6:7]
	s_cbranch_execz .LBB232_93
; %bb.88:                               ;   in Loop: Header=BB232_9 Depth=1
	v_cmp_ne_u16_e64 s[6:7], s44, v35
	v_bfrev_b32_e32 v34, 1
	s_and_saveexec_b64 s[38:39], s[6:7]
	s_cbranch_execz .LBB232_92
; %bb.89:                               ;   in Loop: Header=BB232_9 Depth=1
	v_and_b32_e32 v7, 0xffff, v35
	v_and_b32_e32 v36, 0x7f, v7
	v_cmp_ne_u32_e64 s[6:7], s45, v36
	v_mov_b32_e32 v34, 0x7f800001
	s_and_saveexec_b64 s[40:41], s[6:7]
	s_cbranch_execz .LBB232_91
; %bb.90:                               ;   in Loop: Header=BB232_9 Depth=1
	v_and_b32_e32 v34, 7, v7
	v_ffbh_u32_e32 v37, v34
	v_min_u32_e32 v40, 32, v37
	v_subrev_u32_e32 v37, 28, v40
	v_lshlrev_b64 v[37:38], v37, v[7:8]
	v_lshrrev_b32_e32 v39, 3, v36
	v_sub_u32_e32 v7, 29, v40
	v_and_b32_e32 v37, 7, v37
	v_cmp_gt_u32_e64 s[6:7], 8, v36
	v_cndmask_b32_e64 v7, v39, v7, s[6:7]
	v_cndmask_b32_e64 v34, v34, v37, s[6:7]
	v_lshlrev_b32_e32 v35, 24, v35
	v_lshlrev_b32_e32 v34, 20, v34
	v_and_b32_e32 v35, 0x80000000, v35
	v_lshl_add_u32 v7, v7, 23, v17
	v_or3_b32 v34, v35, v7, v34
.LBB232_91:                             ;   in Loop: Header=BB232_9 Depth=1
	s_or_b64 exec, exec, s[40:41]
.LBB232_92:                             ;   in Loop: Header=BB232_9 Depth=1
	s_or_b64 exec, exec, s[38:39]
.LBB232_93:                             ;   in Loop: Header=BB232_9 Depth=1
	s_or_b64 exec, exec, s[36:37]
	global_load_ubyte v6, v[5:6], off offset:896
	s_waitcnt vmcnt(0)
	v_cmp_ne_u16_e64 s[6:7], 0, v6
	s_and_saveexec_b64 s[36:37], s[6:7]
	s_cbranch_execz .LBB232_99
; %bb.94:                               ;   in Loop: Header=BB232_9 Depth=1
	v_cmp_ne_u16_e64 s[6:7], s44, v6
	v_bfrev_b32_e32 v33, 1
	s_and_saveexec_b64 s[38:39], s[6:7]
	s_cbranch_execz .LBB232_98
; %bb.95:                               ;   in Loop: Header=BB232_9 Depth=1
	v_and_b32_e32 v5, 0xffff, v6
	v_and_b32_e32 v7, 0x7f, v5
	v_cmp_ne_u32_e64 s[6:7], s45, v7
	v_mov_b32_e32 v33, 0x7f800001
	s_and_saveexec_b64 s[40:41], s[6:7]
	s_cbranch_execz .LBB232_97
; %bb.96:                               ;   in Loop: Header=BB232_9 Depth=1
	v_and_b32_e32 v33, 7, v5
	v_ffbh_u32_e32 v35, v33
	v_min_u32_e32 v38, 32, v35
	v_subrev_u32_e32 v35, 28, v38
	v_lshlrev_b64 v[35:36], v35, v[5:6]
	v_lshrrev_b32_e32 v37, 3, v7
	v_sub_u32_e32 v5, 29, v38
	v_and_b32_e32 v35, 7, v35
	v_cmp_gt_u32_e64 s[6:7], 8, v7
	v_cndmask_b32_e64 v5, v37, v5, s[6:7]
	v_cndmask_b32_e64 v7, v33, v35, s[6:7]
	v_lshlrev_b32_e32 v6, 24, v6
	v_lshlrev_b32_e32 v7, 20, v7
	v_and_b32_e32 v6, 0x80000000, v6
	v_lshl_add_u32 v5, v5, 23, v17
	v_or3_b32 v33, v6, v5, v7
.LBB232_97:                             ;   in Loop: Header=BB232_9 Depth=1
	s_or_b64 exec, exec, s[40:41]
.LBB232_98:                             ;   in Loop: Header=BB232_9 Depth=1
	s_or_b64 exec, exec, s[38:39]
.LBB232_99:                             ;   in Loop: Header=BB232_9 Depth=1
	s_or_b64 exec, exec, s[36:37]
	v_fma_mixlo_f16 v5, v19, v20, 0
	ds_read_u16 v6, v14
	v_and_b32_e32 v7, 0xffff, v5
	s_waitcnt lgkmcnt(0)
	;;#ASMSTART
	v_cvt_f32_f16 v5, v6;
	;;#ASMEND
	;;#ASMSTART
	v_cvt_f32_f16 v6, v7;
	;;#ASMEND
	v_fma_mixlo_f16 v7, v19, v22, 0
	ds_read_u16 v20, v14 offset:2
	v_and_b32_e32 v22, 0xffff, v7
	s_waitcnt lgkmcnt(0)
	;;#ASMSTART
	v_cvt_f32_f16 v7, v20;
	;;#ASMEND
	;;#ASMSTART
	v_cvt_f32_f16 v20, v22;
	;;#ASMEND
	v_fma_mixlo_f16 v21, v19, v21, 0
	v_mul_f32_e32 v7, v7, v20
	ds_read_u16 v22, v14 offset:4
	v_and_b32_e32 v35, 0xffff, v21
	v_fma_mixlo_f16 v24, v19, v24, 0
	v_fmac_f32_e32 v7, v5, v6
	s_waitcnt lgkmcnt(0)
	;;#ASMSTART
	v_cvt_f32_f16 v21, v22;
	;;#ASMEND
	;;#ASMSTART
	v_cvt_f32_f16 v22, v35;
	;;#ASMEND
	ds_read_u16 v35, v14 offset:6
	v_and_b32_e32 v36, 0xffff, v24
	v_fma_mixlo_f16 v23, v19, v23, 0
	v_fmac_f32_e32 v7, v21, v22
	s_waitcnt lgkmcnt(0)
	;;#ASMSTART
	v_cvt_f32_f16 v24, v35;
	;;#ASMEND
	;;#ASMSTART
	v_cvt_f32_f16 v35, v36;
	;;#ASMEND
	ds_read_u16 v36, v14 offset:8
	v_and_b32_e32 v37, 0xffff, v23
	v_fma_mixlo_f16 v26, v19, v26, 0
	v_fmac_f32_e32 v7, v24, v35
	s_waitcnt lgkmcnt(0)
	;;#ASMSTART
	v_cvt_f32_f16 v23, v36;
	;;#ASMEND
	;;#ASMSTART
	v_cvt_f32_f16 v36, v37;
	;;#ASMEND
	ds_read_u16 v37, v14 offset:10
	v_and_b32_e32 v38, 0xffff, v26
	v_fma_mixlo_f16 v25, v19, v25, 0
	v_fmac_f32_e32 v7, v23, v36
	s_waitcnt lgkmcnt(0)
	;;#ASMSTART
	v_cvt_f32_f16 v26, v37;
	;;#ASMEND
	;;#ASMSTART
	v_cvt_f32_f16 v37, v38;
	;;#ASMEND
	ds_read_u16 v38, v14 offset:12
	v_and_b32_e32 v39, 0xffff, v25
	v_fma_mixlo_f16 v28, v19, v28, 0
	v_fmac_f32_e32 v7, v26, v37
	s_waitcnt lgkmcnt(0)
	;;#ASMSTART
	v_cvt_f32_f16 v25, v38;
	;;#ASMEND
	;;#ASMSTART
	v_cvt_f32_f16 v38, v39;
	;;#ASMEND
	ds_read_u16 v39, v14 offset:14
	v_and_b32_e32 v40, 0xffff, v28
	v_fma_mixlo_f16 v27, v19, v27, 0
	v_fmac_f32_e32 v7, v25, v38
	s_waitcnt lgkmcnt(0)
	;;#ASMSTART
	v_cvt_f32_f16 v28, v39;
	;;#ASMEND
	;;#ASMSTART
	v_cvt_f32_f16 v39, v40;
	;;#ASMEND
	ds_read_u16 v40, v14 offset:16
	v_and_b32_e32 v41, 0xffff, v27
	v_fma_mixlo_f16 v30, v19, v30, 0
	v_fmac_f32_e32 v7, v28, v39
	s_waitcnt lgkmcnt(0)
	;;#ASMSTART
	v_cvt_f32_f16 v27, v40;
	;;#ASMEND
	;;#ASMSTART
	v_cvt_f32_f16 v40, v41;
	;;#ASMEND
	ds_read_u16 v41, v14 offset:18
	v_and_b32_e32 v42, 0xffff, v30
	v_fmac_f32_e32 v7, v27, v40
	s_waitcnt lgkmcnt(0)
	;;#ASMSTART
	v_cvt_f32_f16 v30, v41;
	;;#ASMEND
	;;#ASMSTART
	v_cvt_f32_f16 v41, v42;
	;;#ASMEND
	ds_read_u16 v42, v14 offset:20
	v_fma_mixlo_f16 v29, v19, v29, 0
	v_fma_mixlo_f16 v31, v19, v31, 0
	v_fmac_f32_e32 v7, v30, v41
	v_fma_mixlo_f16 v32, v19, v32, 0
	v_and_b32_e32 v43, 0xffff, v29
	s_waitcnt lgkmcnt(0)
	;;#ASMSTART
	v_cvt_f32_f16 v29, v42;
	;;#ASMEND
	;;#ASMSTART
	v_cvt_f32_f16 v42, v43;
	;;#ASMEND
	v_and_b32_e32 v6, 0xffff, v31
	v_fmac_f32_e32 v7, v29, v42
	v_fma_mixlo_f16 v34, v19, v34, 0
	ds_read_u16 v43, v14 offset:22
	v_fma_mixlo_f16 v19, v19, v33, 0
	s_waitcnt lgkmcnt(0)
	;;#ASMSTART
	v_cvt_f32_f16 v5, v43;
	;;#ASMEND
	;;#ASMSTART
	v_cvt_f32_f16 v6, v6;
	;;#ASMEND
	ds_read_u16 v20, v14 offset:24
	v_and_b32_e32 v21, 0xffff, v32
	v_fmac_f32_e32 v7, v5, v6
	s_waitcnt lgkmcnt(0)
	;;#ASMSTART
	v_cvt_f32_f16 v20, v20;
	;;#ASMEND
	;;#ASMSTART
	v_cvt_f32_f16 v21, v21;
	;;#ASMEND
	ds_read_u16 v22, v14 offset:26
	v_and_b32_e32 v23, 0xffff, v34
	v_fmac_f32_e32 v7, v20, v21
	v_and_b32_e32 v6, 0xffff, v19
	s_waitcnt lgkmcnt(0)
	;;#ASMSTART
	v_cvt_f32_f16 v22, v22;
	;;#ASMEND
	;;#ASMSTART
	v_cvt_f32_f16 v23, v23;
	;;#ASMEND
	ds_read_u16 v24, v14 offset:28
	v_fmac_f32_e32 v7, v22, v23
	s_waitcnt lgkmcnt(0)
	;;#ASMSTART
	v_cvt_f32_f16 v5, v24;
	;;#ASMEND
	;;#ASMSTART
	v_cvt_f32_f16 v6, v6;
	;;#ASMEND
	v_fmac_f32_e32 v7, v5, v6
	v_and_b32_e32 v6, 64, v9
	v_add_u32_e32 v5, 64, v6
	v_xor_b32_e32 v19, 4, v9
	v_cmp_lt_i32_e64 s[6:7], v19, v5
	v_cndmask_b32_e64 v19, v9, v19, s[6:7]
	v_lshlrev_b32_e32 v19, 2, v19
	ds_bpermute_b32 v19, v19, v7
	s_waitcnt lgkmcnt(0)
	v_add_f32_e32 v7, v7, v19
	v_xor_b32_e32 v19, 2, v9
	v_cmp_lt_i32_e64 s[6:7], v19, v5
	v_cndmask_b32_e64 v19, v9, v19, s[6:7]
	v_lshlrev_b32_e32 v19, 2, v19
	ds_bpermute_b32 v19, v19, v7
	s_waitcnt lgkmcnt(0)
	v_add_f32_e32 v7, v7, v19
	v_xor_b32_e32 v19, 1, v9
	v_cmp_lt_i32_e64 s[6:7], v19, v5
	v_cndmask_b32_e64 v19, v9, v19, s[6:7]
	v_lshlrev_b32_e32 v19, 2, v19
	ds_bpermute_b32 v19, v19, v7
	s_and_saveexec_b64 s[36:37], vcc
	s_cbranch_execz .LBB232_8
; %bb.100:                              ;   in Loop: Header=BB232_9 Depth=1
	v_add_u32_e32 v20, s43, v15
	v_cvt_f32_i32_e32 v20, v20
	s_waitcnt lgkmcnt(0)
	v_add_f32_e32 v7, v7, v19
	v_cmp_gt_i32_e64 s[6:7], s21, v15
	v_max_f32_e32 v19, v10, v10
	v_mul_f32_e32 v20, s10, v20
	v_cndmask_b32_e64 v20, 0, v20, s[4:5]
	v_fmac_f32_e32 v20, s11, v7
	v_cndmask_b32_e64 v7, 0, v20, s[6:7]
	ds_write_b32 v16, v7
	v_max_f32_e32 v7, v19, v20
	v_cndmask_b32_e64 v10, v10, v7, s[6:7]
	s_branch .LBB232_8
.LBB232_101:
	s_or_b64 exec, exec, s[18:19]
.LBB232_102:
	s_or_b64 exec, exec, s[34:35]
	v_xor_b32_e32 v1, 32, v9
	v_cmp_lt_i32_e32 vcc, v1, v5
	v_cndmask_b32_e32 v1, v9, v1, vcc
	v_lshlrev_b32_e32 v2, 2, v1
	ds_bpermute_b32 v1, v2, v10
	v_xor_b32_e32 v4, 16, v9
	v_max_f32_e32 v3, v10, v10
	v_cmp_lt_i32_e32 vcc, v4, v5
	v_xor_b32_e32 v7, 8, v9
	s_waitcnt lgkmcnt(0)
	v_max_f32_e32 v1, v1, v1
	v_max_f32_e32 v1, v3, v1
	v_cndmask_b32_e32 v3, v9, v4, vcc
	v_lshlrev_b32_e32 v4, 2, v3
	ds_bpermute_b32 v3, v4, v1
	v_cmp_lt_i32_e32 vcc, v7, v5
	v_and_b32_e32 v13, 63, v0
	s_waitcnt lgkmcnt(0)
	v_max_f32_e32 v3, v3, v3
	v_max_f32_e32 v3, v1, v3
	v_cndmask_b32_e32 v1, v9, v7, vcc
	v_lshlrev_b32_e32 v10, 2, v1
	ds_bpermute_b32 v7, v10, v3
	v_cmp_eq_u32_e32 vcc, 0, v13
	v_lshlrev_b32_e32 v1, 2, v12
	s_and_saveexec_b64 s[4:5], vcc
	s_cbranch_execz .LBB232_104
; %bb.103:
	s_waitcnt lgkmcnt(0)
	v_max_f32_e32 v7, v7, v7
	v_max_f32_e32 v3, v3, v3
	;; [unrolled: 1-line block ×3, first 2 shown]
	ds_write_b32 v1, v3 offset:240
.LBB232_104:
	s_or_b64 exec, exec, s[4:5]
	v_cmp_gt_u32_e64 s[4:5], 2, v13
	v_mov_b32_e32 v14, 0xff7fffff
	v_lshlrev_b32_e32 v3, 2, v13
	s_waitcnt lgkmcnt(0)
	s_barrier
	s_and_saveexec_b64 s[6:7], s[4:5]
; %bb.105:
	ds_read_b32 v14, v3 offset:240
; %bb.106:
	s_or_b64 exec, exec, s[6:7]
	v_xor_b32_e32 v7, 1, v9
	v_cmp_lt_i32_e64 s[6:7], v7, v5
	v_cndmask_b32_e64 v7, v9, v7, s[6:7]
	v_lshlrev_b32_e32 v7, 2, v7
	s_waitcnt lgkmcnt(0)
	ds_bpermute_b32 v15, v7, v14
	v_max_f32_e32 v14, v14, v14
	v_lshlrev_b32_e32 v6, 2, v6
	s_lshl_b32 s6, s33, 3
	s_min_i32 s34, s6, s21
	s_waitcnt lgkmcnt(0)
	v_max_f32_e32 v15, v15, v15
	v_max_f32_e32 v14, v14, v15
	ds_bpermute_b32 v14, v6, v14
	v_cmp_gt_i32_e64 s[6:7], s34, v0
	v_mov_b32_e32 v6, 0
	s_and_saveexec_b64 s[12:13], s[6:7]
	s_cbranch_execz .LBB232_110
; %bb.107:
	v_mov_b32_e32 v6, 0x100
	v_lshl_add_u32 v15, v0, 2, v6
	v_mov_b32_e32 v6, 0
	s_mov_b64 s[18:19], 0
	v_mov_b32_e32 v16, v0
.LBB232_108:                            ; =>This Inner Loop Header: Depth=1
	ds_read_b32 v17, v15
	v_add_u32_e32 v16, 0x80, v16
	v_cmp_le_i32_e64 s[10:11], s34, v16
	s_or_b64 s[18:19], s[10:11], s[18:19]
	s_waitcnt lgkmcnt(0)
	v_sub_f32_e32 v17, v17, v14
	v_mul_f32_e32 v17, 0x3fb8aa3b, v17
	v_exp_f32_e32 v17, v17
	ds_write_b32 v15, v17
	v_add_f32_e32 v6, v6, v17
	v_add_u32_e32 v15, 0x200, v15
	s_andn2_b64 exec, exec, s[18:19]
	s_cbranch_execnz .LBB232_108
; %bb.109:
	s_or_b64 exec, exec, s[18:19]
.LBB232_110:
	s_or_b64 exec, exec, s[12:13]
	ds_bpermute_b32 v2, v2, v6
	s_waitcnt lgkmcnt(0)
	v_add_f32_e32 v2, v6, v2
	ds_bpermute_b32 v4, v4, v2
	v_xor_b32_e32 v6, 4, v9
	v_cmp_lt_i32_e64 s[10:11], v6, v5
	v_cndmask_b32_e64 v6, v9, v6, s[10:11]
	v_lshlrev_b32_e32 v6, 2, v6
	s_waitcnt lgkmcnt(0)
	v_add_f32_e32 v2, v2, v4
	ds_bpermute_b32 v4, v10, v2
	s_waitcnt lgkmcnt(0)
	v_add_f32_e32 v2, v2, v4
	ds_bpermute_b32 v4, v6, v2
	v_xor_b32_e32 v6, 2, v9
	v_cmp_lt_i32_e64 s[10:11], v6, v5
	v_cndmask_b32_e64 v5, v9, v6, s[10:11]
	s_waitcnt lgkmcnt(0)
	v_add_f32_e32 v2, v2, v4
	v_lshlrev_b32_e32 v4, 2, v5
	ds_bpermute_b32 v4, v4, v2
	s_waitcnt lgkmcnt(0)
	v_add_f32_e32 v2, v2, v4
	ds_bpermute_b32 v4, v7, v2
	s_waitcnt lgkmcnt(0)
	v_add_f32_e32 v2, v2, v4
	s_and_saveexec_b64 s[10:11], vcc
; %bb.111:
	ds_write_b32 v1, v2 offset:248
; %bb.112:
	s_or_b64 exec, exec, s[10:11]
	s_waitcnt lgkmcnt(0)
	s_barrier
	s_and_saveexec_b64 s[10:11], s[4:5]
; %bb.113:
	ds_read_b32 v2, v3 offset:248
; %bb.114:
	s_or_b64 exec, exec, s[10:11]
	s_waitcnt lgkmcnt(0)
	ds_bpermute_b32 v1, v7, v2
	v_lshlrev_b32_e32 v3, 2, v9
	s_waitcnt lgkmcnt(0)
	v_add_f32_e32 v1, v2, v1
	v_and_b32_e32 v2, 0xffffff00, v3
	ds_bpermute_b32 v1, v2, v1
	s_and_saveexec_b64 s[4:5], s[6:7]
	s_cbranch_execz .LBB232_117
; %bb.115:
	s_waitcnt lgkmcnt(0)
	v_add_f32_e32 v2, 0x358637bd, v1
	v_div_scale_f32 v1, s[6:7], v2, v2, 1.0
	v_div_scale_f32 v3, vcc, 1.0, v2, 1.0
	s_mov_b64 s[6:7], 0
	v_rcp_f32_e32 v4, v1
	v_fma_f32 v5, -v1, v4, 1.0
	v_fmac_f32_e32 v4, v5, v4
	v_mul_f32_e32 v5, v3, v4
	v_fma_f32 v6, -v1, v5, v3
	v_fmac_f32_e32 v5, v6, v4
	v_fma_f32 v1, -v1, v5, v3
	v_div_fmas_f32 v3, v1, v4, v5
	v_mov_b32_e32 v1, 0x100
	v_lshl_add_u32 v1, v0, 2, v1
	v_div_fixup_f32 v2, v3, v2, 1.0
	v_mov_b32_e32 v3, v0
.LBB232_116:                            ; =>This Inner Loop Header: Depth=1
	ds_read_b32 v4, v1
	v_add_u32_e32 v3, 0x80, v3
	v_cmp_le_i32_e32 vcc, s34, v3
	s_or_b64 s[6:7], vcc, s[6:7]
	s_waitcnt lgkmcnt(0)
	v_mul_f32_e32 v4, v2, v4
	ds_write_b32 v1, v4
	v_add_u32_e32 v1, 0x200, v1
	s_andn2_b64 exec, exec, s[6:7]
	s_cbranch_execnz .LBB232_116
.LBB232_117:
	s_or_b64 exec, exec, s[4:5]
	v_mov_b32_e32 v15, 0
	v_mov_b32_e32 v14, 0
	s_waitcnt lgkmcnt(0)
	s_barrier
	s_and_saveexec_b64 s[6:7], s[2:3]
	s_cbranch_execz .LBB232_223
; %bb.118:
	s_ashr_i32 s2, s16, 31
	s_add_u32 s4, s30, s16
	s_addc_u32 s5, s31, s2
	v_or_b32_e32 v1, 64, v13
	s_movk_i32 s2, 0x78
	s_add_i32 s30, s33, -1
	v_cmp_gt_u32_e32 vcc, s2, v1
	s_lshl_b64 s[2:3], s[28:29], 2
	v_lshlrev_b32_e32 v17, 3, v1
	v_mov_b32_e32 v1, 0x100
	s_add_u32 s2, s26, s2
	v_lshl_add_u32 v19, v12, 5, v1
	v_and_b32_e32 v1, 60, v8
	s_addc_u32 s3, s27, s3
	s_mov_b32 s10, -1
	v_mov_b32_e32 v4, s3
	v_add_co_u32_e64 v3, s[2:3], s2, v1
	v_mov_b32_e32 v6, s5
	s_mov_b32 s34, s17
	s_mov_b32 s11, 0xffffff
	v_lshlrev_b32_e32 v16, 3, v13
	v_mov_b32_e32 v2, 0
	v_lshl_or_b32 v18, v12, 3, 7
	v_addc_co_u32_e64 v4, s[2:3], 0, v4, s[2:3]
	s_mov_b64 s[12:13], 0
	v_mov_b32_e32 v5, s4
	s_movk_i32 s31, 0x80
	s_movk_i32 s35, 0x7f
	s_mov_b32 s36, 0x8000
	v_mov_b32_e32 v20, 0x2000
	v_mov_b32_e32 v14, 0
	;; [unrolled: 1-line block ×3, first 2 shown]
	s_branch .LBB232_121
.LBB232_119:                            ;   in Loop: Header=BB232_121 Depth=1
	s_or_b64 exec, exec, s[4:5]
	;;#ASMSTART
	v_pk_mul_f16 v7, v25, v7;

	;;#ASMEND
	;;#ASMSTART
	v_pk_mul_f16 v1, v24, v1;

	;;#ASMEND
	;; [unrolled: 4-line block ×4, first 2 shown]
	;;#ASMSTART
	v_pk_add_f16 v1, v7, v1;

	;;#ASMEND
	;;#ASMSTART
	v_pk_add_f16 v1, v1, v8;

	;;#ASMEND
	;;#ASMSTART
	v_pk_add_f16 v1, v1, v9;

	;;#ASMEND
	v_lshrrev_b32_e32 v7, 16, v1
	v_and_b32_e32 v1, 0xffff, v1
	;;#ASMSTART
	v_cvt_f32_f16 v1, v1;
	;;#ASMEND
	;;#ASMSTART
	v_cvt_f32_f16 v7, v7;
	;;#ASMEND
	v_add_f32_e32 v1, v1, v7
	v_add_f32_e32 v14, v14, v1
.LBB232_120:                            ;   in Loop: Header=BB232_121 Depth=1
	s_or_b64 exec, exec, s[16:17]
	v_add_u32_e32 v12, 2, v12
	v_cmp_le_i32_e64 s[2:3], s33, v12
	v_add_f32_e32 v1, v10, v21
	s_or_b64 s[12:13], s[2:3], s[12:13]
	v_add_co_u32_e64 v3, s[2:3], 8, v3
	v_add_f32_e32 v15, v15, v1
	v_add_u32_e32 v18, 16, v18
	v_add_u32_e32 v19, 64, v19
	v_addc_co_u32_e64 v4, s[2:3], 0, v4, s[2:3]
	s_andn2_b64 exec, exec, s[12:13]
	s_cbranch_execz .LBB232_222
.LBB232_121:                            ; =>This Inner Loop Header: Depth=1
	global_load_dword v1, v[3:4], off
	ds_read2_b64 v[7:10], v19 offset1:1
	ds_read2_b64 v[26:29], v19 offset0:2 offset1:3
	s_waitcnt lgkmcnt(1)
	;;#ASMSTART
	v_cvt_f16_f32 v21, v7;

	;;#ASMEND
	;;#ASMSTART
	v_cvt_f16_f32 v22, v8;

	;;#ASMEND
	;;#ASMSTART
	v_cvt_f16_f32 v23, v9;

	;;#ASMEND
	;;#ASMSTART
	v_cvt_f16_f32 v24, v10;

	;;#ASMEND
	s_waitcnt lgkmcnt(0)
	;;#ASMSTART
	v_cvt_f16_f32 v26, v26;

	;;#ASMEND
	;;#ASMSTART
	v_cvt_f16_f32 v27, v27;

	;;#ASMEND
	;; [unrolled: 4-line block ×4, first 2 shown]
	s_waitcnt vmcnt(0)
	v_mad_i64_i32 v[7:8], s[2:3], v1, s34, v[5:6]
	v_add_co_u32_e64 v30, s[2:3], v7, v16
	v_addc_co_u32_e64 v31, s[2:3], 0, v8, s[2:3]
	global_load_dwordx2 v[9:10], v[30:31], off
	global_load_dword v25, v2, s[14:15]
	v_mov_b32_e32 v30, 0
	s_waitcnt vmcnt(1)
	v_cmp_ne_u16_sdwa s[2:3], v9, v2 src0_sel:BYTE_0 src1_sel:DWORD
	s_and_saveexec_b64 s[4:5], s[2:3]
	s_cbranch_execz .LBB232_127
; %bb.122:                              ;   in Loop: Header=BB232_121 Depth=1
	v_cmp_ne_u16_sdwa s[2:3], v9, s31 src0_sel:BYTE_0 src1_sel:DWORD
	v_mov_b32_e32 v30, 0x8000
	s_and_saveexec_b64 s[16:17], s[2:3]
	s_cbranch_execz .LBB232_126
; %bb.123:                              ;   in Loop: Header=BB232_121 Depth=1
	v_and_b32_e32 v1, 0x7f, v9
	v_cmp_ne_u32_e64 s[2:3], s35, v1
	v_mov_b32_e32 v30, 0x7c01
	s_and_saveexec_b64 s[18:19], s[2:3]
	s_cbranch_execz .LBB232_125
; %bb.124:                              ;   in Loop: Header=BB232_121 Depth=1
	v_and_b32_e32 v32, 7, v9
	v_ffbh_u32_e32 v30, v32
	v_min_u32_e32 v34, 32, v30
	v_subrev_u32_e32 v30, 28, v34
	v_lshlrev_b64 v[30:31], v30, v[9:10]
	v_lshrrev_b32_e32 v33, 3, v1
	v_sub_u32_e32 v31, 29, v34
	v_cmp_gt_u32_e64 s[2:3], 8, v1
	v_cndmask_b32_e64 v1, v33, v31, s[2:3]
	v_lshl_add_u32 v1, v1, 10, v20
	v_lshlrev_b32_e32 v31, 8, v9
	v_and_b32_e32 v30, 7, v30
	v_and_b32_e32 v1, 0xfc00, v1
	v_cndmask_b32_e64 v30, v32, v30, s[2:3]
	v_and_or_b32 v1, v31, s36, v1
	v_lshl_or_b32 v30, v30, 7, v1
.LBB232_125:                            ;   in Loop: Header=BB232_121 Depth=1
	s_or_b64 exec, exec, s[18:19]
.LBB232_126:                            ;   in Loop: Header=BB232_121 Depth=1
	s_or_b64 exec, exec, s[16:17]
.LBB232_127:                            ;   in Loop: Header=BB232_121 Depth=1
	s_or_b64 exec, exec, s[4:5]
	v_lshrrev_b16_e32 v1, 8, v9
	v_cmp_ne_u16_e64 s[2:3], 0, v1
	v_mov_b32_e32 v32, 0
	v_mov_b32_e32 v31, 0
	s_and_saveexec_b64 s[4:5], s[2:3]
	s_cbranch_execz .LBB232_133
; %bb.128:                              ;   in Loop: Header=BB232_121 Depth=1
	v_cmp_ne_u16_e64 s[2:3], s31, v1
	v_bfrev_b32_e32 v31, 1
	s_and_saveexec_b64 s[16:17], s[2:3]
	s_cbranch_execz .LBB232_132
; %bb.129:                              ;   in Loop: Header=BB232_121 Depth=1
	v_and_b32_e32 v33, 0x7f, v1
	v_cmp_ne_u32_e64 s[2:3], s35, v33
	v_mov_b32_e32 v31, 0x7c010000
	s_and_saveexec_b64 s[18:19], s[2:3]
	s_cbranch_execz .LBB232_131
; %bb.130:                              ;   in Loop: Header=BB232_121 Depth=1
	v_and_b32_e32 v31, 7, v1
	v_ffbh_u32_e32 v34, v31
	v_min_u32_e32 v37, 32, v34
	v_subrev_u32_e32 v34, 28, v37
	v_lshlrev_b64 v[34:35], v34, v[1:2]
	v_lshrrev_b32_e32 v36, 3, v33
	v_sub_u32_e32 v35, 29, v37
	v_cmp_gt_u32_e64 s[2:3], 8, v33
	v_cndmask_b32_e64 v33, v36, v35, s[2:3]
	v_lshlrev_b32_e32 v1, 8, v1
	v_lshl_add_u32 v33, v33, 10, v20
	v_and_b32_e32 v34, 7, v34
	v_and_or_b32 v1, v1, s36, v33
	v_cndmask_b32_e64 v31, v31, v34, s[2:3]
	v_lshlrev_b32_e32 v1, 16, v1
	v_lshl_or_b32 v31, v31, 23, v1
.LBB232_131:                            ;   in Loop: Header=BB232_121 Depth=1
	s_or_b64 exec, exec, s[18:19]
.LBB232_132:                            ;   in Loop: Header=BB232_121 Depth=1
	s_or_b64 exec, exec, s[16:17]
.LBB232_133:                            ;   in Loop: Header=BB232_121 Depth=1
	s_or_b64 exec, exec, s[4:5]
	v_lshrrev_b32_e32 v1, 16, v9
	v_cmp_ne_u16_sdwa s[2:3], v1, v2 src0_sel:BYTE_0 src1_sel:DWORD
	s_and_saveexec_b64 s[4:5], s[2:3]
	s_cbranch_execz .LBB232_139
; %bb.134:                              ;   in Loop: Header=BB232_121 Depth=1
	v_cmp_ne_u16_sdwa s[2:3], v1, s31 src0_sel:BYTE_0 src1_sel:DWORD
	v_mov_b32_e32 v32, 0x8000
	s_and_saveexec_b64 s[16:17], s[2:3]
	s_cbranch_execz .LBB232_138
; %bb.135:                              ;   in Loop: Header=BB232_121 Depth=1
	v_bfe_u32 v33, v9, 16, 7
	v_cmp_ne_u32_e64 s[2:3], s35, v33
	v_mov_b32_e32 v32, 0x7c01
	s_and_saveexec_b64 s[18:19], s[2:3]
	s_cbranch_execz .LBB232_137
; %bb.136:                              ;   in Loop: Header=BB232_121 Depth=1
	v_and_b32_e32 v32, 7, v1
	v_ffbh_u32_e32 v34, v32
	v_min_u32_e32 v37, 32, v34
	v_subrev_u32_e32 v34, 28, v37
	v_lshlrev_b64 v[34:35], v34, v[1:2]
	v_lshrrev_b32_e32 v36, 3, v33
	v_sub_u32_e32 v35, 29, v37
	v_cmp_gt_u32_e64 s[2:3], 8, v33
	v_cndmask_b32_e64 v33, v36, v35, s[2:3]
	v_lshl_add_u32 v33, v33, 10, v20
	v_lshlrev_b32_e32 v1, 8, v1
	v_and_b32_e32 v34, 7, v34
	v_and_b32_e32 v33, 0xfc00, v33
	v_cndmask_b32_e64 v32, v32, v34, s[2:3]
	v_and_or_b32 v1, v1, s36, v33
	v_lshl_or_b32 v32, v32, 7, v1
.LBB232_137:                            ;   in Loop: Header=BB232_121 Depth=1
	s_or_b64 exec, exec, s[18:19]
.LBB232_138:                            ;   in Loop: Header=BB232_121 Depth=1
	s_or_b64 exec, exec, s[16:17]
.LBB232_139:                            ;   in Loop: Header=BB232_121 Depth=1
	s_or_b64 exec, exec, s[4:5]
	v_cmp_lt_u32_e64 s[2:3], s11, v9
	v_mov_b32_e32 v33, 0
	v_mov_b32_e32 v34, 0
	s_and_saveexec_b64 s[4:5], s[2:3]
	s_cbranch_execz .LBB232_145
; %bb.140:                              ;   in Loop: Header=BB232_121 Depth=1
	v_lshrrev_b32_e32 v1, 24, v9
	v_cmp_ne_u32_e64 s[2:3], s31, v1
	v_bfrev_b32_e32 v34, 1
	s_and_saveexec_b64 s[16:17], s[2:3]
	s_cbranch_execz .LBB232_144
; %bb.141:                              ;   in Loop: Header=BB232_121 Depth=1
	v_and_b32_e32 v35, 0x7f, v1
	v_cmp_ne_u32_e64 s[2:3], s35, v35
	v_mov_b32_e32 v34, 0x7c010000
	s_and_saveexec_b64 s[18:19], s[2:3]
	s_cbranch_execz .LBB232_143
; %bb.142:                              ;   in Loop: Header=BB232_121 Depth=1
	v_and_b32_e32 v34, 7, v1
	v_ffbh_u32_e32 v36, v34
	v_min_u32_e32 v39, 32, v36
	v_subrev_u32_e32 v36, 28, v39
	v_lshlrev_b64 v[36:37], v36, v[1:2]
	v_lshrrev_b32_e32 v38, 3, v35
	v_sub_u32_e32 v37, 29, v39
	v_cmp_gt_u32_e64 s[2:3], 8, v35
	v_cndmask_b32_e64 v35, v38, v37, s[2:3]
	v_lshlrev_b32_e32 v1, 8, v1
	v_lshl_add_u32 v35, v35, 10, v20
	v_and_b32_e32 v36, 7, v36
	v_and_or_b32 v1, v1, s36, v35
	v_cndmask_b32_e64 v34, v34, v36, s[2:3]
	v_lshlrev_b32_e32 v1, 16, v1
	v_lshl_or_b32 v34, v34, 23, v1
.LBB232_143:                            ;   in Loop: Header=BB232_121 Depth=1
	s_or_b64 exec, exec, s[18:19]
.LBB232_144:                            ;   in Loop: Header=BB232_121 Depth=1
	s_or_b64 exec, exec, s[16:17]
.LBB232_145:                            ;   in Loop: Header=BB232_121 Depth=1
	s_or_b64 exec, exec, s[4:5]
	v_mov_b32_e32 v1, v10
	v_cmp_ne_u16_sdwa s[2:3], v10, v2 src0_sel:BYTE_0 src1_sel:DWORD
	s_and_saveexec_b64 s[4:5], s[2:3]
	s_cbranch_execz .LBB232_151
; %bb.146:                              ;   in Loop: Header=BB232_121 Depth=1
	v_cmp_ne_u16_sdwa s[2:3], v10, s31 src0_sel:BYTE_0 src1_sel:DWORD
	v_mov_b32_e32 v33, 0x8000
	s_and_saveexec_b64 s[16:17], s[2:3]
	s_cbranch_execz .LBB232_150
; %bb.147:                              ;   in Loop: Header=BB232_121 Depth=1
	v_and_b32_e32 v35, 0x7f, v10
	v_cmp_ne_u32_e64 s[2:3], s35, v35
	v_mov_b32_e32 v33, 0x7c01
	s_and_saveexec_b64 s[18:19], s[2:3]
	s_cbranch_execz .LBB232_149
; %bb.148:                              ;   in Loop: Header=BB232_121 Depth=1
	v_and_b32_e32 v33, 7, v10
	v_ffbh_u32_e32 v36, v33
	v_min_u32_e32 v39, 32, v36
	v_subrev_u32_e32 v36, 28, v39
	v_lshlrev_b64 v[36:37], v36, v[1:2]
	v_lshrrev_b32_e32 v38, 3, v35
	v_sub_u32_e32 v37, 29, v39
	v_cmp_gt_u32_e64 s[2:3], 8, v35
	v_cndmask_b32_e64 v35, v38, v37, s[2:3]
	v_lshl_add_u32 v35, v35, 10, v20
	v_lshlrev_b32_e32 v37, 8, v10
	v_and_b32_e32 v36, 7, v36
	v_and_b32_e32 v35, 0xfc00, v35
	v_cndmask_b32_e64 v33, v33, v36, s[2:3]
	v_and_or_b32 v35, v37, s36, v35
	v_lshl_or_b32 v33, v33, 7, v35
.LBB232_149:                            ;   in Loop: Header=BB232_121 Depth=1
	s_or_b64 exec, exec, s[18:19]
.LBB232_150:                            ;   in Loop: Header=BB232_121 Depth=1
	s_or_b64 exec, exec, s[16:17]
.LBB232_151:                            ;   in Loop: Header=BB232_121 Depth=1
	s_or_b64 exec, exec, s[4:5]
	v_lshrrev_b16_e32 v1, 8, v1
	v_cmp_ne_u16_e64 s[2:3], 0, v1
	v_mov_b32_e32 v35, 0
	v_mov_b32_e32 v36, 0
	s_and_saveexec_b64 s[4:5], s[2:3]
	s_cbranch_execz .LBB232_157
; %bb.152:                              ;   in Loop: Header=BB232_121 Depth=1
	v_cmp_ne_u16_e64 s[2:3], s31, v1
	v_bfrev_b32_e32 v36, 1
	s_and_saveexec_b64 s[16:17], s[2:3]
	s_cbranch_execz .LBB232_156
; %bb.153:                              ;   in Loop: Header=BB232_121 Depth=1
	v_and_b32_e32 v37, 0x7f, v1
	v_cmp_ne_u32_e64 s[2:3], s35, v37
	v_mov_b32_e32 v36, 0x7c010000
	s_and_saveexec_b64 s[18:19], s[2:3]
	s_cbranch_execz .LBB232_155
; %bb.154:                              ;   in Loop: Header=BB232_121 Depth=1
	v_and_b32_e32 v36, 7, v1
	v_ffbh_u32_e32 v38, v36
	v_min_u32_e32 v41, 32, v38
	v_subrev_u32_e32 v38, 28, v41
	v_lshlrev_b64 v[38:39], v38, v[1:2]
	v_lshrrev_b32_e32 v40, 3, v37
	v_sub_u32_e32 v39, 29, v41
	v_cmp_gt_u32_e64 s[2:3], 8, v37
	v_cndmask_b32_e64 v37, v40, v39, s[2:3]
	v_lshlrev_b32_e32 v1, 8, v1
	v_lshl_add_u32 v37, v37, 10, v20
	v_and_b32_e32 v38, 7, v38
	v_and_or_b32 v1, v1, s36, v37
	v_cndmask_b32_e64 v36, v36, v38, s[2:3]
	v_lshlrev_b32_e32 v1, 16, v1
	v_lshl_or_b32 v36, v36, 23, v1
.LBB232_155:                            ;   in Loop: Header=BB232_121 Depth=1
	s_or_b64 exec, exec, s[18:19]
.LBB232_156:                            ;   in Loop: Header=BB232_121 Depth=1
	s_or_b64 exec, exec, s[16:17]
.LBB232_157:                            ;   in Loop: Header=BB232_121 Depth=1
	s_or_b64 exec, exec, s[4:5]
	v_lshrrev_b32_e32 v1, 16, v10
	v_cmp_ne_u16_sdwa s[2:3], v1, v2 src0_sel:BYTE_0 src1_sel:DWORD
	s_and_saveexec_b64 s[4:5], s[2:3]
	s_cbranch_execz .LBB232_163
; %bb.158:                              ;   in Loop: Header=BB232_121 Depth=1
	v_cmp_ne_u16_sdwa s[2:3], v1, s31 src0_sel:BYTE_0 src1_sel:DWORD
	v_mov_b32_e32 v35, 0x8000
	s_and_saveexec_b64 s[16:17], s[2:3]
	s_cbranch_execz .LBB232_162
; %bb.159:                              ;   in Loop: Header=BB232_121 Depth=1
	v_bfe_u32 v37, v10, 16, 7
	v_cmp_ne_u32_e64 s[2:3], s35, v37
	v_mov_b32_e32 v35, 0x7c01
	s_and_saveexec_b64 s[18:19], s[2:3]
	s_cbranch_execz .LBB232_161
; %bb.160:                              ;   in Loop: Header=BB232_121 Depth=1
	v_and_b32_e32 v35, 7, v1
	v_ffbh_u32_e32 v38, v35
	v_min_u32_e32 v41, 32, v38
	v_subrev_u32_e32 v38, 28, v41
	v_lshlrev_b64 v[38:39], v38, v[1:2]
	v_lshrrev_b32_e32 v40, 3, v37
	v_sub_u32_e32 v39, 29, v41
	v_cmp_gt_u32_e64 s[2:3], 8, v37
	v_cndmask_b32_e64 v37, v40, v39, s[2:3]
	v_lshl_add_u32 v37, v37, 10, v20
	v_lshlrev_b32_e32 v1, 8, v1
	v_and_b32_e32 v38, 7, v38
	v_and_b32_e32 v37, 0xfc00, v37
	v_cndmask_b32_e64 v35, v35, v38, s[2:3]
	v_and_or_b32 v1, v1, s36, v37
	v_lshl_or_b32 v35, v35, 7, v1
.LBB232_161:                            ;   in Loop: Header=BB232_121 Depth=1
	s_or_b64 exec, exec, s[18:19]
.LBB232_162:                            ;   in Loop: Header=BB232_121 Depth=1
	s_or_b64 exec, exec, s[16:17]
.LBB232_163:                            ;   in Loop: Header=BB232_121 Depth=1
	s_or_b64 exec, exec, s[4:5]
	v_cmp_lt_u64_e64 s[2:3], s[10:11], v[9:10]
	v_mov_b32_e32 v37, 0
	s_and_saveexec_b64 s[4:5], s[2:3]
	s_cbranch_execz .LBB232_169
; %bb.164:                              ;   in Loop: Header=BB232_121 Depth=1
	v_lshrrev_b32_e32 v1, 24, v10
	v_cmp_ne_u32_e64 s[2:3], s31, v1
	v_bfrev_b32_e32 v37, 1
	s_and_saveexec_b64 s[16:17], s[2:3]
	s_cbranch_execz .LBB232_168
; %bb.165:                              ;   in Loop: Header=BB232_121 Depth=1
	v_and_b32_e32 v9, 0x7f, v1
	v_cmp_ne_u32_e64 s[2:3], s35, v9
	v_mov_b32_e32 v37, 0x7c010000
	s_and_saveexec_b64 s[18:19], s[2:3]
	s_cbranch_execz .LBB232_167
; %bb.166:                              ;   in Loop: Header=BB232_121 Depth=1
	v_and_b32_e32 v10, 7, v1
	v_ffbh_u32_e32 v37, v10
	v_min_u32_e32 v40, 32, v37
	v_subrev_u32_e32 v37, 28, v40
	v_lshlrev_b64 v[37:38], v37, v[1:2]
	v_lshrrev_b32_e32 v39, 3, v9
	v_sub_u32_e32 v38, 29, v40
	v_cmp_gt_u32_e64 s[2:3], 8, v9
	v_cndmask_b32_e64 v9, v39, v38, s[2:3]
	v_lshlrev_b32_e32 v1, 8, v1
	v_lshl_add_u32 v9, v9, 10, v20
	v_and_b32_e32 v37, 7, v37
	v_and_or_b32 v1, v1, s36, v9
	v_cndmask_b32_e64 v10, v10, v37, s[2:3]
	v_lshlrev_b32_e32 v1, 16, v1
	v_lshl_or_b32 v37, v10, 23, v1
.LBB232_167:                            ;   in Loop: Header=BB232_121 Depth=1
	s_or_b64 exec, exec, s[18:19]
.LBB232_168:                            ;   in Loop: Header=BB232_121 Depth=1
	s_or_b64 exec, exec, s[16:17]
.LBB232_169:                            ;   in Loop: Header=BB232_121 Depth=1
	s_or_b64 exec, exec, s[4:5]
	s_waitcnt vmcnt(0)
	v_fma_mixlo_f16 v10, v25, v34, 0 op_sel:[0,1,0] op_sel_hi:[0,1,0]
	v_or_b32_e32 v1, v34, v32
	v_lshlrev_b32_e32 v32, 16, v10
	v_or_b32_e32 v10, v31, v30
	v_fma_mixlo_f16 v30, v25, v31, 0 op_sel:[0,1,0] op_sel_hi:[0,1,0]
	v_lshlrev_b32_e32 v38, 16, v30
	v_or_b32_e32 v30, v36, v33
	v_or_b32_e32 v33, v37, v35
	v_fma_mixlo_f16 v1, v25, v1, 0 op_sel_hi:[0,1,0]
	v_fma_mixlo_f16 v10, v25, v10, 0 op_sel_hi:[0,1,0]
	v_fma_mixlo_f16 v31, v25, v36, 0 op_sel:[0,1,0] op_sel_hi:[0,1,0]
	v_fma_mixlo_f16 v30, v25, v30, 0 op_sel_hi:[0,1,0]
	v_fma_mixlo_f16 v33, v25, v33, 0 op_sel_hi:[0,1,0]
	v_fma_mixlo_f16 v25, v25, v37, 0 op_sel:[0,1,0] op_sel_hi:[0,1,0]
	v_and_b32_e32 v34, 0xffff, v1
	v_and_b32_e32 v39, 0xffff, v10
	v_lshlrev_b32_e32 v31, 16, v31
	v_and_b32_e32 v36, 0xffff, v30
	v_lshlrev_b32_e32 v25, 16, v25
	v_and_b32_e32 v33, 0xffff, v33
	v_add_u32_e32 v9, -7, v18
	v_cmp_eq_u32_e64 s[2:3], s30, v12
	v_or_b32_e32 v1, v32, v34
	v_or_b32_e32 v10, v38, v39
	;; [unrolled: 1-line block ×4, first 2 shown]
	s_and_saveexec_b64 s[16:17], s[2:3]
	s_cbranch_execz .LBB232_171
; %bb.170:                              ;   in Loop: Header=BB232_121 Depth=1
	v_cmp_gt_i32_e64 s[4:5], s21, v9
	v_add_u32_e32 v10, -6, v18
	v_cndmask_b32_e64 v1, 0, v39, s[4:5]
	v_cmp_gt_i32_e64 s[4:5], s21, v10
	v_cndmask_b32_e64 v10, 0, v38, s[4:5]
	v_or_b32_e32 v10, v10, v1
	v_add_u32_e32 v1, -5, v18
	v_cmp_gt_i32_e64 s[4:5], s21, v1
	v_add_u32_e32 v30, -4, v18
	v_cndmask_b32_e64 v1, 0, v34, s[4:5]
	v_cmp_gt_i32_e64 s[4:5], s21, v30
	v_cndmask_b32_e64 v30, 0, v32, s[4:5]
	v_or_b32_e32 v1, v30, v1
	v_add_u32_e32 v30, -3, v18
	;; [unrolled: 7-line block ×3, first 2 shown]
	v_cmp_gt_i32_e64 s[4:5], s21, v31
	v_cndmask_b32_e64 v31, 0, v33, s[4:5]
	v_cmp_gt_i32_e64 s[4:5], s21, v18
	v_cndmask_b32_e64 v25, 0, v25, s[4:5]
	v_or_b32_e32 v35, v25, v31
.LBB232_171:                            ;   in Loop: Header=BB232_121 Depth=1
	s_or_b64 exec, exec, s[16:17]
	v_and_b32_e32 v21, 0xffff, v21
	v_lshl_or_b32 v25, v22, 16, v21
	v_and_b32_e32 v21, 0xffff, v23
	v_lshl_or_b32 v24, v24, 16, v21
	;; [unrolled: 2-line block ×3, first 2 shown]
	v_and_b32_e32 v21, 0xffff, v28
	;;#ASMSTART
	v_pk_mul_f16 v10, v25, v10;

	;;#ASMEND
	;;#ASMSTART
	v_pk_mul_f16 v1, v24, v1;

	;;#ASMEND
	v_lshl_or_b32 v22, v29, 16, v21
	;;#ASMSTART
	v_pk_mul_f16 v21, v23, v30;

	;;#ASMEND
	;;#ASMSTART
	v_pk_mul_f16 v26, v22, v35;

	;;#ASMEND
	;;#ASMSTART
	v_pk_add_f16 v1, v10, v1;

	;;#ASMEND
	;;#ASMSTART
	v_pk_add_f16 v1, v1, v21;
	;; [unrolled: 4-line block ×3, first 2 shown]

	;;#ASMEND
	v_lshrrev_b32_e32 v21, 16, v1
	v_and_b32_e32 v1, 0xffff, v1
	;;#ASMSTART
	v_cvt_f32_f16 v10, v1;
	;;#ASMEND
	;;#ASMSTART
	v_cvt_f32_f16 v21, v21;
	;;#ASMEND
	s_and_saveexec_b64 s[16:17], vcc
	s_cbranch_execz .LBB232_120
; %bb.172:                              ;   in Loop: Header=BB232_121 Depth=1
	v_add_co_u32_e64 v7, s[4:5], v7, v17
	v_addc_co_u32_e64 v8, s[4:5], 0, v8, s[4:5]
	global_load_dwordx2 v[7:8], v[7:8], off
	v_mov_b32_e32 v27, 0
	global_load_dword v26, v27, s[14:15]
	v_mov_b32_e32 v28, 0
	s_waitcnt vmcnt(1)
	v_cmp_ne_u16_sdwa s[4:5], v7, v2 src0_sel:BYTE_0 src1_sel:DWORD
	s_and_saveexec_b64 s[18:19], s[4:5]
	s_cbranch_execz .LBB232_178
; %bb.173:                              ;   in Loop: Header=BB232_121 Depth=1
	v_cmp_ne_u16_sdwa s[4:5], v7, s31 src0_sel:BYTE_0 src1_sel:DWORD
	v_mov_b32_e32 v28, 0x8000
	s_and_saveexec_b64 s[26:27], s[4:5]
	s_cbranch_execz .LBB232_177
; %bb.174:                              ;   in Loop: Header=BB232_121 Depth=1
	v_and_b32_e32 v1, 0x7f, v7
	v_cmp_ne_u32_e64 s[4:5], s35, v1
	v_mov_b32_e32 v28, 0x7c01
	s_and_saveexec_b64 s[28:29], s[4:5]
	s_cbranch_execz .LBB232_176
; %bb.175:                              ;   in Loop: Header=BB232_121 Depth=1
	v_and_b32_e32 v30, 7, v7
	v_ffbh_u32_e32 v28, v30
	v_min_u32_e32 v32, 32, v28
	v_subrev_u32_e32 v28, 28, v32
	v_lshlrev_b64 v[28:29], v28, v[7:8]
	v_lshrrev_b32_e32 v31, 3, v1
	v_sub_u32_e32 v29, 29, v32
	v_cmp_gt_u32_e64 s[4:5], 8, v1
	v_cndmask_b32_e64 v1, v31, v29, s[4:5]
	v_lshl_add_u32 v1, v1, 10, v20
	v_lshlrev_b32_e32 v29, 8, v7
	v_and_b32_e32 v28, 7, v28
	v_and_b32_e32 v1, 0xfc00, v1
	v_cndmask_b32_e64 v28, v30, v28, s[4:5]
	v_and_or_b32 v1, v29, s36, v1
	v_lshl_or_b32 v28, v28, 7, v1
.LBB232_176:                            ;   in Loop: Header=BB232_121 Depth=1
	s_or_b64 exec, exec, s[28:29]
.LBB232_177:                            ;   in Loop: Header=BB232_121 Depth=1
	s_or_b64 exec, exec, s[26:27]
.LBB232_178:                            ;   in Loop: Header=BB232_121 Depth=1
	s_or_b64 exec, exec, s[18:19]
	v_lshrrev_b16_e32 v1, 8, v7
	v_cmp_ne_u16_e64 s[4:5], 0, v1
	s_and_saveexec_b64 s[18:19], s[4:5]
	s_cbranch_execz .LBB232_184
; %bb.179:                              ;   in Loop: Header=BB232_121 Depth=1
	v_cmp_ne_u16_e64 s[4:5], s31, v1
	v_bfrev_b32_e32 v27, 1
	s_and_saveexec_b64 s[26:27], s[4:5]
	s_cbranch_execz .LBB232_183
; %bb.180:                              ;   in Loop: Header=BB232_121 Depth=1
	v_and_b32_e32 v29, 0x7f, v1
	v_cmp_ne_u32_e64 s[4:5], s35, v29
	v_mov_b32_e32 v27, 0x7c010000
	s_and_saveexec_b64 s[28:29], s[4:5]
	s_cbranch_execz .LBB232_182
; %bb.181:                              ;   in Loop: Header=BB232_121 Depth=1
	v_and_b32_e32 v27, 7, v1
	v_ffbh_u32_e32 v30, v27
	v_min_u32_e32 v33, 32, v30
	v_subrev_u32_e32 v30, 28, v33
	v_lshlrev_b64 v[30:31], v30, v[1:2]
	v_lshrrev_b32_e32 v32, 3, v29
	v_sub_u32_e32 v31, 29, v33
	v_cmp_gt_u32_e64 s[4:5], 8, v29
	v_cndmask_b32_e64 v29, v32, v31, s[4:5]
	v_lshlrev_b32_e32 v1, 8, v1
	v_lshl_add_u32 v29, v29, 10, v20
	v_and_b32_e32 v30, 7, v30
	v_and_or_b32 v1, v1, s36, v29
	v_cndmask_b32_e64 v27, v27, v30, s[4:5]
	v_lshlrev_b32_e32 v1, 16, v1
	v_lshl_or_b32 v27, v27, 23, v1
.LBB232_182:                            ;   in Loop: Header=BB232_121 Depth=1
	s_or_b64 exec, exec, s[28:29]
.LBB232_183:                            ;   in Loop: Header=BB232_121 Depth=1
	s_or_b64 exec, exec, s[26:27]
.LBB232_184:                            ;   in Loop: Header=BB232_121 Depth=1
	s_or_b64 exec, exec, s[18:19]
	v_lshrrev_b32_e32 v1, 16, v7
	v_cmp_ne_u16_sdwa s[4:5], v1, v2 src0_sel:BYTE_0 src1_sel:DWORD
	v_mov_b32_e32 v29, 0
	v_mov_b32_e32 v30, 0
	s_and_saveexec_b64 s[18:19], s[4:5]
	s_cbranch_execz .LBB232_190
; %bb.185:                              ;   in Loop: Header=BB232_121 Depth=1
	v_cmp_ne_u16_sdwa s[4:5], v1, s31 src0_sel:BYTE_0 src1_sel:DWORD
	v_mov_b32_e32 v30, 0x8000
	s_and_saveexec_b64 s[26:27], s[4:5]
	s_cbranch_execz .LBB232_189
; %bb.186:                              ;   in Loop: Header=BB232_121 Depth=1
	v_bfe_u32 v31, v7, 16, 7
	v_cmp_ne_u32_e64 s[4:5], s35, v31
	v_mov_b32_e32 v30, 0x7c01
	s_and_saveexec_b64 s[28:29], s[4:5]
	s_cbranch_execz .LBB232_188
; %bb.187:                              ;   in Loop: Header=BB232_121 Depth=1
	v_and_b32_e32 v30, 7, v1
	v_ffbh_u32_e32 v32, v30
	v_min_u32_e32 v35, 32, v32
	v_subrev_u32_e32 v32, 28, v35
	v_lshlrev_b64 v[32:33], v32, v[1:2]
	v_lshrrev_b32_e32 v34, 3, v31
	v_sub_u32_e32 v33, 29, v35
	v_cmp_gt_u32_e64 s[4:5], 8, v31
	v_cndmask_b32_e64 v31, v34, v33, s[4:5]
	v_lshl_add_u32 v31, v31, 10, v20
	v_lshlrev_b32_e32 v1, 8, v1
	v_and_b32_e32 v32, 7, v32
	v_and_b32_e32 v31, 0xfc00, v31
	v_cndmask_b32_e64 v30, v30, v32, s[4:5]
	v_and_or_b32 v1, v1, s36, v31
	v_lshl_or_b32 v30, v30, 7, v1
.LBB232_188:                            ;   in Loop: Header=BB232_121 Depth=1
	s_or_b64 exec, exec, s[28:29]
.LBB232_189:                            ;   in Loop: Header=BB232_121 Depth=1
	s_or_b64 exec, exec, s[26:27]
.LBB232_190:                            ;   in Loop: Header=BB232_121 Depth=1
	s_or_b64 exec, exec, s[18:19]
	v_cmp_lt_u32_e64 s[4:5], s11, v7
	s_and_saveexec_b64 s[18:19], s[4:5]
	s_cbranch_execz .LBB232_196
; %bb.191:                              ;   in Loop: Header=BB232_121 Depth=1
	v_lshrrev_b32_e32 v1, 24, v7
	v_cmp_ne_u32_e64 s[4:5], s31, v1
	v_bfrev_b32_e32 v29, 1
	s_and_saveexec_b64 s[26:27], s[4:5]
	s_cbranch_execz .LBB232_195
; %bb.192:                              ;   in Loop: Header=BB232_121 Depth=1
	v_and_b32_e32 v31, 0x7f, v1
	v_cmp_ne_u32_e64 s[4:5], s35, v31
	v_mov_b32_e32 v29, 0x7c010000
	s_and_saveexec_b64 s[28:29], s[4:5]
	s_cbranch_execz .LBB232_194
; %bb.193:                              ;   in Loop: Header=BB232_121 Depth=1
	v_and_b32_e32 v29, 7, v1
	v_ffbh_u32_e32 v32, v29
	v_min_u32_e32 v35, 32, v32
	v_subrev_u32_e32 v32, 28, v35
	v_lshlrev_b64 v[32:33], v32, v[1:2]
	v_lshrrev_b32_e32 v34, 3, v31
	v_sub_u32_e32 v33, 29, v35
	v_cmp_gt_u32_e64 s[4:5], 8, v31
	v_cndmask_b32_e64 v31, v34, v33, s[4:5]
	v_lshlrev_b32_e32 v1, 8, v1
	v_lshl_add_u32 v31, v31, 10, v20
	v_and_b32_e32 v32, 7, v32
	v_and_or_b32 v1, v1, s36, v31
	v_cndmask_b32_e64 v29, v29, v32, s[4:5]
	v_lshlrev_b32_e32 v1, 16, v1
	v_lshl_or_b32 v29, v29, 23, v1
.LBB232_194:                            ;   in Loop: Header=BB232_121 Depth=1
	s_or_b64 exec, exec, s[28:29]
.LBB232_195:                            ;   in Loop: Header=BB232_121 Depth=1
	s_or_b64 exec, exec, s[26:27]
.LBB232_196:                            ;   in Loop: Header=BB232_121 Depth=1
	s_or_b64 exec, exec, s[18:19]
	v_mov_b32_e32 v1, v8
	v_cmp_ne_u16_sdwa s[4:5], v8, v2 src0_sel:BYTE_0 src1_sel:DWORD
	v_mov_b32_e32 v31, 0
	v_mov_b32_e32 v32, 0
	s_and_saveexec_b64 s[18:19], s[4:5]
	s_cbranch_execz .LBB232_202
; %bb.197:                              ;   in Loop: Header=BB232_121 Depth=1
	v_cmp_ne_u16_sdwa s[4:5], v8, s31 src0_sel:BYTE_0 src1_sel:DWORD
	v_mov_b32_e32 v32, 0x8000
	s_and_saveexec_b64 s[26:27], s[4:5]
	s_cbranch_execz .LBB232_201
; %bb.198:                              ;   in Loop: Header=BB232_121 Depth=1
	v_and_b32_e32 v33, 0x7f, v8
	v_cmp_ne_u32_e64 s[4:5], s35, v33
	v_mov_b32_e32 v32, 0x7c01
	s_and_saveexec_b64 s[28:29], s[4:5]
	s_cbranch_execz .LBB232_200
; %bb.199:                              ;   in Loop: Header=BB232_121 Depth=1
	v_and_b32_e32 v32, 7, v8
	v_ffbh_u32_e32 v34, v32
	v_min_u32_e32 v37, 32, v34
	v_subrev_u32_e32 v34, 28, v37
	v_lshlrev_b64 v[34:35], v34, v[1:2]
	v_lshrrev_b32_e32 v36, 3, v33
	v_sub_u32_e32 v35, 29, v37
	v_cmp_gt_u32_e64 s[4:5], 8, v33
	v_cndmask_b32_e64 v33, v36, v35, s[4:5]
	v_lshl_add_u32 v33, v33, 10, v20
	v_lshlrev_b32_e32 v35, 8, v8
	v_and_b32_e32 v34, 7, v34
	v_and_b32_e32 v33, 0xfc00, v33
	v_cndmask_b32_e64 v32, v32, v34, s[4:5]
	v_and_or_b32 v33, v35, s36, v33
	v_lshl_or_b32 v32, v32, 7, v33
.LBB232_200:                            ;   in Loop: Header=BB232_121 Depth=1
	s_or_b64 exec, exec, s[28:29]
.LBB232_201:                            ;   in Loop: Header=BB232_121 Depth=1
	s_or_b64 exec, exec, s[26:27]
.LBB232_202:                            ;   in Loop: Header=BB232_121 Depth=1
	s_or_b64 exec, exec, s[18:19]
	v_lshrrev_b16_e32 v1, 8, v1
	v_cmp_ne_u16_e64 s[4:5], 0, v1
	v_mov_b32_e32 v33, 0
	s_and_saveexec_b64 s[18:19], s[4:5]
	s_cbranch_execz .LBB232_208
; %bb.203:                              ;   in Loop: Header=BB232_121 Depth=1
	v_cmp_ne_u16_e64 s[4:5], s31, v1
	v_bfrev_b32_e32 v33, 1
	s_and_saveexec_b64 s[26:27], s[4:5]
	s_cbranch_execz .LBB232_207
; %bb.204:                              ;   in Loop: Header=BB232_121 Depth=1
	v_and_b32_e32 v34, 0x7f, v1
	v_cmp_ne_u32_e64 s[4:5], s35, v34
	v_mov_b32_e32 v33, 0x7c010000
	s_and_saveexec_b64 s[28:29], s[4:5]
	s_cbranch_execz .LBB232_206
; %bb.205:                              ;   in Loop: Header=BB232_121 Depth=1
	v_and_b32_e32 v33, 7, v1
	v_ffbh_u32_e32 v35, v33
	v_min_u32_e32 v38, 32, v35
	v_subrev_u32_e32 v35, 28, v38
	v_lshlrev_b64 v[35:36], v35, v[1:2]
	v_lshrrev_b32_e32 v37, 3, v34
	v_sub_u32_e32 v36, 29, v38
	v_cmp_gt_u32_e64 s[4:5], 8, v34
	v_cndmask_b32_e64 v34, v37, v36, s[4:5]
	v_lshlrev_b32_e32 v1, 8, v1
	v_lshl_add_u32 v34, v34, 10, v20
	v_and_b32_e32 v35, 7, v35
	v_and_or_b32 v1, v1, s36, v34
	v_cndmask_b32_e64 v33, v33, v35, s[4:5]
	v_lshlrev_b32_e32 v1, 16, v1
	v_lshl_or_b32 v33, v33, 23, v1
.LBB232_206:                            ;   in Loop: Header=BB232_121 Depth=1
	s_or_b64 exec, exec, s[28:29]
.LBB232_207:                            ;   in Loop: Header=BB232_121 Depth=1
	s_or_b64 exec, exec, s[26:27]
.LBB232_208:                            ;   in Loop: Header=BB232_121 Depth=1
	s_or_b64 exec, exec, s[18:19]
	v_lshrrev_b32_e32 v1, 16, v8
	v_cmp_ne_u16_sdwa s[4:5], v1, v2 src0_sel:BYTE_0 src1_sel:DWORD
	s_and_saveexec_b64 s[18:19], s[4:5]
	s_cbranch_execz .LBB232_214
; %bb.209:                              ;   in Loop: Header=BB232_121 Depth=1
	v_cmp_ne_u16_sdwa s[4:5], v1, s31 src0_sel:BYTE_0 src1_sel:DWORD
	v_mov_b32_e32 v31, 0x8000
	s_and_saveexec_b64 s[26:27], s[4:5]
	s_cbranch_execz .LBB232_213
; %bb.210:                              ;   in Loop: Header=BB232_121 Depth=1
	v_bfe_u32 v34, v8, 16, 7
	v_cmp_ne_u32_e64 s[4:5], s35, v34
	v_mov_b32_e32 v31, 0x7c01
	s_and_saveexec_b64 s[28:29], s[4:5]
	s_cbranch_execz .LBB232_212
; %bb.211:                              ;   in Loop: Header=BB232_121 Depth=1
	v_and_b32_e32 v31, 7, v1
	v_ffbh_u32_e32 v35, v31
	v_min_u32_e32 v38, 32, v35
	v_subrev_u32_e32 v35, 28, v38
	v_lshlrev_b64 v[35:36], v35, v[1:2]
	v_lshrrev_b32_e32 v37, 3, v34
	v_sub_u32_e32 v36, 29, v38
	v_cmp_gt_u32_e64 s[4:5], 8, v34
	v_cndmask_b32_e64 v34, v37, v36, s[4:5]
	v_lshl_add_u32 v34, v34, 10, v20
	v_lshlrev_b32_e32 v1, 8, v1
	v_and_b32_e32 v35, 7, v35
	v_and_b32_e32 v34, 0xfc00, v34
	v_cndmask_b32_e64 v31, v31, v35, s[4:5]
	v_and_or_b32 v1, v1, s36, v34
	v_lshl_or_b32 v31, v31, 7, v1
.LBB232_212:                            ;   in Loop: Header=BB232_121 Depth=1
	s_or_b64 exec, exec, s[28:29]
.LBB232_213:                            ;   in Loop: Header=BB232_121 Depth=1
	s_or_b64 exec, exec, s[26:27]
.LBB232_214:                            ;   in Loop: Header=BB232_121 Depth=1
	s_or_b64 exec, exec, s[18:19]
	v_cmp_lt_u64_e64 s[4:5], s[10:11], v[7:8]
	v_mov_b32_e32 v34, 0
	s_and_saveexec_b64 s[18:19], s[4:5]
	s_cbranch_execz .LBB232_220
; %bb.215:                              ;   in Loop: Header=BB232_121 Depth=1
	v_lshrrev_b32_e32 v1, 24, v8
	v_cmp_ne_u32_e64 s[4:5], s31, v1
	v_bfrev_b32_e32 v34, 1
	s_and_saveexec_b64 s[26:27], s[4:5]
	s_cbranch_execz .LBB232_219
; %bb.216:                              ;   in Loop: Header=BB232_121 Depth=1
	v_and_b32_e32 v7, 0x7f, v1
	v_cmp_ne_u32_e64 s[4:5], s35, v7
	v_mov_b32_e32 v34, 0x7c010000
	s_and_saveexec_b64 s[28:29], s[4:5]
	s_cbranch_execz .LBB232_218
; %bb.217:                              ;   in Loop: Header=BB232_121 Depth=1
	v_and_b32_e32 v8, 7, v1
	v_ffbh_u32_e32 v34, v8
	v_min_u32_e32 v37, 32, v34
	v_subrev_u32_e32 v34, 28, v37
	v_lshlrev_b64 v[34:35], v34, v[1:2]
	v_lshrrev_b32_e32 v36, 3, v7
	v_sub_u32_e32 v35, 29, v37
	v_cmp_gt_u32_e64 s[4:5], 8, v7
	v_cndmask_b32_e64 v7, v36, v35, s[4:5]
	v_lshlrev_b32_e32 v1, 8, v1
	v_lshl_add_u32 v7, v7, 10, v20
	v_and_b32_e32 v34, 7, v34
	v_and_or_b32 v1, v1, s36, v7
	v_cndmask_b32_e64 v8, v8, v34, s[4:5]
	v_lshlrev_b32_e32 v1, 16, v1
	v_lshl_or_b32 v34, v8, 23, v1
.LBB232_218:                            ;   in Loop: Header=BB232_121 Depth=1
	s_or_b64 exec, exec, s[28:29]
.LBB232_219:                            ;   in Loop: Header=BB232_121 Depth=1
	s_or_b64 exec, exec, s[26:27]
.LBB232_220:                            ;   in Loop: Header=BB232_121 Depth=1
	s_or_b64 exec, exec, s[18:19]
	s_waitcnt vmcnt(0)
	v_fma_mixlo_f16 v7, v26, v29, 0 op_sel:[0,1,0] op_sel_hi:[0,1,0]
	v_lshlrev_b32_e32 v8, 16, v7
	v_or_b32_e32 v7, v27, v28
	v_fma_mixlo_f16 v27, v26, v27, 0 op_sel:[0,1,0] op_sel_hi:[0,1,0]
	v_or_b32_e32 v1, v29, v30
	v_lshlrev_b32_e32 v35, 16, v27
	v_or_b32_e32 v27, v33, v32
	v_or_b32_e32 v30, v34, v31
	v_fma_mixlo_f16 v1, v26, v1, 0 op_sel_hi:[0,1,0]
	v_fma_mixlo_f16 v7, v26, v7, 0 op_sel_hi:[0,1,0]
	v_fma_mixlo_f16 v28, v26, v33, 0 op_sel:[0,1,0] op_sel_hi:[0,1,0]
	v_fma_mixlo_f16 v27, v26, v27, 0 op_sel_hi:[0,1,0]
	v_fma_mixlo_f16 v30, v26, v30, 0 op_sel_hi:[0,1,0]
	v_fma_mixlo_f16 v26, v26, v34, 0 op_sel:[0,1,0] op_sel_hi:[0,1,0]
	v_and_b32_e32 v29, 0xffff, v1
	v_and_b32_e32 v36, 0xffff, v7
	v_lshlrev_b32_e32 v28, 16, v28
	v_and_b32_e32 v32, 0xffff, v27
	v_lshlrev_b32_e32 v26, 16, v26
	v_and_b32_e32 v30, 0xffff, v30
	v_or_b32_e32 v1, v8, v29
	v_or_b32_e32 v7, v35, v36
	;; [unrolled: 1-line block ×4, first 2 shown]
	s_and_saveexec_b64 s[4:5], s[2:3]
	s_cbranch_execz .LBB232_119
; %bb.221:                              ;   in Loop: Header=BB232_121 Depth=1
	v_cmp_gt_i32_e64 s[2:3], s21, v9
	v_add_u32_e32 v7, -6, v18
	v_cndmask_b32_e64 v1, 0, v36, s[2:3]
	v_cmp_gt_i32_e64 s[2:3], s21, v7
	v_cndmask_b32_e64 v7, 0, v35, s[2:3]
	v_or_b32_e32 v7, v7, v1
	v_add_u32_e32 v1, -5, v18
	v_cmp_gt_i32_e64 s[2:3], s21, v1
	v_add_u32_e32 v9, -4, v18
	v_cndmask_b32_e64 v1, 0, v29, s[2:3]
	v_cmp_gt_i32_e64 s[2:3], s21, v9
	v_cndmask_b32_e64 v8, 0, v8, s[2:3]
	v_or_b32_e32 v1, v8, v1
	v_add_u32_e32 v8, -3, v18
	v_cmp_gt_i32_e64 s[2:3], s21, v8
	v_add_u32_e32 v9, -2, v18
	v_cndmask_b32_e64 v8, 0, v32, s[2:3]
	v_cmp_gt_i32_e64 s[2:3], s21, v9
	v_cndmask_b32_e64 v9, 0, v28, s[2:3]
	v_or_b32_e32 v27, v9, v8
	v_add_u32_e32 v8, -1, v18
	v_cmp_gt_i32_e64 s[2:3], s21, v8
	v_cndmask_b32_e64 v8, 0, v30, s[2:3]
	v_cmp_gt_i32_e64 s[2:3], s21, v18
	v_cndmask_b32_e64 v9, 0, v26, s[2:3]
	v_or_b32_e32 v31, v9, v8
	s_branch .LBB232_119
.LBB232_222:
	s_or_b64 exec, exec, s[12:13]
.LBB232_223:
	s_or_b64 exec, exec, s[6:7]
	v_and_b32_e32 v1, 0x3c0, v0
	v_cmp_eq_u32_e32 vcc, 64, v1
	s_barrier
	s_and_saveexec_b64 s[2:3], vcc
	s_cbranch_execz .LBB232_226
; %bb.224:
	v_mov_b32_e32 v1, 0x100
	v_lshl_add_u32 v2, v13, 2, v1
	ds_write_b32 v2, v15
	s_and_b64 exec, exec, s[0:1]
; %bb.225:
	v_lshl_add_u32 v1, v0, 2, v1
	ds_write_b32 v1, v14
.LBB232_226:
	s_or_b64 exec, exec, s[2:3]
	v_cmp_gt_u32_e32 vcc, 64, v0
	v_or_b32_e32 v1, 64, v0
	s_waitcnt lgkmcnt(0)
	s_barrier
	s_and_saveexec_b64 s[2:3], vcc
	s_cbranch_execz .LBB232_230
; %bb.227:
	v_mov_b32_e32 v2, 0x100
	v_lshl_add_u32 v2, v0, 2, v2
	ds_read_b32 v0, v2
	s_movk_i32 s0, 0x78
	v_cmp_gt_u32_e64 s[0:1], s0, v1
	s_and_saveexec_b64 s[4:5], s[0:1]
	s_cbranch_execz .LBB232_229
; %bb.228:
	ds_read_b32 v2, v2 offset:256
	s_waitcnt lgkmcnt(0)
	v_add_f32_e32 v14, v14, v2
.LBB232_229:
	s_or_b64 exec, exec, s[4:5]
	s_waitcnt lgkmcnt(0)
	v_add_f32_e32 v15, v15, v0
.LBB232_230:
	s_or_b64 exec, exec, s[2:3]
	s_barrier
	s_and_saveexec_b64 s[0:1], vcc
	s_cbranch_execz .LBB232_233
; %bb.231:
	s_mul_i32 s0, s20, s23
	s_mul_i32 s0, s0, s9
	s_mulk_i32 s0, 0x78
	s_ashr_i32 s1, s0, 31
	s_lshl_b64 s[0:1], s[0:1], 1
	s_add_u32 s3, s24, s0
	s_mul_i32 s0, s23, s22
	s_addc_u32 s4, s25, s1
	s_ashr_i32 s1, s0, 31
	s_lshl_b64 s[0:1], s[0:1], 1
	s_add_u32 s3, s3, s0
	s_mul_i32 s0, s8, 0x78
	s_addc_u32 s4, s4, s1
	s_ashr_i32 s1, s0, 31
	s_lshl_b64 s[0:1], s[0:1], 1
	s_movk_i32 s2, 0x78
	s_add_u32 s0, s3, s0
	s_addc_u32 s1, s4, s1
	v_cmp_gt_u32_e32 vcc, s2, v1
	;;#ASMSTART
	v_cvt_f16_f32 v0, v15;

	;;#ASMEND
	global_store_short v11, v0, s[0:1]
	s_and_b64 exec, exec, vcc
	s_cbranch_execz .LBB232_233
; %bb.232:
	v_mov_b32_e32 v1, s1
	v_add_co_u32_e32 v0, vcc, s0, v11
	v_addc_co_u32_e32 v1, vcc, 0, v1, vcc
	;;#ASMSTART
	v_cvt_f16_f32 v2, v14;

	;;#ASMEND
	global_store_short v[0:1], v2, off offset:128
.LBB232_233:
	s_endpgm
	.section	.rodata,"a",@progbits
	.p2align	6, 0x0
	.amdhsa_kernel _ZN4vllm25paged_attention_v1_kernelIthLi120ELi8ELi128ELNS_18Fp8KVCacheDataTypeE1ELb0EEEvPT_PKS2_PKT0_S8_ifPKiSA_iPKfiiiSC_SC_iiiii
		.amdhsa_group_segment_fixed_size 256
		.amdhsa_private_segment_fixed_size 0
		.amdhsa_kernarg_size 384
		.amdhsa_user_sgpr_count 6
		.amdhsa_user_sgpr_private_segment_buffer 1
		.amdhsa_user_sgpr_dispatch_ptr 0
		.amdhsa_user_sgpr_queue_ptr 0
		.amdhsa_user_sgpr_kernarg_segment_ptr 1
		.amdhsa_user_sgpr_dispatch_id 0
		.amdhsa_user_sgpr_flat_scratch_init 0
		.amdhsa_user_sgpr_private_segment_size 0
		.amdhsa_uses_dynamic_stack 0
		.amdhsa_system_sgpr_private_segment_wavefront_offset 0
		.amdhsa_system_sgpr_workgroup_id_x 1
		.amdhsa_system_sgpr_workgroup_id_y 1
		.amdhsa_system_sgpr_workgroup_id_z 1
		.amdhsa_system_sgpr_workgroup_info 0
		.amdhsa_system_vgpr_workitem_id 0
		.amdhsa_next_free_vgpr 44
		.amdhsa_next_free_sgpr 46
		.amdhsa_reserve_vcc 1
		.amdhsa_reserve_flat_scratch 0
		.amdhsa_float_round_mode_32 0
		.amdhsa_float_round_mode_16_64 0
		.amdhsa_float_denorm_mode_32 3
		.amdhsa_float_denorm_mode_16_64 3
		.amdhsa_dx10_clamp 1
		.amdhsa_ieee_mode 1
		.amdhsa_fp16_overflow 0
		.amdhsa_exception_fp_ieee_invalid_op 0
		.amdhsa_exception_fp_denorm_src 0
		.amdhsa_exception_fp_ieee_div_zero 0
		.amdhsa_exception_fp_ieee_overflow 0
		.amdhsa_exception_fp_ieee_underflow 0
		.amdhsa_exception_fp_ieee_inexact 0
		.amdhsa_exception_int_div_zero 0
	.end_amdhsa_kernel
	.section	.text._ZN4vllm25paged_attention_v1_kernelIthLi120ELi8ELi128ELNS_18Fp8KVCacheDataTypeE1ELb0EEEvPT_PKS2_PKT0_S8_ifPKiSA_iPKfiiiSC_SC_iiiii,"axG",@progbits,_ZN4vllm25paged_attention_v1_kernelIthLi120ELi8ELi128ELNS_18Fp8KVCacheDataTypeE1ELb0EEEvPT_PKS2_PKT0_S8_ifPKiSA_iPKfiiiSC_SC_iiiii,comdat
.Lfunc_end232:
	.size	_ZN4vllm25paged_attention_v1_kernelIthLi120ELi8ELi128ELNS_18Fp8KVCacheDataTypeE1ELb0EEEvPT_PKS2_PKT0_S8_ifPKiSA_iPKfiiiSC_SC_iiiii, .Lfunc_end232-_ZN4vllm25paged_attention_v1_kernelIthLi120ELi8ELi128ELNS_18Fp8KVCacheDataTypeE1ELb0EEEvPT_PKS2_PKT0_S8_ifPKiSA_iPKfiiiSC_SC_iiiii
                                        ; -- End function
	.set _ZN4vllm25paged_attention_v1_kernelIthLi120ELi8ELi128ELNS_18Fp8KVCacheDataTypeE1ELb0EEEvPT_PKS2_PKT0_S8_ifPKiSA_iPKfiiiSC_SC_iiiii.num_vgpr, 44
	.set _ZN4vllm25paged_attention_v1_kernelIthLi120ELi8ELi128ELNS_18Fp8KVCacheDataTypeE1ELb0EEEvPT_PKS2_PKT0_S8_ifPKiSA_iPKfiiiSC_SC_iiiii.num_agpr, 0
	.set _ZN4vllm25paged_attention_v1_kernelIthLi120ELi8ELi128ELNS_18Fp8KVCacheDataTypeE1ELb0EEEvPT_PKS2_PKT0_S8_ifPKiSA_iPKfiiiSC_SC_iiiii.numbered_sgpr, 46
	.set _ZN4vllm25paged_attention_v1_kernelIthLi120ELi8ELi128ELNS_18Fp8KVCacheDataTypeE1ELb0EEEvPT_PKS2_PKT0_S8_ifPKiSA_iPKfiiiSC_SC_iiiii.num_named_barrier, 0
	.set _ZN4vllm25paged_attention_v1_kernelIthLi120ELi8ELi128ELNS_18Fp8KVCacheDataTypeE1ELb0EEEvPT_PKS2_PKT0_S8_ifPKiSA_iPKfiiiSC_SC_iiiii.private_seg_size, 0
	.set _ZN4vllm25paged_attention_v1_kernelIthLi120ELi8ELi128ELNS_18Fp8KVCacheDataTypeE1ELb0EEEvPT_PKS2_PKT0_S8_ifPKiSA_iPKfiiiSC_SC_iiiii.uses_vcc, 1
	.set _ZN4vllm25paged_attention_v1_kernelIthLi120ELi8ELi128ELNS_18Fp8KVCacheDataTypeE1ELb0EEEvPT_PKS2_PKT0_S8_ifPKiSA_iPKfiiiSC_SC_iiiii.uses_flat_scratch, 0
	.set _ZN4vllm25paged_attention_v1_kernelIthLi120ELi8ELi128ELNS_18Fp8KVCacheDataTypeE1ELb0EEEvPT_PKS2_PKT0_S8_ifPKiSA_iPKfiiiSC_SC_iiiii.has_dyn_sized_stack, 0
	.set _ZN4vllm25paged_attention_v1_kernelIthLi120ELi8ELi128ELNS_18Fp8KVCacheDataTypeE1ELb0EEEvPT_PKS2_PKT0_S8_ifPKiSA_iPKfiiiSC_SC_iiiii.has_recursion, 0
	.set _ZN4vllm25paged_attention_v1_kernelIthLi120ELi8ELi128ELNS_18Fp8KVCacheDataTypeE1ELb0EEEvPT_PKS2_PKT0_S8_ifPKiSA_iPKfiiiSC_SC_iiiii.has_indirect_call, 0
	.section	.AMDGPU.csdata,"",@progbits
; Kernel info:
; codeLenInByte = 10184
; TotalNumSgprs: 50
; NumVgprs: 44
; ScratchSize: 0
; MemoryBound: 0
; FloatMode: 240
; IeeeMode: 1
; LDSByteSize: 256 bytes/workgroup (compile time only)
; SGPRBlocks: 6
; VGPRBlocks: 10
; NumSGPRsForWavesPerEU: 50
; NumVGPRsForWavesPerEU: 44
; Occupancy: 5
; WaveLimiterHint : 1
; COMPUTE_PGM_RSRC2:SCRATCH_EN: 0
; COMPUTE_PGM_RSRC2:USER_SGPR: 6
; COMPUTE_PGM_RSRC2:TRAP_HANDLER: 0
; COMPUTE_PGM_RSRC2:TGID_X_EN: 1
; COMPUTE_PGM_RSRC2:TGID_Y_EN: 1
; COMPUTE_PGM_RSRC2:TGID_Z_EN: 1
; COMPUTE_PGM_RSRC2:TIDIG_COMP_CNT: 0
	.section	.text._ZN4vllm25paged_attention_v1_kernelIthLi128ELi8ELi128ELNS_18Fp8KVCacheDataTypeE1ELb0EEEvPT_PKS2_PKT0_S8_ifPKiSA_iPKfiiiSC_SC_iiiii,"axG",@progbits,_ZN4vllm25paged_attention_v1_kernelIthLi128ELi8ELi128ELNS_18Fp8KVCacheDataTypeE1ELb0EEEvPT_PKS2_PKT0_S8_ifPKiSA_iPKfiiiSC_SC_iiiii,comdat
	.protected	_ZN4vllm25paged_attention_v1_kernelIthLi128ELi8ELi128ELNS_18Fp8KVCacheDataTypeE1ELb0EEEvPT_PKS2_PKT0_S8_ifPKiSA_iPKfiiiSC_SC_iiiii ; -- Begin function _ZN4vllm25paged_attention_v1_kernelIthLi128ELi8ELi128ELNS_18Fp8KVCacheDataTypeE1ELb0EEEvPT_PKS2_PKT0_S8_ifPKiSA_iPKfiiiSC_SC_iiiii
	.globl	_ZN4vllm25paged_attention_v1_kernelIthLi128ELi8ELi128ELNS_18Fp8KVCacheDataTypeE1ELb0EEEvPT_PKS2_PKT0_S8_ifPKiSA_iPKfiiiSC_SC_iiiii
	.p2align	8
	.type	_ZN4vllm25paged_attention_v1_kernelIthLi128ELi8ELi128ELNS_18Fp8KVCacheDataTypeE1ELb0EEEvPT_PKS2_PKT0_S8_ifPKiSA_iPKfiiiSC_SC_iiiii,@function
_ZN4vllm25paged_attention_v1_kernelIthLi128ELi8ELi128ELNS_18Fp8KVCacheDataTypeE1ELb0EEEvPT_PKS2_PKT0_S8_ifPKiSA_iPKfiiiSC_SC_iiiii: ; @_ZN4vllm25paged_attention_v1_kernelIthLi128ELi8ELi128ELNS_18Fp8KVCacheDataTypeE1ELb0EEEvPT_PKS2_PKT0_S8_ifPKiSA_iPKfiiiSC_SC_iiiii
; %bb.0:
	s_load_dword s9, s[4:5], 0x80
	s_load_dwordx2 s[0:1], s[4:5], 0x30
	s_load_dwordx2 s[30:31], s[4:5], 0x20
	s_mov_b32 s10, s7
	s_ashr_i32 s11, s7, 31
	s_lshl_b64 s[2:3], s[10:11], 2
	s_waitcnt lgkmcnt(0)
	s_add_u32 s0, s0, s2
	s_addc_u32 s1, s1, s3
	s_abs_i32 s2, s30
	v_cvt_f32_u32_e32 v1, s2
	s_sub_i32 s11, 0, s2
	s_abs_i32 s7, s9
	s_xor_b32 s3, s9, s30
	v_rcp_iflag_f32_e32 v1, v1
	s_ashr_i32 s3, s3, 31
	s_mov_b32 s33, 0
	v_mul_f32_e32 v1, 0x4f7ffffe, v1
	v_cvt_u32_f32_e32 v1, v1
	v_readfirstlane_b32 s12, v1
	s_mul_i32 s11, s11, s12
	s_mul_hi_u32 s11, s12, s11
	s_add_i32 s12, s12, s11
	s_mul_hi_u32 s11, s7, s12
	s_mul_i32 s12, s11, s2
	s_sub_i32 s7, s7, s12
	s_add_i32 s12, s11, 1
	s_sub_i32 s13, s7, s2
	s_cmp_ge_u32 s7, s2
	s_cselect_b32 s11, s12, s11
	s_cselect_b32 s7, s13, s7
	s_add_i32 s12, s11, 1
	s_cmp_ge_u32 s7, s2
	s_cselect_b32 s2, s12, s11
	s_xor_b32 s2, s2, s3
	s_sub_i32 s15, s2, s3
	s_abs_i32 s12, s15
	v_cvt_f32_u32_e32 v1, s12
	s_load_dwordx2 s[2:3], s[4:5], 0x40
	s_sub_i32 s7, 0, s12
	s_abs_i32 s13, s6
	v_rcp_iflag_f32_e32 v1, v1
	v_mul_f32_e32 v1, 0x4f7ffffe, v1
	v_cvt_u32_f32_e32 v1, v1
	v_readfirstlane_b32 s11, v1
	s_mul_i32 s7, s7, s11
	s_mul_hi_u32 s7, s11, s7
	s_add_i32 s11, s11, s7
	s_waitcnt lgkmcnt(0)
	s_cmp_eq_u64 s[2:3], 0
	s_mul_hi_u32 s14, s13, s11
	s_cbranch_scc1 .LBB233_2
; %bb.1:
	s_ashr_i32 s7, s6, 31
	s_lshl_b64 s[16:17], s[6:7], 2
	s_add_u32 s2, s2, s16
	s_addc_u32 s3, s3, s17
	s_load_dword s33, s[2:3], 0x0
.LBB233_2:
	s_load_dword s11, s[0:1], 0x0
	s_load_dwordx4 s[16:19], s[4:5], 0x48
	s_movk_i32 s0, 0x80
	s_ashr_i32 s2, s6, 31
	s_ashr_i32 s3, s15, 31
	v_and_b32_e32 v1, 7, v0
	s_lshl_b32 s20, s6, 7
	v_cmp_gt_u32_e32 vcc, s0, v0
	v_lshlrev_b32_e32 v11, 1, v0
	s_and_saveexec_b64 s[0:1], vcc
	s_cbranch_execz .LBB233_4
; %bb.3:
	s_load_dwordx2 s[6:7], s[4:5], 0x8
	s_waitcnt lgkmcnt(0)
	s_mul_i32 s22, s16, s10
	s_ashr_i32 s23, s22, 31
	s_lshl_b64 s[22:23], s[22:23], 1
	v_lshrrev_b32_e32 v3, 2, v0
	s_add_u32 s15, s6, s22
	s_addc_u32 s16, s7, s23
	s_ashr_i32 s21, s20, 31
	s_lshl_b64 s[6:7], s[20:21], 1
	s_add_u32 s6, s15, s6
	s_addc_u32 s7, s16, s7
	global_load_ushort v2, v11, s[6:7]
	v_and_b32_e32 v3, 0xfe, v3
	v_lshl_add_u32 v3, v1, 5, v3
	s_waitcnt vmcnt(0)
	ds_write_b16 v3, v2
.LBB233_4:
	s_or_b64 exec, exec, s[0:1]
	s_waitcnt lgkmcnt(0)
	s_add_i32 s1, s11, 7
	s_ashr_i32 s6, s1, 31
	s_lshr_b32 s6, s6, 29
	s_add_i32 s1, s1, s6
	s_ashr_i32 s30, s1, 3
	s_xor_b32 s1, s2, s3
	s_mul_i32 s2, s14, s12
	s_sub_i32 s2, s13, s2
	s_add_i32 s3, s14, 1
	s_sub_i32 s6, s2, s12
	s_load_dwordx2 s[24:25], s[4:5], 0x28
	s_load_dword s0, s[4:5], 0x38
	s_cmp_ge_u32 s2, s12
	s_cselect_b32 s3, s3, s14
	s_cselect_b32 s2, s6, s2
	s_add_i32 s6, s3, 1
	s_cmp_ge_u32 s2, s12
	s_cselect_b32 s2, s6, s3
	v_lshrrev_b32_e32 v12, 6, v0
	s_xor_b32 s2, s2, s1
	s_waitcnt lgkmcnt(0)
	s_mul_i32 s26, s0, s10
	s_sub_i32 s16, s2, s1
	s_ashr_i32 s27, s26, 31
	v_cmp_gt_i32_e64 s[0:1], s30, v12
	v_cmp_le_i32_e32 vcc, s30, v12
	v_mbcnt_lo_u32_b32 v7, -1, 0
	s_barrier
                                        ; implicit-def: $vgpr9
                                        ; implicit-def: $vgpr6
                                        ; implicit-def: $vgpr5
	s_and_saveexec_b64 s[2:3], vcc
	s_xor_b64 s[2:3], exec, s[2:3]
; %bb.5:
	v_mbcnt_hi_u32_b32 v9, -1, v7
	v_and_b32_e32 v6, 64, v9
	v_add_u32_e32 v5, 64, v6
                                        ; implicit-def: $vgpr1
                                        ; implicit-def: $vgpr7
; %bb.6:
	s_or_saveexec_b64 s[6:7], s[2:3]
	s_load_dwordx2 s[22:23], s[4:5], 0x0
	s_load_dwordx2 s[28:29], s[4:5], 0x18
	s_load_dword s21, s[4:5], 0x88
	s_load_dwordx4 s[12:15], s[4:5], 0x58
	v_mov_b32_e32 v10, 0xff7fffff
	s_mul_i32 s16, s16, s18
	v_lshrrev_b32_e32 v8, 4, v0
	s_xor_b64 exec, exec, s[6:7]
	s_cbranch_execz .LBB233_108
; %bb.7:
	s_load_dwordx2 s[2:3], s[4:5], 0x10
	s_ashr_i32 s4, s16, 31
	v_bfe_u32 v3, v0, 3, 3
	v_lshlrev_b32_e32 v2, 4, v3
	v_lshlrev_b32_e32 v14, 5, v1
	s_waitcnt lgkmcnt(0)
	s_add_u32 s2, s2, s16
	s_addc_u32 s3, s3, s4
	v_mov_b32_e32 v4, s3
	v_add_co_u32_e32 v2, vcc, s2, v2
	v_addc_co_u32_e32 v4, vcc, 0, v4, vcc
	v_cmp_eq_u32_e32 vcc, 0, v1
	v_add_co_u32_e64 v1, s[4:5], v2, v1
	v_addc_co_u32_e64 v2, s[4:5], 0, v4, s[4:5]
	s_sub_i32 s41, 1, s11
	v_lshl_or_b32 v15, v12, 3, v3
	v_lshlrev_b32_e32 v3, 2, v3
	s_lshl_b64 s[4:5], s[26:27], 2
	v_lshl_or_b32 v3, v12, 5, v3
	s_add_u32 s4, s24, s4
	v_add_u32_e32 v16, 0x110, v3
	v_and_b32_e32 v3, 60, v8
	s_addc_u32 s5, s25, s5
	v_mov_b32_e32 v4, s5
	v_add_co_u32_e64 v3, s[4:5], s4, v3
	s_mov_b32 s40, s17
	v_mov_b32_e32 v13, 0
	v_cmp_neq_f32_e64 s[2:3], s33, 0
	v_addc_co_u32_e64 v4, s[4:5], 0, v4, s[4:5]
	v_mov_b32_e32 v10, 0xff7fffff
	s_mov_b64 s[18:19], 0
	s_movk_i32 s42, 0x80
	s_movk_i32 s43, 0x7f
	v_mbcnt_hi_u32_b32 v9, -1, v7
	v_bfrev_b32_e32 v17, 60
	v_mov_b32_e32 v18, v12
	s_branch .LBB233_9
.LBB233_8:                              ;   in Loop: Header=BB233_9 Depth=1
	s_or_b64 exec, exec, s[34:35]
	v_add_u32_e32 v18, 2, v18
	v_cmp_le_i32_e64 s[4:5], s30, v18
	s_or_b64 s[18:19], s[4:5], s[18:19]
	v_add_co_u32_e64 v3, s[4:5], 8, v3
	v_add_u32_e32 v15, 16, v15
	v_add_u32_e32 v16, 64, v16
	v_addc_co_u32_e64 v4, s[4:5], 0, v4, s[4:5]
	s_andn2_b64 exec, exec, s[18:19]
	s_cbranch_execz .LBB233_107
.LBB233_9:                              ; =>This Inner Loop Header: Depth=1
	global_load_dword v5, v[3:4], off
	v_mov_b32_e32 v20, 0
	s_waitcnt vmcnt(0)
	v_mad_i64_i32 v[5:6], s[4:5], v5, s40, v[1:2]
	global_load_ubyte v21, v[5:6], off
	s_waitcnt lgkmcnt(0)
	global_load_dword v19, v13, s[12:13]
	s_waitcnt vmcnt(1)
	v_cmp_ne_u16_e64 s[4:5], 0, v21
	s_and_saveexec_b64 s[34:35], s[4:5]
	s_cbranch_execz .LBB233_15
; %bb.10:                               ;   in Loop: Header=BB233_9 Depth=1
	v_cmp_ne_u16_e64 s[4:5], s42, v21
	v_bfrev_b32_e32 v20, 1
	s_and_saveexec_b64 s[36:37], s[4:5]
	s_cbranch_execz .LBB233_14
; %bb.11:                               ;   in Loop: Header=BB233_9 Depth=1
	v_and_b32_e32 v7, 0xffff, v21
	v_and_b32_e32 v22, 0x7f, v7
	v_cmp_ne_u32_e64 s[4:5], s43, v22
	v_mov_b32_e32 v20, 0x7f800001
	s_and_saveexec_b64 s[38:39], s[4:5]
	s_cbranch_execz .LBB233_13
; %bb.12:                               ;   in Loop: Header=BB233_9 Depth=1
	v_and_b32_e32 v20, 7, v7
	v_ffbh_u32_e32 v23, v20
	v_min_u32_e32 v26, 32, v23
	v_subrev_u32_e32 v23, 28, v26
	v_lshlrev_b64 v[23:24], v23, v[7:8]
	v_lshrrev_b32_e32 v25, 3, v22
	v_sub_u32_e32 v7, 29, v26
	v_and_b32_e32 v23, 7, v23
	v_cmp_gt_u32_e64 s[4:5], 8, v22
	v_cndmask_b32_e64 v7, v25, v7, s[4:5]
	v_cndmask_b32_e64 v20, v20, v23, s[4:5]
	v_lshlrev_b32_e32 v21, 24, v21
	v_lshlrev_b32_e32 v20, 20, v20
	v_and_b32_e32 v21, 0x80000000, v21
	v_lshl_add_u32 v7, v7, 23, v17
	v_or3_b32 v20, v21, v7, v20
.LBB233_13:                             ;   in Loop: Header=BB233_9 Depth=1
	s_or_b64 exec, exec, s[38:39]
.LBB233_14:                             ;   in Loop: Header=BB233_9 Depth=1
	s_or_b64 exec, exec, s[36:37]
.LBB233_15:                             ;   in Loop: Header=BB233_9 Depth=1
	s_or_b64 exec, exec, s[34:35]
	global_load_ubyte v23, v[5:6], off offset:8
	v_mov_b32_e32 v21, 0
	v_mov_b32_e32 v22, 0
	s_waitcnt vmcnt(0)
	v_cmp_ne_u16_e64 s[4:5], 0, v23
	s_and_saveexec_b64 s[34:35], s[4:5]
	s_cbranch_execz .LBB233_21
; %bb.16:                               ;   in Loop: Header=BB233_9 Depth=1
	v_cmp_ne_u16_e64 s[4:5], s42, v23
	v_bfrev_b32_e32 v22, 1
	s_and_saveexec_b64 s[36:37], s[4:5]
	s_cbranch_execz .LBB233_20
; %bb.17:                               ;   in Loop: Header=BB233_9 Depth=1
	v_and_b32_e32 v7, 0xffff, v23
	v_and_b32_e32 v24, 0x7f, v7
	v_cmp_ne_u32_e64 s[4:5], s43, v24
	v_mov_b32_e32 v22, 0x7f800001
	s_and_saveexec_b64 s[38:39], s[4:5]
	s_cbranch_execz .LBB233_19
; %bb.18:                               ;   in Loop: Header=BB233_9 Depth=1
	v_and_b32_e32 v22, 7, v7
	v_ffbh_u32_e32 v25, v22
	v_min_u32_e32 v28, 32, v25
	v_subrev_u32_e32 v25, 28, v28
	v_lshlrev_b64 v[25:26], v25, v[7:8]
	v_lshrrev_b32_e32 v27, 3, v24
	v_sub_u32_e32 v7, 29, v28
	v_and_b32_e32 v25, 7, v25
	v_cmp_gt_u32_e64 s[4:5], 8, v24
	v_cndmask_b32_e64 v7, v27, v7, s[4:5]
	v_cndmask_b32_e64 v22, v22, v25, s[4:5]
	v_lshlrev_b32_e32 v23, 24, v23
	v_lshlrev_b32_e32 v22, 20, v22
	v_and_b32_e32 v23, 0x80000000, v23
	v_lshl_add_u32 v7, v7, 23, v17
	v_or3_b32 v22, v23, v7, v22
.LBB233_19:                             ;   in Loop: Header=BB233_9 Depth=1
	s_or_b64 exec, exec, s[38:39]
.LBB233_20:                             ;   in Loop: Header=BB233_9 Depth=1
	s_or_b64 exec, exec, s[36:37]
.LBB233_21:                             ;   in Loop: Header=BB233_9 Depth=1
	s_or_b64 exec, exec, s[34:35]
	global_load_ubyte v23, v[5:6], off offset:128
	s_waitcnt vmcnt(0)
	v_cmp_ne_u16_e64 s[4:5], 0, v23
	s_and_saveexec_b64 s[34:35], s[4:5]
	s_cbranch_execz .LBB233_27
; %bb.22:                               ;   in Loop: Header=BB233_9 Depth=1
	v_cmp_ne_u16_e64 s[4:5], s42, v23
	v_bfrev_b32_e32 v21, 1
	s_and_saveexec_b64 s[36:37], s[4:5]
	s_cbranch_execz .LBB233_26
; %bb.23:                               ;   in Loop: Header=BB233_9 Depth=1
	v_and_b32_e32 v7, 0xffff, v23
	v_and_b32_e32 v24, 0x7f, v7
	v_cmp_ne_u32_e64 s[4:5], s43, v24
	v_mov_b32_e32 v21, 0x7f800001
	s_and_saveexec_b64 s[38:39], s[4:5]
	s_cbranch_execz .LBB233_25
; %bb.24:                               ;   in Loop: Header=BB233_9 Depth=1
	v_and_b32_e32 v21, 7, v7
	v_ffbh_u32_e32 v25, v21
	v_min_u32_e32 v28, 32, v25
	v_subrev_u32_e32 v25, 28, v28
	v_lshlrev_b64 v[25:26], v25, v[7:8]
	v_lshrrev_b32_e32 v27, 3, v24
	v_sub_u32_e32 v7, 29, v28
	v_and_b32_e32 v25, 7, v25
	v_cmp_gt_u32_e64 s[4:5], 8, v24
	v_cndmask_b32_e64 v7, v27, v7, s[4:5]
	v_cndmask_b32_e64 v21, v21, v25, s[4:5]
	v_lshlrev_b32_e32 v23, 24, v23
	v_lshlrev_b32_e32 v21, 20, v21
	v_and_b32_e32 v23, 0x80000000, v23
	v_lshl_add_u32 v7, v7, 23, v17
	v_or3_b32 v21, v23, v7, v21
.LBB233_25:                             ;   in Loop: Header=BB233_9 Depth=1
	s_or_b64 exec, exec, s[38:39]
.LBB233_26:                             ;   in Loop: Header=BB233_9 Depth=1
	s_or_b64 exec, exec, s[36:37]
.LBB233_27:                             ;   in Loop: Header=BB233_9 Depth=1
	s_or_b64 exec, exec, s[34:35]
	global_load_ubyte v25, v[5:6], off offset:136
	v_mov_b32_e32 v23, 0
	v_mov_b32_e32 v24, 0
	s_waitcnt vmcnt(0)
	v_cmp_ne_u16_e64 s[4:5], 0, v25
	s_and_saveexec_b64 s[34:35], s[4:5]
	s_cbranch_execz .LBB233_33
; %bb.28:                               ;   in Loop: Header=BB233_9 Depth=1
	v_cmp_ne_u16_e64 s[4:5], s42, v25
	v_bfrev_b32_e32 v24, 1
	s_and_saveexec_b64 s[36:37], s[4:5]
	s_cbranch_execz .LBB233_32
; %bb.29:                               ;   in Loop: Header=BB233_9 Depth=1
	v_and_b32_e32 v7, 0xffff, v25
	v_and_b32_e32 v26, 0x7f, v7
	v_cmp_ne_u32_e64 s[4:5], s43, v26
	v_mov_b32_e32 v24, 0x7f800001
	s_and_saveexec_b64 s[38:39], s[4:5]
	s_cbranch_execz .LBB233_31
; %bb.30:                               ;   in Loop: Header=BB233_9 Depth=1
	v_and_b32_e32 v24, 7, v7
	v_ffbh_u32_e32 v27, v24
	v_min_u32_e32 v30, 32, v27
	v_subrev_u32_e32 v27, 28, v30
	v_lshlrev_b64 v[27:28], v27, v[7:8]
	v_lshrrev_b32_e32 v29, 3, v26
	v_sub_u32_e32 v7, 29, v30
	v_and_b32_e32 v27, 7, v27
	v_cmp_gt_u32_e64 s[4:5], 8, v26
	v_cndmask_b32_e64 v7, v29, v7, s[4:5]
	v_cndmask_b32_e64 v24, v24, v27, s[4:5]
	v_lshlrev_b32_e32 v25, 24, v25
	v_lshlrev_b32_e32 v24, 20, v24
	v_and_b32_e32 v25, 0x80000000, v25
	v_lshl_add_u32 v7, v7, 23, v17
	v_or3_b32 v24, v25, v7, v24
.LBB233_31:                             ;   in Loop: Header=BB233_9 Depth=1
	s_or_b64 exec, exec, s[38:39]
.LBB233_32:                             ;   in Loop: Header=BB233_9 Depth=1
	s_or_b64 exec, exec, s[36:37]
.LBB233_33:                             ;   in Loop: Header=BB233_9 Depth=1
	s_or_b64 exec, exec, s[34:35]
	global_load_ubyte v25, v[5:6], off offset:256
	s_waitcnt vmcnt(0)
	v_cmp_ne_u16_e64 s[4:5], 0, v25
	s_and_saveexec_b64 s[34:35], s[4:5]
	s_cbranch_execz .LBB233_39
; %bb.34:                               ;   in Loop: Header=BB233_9 Depth=1
	v_cmp_ne_u16_e64 s[4:5], s42, v25
	v_bfrev_b32_e32 v23, 1
	s_and_saveexec_b64 s[36:37], s[4:5]
	s_cbranch_execz .LBB233_38
; %bb.35:                               ;   in Loop: Header=BB233_9 Depth=1
	v_and_b32_e32 v7, 0xffff, v25
	v_and_b32_e32 v26, 0x7f, v7
	v_cmp_ne_u32_e64 s[4:5], s43, v26
	v_mov_b32_e32 v23, 0x7f800001
	s_and_saveexec_b64 s[38:39], s[4:5]
	s_cbranch_execz .LBB233_37
; %bb.36:                               ;   in Loop: Header=BB233_9 Depth=1
	v_and_b32_e32 v23, 7, v7
	v_ffbh_u32_e32 v27, v23
	v_min_u32_e32 v30, 32, v27
	v_subrev_u32_e32 v27, 28, v30
	v_lshlrev_b64 v[27:28], v27, v[7:8]
	v_lshrrev_b32_e32 v29, 3, v26
	v_sub_u32_e32 v7, 29, v30
	v_and_b32_e32 v27, 7, v27
	v_cmp_gt_u32_e64 s[4:5], 8, v26
	v_cndmask_b32_e64 v7, v29, v7, s[4:5]
	v_cndmask_b32_e64 v23, v23, v27, s[4:5]
	v_lshlrev_b32_e32 v25, 24, v25
	v_lshlrev_b32_e32 v23, 20, v23
	v_and_b32_e32 v25, 0x80000000, v25
	v_lshl_add_u32 v7, v7, 23, v17
	v_or3_b32 v23, v25, v7, v23
.LBB233_37:                             ;   in Loop: Header=BB233_9 Depth=1
	s_or_b64 exec, exec, s[38:39]
.LBB233_38:                             ;   in Loop: Header=BB233_9 Depth=1
	s_or_b64 exec, exec, s[36:37]
.LBB233_39:                             ;   in Loop: Header=BB233_9 Depth=1
	s_or_b64 exec, exec, s[34:35]
	global_load_ubyte v27, v[5:6], off offset:264
	v_mov_b32_e32 v25, 0
	v_mov_b32_e32 v26, 0
	s_waitcnt vmcnt(0)
	v_cmp_ne_u16_e64 s[4:5], 0, v27
	s_and_saveexec_b64 s[34:35], s[4:5]
	s_cbranch_execz .LBB233_45
; %bb.40:                               ;   in Loop: Header=BB233_9 Depth=1
	v_cmp_ne_u16_e64 s[4:5], s42, v27
	v_bfrev_b32_e32 v26, 1
	s_and_saveexec_b64 s[36:37], s[4:5]
	s_cbranch_execz .LBB233_44
; %bb.41:                               ;   in Loop: Header=BB233_9 Depth=1
	v_and_b32_e32 v7, 0xffff, v27
	v_and_b32_e32 v28, 0x7f, v7
	v_cmp_ne_u32_e64 s[4:5], s43, v28
	v_mov_b32_e32 v26, 0x7f800001
	s_and_saveexec_b64 s[38:39], s[4:5]
	s_cbranch_execz .LBB233_43
; %bb.42:                               ;   in Loop: Header=BB233_9 Depth=1
	v_and_b32_e32 v26, 7, v7
	v_ffbh_u32_e32 v29, v26
	v_min_u32_e32 v32, 32, v29
	v_subrev_u32_e32 v29, 28, v32
	v_lshlrev_b64 v[29:30], v29, v[7:8]
	v_lshrrev_b32_e32 v31, 3, v28
	v_sub_u32_e32 v7, 29, v32
	v_and_b32_e32 v29, 7, v29
	v_cmp_gt_u32_e64 s[4:5], 8, v28
	v_cndmask_b32_e64 v7, v31, v7, s[4:5]
	v_cndmask_b32_e64 v26, v26, v29, s[4:5]
	v_lshlrev_b32_e32 v27, 24, v27
	v_lshlrev_b32_e32 v26, 20, v26
	v_and_b32_e32 v27, 0x80000000, v27
	v_lshl_add_u32 v7, v7, 23, v17
	v_or3_b32 v26, v27, v7, v26
.LBB233_43:                             ;   in Loop: Header=BB233_9 Depth=1
	s_or_b64 exec, exec, s[38:39]
.LBB233_44:                             ;   in Loop: Header=BB233_9 Depth=1
	s_or_b64 exec, exec, s[36:37]
.LBB233_45:                             ;   in Loop: Header=BB233_9 Depth=1
	s_or_b64 exec, exec, s[34:35]
	global_load_ubyte v27, v[5:6], off offset:384
	s_waitcnt vmcnt(0)
	v_cmp_ne_u16_e64 s[4:5], 0, v27
	s_and_saveexec_b64 s[34:35], s[4:5]
	s_cbranch_execz .LBB233_51
; %bb.46:                               ;   in Loop: Header=BB233_9 Depth=1
	v_cmp_ne_u16_e64 s[4:5], s42, v27
	v_bfrev_b32_e32 v25, 1
	s_and_saveexec_b64 s[36:37], s[4:5]
	s_cbranch_execz .LBB233_50
; %bb.47:                               ;   in Loop: Header=BB233_9 Depth=1
	v_and_b32_e32 v7, 0xffff, v27
	v_and_b32_e32 v28, 0x7f, v7
	v_cmp_ne_u32_e64 s[4:5], s43, v28
	v_mov_b32_e32 v25, 0x7f800001
	s_and_saveexec_b64 s[38:39], s[4:5]
	s_cbranch_execz .LBB233_49
; %bb.48:                               ;   in Loop: Header=BB233_9 Depth=1
	v_and_b32_e32 v25, 7, v7
	v_ffbh_u32_e32 v29, v25
	v_min_u32_e32 v32, 32, v29
	v_subrev_u32_e32 v29, 28, v32
	v_lshlrev_b64 v[29:30], v29, v[7:8]
	v_lshrrev_b32_e32 v31, 3, v28
	v_sub_u32_e32 v7, 29, v32
	v_and_b32_e32 v29, 7, v29
	v_cmp_gt_u32_e64 s[4:5], 8, v28
	v_cndmask_b32_e64 v7, v31, v7, s[4:5]
	v_cndmask_b32_e64 v25, v25, v29, s[4:5]
	v_lshlrev_b32_e32 v27, 24, v27
	v_lshlrev_b32_e32 v25, 20, v25
	v_and_b32_e32 v27, 0x80000000, v27
	v_lshl_add_u32 v7, v7, 23, v17
	v_or3_b32 v25, v27, v7, v25
.LBB233_49:                             ;   in Loop: Header=BB233_9 Depth=1
	s_or_b64 exec, exec, s[38:39]
.LBB233_50:                             ;   in Loop: Header=BB233_9 Depth=1
	s_or_b64 exec, exec, s[36:37]
.LBB233_51:                             ;   in Loop: Header=BB233_9 Depth=1
	s_or_b64 exec, exec, s[34:35]
	global_load_ubyte v29, v[5:6], off offset:392
	v_mov_b32_e32 v27, 0
	v_mov_b32_e32 v28, 0
	s_waitcnt vmcnt(0)
	v_cmp_ne_u16_e64 s[4:5], 0, v29
	s_and_saveexec_b64 s[34:35], s[4:5]
	s_cbranch_execz .LBB233_57
; %bb.52:                               ;   in Loop: Header=BB233_9 Depth=1
	v_cmp_ne_u16_e64 s[4:5], s42, v29
	v_bfrev_b32_e32 v28, 1
	s_and_saveexec_b64 s[36:37], s[4:5]
	s_cbranch_execz .LBB233_56
; %bb.53:                               ;   in Loop: Header=BB233_9 Depth=1
	v_and_b32_e32 v7, 0xffff, v29
	v_and_b32_e32 v30, 0x7f, v7
	v_cmp_ne_u32_e64 s[4:5], s43, v30
	v_mov_b32_e32 v28, 0x7f800001
	s_and_saveexec_b64 s[38:39], s[4:5]
	s_cbranch_execz .LBB233_55
; %bb.54:                               ;   in Loop: Header=BB233_9 Depth=1
	v_and_b32_e32 v28, 7, v7
	v_ffbh_u32_e32 v31, v28
	v_min_u32_e32 v34, 32, v31
	v_subrev_u32_e32 v31, 28, v34
	v_lshlrev_b64 v[31:32], v31, v[7:8]
	v_lshrrev_b32_e32 v33, 3, v30
	v_sub_u32_e32 v7, 29, v34
	v_and_b32_e32 v31, 7, v31
	v_cmp_gt_u32_e64 s[4:5], 8, v30
	v_cndmask_b32_e64 v7, v33, v7, s[4:5]
	v_cndmask_b32_e64 v28, v28, v31, s[4:5]
	v_lshlrev_b32_e32 v29, 24, v29
	v_lshlrev_b32_e32 v28, 20, v28
	v_and_b32_e32 v29, 0x80000000, v29
	v_lshl_add_u32 v7, v7, 23, v17
	v_or3_b32 v28, v29, v7, v28
.LBB233_55:                             ;   in Loop: Header=BB233_9 Depth=1
	s_or_b64 exec, exec, s[38:39]
.LBB233_56:                             ;   in Loop: Header=BB233_9 Depth=1
	s_or_b64 exec, exec, s[36:37]
.LBB233_57:                             ;   in Loop: Header=BB233_9 Depth=1
	s_or_b64 exec, exec, s[34:35]
	global_load_ubyte v29, v[5:6], off offset:512
	s_waitcnt vmcnt(0)
	v_cmp_ne_u16_e64 s[4:5], 0, v29
	s_and_saveexec_b64 s[34:35], s[4:5]
	s_cbranch_execz .LBB233_63
; %bb.58:                               ;   in Loop: Header=BB233_9 Depth=1
	v_cmp_ne_u16_e64 s[4:5], s42, v29
	v_bfrev_b32_e32 v27, 1
	s_and_saveexec_b64 s[36:37], s[4:5]
	s_cbranch_execz .LBB233_62
; %bb.59:                               ;   in Loop: Header=BB233_9 Depth=1
	v_and_b32_e32 v7, 0xffff, v29
	v_and_b32_e32 v30, 0x7f, v7
	v_cmp_ne_u32_e64 s[4:5], s43, v30
	v_mov_b32_e32 v27, 0x7f800001
	s_and_saveexec_b64 s[38:39], s[4:5]
	s_cbranch_execz .LBB233_61
; %bb.60:                               ;   in Loop: Header=BB233_9 Depth=1
	v_and_b32_e32 v27, 7, v7
	v_ffbh_u32_e32 v31, v27
	v_min_u32_e32 v34, 32, v31
	v_subrev_u32_e32 v31, 28, v34
	v_lshlrev_b64 v[31:32], v31, v[7:8]
	v_lshrrev_b32_e32 v33, 3, v30
	v_sub_u32_e32 v7, 29, v34
	v_and_b32_e32 v31, 7, v31
	v_cmp_gt_u32_e64 s[4:5], 8, v30
	v_cndmask_b32_e64 v7, v33, v7, s[4:5]
	v_cndmask_b32_e64 v27, v27, v31, s[4:5]
	v_lshlrev_b32_e32 v29, 24, v29
	v_lshlrev_b32_e32 v27, 20, v27
	v_and_b32_e32 v29, 0x80000000, v29
	v_lshl_add_u32 v7, v7, 23, v17
	v_or3_b32 v27, v29, v7, v27
.LBB233_61:                             ;   in Loop: Header=BB233_9 Depth=1
	s_or_b64 exec, exec, s[38:39]
.LBB233_62:                             ;   in Loop: Header=BB233_9 Depth=1
	s_or_b64 exec, exec, s[36:37]
.LBB233_63:                             ;   in Loop: Header=BB233_9 Depth=1
	s_or_b64 exec, exec, s[34:35]
	global_load_ubyte v31, v[5:6], off offset:520
	v_mov_b32_e32 v29, 0
	v_mov_b32_e32 v30, 0
	s_waitcnt vmcnt(0)
	v_cmp_ne_u16_e64 s[4:5], 0, v31
	s_and_saveexec_b64 s[34:35], s[4:5]
	s_cbranch_execz .LBB233_69
; %bb.64:                               ;   in Loop: Header=BB233_9 Depth=1
	v_cmp_ne_u16_e64 s[4:5], s42, v31
	v_bfrev_b32_e32 v30, 1
	s_and_saveexec_b64 s[36:37], s[4:5]
	s_cbranch_execz .LBB233_68
; %bb.65:                               ;   in Loop: Header=BB233_9 Depth=1
	v_and_b32_e32 v7, 0xffff, v31
	v_and_b32_e32 v32, 0x7f, v7
	v_cmp_ne_u32_e64 s[4:5], s43, v32
	v_mov_b32_e32 v30, 0x7f800001
	s_and_saveexec_b64 s[38:39], s[4:5]
	s_cbranch_execz .LBB233_67
; %bb.66:                               ;   in Loop: Header=BB233_9 Depth=1
	v_and_b32_e32 v30, 7, v7
	v_ffbh_u32_e32 v33, v30
	v_min_u32_e32 v36, 32, v33
	v_subrev_u32_e32 v33, 28, v36
	v_lshlrev_b64 v[33:34], v33, v[7:8]
	v_lshrrev_b32_e32 v35, 3, v32
	v_sub_u32_e32 v7, 29, v36
	v_and_b32_e32 v33, 7, v33
	v_cmp_gt_u32_e64 s[4:5], 8, v32
	v_cndmask_b32_e64 v7, v35, v7, s[4:5]
	v_cndmask_b32_e64 v30, v30, v33, s[4:5]
	v_lshlrev_b32_e32 v31, 24, v31
	v_lshlrev_b32_e32 v30, 20, v30
	v_and_b32_e32 v31, 0x80000000, v31
	v_lshl_add_u32 v7, v7, 23, v17
	v_or3_b32 v30, v31, v7, v30
.LBB233_67:                             ;   in Loop: Header=BB233_9 Depth=1
	s_or_b64 exec, exec, s[38:39]
.LBB233_68:                             ;   in Loop: Header=BB233_9 Depth=1
	s_or_b64 exec, exec, s[36:37]
.LBB233_69:                             ;   in Loop: Header=BB233_9 Depth=1
	s_or_b64 exec, exec, s[34:35]
	global_load_ubyte v31, v[5:6], off offset:640
	s_waitcnt vmcnt(0)
	v_cmp_ne_u16_e64 s[4:5], 0, v31
	s_and_saveexec_b64 s[34:35], s[4:5]
	s_cbranch_execz .LBB233_75
; %bb.70:                               ;   in Loop: Header=BB233_9 Depth=1
	v_cmp_ne_u16_e64 s[4:5], s42, v31
	v_bfrev_b32_e32 v29, 1
	s_and_saveexec_b64 s[36:37], s[4:5]
	s_cbranch_execz .LBB233_74
; %bb.71:                               ;   in Loop: Header=BB233_9 Depth=1
	v_and_b32_e32 v7, 0xffff, v31
	v_and_b32_e32 v32, 0x7f, v7
	v_cmp_ne_u32_e64 s[4:5], s43, v32
	v_mov_b32_e32 v29, 0x7f800001
	s_and_saveexec_b64 s[38:39], s[4:5]
	s_cbranch_execz .LBB233_73
; %bb.72:                               ;   in Loop: Header=BB233_9 Depth=1
	v_and_b32_e32 v29, 7, v7
	v_ffbh_u32_e32 v33, v29
	v_min_u32_e32 v36, 32, v33
	v_subrev_u32_e32 v33, 28, v36
	v_lshlrev_b64 v[33:34], v33, v[7:8]
	v_lshrrev_b32_e32 v35, 3, v32
	v_sub_u32_e32 v7, 29, v36
	v_and_b32_e32 v33, 7, v33
	v_cmp_gt_u32_e64 s[4:5], 8, v32
	v_cndmask_b32_e64 v7, v35, v7, s[4:5]
	v_cndmask_b32_e64 v29, v29, v33, s[4:5]
	v_lshlrev_b32_e32 v31, 24, v31
	v_lshlrev_b32_e32 v29, 20, v29
	v_and_b32_e32 v31, 0x80000000, v31
	v_lshl_add_u32 v7, v7, 23, v17
	v_or3_b32 v29, v31, v7, v29
.LBB233_73:                             ;   in Loop: Header=BB233_9 Depth=1
	s_or_b64 exec, exec, s[38:39]
.LBB233_74:                             ;   in Loop: Header=BB233_9 Depth=1
	s_or_b64 exec, exec, s[36:37]
.LBB233_75:                             ;   in Loop: Header=BB233_9 Depth=1
	s_or_b64 exec, exec, s[34:35]
	global_load_ubyte v33, v[5:6], off offset:648
	v_mov_b32_e32 v31, 0
	v_mov_b32_e32 v32, 0
	s_waitcnt vmcnt(0)
	v_cmp_ne_u16_e64 s[4:5], 0, v33
	s_and_saveexec_b64 s[34:35], s[4:5]
	s_cbranch_execz .LBB233_81
; %bb.76:                               ;   in Loop: Header=BB233_9 Depth=1
	v_cmp_ne_u16_e64 s[4:5], s42, v33
	v_bfrev_b32_e32 v32, 1
	s_and_saveexec_b64 s[36:37], s[4:5]
	s_cbranch_execz .LBB233_80
; %bb.77:                               ;   in Loop: Header=BB233_9 Depth=1
	v_and_b32_e32 v7, 0xffff, v33
	v_and_b32_e32 v34, 0x7f, v7
	v_cmp_ne_u32_e64 s[4:5], s43, v34
	v_mov_b32_e32 v32, 0x7f800001
	s_and_saveexec_b64 s[38:39], s[4:5]
	s_cbranch_execz .LBB233_79
; %bb.78:                               ;   in Loop: Header=BB233_9 Depth=1
	v_and_b32_e32 v32, 7, v7
	v_ffbh_u32_e32 v35, v32
	v_min_u32_e32 v38, 32, v35
	v_subrev_u32_e32 v35, 28, v38
	v_lshlrev_b64 v[35:36], v35, v[7:8]
	v_lshrrev_b32_e32 v37, 3, v34
	v_sub_u32_e32 v7, 29, v38
	v_and_b32_e32 v35, 7, v35
	v_cmp_gt_u32_e64 s[4:5], 8, v34
	v_cndmask_b32_e64 v7, v37, v7, s[4:5]
	v_cndmask_b32_e64 v32, v32, v35, s[4:5]
	v_lshlrev_b32_e32 v33, 24, v33
	v_lshlrev_b32_e32 v32, 20, v32
	v_and_b32_e32 v33, 0x80000000, v33
	v_lshl_add_u32 v7, v7, 23, v17
	v_or3_b32 v32, v33, v7, v32
.LBB233_79:                             ;   in Loop: Header=BB233_9 Depth=1
	s_or_b64 exec, exec, s[38:39]
.LBB233_80:                             ;   in Loop: Header=BB233_9 Depth=1
	s_or_b64 exec, exec, s[36:37]
.LBB233_81:                             ;   in Loop: Header=BB233_9 Depth=1
	s_or_b64 exec, exec, s[34:35]
	global_load_ubyte v33, v[5:6], off offset:768
	s_waitcnt vmcnt(0)
	v_cmp_ne_u16_e64 s[4:5], 0, v33
	s_and_saveexec_b64 s[34:35], s[4:5]
	s_cbranch_execz .LBB233_87
; %bb.82:                               ;   in Loop: Header=BB233_9 Depth=1
	v_cmp_ne_u16_e64 s[4:5], s42, v33
	v_bfrev_b32_e32 v31, 1
	s_and_saveexec_b64 s[36:37], s[4:5]
	s_cbranch_execz .LBB233_86
; %bb.83:                               ;   in Loop: Header=BB233_9 Depth=1
	v_and_b32_e32 v7, 0xffff, v33
	v_and_b32_e32 v34, 0x7f, v7
	v_cmp_ne_u32_e64 s[4:5], s43, v34
	v_mov_b32_e32 v31, 0x7f800001
	s_and_saveexec_b64 s[38:39], s[4:5]
	s_cbranch_execz .LBB233_85
; %bb.84:                               ;   in Loop: Header=BB233_9 Depth=1
	v_and_b32_e32 v31, 7, v7
	v_ffbh_u32_e32 v35, v31
	v_min_u32_e32 v38, 32, v35
	v_subrev_u32_e32 v35, 28, v38
	v_lshlrev_b64 v[35:36], v35, v[7:8]
	v_lshrrev_b32_e32 v37, 3, v34
	v_sub_u32_e32 v7, 29, v38
	v_and_b32_e32 v35, 7, v35
	v_cmp_gt_u32_e64 s[4:5], 8, v34
	v_cndmask_b32_e64 v7, v37, v7, s[4:5]
	v_cndmask_b32_e64 v31, v31, v35, s[4:5]
	v_lshlrev_b32_e32 v33, 24, v33
	v_lshlrev_b32_e32 v31, 20, v31
	v_and_b32_e32 v33, 0x80000000, v33
	v_lshl_add_u32 v7, v7, 23, v17
	v_or3_b32 v31, v33, v7, v31
.LBB233_85:                             ;   in Loop: Header=BB233_9 Depth=1
	s_or_b64 exec, exec, s[38:39]
.LBB233_86:                             ;   in Loop: Header=BB233_9 Depth=1
	s_or_b64 exec, exec, s[36:37]
.LBB233_87:                             ;   in Loop: Header=BB233_9 Depth=1
	s_or_b64 exec, exec, s[34:35]
	global_load_ubyte v35, v[5:6], off offset:776
	v_mov_b32_e32 v33, 0
	v_mov_b32_e32 v34, 0
	s_waitcnt vmcnt(0)
	v_cmp_ne_u16_e64 s[4:5], 0, v35
	s_and_saveexec_b64 s[34:35], s[4:5]
	s_cbranch_execz .LBB233_93
; %bb.88:                               ;   in Loop: Header=BB233_9 Depth=1
	v_cmp_ne_u16_e64 s[4:5], s42, v35
	v_bfrev_b32_e32 v34, 1
	s_and_saveexec_b64 s[36:37], s[4:5]
	s_cbranch_execz .LBB233_92
; %bb.89:                               ;   in Loop: Header=BB233_9 Depth=1
	v_and_b32_e32 v7, 0xffff, v35
	v_and_b32_e32 v36, 0x7f, v7
	v_cmp_ne_u32_e64 s[4:5], s43, v36
	v_mov_b32_e32 v34, 0x7f800001
	s_and_saveexec_b64 s[38:39], s[4:5]
	s_cbranch_execz .LBB233_91
; %bb.90:                               ;   in Loop: Header=BB233_9 Depth=1
	v_and_b32_e32 v34, 7, v7
	v_ffbh_u32_e32 v37, v34
	v_min_u32_e32 v40, 32, v37
	v_subrev_u32_e32 v37, 28, v40
	v_lshlrev_b64 v[37:38], v37, v[7:8]
	v_lshrrev_b32_e32 v39, 3, v36
	v_sub_u32_e32 v7, 29, v40
	v_and_b32_e32 v37, 7, v37
	v_cmp_gt_u32_e64 s[4:5], 8, v36
	v_cndmask_b32_e64 v7, v39, v7, s[4:5]
	v_cndmask_b32_e64 v34, v34, v37, s[4:5]
	v_lshlrev_b32_e32 v35, 24, v35
	v_lshlrev_b32_e32 v34, 20, v34
	v_and_b32_e32 v35, 0x80000000, v35
	v_lshl_add_u32 v7, v7, 23, v17
	v_or3_b32 v34, v35, v7, v34
.LBB233_91:                             ;   in Loop: Header=BB233_9 Depth=1
	s_or_b64 exec, exec, s[38:39]
.LBB233_92:                             ;   in Loop: Header=BB233_9 Depth=1
	s_or_b64 exec, exec, s[36:37]
.LBB233_93:                             ;   in Loop: Header=BB233_9 Depth=1
	s_or_b64 exec, exec, s[34:35]
	global_load_ubyte v35, v[5:6], off offset:896
	s_waitcnt vmcnt(0)
	v_cmp_ne_u16_e64 s[4:5], 0, v35
	s_and_saveexec_b64 s[34:35], s[4:5]
	s_cbranch_execz .LBB233_99
; %bb.94:                               ;   in Loop: Header=BB233_9 Depth=1
	v_cmp_ne_u16_e64 s[4:5], s42, v35
	v_bfrev_b32_e32 v33, 1
	s_and_saveexec_b64 s[36:37], s[4:5]
	s_cbranch_execz .LBB233_98
; %bb.95:                               ;   in Loop: Header=BB233_9 Depth=1
	v_and_b32_e32 v7, 0xffff, v35
	v_and_b32_e32 v36, 0x7f, v7
	v_cmp_ne_u32_e64 s[4:5], s43, v36
	v_mov_b32_e32 v33, 0x7f800001
	s_and_saveexec_b64 s[38:39], s[4:5]
	s_cbranch_execz .LBB233_97
; %bb.96:                               ;   in Loop: Header=BB233_9 Depth=1
	v_and_b32_e32 v33, 7, v7
	v_ffbh_u32_e32 v37, v33
	v_min_u32_e32 v40, 32, v37
	v_subrev_u32_e32 v37, 28, v40
	v_lshlrev_b64 v[37:38], v37, v[7:8]
	v_lshrrev_b32_e32 v39, 3, v36
	v_sub_u32_e32 v7, 29, v40
	v_and_b32_e32 v37, 7, v37
	v_cmp_gt_u32_e64 s[4:5], 8, v36
	v_cndmask_b32_e64 v7, v39, v7, s[4:5]
	v_cndmask_b32_e64 v33, v33, v37, s[4:5]
	v_lshlrev_b32_e32 v35, 24, v35
	v_lshlrev_b32_e32 v33, 20, v33
	v_and_b32_e32 v35, 0x80000000, v35
	v_lshl_add_u32 v7, v7, 23, v17
	v_or3_b32 v33, v35, v7, v33
.LBB233_97:                             ;   in Loop: Header=BB233_9 Depth=1
	s_or_b64 exec, exec, s[38:39]
.LBB233_98:                             ;   in Loop: Header=BB233_9 Depth=1
	s_or_b64 exec, exec, s[36:37]
.LBB233_99:                             ;   in Loop: Header=BB233_9 Depth=1
	s_or_b64 exec, exec, s[34:35]
	global_load_ubyte v7, v[5:6], off offset:904
	v_mov_b32_e32 v6, 0
	s_waitcnt vmcnt(0)
	v_cmp_ne_u16_e64 s[4:5], 0, v7
	s_and_saveexec_b64 s[34:35], s[4:5]
	s_cbranch_execz .LBB233_105
; %bb.100:                              ;   in Loop: Header=BB233_9 Depth=1
	v_cmp_ne_u16_e64 s[4:5], s42, v7
	v_bfrev_b32_e32 v6, 1
	s_and_saveexec_b64 s[36:37], s[4:5]
	s_cbranch_execz .LBB233_104
; %bb.101:                              ;   in Loop: Header=BB233_9 Depth=1
	v_and_b32_e32 v5, 0xffff, v7
	v_and_b32_e32 v35, 0x7f, v5
	v_cmp_ne_u32_e64 s[4:5], s43, v35
	v_mov_b32_e32 v6, 0x7f800001
	s_and_saveexec_b64 s[38:39], s[4:5]
	s_cbranch_execz .LBB233_103
; %bb.102:                              ;   in Loop: Header=BB233_9 Depth=1
	v_and_b32_e32 v36, 7, v5
	v_ffbh_u32_e32 v6, v36
	v_min_u32_e32 v38, 32, v6
	v_subrev_u32_e32 v6, 28, v38
	v_lshlrev_b64 v[5:6], v6, v[5:6]
	v_lshrrev_b32_e32 v37, 3, v35
	v_sub_u32_e32 v6, 29, v38
	v_and_b32_e32 v5, 7, v5
	v_cmp_gt_u32_e64 s[4:5], 8, v35
	v_cndmask_b32_e64 v6, v37, v6, s[4:5]
	v_cndmask_b32_e64 v5, v36, v5, s[4:5]
	v_lshlrev_b32_e32 v7, 24, v7
	v_lshlrev_b32_e32 v5, 20, v5
	v_and_b32_e32 v7, 0x80000000, v7
	v_lshl_add_u32 v6, v6, 23, v17
	v_or3_b32 v6, v7, v6, v5
.LBB233_103:                            ;   in Loop: Header=BB233_9 Depth=1
	s_or_b64 exec, exec, s[38:39]
.LBB233_104:                            ;   in Loop: Header=BB233_9 Depth=1
	s_or_b64 exec, exec, s[36:37]
.LBB233_105:                            ;   in Loop: Header=BB233_9 Depth=1
	s_or_b64 exec, exec, s[34:35]
	v_fma_mixlo_f16 v5, v19, v20, 0
	ds_read_u16 v7, v14
	v_and_b32_e32 v20, 0xffff, v5
	s_waitcnt lgkmcnt(0)
	;;#ASMSTART
	v_cvt_f32_f16 v5, v7;
	;;#ASMEND
	;;#ASMSTART
	v_cvt_f32_f16 v7, v20;
	;;#ASMEND
	v_fma_mixlo_f16 v20, v19, v22, 0
	v_and_b32_e32 v22, 0xffff, v20
	ds_read_u16 v35, v14 offset:2
	s_waitcnt lgkmcnt(0)
	;;#ASMSTART
	v_cvt_f32_f16 v20, v35;
	;;#ASMEND
	;;#ASMSTART
	v_cvt_f32_f16 v22, v22;
	;;#ASMEND
	v_fma_mixlo_f16 v21, v19, v21, 0
	v_fma_mixlo_f16 v24, v19, v24, 0
	;; [unrolled: 1-line block ×14, first 2 shown]
	v_mul_f32_e32 v19, v20, v22
	ds_read_u16 v35, v14 offset:4
	v_and_b32_e32 v36, 0xffff, v21
	v_fmac_f32_e32 v19, v5, v7
	s_waitcnt lgkmcnt(0)
	;;#ASMSTART
	v_cvt_f32_f16 v21, v35;
	;;#ASMEND
	;;#ASMSTART
	v_cvt_f32_f16 v35, v36;
	;;#ASMEND
	ds_read_u16 v36, v14 offset:6
	v_and_b32_e32 v37, 0xffff, v24
	v_fmac_f32_e32 v19, v21, v35
	s_waitcnt lgkmcnt(0)
	;;#ASMSTART
	v_cvt_f32_f16 v24, v36;
	;;#ASMEND
	;;#ASMSTART
	v_cvt_f32_f16 v36, v37;
	;;#ASMEND
	;; [unrolled: 10-line block ×10, first 2 shown]
	v_and_b32_e32 v7, 0xffff, v31
	v_fmac_f32_e32 v19, v44, v32
	ds_read_u16 v45, v14 offset:24
	s_waitcnt lgkmcnt(0)
	;;#ASMSTART
	v_cvt_f32_f16 v5, v45;
	;;#ASMEND
	;;#ASMSTART
	v_cvt_f32_f16 v7, v7;
	;;#ASMEND
	ds_read_u16 v20, v14 offset:26
	v_and_b32_e32 v21, 0xffff, v34
	v_fmac_f32_e32 v19, v5, v7
	s_waitcnt lgkmcnt(0)
	;;#ASMSTART
	v_cvt_f32_f16 v20, v20;
	;;#ASMEND
	;;#ASMSTART
	v_cvt_f32_f16 v21, v21;
	;;#ASMEND
	ds_read_u16 v22, v14 offset:28
	v_and_b32_e32 v23, 0xffff, v33
	v_fmac_f32_e32 v19, v20, v21
	v_and_b32_e32 v6, 0xffff, v6
	s_waitcnt lgkmcnt(0)
	;;#ASMSTART
	v_cvt_f32_f16 v22, v22;
	;;#ASMEND
	;;#ASMSTART
	v_cvt_f32_f16 v23, v23;
	;;#ASMEND
	ds_read_u16 v24, v14 offset:30
	v_fmac_f32_e32 v19, v22, v23
	s_waitcnt lgkmcnt(0)
	;;#ASMSTART
	v_cvt_f32_f16 v5, v24;
	;;#ASMEND
	;;#ASMSTART
	v_cvt_f32_f16 v6, v6;
	;;#ASMEND
	v_fmac_f32_e32 v19, v5, v6
	v_and_b32_e32 v6, 64, v9
	v_add_u32_e32 v5, 64, v6
	v_xor_b32_e32 v7, 4, v9
	v_cmp_lt_i32_e64 s[4:5], v7, v5
	v_cndmask_b32_e64 v7, v9, v7, s[4:5]
	v_lshlrev_b32_e32 v7, 2, v7
	ds_bpermute_b32 v7, v7, v19
	s_waitcnt lgkmcnt(0)
	v_add_f32_e32 v7, v19, v7
	v_xor_b32_e32 v19, 2, v9
	v_cmp_lt_i32_e64 s[4:5], v19, v5
	v_cndmask_b32_e64 v19, v9, v19, s[4:5]
	v_lshlrev_b32_e32 v19, 2, v19
	ds_bpermute_b32 v19, v19, v7
	s_waitcnt lgkmcnt(0)
	v_add_f32_e32 v7, v7, v19
	v_xor_b32_e32 v19, 1, v9
	v_cmp_lt_i32_e64 s[4:5], v19, v5
	v_cndmask_b32_e64 v19, v9, v19, s[4:5]
	v_lshlrev_b32_e32 v19, 2, v19
	ds_bpermute_b32 v19, v19, v7
	s_and_saveexec_b64 s[34:35], vcc
	s_cbranch_execz .LBB233_8
; %bb.106:                              ;   in Loop: Header=BB233_9 Depth=1
	v_add_u32_e32 v20, s41, v15
	v_cvt_f32_i32_e32 v20, v20
	s_waitcnt lgkmcnt(0)
	v_add_f32_e32 v7, v7, v19
	v_cmp_gt_i32_e64 s[4:5], s11, v15
	v_max_f32_e32 v19, v10, v10
	v_mul_f32_e32 v20, s33, v20
	v_cndmask_b32_e64 v20, 0, v20, s[2:3]
	v_fmac_f32_e32 v20, s31, v7
	v_cndmask_b32_e64 v7, 0, v20, s[4:5]
	ds_write_b32 v16, v7
	v_max_f32_e32 v7, v19, v20
	v_cndmask_b32_e64 v10, v10, v7, s[4:5]
	s_branch .LBB233_8
.LBB233_107:
	s_or_b64 exec, exec, s[18:19]
.LBB233_108:
	s_or_b64 exec, exec, s[6:7]
	v_xor_b32_e32 v1, 32, v9
	v_cmp_lt_i32_e32 vcc, v1, v5
	v_cndmask_b32_e32 v1, v9, v1, vcc
	v_lshlrev_b32_e32 v2, 2, v1
	ds_bpermute_b32 v1, v2, v10
	v_xor_b32_e32 v4, 16, v9
	v_max_f32_e32 v3, v10, v10
	v_cmp_lt_i32_e32 vcc, v4, v5
	v_xor_b32_e32 v7, 8, v9
	s_waitcnt lgkmcnt(0)
	v_max_f32_e32 v1, v1, v1
	v_max_f32_e32 v1, v3, v1
	v_cndmask_b32_e32 v3, v9, v4, vcc
	v_lshlrev_b32_e32 v4, 2, v3
	ds_bpermute_b32 v3, v4, v1
	v_cmp_lt_i32_e32 vcc, v7, v5
	v_and_b32_e32 v13, 63, v0
	s_waitcnt lgkmcnt(0)
	v_max_f32_e32 v3, v3, v3
	v_max_f32_e32 v3, v1, v3
	v_cndmask_b32_e32 v1, v9, v7, vcc
	v_lshlrev_b32_e32 v10, 2, v1
	ds_bpermute_b32 v7, v10, v3
	v_cmp_eq_u32_e32 vcc, 0, v13
	v_lshlrev_b32_e32 v1, 2, v12
	s_and_saveexec_b64 s[2:3], vcc
	s_cbranch_execz .LBB233_110
; %bb.109:
	s_waitcnt lgkmcnt(0)
	v_max_f32_e32 v7, v7, v7
	v_max_f32_e32 v3, v3, v3
	;; [unrolled: 1-line block ×3, first 2 shown]
	ds_write_b32 v1, v3 offset:256
.LBB233_110:
	s_or_b64 exec, exec, s[2:3]
	v_cmp_gt_u32_e64 s[2:3], 2, v13
	v_mov_b32_e32 v14, 0xff7fffff
	v_lshlrev_b32_e32 v3, 2, v13
	s_waitcnt lgkmcnt(0)
	s_barrier
	s_and_saveexec_b64 s[4:5], s[2:3]
; %bb.111:
	ds_read_b32 v14, v3 offset:256
; %bb.112:
	s_or_b64 exec, exec, s[4:5]
	v_xor_b32_e32 v7, 1, v9
	v_cmp_lt_i32_e64 s[4:5], v7, v5
	v_cndmask_b32_e64 v7, v9, v7, s[4:5]
	v_lshlrev_b32_e32 v7, 2, v7
	s_waitcnt lgkmcnt(0)
	ds_bpermute_b32 v15, v7, v14
	v_max_f32_e32 v14, v14, v14
	v_lshlrev_b32_e32 v6, 2, v6
	s_lshl_b32 s4, s30, 3
	s_min_i32 s31, s4, s11
	s_waitcnt lgkmcnt(0)
	v_max_f32_e32 v15, v15, v15
	v_max_f32_e32 v14, v14, v15
	ds_bpermute_b32 v14, v6, v14
	v_cmp_gt_i32_e64 s[4:5], s31, v0
	v_mov_b32_e32 v6, 0
	s_and_saveexec_b64 s[12:13], s[4:5]
	s_cbranch_execz .LBB233_116
; %bb.113:
	v_mov_b32_e32 v6, 0x110
	v_lshl_add_u32 v15, v0, 2, v6
	v_mov_b32_e32 v6, 0
	s_mov_b64 s[18:19], 0
	v_mov_b32_e32 v16, v0
.LBB233_114:                            ; =>This Inner Loop Header: Depth=1
	ds_read_b32 v17, v15
	v_add_u32_e32 v16, 0x80, v16
	v_cmp_le_i32_e64 s[6:7], s31, v16
	s_or_b64 s[18:19], s[6:7], s[18:19]
	s_waitcnt lgkmcnt(0)
	v_sub_f32_e32 v17, v17, v14
	v_mul_f32_e32 v17, 0x3fb8aa3b, v17
	v_exp_f32_e32 v17, v17
	ds_write_b32 v15, v17
	v_add_f32_e32 v6, v6, v17
	v_add_u32_e32 v15, 0x200, v15
	s_andn2_b64 exec, exec, s[18:19]
	s_cbranch_execnz .LBB233_114
; %bb.115:
	s_or_b64 exec, exec, s[18:19]
.LBB233_116:
	s_or_b64 exec, exec, s[12:13]
	ds_bpermute_b32 v2, v2, v6
	s_waitcnt lgkmcnt(0)
	v_add_f32_e32 v2, v6, v2
	ds_bpermute_b32 v4, v4, v2
	v_xor_b32_e32 v6, 4, v9
	v_cmp_lt_i32_e64 s[6:7], v6, v5
	v_cndmask_b32_e64 v6, v9, v6, s[6:7]
	v_lshlrev_b32_e32 v6, 2, v6
	s_waitcnt lgkmcnt(0)
	v_add_f32_e32 v2, v2, v4
	ds_bpermute_b32 v4, v10, v2
	s_waitcnt lgkmcnt(0)
	v_add_f32_e32 v2, v2, v4
	ds_bpermute_b32 v4, v6, v2
	v_xor_b32_e32 v6, 2, v9
	v_cmp_lt_i32_e64 s[6:7], v6, v5
	v_cndmask_b32_e64 v5, v9, v6, s[6:7]
	s_waitcnt lgkmcnt(0)
	v_add_f32_e32 v2, v2, v4
	v_lshlrev_b32_e32 v4, 2, v5
	ds_bpermute_b32 v4, v4, v2
	s_waitcnt lgkmcnt(0)
	v_add_f32_e32 v2, v2, v4
	ds_bpermute_b32 v4, v7, v2
	s_waitcnt lgkmcnt(0)
	v_add_f32_e32 v2, v2, v4
	s_and_saveexec_b64 s[6:7], vcc
; %bb.117:
	ds_write_b32 v1, v2 offset:264
; %bb.118:
	s_or_b64 exec, exec, s[6:7]
	s_waitcnt lgkmcnt(0)
	s_barrier
	s_and_saveexec_b64 s[6:7], s[2:3]
; %bb.119:
	ds_read_b32 v2, v3 offset:264
; %bb.120:
	s_or_b64 exec, exec, s[6:7]
	s_waitcnt lgkmcnt(0)
	ds_bpermute_b32 v1, v7, v2
	v_lshlrev_b32_e32 v3, 2, v9
	s_waitcnt lgkmcnt(0)
	v_add_f32_e32 v1, v2, v1
	v_and_b32_e32 v2, 0xffffff00, v3
	ds_bpermute_b32 v1, v2, v1
	s_and_saveexec_b64 s[2:3], s[4:5]
	s_cbranch_execz .LBB233_123
; %bb.121:
	s_waitcnt lgkmcnt(0)
	v_add_f32_e32 v2, 0x358637bd, v1
	v_div_scale_f32 v1, s[4:5], v2, v2, 1.0
	v_div_scale_f32 v3, vcc, 1.0, v2, 1.0
	s_mov_b64 s[4:5], 0
	v_rcp_f32_e32 v4, v1
	v_fma_f32 v5, -v1, v4, 1.0
	v_fmac_f32_e32 v4, v5, v4
	v_mul_f32_e32 v5, v3, v4
	v_fma_f32 v6, -v1, v5, v3
	v_fmac_f32_e32 v5, v6, v4
	v_fma_f32 v1, -v1, v5, v3
	v_div_fmas_f32 v3, v1, v4, v5
	v_mov_b32_e32 v1, 0x110
	v_lshl_add_u32 v1, v0, 2, v1
	v_div_fixup_f32 v2, v3, v2, 1.0
	v_mov_b32_e32 v3, v0
.LBB233_122:                            ; =>This Inner Loop Header: Depth=1
	ds_read_b32 v4, v1
	v_add_u32_e32 v3, 0x80, v3
	v_cmp_le_i32_e32 vcc, s31, v3
	s_or_b64 s[4:5], vcc, s[4:5]
	s_waitcnt lgkmcnt(0)
	v_mul_f32_e32 v4, v2, v4
	ds_write_b32 v1, v4
	v_add_u32_e32 v1, 0x200, v1
	s_andn2_b64 exec, exec, s[4:5]
	s_cbranch_execnz .LBB233_122
.LBB233_123:
	s_or_b64 exec, exec, s[2:3]
	v_mov_b32_e32 v15, 0
	v_mov_b32_e32 v14, 0
	s_waitcnt lgkmcnt(0)
	s_barrier
	s_and_saveexec_b64 s[2:3], s[0:1]
	s_cbranch_execz .LBB233_227
; %bb.124:
	s_ashr_i32 s0, s16, 31
	s_add_u32 s1, s28, s16
	s_addc_u32 s0, s29, s0
	v_lshlrev_b32_e32 v1, 3, v13
	s_add_i32 s28, s30, -1
	v_mov_b32_e32 v4, s0
	v_add_co_u32_e32 v3, vcc, s1, v1
	s_lshl_b64 s[0:1], s[26:27], 2
	v_mov_b32_e32 v1, 0x110
	s_add_u32 s0, s24, s0
	v_addc_co_u32_e32 v4, vcc, 0, v4, vcc
	v_lshl_add_u32 v17, v12, 5, v1
	v_and_b32_e32 v1, 60, v8
	s_addc_u32 s1, s25, s1
	s_mov_b32 s4, -1
	v_mov_b32_e32 v6, s1
	v_add_co_u32_e32 v5, vcc, s0, v1
	s_mov_b32 s31, s17
	s_mov_b32 s5, 0xffffff
	v_mov_b32_e32 v2, 0
	v_lshl_or_b32 v16, v12, 3, 7
	v_addc_co_u32_e32 v6, vcc, 0, v6, vcc
	s_mov_b64 s[6:7], 0
	s_movk_i32 s24, 0x80
	s_movk_i32 s25, 0x7f
	s_mov_b32 s26, 0x8000
	v_mov_b32_e32 v18, 0x2000
	v_mov_b32_e32 v14, 0
	;; [unrolled: 1-line block ×3, first 2 shown]
	s_branch .LBB233_126
.LBB233_125:                            ;   in Loop: Header=BB233_126 Depth=1
	s_or_b64 exec, exec, s[0:1]
	v_add_f32_e32 v7, v28, v29
	v_add_f32_e32 v15, v15, v7
	;;#ASMSTART
	v_pk_mul_f16 v7, v24, v8;

	;;#ASMEND
	;;#ASMSTART
	v_pk_mul_f16 v1, v25, v1;

	;;#ASMEND
	;; [unrolled: 4-line block ×4, first 2 shown]
	;;#ASMSTART
	v_pk_add_f16 v1, v7, v1;

	;;#ASMEND
	;;#ASMSTART
	v_pk_add_f16 v1, v1, v8;

	;;#ASMEND
	;; [unrolled: 4-line block ×3, first 2 shown]
	v_lshrrev_b32_e32 v7, 16, v1
	v_and_b32_e32 v1, 0xffff, v1
	v_add_u32_e32 v12, 2, v12
	;;#ASMSTART
	v_cvt_f32_f16 v1, v1;
	;;#ASMEND
	v_cmp_le_i32_e32 vcc, s30, v12
	;;#ASMSTART
	v_cvt_f32_f16 v7, v7;
	;;#ASMEND
	v_add_f32_e32 v1, v1, v7
	s_or_b64 s[6:7], vcc, s[6:7]
	v_add_co_u32_e32 v5, vcc, 8, v5
	v_add_f32_e32 v14, v14, v1
	v_add_u32_e32 v16, 16, v16
	v_add_u32_e32 v17, 64, v17
	v_addc_co_u32_e32 v6, vcc, 0, v6, vcc
	s_andn2_b64 exec, exec, s[6:7]
	s_cbranch_execz .LBB233_226
.LBB233_126:                            ; =>This Inner Loop Header: Depth=1
	global_load_dword v1, v[5:6], off
	ds_read2_b64 v[7:10], v17 offset1:1
	ds_read2_b64 v[19:22], v17 offset0:2 offset1:3
	s_waitcnt lgkmcnt(1)
	;;#ASMSTART
	v_cvt_f16_f32 v24, v7;

	;;#ASMEND
	;;#ASMSTART
	v_cvt_f16_f32 v25, v8;

	;;#ASMEND
	;; [unrolled: 4-line block ×4, first 2 shown]
	s_waitcnt lgkmcnt(0)
	;;#ASMSTART
	v_cvt_f16_f32 v28, v19;

	;;#ASMEND
	;;#ASMSTART
	v_cvt_f16_f32 v29, v20;

	;;#ASMEND
	;; [unrolled: 4-line block ×4, first 2 shown]
	v_mov_b32_e32 v20, 0
	s_waitcnt vmcnt(0)
	v_mad_i64_i32 v[7:8], s[0:1], v1, s31, v[3:4]
	global_load_dwordx2 v[9:10], v[7:8], off
	global_load_dword v19, v2, s[14:15]
	s_waitcnt vmcnt(1)
	v_cmp_ne_u16_sdwa s[12:13], v9, v2 src0_sel:BYTE_0 src1_sel:DWORD
	s_and_saveexec_b64 s[0:1], s[12:13]
	s_cbranch_execz .LBB233_132
; %bb.127:                              ;   in Loop: Header=BB233_126 Depth=1
	v_cmp_ne_u16_sdwa s[16:17], v9, s24 src0_sel:BYTE_0 src1_sel:DWORD
	v_mov_b32_e32 v20, 0x8000
	s_and_saveexec_b64 s[12:13], s[16:17]
	s_cbranch_execz .LBB233_131
; %bb.128:                              ;   in Loop: Header=BB233_126 Depth=1
	v_and_b32_e32 v1, 0x7f, v9
	v_cmp_ne_u32_e32 vcc, s25, v1
	v_mov_b32_e32 v20, 0x7c01
	s_and_saveexec_b64 s[16:17], vcc
	s_cbranch_execz .LBB233_130
; %bb.129:                              ;   in Loop: Header=BB233_126 Depth=1
	v_and_b32_e32 v22, 7, v9
	v_ffbh_u32_e32 v20, v22
	v_min_u32_e32 v32, 32, v20
	v_subrev_u32_e32 v20, 28, v32
	v_lshlrev_b64 v[20:21], v20, v[9:10]
	v_lshrrev_b32_e32 v23, 3, v1
	v_sub_u32_e32 v21, 29, v32
	v_cmp_gt_u32_e32 vcc, 8, v1
	v_cndmask_b32_e32 v1, v23, v21, vcc
	v_lshl_add_u32 v1, v1, 10, v18
	v_lshlrev_b32_e32 v21, 8, v9
	v_and_b32_e32 v20, 7, v20
	v_and_b32_e32 v1, 0xfc00, v1
	v_cndmask_b32_e32 v20, v22, v20, vcc
	v_and_or_b32 v1, v21, s26, v1
	v_lshl_or_b32 v20, v20, 7, v1
.LBB233_130:                            ;   in Loop: Header=BB233_126 Depth=1
	s_or_b64 exec, exec, s[16:17]
.LBB233_131:                            ;   in Loop: Header=BB233_126 Depth=1
	s_or_b64 exec, exec, s[12:13]
.LBB233_132:                            ;   in Loop: Header=BB233_126 Depth=1
	s_or_b64 exec, exec, s[0:1]
	v_lshrrev_b16_e32 v1, 8, v9
	v_cmp_ne_u16_e32 vcc, 0, v1
	v_mov_b32_e32 v22, 0
	v_mov_b32_e32 v21, 0
	s_and_saveexec_b64 s[0:1], vcc
	s_cbranch_execz .LBB233_138
; %bb.133:                              ;   in Loop: Header=BB233_126 Depth=1
	v_cmp_ne_u16_e32 vcc, s24, v1
	v_bfrev_b32_e32 v21, 1
	s_and_saveexec_b64 s[12:13], vcc
	s_cbranch_execz .LBB233_137
; %bb.134:                              ;   in Loop: Header=BB233_126 Depth=1
	v_and_b32_e32 v23, 0x7f, v1
	v_cmp_ne_u32_e32 vcc, s25, v23
	v_mov_b32_e32 v21, 0x7c010000
	s_and_saveexec_b64 s[16:17], vcc
	s_cbranch_execz .LBB233_136
; %bb.135:                              ;   in Loop: Header=BB233_126 Depth=1
	v_and_b32_e32 v21, 7, v1
	v_ffbh_u32_e32 v32, v21
	v_min_u32_e32 v35, 32, v32
	v_subrev_u32_e32 v32, 28, v35
	v_lshlrev_b64 v[32:33], v32, v[1:2]
	v_lshrrev_b32_e32 v34, 3, v23
	v_sub_u32_e32 v33, 29, v35
	v_cmp_gt_u32_e32 vcc, 8, v23
	v_cndmask_b32_e32 v23, v34, v33, vcc
	v_lshlrev_b32_e32 v1, 8, v1
	v_lshl_add_u32 v23, v23, 10, v18
	v_and_b32_e32 v32, 7, v32
	v_and_or_b32 v1, v1, s26, v23
	v_cndmask_b32_e32 v21, v21, v32, vcc
	v_lshlrev_b32_e32 v1, 16, v1
	v_lshl_or_b32 v21, v21, 23, v1
.LBB233_136:                            ;   in Loop: Header=BB233_126 Depth=1
	s_or_b64 exec, exec, s[16:17]
.LBB233_137:                            ;   in Loop: Header=BB233_126 Depth=1
	s_or_b64 exec, exec, s[12:13]
.LBB233_138:                            ;   in Loop: Header=BB233_126 Depth=1
	s_or_b64 exec, exec, s[0:1]
	v_lshrrev_b32_e32 v1, 16, v9
	v_cmp_ne_u16_sdwa s[12:13], v1, v2 src0_sel:BYTE_0 src1_sel:DWORD
	s_and_saveexec_b64 s[0:1], s[12:13]
	s_cbranch_execz .LBB233_144
; %bb.139:                              ;   in Loop: Header=BB233_126 Depth=1
	v_cmp_ne_u16_sdwa s[16:17], v1, s24 src0_sel:BYTE_0 src1_sel:DWORD
	v_mov_b32_e32 v22, 0x8000
	s_and_saveexec_b64 s[12:13], s[16:17]
	s_cbranch_execz .LBB233_143
; %bb.140:                              ;   in Loop: Header=BB233_126 Depth=1
	v_bfe_u32 v23, v9, 16, 7
	v_cmp_ne_u32_e32 vcc, s25, v23
	v_mov_b32_e32 v22, 0x7c01
	s_and_saveexec_b64 s[16:17], vcc
	s_cbranch_execz .LBB233_142
; %bb.141:                              ;   in Loop: Header=BB233_126 Depth=1
	v_and_b32_e32 v22, 7, v1
	v_ffbh_u32_e32 v32, v22
	v_min_u32_e32 v35, 32, v32
	v_subrev_u32_e32 v32, 28, v35
	v_lshlrev_b64 v[32:33], v32, v[1:2]
	v_lshrrev_b32_e32 v34, 3, v23
	v_sub_u32_e32 v33, 29, v35
	v_cmp_gt_u32_e32 vcc, 8, v23
	v_cndmask_b32_e32 v23, v34, v33, vcc
	v_lshl_add_u32 v23, v23, 10, v18
	v_lshlrev_b32_e32 v1, 8, v1
	v_and_b32_e32 v32, 7, v32
	v_and_b32_e32 v23, 0xfc00, v23
	v_cndmask_b32_e32 v22, v22, v32, vcc
	v_and_or_b32 v1, v1, s26, v23
	v_lshl_or_b32 v22, v22, 7, v1
.LBB233_142:                            ;   in Loop: Header=BB233_126 Depth=1
	s_or_b64 exec, exec, s[16:17]
.LBB233_143:                            ;   in Loop: Header=BB233_126 Depth=1
	s_or_b64 exec, exec, s[12:13]
.LBB233_144:                            ;   in Loop: Header=BB233_126 Depth=1
	s_or_b64 exec, exec, s[0:1]
	v_cmp_lt_u32_e32 vcc, s5, v9
	v_mov_b32_e32 v23, 0
	v_mov_b32_e32 v32, 0
	s_and_saveexec_b64 s[0:1], vcc
	s_cbranch_execz .LBB233_150
; %bb.145:                              ;   in Loop: Header=BB233_126 Depth=1
	v_lshrrev_b32_e32 v1, 24, v9
	v_cmp_ne_u32_e32 vcc, s24, v1
	v_bfrev_b32_e32 v32, 1
	s_and_saveexec_b64 s[12:13], vcc
	s_cbranch_execz .LBB233_149
; %bb.146:                              ;   in Loop: Header=BB233_126 Depth=1
	v_and_b32_e32 v33, 0x7f, v1
	v_cmp_ne_u32_e32 vcc, s25, v33
	v_mov_b32_e32 v32, 0x7c010000
	s_and_saveexec_b64 s[16:17], vcc
	s_cbranch_execz .LBB233_148
; %bb.147:                              ;   in Loop: Header=BB233_126 Depth=1
	v_and_b32_e32 v32, 7, v1
	v_ffbh_u32_e32 v34, v32
	v_min_u32_e32 v37, 32, v34
	v_subrev_u32_e32 v34, 28, v37
	v_lshlrev_b64 v[34:35], v34, v[1:2]
	v_lshrrev_b32_e32 v36, 3, v33
	v_sub_u32_e32 v35, 29, v37
	v_cmp_gt_u32_e32 vcc, 8, v33
	v_cndmask_b32_e32 v33, v36, v35, vcc
	v_lshlrev_b32_e32 v1, 8, v1
	v_lshl_add_u32 v33, v33, 10, v18
	v_and_b32_e32 v34, 7, v34
	v_and_or_b32 v1, v1, s26, v33
	v_cndmask_b32_e32 v32, v32, v34, vcc
	v_lshlrev_b32_e32 v1, 16, v1
	v_lshl_or_b32 v32, v32, 23, v1
.LBB233_148:                            ;   in Loop: Header=BB233_126 Depth=1
	s_or_b64 exec, exec, s[16:17]
.LBB233_149:                            ;   in Loop: Header=BB233_126 Depth=1
	s_or_b64 exec, exec, s[12:13]
.LBB233_150:                            ;   in Loop: Header=BB233_126 Depth=1
	s_or_b64 exec, exec, s[0:1]
	v_mov_b32_e32 v1, v10
	v_cmp_ne_u16_sdwa s[12:13], v10, v2 src0_sel:BYTE_0 src1_sel:DWORD
	s_and_saveexec_b64 s[0:1], s[12:13]
	s_cbranch_execz .LBB233_156
; %bb.151:                              ;   in Loop: Header=BB233_126 Depth=1
	v_cmp_ne_u16_sdwa s[16:17], v10, s24 src0_sel:BYTE_0 src1_sel:DWORD
	v_mov_b32_e32 v23, 0x8000
	s_and_saveexec_b64 s[12:13], s[16:17]
	s_cbranch_execz .LBB233_155
; %bb.152:                              ;   in Loop: Header=BB233_126 Depth=1
	v_and_b32_e32 v33, 0x7f, v10
	v_cmp_ne_u32_e32 vcc, s25, v33
	v_mov_b32_e32 v23, 0x7c01
	s_and_saveexec_b64 s[16:17], vcc
	s_cbranch_execz .LBB233_154
; %bb.153:                              ;   in Loop: Header=BB233_126 Depth=1
	v_and_b32_e32 v23, 7, v10
	v_ffbh_u32_e32 v34, v23
	v_min_u32_e32 v37, 32, v34
	v_subrev_u32_e32 v34, 28, v37
	v_lshlrev_b64 v[34:35], v34, v[1:2]
	v_lshrrev_b32_e32 v36, 3, v33
	v_sub_u32_e32 v35, 29, v37
	v_cmp_gt_u32_e32 vcc, 8, v33
	v_cndmask_b32_e32 v33, v36, v35, vcc
	v_lshl_add_u32 v33, v33, 10, v18
	v_lshlrev_b32_e32 v35, 8, v10
	v_and_b32_e32 v34, 7, v34
	v_and_b32_e32 v33, 0xfc00, v33
	v_cndmask_b32_e32 v23, v23, v34, vcc
	v_and_or_b32 v33, v35, s26, v33
	v_lshl_or_b32 v23, v23, 7, v33
.LBB233_154:                            ;   in Loop: Header=BB233_126 Depth=1
	s_or_b64 exec, exec, s[16:17]
.LBB233_155:                            ;   in Loop: Header=BB233_126 Depth=1
	s_or_b64 exec, exec, s[12:13]
.LBB233_156:                            ;   in Loop: Header=BB233_126 Depth=1
	s_or_b64 exec, exec, s[0:1]
	v_lshrrev_b16_e32 v1, 8, v1
	v_cmp_ne_u16_e32 vcc, 0, v1
	v_mov_b32_e32 v33, 0
	v_mov_b32_e32 v34, 0
	s_and_saveexec_b64 s[0:1], vcc
	s_cbranch_execz .LBB233_162
; %bb.157:                              ;   in Loop: Header=BB233_126 Depth=1
	v_cmp_ne_u16_e32 vcc, s24, v1
	v_bfrev_b32_e32 v34, 1
	s_and_saveexec_b64 s[12:13], vcc
	s_cbranch_execz .LBB233_161
; %bb.158:                              ;   in Loop: Header=BB233_126 Depth=1
	v_and_b32_e32 v35, 0x7f, v1
	v_cmp_ne_u32_e32 vcc, s25, v35
	v_mov_b32_e32 v34, 0x7c010000
	s_and_saveexec_b64 s[16:17], vcc
	s_cbranch_execz .LBB233_160
; %bb.159:                              ;   in Loop: Header=BB233_126 Depth=1
	v_and_b32_e32 v34, 7, v1
	v_ffbh_u32_e32 v36, v34
	v_min_u32_e32 v39, 32, v36
	v_subrev_u32_e32 v36, 28, v39
	v_lshlrev_b64 v[36:37], v36, v[1:2]
	v_lshrrev_b32_e32 v38, 3, v35
	v_sub_u32_e32 v37, 29, v39
	v_cmp_gt_u32_e32 vcc, 8, v35
	v_cndmask_b32_e32 v35, v38, v37, vcc
	v_lshlrev_b32_e32 v1, 8, v1
	v_lshl_add_u32 v35, v35, 10, v18
	v_and_b32_e32 v36, 7, v36
	v_and_or_b32 v1, v1, s26, v35
	v_cndmask_b32_e32 v34, v34, v36, vcc
	v_lshlrev_b32_e32 v1, 16, v1
	v_lshl_or_b32 v34, v34, 23, v1
.LBB233_160:                            ;   in Loop: Header=BB233_126 Depth=1
	s_or_b64 exec, exec, s[16:17]
.LBB233_161:                            ;   in Loop: Header=BB233_126 Depth=1
	s_or_b64 exec, exec, s[12:13]
.LBB233_162:                            ;   in Loop: Header=BB233_126 Depth=1
	s_or_b64 exec, exec, s[0:1]
	v_lshrrev_b32_e32 v1, 16, v10
	v_cmp_ne_u16_sdwa s[12:13], v1, v2 src0_sel:BYTE_0 src1_sel:DWORD
	s_and_saveexec_b64 s[0:1], s[12:13]
	s_cbranch_execz .LBB233_168
; %bb.163:                              ;   in Loop: Header=BB233_126 Depth=1
	v_cmp_ne_u16_sdwa s[16:17], v1, s24 src0_sel:BYTE_0 src1_sel:DWORD
	v_mov_b32_e32 v33, 0x8000
	s_and_saveexec_b64 s[12:13], s[16:17]
	s_cbranch_execz .LBB233_167
; %bb.164:                              ;   in Loop: Header=BB233_126 Depth=1
	v_bfe_u32 v35, v10, 16, 7
	v_cmp_ne_u32_e32 vcc, s25, v35
	v_mov_b32_e32 v33, 0x7c01
	s_and_saveexec_b64 s[16:17], vcc
	s_cbranch_execz .LBB233_166
; %bb.165:                              ;   in Loop: Header=BB233_126 Depth=1
	v_and_b32_e32 v33, 7, v1
	v_ffbh_u32_e32 v36, v33
	v_min_u32_e32 v39, 32, v36
	v_subrev_u32_e32 v36, 28, v39
	v_lshlrev_b64 v[36:37], v36, v[1:2]
	v_lshrrev_b32_e32 v38, 3, v35
	v_sub_u32_e32 v37, 29, v39
	v_cmp_gt_u32_e32 vcc, 8, v35
	v_cndmask_b32_e32 v35, v38, v37, vcc
	v_lshl_add_u32 v35, v35, 10, v18
	v_lshlrev_b32_e32 v1, 8, v1
	v_and_b32_e32 v36, 7, v36
	v_and_b32_e32 v35, 0xfc00, v35
	v_cndmask_b32_e32 v33, v33, v36, vcc
	v_and_or_b32 v1, v1, s26, v35
	v_lshl_or_b32 v33, v33, 7, v1
.LBB233_166:                            ;   in Loop: Header=BB233_126 Depth=1
	s_or_b64 exec, exec, s[16:17]
.LBB233_167:                            ;   in Loop: Header=BB233_126 Depth=1
	s_or_b64 exec, exec, s[12:13]
.LBB233_168:                            ;   in Loop: Header=BB233_126 Depth=1
	s_or_b64 exec, exec, s[0:1]
	v_cmp_lt_u64_e32 vcc, s[4:5], v[9:10]
	v_mov_b32_e32 v35, 0
	s_and_saveexec_b64 s[0:1], vcc
	s_cbranch_execz .LBB233_174
; %bb.169:                              ;   in Loop: Header=BB233_126 Depth=1
	v_lshrrev_b32_e32 v1, 24, v10
	v_cmp_ne_u32_e32 vcc, s24, v1
	v_bfrev_b32_e32 v35, 1
	s_and_saveexec_b64 s[12:13], vcc
	s_cbranch_execz .LBB233_173
; %bb.170:                              ;   in Loop: Header=BB233_126 Depth=1
	v_and_b32_e32 v9, 0x7f, v1
	v_cmp_ne_u32_e32 vcc, s25, v9
	v_mov_b32_e32 v35, 0x7c010000
	s_and_saveexec_b64 s[16:17], vcc
	s_cbranch_execz .LBB233_172
; %bb.171:                              ;   in Loop: Header=BB233_126 Depth=1
	v_and_b32_e32 v10, 7, v1
	v_ffbh_u32_e32 v35, v10
	v_min_u32_e32 v38, 32, v35
	v_subrev_u32_e32 v35, 28, v38
	v_lshlrev_b64 v[35:36], v35, v[1:2]
	v_lshrrev_b32_e32 v37, 3, v9
	v_sub_u32_e32 v36, 29, v38
	v_cmp_gt_u32_e32 vcc, 8, v9
	v_cndmask_b32_e32 v9, v37, v36, vcc
	v_lshlrev_b32_e32 v1, 8, v1
	v_lshl_add_u32 v9, v9, 10, v18
	v_and_b32_e32 v35, 7, v35
	v_and_or_b32 v1, v1, s26, v9
	v_cndmask_b32_e32 v10, v10, v35, vcc
	v_lshlrev_b32_e32 v1, 16, v1
	v_lshl_or_b32 v35, v10, 23, v1
.LBB233_172:                            ;   in Loop: Header=BB233_126 Depth=1
	s_or_b64 exec, exec, s[16:17]
.LBB233_173:                            ;   in Loop: Header=BB233_126 Depth=1
	s_or_b64 exec, exec, s[12:13]
.LBB233_174:                            ;   in Loop: Header=BB233_126 Depth=1
	s_or_b64 exec, exec, s[0:1]
	s_waitcnt vmcnt(0)
	v_fma_mixlo_f16 v10, v19, v32, 0 op_sel:[0,1,0] op_sel_hi:[0,1,0]
	v_lshlrev_b32_e32 v36, 16, v10
	v_or_b32_e32 v10, v21, v20
	v_fma_mixlo_f16 v10, v19, v10, 0 op_sel_hi:[0,1,0]
	v_and_b32_e32 v42, 0xffff, v10
	v_or_b32_e32 v10, v34, v23
	v_fma_mixlo_f16 v10, v19, v10, 0 op_sel_hi:[0,1,0]
	v_or_b32_e32 v1, v32, v22
	v_fma_mixlo_f16 v20, v19, v21, 0 op_sel:[0,1,0] op_sel_hi:[0,1,0]
	v_and_b32_e32 v40, 0xffff, v10
	v_or_b32_e32 v10, v35, v33
	v_fma_mixlo_f16 v1, v19, v1, 0 op_sel_hi:[0,1,0]
	v_lshlrev_b32_e32 v39, 16, v20
	v_fma_mixlo_f16 v20, v19, v34, 0 op_sel:[0,1,0] op_sel_hi:[0,1,0]
	v_fma_mixlo_f16 v10, v19, v10, 0 op_sel_hi:[0,1,0]
	v_fma_mixlo_f16 v19, v19, v35, 0 op_sel:[0,1,0] op_sel_hi:[0,1,0]
	v_and_b32_e32 v37, 0xffff, v1
	v_lshlrev_b32_e32 v38, 16, v20
	v_lshlrev_b32_e32 v35, 16, v19
	v_and_b32_e32 v41, 0xffff, v10
	v_add_u32_e32 v9, -7, v16
	v_cmp_eq_u32_e32 vcc, s28, v12
	v_or_b32_e32 v1, v36, v37
	v_or_b32_e32 v32, v39, v42
	;; [unrolled: 1-line block ×4, first 2 shown]
	v_add_u32_e32 v23, -6, v16
	v_add_u32_e32 v22, -5, v16
	;; [unrolled: 1-line block ×6, first 2 shown]
	s_and_saveexec_b64 s[12:13], vcc
	s_cbranch_execz .LBB233_176
; %bb.175:                              ;   in Loop: Header=BB233_126 Depth=1
	v_cmp_gt_i32_e64 s[0:1], s11, v9
	v_cndmask_b32_e64 v1, 0, v42, s[0:1]
	v_cmp_gt_i32_e64 s[0:1], s11, v23
	v_cndmask_b32_e64 v32, 0, v39, s[0:1]
	v_cmp_gt_i32_e64 s[0:1], s11, v22
	v_or_b32_e32 v32, v32, v1
	v_cndmask_b32_e64 v1, 0, v37, s[0:1]
	v_cmp_gt_i32_e64 s[0:1], s11, v21
	v_cndmask_b32_e64 v33, 0, v36, s[0:1]
	v_cmp_gt_i32_e64 s[0:1], s11, v20
	v_or_b32_e32 v1, v33, v1
	;; [unrolled: 5-line block ×3, first 2 shown]
	v_cndmask_b32_e64 v33, 0, v41, s[0:1]
	v_cmp_gt_i32_e64 s[0:1], s11, v16
	v_cndmask_b32_e64 v35, 0, v35, s[0:1]
	v_or_b32_e32 v33, v35, v33
.LBB233_176:                            ;   in Loop: Header=BB233_126 Depth=1
	s_or_b64 exec, exec, s[12:13]
	v_and_b32_e32 v24, 0xffff, v24
	v_lshl_or_b32 v24, v25, 16, v24
	v_and_b32_e32 v25, 0xffff, v26
	v_lshl_or_b32 v25, v27, 16, v25
	v_and_b32_e32 v26, 0xffff, v28
	v_and_b32_e32 v27, 0xffff, v30
	;;#ASMSTART
	v_pk_mul_f16 v28, v24, v32;

	;;#ASMEND
	;;#ASMSTART
	v_pk_mul_f16 v1, v25, v1;

	;;#ASMEND
	v_lshl_or_b32 v26, v29, 16, v26
	v_lshl_or_b32 v27, v31, 16, v27
	;;#ASMSTART
	v_pk_mul_f16 v29, v26, v34;

	;;#ASMEND
	;;#ASMSTART
	v_pk_mul_f16 v30, v27, v33;

	;;#ASMEND
	;;#ASMSTART
	v_pk_add_f16 v1, v28, v1;

	;;#ASMEND
	;;#ASMSTART
	v_pk_add_f16 v1, v1, v29;
	;; [unrolled: 4-line block ×3, first 2 shown]

	;;#ASMEND
	v_lshrrev_b32_e32 v29, 16, v1
	v_and_b32_e32 v1, 0xffff, v1
	;;#ASMSTART
	v_cvt_f32_f16 v28, v1;
	;;#ASMEND
	;;#ASMSTART
	v_cvt_f32_f16 v29, v29;
	;;#ASMEND
	global_load_dwordx2 v[7:8], v[7:8], off offset:512
	v_mov_b32_e32 v31, 0
	global_load_dword v30, v31, s[14:15]
	v_mov_b32_e32 v32, 0
	s_waitcnt vmcnt(1)
	v_cmp_ne_u16_sdwa s[0:1], v7, v2 src0_sel:BYTE_0 src1_sel:DWORD
	s_and_saveexec_b64 s[12:13], s[0:1]
	s_cbranch_execz .LBB233_182
; %bb.177:                              ;   in Loop: Header=BB233_126 Depth=1
	v_cmp_ne_u16_sdwa s[0:1], v7, s24 src0_sel:BYTE_0 src1_sel:DWORD
	v_mov_b32_e32 v32, 0x8000
	s_and_saveexec_b64 s[16:17], s[0:1]
	s_cbranch_execz .LBB233_181
; %bb.178:                              ;   in Loop: Header=BB233_126 Depth=1
	v_and_b32_e32 v1, 0x7f, v7
	v_cmp_ne_u32_e64 s[0:1], s25, v1
	v_mov_b32_e32 v32, 0x7c01
	s_and_saveexec_b64 s[18:19], s[0:1]
	s_cbranch_execz .LBB233_180
; %bb.179:                              ;   in Loop: Header=BB233_126 Depth=1
	v_and_b32_e32 v34, 7, v7
	v_ffbh_u32_e32 v32, v34
	v_min_u32_e32 v36, 32, v32
	v_subrev_u32_e32 v32, 28, v36
	v_lshlrev_b64 v[32:33], v32, v[7:8]
	v_lshrrev_b32_e32 v35, 3, v1
	v_sub_u32_e32 v33, 29, v36
	v_cmp_gt_u32_e64 s[0:1], 8, v1
	v_cndmask_b32_e64 v1, v35, v33, s[0:1]
	v_lshl_add_u32 v1, v1, 10, v18
	v_lshlrev_b32_e32 v33, 8, v7
	v_and_b32_e32 v32, 7, v32
	v_and_b32_e32 v1, 0xfc00, v1
	v_cndmask_b32_e64 v32, v34, v32, s[0:1]
	v_and_or_b32 v1, v33, s26, v1
	v_lshl_or_b32 v32, v32, 7, v1
.LBB233_180:                            ;   in Loop: Header=BB233_126 Depth=1
	s_or_b64 exec, exec, s[18:19]
.LBB233_181:                            ;   in Loop: Header=BB233_126 Depth=1
	s_or_b64 exec, exec, s[16:17]
.LBB233_182:                            ;   in Loop: Header=BB233_126 Depth=1
	s_or_b64 exec, exec, s[12:13]
	v_lshrrev_b16_e32 v1, 8, v7
	v_cmp_ne_u16_e64 s[0:1], 0, v1
	s_and_saveexec_b64 s[12:13], s[0:1]
	s_cbranch_execz .LBB233_188
; %bb.183:                              ;   in Loop: Header=BB233_126 Depth=1
	v_cmp_ne_u16_e64 s[0:1], s24, v1
	v_bfrev_b32_e32 v31, 1
	s_and_saveexec_b64 s[16:17], s[0:1]
	s_cbranch_execz .LBB233_187
; %bb.184:                              ;   in Loop: Header=BB233_126 Depth=1
	v_and_b32_e32 v33, 0x7f, v1
	v_cmp_ne_u32_e64 s[0:1], s25, v33
	v_mov_b32_e32 v31, 0x7c010000
	s_and_saveexec_b64 s[18:19], s[0:1]
	s_cbranch_execz .LBB233_186
; %bb.185:                              ;   in Loop: Header=BB233_126 Depth=1
	v_and_b32_e32 v31, 7, v1
	v_ffbh_u32_e32 v34, v31
	v_min_u32_e32 v37, 32, v34
	v_subrev_u32_e32 v34, 28, v37
	v_lshlrev_b64 v[34:35], v34, v[1:2]
	v_lshrrev_b32_e32 v36, 3, v33
	v_sub_u32_e32 v35, 29, v37
	v_cmp_gt_u32_e64 s[0:1], 8, v33
	v_cndmask_b32_e64 v33, v36, v35, s[0:1]
	v_lshlrev_b32_e32 v1, 8, v1
	v_lshl_add_u32 v33, v33, 10, v18
	v_and_b32_e32 v34, 7, v34
	v_and_or_b32 v1, v1, s26, v33
	v_cndmask_b32_e64 v31, v31, v34, s[0:1]
	v_lshlrev_b32_e32 v1, 16, v1
	v_lshl_or_b32 v31, v31, 23, v1
.LBB233_186:                            ;   in Loop: Header=BB233_126 Depth=1
	s_or_b64 exec, exec, s[18:19]
.LBB233_187:                            ;   in Loop: Header=BB233_126 Depth=1
	s_or_b64 exec, exec, s[16:17]
.LBB233_188:                            ;   in Loop: Header=BB233_126 Depth=1
	s_or_b64 exec, exec, s[12:13]
	v_lshrrev_b32_e32 v1, 16, v7
	v_cmp_ne_u16_sdwa s[0:1], v1, v2 src0_sel:BYTE_0 src1_sel:DWORD
	v_mov_b32_e32 v33, 0
	v_mov_b32_e32 v34, 0
	s_and_saveexec_b64 s[12:13], s[0:1]
	s_cbranch_execz .LBB233_194
; %bb.189:                              ;   in Loop: Header=BB233_126 Depth=1
	v_cmp_ne_u16_sdwa s[0:1], v1, s24 src0_sel:BYTE_0 src1_sel:DWORD
	v_mov_b32_e32 v34, 0x8000
	s_and_saveexec_b64 s[16:17], s[0:1]
	s_cbranch_execz .LBB233_193
; %bb.190:                              ;   in Loop: Header=BB233_126 Depth=1
	v_bfe_u32 v35, v7, 16, 7
	v_cmp_ne_u32_e64 s[0:1], s25, v35
	v_mov_b32_e32 v34, 0x7c01
	s_and_saveexec_b64 s[18:19], s[0:1]
	s_cbranch_execz .LBB233_192
; %bb.191:                              ;   in Loop: Header=BB233_126 Depth=1
	v_and_b32_e32 v34, 7, v1
	v_ffbh_u32_e32 v36, v34
	v_min_u32_e32 v39, 32, v36
	v_subrev_u32_e32 v36, 28, v39
	v_lshlrev_b64 v[36:37], v36, v[1:2]
	v_lshrrev_b32_e32 v38, 3, v35
	v_sub_u32_e32 v37, 29, v39
	v_cmp_gt_u32_e64 s[0:1], 8, v35
	v_cndmask_b32_e64 v35, v38, v37, s[0:1]
	v_lshl_add_u32 v35, v35, 10, v18
	v_lshlrev_b32_e32 v1, 8, v1
	v_and_b32_e32 v36, 7, v36
	v_and_b32_e32 v35, 0xfc00, v35
	v_cndmask_b32_e64 v34, v34, v36, s[0:1]
	v_and_or_b32 v1, v1, s26, v35
	v_lshl_or_b32 v34, v34, 7, v1
.LBB233_192:                            ;   in Loop: Header=BB233_126 Depth=1
	s_or_b64 exec, exec, s[18:19]
.LBB233_193:                            ;   in Loop: Header=BB233_126 Depth=1
	s_or_b64 exec, exec, s[16:17]
.LBB233_194:                            ;   in Loop: Header=BB233_126 Depth=1
	s_or_b64 exec, exec, s[12:13]
	v_cmp_lt_u32_e64 s[0:1], s5, v7
	s_and_saveexec_b64 s[12:13], s[0:1]
	s_cbranch_execz .LBB233_200
; %bb.195:                              ;   in Loop: Header=BB233_126 Depth=1
	v_lshrrev_b32_e32 v1, 24, v7
	v_cmp_ne_u32_e64 s[0:1], s24, v1
	v_bfrev_b32_e32 v33, 1
	s_and_saveexec_b64 s[16:17], s[0:1]
	s_cbranch_execz .LBB233_199
; %bb.196:                              ;   in Loop: Header=BB233_126 Depth=1
	v_and_b32_e32 v35, 0x7f, v1
	v_cmp_ne_u32_e64 s[0:1], s25, v35
	v_mov_b32_e32 v33, 0x7c010000
	s_and_saveexec_b64 s[18:19], s[0:1]
	s_cbranch_execz .LBB233_198
; %bb.197:                              ;   in Loop: Header=BB233_126 Depth=1
	v_and_b32_e32 v33, 7, v1
	v_ffbh_u32_e32 v36, v33
	v_min_u32_e32 v39, 32, v36
	v_subrev_u32_e32 v36, 28, v39
	v_lshlrev_b64 v[36:37], v36, v[1:2]
	v_lshrrev_b32_e32 v38, 3, v35
	v_sub_u32_e32 v37, 29, v39
	v_cmp_gt_u32_e64 s[0:1], 8, v35
	v_cndmask_b32_e64 v35, v38, v37, s[0:1]
	v_lshlrev_b32_e32 v1, 8, v1
	v_lshl_add_u32 v35, v35, 10, v18
	v_and_b32_e32 v36, 7, v36
	v_and_or_b32 v1, v1, s26, v35
	v_cndmask_b32_e64 v33, v33, v36, s[0:1]
	v_lshlrev_b32_e32 v1, 16, v1
	v_lshl_or_b32 v33, v33, 23, v1
.LBB233_198:                            ;   in Loop: Header=BB233_126 Depth=1
	s_or_b64 exec, exec, s[18:19]
.LBB233_199:                            ;   in Loop: Header=BB233_126 Depth=1
	s_or_b64 exec, exec, s[16:17]
.LBB233_200:                            ;   in Loop: Header=BB233_126 Depth=1
	s_or_b64 exec, exec, s[12:13]
	v_mov_b32_e32 v1, v8
	v_cmp_ne_u16_sdwa s[0:1], v8, v2 src0_sel:BYTE_0 src1_sel:DWORD
	v_mov_b32_e32 v35, 0
	v_mov_b32_e32 v36, 0
	s_and_saveexec_b64 s[12:13], s[0:1]
	s_cbranch_execz .LBB233_206
; %bb.201:                              ;   in Loop: Header=BB233_126 Depth=1
	v_cmp_ne_u16_sdwa s[0:1], v8, s24 src0_sel:BYTE_0 src1_sel:DWORD
	v_mov_b32_e32 v36, 0x8000
	s_and_saveexec_b64 s[16:17], s[0:1]
	s_cbranch_execz .LBB233_205
; %bb.202:                              ;   in Loop: Header=BB233_126 Depth=1
	v_and_b32_e32 v37, 0x7f, v8
	v_cmp_ne_u32_e64 s[0:1], s25, v37
	v_mov_b32_e32 v36, 0x7c01
	s_and_saveexec_b64 s[18:19], s[0:1]
	s_cbranch_execz .LBB233_204
; %bb.203:                              ;   in Loop: Header=BB233_126 Depth=1
	v_and_b32_e32 v36, 7, v8
	v_ffbh_u32_e32 v38, v36
	v_min_u32_e32 v41, 32, v38
	v_subrev_u32_e32 v38, 28, v41
	v_lshlrev_b64 v[38:39], v38, v[1:2]
	v_lshrrev_b32_e32 v40, 3, v37
	v_sub_u32_e32 v39, 29, v41
	v_cmp_gt_u32_e64 s[0:1], 8, v37
	v_cndmask_b32_e64 v37, v40, v39, s[0:1]
	v_lshl_add_u32 v37, v37, 10, v18
	v_lshlrev_b32_e32 v39, 8, v8
	v_and_b32_e32 v38, 7, v38
	v_and_b32_e32 v37, 0xfc00, v37
	v_cndmask_b32_e64 v36, v36, v38, s[0:1]
	v_and_or_b32 v37, v39, s26, v37
	v_lshl_or_b32 v36, v36, 7, v37
.LBB233_204:                            ;   in Loop: Header=BB233_126 Depth=1
	s_or_b64 exec, exec, s[18:19]
.LBB233_205:                            ;   in Loop: Header=BB233_126 Depth=1
	s_or_b64 exec, exec, s[16:17]
.LBB233_206:                            ;   in Loop: Header=BB233_126 Depth=1
	s_or_b64 exec, exec, s[12:13]
	v_lshrrev_b16_e32 v1, 8, v1
	v_cmp_ne_u16_e64 s[0:1], 0, v1
	v_mov_b32_e32 v37, 0
	s_and_saveexec_b64 s[12:13], s[0:1]
	s_cbranch_execz .LBB233_212
; %bb.207:                              ;   in Loop: Header=BB233_126 Depth=1
	v_cmp_ne_u16_e64 s[0:1], s24, v1
	v_bfrev_b32_e32 v37, 1
	s_and_saveexec_b64 s[16:17], s[0:1]
	s_cbranch_execz .LBB233_211
; %bb.208:                              ;   in Loop: Header=BB233_126 Depth=1
	v_and_b32_e32 v38, 0x7f, v1
	v_cmp_ne_u32_e64 s[0:1], s25, v38
	v_mov_b32_e32 v37, 0x7c010000
	s_and_saveexec_b64 s[18:19], s[0:1]
	s_cbranch_execz .LBB233_210
; %bb.209:                              ;   in Loop: Header=BB233_126 Depth=1
	v_and_b32_e32 v37, 7, v1
	v_ffbh_u32_e32 v39, v37
	v_min_u32_e32 v42, 32, v39
	v_subrev_u32_e32 v39, 28, v42
	v_lshlrev_b64 v[39:40], v39, v[1:2]
	v_lshrrev_b32_e32 v41, 3, v38
	v_sub_u32_e32 v40, 29, v42
	v_cmp_gt_u32_e64 s[0:1], 8, v38
	v_cndmask_b32_e64 v38, v41, v40, s[0:1]
	v_lshlrev_b32_e32 v1, 8, v1
	v_lshl_add_u32 v38, v38, 10, v18
	v_and_b32_e32 v39, 7, v39
	v_and_or_b32 v1, v1, s26, v38
	v_cndmask_b32_e64 v37, v37, v39, s[0:1]
	v_lshlrev_b32_e32 v1, 16, v1
	v_lshl_or_b32 v37, v37, 23, v1
.LBB233_210:                            ;   in Loop: Header=BB233_126 Depth=1
	s_or_b64 exec, exec, s[18:19]
.LBB233_211:                            ;   in Loop: Header=BB233_126 Depth=1
	s_or_b64 exec, exec, s[16:17]
.LBB233_212:                            ;   in Loop: Header=BB233_126 Depth=1
	s_or_b64 exec, exec, s[12:13]
	v_lshrrev_b32_e32 v1, 16, v8
	v_cmp_ne_u16_sdwa s[0:1], v1, v2 src0_sel:BYTE_0 src1_sel:DWORD
	s_and_saveexec_b64 s[12:13], s[0:1]
	s_cbranch_execz .LBB233_218
; %bb.213:                              ;   in Loop: Header=BB233_126 Depth=1
	v_cmp_ne_u16_sdwa s[0:1], v1, s24 src0_sel:BYTE_0 src1_sel:DWORD
	v_mov_b32_e32 v35, 0x8000
	s_and_saveexec_b64 s[16:17], s[0:1]
	s_cbranch_execz .LBB233_217
; %bb.214:                              ;   in Loop: Header=BB233_126 Depth=1
	v_bfe_u32 v38, v8, 16, 7
	v_cmp_ne_u32_e64 s[0:1], s25, v38
	v_mov_b32_e32 v35, 0x7c01
	s_and_saveexec_b64 s[18:19], s[0:1]
	s_cbranch_execz .LBB233_216
; %bb.215:                              ;   in Loop: Header=BB233_126 Depth=1
	v_and_b32_e32 v35, 7, v1
	v_ffbh_u32_e32 v39, v35
	v_min_u32_e32 v42, 32, v39
	v_subrev_u32_e32 v39, 28, v42
	v_lshlrev_b64 v[39:40], v39, v[1:2]
	v_lshrrev_b32_e32 v41, 3, v38
	v_sub_u32_e32 v40, 29, v42
	v_cmp_gt_u32_e64 s[0:1], 8, v38
	v_cndmask_b32_e64 v38, v41, v40, s[0:1]
	v_lshl_add_u32 v38, v38, 10, v18
	v_lshlrev_b32_e32 v1, 8, v1
	v_and_b32_e32 v39, 7, v39
	v_and_b32_e32 v38, 0xfc00, v38
	v_cndmask_b32_e64 v35, v35, v39, s[0:1]
	v_and_or_b32 v1, v1, s26, v38
	v_lshl_or_b32 v35, v35, 7, v1
.LBB233_216:                            ;   in Loop: Header=BB233_126 Depth=1
	s_or_b64 exec, exec, s[18:19]
.LBB233_217:                            ;   in Loop: Header=BB233_126 Depth=1
	s_or_b64 exec, exec, s[16:17]
.LBB233_218:                            ;   in Loop: Header=BB233_126 Depth=1
	s_or_b64 exec, exec, s[12:13]
	v_cmp_lt_u64_e64 s[0:1], s[4:5], v[7:8]
	v_mov_b32_e32 v7, 0
	s_and_saveexec_b64 s[12:13], s[0:1]
	s_cbranch_execz .LBB233_224
; %bb.219:                              ;   in Loop: Header=BB233_126 Depth=1
	v_lshrrev_b32_e32 v1, 24, v8
	v_cmp_ne_u32_e64 s[0:1], s24, v1
	v_bfrev_b32_e32 v7, 1
	s_and_saveexec_b64 s[16:17], s[0:1]
	s_cbranch_execz .LBB233_223
; %bb.220:                              ;   in Loop: Header=BB233_126 Depth=1
	v_and_b32_e32 v8, 0x7f, v1
	v_cmp_ne_u32_e64 s[0:1], s25, v8
	v_mov_b32_e32 v7, 0x7c010000
	s_and_saveexec_b64 s[18:19], s[0:1]
	s_cbranch_execz .LBB233_222
; %bb.221:                              ;   in Loop: Header=BB233_126 Depth=1
	v_and_b32_e32 v7, 7, v1
	v_ffbh_u32_e32 v38, v7
	v_min_u32_e32 v41, 32, v38
	v_subrev_u32_e32 v38, 28, v41
	v_lshlrev_b64 v[38:39], v38, v[1:2]
	v_lshrrev_b32_e32 v40, 3, v8
	v_sub_u32_e32 v39, 29, v41
	v_cmp_gt_u32_e64 s[0:1], 8, v8
	v_cndmask_b32_e64 v8, v40, v39, s[0:1]
	v_lshlrev_b32_e32 v1, 8, v1
	v_lshl_add_u32 v8, v8, 10, v18
	v_and_b32_e32 v38, 7, v38
	v_and_or_b32 v1, v1, s26, v8
	v_cndmask_b32_e64 v7, v7, v38, s[0:1]
	v_lshlrev_b32_e32 v1, 16, v1
	v_lshl_or_b32 v7, v7, 23, v1
.LBB233_222:                            ;   in Loop: Header=BB233_126 Depth=1
	s_or_b64 exec, exec, s[18:19]
.LBB233_223:                            ;   in Loop: Header=BB233_126 Depth=1
	s_or_b64 exec, exec, s[16:17]
.LBB233_224:                            ;   in Loop: Header=BB233_126 Depth=1
	s_or_b64 exec, exec, s[12:13]
	s_waitcnt vmcnt(0)
	v_fma_mixlo_f16 v8, v30, v33, 0 op_sel:[0,1,0] op_sel_hi:[0,1,0]
	v_or_b32_e32 v1, v33, v34
	v_lshlrev_b32_e32 v33, 16, v8
	v_or_b32_e32 v8, v31, v32
	v_fma_mixlo_f16 v31, v30, v31, 0 op_sel:[0,1,0] op_sel_hi:[0,1,0]
	v_lshlrev_b32_e32 v38, 16, v31
	v_or_b32_e32 v31, v37, v36
	v_or_b32_e32 v35, v7, v35
	v_fma_mixlo_f16 v1, v30, v1, 0 op_sel_hi:[0,1,0]
	v_fma_mixlo_f16 v8, v30, v8, 0 op_sel_hi:[0,1,0]
	v_fma_mixlo_f16 v32, v30, v37, 0 op_sel:[0,1,0] op_sel_hi:[0,1,0]
	v_fma_mixlo_f16 v31, v30, v31, 0 op_sel_hi:[0,1,0]
	v_fma_mixlo_f16 v35, v30, v35, 0 op_sel_hi:[0,1,0]
	v_fma_mixlo_f16 v7, v30, v7, 0 op_sel:[0,1,0] op_sel_hi:[0,1,0]
	v_and_b32_e32 v34, 0xffff, v1
	v_and_b32_e32 v39, 0xffff, v8
	v_lshlrev_b32_e32 v32, 16, v32
	v_and_b32_e32 v36, 0xffff, v31
	v_lshlrev_b32_e32 v7, 16, v7
	v_and_b32_e32 v35, 0xffff, v35
	v_or_b32_e32 v1, v33, v34
	v_or_b32_e32 v8, v38, v39
	v_or_b32_e32 v31, v32, v36
	v_or_b32_e32 v30, v7, v35
	s_and_saveexec_b64 s[0:1], vcc
	s_cbranch_execz .LBB233_125
; %bb.225:                              ;   in Loop: Header=BB233_126 Depth=1
	v_cmp_gt_i32_e32 vcc, s11, v9
	v_cndmask_b32_e32 v1, 0, v39, vcc
	v_cmp_gt_i32_e32 vcc, s11, v23
	v_cndmask_b32_e32 v8, 0, v38, vcc
	v_cmp_gt_i32_e32 vcc, s11, v22
	v_or_b32_e32 v8, v8, v1
	v_cndmask_b32_e32 v1, 0, v34, vcc
	v_cmp_gt_i32_e32 vcc, s11, v21
	v_cndmask_b32_e32 v9, 0, v33, vcc
	v_cmp_gt_i32_e32 vcc, s11, v20
	v_or_b32_e32 v1, v9, v1
	;; [unrolled: 5-line block ×3, first 2 shown]
	v_cndmask_b32_e32 v9, 0, v35, vcc
	v_cmp_gt_i32_e32 vcc, s11, v16
	v_cndmask_b32_e32 v7, 0, v7, vcc
	v_or_b32_e32 v30, v7, v9
	s_branch .LBB233_125
.LBB233_226:
	s_or_b64 exec, exec, s[6:7]
.LBB233_227:
	s_or_b64 exec, exec, s[2:3]
	v_and_b32_e32 v1, 0x3c0, v0
	v_cmp_eq_u32_e32 vcc, 64, v1
	s_barrier
	s_and_saveexec_b64 s[0:1], vcc
; %bb.228:
	v_mov_b32_e32 v1, 0x110
	v_lshl_add_u32 v1, v13, 2, v1
	ds_write2st64_b32 v1, v15, v14 offset1:1
; %bb.229:
	s_or_b64 exec, exec, s[0:1]
	v_cmp_gt_u32_e32 vcc, 64, v0
	s_waitcnt lgkmcnt(0)
	s_barrier
	s_and_saveexec_b64 s[0:1], vcc
	s_cbranch_execz .LBB233_231
; %bb.230:
	v_mov_b32_e32 v1, 0x110
	v_lshl_add_u32 v0, v0, 2, v1
	ds_read2st64_b32 v[0:1], v0 offset1:1
	s_waitcnt lgkmcnt(0)
	v_add_f32_e32 v15, v15, v0
	v_add_f32_e32 v14, v14, v1
.LBB233_231:
	s_or_b64 exec, exec, s[0:1]
	s_barrier
	s_and_saveexec_b64 s[0:1], vcc
	s_cbranch_execz .LBB233_233
; %bb.232:
	s_mul_i32 s0, s10, s21
	s_mul_i32 s0, s0, s9
	s_lshl_b32 s0, s0, 7
	s_ashr_i32 s1, s0, 31
	s_lshl_b64 s[0:1], s[0:1], 1
	s_add_u32 s2, s22, s0
	s_mul_i32 s0, s21, s20
	s_addc_u32 s3, s23, s1
	s_ashr_i32 s1, s0, 31
	s_lshl_b64 s[0:1], s[0:1], 1
	s_add_u32 s2, s2, s0
	s_addc_u32 s3, s3, s1
	s_lshl_b32 s0, s8, 7
	s_ashr_i32 s1, s0, 31
	s_lshl_b64 s[0:1], s[0:1], 1
	s_add_u32 s0, s2, s0
	s_addc_u32 s1, s3, s1
	;;#ASMSTART
	v_cvt_f16_f32 v0, v15;

	;;#ASMEND
	global_store_short v11, v0, s[0:1]
	;;#ASMSTART
	v_cvt_f16_f32 v0, v14;

	;;#ASMEND
	global_store_short v11, v0, s[0:1] offset:128
.LBB233_233:
	s_endpgm
	.section	.rodata,"a",@progbits
	.p2align	6, 0x0
	.amdhsa_kernel _ZN4vllm25paged_attention_v1_kernelIthLi128ELi8ELi128ELNS_18Fp8KVCacheDataTypeE1ELb0EEEvPT_PKS2_PKT0_S8_ifPKiSA_iPKfiiiSC_SC_iiiii
		.amdhsa_group_segment_fixed_size 272
		.amdhsa_private_segment_fixed_size 0
		.amdhsa_kernarg_size 384
		.amdhsa_user_sgpr_count 6
		.amdhsa_user_sgpr_private_segment_buffer 1
		.amdhsa_user_sgpr_dispatch_ptr 0
		.amdhsa_user_sgpr_queue_ptr 0
		.amdhsa_user_sgpr_kernarg_segment_ptr 1
		.amdhsa_user_sgpr_dispatch_id 0
		.amdhsa_user_sgpr_flat_scratch_init 0
		.amdhsa_user_sgpr_private_segment_size 0
		.amdhsa_uses_dynamic_stack 0
		.amdhsa_system_sgpr_private_segment_wavefront_offset 0
		.amdhsa_system_sgpr_workgroup_id_x 1
		.amdhsa_system_sgpr_workgroup_id_y 1
		.amdhsa_system_sgpr_workgroup_id_z 1
		.amdhsa_system_sgpr_workgroup_info 0
		.amdhsa_system_vgpr_workitem_id 0
		.amdhsa_next_free_vgpr 46
		.amdhsa_next_free_sgpr 44
		.amdhsa_reserve_vcc 1
		.amdhsa_reserve_flat_scratch 0
		.amdhsa_float_round_mode_32 0
		.amdhsa_float_round_mode_16_64 0
		.amdhsa_float_denorm_mode_32 3
		.amdhsa_float_denorm_mode_16_64 3
		.amdhsa_dx10_clamp 1
		.amdhsa_ieee_mode 1
		.amdhsa_fp16_overflow 0
		.amdhsa_exception_fp_ieee_invalid_op 0
		.amdhsa_exception_fp_denorm_src 0
		.amdhsa_exception_fp_ieee_div_zero 0
		.amdhsa_exception_fp_ieee_overflow 0
		.amdhsa_exception_fp_ieee_underflow 0
		.amdhsa_exception_fp_ieee_inexact 0
		.amdhsa_exception_int_div_zero 0
	.end_amdhsa_kernel
	.section	.text._ZN4vllm25paged_attention_v1_kernelIthLi128ELi8ELi128ELNS_18Fp8KVCacheDataTypeE1ELb0EEEvPT_PKS2_PKT0_S8_ifPKiSA_iPKfiiiSC_SC_iiiii,"axG",@progbits,_ZN4vllm25paged_attention_v1_kernelIthLi128ELi8ELi128ELNS_18Fp8KVCacheDataTypeE1ELb0EEEvPT_PKS2_PKT0_S8_ifPKiSA_iPKfiiiSC_SC_iiiii,comdat
.Lfunc_end233:
	.size	_ZN4vllm25paged_attention_v1_kernelIthLi128ELi8ELi128ELNS_18Fp8KVCacheDataTypeE1ELb0EEEvPT_PKS2_PKT0_S8_ifPKiSA_iPKfiiiSC_SC_iiiii, .Lfunc_end233-_ZN4vllm25paged_attention_v1_kernelIthLi128ELi8ELi128ELNS_18Fp8KVCacheDataTypeE1ELb0EEEvPT_PKS2_PKT0_S8_ifPKiSA_iPKfiiiSC_SC_iiiii
                                        ; -- End function
	.set _ZN4vllm25paged_attention_v1_kernelIthLi128ELi8ELi128ELNS_18Fp8KVCacheDataTypeE1ELb0EEEvPT_PKS2_PKT0_S8_ifPKiSA_iPKfiiiSC_SC_iiiii.num_vgpr, 46
	.set _ZN4vllm25paged_attention_v1_kernelIthLi128ELi8ELi128ELNS_18Fp8KVCacheDataTypeE1ELb0EEEvPT_PKS2_PKT0_S8_ifPKiSA_iPKfiiiSC_SC_iiiii.num_agpr, 0
	.set _ZN4vllm25paged_attention_v1_kernelIthLi128ELi8ELi128ELNS_18Fp8KVCacheDataTypeE1ELb0EEEvPT_PKS2_PKT0_S8_ifPKiSA_iPKfiiiSC_SC_iiiii.numbered_sgpr, 44
	.set _ZN4vllm25paged_attention_v1_kernelIthLi128ELi8ELi128ELNS_18Fp8KVCacheDataTypeE1ELb0EEEvPT_PKS2_PKT0_S8_ifPKiSA_iPKfiiiSC_SC_iiiii.num_named_barrier, 0
	.set _ZN4vllm25paged_attention_v1_kernelIthLi128ELi8ELi128ELNS_18Fp8KVCacheDataTypeE1ELb0EEEvPT_PKS2_PKT0_S8_ifPKiSA_iPKfiiiSC_SC_iiiii.private_seg_size, 0
	.set _ZN4vllm25paged_attention_v1_kernelIthLi128ELi8ELi128ELNS_18Fp8KVCacheDataTypeE1ELb0EEEvPT_PKS2_PKT0_S8_ifPKiSA_iPKfiiiSC_SC_iiiii.uses_vcc, 1
	.set _ZN4vllm25paged_attention_v1_kernelIthLi128ELi8ELi128ELNS_18Fp8KVCacheDataTypeE1ELb0EEEvPT_PKS2_PKT0_S8_ifPKiSA_iPKfiiiSC_SC_iiiii.uses_flat_scratch, 0
	.set _ZN4vllm25paged_attention_v1_kernelIthLi128ELi8ELi128ELNS_18Fp8KVCacheDataTypeE1ELb0EEEvPT_PKS2_PKT0_S8_ifPKiSA_iPKfiiiSC_SC_iiiii.has_dyn_sized_stack, 0
	.set _ZN4vllm25paged_attention_v1_kernelIthLi128ELi8ELi128ELNS_18Fp8KVCacheDataTypeE1ELb0EEEvPT_PKS2_PKT0_S8_ifPKiSA_iPKfiiiSC_SC_iiiii.has_recursion, 0
	.set _ZN4vllm25paged_attention_v1_kernelIthLi128ELi8ELi128ELNS_18Fp8KVCacheDataTypeE1ELb0EEEvPT_PKS2_PKT0_S8_ifPKiSA_iPKfiiiSC_SC_iiiii.has_indirect_call, 0
	.section	.AMDGPU.csdata,"",@progbits
; Kernel info:
; codeLenInByte = 9996
; TotalNumSgprs: 48
; NumVgprs: 46
; ScratchSize: 0
; MemoryBound: 0
; FloatMode: 240
; IeeeMode: 1
; LDSByteSize: 272 bytes/workgroup (compile time only)
; SGPRBlocks: 5
; VGPRBlocks: 11
; NumSGPRsForWavesPerEU: 48
; NumVGPRsForWavesPerEU: 46
; Occupancy: 5
; WaveLimiterHint : 1
; COMPUTE_PGM_RSRC2:SCRATCH_EN: 0
; COMPUTE_PGM_RSRC2:USER_SGPR: 6
; COMPUTE_PGM_RSRC2:TRAP_HANDLER: 0
; COMPUTE_PGM_RSRC2:TGID_X_EN: 1
; COMPUTE_PGM_RSRC2:TGID_Y_EN: 1
; COMPUTE_PGM_RSRC2:TGID_Z_EN: 1
; COMPUTE_PGM_RSRC2:TIDIG_COMP_CNT: 0
	.section	.text._ZN4vllm25paged_attention_v1_kernelIthLi192ELi8ELi128ELNS_18Fp8KVCacheDataTypeE1ELb0EEEvPT_PKS2_PKT0_S8_ifPKiSA_iPKfiiiSC_SC_iiiii,"axG",@progbits,_ZN4vllm25paged_attention_v1_kernelIthLi192ELi8ELi128ELNS_18Fp8KVCacheDataTypeE1ELb0EEEvPT_PKS2_PKT0_S8_ifPKiSA_iPKfiiiSC_SC_iiiii,comdat
	.protected	_ZN4vllm25paged_attention_v1_kernelIthLi192ELi8ELi128ELNS_18Fp8KVCacheDataTypeE1ELb0EEEvPT_PKS2_PKT0_S8_ifPKiSA_iPKfiiiSC_SC_iiiii ; -- Begin function _ZN4vllm25paged_attention_v1_kernelIthLi192ELi8ELi128ELNS_18Fp8KVCacheDataTypeE1ELb0EEEvPT_PKS2_PKT0_S8_ifPKiSA_iPKfiiiSC_SC_iiiii
	.globl	_ZN4vllm25paged_attention_v1_kernelIthLi192ELi8ELi128ELNS_18Fp8KVCacheDataTypeE1ELb0EEEvPT_PKS2_PKT0_S8_ifPKiSA_iPKfiiiSC_SC_iiiii
	.p2align	8
	.type	_ZN4vllm25paged_attention_v1_kernelIthLi192ELi8ELi128ELNS_18Fp8KVCacheDataTypeE1ELb0EEEvPT_PKS2_PKT0_S8_ifPKiSA_iPKfiiiSC_SC_iiiii,@function
_ZN4vllm25paged_attention_v1_kernelIthLi192ELi8ELi128ELNS_18Fp8KVCacheDataTypeE1ELb0EEEvPT_PKS2_PKT0_S8_ifPKiSA_iPKfiiiSC_SC_iiiii: ; @_ZN4vllm25paged_attention_v1_kernelIthLi192ELi8ELi128ELNS_18Fp8KVCacheDataTypeE1ELb0EEEvPT_PKS2_PKT0_S8_ifPKiSA_iPKfiiiSC_SC_iiiii
; %bb.0:
	s_load_dword s9, s[4:5], 0x80
	s_load_dwordx2 s[0:1], s[4:5], 0x30
	s_load_dwordx2 s[30:31], s[4:5], 0x20
	s_mov_b32 s10, s7
	s_ashr_i32 s11, s7, 31
	s_lshl_b64 s[2:3], s[10:11], 2
	s_waitcnt lgkmcnt(0)
	s_add_u32 s0, s0, s2
	s_addc_u32 s1, s1, s3
	s_abs_i32 s2, s30
	v_cvt_f32_u32_e32 v1, s2
	s_sub_i32 s11, 0, s2
	s_abs_i32 s7, s9
	s_xor_b32 s3, s9, s30
	v_rcp_iflag_f32_e32 v1, v1
	s_ashr_i32 s3, s3, 31
	s_mov_b32 s33, 0
	v_mul_f32_e32 v1, 0x4f7ffffe, v1
	v_cvt_u32_f32_e32 v1, v1
	v_readfirstlane_b32 s12, v1
	s_mul_i32 s11, s11, s12
	s_mul_hi_u32 s11, s12, s11
	s_add_i32 s12, s12, s11
	s_mul_hi_u32 s11, s7, s12
	s_mul_i32 s12, s11, s2
	s_sub_i32 s7, s7, s12
	s_add_i32 s12, s11, 1
	s_sub_i32 s13, s7, s2
	s_cmp_ge_u32 s7, s2
	s_cselect_b32 s11, s12, s11
	s_cselect_b32 s7, s13, s7
	s_add_i32 s12, s11, 1
	s_cmp_ge_u32 s7, s2
	s_cselect_b32 s2, s12, s11
	s_xor_b32 s2, s2, s3
	s_sub_i32 s11, s2, s3
	s_abs_i32 s12, s11
	v_cvt_f32_u32_e32 v1, s12
	s_load_dwordx2 s[2:3], s[4:5], 0x40
	s_sub_i32 s7, 0, s12
	s_abs_i32 s13, s6
	v_rcp_iflag_f32_e32 v1, v1
	v_mul_f32_e32 v1, 0x4f7ffffe, v1
	v_cvt_u32_f32_e32 v1, v1
	v_readfirstlane_b32 s14, v1
	s_mul_i32 s7, s7, s14
	s_mul_hi_u32 s7, s14, s7
	s_add_i32 s14, s14, s7
	s_waitcnt lgkmcnt(0)
	s_cmp_eq_u64 s[2:3], 0
	s_mul_hi_u32 s14, s13, s14
	s_cbranch_scc1 .LBB234_2
; %bb.1:
	s_ashr_i32 s7, s6, 31
	s_lshl_b64 s[16:17], s[6:7], 2
	s_add_u32 s2, s2, s16
	s_addc_u32 s3, s3, s17
	s_load_dword s33, s[2:3], 0x0
.LBB234_2:
	s_load_dword s30, s[0:1], 0x0
	s_ashr_i32 s15, s11, 31
	s_load_dword s11, s[4:5], 0x88
	s_load_dwordx4 s[16:19], s[4:5], 0x48
	s_movk_i32 s0, 0xc0
	s_ashr_i32 s7, s6, 31
	v_and_b32_e32 v1, 7, v0
	s_mul_i32 s20, s6, 0xc0
	v_cmp_gt_u32_e32 vcc, s0, v0
	v_lshlrev_b32_e32 v11, 1, v0
	s_and_saveexec_b64 s[0:1], vcc
	s_cbranch_execz .LBB234_5
; %bb.3:
	s_load_dwordx2 s[2:3], s[4:5], 0x8
	s_waitcnt lgkmcnt(0)
	s_mul_i32 s22, s16, s10
	s_ashr_i32 s23, s22, 31
	s_lshl_b64 s[22:23], s[22:23], 1
	v_lshrrev_b32_e32 v3, 3, v0
	s_add_u32 s6, s2, s22
	s_addc_u32 s16, s3, s23
	s_ashr_i32 s21, s20, 31
	s_lshl_b64 s[2:3], s[20:21], 1
	s_add_u32 s2, s6, s2
	s_addc_u32 s3, s16, s3
	global_load_ushort v4, v11, s[2:3]
	v_lshlrev_b32_e32 v2, 1, v3
	v_mad_u32_u24 v2, v1, 48, v2
	v_cmp_gt_u32_e32 vcc, 64, v0
	s_waitcnt vmcnt(0)
	ds_write_b16 v2, v4
	s_and_b64 exec, exec, vcc
	s_cbranch_execz .LBB234_5
; %bb.4:
	v_lshlrev_b32_e32 v3, 4, v3
	v_lshlrev_b32_e32 v4, 1, v1
	s_movk_i32 s6, 0x100
	v_or3_b32 v3, v3, v4, s6
	global_load_ushort v3, v3, s[2:3]
	s_waitcnt vmcnt(0)
	ds_write_b16 v2, v3 offset:32
.LBB234_5:
	s_or_b64 exec, exec, s[0:1]
	s_waitcnt lgkmcnt(0)
	s_add_i32 s1, s30, 7
	s_ashr_i32 s2, s1, 31
	s_lshr_b32 s2, s2, 29
	s_add_i32 s1, s1, s2
	s_mul_i32 s2, s14, s12
	s_sub_i32 s2, s13, s2
	s_ashr_i32 s21, s1, 3
	s_xor_b32 s1, s7, s15
	s_add_i32 s3, s14, 1
	s_sub_i32 s6, s2, s12
	s_load_dwordx2 s[24:25], s[4:5], 0x28
	s_load_dword s0, s[4:5], 0x38
	s_cmp_ge_u32 s2, s12
	s_cselect_b32 s3, s3, s14
	s_cselect_b32 s2, s6, s2
	s_add_i32 s6, s3, 1
	s_cmp_ge_u32 s2, s12
	s_cselect_b32 s2, s6, s3
	v_lshrrev_b32_e32 v12, 6, v0
	s_xor_b32 s2, s2, s1
	s_waitcnt lgkmcnt(0)
	s_mul_i32 s26, s0, s10
	s_sub_i32 s16, s2, s1
	s_ashr_i32 s27, s26, 31
	v_cmp_gt_i32_e64 s[0:1], s21, v12
	v_cmp_le_i32_e32 vcc, s21, v12
	v_mbcnt_lo_u32_b32 v7, -1, 0
	s_barrier
                                        ; implicit-def: $vgpr9
                                        ; implicit-def: $vgpr6
                                        ; implicit-def: $vgpr5
	s_and_saveexec_b64 s[2:3], vcc
	s_xor_b64 s[2:3], exec, s[2:3]
; %bb.6:
	v_mbcnt_hi_u32_b32 v9, -1, v7
	v_and_b32_e32 v6, 64, v9
	v_add_u32_e32 v5, 64, v6
                                        ; implicit-def: $vgpr1
                                        ; implicit-def: $vgpr7
; %bb.7:
	s_or_saveexec_b64 s[6:7], s[2:3]
	s_load_dwordx2 s[22:23], s[4:5], 0x0
	s_load_dwordx2 s[28:29], s[4:5], 0x18
	s_load_dwordx4 s[12:15], s[4:5], 0x58
	v_mov_b32_e32 v10, 0xff7fffff
	s_mul_i32 s16, s16, s18
	v_lshrrev_b32_e32 v8, 4, v0
	s_xor_b64 exec, exec, s[6:7]
	s_cbranch_execz .LBB234_157
; %bb.8:
	s_load_dwordx2 s[2:3], s[4:5], 0x10
	s_ashr_i32 s4, s16, 31
	v_bfe_u32 v3, v0, 3, 3
	v_lshlrev_b32_e32 v2, 4, v3
	v_mul_u32_u24_e32 v14, 48, v1
	s_waitcnt lgkmcnt(0)
	s_add_u32 s2, s2, s16
	s_addc_u32 s3, s3, s4
	v_mov_b32_e32 v4, s3
	v_add_co_u32_e32 v2, vcc, s2, v2
	v_addc_co_u32_e32 v4, vcc, 0, v4, vcc
	v_cmp_eq_u32_e32 vcc, 0, v1
	v_add_co_u32_e64 v1, s[4:5], v2, v1
	v_addc_co_u32_e64 v2, s[4:5], 0, v4, s[4:5]
	s_sub_i32 s41, 1, s30
	v_lshl_or_b32 v15, v12, 3, v3
	v_lshlrev_b32_e32 v3, 2, v3
	s_lshl_b64 s[4:5], s[26:27], 2
	v_lshl_or_b32 v3, v12, 5, v3
	s_add_u32 s4, s24, s4
	v_add_u32_e32 v16, 0x190, v3
	v_and_b32_e32 v3, 60, v8
	s_addc_u32 s5, s25, s5
	v_mov_b32_e32 v4, s5
	v_add_co_u32_e64 v3, s[4:5], s4, v3
	s_mov_b32 s40, s17
	v_mov_b32_e32 v13, 0
	v_cmp_neq_f32_e64 s[2:3], s33, 0
	v_addc_co_u32_e64 v4, s[4:5], 0, v4, s[4:5]
	v_mov_b32_e32 v10, 0xff7fffff
	s_mov_b64 s[18:19], 0
	s_movk_i32 s42, 0x80
	s_movk_i32 s43, 0x7f
	v_mbcnt_hi_u32_b32 v9, -1, v7
	v_bfrev_b32_e32 v17, 60
	v_mov_b32_e32 v18, v12
	s_branch .LBB234_10
.LBB234_9:                              ;   in Loop: Header=BB234_10 Depth=1
	s_or_b64 exec, exec, s[34:35]
	v_add_u32_e32 v18, 2, v18
	v_cmp_le_i32_e64 s[4:5], s21, v18
	s_or_b64 s[18:19], s[4:5], s[18:19]
	v_add_co_u32_e64 v3, s[4:5], 8, v3
	v_add_u32_e32 v15, 16, v15
	v_add_u32_e32 v16, 64, v16
	v_addc_co_u32_e64 v4, s[4:5], 0, v4, s[4:5]
	s_andn2_b64 exec, exec, s[18:19]
	s_cbranch_execz .LBB234_156
.LBB234_10:                             ; =>This Inner Loop Header: Depth=1
	global_load_dword v5, v[3:4], off
	v_mov_b32_e32 v20, 0
	s_waitcnt vmcnt(0)
	v_mad_i64_i32 v[5:6], s[4:5], v5, s40, v[1:2]
	global_load_ubyte v21, v[5:6], off
	s_waitcnt lgkmcnt(0)
	global_load_dword v19, v13, s[12:13]
	s_waitcnt vmcnt(1)
	v_cmp_ne_u16_e64 s[4:5], 0, v21
	s_and_saveexec_b64 s[34:35], s[4:5]
	s_cbranch_execz .LBB234_16
; %bb.11:                               ;   in Loop: Header=BB234_10 Depth=1
	v_cmp_ne_u16_e64 s[4:5], s42, v21
	v_bfrev_b32_e32 v20, 1
	s_and_saveexec_b64 s[36:37], s[4:5]
	s_cbranch_execz .LBB234_15
; %bb.12:                               ;   in Loop: Header=BB234_10 Depth=1
	v_and_b32_e32 v7, 0xffff, v21
	v_and_b32_e32 v22, 0x7f, v7
	v_cmp_ne_u32_e64 s[4:5], s43, v22
	v_mov_b32_e32 v20, 0x7f800001
	s_and_saveexec_b64 s[38:39], s[4:5]
	s_cbranch_execz .LBB234_14
; %bb.13:                               ;   in Loop: Header=BB234_10 Depth=1
	v_and_b32_e32 v20, 7, v7
	v_ffbh_u32_e32 v23, v20
	v_min_u32_e32 v26, 32, v23
	v_subrev_u32_e32 v23, 28, v26
	v_lshlrev_b64 v[23:24], v23, v[7:8]
	v_lshrrev_b32_e32 v25, 3, v22
	v_sub_u32_e32 v7, 29, v26
	v_and_b32_e32 v23, 7, v23
	v_cmp_gt_u32_e64 s[4:5], 8, v22
	v_cndmask_b32_e64 v7, v25, v7, s[4:5]
	v_cndmask_b32_e64 v20, v20, v23, s[4:5]
	v_lshlrev_b32_e32 v21, 24, v21
	v_lshlrev_b32_e32 v20, 20, v20
	v_and_b32_e32 v21, 0x80000000, v21
	v_lshl_add_u32 v7, v7, 23, v17
	v_or3_b32 v20, v21, v7, v20
.LBB234_14:                             ;   in Loop: Header=BB234_10 Depth=1
	s_or_b64 exec, exec, s[38:39]
.LBB234_15:                             ;   in Loop: Header=BB234_10 Depth=1
	s_or_b64 exec, exec, s[36:37]
.LBB234_16:                             ;   in Loop: Header=BB234_10 Depth=1
	s_or_b64 exec, exec, s[34:35]
	global_load_ubyte v23, v[5:6], off offset:8
	v_mov_b32_e32 v21, 0
	v_mov_b32_e32 v22, 0
	s_waitcnt vmcnt(0)
	v_cmp_ne_u16_e64 s[4:5], 0, v23
	s_and_saveexec_b64 s[34:35], s[4:5]
	s_cbranch_execz .LBB234_22
; %bb.17:                               ;   in Loop: Header=BB234_10 Depth=1
	v_cmp_ne_u16_e64 s[4:5], s42, v23
	v_bfrev_b32_e32 v22, 1
	s_and_saveexec_b64 s[36:37], s[4:5]
	s_cbranch_execz .LBB234_21
; %bb.18:                               ;   in Loop: Header=BB234_10 Depth=1
	v_and_b32_e32 v7, 0xffff, v23
	v_and_b32_e32 v24, 0x7f, v7
	v_cmp_ne_u32_e64 s[4:5], s43, v24
	v_mov_b32_e32 v22, 0x7f800001
	s_and_saveexec_b64 s[38:39], s[4:5]
	s_cbranch_execz .LBB234_20
; %bb.19:                               ;   in Loop: Header=BB234_10 Depth=1
	v_and_b32_e32 v22, 7, v7
	v_ffbh_u32_e32 v25, v22
	v_min_u32_e32 v28, 32, v25
	v_subrev_u32_e32 v25, 28, v28
	v_lshlrev_b64 v[25:26], v25, v[7:8]
	v_lshrrev_b32_e32 v27, 3, v24
	v_sub_u32_e32 v7, 29, v28
	v_and_b32_e32 v25, 7, v25
	v_cmp_gt_u32_e64 s[4:5], 8, v24
	v_cndmask_b32_e64 v7, v27, v7, s[4:5]
	v_cndmask_b32_e64 v22, v22, v25, s[4:5]
	v_lshlrev_b32_e32 v23, 24, v23
	v_lshlrev_b32_e32 v22, 20, v22
	v_and_b32_e32 v23, 0x80000000, v23
	v_lshl_add_u32 v7, v7, 23, v17
	v_or3_b32 v22, v23, v7, v22
.LBB234_20:                             ;   in Loop: Header=BB234_10 Depth=1
	s_or_b64 exec, exec, s[38:39]
.LBB234_21:                             ;   in Loop: Header=BB234_10 Depth=1
	s_or_b64 exec, exec, s[36:37]
.LBB234_22:                             ;   in Loop: Header=BB234_10 Depth=1
	s_or_b64 exec, exec, s[34:35]
	global_load_ubyte v23, v[5:6], off offset:128
	s_waitcnt vmcnt(0)
	v_cmp_ne_u16_e64 s[4:5], 0, v23
	s_and_saveexec_b64 s[34:35], s[4:5]
	s_cbranch_execz .LBB234_28
; %bb.23:                               ;   in Loop: Header=BB234_10 Depth=1
	v_cmp_ne_u16_e64 s[4:5], s42, v23
	v_bfrev_b32_e32 v21, 1
	s_and_saveexec_b64 s[36:37], s[4:5]
	s_cbranch_execz .LBB234_27
; %bb.24:                               ;   in Loop: Header=BB234_10 Depth=1
	v_and_b32_e32 v7, 0xffff, v23
	v_and_b32_e32 v24, 0x7f, v7
	v_cmp_ne_u32_e64 s[4:5], s43, v24
	v_mov_b32_e32 v21, 0x7f800001
	s_and_saveexec_b64 s[38:39], s[4:5]
	s_cbranch_execz .LBB234_26
; %bb.25:                               ;   in Loop: Header=BB234_10 Depth=1
	v_and_b32_e32 v21, 7, v7
	v_ffbh_u32_e32 v25, v21
	v_min_u32_e32 v28, 32, v25
	v_subrev_u32_e32 v25, 28, v28
	v_lshlrev_b64 v[25:26], v25, v[7:8]
	v_lshrrev_b32_e32 v27, 3, v24
	v_sub_u32_e32 v7, 29, v28
	v_and_b32_e32 v25, 7, v25
	v_cmp_gt_u32_e64 s[4:5], 8, v24
	v_cndmask_b32_e64 v7, v27, v7, s[4:5]
	v_cndmask_b32_e64 v21, v21, v25, s[4:5]
	v_lshlrev_b32_e32 v23, 24, v23
	v_lshlrev_b32_e32 v21, 20, v21
	v_and_b32_e32 v23, 0x80000000, v23
	v_lshl_add_u32 v7, v7, 23, v17
	v_or3_b32 v21, v23, v7, v21
.LBB234_26:                             ;   in Loop: Header=BB234_10 Depth=1
	s_or_b64 exec, exec, s[38:39]
.LBB234_27:                             ;   in Loop: Header=BB234_10 Depth=1
	s_or_b64 exec, exec, s[36:37]
.LBB234_28:                             ;   in Loop: Header=BB234_10 Depth=1
	s_or_b64 exec, exec, s[34:35]
	global_load_ubyte v25, v[5:6], off offset:136
	v_mov_b32_e32 v23, 0
	v_mov_b32_e32 v24, 0
	s_waitcnt vmcnt(0)
	v_cmp_ne_u16_e64 s[4:5], 0, v25
	s_and_saveexec_b64 s[34:35], s[4:5]
	s_cbranch_execz .LBB234_34
; %bb.29:                               ;   in Loop: Header=BB234_10 Depth=1
	v_cmp_ne_u16_e64 s[4:5], s42, v25
	v_bfrev_b32_e32 v24, 1
	s_and_saveexec_b64 s[36:37], s[4:5]
	s_cbranch_execz .LBB234_33
; %bb.30:                               ;   in Loop: Header=BB234_10 Depth=1
	v_and_b32_e32 v7, 0xffff, v25
	v_and_b32_e32 v26, 0x7f, v7
	v_cmp_ne_u32_e64 s[4:5], s43, v26
	v_mov_b32_e32 v24, 0x7f800001
	s_and_saveexec_b64 s[38:39], s[4:5]
	s_cbranch_execz .LBB234_32
; %bb.31:                               ;   in Loop: Header=BB234_10 Depth=1
	v_and_b32_e32 v24, 7, v7
	v_ffbh_u32_e32 v27, v24
	v_min_u32_e32 v30, 32, v27
	v_subrev_u32_e32 v27, 28, v30
	v_lshlrev_b64 v[27:28], v27, v[7:8]
	v_lshrrev_b32_e32 v29, 3, v26
	v_sub_u32_e32 v7, 29, v30
	v_and_b32_e32 v27, 7, v27
	v_cmp_gt_u32_e64 s[4:5], 8, v26
	v_cndmask_b32_e64 v7, v29, v7, s[4:5]
	v_cndmask_b32_e64 v24, v24, v27, s[4:5]
	v_lshlrev_b32_e32 v25, 24, v25
	v_lshlrev_b32_e32 v24, 20, v24
	v_and_b32_e32 v25, 0x80000000, v25
	v_lshl_add_u32 v7, v7, 23, v17
	v_or3_b32 v24, v25, v7, v24
.LBB234_32:                             ;   in Loop: Header=BB234_10 Depth=1
	s_or_b64 exec, exec, s[38:39]
.LBB234_33:                             ;   in Loop: Header=BB234_10 Depth=1
	s_or_b64 exec, exec, s[36:37]
.LBB234_34:                             ;   in Loop: Header=BB234_10 Depth=1
	s_or_b64 exec, exec, s[34:35]
	global_load_ubyte v25, v[5:6], off offset:256
	s_waitcnt vmcnt(0)
	v_cmp_ne_u16_e64 s[4:5], 0, v25
	s_and_saveexec_b64 s[34:35], s[4:5]
	s_cbranch_execz .LBB234_40
; %bb.35:                               ;   in Loop: Header=BB234_10 Depth=1
	v_cmp_ne_u16_e64 s[4:5], s42, v25
	v_bfrev_b32_e32 v23, 1
	s_and_saveexec_b64 s[36:37], s[4:5]
	s_cbranch_execz .LBB234_39
; %bb.36:                               ;   in Loop: Header=BB234_10 Depth=1
	v_and_b32_e32 v7, 0xffff, v25
	v_and_b32_e32 v26, 0x7f, v7
	v_cmp_ne_u32_e64 s[4:5], s43, v26
	v_mov_b32_e32 v23, 0x7f800001
	s_and_saveexec_b64 s[38:39], s[4:5]
	s_cbranch_execz .LBB234_38
; %bb.37:                               ;   in Loop: Header=BB234_10 Depth=1
	v_and_b32_e32 v23, 7, v7
	v_ffbh_u32_e32 v27, v23
	v_min_u32_e32 v30, 32, v27
	v_subrev_u32_e32 v27, 28, v30
	v_lshlrev_b64 v[27:28], v27, v[7:8]
	v_lshrrev_b32_e32 v29, 3, v26
	v_sub_u32_e32 v7, 29, v30
	v_and_b32_e32 v27, 7, v27
	v_cmp_gt_u32_e64 s[4:5], 8, v26
	v_cndmask_b32_e64 v7, v29, v7, s[4:5]
	v_cndmask_b32_e64 v23, v23, v27, s[4:5]
	v_lshlrev_b32_e32 v25, 24, v25
	v_lshlrev_b32_e32 v23, 20, v23
	v_and_b32_e32 v25, 0x80000000, v25
	v_lshl_add_u32 v7, v7, 23, v17
	v_or3_b32 v23, v25, v7, v23
.LBB234_38:                             ;   in Loop: Header=BB234_10 Depth=1
	s_or_b64 exec, exec, s[38:39]
.LBB234_39:                             ;   in Loop: Header=BB234_10 Depth=1
	s_or_b64 exec, exec, s[36:37]
.LBB234_40:                             ;   in Loop: Header=BB234_10 Depth=1
	s_or_b64 exec, exec, s[34:35]
	global_load_ubyte v27, v[5:6], off offset:264
	v_mov_b32_e32 v25, 0
	v_mov_b32_e32 v26, 0
	s_waitcnt vmcnt(0)
	v_cmp_ne_u16_e64 s[4:5], 0, v27
	s_and_saveexec_b64 s[34:35], s[4:5]
	s_cbranch_execz .LBB234_46
; %bb.41:                               ;   in Loop: Header=BB234_10 Depth=1
	v_cmp_ne_u16_e64 s[4:5], s42, v27
	v_bfrev_b32_e32 v26, 1
	s_and_saveexec_b64 s[36:37], s[4:5]
	s_cbranch_execz .LBB234_45
; %bb.42:                               ;   in Loop: Header=BB234_10 Depth=1
	v_and_b32_e32 v7, 0xffff, v27
	v_and_b32_e32 v28, 0x7f, v7
	v_cmp_ne_u32_e64 s[4:5], s43, v28
	v_mov_b32_e32 v26, 0x7f800001
	s_and_saveexec_b64 s[38:39], s[4:5]
	s_cbranch_execz .LBB234_44
; %bb.43:                               ;   in Loop: Header=BB234_10 Depth=1
	v_and_b32_e32 v26, 7, v7
	v_ffbh_u32_e32 v29, v26
	v_min_u32_e32 v32, 32, v29
	v_subrev_u32_e32 v29, 28, v32
	v_lshlrev_b64 v[29:30], v29, v[7:8]
	v_lshrrev_b32_e32 v31, 3, v28
	v_sub_u32_e32 v7, 29, v32
	v_and_b32_e32 v29, 7, v29
	v_cmp_gt_u32_e64 s[4:5], 8, v28
	v_cndmask_b32_e64 v7, v31, v7, s[4:5]
	v_cndmask_b32_e64 v26, v26, v29, s[4:5]
	v_lshlrev_b32_e32 v27, 24, v27
	v_lshlrev_b32_e32 v26, 20, v26
	v_and_b32_e32 v27, 0x80000000, v27
	v_lshl_add_u32 v7, v7, 23, v17
	v_or3_b32 v26, v27, v7, v26
.LBB234_44:                             ;   in Loop: Header=BB234_10 Depth=1
	s_or_b64 exec, exec, s[38:39]
.LBB234_45:                             ;   in Loop: Header=BB234_10 Depth=1
	s_or_b64 exec, exec, s[36:37]
.LBB234_46:                             ;   in Loop: Header=BB234_10 Depth=1
	s_or_b64 exec, exec, s[34:35]
	global_load_ubyte v27, v[5:6], off offset:384
	s_waitcnt vmcnt(0)
	v_cmp_ne_u16_e64 s[4:5], 0, v27
	s_and_saveexec_b64 s[34:35], s[4:5]
	s_cbranch_execz .LBB234_52
; %bb.47:                               ;   in Loop: Header=BB234_10 Depth=1
	v_cmp_ne_u16_e64 s[4:5], s42, v27
	v_bfrev_b32_e32 v25, 1
	s_and_saveexec_b64 s[36:37], s[4:5]
	s_cbranch_execz .LBB234_51
; %bb.48:                               ;   in Loop: Header=BB234_10 Depth=1
	v_and_b32_e32 v7, 0xffff, v27
	v_and_b32_e32 v28, 0x7f, v7
	v_cmp_ne_u32_e64 s[4:5], s43, v28
	v_mov_b32_e32 v25, 0x7f800001
	s_and_saveexec_b64 s[38:39], s[4:5]
	s_cbranch_execz .LBB234_50
; %bb.49:                               ;   in Loop: Header=BB234_10 Depth=1
	v_and_b32_e32 v25, 7, v7
	v_ffbh_u32_e32 v29, v25
	v_min_u32_e32 v32, 32, v29
	v_subrev_u32_e32 v29, 28, v32
	v_lshlrev_b64 v[29:30], v29, v[7:8]
	v_lshrrev_b32_e32 v31, 3, v28
	v_sub_u32_e32 v7, 29, v32
	v_and_b32_e32 v29, 7, v29
	v_cmp_gt_u32_e64 s[4:5], 8, v28
	v_cndmask_b32_e64 v7, v31, v7, s[4:5]
	v_cndmask_b32_e64 v25, v25, v29, s[4:5]
	v_lshlrev_b32_e32 v27, 24, v27
	v_lshlrev_b32_e32 v25, 20, v25
	v_and_b32_e32 v27, 0x80000000, v27
	v_lshl_add_u32 v7, v7, 23, v17
	v_or3_b32 v25, v27, v7, v25
.LBB234_50:                             ;   in Loop: Header=BB234_10 Depth=1
	s_or_b64 exec, exec, s[38:39]
.LBB234_51:                             ;   in Loop: Header=BB234_10 Depth=1
	s_or_b64 exec, exec, s[36:37]
.LBB234_52:                             ;   in Loop: Header=BB234_10 Depth=1
	s_or_b64 exec, exec, s[34:35]
	global_load_ubyte v29, v[5:6], off offset:392
	v_mov_b32_e32 v27, 0
	v_mov_b32_e32 v28, 0
	s_waitcnt vmcnt(0)
	v_cmp_ne_u16_e64 s[4:5], 0, v29
	s_and_saveexec_b64 s[34:35], s[4:5]
	s_cbranch_execz .LBB234_58
; %bb.53:                               ;   in Loop: Header=BB234_10 Depth=1
	v_cmp_ne_u16_e64 s[4:5], s42, v29
	v_bfrev_b32_e32 v28, 1
	s_and_saveexec_b64 s[36:37], s[4:5]
	s_cbranch_execz .LBB234_57
; %bb.54:                               ;   in Loop: Header=BB234_10 Depth=1
	v_and_b32_e32 v7, 0xffff, v29
	v_and_b32_e32 v30, 0x7f, v7
	v_cmp_ne_u32_e64 s[4:5], s43, v30
	v_mov_b32_e32 v28, 0x7f800001
	s_and_saveexec_b64 s[38:39], s[4:5]
	s_cbranch_execz .LBB234_56
; %bb.55:                               ;   in Loop: Header=BB234_10 Depth=1
	v_and_b32_e32 v28, 7, v7
	v_ffbh_u32_e32 v31, v28
	v_min_u32_e32 v34, 32, v31
	v_subrev_u32_e32 v31, 28, v34
	v_lshlrev_b64 v[31:32], v31, v[7:8]
	v_lshrrev_b32_e32 v33, 3, v30
	v_sub_u32_e32 v7, 29, v34
	v_and_b32_e32 v31, 7, v31
	v_cmp_gt_u32_e64 s[4:5], 8, v30
	v_cndmask_b32_e64 v7, v33, v7, s[4:5]
	v_cndmask_b32_e64 v28, v28, v31, s[4:5]
	v_lshlrev_b32_e32 v29, 24, v29
	v_lshlrev_b32_e32 v28, 20, v28
	v_and_b32_e32 v29, 0x80000000, v29
	v_lshl_add_u32 v7, v7, 23, v17
	v_or3_b32 v28, v29, v7, v28
.LBB234_56:                             ;   in Loop: Header=BB234_10 Depth=1
	s_or_b64 exec, exec, s[38:39]
.LBB234_57:                             ;   in Loop: Header=BB234_10 Depth=1
	s_or_b64 exec, exec, s[36:37]
.LBB234_58:                             ;   in Loop: Header=BB234_10 Depth=1
	s_or_b64 exec, exec, s[34:35]
	global_load_ubyte v29, v[5:6], off offset:512
	s_waitcnt vmcnt(0)
	v_cmp_ne_u16_e64 s[4:5], 0, v29
	s_and_saveexec_b64 s[34:35], s[4:5]
	s_cbranch_execz .LBB234_64
; %bb.59:                               ;   in Loop: Header=BB234_10 Depth=1
	v_cmp_ne_u16_e64 s[4:5], s42, v29
	v_bfrev_b32_e32 v27, 1
	s_and_saveexec_b64 s[36:37], s[4:5]
	s_cbranch_execz .LBB234_63
; %bb.60:                               ;   in Loop: Header=BB234_10 Depth=1
	v_and_b32_e32 v7, 0xffff, v29
	v_and_b32_e32 v30, 0x7f, v7
	v_cmp_ne_u32_e64 s[4:5], s43, v30
	v_mov_b32_e32 v27, 0x7f800001
	s_and_saveexec_b64 s[38:39], s[4:5]
	s_cbranch_execz .LBB234_62
; %bb.61:                               ;   in Loop: Header=BB234_10 Depth=1
	v_and_b32_e32 v27, 7, v7
	v_ffbh_u32_e32 v31, v27
	v_min_u32_e32 v34, 32, v31
	v_subrev_u32_e32 v31, 28, v34
	v_lshlrev_b64 v[31:32], v31, v[7:8]
	v_lshrrev_b32_e32 v33, 3, v30
	v_sub_u32_e32 v7, 29, v34
	v_and_b32_e32 v31, 7, v31
	v_cmp_gt_u32_e64 s[4:5], 8, v30
	v_cndmask_b32_e64 v7, v33, v7, s[4:5]
	v_cndmask_b32_e64 v27, v27, v31, s[4:5]
	v_lshlrev_b32_e32 v29, 24, v29
	v_lshlrev_b32_e32 v27, 20, v27
	v_and_b32_e32 v29, 0x80000000, v29
	v_lshl_add_u32 v7, v7, 23, v17
	v_or3_b32 v27, v29, v7, v27
.LBB234_62:                             ;   in Loop: Header=BB234_10 Depth=1
	s_or_b64 exec, exec, s[38:39]
.LBB234_63:                             ;   in Loop: Header=BB234_10 Depth=1
	s_or_b64 exec, exec, s[36:37]
.LBB234_64:                             ;   in Loop: Header=BB234_10 Depth=1
	s_or_b64 exec, exec, s[34:35]
	global_load_ubyte v31, v[5:6], off offset:520
	v_mov_b32_e32 v29, 0
	v_mov_b32_e32 v30, 0
	s_waitcnt vmcnt(0)
	v_cmp_ne_u16_e64 s[4:5], 0, v31
	s_and_saveexec_b64 s[34:35], s[4:5]
	s_cbranch_execz .LBB234_70
; %bb.65:                               ;   in Loop: Header=BB234_10 Depth=1
	v_cmp_ne_u16_e64 s[4:5], s42, v31
	v_bfrev_b32_e32 v30, 1
	s_and_saveexec_b64 s[36:37], s[4:5]
	s_cbranch_execz .LBB234_69
; %bb.66:                               ;   in Loop: Header=BB234_10 Depth=1
	v_and_b32_e32 v7, 0xffff, v31
	v_and_b32_e32 v32, 0x7f, v7
	v_cmp_ne_u32_e64 s[4:5], s43, v32
	v_mov_b32_e32 v30, 0x7f800001
	s_and_saveexec_b64 s[38:39], s[4:5]
	s_cbranch_execz .LBB234_68
; %bb.67:                               ;   in Loop: Header=BB234_10 Depth=1
	v_and_b32_e32 v30, 7, v7
	v_ffbh_u32_e32 v33, v30
	v_min_u32_e32 v36, 32, v33
	v_subrev_u32_e32 v33, 28, v36
	v_lshlrev_b64 v[33:34], v33, v[7:8]
	v_lshrrev_b32_e32 v35, 3, v32
	v_sub_u32_e32 v7, 29, v36
	v_and_b32_e32 v33, 7, v33
	v_cmp_gt_u32_e64 s[4:5], 8, v32
	v_cndmask_b32_e64 v7, v35, v7, s[4:5]
	v_cndmask_b32_e64 v30, v30, v33, s[4:5]
	v_lshlrev_b32_e32 v31, 24, v31
	v_lshlrev_b32_e32 v30, 20, v30
	v_and_b32_e32 v31, 0x80000000, v31
	v_lshl_add_u32 v7, v7, 23, v17
	v_or3_b32 v30, v31, v7, v30
.LBB234_68:                             ;   in Loop: Header=BB234_10 Depth=1
	s_or_b64 exec, exec, s[38:39]
.LBB234_69:                             ;   in Loop: Header=BB234_10 Depth=1
	s_or_b64 exec, exec, s[36:37]
.LBB234_70:                             ;   in Loop: Header=BB234_10 Depth=1
	s_or_b64 exec, exec, s[34:35]
	global_load_ubyte v31, v[5:6], off offset:640
	s_waitcnt vmcnt(0)
	v_cmp_ne_u16_e64 s[4:5], 0, v31
	s_and_saveexec_b64 s[34:35], s[4:5]
	s_cbranch_execz .LBB234_76
; %bb.71:                               ;   in Loop: Header=BB234_10 Depth=1
	v_cmp_ne_u16_e64 s[4:5], s42, v31
	v_bfrev_b32_e32 v29, 1
	s_and_saveexec_b64 s[36:37], s[4:5]
	s_cbranch_execz .LBB234_75
; %bb.72:                               ;   in Loop: Header=BB234_10 Depth=1
	v_and_b32_e32 v7, 0xffff, v31
	v_and_b32_e32 v32, 0x7f, v7
	v_cmp_ne_u32_e64 s[4:5], s43, v32
	v_mov_b32_e32 v29, 0x7f800001
	s_and_saveexec_b64 s[38:39], s[4:5]
	s_cbranch_execz .LBB234_74
; %bb.73:                               ;   in Loop: Header=BB234_10 Depth=1
	v_and_b32_e32 v29, 7, v7
	v_ffbh_u32_e32 v33, v29
	v_min_u32_e32 v36, 32, v33
	v_subrev_u32_e32 v33, 28, v36
	v_lshlrev_b64 v[33:34], v33, v[7:8]
	v_lshrrev_b32_e32 v35, 3, v32
	v_sub_u32_e32 v7, 29, v36
	v_and_b32_e32 v33, 7, v33
	v_cmp_gt_u32_e64 s[4:5], 8, v32
	v_cndmask_b32_e64 v7, v35, v7, s[4:5]
	v_cndmask_b32_e64 v29, v29, v33, s[4:5]
	v_lshlrev_b32_e32 v31, 24, v31
	v_lshlrev_b32_e32 v29, 20, v29
	v_and_b32_e32 v31, 0x80000000, v31
	v_lshl_add_u32 v7, v7, 23, v17
	v_or3_b32 v29, v31, v7, v29
.LBB234_74:                             ;   in Loop: Header=BB234_10 Depth=1
	s_or_b64 exec, exec, s[38:39]
.LBB234_75:                             ;   in Loop: Header=BB234_10 Depth=1
	s_or_b64 exec, exec, s[36:37]
.LBB234_76:                             ;   in Loop: Header=BB234_10 Depth=1
	s_or_b64 exec, exec, s[34:35]
	global_load_ubyte v33, v[5:6], off offset:648
	v_mov_b32_e32 v31, 0
	v_mov_b32_e32 v32, 0
	s_waitcnt vmcnt(0)
	v_cmp_ne_u16_e64 s[4:5], 0, v33
	s_and_saveexec_b64 s[34:35], s[4:5]
	s_cbranch_execz .LBB234_82
; %bb.77:                               ;   in Loop: Header=BB234_10 Depth=1
	v_cmp_ne_u16_e64 s[4:5], s42, v33
	v_bfrev_b32_e32 v32, 1
	s_and_saveexec_b64 s[36:37], s[4:5]
	s_cbranch_execz .LBB234_81
; %bb.78:                               ;   in Loop: Header=BB234_10 Depth=1
	v_and_b32_e32 v7, 0xffff, v33
	v_and_b32_e32 v34, 0x7f, v7
	v_cmp_ne_u32_e64 s[4:5], s43, v34
	v_mov_b32_e32 v32, 0x7f800001
	s_and_saveexec_b64 s[38:39], s[4:5]
	s_cbranch_execz .LBB234_80
; %bb.79:                               ;   in Loop: Header=BB234_10 Depth=1
	v_and_b32_e32 v32, 7, v7
	v_ffbh_u32_e32 v35, v32
	v_min_u32_e32 v38, 32, v35
	v_subrev_u32_e32 v35, 28, v38
	v_lshlrev_b64 v[35:36], v35, v[7:8]
	v_lshrrev_b32_e32 v37, 3, v34
	v_sub_u32_e32 v7, 29, v38
	v_and_b32_e32 v35, 7, v35
	v_cmp_gt_u32_e64 s[4:5], 8, v34
	v_cndmask_b32_e64 v7, v37, v7, s[4:5]
	v_cndmask_b32_e64 v32, v32, v35, s[4:5]
	v_lshlrev_b32_e32 v33, 24, v33
	v_lshlrev_b32_e32 v32, 20, v32
	v_and_b32_e32 v33, 0x80000000, v33
	v_lshl_add_u32 v7, v7, 23, v17
	v_or3_b32 v32, v33, v7, v32
.LBB234_80:                             ;   in Loop: Header=BB234_10 Depth=1
	s_or_b64 exec, exec, s[38:39]
.LBB234_81:                             ;   in Loop: Header=BB234_10 Depth=1
	s_or_b64 exec, exec, s[36:37]
.LBB234_82:                             ;   in Loop: Header=BB234_10 Depth=1
	s_or_b64 exec, exec, s[34:35]
	global_load_ubyte v33, v[5:6], off offset:768
	s_waitcnt vmcnt(0)
	v_cmp_ne_u16_e64 s[4:5], 0, v33
	s_and_saveexec_b64 s[34:35], s[4:5]
	s_cbranch_execz .LBB234_88
; %bb.83:                               ;   in Loop: Header=BB234_10 Depth=1
	v_cmp_ne_u16_e64 s[4:5], s42, v33
	v_bfrev_b32_e32 v31, 1
	s_and_saveexec_b64 s[36:37], s[4:5]
	s_cbranch_execz .LBB234_87
; %bb.84:                               ;   in Loop: Header=BB234_10 Depth=1
	v_and_b32_e32 v7, 0xffff, v33
	v_and_b32_e32 v34, 0x7f, v7
	v_cmp_ne_u32_e64 s[4:5], s43, v34
	v_mov_b32_e32 v31, 0x7f800001
	s_and_saveexec_b64 s[38:39], s[4:5]
	s_cbranch_execz .LBB234_86
; %bb.85:                               ;   in Loop: Header=BB234_10 Depth=1
	v_and_b32_e32 v31, 7, v7
	v_ffbh_u32_e32 v35, v31
	v_min_u32_e32 v38, 32, v35
	v_subrev_u32_e32 v35, 28, v38
	v_lshlrev_b64 v[35:36], v35, v[7:8]
	v_lshrrev_b32_e32 v37, 3, v34
	v_sub_u32_e32 v7, 29, v38
	v_and_b32_e32 v35, 7, v35
	v_cmp_gt_u32_e64 s[4:5], 8, v34
	v_cndmask_b32_e64 v7, v37, v7, s[4:5]
	v_cndmask_b32_e64 v31, v31, v35, s[4:5]
	v_lshlrev_b32_e32 v33, 24, v33
	v_lshlrev_b32_e32 v31, 20, v31
	v_and_b32_e32 v33, 0x80000000, v33
	v_lshl_add_u32 v7, v7, 23, v17
	v_or3_b32 v31, v33, v7, v31
.LBB234_86:                             ;   in Loop: Header=BB234_10 Depth=1
	s_or_b64 exec, exec, s[38:39]
.LBB234_87:                             ;   in Loop: Header=BB234_10 Depth=1
	s_or_b64 exec, exec, s[36:37]
.LBB234_88:                             ;   in Loop: Header=BB234_10 Depth=1
	s_or_b64 exec, exec, s[34:35]
	global_load_ubyte v35, v[5:6], off offset:776
	v_mov_b32_e32 v33, 0
	v_mov_b32_e32 v34, 0
	s_waitcnt vmcnt(0)
	v_cmp_ne_u16_e64 s[4:5], 0, v35
	s_and_saveexec_b64 s[34:35], s[4:5]
	s_cbranch_execz .LBB234_94
; %bb.89:                               ;   in Loop: Header=BB234_10 Depth=1
	v_cmp_ne_u16_e64 s[4:5], s42, v35
	v_bfrev_b32_e32 v34, 1
	s_and_saveexec_b64 s[36:37], s[4:5]
	s_cbranch_execz .LBB234_93
; %bb.90:                               ;   in Loop: Header=BB234_10 Depth=1
	v_and_b32_e32 v7, 0xffff, v35
	v_and_b32_e32 v36, 0x7f, v7
	v_cmp_ne_u32_e64 s[4:5], s43, v36
	v_mov_b32_e32 v34, 0x7f800001
	s_and_saveexec_b64 s[38:39], s[4:5]
	s_cbranch_execz .LBB234_92
; %bb.91:                               ;   in Loop: Header=BB234_10 Depth=1
	v_and_b32_e32 v34, 7, v7
	v_ffbh_u32_e32 v37, v34
	v_min_u32_e32 v40, 32, v37
	v_subrev_u32_e32 v37, 28, v40
	v_lshlrev_b64 v[37:38], v37, v[7:8]
	v_lshrrev_b32_e32 v39, 3, v36
	v_sub_u32_e32 v7, 29, v40
	v_and_b32_e32 v37, 7, v37
	v_cmp_gt_u32_e64 s[4:5], 8, v36
	v_cndmask_b32_e64 v7, v39, v7, s[4:5]
	v_cndmask_b32_e64 v34, v34, v37, s[4:5]
	v_lshlrev_b32_e32 v35, 24, v35
	v_lshlrev_b32_e32 v34, 20, v34
	v_and_b32_e32 v35, 0x80000000, v35
	v_lshl_add_u32 v7, v7, 23, v17
	v_or3_b32 v34, v35, v7, v34
.LBB234_92:                             ;   in Loop: Header=BB234_10 Depth=1
	s_or_b64 exec, exec, s[38:39]
.LBB234_93:                             ;   in Loop: Header=BB234_10 Depth=1
	s_or_b64 exec, exec, s[36:37]
.LBB234_94:                             ;   in Loop: Header=BB234_10 Depth=1
	s_or_b64 exec, exec, s[34:35]
	global_load_ubyte v35, v[5:6], off offset:896
	s_waitcnt vmcnt(0)
	v_cmp_ne_u16_e64 s[4:5], 0, v35
	s_and_saveexec_b64 s[34:35], s[4:5]
	s_cbranch_execz .LBB234_100
; %bb.95:                               ;   in Loop: Header=BB234_10 Depth=1
	v_cmp_ne_u16_e64 s[4:5], s42, v35
	v_bfrev_b32_e32 v33, 1
	s_and_saveexec_b64 s[36:37], s[4:5]
	s_cbranch_execz .LBB234_99
; %bb.96:                               ;   in Loop: Header=BB234_10 Depth=1
	v_and_b32_e32 v7, 0xffff, v35
	v_and_b32_e32 v36, 0x7f, v7
	v_cmp_ne_u32_e64 s[4:5], s43, v36
	v_mov_b32_e32 v33, 0x7f800001
	s_and_saveexec_b64 s[38:39], s[4:5]
	s_cbranch_execz .LBB234_98
; %bb.97:                               ;   in Loop: Header=BB234_10 Depth=1
	v_and_b32_e32 v33, 7, v7
	v_ffbh_u32_e32 v37, v33
	v_min_u32_e32 v40, 32, v37
	v_subrev_u32_e32 v37, 28, v40
	v_lshlrev_b64 v[37:38], v37, v[7:8]
	v_lshrrev_b32_e32 v39, 3, v36
	v_sub_u32_e32 v7, 29, v40
	v_and_b32_e32 v37, 7, v37
	v_cmp_gt_u32_e64 s[4:5], 8, v36
	v_cndmask_b32_e64 v7, v39, v7, s[4:5]
	v_cndmask_b32_e64 v33, v33, v37, s[4:5]
	v_lshlrev_b32_e32 v35, 24, v35
	v_lshlrev_b32_e32 v33, 20, v33
	v_and_b32_e32 v35, 0x80000000, v35
	v_lshl_add_u32 v7, v7, 23, v17
	v_or3_b32 v33, v35, v7, v33
.LBB234_98:                             ;   in Loop: Header=BB234_10 Depth=1
	s_or_b64 exec, exec, s[38:39]
.LBB234_99:                             ;   in Loop: Header=BB234_10 Depth=1
	s_or_b64 exec, exec, s[36:37]
.LBB234_100:                            ;   in Loop: Header=BB234_10 Depth=1
	s_or_b64 exec, exec, s[34:35]
	global_load_ubyte v37, v[5:6], off offset:904
	v_mov_b32_e32 v35, 0
	v_mov_b32_e32 v36, 0
	s_waitcnt vmcnt(0)
	v_cmp_ne_u16_e64 s[4:5], 0, v37
	s_and_saveexec_b64 s[34:35], s[4:5]
	s_cbranch_execz .LBB234_106
; %bb.101:                              ;   in Loop: Header=BB234_10 Depth=1
	v_cmp_ne_u16_e64 s[4:5], s42, v37
	v_bfrev_b32_e32 v36, 1
	s_and_saveexec_b64 s[36:37], s[4:5]
	s_cbranch_execz .LBB234_105
; %bb.102:                              ;   in Loop: Header=BB234_10 Depth=1
	v_and_b32_e32 v7, 0xffff, v37
	v_and_b32_e32 v38, 0x7f, v7
	v_cmp_ne_u32_e64 s[4:5], s43, v38
	v_mov_b32_e32 v36, 0x7f800001
	s_and_saveexec_b64 s[38:39], s[4:5]
	s_cbranch_execz .LBB234_104
; %bb.103:                              ;   in Loop: Header=BB234_10 Depth=1
	v_and_b32_e32 v36, 7, v7
	v_ffbh_u32_e32 v39, v36
	v_min_u32_e32 v42, 32, v39
	v_subrev_u32_e32 v39, 28, v42
	v_lshlrev_b64 v[39:40], v39, v[7:8]
	v_lshrrev_b32_e32 v41, 3, v38
	v_sub_u32_e32 v7, 29, v42
	v_and_b32_e32 v39, 7, v39
	v_cmp_gt_u32_e64 s[4:5], 8, v38
	v_cndmask_b32_e64 v7, v41, v7, s[4:5]
	v_cndmask_b32_e64 v36, v36, v39, s[4:5]
	v_lshlrev_b32_e32 v37, 24, v37
	v_lshlrev_b32_e32 v36, 20, v36
	v_and_b32_e32 v37, 0x80000000, v37
	v_lshl_add_u32 v7, v7, 23, v17
	v_or3_b32 v36, v37, v7, v36
.LBB234_104:                            ;   in Loop: Header=BB234_10 Depth=1
	s_or_b64 exec, exec, s[38:39]
.LBB234_105:                            ;   in Loop: Header=BB234_10 Depth=1
	s_or_b64 exec, exec, s[36:37]
.LBB234_106:                            ;   in Loop: Header=BB234_10 Depth=1
	s_or_b64 exec, exec, s[34:35]
	global_load_ubyte v37, v[5:6], off offset:1024
	s_waitcnt vmcnt(0)
	v_cmp_ne_u16_e64 s[4:5], 0, v37
	s_and_saveexec_b64 s[34:35], s[4:5]
	s_cbranch_execz .LBB234_112
; %bb.107:                              ;   in Loop: Header=BB234_10 Depth=1
	v_cmp_ne_u16_e64 s[4:5], s42, v37
	v_bfrev_b32_e32 v35, 1
	s_and_saveexec_b64 s[36:37], s[4:5]
	s_cbranch_execz .LBB234_111
; %bb.108:                              ;   in Loop: Header=BB234_10 Depth=1
	v_and_b32_e32 v7, 0xffff, v37
	v_and_b32_e32 v38, 0x7f, v7
	v_cmp_ne_u32_e64 s[4:5], s43, v38
	v_mov_b32_e32 v35, 0x7f800001
	s_and_saveexec_b64 s[38:39], s[4:5]
	s_cbranch_execz .LBB234_110
; %bb.109:                              ;   in Loop: Header=BB234_10 Depth=1
	v_and_b32_e32 v35, 7, v7
	v_ffbh_u32_e32 v39, v35
	v_min_u32_e32 v42, 32, v39
	v_subrev_u32_e32 v39, 28, v42
	v_lshlrev_b64 v[39:40], v39, v[7:8]
	v_lshrrev_b32_e32 v41, 3, v38
	v_sub_u32_e32 v7, 29, v42
	v_and_b32_e32 v39, 7, v39
	v_cmp_gt_u32_e64 s[4:5], 8, v38
	v_cndmask_b32_e64 v7, v41, v7, s[4:5]
	v_cndmask_b32_e64 v35, v35, v39, s[4:5]
	v_lshlrev_b32_e32 v37, 24, v37
	v_lshlrev_b32_e32 v35, 20, v35
	v_and_b32_e32 v37, 0x80000000, v37
	v_lshl_add_u32 v7, v7, 23, v17
	v_or3_b32 v35, v37, v7, v35
.LBB234_110:                            ;   in Loop: Header=BB234_10 Depth=1
	s_or_b64 exec, exec, s[38:39]
.LBB234_111:                            ;   in Loop: Header=BB234_10 Depth=1
	s_or_b64 exec, exec, s[36:37]
.LBB234_112:                            ;   in Loop: Header=BB234_10 Depth=1
	s_or_b64 exec, exec, s[34:35]
	global_load_ubyte v39, v[5:6], off offset:1032
	v_mov_b32_e32 v37, 0
	v_mov_b32_e32 v38, 0
	s_waitcnt vmcnt(0)
	v_cmp_ne_u16_e64 s[4:5], 0, v39
	s_and_saveexec_b64 s[34:35], s[4:5]
	s_cbranch_execz .LBB234_118
; %bb.113:                              ;   in Loop: Header=BB234_10 Depth=1
	v_cmp_ne_u16_e64 s[4:5], s42, v39
	v_bfrev_b32_e32 v38, 1
	s_and_saveexec_b64 s[36:37], s[4:5]
	s_cbranch_execz .LBB234_117
; %bb.114:                              ;   in Loop: Header=BB234_10 Depth=1
	v_and_b32_e32 v7, 0xffff, v39
	v_and_b32_e32 v40, 0x7f, v7
	v_cmp_ne_u32_e64 s[4:5], s43, v40
	v_mov_b32_e32 v38, 0x7f800001
	s_and_saveexec_b64 s[38:39], s[4:5]
	s_cbranch_execz .LBB234_116
; %bb.115:                              ;   in Loop: Header=BB234_10 Depth=1
	v_and_b32_e32 v38, 7, v7
	v_ffbh_u32_e32 v41, v38
	v_min_u32_e32 v44, 32, v41
	v_subrev_u32_e32 v41, 28, v44
	v_lshlrev_b64 v[41:42], v41, v[7:8]
	v_lshrrev_b32_e32 v43, 3, v40
	v_sub_u32_e32 v7, 29, v44
	v_and_b32_e32 v41, 7, v41
	v_cmp_gt_u32_e64 s[4:5], 8, v40
	v_cndmask_b32_e64 v7, v43, v7, s[4:5]
	v_cndmask_b32_e64 v38, v38, v41, s[4:5]
	v_lshlrev_b32_e32 v39, 24, v39
	v_lshlrev_b32_e32 v38, 20, v38
	v_and_b32_e32 v39, 0x80000000, v39
	v_lshl_add_u32 v7, v7, 23, v17
	v_or3_b32 v38, v39, v7, v38
.LBB234_116:                            ;   in Loop: Header=BB234_10 Depth=1
	s_or_b64 exec, exec, s[38:39]
.LBB234_117:                            ;   in Loop: Header=BB234_10 Depth=1
	s_or_b64 exec, exec, s[36:37]
.LBB234_118:                            ;   in Loop: Header=BB234_10 Depth=1
	s_or_b64 exec, exec, s[34:35]
	global_load_ubyte v39, v[5:6], off offset:1152
	s_waitcnt vmcnt(0)
	v_cmp_ne_u16_e64 s[4:5], 0, v39
	s_and_saveexec_b64 s[34:35], s[4:5]
	s_cbranch_execz .LBB234_124
; %bb.119:                              ;   in Loop: Header=BB234_10 Depth=1
	v_cmp_ne_u16_e64 s[4:5], s42, v39
	v_bfrev_b32_e32 v37, 1
	s_and_saveexec_b64 s[36:37], s[4:5]
	s_cbranch_execz .LBB234_123
; %bb.120:                              ;   in Loop: Header=BB234_10 Depth=1
	v_and_b32_e32 v7, 0xffff, v39
	v_and_b32_e32 v40, 0x7f, v7
	v_cmp_ne_u32_e64 s[4:5], s43, v40
	v_mov_b32_e32 v37, 0x7f800001
	s_and_saveexec_b64 s[38:39], s[4:5]
	s_cbranch_execz .LBB234_122
; %bb.121:                              ;   in Loop: Header=BB234_10 Depth=1
	v_and_b32_e32 v37, 7, v7
	v_ffbh_u32_e32 v41, v37
	v_min_u32_e32 v44, 32, v41
	v_subrev_u32_e32 v41, 28, v44
	v_lshlrev_b64 v[41:42], v41, v[7:8]
	v_lshrrev_b32_e32 v43, 3, v40
	v_sub_u32_e32 v7, 29, v44
	v_and_b32_e32 v41, 7, v41
	v_cmp_gt_u32_e64 s[4:5], 8, v40
	v_cndmask_b32_e64 v7, v43, v7, s[4:5]
	v_cndmask_b32_e64 v37, v37, v41, s[4:5]
	v_lshlrev_b32_e32 v39, 24, v39
	v_lshlrev_b32_e32 v37, 20, v37
	v_and_b32_e32 v39, 0x80000000, v39
	v_lshl_add_u32 v7, v7, 23, v17
	v_or3_b32 v37, v39, v7, v37
.LBB234_122:                            ;   in Loop: Header=BB234_10 Depth=1
	s_or_b64 exec, exec, s[38:39]
.LBB234_123:                            ;   in Loop: Header=BB234_10 Depth=1
	s_or_b64 exec, exec, s[36:37]
.LBB234_124:                            ;   in Loop: Header=BB234_10 Depth=1
	s_or_b64 exec, exec, s[34:35]
	global_load_ubyte v41, v[5:6], off offset:1160
	v_mov_b32_e32 v39, 0
	v_mov_b32_e32 v40, 0
	s_waitcnt vmcnt(0)
	v_cmp_ne_u16_e64 s[4:5], 0, v41
	s_and_saveexec_b64 s[34:35], s[4:5]
	s_cbranch_execz .LBB234_130
; %bb.125:                              ;   in Loop: Header=BB234_10 Depth=1
	v_cmp_ne_u16_e64 s[4:5], s42, v41
	v_bfrev_b32_e32 v40, 1
	s_and_saveexec_b64 s[36:37], s[4:5]
	s_cbranch_execz .LBB234_129
; %bb.126:                              ;   in Loop: Header=BB234_10 Depth=1
	v_and_b32_e32 v7, 0xffff, v41
	v_and_b32_e32 v42, 0x7f, v7
	v_cmp_ne_u32_e64 s[4:5], s43, v42
	v_mov_b32_e32 v40, 0x7f800001
	s_and_saveexec_b64 s[38:39], s[4:5]
	s_cbranch_execz .LBB234_128
; %bb.127:                              ;   in Loop: Header=BB234_10 Depth=1
	v_and_b32_e32 v40, 7, v7
	v_ffbh_u32_e32 v43, v40
	v_min_u32_e32 v46, 32, v43
	v_subrev_u32_e32 v43, 28, v46
	v_lshlrev_b64 v[43:44], v43, v[7:8]
	v_lshrrev_b32_e32 v45, 3, v42
	v_sub_u32_e32 v7, 29, v46
	v_and_b32_e32 v43, 7, v43
	v_cmp_gt_u32_e64 s[4:5], 8, v42
	v_cndmask_b32_e64 v7, v45, v7, s[4:5]
	v_cndmask_b32_e64 v40, v40, v43, s[4:5]
	v_lshlrev_b32_e32 v41, 24, v41
	v_lshlrev_b32_e32 v40, 20, v40
	v_and_b32_e32 v41, 0x80000000, v41
	v_lshl_add_u32 v7, v7, 23, v17
	v_or3_b32 v40, v41, v7, v40
.LBB234_128:                            ;   in Loop: Header=BB234_10 Depth=1
	s_or_b64 exec, exec, s[38:39]
.LBB234_129:                            ;   in Loop: Header=BB234_10 Depth=1
	s_or_b64 exec, exec, s[36:37]
.LBB234_130:                            ;   in Loop: Header=BB234_10 Depth=1
	s_or_b64 exec, exec, s[34:35]
	global_load_ubyte v41, v[5:6], off offset:1280
	s_waitcnt vmcnt(0)
	v_cmp_ne_u16_e64 s[4:5], 0, v41
	s_and_saveexec_b64 s[34:35], s[4:5]
	s_cbranch_execz .LBB234_136
; %bb.131:                              ;   in Loop: Header=BB234_10 Depth=1
	v_cmp_ne_u16_e64 s[4:5], s42, v41
	v_bfrev_b32_e32 v39, 1
	s_and_saveexec_b64 s[36:37], s[4:5]
	s_cbranch_execz .LBB234_135
; %bb.132:                              ;   in Loop: Header=BB234_10 Depth=1
	v_and_b32_e32 v7, 0xffff, v41
	v_and_b32_e32 v42, 0x7f, v7
	v_cmp_ne_u32_e64 s[4:5], s43, v42
	v_mov_b32_e32 v39, 0x7f800001
	s_and_saveexec_b64 s[38:39], s[4:5]
	s_cbranch_execz .LBB234_134
; %bb.133:                              ;   in Loop: Header=BB234_10 Depth=1
	v_and_b32_e32 v39, 7, v7
	v_ffbh_u32_e32 v43, v39
	v_min_u32_e32 v46, 32, v43
	v_subrev_u32_e32 v43, 28, v46
	v_lshlrev_b64 v[43:44], v43, v[7:8]
	v_lshrrev_b32_e32 v45, 3, v42
	v_sub_u32_e32 v7, 29, v46
	v_and_b32_e32 v43, 7, v43
	v_cmp_gt_u32_e64 s[4:5], 8, v42
	v_cndmask_b32_e64 v7, v45, v7, s[4:5]
	v_cndmask_b32_e64 v39, v39, v43, s[4:5]
	v_lshlrev_b32_e32 v41, 24, v41
	v_lshlrev_b32_e32 v39, 20, v39
	v_and_b32_e32 v41, 0x80000000, v41
	v_lshl_add_u32 v7, v7, 23, v17
	v_or3_b32 v39, v41, v7, v39
.LBB234_134:                            ;   in Loop: Header=BB234_10 Depth=1
	s_or_b64 exec, exec, s[38:39]
.LBB234_135:                            ;   in Loop: Header=BB234_10 Depth=1
	s_or_b64 exec, exec, s[36:37]
.LBB234_136:                            ;   in Loop: Header=BB234_10 Depth=1
	s_or_b64 exec, exec, s[34:35]
	global_load_ubyte v43, v[5:6], off offset:1288
	v_mov_b32_e32 v41, 0
	v_mov_b32_e32 v42, 0
	s_waitcnt vmcnt(0)
	v_cmp_ne_u16_e64 s[4:5], 0, v43
	s_and_saveexec_b64 s[34:35], s[4:5]
	s_cbranch_execz .LBB234_142
; %bb.137:                              ;   in Loop: Header=BB234_10 Depth=1
	v_cmp_ne_u16_e64 s[4:5], s42, v43
	v_bfrev_b32_e32 v42, 1
	s_and_saveexec_b64 s[36:37], s[4:5]
	s_cbranch_execz .LBB234_141
; %bb.138:                              ;   in Loop: Header=BB234_10 Depth=1
	v_and_b32_e32 v7, 0xffff, v43
	v_and_b32_e32 v44, 0x7f, v7
	v_cmp_ne_u32_e64 s[4:5], s43, v44
	v_mov_b32_e32 v42, 0x7f800001
	s_and_saveexec_b64 s[38:39], s[4:5]
	s_cbranch_execz .LBB234_140
; %bb.139:                              ;   in Loop: Header=BB234_10 Depth=1
	v_and_b32_e32 v42, 7, v7
	v_ffbh_u32_e32 v45, v42
	v_min_u32_e32 v48, 32, v45
	v_subrev_u32_e32 v45, 28, v48
	v_lshlrev_b64 v[45:46], v45, v[7:8]
	v_lshrrev_b32_e32 v47, 3, v44
	v_sub_u32_e32 v7, 29, v48
	v_and_b32_e32 v45, 7, v45
	v_cmp_gt_u32_e64 s[4:5], 8, v44
	v_cndmask_b32_e64 v7, v47, v7, s[4:5]
	v_cndmask_b32_e64 v42, v42, v45, s[4:5]
	v_lshlrev_b32_e32 v43, 24, v43
	v_lshlrev_b32_e32 v42, 20, v42
	v_and_b32_e32 v43, 0x80000000, v43
	v_lshl_add_u32 v7, v7, 23, v17
	v_or3_b32 v42, v43, v7, v42
.LBB234_140:                            ;   in Loop: Header=BB234_10 Depth=1
	s_or_b64 exec, exec, s[38:39]
.LBB234_141:                            ;   in Loop: Header=BB234_10 Depth=1
	s_or_b64 exec, exec, s[36:37]
.LBB234_142:                            ;   in Loop: Header=BB234_10 Depth=1
	s_or_b64 exec, exec, s[34:35]
	global_load_ubyte v43, v[5:6], off offset:1408
	s_waitcnt vmcnt(0)
	v_cmp_ne_u16_e64 s[4:5], 0, v43
	s_and_saveexec_b64 s[34:35], s[4:5]
	s_cbranch_execz .LBB234_148
; %bb.143:                              ;   in Loop: Header=BB234_10 Depth=1
	v_cmp_ne_u16_e64 s[4:5], s42, v43
	v_bfrev_b32_e32 v41, 1
	s_and_saveexec_b64 s[36:37], s[4:5]
	s_cbranch_execz .LBB234_147
; %bb.144:                              ;   in Loop: Header=BB234_10 Depth=1
	v_and_b32_e32 v7, 0xffff, v43
	v_and_b32_e32 v44, 0x7f, v7
	v_cmp_ne_u32_e64 s[4:5], s43, v44
	v_mov_b32_e32 v41, 0x7f800001
	s_and_saveexec_b64 s[38:39], s[4:5]
	s_cbranch_execz .LBB234_146
; %bb.145:                              ;   in Loop: Header=BB234_10 Depth=1
	v_and_b32_e32 v41, 7, v7
	v_ffbh_u32_e32 v45, v41
	v_min_u32_e32 v48, 32, v45
	v_subrev_u32_e32 v45, 28, v48
	v_lshlrev_b64 v[45:46], v45, v[7:8]
	v_lshrrev_b32_e32 v47, 3, v44
	v_sub_u32_e32 v7, 29, v48
	v_and_b32_e32 v45, 7, v45
	v_cmp_gt_u32_e64 s[4:5], 8, v44
	v_cndmask_b32_e64 v7, v47, v7, s[4:5]
	v_cndmask_b32_e64 v41, v41, v45, s[4:5]
	v_lshlrev_b32_e32 v43, 24, v43
	v_lshlrev_b32_e32 v41, 20, v41
	v_and_b32_e32 v43, 0x80000000, v43
	v_lshl_add_u32 v7, v7, 23, v17
	v_or3_b32 v41, v43, v7, v41
.LBB234_146:                            ;   in Loop: Header=BB234_10 Depth=1
	s_or_b64 exec, exec, s[38:39]
.LBB234_147:                            ;   in Loop: Header=BB234_10 Depth=1
	s_or_b64 exec, exec, s[36:37]
.LBB234_148:                            ;   in Loop: Header=BB234_10 Depth=1
	s_or_b64 exec, exec, s[34:35]
	global_load_ubyte v7, v[5:6], off offset:1416
	v_mov_b32_e32 v6, 0
	s_waitcnt vmcnt(0)
	v_cmp_ne_u16_e64 s[4:5], 0, v7
	s_and_saveexec_b64 s[34:35], s[4:5]
	s_cbranch_execz .LBB234_154
; %bb.149:                              ;   in Loop: Header=BB234_10 Depth=1
	v_cmp_ne_u16_e64 s[4:5], s42, v7
	v_bfrev_b32_e32 v6, 1
	s_and_saveexec_b64 s[36:37], s[4:5]
	s_cbranch_execz .LBB234_153
; %bb.150:                              ;   in Loop: Header=BB234_10 Depth=1
	v_and_b32_e32 v5, 0xffff, v7
	v_and_b32_e32 v43, 0x7f, v5
	v_cmp_ne_u32_e64 s[4:5], s43, v43
	v_mov_b32_e32 v6, 0x7f800001
	s_and_saveexec_b64 s[38:39], s[4:5]
	s_cbranch_execz .LBB234_152
; %bb.151:                              ;   in Loop: Header=BB234_10 Depth=1
	v_and_b32_e32 v44, 7, v5
	v_ffbh_u32_e32 v6, v44
	v_min_u32_e32 v46, 32, v6
	v_subrev_u32_e32 v6, 28, v46
	v_lshlrev_b64 v[5:6], v6, v[5:6]
	v_lshrrev_b32_e32 v45, 3, v43
	v_sub_u32_e32 v6, 29, v46
	v_and_b32_e32 v5, 7, v5
	v_cmp_gt_u32_e64 s[4:5], 8, v43
	v_cndmask_b32_e64 v6, v45, v6, s[4:5]
	v_cndmask_b32_e64 v5, v44, v5, s[4:5]
	v_lshlrev_b32_e32 v7, 24, v7
	v_lshlrev_b32_e32 v5, 20, v5
	v_and_b32_e32 v7, 0x80000000, v7
	v_lshl_add_u32 v6, v6, 23, v17
	v_or3_b32 v6, v7, v6, v5
.LBB234_152:                            ;   in Loop: Header=BB234_10 Depth=1
	s_or_b64 exec, exec, s[38:39]
.LBB234_153:                            ;   in Loop: Header=BB234_10 Depth=1
	s_or_b64 exec, exec, s[36:37]
.LBB234_154:                            ;   in Loop: Header=BB234_10 Depth=1
	s_or_b64 exec, exec, s[34:35]
	v_fma_mixlo_f16 v5, v19, v20, 0
	ds_read_u16 v7, v14
	v_and_b32_e32 v20, 0xffff, v5
	s_waitcnt lgkmcnt(0)
	;;#ASMSTART
	v_cvt_f32_f16 v5, v7;
	;;#ASMEND
	;;#ASMSTART
	v_cvt_f32_f16 v7, v20;
	;;#ASMEND
	v_fma_mixlo_f16 v20, v19, v22, 0
	v_and_b32_e32 v22, 0xffff, v20
	ds_read_u16 v43, v14 offset:2
	s_waitcnt lgkmcnt(0)
	;;#ASMSTART
	v_cvt_f32_f16 v20, v43;
	;;#ASMEND
	;;#ASMSTART
	v_cvt_f32_f16 v22, v22;
	;;#ASMEND
	v_fma_mixlo_f16 v21, v19, v21, 0
	v_fma_mixlo_f16 v24, v19, v24, 0
	;; [unrolled: 1-line block ×22, first 2 shown]
	v_mul_f32_e32 v19, v20, v22
	ds_read_u16 v43, v14 offset:4
	v_and_b32_e32 v44, 0xffff, v21
	v_fmac_f32_e32 v19, v5, v7
	s_waitcnt lgkmcnt(0)
	;;#ASMSTART
	v_cvt_f32_f16 v21, v43;
	;;#ASMEND
	;;#ASMSTART
	v_cvt_f32_f16 v43, v44;
	;;#ASMEND
	ds_read_u16 v44, v14 offset:6
	v_and_b32_e32 v45, 0xffff, v24
	v_fmac_f32_e32 v19, v21, v43
	s_waitcnt lgkmcnt(0)
	;;#ASMSTART
	v_cvt_f32_f16 v24, v44;
	;;#ASMEND
	;;#ASMSTART
	v_cvt_f32_f16 v44, v45;
	;;#ASMEND
	;; [unrolled: 10-line block ×16, first 2 shown]
	v_and_b32_e32 v7, 0xffff, v37
	v_fmac_f32_e32 v19, v58, v38
	ds_read_u16 v59, v14 offset:36
	s_waitcnt lgkmcnt(0)
	;;#ASMSTART
	v_cvt_f32_f16 v5, v59;
	;;#ASMEND
	;;#ASMSTART
	v_cvt_f32_f16 v7, v7;
	;;#ASMEND
	ds_read_u16 v20, v14 offset:38
	v_and_b32_e32 v21, 0xffff, v40
	v_fmac_f32_e32 v19, v5, v7
	s_waitcnt lgkmcnt(0)
	;;#ASMSTART
	v_cvt_f32_f16 v20, v20;
	;;#ASMEND
	;;#ASMSTART
	v_cvt_f32_f16 v21, v21;
	;;#ASMEND
	ds_read_u16 v22, v14 offset:40
	v_and_b32_e32 v23, 0xffff, v39
	v_fmac_f32_e32 v19, v20, v21
	;; [unrolled: 10-line block ×3, first 2 shown]
	s_waitcnt lgkmcnt(0)
	;;#ASMSTART
	v_cvt_f32_f16 v24, v24;
	;;#ASMEND
	;;#ASMSTART
	v_cvt_f32_f16 v25, v25;
	;;#ASMEND
	ds_read_u16 v26, v14 offset:44
	s_waitcnt lgkmcnt(0)
	;;#ASMSTART
	v_cvt_f32_f16 v5, v26;
	;;#ASMEND
	v_and_b32_e32 v7, 0xffff, v41
	v_fmac_f32_e32 v19, v24, v25
	v_and_b32_e32 v6, 0xffff, v6
	;;#ASMSTART
	v_cvt_f32_f16 v7, v7;
	;;#ASMEND
	ds_read_u16 v26, v14 offset:46
	v_fmac_f32_e32 v19, v5, v7
	s_waitcnt lgkmcnt(0)
	;;#ASMSTART
	v_cvt_f32_f16 v5, v26;
	;;#ASMEND
	;;#ASMSTART
	v_cvt_f32_f16 v6, v6;
	;;#ASMEND
	v_fmac_f32_e32 v19, v5, v6
	v_and_b32_e32 v6, 64, v9
	v_add_u32_e32 v5, 64, v6
	v_xor_b32_e32 v7, 4, v9
	v_cmp_lt_i32_e64 s[4:5], v7, v5
	v_cndmask_b32_e64 v7, v9, v7, s[4:5]
	v_lshlrev_b32_e32 v7, 2, v7
	ds_bpermute_b32 v7, v7, v19
	s_waitcnt lgkmcnt(0)
	v_add_f32_e32 v7, v19, v7
	v_xor_b32_e32 v19, 2, v9
	v_cmp_lt_i32_e64 s[4:5], v19, v5
	v_cndmask_b32_e64 v19, v9, v19, s[4:5]
	v_lshlrev_b32_e32 v19, 2, v19
	ds_bpermute_b32 v19, v19, v7
	s_waitcnt lgkmcnt(0)
	v_add_f32_e32 v7, v7, v19
	v_xor_b32_e32 v19, 1, v9
	v_cmp_lt_i32_e64 s[4:5], v19, v5
	v_cndmask_b32_e64 v19, v9, v19, s[4:5]
	v_lshlrev_b32_e32 v19, 2, v19
	ds_bpermute_b32 v19, v19, v7
	s_and_saveexec_b64 s[34:35], vcc
	s_cbranch_execz .LBB234_9
; %bb.155:                              ;   in Loop: Header=BB234_10 Depth=1
	v_add_u32_e32 v20, s41, v15
	v_cvt_f32_i32_e32 v20, v20
	s_waitcnt lgkmcnt(0)
	v_add_f32_e32 v7, v7, v19
	v_cmp_gt_i32_e64 s[4:5], s30, v15
	v_max_f32_e32 v19, v10, v10
	v_mul_f32_e32 v20, s33, v20
	v_cndmask_b32_e64 v20, 0, v20, s[2:3]
	v_fmac_f32_e32 v20, s31, v7
	v_cndmask_b32_e64 v7, 0, v20, s[4:5]
	ds_write_b32 v16, v7
	v_max_f32_e32 v7, v19, v20
	v_cndmask_b32_e64 v10, v10, v7, s[4:5]
	s_branch .LBB234_9
.LBB234_156:
	s_or_b64 exec, exec, s[18:19]
.LBB234_157:
	s_or_b64 exec, exec, s[6:7]
	v_xor_b32_e32 v1, 32, v9
	v_cmp_lt_i32_e32 vcc, v1, v5
	v_cndmask_b32_e32 v1, v9, v1, vcc
	v_lshlrev_b32_e32 v2, 2, v1
	ds_bpermute_b32 v1, v2, v10
	v_xor_b32_e32 v4, 16, v9
	v_max_f32_e32 v3, v10, v10
	v_cmp_lt_i32_e32 vcc, v4, v5
	v_xor_b32_e32 v7, 8, v9
	s_waitcnt lgkmcnt(0)
	v_max_f32_e32 v1, v1, v1
	v_max_f32_e32 v1, v3, v1
	v_cndmask_b32_e32 v3, v9, v4, vcc
	v_lshlrev_b32_e32 v4, 2, v3
	ds_bpermute_b32 v3, v4, v1
	v_cmp_lt_i32_e32 vcc, v7, v5
	v_and_b32_e32 v13, 63, v0
	s_waitcnt lgkmcnt(0)
	v_max_f32_e32 v3, v3, v3
	v_max_f32_e32 v3, v1, v3
	v_cndmask_b32_e32 v1, v9, v7, vcc
	v_lshlrev_b32_e32 v10, 2, v1
	ds_bpermute_b32 v7, v10, v3
	v_cmp_eq_u32_e32 vcc, 0, v13
	v_lshlrev_b32_e32 v1, 2, v12
	s_and_saveexec_b64 s[2:3], vcc
	s_cbranch_execz .LBB234_159
; %bb.158:
	s_waitcnt lgkmcnt(0)
	v_max_f32_e32 v7, v7, v7
	v_max_f32_e32 v3, v3, v3
	;; [unrolled: 1-line block ×3, first 2 shown]
	ds_write_b32 v1, v3 offset:384
.LBB234_159:
	s_or_b64 exec, exec, s[2:3]
	v_cmp_gt_u32_e64 s[2:3], 2, v13
	v_mov_b32_e32 v14, 0xff7fffff
	v_lshlrev_b32_e32 v3, 2, v13
	s_waitcnt lgkmcnt(0)
	s_barrier
	s_and_saveexec_b64 s[4:5], s[2:3]
; %bb.160:
	ds_read_b32 v14, v3 offset:384
; %bb.161:
	s_or_b64 exec, exec, s[4:5]
	v_xor_b32_e32 v7, 1, v9
	v_cmp_lt_i32_e64 s[4:5], v7, v5
	v_cndmask_b32_e64 v7, v9, v7, s[4:5]
	v_lshlrev_b32_e32 v7, 2, v7
	s_waitcnt lgkmcnt(0)
	ds_bpermute_b32 v15, v7, v14
	v_max_f32_e32 v14, v14, v14
	v_lshlrev_b32_e32 v6, 2, v6
	s_lshl_b32 s4, s21, 3
	s_min_i32 s31, s4, s30
	s_waitcnt lgkmcnt(0)
	v_max_f32_e32 v15, v15, v15
	v_max_f32_e32 v14, v14, v15
	ds_bpermute_b32 v14, v6, v14
	v_cmp_gt_i32_e64 s[4:5], s31, v0
	v_mov_b32_e32 v6, 0
	s_and_saveexec_b64 s[12:13], s[4:5]
	s_cbranch_execz .LBB234_165
; %bb.162:
	v_mov_b32_e32 v6, 0x190
	v_lshl_add_u32 v15, v0, 2, v6
	v_mov_b32_e32 v6, 0
	s_mov_b64 s[18:19], 0
	v_mov_b32_e32 v16, v0
.LBB234_163:                            ; =>This Inner Loop Header: Depth=1
	ds_read_b32 v17, v15
	v_add_u32_e32 v16, 0x80, v16
	v_cmp_le_i32_e64 s[6:7], s31, v16
	s_or_b64 s[18:19], s[6:7], s[18:19]
	s_waitcnt lgkmcnt(0)
	v_sub_f32_e32 v17, v17, v14
	v_mul_f32_e32 v17, 0x3fb8aa3b, v17
	v_exp_f32_e32 v17, v17
	ds_write_b32 v15, v17
	v_add_f32_e32 v6, v6, v17
	v_add_u32_e32 v15, 0x200, v15
	s_andn2_b64 exec, exec, s[18:19]
	s_cbranch_execnz .LBB234_163
; %bb.164:
	s_or_b64 exec, exec, s[18:19]
.LBB234_165:
	s_or_b64 exec, exec, s[12:13]
	ds_bpermute_b32 v2, v2, v6
	s_waitcnt lgkmcnt(0)
	v_add_f32_e32 v2, v6, v2
	ds_bpermute_b32 v4, v4, v2
	v_xor_b32_e32 v6, 4, v9
	v_cmp_lt_i32_e64 s[6:7], v6, v5
	v_cndmask_b32_e64 v6, v9, v6, s[6:7]
	v_lshlrev_b32_e32 v6, 2, v6
	s_waitcnt lgkmcnt(0)
	v_add_f32_e32 v2, v2, v4
	ds_bpermute_b32 v4, v10, v2
	s_waitcnt lgkmcnt(0)
	v_add_f32_e32 v2, v2, v4
	ds_bpermute_b32 v4, v6, v2
	v_xor_b32_e32 v6, 2, v9
	v_cmp_lt_i32_e64 s[6:7], v6, v5
	v_cndmask_b32_e64 v5, v9, v6, s[6:7]
	s_waitcnt lgkmcnt(0)
	v_add_f32_e32 v2, v2, v4
	v_lshlrev_b32_e32 v4, 2, v5
	ds_bpermute_b32 v4, v4, v2
	s_waitcnt lgkmcnt(0)
	v_add_f32_e32 v2, v2, v4
	ds_bpermute_b32 v4, v7, v2
	s_waitcnt lgkmcnt(0)
	v_add_f32_e32 v2, v2, v4
	s_and_saveexec_b64 s[6:7], vcc
; %bb.166:
	ds_write_b32 v1, v2 offset:392
; %bb.167:
	s_or_b64 exec, exec, s[6:7]
	s_waitcnt lgkmcnt(0)
	s_barrier
	s_and_saveexec_b64 s[6:7], s[2:3]
; %bb.168:
	ds_read_b32 v2, v3 offset:392
; %bb.169:
	s_or_b64 exec, exec, s[6:7]
	s_waitcnt lgkmcnt(0)
	ds_bpermute_b32 v1, v7, v2
	v_lshlrev_b32_e32 v3, 2, v9
	s_waitcnt lgkmcnt(0)
	v_add_f32_e32 v1, v2, v1
	v_and_b32_e32 v2, 0xffffff00, v3
	ds_bpermute_b32 v1, v2, v1
	s_and_saveexec_b64 s[2:3], s[4:5]
	s_cbranch_execz .LBB234_172
; %bb.170:
	s_waitcnt lgkmcnt(0)
	v_add_f32_e32 v2, 0x358637bd, v1
	v_div_scale_f32 v1, s[4:5], v2, v2, 1.0
	v_div_scale_f32 v3, vcc, 1.0, v2, 1.0
	s_mov_b64 s[4:5], 0
	v_rcp_f32_e32 v4, v1
	v_fma_f32 v5, -v1, v4, 1.0
	v_fmac_f32_e32 v4, v5, v4
	v_mul_f32_e32 v5, v3, v4
	v_fma_f32 v6, -v1, v5, v3
	v_fmac_f32_e32 v5, v6, v4
	v_fma_f32 v1, -v1, v5, v3
	v_div_fmas_f32 v3, v1, v4, v5
	v_mov_b32_e32 v1, 0x190
	v_lshl_add_u32 v1, v0, 2, v1
	v_div_fixup_f32 v2, v3, v2, 1.0
	v_mov_b32_e32 v3, v0
.LBB234_171:                            ; =>This Inner Loop Header: Depth=1
	ds_read_b32 v4, v1
	v_add_u32_e32 v3, 0x80, v3
	v_cmp_le_i32_e32 vcc, s31, v3
	s_or_b64 s[4:5], vcc, s[4:5]
	s_waitcnt lgkmcnt(0)
	v_mul_f32_e32 v4, v2, v4
	ds_write_b32 v1, v4
	v_add_u32_e32 v1, 0x200, v1
	s_andn2_b64 exec, exec, s[4:5]
	s_cbranch_execnz .LBB234_171
.LBB234_172:
	s_or_b64 exec, exec, s[2:3]
	v_mov_b32_e32 v16, 0
	v_mov_b32_e32 v15, 0
	;; [unrolled: 1-line block ×3, first 2 shown]
	s_waitcnt lgkmcnt(0)
	s_barrier
	s_and_saveexec_b64 s[2:3], s[0:1]
	s_cbranch_execz .LBB234_326
; %bb.173:
	s_ashr_i32 s0, s16, 31
	s_add_u32 s1, s28, s16
	s_addc_u32 s0, s29, s0
	v_lshlrev_b32_e32 v1, 3, v13
	s_add_i32 s28, s21, -1
	v_mov_b32_e32 v4, s0
	v_add_co_u32_e32 v3, vcc, s1, v1
	s_lshl_b64 s[0:1], s[26:27], 2
	v_mov_b32_e32 v1, 0x190
	s_add_u32 s0, s24, s0
	v_addc_co_u32_e32 v4, vcc, 0, v4, vcc
	v_lshl_add_u32 v18, v12, 5, v1
	v_and_b32_e32 v1, 60, v8
	s_addc_u32 s1, s25, s1
	s_mov_b32 s4, -1
	v_mov_b32_e32 v6, s1
	v_add_co_u32_e32 v5, vcc, s0, v1
	s_mov_b32 s31, s17
	s_mov_b32 s5, 0xffffff
	v_mov_b32_e32 v2, 0
	v_lshl_or_b32 v17, v12, 3, 7
	v_addc_co_u32_e32 v6, vcc, 0, v6, vcc
	s_mov_b64 s[6:7], 0
	s_movk_i32 s24, 0x80
	s_movk_i32 s25, 0x7f
	s_mov_b32 s26, 0x8000
	v_mov_b32_e32 v19, 0x2000
	v_mov_b32_e32 v14, 0
	;; [unrolled: 1-line block ×4, first 2 shown]
	s_branch .LBB234_175
.LBB234_174:                            ;   in Loop: Header=BB234_175 Depth=1
	s_or_b64 exec, exec, s[0:1]
	v_add_f32_e32 v9, v9, v10
	v_add_f32_e32 v15, v15, v9
	;; [unrolled: 1-line block ×3, first 2 shown]
	;;#ASMSTART
	v_pk_mul_f16 v8, v27, v8;

	;;#ASMEND
	;;#ASMSTART
	v_pk_mul_f16 v1, v28, v1;

	;;#ASMEND
	v_add_f32_e32 v16, v16, v9
	;;#ASMSTART
	v_pk_mul_f16 v9, v29, v34;

	;;#ASMEND
	;;#ASMSTART
	v_pk_mul_f16 v7, v30, v7;

	;;#ASMEND
	;;#ASMSTART
	v_pk_add_f16 v1, v8, v1;

	;;#ASMEND
	;;#ASMSTART
	v_pk_add_f16 v1, v1, v9;
	;; [unrolled: 4-line block ×3, first 2 shown]

	;;#ASMEND
	v_lshrrev_b32_e32 v7, 16, v1
	v_and_b32_e32 v1, 0xffff, v1
	v_add_u32_e32 v12, 2, v12
	;;#ASMSTART
	v_cvt_f32_f16 v1, v1;
	;;#ASMEND
	v_cmp_le_i32_e32 vcc, s21, v12
	;;#ASMSTART
	v_cvt_f32_f16 v7, v7;
	;;#ASMEND
	v_add_f32_e32 v1, v1, v7
	s_or_b64 s[6:7], vcc, s[6:7]
	v_add_co_u32_e32 v5, vcc, 8, v5
	v_add_f32_e32 v14, v14, v1
	v_add_u32_e32 v17, 16, v17
	v_add_u32_e32 v18, 64, v18
	v_addc_co_u32_e32 v6, vcc, 0, v6, vcc
	s_andn2_b64 exec, exec, s[6:7]
	s_cbranch_execz .LBB234_325
.LBB234_175:                            ; =>This Inner Loop Header: Depth=1
	global_load_dword v1, v[5:6], off
	ds_read2_b64 v[7:10], v18 offset1:1
	ds_read2_b64 v[20:23], v18 offset0:2 offset1:3
	s_waitcnt lgkmcnt(1)
	;;#ASMSTART
	v_cvt_f16_f32 v27, v7;

	;;#ASMEND
	;;#ASMSTART
	v_cvt_f16_f32 v28, v8;

	;;#ASMEND
	;; [unrolled: 4-line block ×4, first 2 shown]
	s_waitcnt lgkmcnt(0)
	;;#ASMSTART
	v_cvt_f16_f32 v31, v20;

	;;#ASMEND
	;;#ASMSTART
	v_cvt_f16_f32 v32, v21;

	;;#ASMEND
	;; [unrolled: 4-line block ×4, first 2 shown]
	v_mov_b32_e32 v22, 0
	s_waitcnt vmcnt(0)
	v_mad_i64_i32 v[7:8], s[0:1], v1, s31, v[3:4]
	global_load_dwordx2 v[9:10], v[7:8], off
	global_load_dword v21, v2, s[14:15]
	s_waitcnt vmcnt(1)
	v_cmp_ne_u16_sdwa s[12:13], v9, v2 src0_sel:BYTE_0 src1_sel:DWORD
	s_and_saveexec_b64 s[0:1], s[12:13]
	s_cbranch_execz .LBB234_181
; %bb.176:                              ;   in Loop: Header=BB234_175 Depth=1
	v_cmp_ne_u16_sdwa s[16:17], v9, s24 src0_sel:BYTE_0 src1_sel:DWORD
	v_mov_b32_e32 v22, 0x8000
	s_and_saveexec_b64 s[12:13], s[16:17]
	s_cbranch_execz .LBB234_180
; %bb.177:                              ;   in Loop: Header=BB234_175 Depth=1
	v_and_b32_e32 v1, 0x7f, v9
	v_cmp_ne_u32_e32 vcc, s25, v1
	v_mov_b32_e32 v22, 0x7c01
	s_and_saveexec_b64 s[16:17], vcc
	s_cbranch_execz .LBB234_179
; %bb.178:                              ;   in Loop: Header=BB234_175 Depth=1
	v_and_b32_e32 v20, 7, v9
	v_ffbh_u32_e32 v22, v20
	v_min_u32_e32 v25, 32, v22
	v_subrev_u32_e32 v22, 28, v25
	v_lshlrev_b64 v[22:23], v22, v[9:10]
	v_lshrrev_b32_e32 v24, 3, v1
	v_sub_u32_e32 v23, 29, v25
	v_cmp_gt_u32_e32 vcc, 8, v1
	v_cndmask_b32_e32 v1, v24, v23, vcc
	v_lshl_add_u32 v1, v1, 10, v19
	v_lshlrev_b32_e32 v23, 8, v9
	v_and_b32_e32 v22, 7, v22
	v_and_b32_e32 v1, 0xfc00, v1
	v_cndmask_b32_e32 v20, v20, v22, vcc
	v_and_or_b32 v1, v23, s26, v1
	v_lshl_or_b32 v22, v20, 7, v1
.LBB234_179:                            ;   in Loop: Header=BB234_175 Depth=1
	s_or_b64 exec, exec, s[16:17]
.LBB234_180:                            ;   in Loop: Header=BB234_175 Depth=1
	s_or_b64 exec, exec, s[12:13]
.LBB234_181:                            ;   in Loop: Header=BB234_175 Depth=1
	s_or_b64 exec, exec, s[0:1]
	v_lshrrev_b16_e32 v1, 8, v9
	v_cmp_ne_u16_e32 vcc, 0, v1
	v_mov_b32_e32 v24, 0
	v_mov_b32_e32 v23, 0
	s_and_saveexec_b64 s[0:1], vcc
	s_cbranch_execz .LBB234_187
; %bb.182:                              ;   in Loop: Header=BB234_175 Depth=1
	v_cmp_ne_u16_e32 vcc, s24, v1
	v_bfrev_b32_e32 v23, 1
	s_and_saveexec_b64 s[12:13], vcc
	s_cbranch_execz .LBB234_186
; %bb.183:                              ;   in Loop: Header=BB234_175 Depth=1
	v_and_b32_e32 v20, 0x7f, v1
	v_cmp_ne_u32_e32 vcc, s25, v20
	v_mov_b32_e32 v23, 0x7c010000
	s_and_saveexec_b64 s[16:17], vcc
	s_cbranch_execz .LBB234_185
; %bb.184:                              ;   in Loop: Header=BB234_175 Depth=1
	v_and_b32_e32 v23, 7, v1
	v_ffbh_u32_e32 v25, v23
	v_min_u32_e32 v36, 32, v25
	v_subrev_u32_e32 v25, 28, v36
	v_lshlrev_b64 v[25:26], v25, v[1:2]
	v_lshrrev_b32_e32 v35, 3, v20
	v_sub_u32_e32 v26, 29, v36
	v_cmp_gt_u32_e32 vcc, 8, v20
	v_cndmask_b32_e32 v20, v35, v26, vcc
	v_lshlrev_b32_e32 v1, 8, v1
	v_lshl_add_u32 v20, v20, 10, v19
	v_and_b32_e32 v25, 7, v25
	v_and_or_b32 v1, v1, s26, v20
	v_cndmask_b32_e32 v23, v23, v25, vcc
	v_lshlrev_b32_e32 v1, 16, v1
	v_lshl_or_b32 v23, v23, 23, v1
.LBB234_185:                            ;   in Loop: Header=BB234_175 Depth=1
	s_or_b64 exec, exec, s[16:17]
.LBB234_186:                            ;   in Loop: Header=BB234_175 Depth=1
	s_or_b64 exec, exec, s[12:13]
.LBB234_187:                            ;   in Loop: Header=BB234_175 Depth=1
	s_or_b64 exec, exec, s[0:1]
	v_lshrrev_b32_e32 v1, 16, v9
	v_cmp_ne_u16_sdwa s[12:13], v1, v2 src0_sel:BYTE_0 src1_sel:DWORD
	s_and_saveexec_b64 s[0:1], s[12:13]
	s_cbranch_execz .LBB234_193
; %bb.188:                              ;   in Loop: Header=BB234_175 Depth=1
	v_cmp_ne_u16_sdwa s[16:17], v1, s24 src0_sel:BYTE_0 src1_sel:DWORD
	v_mov_b32_e32 v24, 0x8000
	s_and_saveexec_b64 s[12:13], s[16:17]
	s_cbranch_execz .LBB234_192
; %bb.189:                              ;   in Loop: Header=BB234_175 Depth=1
	v_bfe_u32 v20, v9, 16, 7
	v_cmp_ne_u32_e32 vcc, s25, v20
	v_mov_b32_e32 v24, 0x7c01
	s_and_saveexec_b64 s[16:17], vcc
	s_cbranch_execz .LBB234_191
; %bb.190:                              ;   in Loop: Header=BB234_175 Depth=1
	v_and_b32_e32 v26, 7, v1
	v_ffbh_u32_e32 v24, v26
	v_min_u32_e32 v36, 32, v24
	v_subrev_u32_e32 v24, 28, v36
	v_lshlrev_b64 v[24:25], v24, v[1:2]
	v_lshrrev_b32_e32 v35, 3, v20
	v_sub_u32_e32 v25, 29, v36
	v_cmp_gt_u32_e32 vcc, 8, v20
	v_cndmask_b32_e32 v20, v35, v25, vcc
	v_lshl_add_u32 v20, v20, 10, v19
	v_lshlrev_b32_e32 v1, 8, v1
	v_and_b32_e32 v24, 7, v24
	v_and_b32_e32 v20, 0xfc00, v20
	v_cndmask_b32_e32 v24, v26, v24, vcc
	v_and_or_b32 v1, v1, s26, v20
	v_lshl_or_b32 v24, v24, 7, v1
.LBB234_191:                            ;   in Loop: Header=BB234_175 Depth=1
	s_or_b64 exec, exec, s[16:17]
.LBB234_192:                            ;   in Loop: Header=BB234_175 Depth=1
	s_or_b64 exec, exec, s[12:13]
.LBB234_193:                            ;   in Loop: Header=BB234_175 Depth=1
	s_or_b64 exec, exec, s[0:1]
	v_cmp_lt_u32_e32 vcc, s5, v9
	v_mov_b32_e32 v25, 0
	v_mov_b32_e32 v26, 0
	s_and_saveexec_b64 s[0:1], vcc
	s_cbranch_execz .LBB234_199
; %bb.194:                              ;   in Loop: Header=BB234_175 Depth=1
	v_lshrrev_b32_e32 v1, 24, v9
	v_cmp_ne_u32_e32 vcc, s24, v1
	v_bfrev_b32_e32 v26, 1
	s_and_saveexec_b64 s[12:13], vcc
	s_cbranch_execz .LBB234_198
; %bb.195:                              ;   in Loop: Header=BB234_175 Depth=1
	v_and_b32_e32 v20, 0x7f, v1
	v_cmp_ne_u32_e32 vcc, s25, v20
	v_mov_b32_e32 v26, 0x7c010000
	s_and_saveexec_b64 s[16:17], vcc
	s_cbranch_execz .LBB234_197
; %bb.196:                              ;   in Loop: Header=BB234_175 Depth=1
	v_and_b32_e32 v26, 7, v1
	v_ffbh_u32_e32 v35, v26
	v_min_u32_e32 v38, 32, v35
	v_subrev_u32_e32 v35, 28, v38
	v_lshlrev_b64 v[35:36], v35, v[1:2]
	v_lshrrev_b32_e32 v37, 3, v20
	v_sub_u32_e32 v36, 29, v38
	v_cmp_gt_u32_e32 vcc, 8, v20
	v_cndmask_b32_e32 v20, v37, v36, vcc
	v_lshlrev_b32_e32 v1, 8, v1
	v_lshl_add_u32 v20, v20, 10, v19
	v_and_b32_e32 v35, 7, v35
	v_and_or_b32 v1, v1, s26, v20
	v_cndmask_b32_e32 v26, v26, v35, vcc
	v_lshlrev_b32_e32 v1, 16, v1
	v_lshl_or_b32 v26, v26, 23, v1
.LBB234_197:                            ;   in Loop: Header=BB234_175 Depth=1
	s_or_b64 exec, exec, s[16:17]
.LBB234_198:                            ;   in Loop: Header=BB234_175 Depth=1
	s_or_b64 exec, exec, s[12:13]
.LBB234_199:                            ;   in Loop: Header=BB234_175 Depth=1
	s_or_b64 exec, exec, s[0:1]
	v_mov_b32_e32 v1, v10
	v_cmp_ne_u16_sdwa s[12:13], v10, v2 src0_sel:BYTE_0 src1_sel:DWORD
	s_and_saveexec_b64 s[0:1], s[12:13]
	s_cbranch_execz .LBB234_205
; %bb.200:                              ;   in Loop: Header=BB234_175 Depth=1
	v_cmp_ne_u16_sdwa s[16:17], v10, s24 src0_sel:BYTE_0 src1_sel:DWORD
	v_mov_b32_e32 v25, 0x8000
	s_and_saveexec_b64 s[12:13], s[16:17]
	s_cbranch_execz .LBB234_204
; %bb.201:                              ;   in Loop: Header=BB234_175 Depth=1
	v_and_b32_e32 v20, 0x7f, v10
	v_cmp_ne_u32_e32 vcc, s25, v20
	v_mov_b32_e32 v25, 0x7c01
	s_and_saveexec_b64 s[16:17], vcc
	s_cbranch_execz .LBB234_203
; %bb.202:                              ;   in Loop: Header=BB234_175 Depth=1
	v_and_b32_e32 v25, 7, v10
	v_ffbh_u32_e32 v35, v25
	v_min_u32_e32 v38, 32, v35
	v_subrev_u32_e32 v35, 28, v38
	v_lshlrev_b64 v[35:36], v35, v[1:2]
	v_lshrrev_b32_e32 v37, 3, v20
	v_sub_u32_e32 v36, 29, v38
	v_cmp_gt_u32_e32 vcc, 8, v20
	v_cndmask_b32_e32 v20, v37, v36, vcc
	v_lshl_add_u32 v20, v20, 10, v19
	v_lshlrev_b32_e32 v36, 8, v10
	v_and_b32_e32 v35, 7, v35
	v_and_b32_e32 v20, 0xfc00, v20
	v_cndmask_b32_e32 v25, v25, v35, vcc
	v_and_or_b32 v20, v36, s26, v20
	v_lshl_or_b32 v25, v25, 7, v20
.LBB234_203:                            ;   in Loop: Header=BB234_175 Depth=1
	s_or_b64 exec, exec, s[16:17]
.LBB234_204:                            ;   in Loop: Header=BB234_175 Depth=1
	s_or_b64 exec, exec, s[12:13]
.LBB234_205:                            ;   in Loop: Header=BB234_175 Depth=1
	s_or_b64 exec, exec, s[0:1]
	v_lshrrev_b16_e32 v1, 8, v1
	v_cmp_ne_u16_e32 vcc, 0, v1
	v_mov_b32_e32 v35, 0
	v_mov_b32_e32 v36, 0
	s_and_saveexec_b64 s[0:1], vcc
	s_cbranch_execz .LBB234_211
; %bb.206:                              ;   in Loop: Header=BB234_175 Depth=1
	v_cmp_ne_u16_e32 vcc, s24, v1
	v_bfrev_b32_e32 v36, 1
	s_and_saveexec_b64 s[12:13], vcc
	s_cbranch_execz .LBB234_210
; %bb.207:                              ;   in Loop: Header=BB234_175 Depth=1
	v_and_b32_e32 v20, 0x7f, v1
	v_cmp_ne_u32_e32 vcc, s25, v20
	v_mov_b32_e32 v36, 0x7c010000
	s_and_saveexec_b64 s[16:17], vcc
	s_cbranch_execz .LBB234_209
; %bb.208:                              ;   in Loop: Header=BB234_175 Depth=1
	v_and_b32_e32 v38, 7, v1
	v_ffbh_u32_e32 v36, v38
	v_min_u32_e32 v40, 32, v36
	v_subrev_u32_e32 v36, 28, v40
	v_lshlrev_b64 v[36:37], v36, v[1:2]
	v_lshrrev_b32_e32 v39, 3, v20
	v_sub_u32_e32 v37, 29, v40
	v_cmp_gt_u32_e32 vcc, 8, v20
	v_cndmask_b32_e32 v20, v39, v37, vcc
	v_lshlrev_b32_e32 v1, 8, v1
	v_lshl_add_u32 v20, v20, 10, v19
	v_and_b32_e32 v36, 7, v36
	v_and_or_b32 v1, v1, s26, v20
	v_cndmask_b32_e32 v36, v38, v36, vcc
	v_lshlrev_b32_e32 v1, 16, v1
	v_lshl_or_b32 v36, v36, 23, v1
.LBB234_209:                            ;   in Loop: Header=BB234_175 Depth=1
	s_or_b64 exec, exec, s[16:17]
.LBB234_210:                            ;   in Loop: Header=BB234_175 Depth=1
	s_or_b64 exec, exec, s[12:13]
.LBB234_211:                            ;   in Loop: Header=BB234_175 Depth=1
	s_or_b64 exec, exec, s[0:1]
	v_lshrrev_b32_e32 v1, 16, v10
	v_cmp_ne_u16_sdwa s[12:13], v1, v2 src0_sel:BYTE_0 src1_sel:DWORD
	s_and_saveexec_b64 s[0:1], s[12:13]
	s_cbranch_execz .LBB234_217
; %bb.212:                              ;   in Loop: Header=BB234_175 Depth=1
	v_cmp_ne_u16_sdwa s[16:17], v1, s24 src0_sel:BYTE_0 src1_sel:DWORD
	v_mov_b32_e32 v35, 0x8000
	s_and_saveexec_b64 s[12:13], s[16:17]
	s_cbranch_execz .LBB234_216
; %bb.213:                              ;   in Loop: Header=BB234_175 Depth=1
	v_bfe_u32 v20, v10, 16, 7
	v_cmp_ne_u32_e32 vcc, s25, v20
	v_mov_b32_e32 v35, 0x7c01
	s_and_saveexec_b64 s[16:17], vcc
	s_cbranch_execz .LBB234_215
; %bb.214:                              ;   in Loop: Header=BB234_175 Depth=1
	v_and_b32_e32 v35, 7, v1
	v_ffbh_u32_e32 v37, v35
	v_min_u32_e32 v40, 32, v37
	v_subrev_u32_e32 v37, 28, v40
	v_lshlrev_b64 v[37:38], v37, v[1:2]
	v_lshrrev_b32_e32 v39, 3, v20
	v_sub_u32_e32 v38, 29, v40
	v_cmp_gt_u32_e32 vcc, 8, v20
	v_cndmask_b32_e32 v20, v39, v38, vcc
	v_lshl_add_u32 v20, v20, 10, v19
	v_lshlrev_b32_e32 v1, 8, v1
	v_and_b32_e32 v37, 7, v37
	v_and_b32_e32 v20, 0xfc00, v20
	v_cndmask_b32_e32 v35, v35, v37, vcc
	v_and_or_b32 v1, v1, s26, v20
	v_lshl_or_b32 v35, v35, 7, v1
.LBB234_215:                            ;   in Loop: Header=BB234_175 Depth=1
	s_or_b64 exec, exec, s[16:17]
.LBB234_216:                            ;   in Loop: Header=BB234_175 Depth=1
	s_or_b64 exec, exec, s[12:13]
.LBB234_217:                            ;   in Loop: Header=BB234_175 Depth=1
	s_or_b64 exec, exec, s[0:1]
	v_cmp_lt_u64_e32 vcc, s[4:5], v[9:10]
	v_mov_b32_e32 v37, 0
	s_and_saveexec_b64 s[0:1], vcc
	s_cbranch_execz .LBB234_223
; %bb.218:                              ;   in Loop: Header=BB234_175 Depth=1
	v_lshrrev_b32_e32 v1, 24, v10
	v_cmp_ne_u32_e32 vcc, s24, v1
	v_bfrev_b32_e32 v37, 1
	s_and_saveexec_b64 s[12:13], vcc
	s_cbranch_execz .LBB234_222
; %bb.219:                              ;   in Loop: Header=BB234_175 Depth=1
	v_and_b32_e32 v9, 0x7f, v1
	v_cmp_ne_u32_e32 vcc, s25, v9
	v_mov_b32_e32 v37, 0x7c010000
	s_and_saveexec_b64 s[16:17], vcc
	s_cbranch_execz .LBB234_221
; %bb.220:                              ;   in Loop: Header=BB234_175 Depth=1
	v_and_b32_e32 v10, 7, v1
	v_ffbh_u32_e32 v37, v10
	v_min_u32_e32 v39, 32, v37
	v_subrev_u32_e32 v37, 28, v39
	v_lshlrev_b64 v[37:38], v37, v[1:2]
	v_lshrrev_b32_e32 v20, 3, v9
	v_sub_u32_e32 v38, 29, v39
	v_cmp_gt_u32_e32 vcc, 8, v9
	v_cndmask_b32_e32 v9, v20, v38, vcc
	v_lshlrev_b32_e32 v1, 8, v1
	v_lshl_add_u32 v9, v9, 10, v19
	v_and_b32_e32 v20, 7, v37
	v_and_or_b32 v1, v1, s26, v9
	v_cndmask_b32_e32 v10, v10, v20, vcc
	v_lshlrev_b32_e32 v1, 16, v1
	v_lshl_or_b32 v37, v10, 23, v1
.LBB234_221:                            ;   in Loop: Header=BB234_175 Depth=1
	s_or_b64 exec, exec, s[16:17]
.LBB234_222:                            ;   in Loop: Header=BB234_175 Depth=1
	s_or_b64 exec, exec, s[12:13]
.LBB234_223:                            ;   in Loop: Header=BB234_175 Depth=1
	s_or_b64 exec, exec, s[0:1]
	s_waitcnt vmcnt(0)
	v_fma_mixlo_f16 v9, v21, v26, 0 op_sel:[0,1,0] op_sel_hi:[0,1,0]
	v_lshlrev_b32_e32 v38, 16, v9
	v_or_b32_e32 v9, v23, v22
	v_fma_mixlo_f16 v10, v21, v23, 0 op_sel:[0,1,0] op_sel_hi:[0,1,0]
	v_fma_mixlo_f16 v22, v21, v36, 0 op_sel:[0,1,0] op_sel_hi:[0,1,0]
	v_or_b32_e32 v1, v26, v24
	v_lshlrev_b32_e32 v40, 16, v10
	v_or_b32_e32 v10, v36, v25
	v_lshlrev_b32_e32 v36, 16, v22
	v_or_b32_e32 v22, v37, v35
	v_fma_mixlo_f16 v1, v21, v1, 0 op_sel_hi:[0,1,0]
	v_fma_mixlo_f16 v9, v21, v9, 0 op_sel_hi:[0,1,0]
	;; [unrolled: 1-line block ×4, first 2 shown]
	v_fma_mixlo_f16 v21, v21, v37, 0 op_sel:[0,1,0] op_sel_hi:[0,1,0]
	v_and_b32_e32 v39, 0xffff, v1
	v_and_b32_e32 v43, 0xffff, v9
	;; [unrolled: 1-line block ×3, first 2 shown]
	v_lshlrev_b32_e32 v37, 16, v21
	v_and_b32_e32 v42, 0xffff, v22
	v_add_u32_e32 v20, -7, v17
	v_cmp_eq_u32_e32 vcc, s28, v12
	v_or_b32_e32 v1, v38, v39
	v_or_b32_e32 v9, v40, v43
	v_or_b32_e32 v10, v36, v41
	v_or_b32_e32 v35, v37, v42
	v_add_u32_e32 v26, -6, v17
	v_add_u32_e32 v25, -5, v17
	;; [unrolled: 1-line block ×6, first 2 shown]
	s_and_saveexec_b64 s[12:13], vcc
	s_cbranch_execz .LBB234_225
; %bb.224:                              ;   in Loop: Header=BB234_175 Depth=1
	v_cmp_gt_i32_e64 s[0:1], s30, v20
	v_cndmask_b32_e64 v1, 0, v43, s[0:1]
	v_cmp_gt_i32_e64 s[0:1], s30, v26
	v_cndmask_b32_e64 v9, 0, v40, s[0:1]
	v_cmp_gt_i32_e64 s[0:1], s30, v25
	v_or_b32_e32 v9, v9, v1
	v_cndmask_b32_e64 v1, 0, v39, s[0:1]
	v_cmp_gt_i32_e64 s[0:1], s30, v24
	v_cndmask_b32_e64 v10, 0, v38, s[0:1]
	v_cmp_gt_i32_e64 s[0:1], s30, v23
	v_or_b32_e32 v1, v10, v1
	;; [unrolled: 5-line block ×3, first 2 shown]
	v_cndmask_b32_e64 v35, 0, v42, s[0:1]
	v_cmp_gt_i32_e64 s[0:1], s30, v17
	v_cndmask_b32_e64 v36, 0, v37, s[0:1]
	v_or_b32_e32 v35, v36, v35
.LBB234_225:                            ;   in Loop: Header=BB234_175 Depth=1
	s_or_b64 exec, exec, s[12:13]
	v_and_b32_e32 v27, 0xffff, v27
	v_lshl_or_b32 v27, v28, 16, v27
	v_and_b32_e32 v28, 0xffff, v29
	v_lshl_or_b32 v28, v30, 16, v28
	v_and_b32_e32 v29, 0xffff, v31
	v_and_b32_e32 v30, 0xffff, v33
	;;#ASMSTART
	v_pk_mul_f16 v9, v27, v9;

	;;#ASMEND
	;;#ASMSTART
	v_pk_mul_f16 v1, v28, v1;

	;;#ASMEND
	v_lshl_or_b32 v29, v32, 16, v29
	v_lshl_or_b32 v30, v34, 16, v30
	;;#ASMSTART
	v_pk_mul_f16 v10, v29, v10;

	;;#ASMEND
	;;#ASMSTART
	v_pk_mul_f16 v31, v30, v35;

	;;#ASMEND
	;;#ASMSTART
	v_pk_add_f16 v1, v9, v1;

	;;#ASMEND
	;;#ASMSTART
	v_pk_add_f16 v1, v1, v10;
	;; [unrolled: 4-line block ×3, first 2 shown]

	;;#ASMEND
	v_lshrrev_b32_e32 v9, 16, v1
	v_and_b32_e32 v1, 0xffff, v1
	;;#ASMSTART
	v_cvt_f32_f16 v31, v1;
	;;#ASMEND
	;;#ASMSTART
	v_cvt_f32_f16 v32, v9;
	;;#ASMEND
	global_load_dwordx2 v[9:10], v[7:8], off offset:512
	v_mov_b32_e32 v34, 0
	global_load_dword v33, v34, s[14:15]
	v_mov_b32_e32 v35, 0
	s_waitcnt vmcnt(1)
	v_cmp_ne_u16_sdwa s[0:1], v9, v2 src0_sel:BYTE_0 src1_sel:DWORD
	s_and_saveexec_b64 s[12:13], s[0:1]
	s_cbranch_execz .LBB234_231
; %bb.226:                              ;   in Loop: Header=BB234_175 Depth=1
	v_cmp_ne_u16_sdwa s[0:1], v9, s24 src0_sel:BYTE_0 src1_sel:DWORD
	v_mov_b32_e32 v35, 0x8000
	s_and_saveexec_b64 s[16:17], s[0:1]
	s_cbranch_execz .LBB234_230
; %bb.227:                              ;   in Loop: Header=BB234_175 Depth=1
	v_and_b32_e32 v1, 0x7f, v9
	v_cmp_ne_u32_e64 s[0:1], s25, v1
	v_mov_b32_e32 v35, 0x7c01
	s_and_saveexec_b64 s[18:19], s[0:1]
	s_cbranch_execz .LBB234_229
; %bb.228:                              ;   in Loop: Header=BB234_175 Depth=1
	v_and_b32_e32 v37, 7, v9
	v_ffbh_u32_e32 v35, v37
	v_min_u32_e32 v39, 32, v35
	v_subrev_u32_e32 v35, 28, v39
	v_lshlrev_b64 v[35:36], v35, v[9:10]
	v_lshrrev_b32_e32 v38, 3, v1
	v_sub_u32_e32 v36, 29, v39
	v_cmp_gt_u32_e64 s[0:1], 8, v1
	v_cndmask_b32_e64 v1, v38, v36, s[0:1]
	v_lshl_add_u32 v1, v1, 10, v19
	v_lshlrev_b32_e32 v36, 8, v9
	v_and_b32_e32 v35, 7, v35
	v_and_b32_e32 v1, 0xfc00, v1
	v_cndmask_b32_e64 v35, v37, v35, s[0:1]
	v_and_or_b32 v1, v36, s26, v1
	v_lshl_or_b32 v35, v35, 7, v1
.LBB234_229:                            ;   in Loop: Header=BB234_175 Depth=1
	s_or_b64 exec, exec, s[18:19]
.LBB234_230:                            ;   in Loop: Header=BB234_175 Depth=1
	s_or_b64 exec, exec, s[16:17]
.LBB234_231:                            ;   in Loop: Header=BB234_175 Depth=1
	s_or_b64 exec, exec, s[12:13]
	v_lshrrev_b16_e32 v1, 8, v9
	v_cmp_ne_u16_e64 s[0:1], 0, v1
	s_and_saveexec_b64 s[12:13], s[0:1]
	s_cbranch_execz .LBB234_237
; %bb.232:                              ;   in Loop: Header=BB234_175 Depth=1
	v_cmp_ne_u16_e64 s[0:1], s24, v1
	v_bfrev_b32_e32 v34, 1
	s_and_saveexec_b64 s[16:17], s[0:1]
	s_cbranch_execz .LBB234_236
; %bb.233:                              ;   in Loop: Header=BB234_175 Depth=1
	v_and_b32_e32 v36, 0x7f, v1
	v_cmp_ne_u32_e64 s[0:1], s25, v36
	v_mov_b32_e32 v34, 0x7c010000
	s_and_saveexec_b64 s[18:19], s[0:1]
	s_cbranch_execz .LBB234_235
; %bb.234:                              ;   in Loop: Header=BB234_175 Depth=1
	v_and_b32_e32 v34, 7, v1
	v_ffbh_u32_e32 v37, v34
	v_min_u32_e32 v40, 32, v37
	v_subrev_u32_e32 v37, 28, v40
	v_lshlrev_b64 v[37:38], v37, v[1:2]
	v_lshrrev_b32_e32 v39, 3, v36
	v_sub_u32_e32 v38, 29, v40
	v_cmp_gt_u32_e64 s[0:1], 8, v36
	v_cndmask_b32_e64 v36, v39, v38, s[0:1]
	v_lshlrev_b32_e32 v1, 8, v1
	v_lshl_add_u32 v36, v36, 10, v19
	v_and_b32_e32 v37, 7, v37
	v_and_or_b32 v1, v1, s26, v36
	v_cndmask_b32_e64 v34, v34, v37, s[0:1]
	v_lshlrev_b32_e32 v1, 16, v1
	v_lshl_or_b32 v34, v34, 23, v1
.LBB234_235:                            ;   in Loop: Header=BB234_175 Depth=1
	s_or_b64 exec, exec, s[18:19]
.LBB234_236:                            ;   in Loop: Header=BB234_175 Depth=1
	s_or_b64 exec, exec, s[16:17]
.LBB234_237:                            ;   in Loop: Header=BB234_175 Depth=1
	s_or_b64 exec, exec, s[12:13]
	v_lshrrev_b32_e32 v1, 16, v9
	v_cmp_ne_u16_sdwa s[0:1], v1, v2 src0_sel:BYTE_0 src1_sel:DWORD
	v_mov_b32_e32 v36, 0
	v_mov_b32_e32 v37, 0
	s_and_saveexec_b64 s[12:13], s[0:1]
	s_cbranch_execz .LBB234_243
; %bb.238:                              ;   in Loop: Header=BB234_175 Depth=1
	v_cmp_ne_u16_sdwa s[0:1], v1, s24 src0_sel:BYTE_0 src1_sel:DWORD
	v_mov_b32_e32 v37, 0x8000
	s_and_saveexec_b64 s[16:17], s[0:1]
	s_cbranch_execz .LBB234_242
; %bb.239:                              ;   in Loop: Header=BB234_175 Depth=1
	v_bfe_u32 v38, v9, 16, 7
	v_cmp_ne_u32_e64 s[0:1], s25, v38
	v_mov_b32_e32 v37, 0x7c01
	s_and_saveexec_b64 s[18:19], s[0:1]
	s_cbranch_execz .LBB234_241
; %bb.240:                              ;   in Loop: Header=BB234_175 Depth=1
	v_and_b32_e32 v37, 7, v1
	v_ffbh_u32_e32 v39, v37
	v_min_u32_e32 v42, 32, v39
	v_subrev_u32_e32 v39, 28, v42
	v_lshlrev_b64 v[39:40], v39, v[1:2]
	v_lshrrev_b32_e32 v41, 3, v38
	v_sub_u32_e32 v40, 29, v42
	v_cmp_gt_u32_e64 s[0:1], 8, v38
	v_cndmask_b32_e64 v38, v41, v40, s[0:1]
	v_lshl_add_u32 v38, v38, 10, v19
	v_lshlrev_b32_e32 v1, 8, v1
	v_and_b32_e32 v39, 7, v39
	v_and_b32_e32 v38, 0xfc00, v38
	v_cndmask_b32_e64 v37, v37, v39, s[0:1]
	v_and_or_b32 v1, v1, s26, v38
	v_lshl_or_b32 v37, v37, 7, v1
.LBB234_241:                            ;   in Loop: Header=BB234_175 Depth=1
	s_or_b64 exec, exec, s[18:19]
.LBB234_242:                            ;   in Loop: Header=BB234_175 Depth=1
	s_or_b64 exec, exec, s[16:17]
.LBB234_243:                            ;   in Loop: Header=BB234_175 Depth=1
	s_or_b64 exec, exec, s[12:13]
	v_cmp_lt_u32_e64 s[0:1], s5, v9
	s_and_saveexec_b64 s[12:13], s[0:1]
	s_cbranch_execz .LBB234_249
; %bb.244:                              ;   in Loop: Header=BB234_175 Depth=1
	v_lshrrev_b32_e32 v1, 24, v9
	v_cmp_ne_u32_e64 s[0:1], s24, v1
	v_bfrev_b32_e32 v36, 1
	s_and_saveexec_b64 s[16:17], s[0:1]
	s_cbranch_execz .LBB234_248
; %bb.245:                              ;   in Loop: Header=BB234_175 Depth=1
	v_and_b32_e32 v38, 0x7f, v1
	v_cmp_ne_u32_e64 s[0:1], s25, v38
	v_mov_b32_e32 v36, 0x7c010000
	s_and_saveexec_b64 s[18:19], s[0:1]
	s_cbranch_execz .LBB234_247
; %bb.246:                              ;   in Loop: Header=BB234_175 Depth=1
	v_and_b32_e32 v36, 7, v1
	v_ffbh_u32_e32 v39, v36
	v_min_u32_e32 v42, 32, v39
	v_subrev_u32_e32 v39, 28, v42
	v_lshlrev_b64 v[39:40], v39, v[1:2]
	v_lshrrev_b32_e32 v41, 3, v38
	v_sub_u32_e32 v40, 29, v42
	v_cmp_gt_u32_e64 s[0:1], 8, v38
	v_cndmask_b32_e64 v38, v41, v40, s[0:1]
	v_lshlrev_b32_e32 v1, 8, v1
	v_lshl_add_u32 v38, v38, 10, v19
	v_and_b32_e32 v39, 7, v39
	v_and_or_b32 v1, v1, s26, v38
	v_cndmask_b32_e64 v36, v36, v39, s[0:1]
	v_lshlrev_b32_e32 v1, 16, v1
	v_lshl_or_b32 v36, v36, 23, v1
.LBB234_247:                            ;   in Loop: Header=BB234_175 Depth=1
	s_or_b64 exec, exec, s[18:19]
.LBB234_248:                            ;   in Loop: Header=BB234_175 Depth=1
	s_or_b64 exec, exec, s[16:17]
.LBB234_249:                            ;   in Loop: Header=BB234_175 Depth=1
	s_or_b64 exec, exec, s[12:13]
	v_mov_b32_e32 v1, v10
	v_cmp_ne_u16_sdwa s[0:1], v10, v2 src0_sel:BYTE_0 src1_sel:DWORD
	v_mov_b32_e32 v38, 0
	v_mov_b32_e32 v39, 0
	s_and_saveexec_b64 s[12:13], s[0:1]
	s_cbranch_execz .LBB234_255
; %bb.250:                              ;   in Loop: Header=BB234_175 Depth=1
	v_cmp_ne_u16_sdwa s[0:1], v10, s24 src0_sel:BYTE_0 src1_sel:DWORD
	v_mov_b32_e32 v39, 0x8000
	s_and_saveexec_b64 s[16:17], s[0:1]
	s_cbranch_execz .LBB234_254
; %bb.251:                              ;   in Loop: Header=BB234_175 Depth=1
	v_and_b32_e32 v40, 0x7f, v10
	v_cmp_ne_u32_e64 s[0:1], s25, v40
	v_mov_b32_e32 v39, 0x7c01
	s_and_saveexec_b64 s[18:19], s[0:1]
	s_cbranch_execz .LBB234_253
; %bb.252:                              ;   in Loop: Header=BB234_175 Depth=1
	v_and_b32_e32 v39, 7, v10
	v_ffbh_u32_e32 v41, v39
	v_min_u32_e32 v44, 32, v41
	v_subrev_u32_e32 v41, 28, v44
	v_lshlrev_b64 v[41:42], v41, v[1:2]
	v_lshrrev_b32_e32 v43, 3, v40
	v_sub_u32_e32 v42, 29, v44
	v_cmp_gt_u32_e64 s[0:1], 8, v40
	v_cndmask_b32_e64 v40, v43, v42, s[0:1]
	v_lshl_add_u32 v40, v40, 10, v19
	v_lshlrev_b32_e32 v42, 8, v10
	v_and_b32_e32 v41, 7, v41
	v_and_b32_e32 v40, 0xfc00, v40
	v_cndmask_b32_e64 v39, v39, v41, s[0:1]
	v_and_or_b32 v40, v42, s26, v40
	v_lshl_or_b32 v39, v39, 7, v40
.LBB234_253:                            ;   in Loop: Header=BB234_175 Depth=1
	s_or_b64 exec, exec, s[18:19]
.LBB234_254:                            ;   in Loop: Header=BB234_175 Depth=1
	s_or_b64 exec, exec, s[16:17]
.LBB234_255:                            ;   in Loop: Header=BB234_175 Depth=1
	s_or_b64 exec, exec, s[12:13]
	v_lshrrev_b16_e32 v1, 8, v1
	v_cmp_ne_u16_e64 s[0:1], 0, v1
	v_mov_b32_e32 v40, 0
	s_and_saveexec_b64 s[12:13], s[0:1]
	s_cbranch_execz .LBB234_261
; %bb.256:                              ;   in Loop: Header=BB234_175 Depth=1
	v_cmp_ne_u16_e64 s[0:1], s24, v1
	v_bfrev_b32_e32 v40, 1
	s_and_saveexec_b64 s[16:17], s[0:1]
	s_cbranch_execz .LBB234_260
; %bb.257:                              ;   in Loop: Header=BB234_175 Depth=1
	v_and_b32_e32 v41, 0x7f, v1
	v_cmp_ne_u32_e64 s[0:1], s25, v41
	v_mov_b32_e32 v40, 0x7c010000
	s_and_saveexec_b64 s[18:19], s[0:1]
	s_cbranch_execz .LBB234_259
; %bb.258:                              ;   in Loop: Header=BB234_175 Depth=1
	v_and_b32_e32 v40, 7, v1
	v_ffbh_u32_e32 v42, v40
	v_min_u32_e32 v45, 32, v42
	v_subrev_u32_e32 v42, 28, v45
	v_lshlrev_b64 v[42:43], v42, v[1:2]
	v_lshrrev_b32_e32 v44, 3, v41
	v_sub_u32_e32 v43, 29, v45
	v_cmp_gt_u32_e64 s[0:1], 8, v41
	v_cndmask_b32_e64 v41, v44, v43, s[0:1]
	v_lshlrev_b32_e32 v1, 8, v1
	v_lshl_add_u32 v41, v41, 10, v19
	v_and_b32_e32 v42, 7, v42
	v_and_or_b32 v1, v1, s26, v41
	v_cndmask_b32_e64 v40, v40, v42, s[0:1]
	v_lshlrev_b32_e32 v1, 16, v1
	v_lshl_or_b32 v40, v40, 23, v1
.LBB234_259:                            ;   in Loop: Header=BB234_175 Depth=1
	s_or_b64 exec, exec, s[18:19]
.LBB234_260:                            ;   in Loop: Header=BB234_175 Depth=1
	s_or_b64 exec, exec, s[16:17]
.LBB234_261:                            ;   in Loop: Header=BB234_175 Depth=1
	s_or_b64 exec, exec, s[12:13]
	v_lshrrev_b32_e32 v1, 16, v10
	v_cmp_ne_u16_sdwa s[0:1], v1, v2 src0_sel:BYTE_0 src1_sel:DWORD
	s_and_saveexec_b64 s[12:13], s[0:1]
	s_cbranch_execz .LBB234_267
; %bb.262:                              ;   in Loop: Header=BB234_175 Depth=1
	v_cmp_ne_u16_sdwa s[0:1], v1, s24 src0_sel:BYTE_0 src1_sel:DWORD
	v_mov_b32_e32 v38, 0x8000
	s_and_saveexec_b64 s[16:17], s[0:1]
	s_cbranch_execz .LBB234_266
; %bb.263:                              ;   in Loop: Header=BB234_175 Depth=1
	v_bfe_u32 v41, v10, 16, 7
	v_cmp_ne_u32_e64 s[0:1], s25, v41
	v_mov_b32_e32 v38, 0x7c01
	s_and_saveexec_b64 s[18:19], s[0:1]
	s_cbranch_execz .LBB234_265
; %bb.264:                              ;   in Loop: Header=BB234_175 Depth=1
	v_and_b32_e32 v38, 7, v1
	v_ffbh_u32_e32 v42, v38
	v_min_u32_e32 v45, 32, v42
	v_subrev_u32_e32 v42, 28, v45
	v_lshlrev_b64 v[42:43], v42, v[1:2]
	v_lshrrev_b32_e32 v44, 3, v41
	v_sub_u32_e32 v43, 29, v45
	v_cmp_gt_u32_e64 s[0:1], 8, v41
	v_cndmask_b32_e64 v41, v44, v43, s[0:1]
	v_lshl_add_u32 v41, v41, 10, v19
	v_lshlrev_b32_e32 v1, 8, v1
	v_and_b32_e32 v42, 7, v42
	v_and_b32_e32 v41, 0xfc00, v41
	v_cndmask_b32_e64 v38, v38, v42, s[0:1]
	v_and_or_b32 v1, v1, s26, v41
	v_lshl_or_b32 v38, v38, 7, v1
.LBB234_265:                            ;   in Loop: Header=BB234_175 Depth=1
	s_or_b64 exec, exec, s[18:19]
.LBB234_266:                            ;   in Loop: Header=BB234_175 Depth=1
	s_or_b64 exec, exec, s[16:17]
.LBB234_267:                            ;   in Loop: Header=BB234_175 Depth=1
	s_or_b64 exec, exec, s[12:13]
	v_cmp_lt_u64_e64 s[0:1], s[4:5], v[9:10]
	v_mov_b32_e32 v9, 0
	s_and_saveexec_b64 s[12:13], s[0:1]
	s_cbranch_execz .LBB234_273
; %bb.268:                              ;   in Loop: Header=BB234_175 Depth=1
	v_lshrrev_b32_e32 v1, 24, v10
	v_cmp_ne_u32_e64 s[0:1], s24, v1
	v_bfrev_b32_e32 v9, 1
	s_and_saveexec_b64 s[16:17], s[0:1]
	s_cbranch_execz .LBB234_272
; %bb.269:                              ;   in Loop: Header=BB234_175 Depth=1
	v_and_b32_e32 v10, 0x7f, v1
	v_cmp_ne_u32_e64 s[0:1], s25, v10
	v_mov_b32_e32 v9, 0x7c010000
	s_and_saveexec_b64 s[18:19], s[0:1]
	s_cbranch_execz .LBB234_271
; %bb.270:                              ;   in Loop: Header=BB234_175 Depth=1
	v_and_b32_e32 v9, 7, v1
	v_ffbh_u32_e32 v41, v9
	v_min_u32_e32 v44, 32, v41
	v_subrev_u32_e32 v41, 28, v44
	v_lshlrev_b64 v[41:42], v41, v[1:2]
	v_lshrrev_b32_e32 v43, 3, v10
	v_sub_u32_e32 v42, 29, v44
	v_cmp_gt_u32_e64 s[0:1], 8, v10
	v_cndmask_b32_e64 v10, v43, v42, s[0:1]
	v_lshlrev_b32_e32 v1, 8, v1
	v_lshl_add_u32 v10, v10, 10, v19
	v_and_b32_e32 v41, 7, v41
	v_and_or_b32 v1, v1, s26, v10
	v_cndmask_b32_e64 v9, v9, v41, s[0:1]
	v_lshlrev_b32_e32 v1, 16, v1
	v_lshl_or_b32 v9, v9, 23, v1
.LBB234_271:                            ;   in Loop: Header=BB234_175 Depth=1
	s_or_b64 exec, exec, s[18:19]
.LBB234_272:                            ;   in Loop: Header=BB234_175 Depth=1
	s_or_b64 exec, exec, s[16:17]
.LBB234_273:                            ;   in Loop: Header=BB234_175 Depth=1
	s_or_b64 exec, exec, s[12:13]
	s_waitcnt vmcnt(0)
	v_fma_mixlo_f16 v10, v33, v36, 0 op_sel:[0,1,0] op_sel_hi:[0,1,0]
	v_or_b32_e32 v1, v36, v37
	v_lshlrev_b32_e32 v36, 16, v10
	v_or_b32_e32 v10, v34, v35
	v_fma_mixlo_f16 v34, v33, v34, 0 op_sel:[0,1,0] op_sel_hi:[0,1,0]
	v_lshlrev_b32_e32 v41, 16, v34
	v_or_b32_e32 v34, v40, v39
	v_or_b32_e32 v38, v9, v38
	v_fma_mixlo_f16 v1, v33, v1, 0 op_sel_hi:[0,1,0]
	v_fma_mixlo_f16 v10, v33, v10, 0 op_sel_hi:[0,1,0]
	v_fma_mixlo_f16 v35, v33, v40, 0 op_sel:[0,1,0] op_sel_hi:[0,1,0]
	v_fma_mixlo_f16 v34, v33, v34, 0 op_sel_hi:[0,1,0]
	v_fma_mixlo_f16 v38, v33, v38, 0 op_sel_hi:[0,1,0]
	v_fma_mixlo_f16 v9, v33, v9, 0 op_sel:[0,1,0] op_sel_hi:[0,1,0]
	v_and_b32_e32 v37, 0xffff, v1
	v_and_b32_e32 v42, 0xffff, v10
	v_lshlrev_b32_e32 v35, 16, v35
	v_and_b32_e32 v39, 0xffff, v34
	v_lshlrev_b32_e32 v9, 16, v9
	v_and_b32_e32 v33, 0xffff, v38
	v_or_b32_e32 v1, v36, v37
	v_or_b32_e32 v10, v41, v42
	v_or_b32_e32 v34, v35, v39
	v_or_b32_e32 v38, v9, v33
	s_and_saveexec_b64 s[12:13], vcc
	s_cbranch_execz .LBB234_275
; %bb.274:                              ;   in Loop: Header=BB234_175 Depth=1
	v_cmp_gt_i32_e64 s[0:1], s30, v20
	v_cndmask_b32_e64 v1, 0, v42, s[0:1]
	v_cmp_gt_i32_e64 s[0:1], s30, v26
	v_cndmask_b32_e64 v10, 0, v41, s[0:1]
	v_cmp_gt_i32_e64 s[0:1], s30, v25
	v_or_b32_e32 v10, v10, v1
	v_cndmask_b32_e64 v1, 0, v37, s[0:1]
	v_cmp_gt_i32_e64 s[0:1], s30, v24
	v_cndmask_b32_e64 v34, 0, v36, s[0:1]
	v_cmp_gt_i32_e64 s[0:1], s30, v23
	v_or_b32_e32 v1, v34, v1
	v_cndmask_b32_e64 v34, 0, v39, s[0:1]
	v_cmp_gt_i32_e64 s[0:1], s30, v22
	v_cndmask_b32_e64 v35, 0, v35, s[0:1]
	v_cmp_gt_i32_e64 s[0:1], s30, v21
	;; [unrolled: 2-line block ×3, first 2 shown]
	v_cndmask_b32_e64 v9, 0, v9, s[0:1]
	v_or_b32_e32 v34, v35, v34
	v_or_b32_e32 v38, v9, v33
.LBB234_275:                            ;   in Loop: Header=BB234_175 Depth=1
	s_or_b64 exec, exec, s[12:13]
	;;#ASMSTART
	v_pk_mul_f16 v9, v27, v10;

	;;#ASMEND
	;;#ASMSTART
	v_pk_mul_f16 v1, v28, v1;

	;;#ASMEND
	;;#ASMSTART
	v_pk_mul_f16 v10, v29, v34;

	;;#ASMEND
	;;#ASMSTART
	v_pk_mul_f16 v33, v30, v38;

	;;#ASMEND
	;;#ASMSTART
	v_pk_add_f16 v1, v9, v1;

	;;#ASMEND
	;;#ASMSTART
	v_pk_add_f16 v1, v1, v10;

	;;#ASMEND
	;; [unrolled: 4-line block ×3, first 2 shown]
	v_lshrrev_b32_e32 v10, 16, v1
	v_and_b32_e32 v1, 0xffff, v1
	;;#ASMSTART
	v_cvt_f32_f16 v9, v1;
	;;#ASMEND
	;;#ASMSTART
	v_cvt_f32_f16 v10, v10;
	;;#ASMEND
	global_load_dwordx2 v[7:8], v[7:8], off offset:1024
	v_mov_b32_e32 v34, 0
	global_load_dword v33, v34, s[14:15]
	v_mov_b32_e32 v35, 0
	s_waitcnt vmcnt(1)
	v_cmp_ne_u16_sdwa s[0:1], v7, v2 src0_sel:BYTE_0 src1_sel:DWORD
	s_and_saveexec_b64 s[12:13], s[0:1]
	s_cbranch_execz .LBB234_281
; %bb.276:                              ;   in Loop: Header=BB234_175 Depth=1
	v_cmp_ne_u16_sdwa s[0:1], v7, s24 src0_sel:BYTE_0 src1_sel:DWORD
	v_mov_b32_e32 v35, 0x8000
	s_and_saveexec_b64 s[16:17], s[0:1]
	s_cbranch_execz .LBB234_280
; %bb.277:                              ;   in Loop: Header=BB234_175 Depth=1
	v_and_b32_e32 v1, 0x7f, v7
	v_cmp_ne_u32_e64 s[0:1], s25, v1
	v_mov_b32_e32 v35, 0x7c01
	s_and_saveexec_b64 s[18:19], s[0:1]
	s_cbranch_execz .LBB234_279
; %bb.278:                              ;   in Loop: Header=BB234_175 Depth=1
	v_and_b32_e32 v37, 7, v7
	v_ffbh_u32_e32 v35, v37
	v_min_u32_e32 v39, 32, v35
	v_subrev_u32_e32 v35, 28, v39
	v_lshlrev_b64 v[35:36], v35, v[7:8]
	v_lshrrev_b32_e32 v38, 3, v1
	v_sub_u32_e32 v36, 29, v39
	v_cmp_gt_u32_e64 s[0:1], 8, v1
	v_cndmask_b32_e64 v1, v38, v36, s[0:1]
	v_lshl_add_u32 v1, v1, 10, v19
	v_lshlrev_b32_e32 v36, 8, v7
	v_and_b32_e32 v35, 7, v35
	v_and_b32_e32 v1, 0xfc00, v1
	v_cndmask_b32_e64 v35, v37, v35, s[0:1]
	v_and_or_b32 v1, v36, s26, v1
	v_lshl_or_b32 v35, v35, 7, v1
.LBB234_279:                            ;   in Loop: Header=BB234_175 Depth=1
	s_or_b64 exec, exec, s[18:19]
.LBB234_280:                            ;   in Loop: Header=BB234_175 Depth=1
	s_or_b64 exec, exec, s[16:17]
.LBB234_281:                            ;   in Loop: Header=BB234_175 Depth=1
	s_or_b64 exec, exec, s[12:13]
	v_lshrrev_b16_e32 v1, 8, v7
	v_cmp_ne_u16_e64 s[0:1], 0, v1
	s_and_saveexec_b64 s[12:13], s[0:1]
	s_cbranch_execz .LBB234_287
; %bb.282:                              ;   in Loop: Header=BB234_175 Depth=1
	v_cmp_ne_u16_e64 s[0:1], s24, v1
	v_bfrev_b32_e32 v34, 1
	s_and_saveexec_b64 s[16:17], s[0:1]
	s_cbranch_execz .LBB234_286
; %bb.283:                              ;   in Loop: Header=BB234_175 Depth=1
	v_and_b32_e32 v36, 0x7f, v1
	v_cmp_ne_u32_e64 s[0:1], s25, v36
	v_mov_b32_e32 v34, 0x7c010000
	s_and_saveexec_b64 s[18:19], s[0:1]
	s_cbranch_execz .LBB234_285
; %bb.284:                              ;   in Loop: Header=BB234_175 Depth=1
	v_and_b32_e32 v34, 7, v1
	v_ffbh_u32_e32 v37, v34
	v_min_u32_e32 v40, 32, v37
	v_subrev_u32_e32 v37, 28, v40
	v_lshlrev_b64 v[37:38], v37, v[1:2]
	v_lshrrev_b32_e32 v39, 3, v36
	v_sub_u32_e32 v38, 29, v40
	v_cmp_gt_u32_e64 s[0:1], 8, v36
	v_cndmask_b32_e64 v36, v39, v38, s[0:1]
	v_lshlrev_b32_e32 v1, 8, v1
	v_lshl_add_u32 v36, v36, 10, v19
	v_and_b32_e32 v37, 7, v37
	v_and_or_b32 v1, v1, s26, v36
	v_cndmask_b32_e64 v34, v34, v37, s[0:1]
	v_lshlrev_b32_e32 v1, 16, v1
	v_lshl_or_b32 v34, v34, 23, v1
.LBB234_285:                            ;   in Loop: Header=BB234_175 Depth=1
	s_or_b64 exec, exec, s[18:19]
.LBB234_286:                            ;   in Loop: Header=BB234_175 Depth=1
	s_or_b64 exec, exec, s[16:17]
.LBB234_287:                            ;   in Loop: Header=BB234_175 Depth=1
	s_or_b64 exec, exec, s[12:13]
	v_lshrrev_b32_e32 v1, 16, v7
	v_cmp_ne_u16_sdwa s[0:1], v1, v2 src0_sel:BYTE_0 src1_sel:DWORD
	v_mov_b32_e32 v36, 0
	v_mov_b32_e32 v37, 0
	s_and_saveexec_b64 s[12:13], s[0:1]
	s_cbranch_execz .LBB234_293
; %bb.288:                              ;   in Loop: Header=BB234_175 Depth=1
	v_cmp_ne_u16_sdwa s[0:1], v1, s24 src0_sel:BYTE_0 src1_sel:DWORD
	v_mov_b32_e32 v37, 0x8000
	s_and_saveexec_b64 s[16:17], s[0:1]
	s_cbranch_execz .LBB234_292
; %bb.289:                              ;   in Loop: Header=BB234_175 Depth=1
	v_bfe_u32 v38, v7, 16, 7
	v_cmp_ne_u32_e64 s[0:1], s25, v38
	v_mov_b32_e32 v37, 0x7c01
	s_and_saveexec_b64 s[18:19], s[0:1]
	s_cbranch_execz .LBB234_291
; %bb.290:                              ;   in Loop: Header=BB234_175 Depth=1
	v_and_b32_e32 v37, 7, v1
	v_ffbh_u32_e32 v39, v37
	v_min_u32_e32 v42, 32, v39
	v_subrev_u32_e32 v39, 28, v42
	v_lshlrev_b64 v[39:40], v39, v[1:2]
	v_lshrrev_b32_e32 v41, 3, v38
	v_sub_u32_e32 v40, 29, v42
	v_cmp_gt_u32_e64 s[0:1], 8, v38
	v_cndmask_b32_e64 v38, v41, v40, s[0:1]
	v_lshl_add_u32 v38, v38, 10, v19
	v_lshlrev_b32_e32 v1, 8, v1
	v_and_b32_e32 v39, 7, v39
	v_and_b32_e32 v38, 0xfc00, v38
	v_cndmask_b32_e64 v37, v37, v39, s[0:1]
	v_and_or_b32 v1, v1, s26, v38
	v_lshl_or_b32 v37, v37, 7, v1
.LBB234_291:                            ;   in Loop: Header=BB234_175 Depth=1
	s_or_b64 exec, exec, s[18:19]
.LBB234_292:                            ;   in Loop: Header=BB234_175 Depth=1
	s_or_b64 exec, exec, s[16:17]
.LBB234_293:                            ;   in Loop: Header=BB234_175 Depth=1
	s_or_b64 exec, exec, s[12:13]
	v_cmp_lt_u32_e64 s[0:1], s5, v7
	s_and_saveexec_b64 s[12:13], s[0:1]
	s_cbranch_execz .LBB234_299
; %bb.294:                              ;   in Loop: Header=BB234_175 Depth=1
	v_lshrrev_b32_e32 v1, 24, v7
	v_cmp_ne_u32_e64 s[0:1], s24, v1
	v_bfrev_b32_e32 v36, 1
	s_and_saveexec_b64 s[16:17], s[0:1]
	s_cbranch_execz .LBB234_298
; %bb.295:                              ;   in Loop: Header=BB234_175 Depth=1
	v_and_b32_e32 v38, 0x7f, v1
	v_cmp_ne_u32_e64 s[0:1], s25, v38
	v_mov_b32_e32 v36, 0x7c010000
	s_and_saveexec_b64 s[18:19], s[0:1]
	s_cbranch_execz .LBB234_297
; %bb.296:                              ;   in Loop: Header=BB234_175 Depth=1
	v_and_b32_e32 v36, 7, v1
	v_ffbh_u32_e32 v39, v36
	v_min_u32_e32 v42, 32, v39
	v_subrev_u32_e32 v39, 28, v42
	v_lshlrev_b64 v[39:40], v39, v[1:2]
	v_lshrrev_b32_e32 v41, 3, v38
	v_sub_u32_e32 v40, 29, v42
	v_cmp_gt_u32_e64 s[0:1], 8, v38
	v_cndmask_b32_e64 v38, v41, v40, s[0:1]
	v_lshlrev_b32_e32 v1, 8, v1
	v_lshl_add_u32 v38, v38, 10, v19
	v_and_b32_e32 v39, 7, v39
	v_and_or_b32 v1, v1, s26, v38
	v_cndmask_b32_e64 v36, v36, v39, s[0:1]
	v_lshlrev_b32_e32 v1, 16, v1
	v_lshl_or_b32 v36, v36, 23, v1
.LBB234_297:                            ;   in Loop: Header=BB234_175 Depth=1
	s_or_b64 exec, exec, s[18:19]
.LBB234_298:                            ;   in Loop: Header=BB234_175 Depth=1
	s_or_b64 exec, exec, s[16:17]
.LBB234_299:                            ;   in Loop: Header=BB234_175 Depth=1
	s_or_b64 exec, exec, s[12:13]
	v_mov_b32_e32 v1, v8
	v_cmp_ne_u16_sdwa s[0:1], v8, v2 src0_sel:BYTE_0 src1_sel:DWORD
	v_mov_b32_e32 v38, 0
	v_mov_b32_e32 v39, 0
	s_and_saveexec_b64 s[12:13], s[0:1]
	s_cbranch_execz .LBB234_305
; %bb.300:                              ;   in Loop: Header=BB234_175 Depth=1
	v_cmp_ne_u16_sdwa s[0:1], v8, s24 src0_sel:BYTE_0 src1_sel:DWORD
	v_mov_b32_e32 v39, 0x8000
	s_and_saveexec_b64 s[16:17], s[0:1]
	s_cbranch_execz .LBB234_304
; %bb.301:                              ;   in Loop: Header=BB234_175 Depth=1
	v_and_b32_e32 v40, 0x7f, v8
	v_cmp_ne_u32_e64 s[0:1], s25, v40
	v_mov_b32_e32 v39, 0x7c01
	s_and_saveexec_b64 s[18:19], s[0:1]
	s_cbranch_execz .LBB234_303
; %bb.302:                              ;   in Loop: Header=BB234_175 Depth=1
	v_and_b32_e32 v39, 7, v8
	v_ffbh_u32_e32 v41, v39
	v_min_u32_e32 v44, 32, v41
	v_subrev_u32_e32 v41, 28, v44
	v_lshlrev_b64 v[41:42], v41, v[1:2]
	v_lshrrev_b32_e32 v43, 3, v40
	v_sub_u32_e32 v42, 29, v44
	v_cmp_gt_u32_e64 s[0:1], 8, v40
	v_cndmask_b32_e64 v40, v43, v42, s[0:1]
	v_lshl_add_u32 v40, v40, 10, v19
	v_lshlrev_b32_e32 v42, 8, v8
	v_and_b32_e32 v41, 7, v41
	v_and_b32_e32 v40, 0xfc00, v40
	v_cndmask_b32_e64 v39, v39, v41, s[0:1]
	v_and_or_b32 v40, v42, s26, v40
	v_lshl_or_b32 v39, v39, 7, v40
.LBB234_303:                            ;   in Loop: Header=BB234_175 Depth=1
	s_or_b64 exec, exec, s[18:19]
.LBB234_304:                            ;   in Loop: Header=BB234_175 Depth=1
	s_or_b64 exec, exec, s[16:17]
.LBB234_305:                            ;   in Loop: Header=BB234_175 Depth=1
	s_or_b64 exec, exec, s[12:13]
	v_lshrrev_b16_e32 v1, 8, v1
	v_cmp_ne_u16_e64 s[0:1], 0, v1
	v_mov_b32_e32 v40, 0
	s_and_saveexec_b64 s[12:13], s[0:1]
	s_cbranch_execz .LBB234_311
; %bb.306:                              ;   in Loop: Header=BB234_175 Depth=1
	v_cmp_ne_u16_e64 s[0:1], s24, v1
	v_bfrev_b32_e32 v40, 1
	s_and_saveexec_b64 s[16:17], s[0:1]
	s_cbranch_execz .LBB234_310
; %bb.307:                              ;   in Loop: Header=BB234_175 Depth=1
	v_and_b32_e32 v41, 0x7f, v1
	v_cmp_ne_u32_e64 s[0:1], s25, v41
	v_mov_b32_e32 v40, 0x7c010000
	s_and_saveexec_b64 s[18:19], s[0:1]
	s_cbranch_execz .LBB234_309
; %bb.308:                              ;   in Loop: Header=BB234_175 Depth=1
	v_and_b32_e32 v40, 7, v1
	v_ffbh_u32_e32 v42, v40
	v_min_u32_e32 v45, 32, v42
	v_subrev_u32_e32 v42, 28, v45
	v_lshlrev_b64 v[42:43], v42, v[1:2]
	v_lshrrev_b32_e32 v44, 3, v41
	v_sub_u32_e32 v43, 29, v45
	v_cmp_gt_u32_e64 s[0:1], 8, v41
	v_cndmask_b32_e64 v41, v44, v43, s[0:1]
	v_lshlrev_b32_e32 v1, 8, v1
	v_lshl_add_u32 v41, v41, 10, v19
	v_and_b32_e32 v42, 7, v42
	v_and_or_b32 v1, v1, s26, v41
	v_cndmask_b32_e64 v40, v40, v42, s[0:1]
	v_lshlrev_b32_e32 v1, 16, v1
	v_lshl_or_b32 v40, v40, 23, v1
.LBB234_309:                            ;   in Loop: Header=BB234_175 Depth=1
	s_or_b64 exec, exec, s[18:19]
.LBB234_310:                            ;   in Loop: Header=BB234_175 Depth=1
	s_or_b64 exec, exec, s[16:17]
.LBB234_311:                            ;   in Loop: Header=BB234_175 Depth=1
	s_or_b64 exec, exec, s[12:13]
	v_lshrrev_b32_e32 v1, 16, v8
	v_cmp_ne_u16_sdwa s[0:1], v1, v2 src0_sel:BYTE_0 src1_sel:DWORD
	s_and_saveexec_b64 s[12:13], s[0:1]
	s_cbranch_execz .LBB234_317
; %bb.312:                              ;   in Loop: Header=BB234_175 Depth=1
	v_cmp_ne_u16_sdwa s[0:1], v1, s24 src0_sel:BYTE_0 src1_sel:DWORD
	v_mov_b32_e32 v38, 0x8000
	s_and_saveexec_b64 s[16:17], s[0:1]
	s_cbranch_execz .LBB234_316
; %bb.313:                              ;   in Loop: Header=BB234_175 Depth=1
	v_bfe_u32 v41, v8, 16, 7
	v_cmp_ne_u32_e64 s[0:1], s25, v41
	v_mov_b32_e32 v38, 0x7c01
	s_and_saveexec_b64 s[18:19], s[0:1]
	s_cbranch_execz .LBB234_315
; %bb.314:                              ;   in Loop: Header=BB234_175 Depth=1
	v_and_b32_e32 v38, 7, v1
	v_ffbh_u32_e32 v42, v38
	v_min_u32_e32 v45, 32, v42
	v_subrev_u32_e32 v42, 28, v45
	v_lshlrev_b64 v[42:43], v42, v[1:2]
	v_lshrrev_b32_e32 v44, 3, v41
	v_sub_u32_e32 v43, 29, v45
	v_cmp_gt_u32_e64 s[0:1], 8, v41
	v_cndmask_b32_e64 v41, v44, v43, s[0:1]
	v_lshl_add_u32 v41, v41, 10, v19
	v_lshlrev_b32_e32 v1, 8, v1
	v_and_b32_e32 v42, 7, v42
	v_and_b32_e32 v41, 0xfc00, v41
	v_cndmask_b32_e64 v38, v38, v42, s[0:1]
	v_and_or_b32 v1, v1, s26, v41
	v_lshl_or_b32 v38, v38, 7, v1
.LBB234_315:                            ;   in Loop: Header=BB234_175 Depth=1
	s_or_b64 exec, exec, s[18:19]
.LBB234_316:                            ;   in Loop: Header=BB234_175 Depth=1
	s_or_b64 exec, exec, s[16:17]
.LBB234_317:                            ;   in Loop: Header=BB234_175 Depth=1
	s_or_b64 exec, exec, s[12:13]
	v_cmp_lt_u64_e64 s[0:1], s[4:5], v[7:8]
	v_mov_b32_e32 v7, 0
	s_and_saveexec_b64 s[12:13], s[0:1]
	s_cbranch_execz .LBB234_323
; %bb.318:                              ;   in Loop: Header=BB234_175 Depth=1
	v_lshrrev_b32_e32 v1, 24, v8
	v_cmp_ne_u32_e64 s[0:1], s24, v1
	v_bfrev_b32_e32 v7, 1
	s_and_saveexec_b64 s[16:17], s[0:1]
	s_cbranch_execz .LBB234_322
; %bb.319:                              ;   in Loop: Header=BB234_175 Depth=1
	v_and_b32_e32 v8, 0x7f, v1
	v_cmp_ne_u32_e64 s[0:1], s25, v8
	v_mov_b32_e32 v7, 0x7c010000
	s_and_saveexec_b64 s[18:19], s[0:1]
	s_cbranch_execz .LBB234_321
; %bb.320:                              ;   in Loop: Header=BB234_175 Depth=1
	v_and_b32_e32 v7, 7, v1
	v_ffbh_u32_e32 v41, v7
	v_min_u32_e32 v44, 32, v41
	v_subrev_u32_e32 v41, 28, v44
	v_lshlrev_b64 v[41:42], v41, v[1:2]
	v_lshrrev_b32_e32 v43, 3, v8
	v_sub_u32_e32 v42, 29, v44
	v_cmp_gt_u32_e64 s[0:1], 8, v8
	v_cndmask_b32_e64 v8, v43, v42, s[0:1]
	v_lshlrev_b32_e32 v1, 8, v1
	v_lshl_add_u32 v8, v8, 10, v19
	v_and_b32_e32 v41, 7, v41
	v_and_or_b32 v1, v1, s26, v8
	v_cndmask_b32_e64 v7, v7, v41, s[0:1]
	v_lshlrev_b32_e32 v1, 16, v1
	v_lshl_or_b32 v7, v7, 23, v1
.LBB234_321:                            ;   in Loop: Header=BB234_175 Depth=1
	s_or_b64 exec, exec, s[18:19]
.LBB234_322:                            ;   in Loop: Header=BB234_175 Depth=1
	s_or_b64 exec, exec, s[16:17]
.LBB234_323:                            ;   in Loop: Header=BB234_175 Depth=1
	s_or_b64 exec, exec, s[12:13]
	s_waitcnt vmcnt(0)
	v_fma_mixlo_f16 v8, v33, v36, 0 op_sel:[0,1,0] op_sel_hi:[0,1,0]
	v_or_b32_e32 v1, v36, v37
	v_lshlrev_b32_e32 v36, 16, v8
	v_or_b32_e32 v8, v34, v35
	v_fma_mixlo_f16 v34, v33, v34, 0 op_sel:[0,1,0] op_sel_hi:[0,1,0]
	v_lshlrev_b32_e32 v41, 16, v34
	v_or_b32_e32 v34, v40, v39
	v_or_b32_e32 v38, v7, v38
	v_fma_mixlo_f16 v1, v33, v1, 0 op_sel_hi:[0,1,0]
	v_fma_mixlo_f16 v8, v33, v8, 0 op_sel_hi:[0,1,0]
	v_fma_mixlo_f16 v35, v33, v40, 0 op_sel:[0,1,0] op_sel_hi:[0,1,0]
	v_fma_mixlo_f16 v34, v33, v34, 0 op_sel_hi:[0,1,0]
	v_fma_mixlo_f16 v38, v33, v38, 0 op_sel_hi:[0,1,0]
	v_fma_mixlo_f16 v7, v33, v7, 0 op_sel:[0,1,0] op_sel_hi:[0,1,0]
	v_and_b32_e32 v37, 0xffff, v1
	v_and_b32_e32 v42, 0xffff, v8
	v_lshlrev_b32_e32 v35, 16, v35
	v_and_b32_e32 v39, 0xffff, v34
	v_lshlrev_b32_e32 v33, 16, v7
	v_and_b32_e32 v38, 0xffff, v38
	v_or_b32_e32 v1, v36, v37
	v_or_b32_e32 v8, v41, v42
	;; [unrolled: 1-line block ×4, first 2 shown]
	s_and_saveexec_b64 s[0:1], vcc
	s_cbranch_execz .LBB234_174
; %bb.324:                              ;   in Loop: Header=BB234_175 Depth=1
	v_cmp_gt_i32_e32 vcc, s30, v20
	v_cndmask_b32_e32 v1, 0, v42, vcc
	v_cmp_gt_i32_e32 vcc, s30, v26
	v_cndmask_b32_e32 v7, 0, v41, vcc
	v_cmp_gt_i32_e32 vcc, s30, v25
	v_or_b32_e32 v8, v7, v1
	v_cndmask_b32_e32 v1, 0, v37, vcc
	v_cmp_gt_i32_e32 vcc, s30, v24
	v_cndmask_b32_e32 v7, 0, v36, vcc
	v_cmp_gt_i32_e32 vcc, s30, v23
	v_or_b32_e32 v1, v7, v1
	;; [unrolled: 5-line block ×3, first 2 shown]
	v_cndmask_b32_e32 v7, 0, v38, vcc
	v_cmp_gt_i32_e32 vcc, s30, v17
	v_cndmask_b32_e32 v20, 0, v33, vcc
	v_or_b32_e32 v7, v20, v7
	s_branch .LBB234_174
.LBB234_325:
	s_or_b64 exec, exec, s[6:7]
.LBB234_326:
	s_or_b64 exec, exec, s[2:3]
	v_and_b32_e32 v1, 0x3c0, v0
	v_cmp_eq_u32_e32 vcc, 64, v1
	s_barrier
	s_and_saveexec_b64 s[0:1], vcc
	s_cbranch_execz .LBB234_328
; %bb.327:
	v_mov_b32_e32 v1, 0x190
	v_lshl_add_u32 v1, v13, 2, v1
	ds_write2st64_b32 v1, v16, v15 offset1:1
	ds_write_b32 v1, v14 offset:512
.LBB234_328:
	s_or_b64 exec, exec, s[0:1]
	v_cmp_gt_u32_e32 vcc, 64, v0
	s_waitcnt lgkmcnt(0)
	s_barrier
	s_and_saveexec_b64 s[0:1], vcc
	s_cbranch_execz .LBB234_330
; %bb.329:
	v_mov_b32_e32 v1, 0x190
	v_lshl_add_u32 v2, v0, 2, v1
	ds_read2st64_b32 v[0:1], v2 offset1:1
	ds_read_b32 v2, v2 offset:512
	s_waitcnt lgkmcnt(1)
	v_add_f32_e32 v16, v16, v0
	v_add_f32_e32 v15, v15, v1
	s_waitcnt lgkmcnt(0)
	v_add_f32_e32 v14, v14, v2
.LBB234_330:
	s_or_b64 exec, exec, s[0:1]
	s_barrier
	s_and_saveexec_b64 s[0:1], vcc
	s_cbranch_execz .LBB234_332
; %bb.331:
	s_mul_i32 s0, s10, s11
	s_mul_i32 s0, s0, s9
	s_mulk_i32 s0, 0xc0
	s_ashr_i32 s1, s0, 31
	s_lshl_b64 s[0:1], s[0:1], 1
	s_add_u32 s2, s22, s0
	s_mul_i32 s0, s11, s20
	s_addc_u32 s3, s23, s1
	s_ashr_i32 s1, s0, 31
	s_lshl_b64 s[0:1], s[0:1], 1
	s_add_u32 s2, s2, s0
	s_mul_i32 s0, s8, 0xc0
	s_addc_u32 s3, s3, s1
	s_ashr_i32 s1, s0, 31
	s_lshl_b64 s[0:1], s[0:1], 1
	s_add_u32 s0, s2, s0
	s_addc_u32 s1, s3, s1
	;;#ASMSTART
	v_cvt_f16_f32 v0, v16;

	;;#ASMEND
	global_store_short v11, v0, s[0:1]
	;;#ASMSTART
	v_cvt_f16_f32 v0, v15;

	;;#ASMEND
	global_store_short v11, v0, s[0:1] offset:128
	;;#ASMSTART
	v_cvt_f16_f32 v0, v14;

	;;#ASMEND
	global_store_short v11, v0, s[0:1] offset:256
.LBB234_332:
	s_endpgm
	.section	.rodata,"a",@progbits
	.p2align	6, 0x0
	.amdhsa_kernel _ZN4vllm25paged_attention_v1_kernelIthLi192ELi8ELi128ELNS_18Fp8KVCacheDataTypeE1ELb0EEEvPT_PKS2_PKT0_S8_ifPKiSA_iPKfiiiSC_SC_iiiii
		.amdhsa_group_segment_fixed_size 400
		.amdhsa_private_segment_fixed_size 0
		.amdhsa_kernarg_size 384
		.amdhsa_user_sgpr_count 6
		.amdhsa_user_sgpr_private_segment_buffer 1
		.amdhsa_user_sgpr_dispatch_ptr 0
		.amdhsa_user_sgpr_queue_ptr 0
		.amdhsa_user_sgpr_kernarg_segment_ptr 1
		.amdhsa_user_sgpr_dispatch_id 0
		.amdhsa_user_sgpr_flat_scratch_init 0
		.amdhsa_user_sgpr_private_segment_size 0
		.amdhsa_uses_dynamic_stack 0
		.amdhsa_system_sgpr_private_segment_wavefront_offset 0
		.amdhsa_system_sgpr_workgroup_id_x 1
		.amdhsa_system_sgpr_workgroup_id_y 1
		.amdhsa_system_sgpr_workgroup_id_z 1
		.amdhsa_system_sgpr_workgroup_info 0
		.amdhsa_system_vgpr_workitem_id 0
		.amdhsa_next_free_vgpr 60
		.amdhsa_next_free_sgpr 44
		.amdhsa_reserve_vcc 1
		.amdhsa_reserve_flat_scratch 0
		.amdhsa_float_round_mode_32 0
		.amdhsa_float_round_mode_16_64 0
		.amdhsa_float_denorm_mode_32 3
		.amdhsa_float_denorm_mode_16_64 3
		.amdhsa_dx10_clamp 1
		.amdhsa_ieee_mode 1
		.amdhsa_fp16_overflow 0
		.amdhsa_exception_fp_ieee_invalid_op 0
		.amdhsa_exception_fp_denorm_src 0
		.amdhsa_exception_fp_ieee_div_zero 0
		.amdhsa_exception_fp_ieee_overflow 0
		.amdhsa_exception_fp_ieee_underflow 0
		.amdhsa_exception_fp_ieee_inexact 0
		.amdhsa_exception_int_div_zero 0
	.end_amdhsa_kernel
	.section	.text._ZN4vllm25paged_attention_v1_kernelIthLi192ELi8ELi128ELNS_18Fp8KVCacheDataTypeE1ELb0EEEvPT_PKS2_PKT0_S8_ifPKiSA_iPKfiiiSC_SC_iiiii,"axG",@progbits,_ZN4vllm25paged_attention_v1_kernelIthLi192ELi8ELi128ELNS_18Fp8KVCacheDataTypeE1ELb0EEEvPT_PKS2_PKT0_S8_ifPKiSA_iPKfiiiSC_SC_iiiii,comdat
.Lfunc_end234:
	.size	_ZN4vllm25paged_attention_v1_kernelIthLi192ELi8ELi128ELNS_18Fp8KVCacheDataTypeE1ELb0EEEvPT_PKS2_PKT0_S8_ifPKiSA_iPKfiiiSC_SC_iiiii, .Lfunc_end234-_ZN4vllm25paged_attention_v1_kernelIthLi192ELi8ELi128ELNS_18Fp8KVCacheDataTypeE1ELb0EEEvPT_PKS2_PKT0_S8_ifPKiSA_iPKfiiiSC_SC_iiiii
                                        ; -- End function
	.set _ZN4vllm25paged_attention_v1_kernelIthLi192ELi8ELi128ELNS_18Fp8KVCacheDataTypeE1ELb0EEEvPT_PKS2_PKT0_S8_ifPKiSA_iPKfiiiSC_SC_iiiii.num_vgpr, 60
	.set _ZN4vllm25paged_attention_v1_kernelIthLi192ELi8ELi128ELNS_18Fp8KVCacheDataTypeE1ELb0EEEvPT_PKS2_PKT0_S8_ifPKiSA_iPKfiiiSC_SC_iiiii.num_agpr, 0
	.set _ZN4vllm25paged_attention_v1_kernelIthLi192ELi8ELi128ELNS_18Fp8KVCacheDataTypeE1ELb0EEEvPT_PKS2_PKT0_S8_ifPKiSA_iPKfiiiSC_SC_iiiii.numbered_sgpr, 44
	.set _ZN4vllm25paged_attention_v1_kernelIthLi192ELi8ELi128ELNS_18Fp8KVCacheDataTypeE1ELb0EEEvPT_PKS2_PKT0_S8_ifPKiSA_iPKfiiiSC_SC_iiiii.num_named_barrier, 0
	.set _ZN4vllm25paged_attention_v1_kernelIthLi192ELi8ELi128ELNS_18Fp8KVCacheDataTypeE1ELb0EEEvPT_PKS2_PKT0_S8_ifPKiSA_iPKfiiiSC_SC_iiiii.private_seg_size, 0
	.set _ZN4vllm25paged_attention_v1_kernelIthLi192ELi8ELi128ELNS_18Fp8KVCacheDataTypeE1ELb0EEEvPT_PKS2_PKT0_S8_ifPKiSA_iPKfiiiSC_SC_iiiii.uses_vcc, 1
	.set _ZN4vllm25paged_attention_v1_kernelIthLi192ELi8ELi128ELNS_18Fp8KVCacheDataTypeE1ELb0EEEvPT_PKS2_PKT0_S8_ifPKiSA_iPKfiiiSC_SC_iiiii.uses_flat_scratch, 0
	.set _ZN4vllm25paged_attention_v1_kernelIthLi192ELi8ELi128ELNS_18Fp8KVCacheDataTypeE1ELb0EEEvPT_PKS2_PKT0_S8_ifPKiSA_iPKfiiiSC_SC_iiiii.has_dyn_sized_stack, 0
	.set _ZN4vllm25paged_attention_v1_kernelIthLi192ELi8ELi128ELNS_18Fp8KVCacheDataTypeE1ELb0EEEvPT_PKS2_PKT0_S8_ifPKiSA_iPKfiiiSC_SC_iiiii.has_recursion, 0
	.set _ZN4vllm25paged_attention_v1_kernelIthLi192ELi8ELi128ELNS_18Fp8KVCacheDataTypeE1ELb0EEEvPT_PKS2_PKT0_S8_ifPKiSA_iPKfiiiSC_SC_iiiii.has_indirect_call, 0
	.section	.AMDGPU.csdata,"",@progbits
; Kernel info:
; codeLenInByte = 13940
; TotalNumSgprs: 48
; NumVgprs: 60
; ScratchSize: 0
; MemoryBound: 0
; FloatMode: 240
; IeeeMode: 1
; LDSByteSize: 400 bytes/workgroup (compile time only)
; SGPRBlocks: 5
; VGPRBlocks: 14
; NumSGPRsForWavesPerEU: 48
; NumVGPRsForWavesPerEU: 60
; Occupancy: 4
; WaveLimiterHint : 1
; COMPUTE_PGM_RSRC2:SCRATCH_EN: 0
; COMPUTE_PGM_RSRC2:USER_SGPR: 6
; COMPUTE_PGM_RSRC2:TRAP_HANDLER: 0
; COMPUTE_PGM_RSRC2:TGID_X_EN: 1
; COMPUTE_PGM_RSRC2:TGID_Y_EN: 1
; COMPUTE_PGM_RSRC2:TGID_Z_EN: 1
; COMPUTE_PGM_RSRC2:TIDIG_COMP_CNT: 0
	.section	.text._ZN4vllm25paged_attention_v1_kernelIthLi256ELi8ELi128ELNS_18Fp8KVCacheDataTypeE1ELb0EEEvPT_PKS2_PKT0_S8_ifPKiSA_iPKfiiiSC_SC_iiiii,"axG",@progbits,_ZN4vllm25paged_attention_v1_kernelIthLi256ELi8ELi128ELNS_18Fp8KVCacheDataTypeE1ELb0EEEvPT_PKS2_PKT0_S8_ifPKiSA_iPKfiiiSC_SC_iiiii,comdat
	.protected	_ZN4vllm25paged_attention_v1_kernelIthLi256ELi8ELi128ELNS_18Fp8KVCacheDataTypeE1ELb0EEEvPT_PKS2_PKT0_S8_ifPKiSA_iPKfiiiSC_SC_iiiii ; -- Begin function _ZN4vllm25paged_attention_v1_kernelIthLi256ELi8ELi128ELNS_18Fp8KVCacheDataTypeE1ELb0EEEvPT_PKS2_PKT0_S8_ifPKiSA_iPKfiiiSC_SC_iiiii
	.globl	_ZN4vllm25paged_attention_v1_kernelIthLi256ELi8ELi128ELNS_18Fp8KVCacheDataTypeE1ELb0EEEvPT_PKS2_PKT0_S8_ifPKiSA_iPKfiiiSC_SC_iiiii
	.p2align	8
	.type	_ZN4vllm25paged_attention_v1_kernelIthLi256ELi8ELi128ELNS_18Fp8KVCacheDataTypeE1ELb0EEEvPT_PKS2_PKT0_S8_ifPKiSA_iPKfiiiSC_SC_iiiii,@function
_ZN4vllm25paged_attention_v1_kernelIthLi256ELi8ELi128ELNS_18Fp8KVCacheDataTypeE1ELb0EEEvPT_PKS2_PKT0_S8_ifPKiSA_iPKfiiiSC_SC_iiiii: ; @_ZN4vllm25paged_attention_v1_kernelIthLi256ELi8ELi128ELNS_18Fp8KVCacheDataTypeE1ELb0EEEvPT_PKS2_PKT0_S8_ifPKiSA_iPKfiiiSC_SC_iiiii
; %bb.0:
	s_load_dword s9, s[4:5], 0x80
	s_load_dwordx2 s[0:1], s[4:5], 0x30
	s_load_dwordx2 s[30:31], s[4:5], 0x20
	s_mov_b32 s10, s7
	s_ashr_i32 s11, s7, 31
	s_lshl_b64 s[2:3], s[10:11], 2
	s_waitcnt lgkmcnt(0)
	s_add_u32 s0, s0, s2
	s_addc_u32 s1, s1, s3
	s_abs_i32 s2, s30
	v_cvt_f32_u32_e32 v1, s2
	s_sub_i32 s11, 0, s2
	s_abs_i32 s7, s9
	s_xor_b32 s3, s9, s30
	v_rcp_iflag_f32_e32 v1, v1
	s_ashr_i32 s3, s3, 31
	s_mov_b32 s33, 0
	v_mul_f32_e32 v1, 0x4f7ffffe, v1
	v_cvt_u32_f32_e32 v1, v1
	v_readfirstlane_b32 s12, v1
	s_mul_i32 s11, s11, s12
	s_mul_hi_u32 s11, s12, s11
	s_add_i32 s12, s12, s11
	s_mul_hi_u32 s11, s7, s12
	s_mul_i32 s12, s11, s2
	s_sub_i32 s7, s7, s12
	s_add_i32 s12, s11, 1
	s_sub_i32 s13, s7, s2
	s_cmp_ge_u32 s7, s2
	s_cselect_b32 s11, s12, s11
	s_cselect_b32 s7, s13, s7
	s_add_i32 s12, s11, 1
	s_cmp_ge_u32 s7, s2
	s_cselect_b32 s2, s12, s11
	s_xor_b32 s2, s2, s3
	s_sub_i32 s11, s2, s3
	s_abs_i32 s12, s11
	v_cvt_f32_u32_e32 v1, s12
	s_load_dwordx2 s[2:3], s[4:5], 0x40
	s_sub_i32 s7, 0, s12
	s_abs_i32 s13, s6
	v_rcp_iflag_f32_e32 v1, v1
	v_mul_f32_e32 v1, 0x4f7ffffe, v1
	v_cvt_u32_f32_e32 v1, v1
	v_readfirstlane_b32 s14, v1
	s_mul_i32 s7, s7, s14
	s_mul_hi_u32 s7, s14, s7
	s_add_i32 s14, s14, s7
	s_waitcnt lgkmcnt(0)
	s_cmp_eq_u64 s[2:3], 0
	s_mul_hi_u32 s14, s13, s14
	s_cbranch_scc1 .LBB235_2
; %bb.1:
	s_ashr_i32 s7, s6, 31
	s_lshl_b64 s[16:17], s[6:7], 2
	s_add_u32 s2, s2, s16
	s_addc_u32 s3, s3, s17
	s_load_dword s33, s[2:3], 0x0
.LBB235_2:
	s_load_dword s30, s[0:1], 0x0
	s_ashr_i32 s15, s11, 31
	s_load_dword s11, s[4:5], 0x88
	s_load_dwordx4 s[16:19], s[4:5], 0x48
	s_movk_i32 s0, 0x100
	s_ashr_i32 s7, s6, 31
	v_and_b32_e32 v1, 7, v0
	s_lshl_b32 s20, s6, 8
	v_cmp_gt_u32_e32 vcc, s0, v0
	v_lshlrev_b32_e32 v11, 1, v0
	s_and_saveexec_b64 s[0:1], vcc
	s_cbranch_execz .LBB235_5
; %bb.3:
	s_load_dwordx2 s[2:3], s[4:5], 0x8
	s_waitcnt lgkmcnt(0)
	s_mul_i32 s22, s16, s10
	s_ashr_i32 s23, s22, 31
	s_lshl_b64 s[22:23], s[22:23], 1
	v_lshrrev_b32_e32 v2, 3, v0
	s_add_u32 s6, s2, s22
	s_addc_u32 s16, s3, s23
	s_ashr_i32 s21, s20, 31
	s_lshl_b64 s[2:3], s[20:21], 1
	s_add_u32 s2, s6, s2
	s_addc_u32 s3, s16, s3
	global_load_ushort v4, v11, s[2:3]
	s_movk_i32 s6, 0x80
	v_lshlrev_b32_e32 v3, 1, v2
	v_lshl_add_u32 v3, v1, 6, v3
	v_cmp_gt_u32_e32 vcc, s6, v0
	s_waitcnt vmcnt(0)
	ds_write_b16 v3, v4
	s_and_b64 exec, exec, vcc
	s_cbranch_execz .LBB235_5
; %bb.4:
	v_lshlrev_b32_e32 v2, 4, v2
	v_lshlrev_b32_e32 v4, 1, v1
	s_movk_i32 s6, 0x100
	v_or3_b32 v2, v2, v4, s6
	global_load_ushort v2, v2, s[2:3]
	s_waitcnt vmcnt(0)
	ds_write_b16 v3, v2 offset:32
.LBB235_5:
	s_or_b64 exec, exec, s[0:1]
	s_waitcnt lgkmcnt(0)
	s_add_i32 s1, s30, 7
	s_ashr_i32 s2, s1, 31
	s_lshr_b32 s2, s2, 29
	s_add_i32 s1, s1, s2
	s_mul_i32 s2, s14, s12
	s_sub_i32 s2, s13, s2
	s_ashr_i32 s21, s1, 3
	s_xor_b32 s1, s7, s15
	s_add_i32 s3, s14, 1
	s_sub_i32 s6, s2, s12
	s_load_dwordx2 s[24:25], s[4:5], 0x28
	s_load_dword s0, s[4:5], 0x38
	s_cmp_ge_u32 s2, s12
	s_cselect_b32 s3, s3, s14
	s_cselect_b32 s2, s6, s2
	s_add_i32 s6, s3, 1
	s_cmp_ge_u32 s2, s12
	s_cselect_b32 s2, s6, s3
	v_lshrrev_b32_e32 v12, 6, v0
	s_xor_b32 s2, s2, s1
	s_waitcnt lgkmcnt(0)
	s_mul_i32 s26, s0, s10
	s_sub_i32 s16, s2, s1
	s_ashr_i32 s27, s26, 31
	v_cmp_gt_i32_e64 s[0:1], s21, v12
	v_cmp_le_i32_e32 vcc, s21, v12
	v_mbcnt_lo_u32_b32 v7, -1, 0
	s_barrier
                                        ; implicit-def: $vgpr9
                                        ; implicit-def: $vgpr6
                                        ; implicit-def: $vgpr5
	s_and_saveexec_b64 s[2:3], vcc
	s_xor_b64 s[2:3], exec, s[2:3]
; %bb.6:
	v_mbcnt_hi_u32_b32 v9, -1, v7
	v_and_b32_e32 v6, 64, v9
	v_add_u32_e32 v5, 64, v6
                                        ; implicit-def: $vgpr1
                                        ; implicit-def: $vgpr7
; %bb.7:
	s_or_saveexec_b64 s[6:7], s[2:3]
	s_load_dwordx2 s[22:23], s[4:5], 0x0
	s_load_dwordx2 s[28:29], s[4:5], 0x18
	s_load_dwordx4 s[12:15], s[4:5], 0x58
	v_mov_b32_e32 v10, 0xff7fffff
	s_mul_i32 s16, s16, s18
	v_lshrrev_b32_e32 v8, 4, v0
	s_xor_b64 exec, exec, s[6:7]
	s_cbranch_execz .LBB235_205
; %bb.8:
	s_load_dwordx2 s[2:3], s[4:5], 0x10
	s_ashr_i32 s4, s16, 31
	v_bfe_u32 v3, v0, 3, 3
	v_lshlrev_b32_e32 v2, 4, v3
	v_lshlrev_b32_e32 v14, 6, v1
	s_waitcnt lgkmcnt(0)
	s_add_u32 s2, s2, s16
	s_addc_u32 s3, s3, s4
	v_mov_b32_e32 v4, s3
	v_add_co_u32_e32 v2, vcc, s2, v2
	v_addc_co_u32_e32 v4, vcc, 0, v4, vcc
	v_cmp_eq_u32_e32 vcc, 0, v1
	v_add_co_u32_e64 v1, s[4:5], v2, v1
	v_addc_co_u32_e64 v2, s[4:5], 0, v4, s[4:5]
	s_sub_i32 s41, 1, s30
	v_lshl_or_b32 v15, v12, 3, v3
	v_lshlrev_b32_e32 v3, 2, v3
	s_lshl_b64 s[4:5], s[26:27], 2
	v_lshl_or_b32 v3, v12, 5, v3
	s_add_u32 s4, s24, s4
	v_add_u32_e32 v16, 0x210, v3
	v_and_b32_e32 v3, 60, v8
	s_addc_u32 s5, s25, s5
	v_mov_b32_e32 v4, s5
	v_add_co_u32_e64 v3, s[4:5], s4, v3
	s_mov_b32 s40, s17
	v_mov_b32_e32 v13, 0
	v_cmp_neq_f32_e64 s[2:3], s33, 0
	v_addc_co_u32_e64 v4, s[4:5], 0, v4, s[4:5]
	v_mov_b32_e32 v10, 0xff7fffff
	s_mov_b64 s[18:19], 0
	s_movk_i32 s42, 0x80
	s_movk_i32 s43, 0x7f
	v_mbcnt_hi_u32_b32 v9, -1, v7
	v_bfrev_b32_e32 v17, 60
	v_mov_b32_e32 v18, v12
	s_branch .LBB235_10
.LBB235_9:                              ;   in Loop: Header=BB235_10 Depth=1
	s_or_b64 exec, exec, s[34:35]
	v_add_u32_e32 v18, 2, v18
	v_cmp_le_i32_e64 s[4:5], s21, v18
	s_or_b64 s[18:19], s[4:5], s[18:19]
	v_add_co_u32_e64 v3, s[4:5], 8, v3
	v_add_u32_e32 v15, 16, v15
	v_add_u32_e32 v16, 64, v16
	v_addc_co_u32_e64 v4, s[4:5], 0, v4, s[4:5]
	s_andn2_b64 exec, exec, s[18:19]
	s_cbranch_execz .LBB235_204
.LBB235_10:                             ; =>This Inner Loop Header: Depth=1
	global_load_dword v5, v[3:4], off
	v_mov_b32_e32 v20, 0
	s_waitcnt vmcnt(0)
	v_mad_i64_i32 v[5:6], s[4:5], v5, s40, v[1:2]
	global_load_ubyte v21, v[5:6], off
	s_waitcnt lgkmcnt(0)
	global_load_dword v19, v13, s[12:13]
	s_waitcnt vmcnt(1)
	v_cmp_ne_u16_e64 s[4:5], 0, v21
	s_and_saveexec_b64 s[34:35], s[4:5]
	s_cbranch_execz .LBB235_16
; %bb.11:                               ;   in Loop: Header=BB235_10 Depth=1
	v_cmp_ne_u16_e64 s[4:5], s42, v21
	v_bfrev_b32_e32 v20, 1
	s_and_saveexec_b64 s[36:37], s[4:5]
	s_cbranch_execz .LBB235_15
; %bb.12:                               ;   in Loop: Header=BB235_10 Depth=1
	v_and_b32_e32 v7, 0xffff, v21
	v_and_b32_e32 v22, 0x7f, v7
	v_cmp_ne_u32_e64 s[4:5], s43, v22
	v_mov_b32_e32 v20, 0x7f800001
	s_and_saveexec_b64 s[38:39], s[4:5]
	s_cbranch_execz .LBB235_14
; %bb.13:                               ;   in Loop: Header=BB235_10 Depth=1
	v_and_b32_e32 v20, 7, v7
	v_ffbh_u32_e32 v23, v20
	v_min_u32_e32 v26, 32, v23
	v_subrev_u32_e32 v23, 28, v26
	v_lshlrev_b64 v[23:24], v23, v[7:8]
	v_lshrrev_b32_e32 v25, 3, v22
	v_sub_u32_e32 v7, 29, v26
	v_and_b32_e32 v23, 7, v23
	v_cmp_gt_u32_e64 s[4:5], 8, v22
	v_cndmask_b32_e64 v7, v25, v7, s[4:5]
	v_cndmask_b32_e64 v20, v20, v23, s[4:5]
	v_lshlrev_b32_e32 v21, 24, v21
	v_lshlrev_b32_e32 v20, 20, v20
	v_and_b32_e32 v21, 0x80000000, v21
	v_lshl_add_u32 v7, v7, 23, v17
	v_or3_b32 v20, v21, v7, v20
.LBB235_14:                             ;   in Loop: Header=BB235_10 Depth=1
	s_or_b64 exec, exec, s[38:39]
.LBB235_15:                             ;   in Loop: Header=BB235_10 Depth=1
	s_or_b64 exec, exec, s[36:37]
.LBB235_16:                             ;   in Loop: Header=BB235_10 Depth=1
	s_or_b64 exec, exec, s[34:35]
	global_load_ubyte v23, v[5:6], off offset:8
	v_mov_b32_e32 v21, 0
	v_mov_b32_e32 v22, 0
	s_waitcnt vmcnt(0)
	v_cmp_ne_u16_e64 s[4:5], 0, v23
	s_and_saveexec_b64 s[34:35], s[4:5]
	s_cbranch_execz .LBB235_22
; %bb.17:                               ;   in Loop: Header=BB235_10 Depth=1
	v_cmp_ne_u16_e64 s[4:5], s42, v23
	v_bfrev_b32_e32 v22, 1
	s_and_saveexec_b64 s[36:37], s[4:5]
	s_cbranch_execz .LBB235_21
; %bb.18:                               ;   in Loop: Header=BB235_10 Depth=1
	v_and_b32_e32 v7, 0xffff, v23
	v_and_b32_e32 v24, 0x7f, v7
	v_cmp_ne_u32_e64 s[4:5], s43, v24
	v_mov_b32_e32 v22, 0x7f800001
	s_and_saveexec_b64 s[38:39], s[4:5]
	s_cbranch_execz .LBB235_20
; %bb.19:                               ;   in Loop: Header=BB235_10 Depth=1
	v_and_b32_e32 v22, 7, v7
	v_ffbh_u32_e32 v25, v22
	v_min_u32_e32 v28, 32, v25
	v_subrev_u32_e32 v25, 28, v28
	v_lshlrev_b64 v[25:26], v25, v[7:8]
	v_lshrrev_b32_e32 v27, 3, v24
	v_sub_u32_e32 v7, 29, v28
	v_and_b32_e32 v25, 7, v25
	v_cmp_gt_u32_e64 s[4:5], 8, v24
	v_cndmask_b32_e64 v7, v27, v7, s[4:5]
	v_cndmask_b32_e64 v22, v22, v25, s[4:5]
	v_lshlrev_b32_e32 v23, 24, v23
	v_lshlrev_b32_e32 v22, 20, v22
	v_and_b32_e32 v23, 0x80000000, v23
	v_lshl_add_u32 v7, v7, 23, v17
	v_or3_b32 v22, v23, v7, v22
.LBB235_20:                             ;   in Loop: Header=BB235_10 Depth=1
	s_or_b64 exec, exec, s[38:39]
.LBB235_21:                             ;   in Loop: Header=BB235_10 Depth=1
	s_or_b64 exec, exec, s[36:37]
.LBB235_22:                             ;   in Loop: Header=BB235_10 Depth=1
	s_or_b64 exec, exec, s[34:35]
	global_load_ubyte v23, v[5:6], off offset:128
	s_waitcnt vmcnt(0)
	v_cmp_ne_u16_e64 s[4:5], 0, v23
	s_and_saveexec_b64 s[34:35], s[4:5]
	s_cbranch_execz .LBB235_28
; %bb.23:                               ;   in Loop: Header=BB235_10 Depth=1
	v_cmp_ne_u16_e64 s[4:5], s42, v23
	v_bfrev_b32_e32 v21, 1
	s_and_saveexec_b64 s[36:37], s[4:5]
	s_cbranch_execz .LBB235_27
; %bb.24:                               ;   in Loop: Header=BB235_10 Depth=1
	v_and_b32_e32 v7, 0xffff, v23
	v_and_b32_e32 v24, 0x7f, v7
	v_cmp_ne_u32_e64 s[4:5], s43, v24
	v_mov_b32_e32 v21, 0x7f800001
	s_and_saveexec_b64 s[38:39], s[4:5]
	s_cbranch_execz .LBB235_26
; %bb.25:                               ;   in Loop: Header=BB235_10 Depth=1
	v_and_b32_e32 v21, 7, v7
	v_ffbh_u32_e32 v25, v21
	v_min_u32_e32 v28, 32, v25
	v_subrev_u32_e32 v25, 28, v28
	v_lshlrev_b64 v[25:26], v25, v[7:8]
	v_lshrrev_b32_e32 v27, 3, v24
	v_sub_u32_e32 v7, 29, v28
	v_and_b32_e32 v25, 7, v25
	v_cmp_gt_u32_e64 s[4:5], 8, v24
	v_cndmask_b32_e64 v7, v27, v7, s[4:5]
	v_cndmask_b32_e64 v21, v21, v25, s[4:5]
	v_lshlrev_b32_e32 v23, 24, v23
	v_lshlrev_b32_e32 v21, 20, v21
	v_and_b32_e32 v23, 0x80000000, v23
	v_lshl_add_u32 v7, v7, 23, v17
	v_or3_b32 v21, v23, v7, v21
.LBB235_26:                             ;   in Loop: Header=BB235_10 Depth=1
	s_or_b64 exec, exec, s[38:39]
.LBB235_27:                             ;   in Loop: Header=BB235_10 Depth=1
	s_or_b64 exec, exec, s[36:37]
.LBB235_28:                             ;   in Loop: Header=BB235_10 Depth=1
	s_or_b64 exec, exec, s[34:35]
	global_load_ubyte v25, v[5:6], off offset:136
	v_mov_b32_e32 v23, 0
	v_mov_b32_e32 v24, 0
	s_waitcnt vmcnt(0)
	v_cmp_ne_u16_e64 s[4:5], 0, v25
	s_and_saveexec_b64 s[34:35], s[4:5]
	s_cbranch_execz .LBB235_34
; %bb.29:                               ;   in Loop: Header=BB235_10 Depth=1
	v_cmp_ne_u16_e64 s[4:5], s42, v25
	v_bfrev_b32_e32 v24, 1
	s_and_saveexec_b64 s[36:37], s[4:5]
	s_cbranch_execz .LBB235_33
; %bb.30:                               ;   in Loop: Header=BB235_10 Depth=1
	v_and_b32_e32 v7, 0xffff, v25
	v_and_b32_e32 v26, 0x7f, v7
	v_cmp_ne_u32_e64 s[4:5], s43, v26
	v_mov_b32_e32 v24, 0x7f800001
	s_and_saveexec_b64 s[38:39], s[4:5]
	s_cbranch_execz .LBB235_32
; %bb.31:                               ;   in Loop: Header=BB235_10 Depth=1
	v_and_b32_e32 v24, 7, v7
	v_ffbh_u32_e32 v27, v24
	v_min_u32_e32 v30, 32, v27
	v_subrev_u32_e32 v27, 28, v30
	v_lshlrev_b64 v[27:28], v27, v[7:8]
	v_lshrrev_b32_e32 v29, 3, v26
	v_sub_u32_e32 v7, 29, v30
	v_and_b32_e32 v27, 7, v27
	v_cmp_gt_u32_e64 s[4:5], 8, v26
	v_cndmask_b32_e64 v7, v29, v7, s[4:5]
	v_cndmask_b32_e64 v24, v24, v27, s[4:5]
	v_lshlrev_b32_e32 v25, 24, v25
	v_lshlrev_b32_e32 v24, 20, v24
	v_and_b32_e32 v25, 0x80000000, v25
	v_lshl_add_u32 v7, v7, 23, v17
	v_or3_b32 v24, v25, v7, v24
.LBB235_32:                             ;   in Loop: Header=BB235_10 Depth=1
	s_or_b64 exec, exec, s[38:39]
.LBB235_33:                             ;   in Loop: Header=BB235_10 Depth=1
	s_or_b64 exec, exec, s[36:37]
.LBB235_34:                             ;   in Loop: Header=BB235_10 Depth=1
	s_or_b64 exec, exec, s[34:35]
	global_load_ubyte v25, v[5:6], off offset:256
	s_waitcnt vmcnt(0)
	v_cmp_ne_u16_e64 s[4:5], 0, v25
	s_and_saveexec_b64 s[34:35], s[4:5]
	s_cbranch_execz .LBB235_40
; %bb.35:                               ;   in Loop: Header=BB235_10 Depth=1
	v_cmp_ne_u16_e64 s[4:5], s42, v25
	v_bfrev_b32_e32 v23, 1
	s_and_saveexec_b64 s[36:37], s[4:5]
	s_cbranch_execz .LBB235_39
; %bb.36:                               ;   in Loop: Header=BB235_10 Depth=1
	v_and_b32_e32 v7, 0xffff, v25
	v_and_b32_e32 v26, 0x7f, v7
	v_cmp_ne_u32_e64 s[4:5], s43, v26
	v_mov_b32_e32 v23, 0x7f800001
	s_and_saveexec_b64 s[38:39], s[4:5]
	s_cbranch_execz .LBB235_38
; %bb.37:                               ;   in Loop: Header=BB235_10 Depth=1
	v_and_b32_e32 v23, 7, v7
	v_ffbh_u32_e32 v27, v23
	v_min_u32_e32 v30, 32, v27
	v_subrev_u32_e32 v27, 28, v30
	v_lshlrev_b64 v[27:28], v27, v[7:8]
	v_lshrrev_b32_e32 v29, 3, v26
	v_sub_u32_e32 v7, 29, v30
	v_and_b32_e32 v27, 7, v27
	v_cmp_gt_u32_e64 s[4:5], 8, v26
	v_cndmask_b32_e64 v7, v29, v7, s[4:5]
	v_cndmask_b32_e64 v23, v23, v27, s[4:5]
	v_lshlrev_b32_e32 v25, 24, v25
	v_lshlrev_b32_e32 v23, 20, v23
	v_and_b32_e32 v25, 0x80000000, v25
	v_lshl_add_u32 v7, v7, 23, v17
	v_or3_b32 v23, v25, v7, v23
.LBB235_38:                             ;   in Loop: Header=BB235_10 Depth=1
	s_or_b64 exec, exec, s[38:39]
.LBB235_39:                             ;   in Loop: Header=BB235_10 Depth=1
	s_or_b64 exec, exec, s[36:37]
.LBB235_40:                             ;   in Loop: Header=BB235_10 Depth=1
	s_or_b64 exec, exec, s[34:35]
	global_load_ubyte v27, v[5:6], off offset:264
	v_mov_b32_e32 v25, 0
	v_mov_b32_e32 v26, 0
	s_waitcnt vmcnt(0)
	v_cmp_ne_u16_e64 s[4:5], 0, v27
	s_and_saveexec_b64 s[34:35], s[4:5]
	s_cbranch_execz .LBB235_46
; %bb.41:                               ;   in Loop: Header=BB235_10 Depth=1
	v_cmp_ne_u16_e64 s[4:5], s42, v27
	v_bfrev_b32_e32 v26, 1
	s_and_saveexec_b64 s[36:37], s[4:5]
	s_cbranch_execz .LBB235_45
; %bb.42:                               ;   in Loop: Header=BB235_10 Depth=1
	v_and_b32_e32 v7, 0xffff, v27
	v_and_b32_e32 v28, 0x7f, v7
	v_cmp_ne_u32_e64 s[4:5], s43, v28
	v_mov_b32_e32 v26, 0x7f800001
	s_and_saveexec_b64 s[38:39], s[4:5]
	s_cbranch_execz .LBB235_44
; %bb.43:                               ;   in Loop: Header=BB235_10 Depth=1
	v_and_b32_e32 v26, 7, v7
	v_ffbh_u32_e32 v29, v26
	v_min_u32_e32 v32, 32, v29
	v_subrev_u32_e32 v29, 28, v32
	v_lshlrev_b64 v[29:30], v29, v[7:8]
	v_lshrrev_b32_e32 v31, 3, v28
	v_sub_u32_e32 v7, 29, v32
	v_and_b32_e32 v29, 7, v29
	v_cmp_gt_u32_e64 s[4:5], 8, v28
	v_cndmask_b32_e64 v7, v31, v7, s[4:5]
	v_cndmask_b32_e64 v26, v26, v29, s[4:5]
	v_lshlrev_b32_e32 v27, 24, v27
	v_lshlrev_b32_e32 v26, 20, v26
	v_and_b32_e32 v27, 0x80000000, v27
	v_lshl_add_u32 v7, v7, 23, v17
	v_or3_b32 v26, v27, v7, v26
.LBB235_44:                             ;   in Loop: Header=BB235_10 Depth=1
	s_or_b64 exec, exec, s[38:39]
.LBB235_45:                             ;   in Loop: Header=BB235_10 Depth=1
	s_or_b64 exec, exec, s[36:37]
.LBB235_46:                             ;   in Loop: Header=BB235_10 Depth=1
	s_or_b64 exec, exec, s[34:35]
	global_load_ubyte v27, v[5:6], off offset:384
	s_waitcnt vmcnt(0)
	v_cmp_ne_u16_e64 s[4:5], 0, v27
	s_and_saveexec_b64 s[34:35], s[4:5]
	s_cbranch_execz .LBB235_52
; %bb.47:                               ;   in Loop: Header=BB235_10 Depth=1
	v_cmp_ne_u16_e64 s[4:5], s42, v27
	v_bfrev_b32_e32 v25, 1
	s_and_saveexec_b64 s[36:37], s[4:5]
	s_cbranch_execz .LBB235_51
; %bb.48:                               ;   in Loop: Header=BB235_10 Depth=1
	v_and_b32_e32 v7, 0xffff, v27
	v_and_b32_e32 v28, 0x7f, v7
	v_cmp_ne_u32_e64 s[4:5], s43, v28
	v_mov_b32_e32 v25, 0x7f800001
	s_and_saveexec_b64 s[38:39], s[4:5]
	s_cbranch_execz .LBB235_50
; %bb.49:                               ;   in Loop: Header=BB235_10 Depth=1
	v_and_b32_e32 v25, 7, v7
	v_ffbh_u32_e32 v29, v25
	v_min_u32_e32 v32, 32, v29
	v_subrev_u32_e32 v29, 28, v32
	v_lshlrev_b64 v[29:30], v29, v[7:8]
	v_lshrrev_b32_e32 v31, 3, v28
	v_sub_u32_e32 v7, 29, v32
	v_and_b32_e32 v29, 7, v29
	v_cmp_gt_u32_e64 s[4:5], 8, v28
	v_cndmask_b32_e64 v7, v31, v7, s[4:5]
	v_cndmask_b32_e64 v25, v25, v29, s[4:5]
	v_lshlrev_b32_e32 v27, 24, v27
	v_lshlrev_b32_e32 v25, 20, v25
	v_and_b32_e32 v27, 0x80000000, v27
	v_lshl_add_u32 v7, v7, 23, v17
	v_or3_b32 v25, v27, v7, v25
.LBB235_50:                             ;   in Loop: Header=BB235_10 Depth=1
	s_or_b64 exec, exec, s[38:39]
.LBB235_51:                             ;   in Loop: Header=BB235_10 Depth=1
	s_or_b64 exec, exec, s[36:37]
.LBB235_52:                             ;   in Loop: Header=BB235_10 Depth=1
	s_or_b64 exec, exec, s[34:35]
	global_load_ubyte v29, v[5:6], off offset:392
	v_mov_b32_e32 v27, 0
	v_mov_b32_e32 v28, 0
	s_waitcnt vmcnt(0)
	v_cmp_ne_u16_e64 s[4:5], 0, v29
	s_and_saveexec_b64 s[34:35], s[4:5]
	s_cbranch_execz .LBB235_58
; %bb.53:                               ;   in Loop: Header=BB235_10 Depth=1
	v_cmp_ne_u16_e64 s[4:5], s42, v29
	v_bfrev_b32_e32 v28, 1
	s_and_saveexec_b64 s[36:37], s[4:5]
	s_cbranch_execz .LBB235_57
; %bb.54:                               ;   in Loop: Header=BB235_10 Depth=1
	v_and_b32_e32 v7, 0xffff, v29
	v_and_b32_e32 v30, 0x7f, v7
	v_cmp_ne_u32_e64 s[4:5], s43, v30
	v_mov_b32_e32 v28, 0x7f800001
	s_and_saveexec_b64 s[38:39], s[4:5]
	s_cbranch_execz .LBB235_56
; %bb.55:                               ;   in Loop: Header=BB235_10 Depth=1
	v_and_b32_e32 v28, 7, v7
	v_ffbh_u32_e32 v31, v28
	v_min_u32_e32 v34, 32, v31
	v_subrev_u32_e32 v31, 28, v34
	v_lshlrev_b64 v[31:32], v31, v[7:8]
	v_lshrrev_b32_e32 v33, 3, v30
	v_sub_u32_e32 v7, 29, v34
	v_and_b32_e32 v31, 7, v31
	v_cmp_gt_u32_e64 s[4:5], 8, v30
	v_cndmask_b32_e64 v7, v33, v7, s[4:5]
	v_cndmask_b32_e64 v28, v28, v31, s[4:5]
	v_lshlrev_b32_e32 v29, 24, v29
	v_lshlrev_b32_e32 v28, 20, v28
	v_and_b32_e32 v29, 0x80000000, v29
	v_lshl_add_u32 v7, v7, 23, v17
	v_or3_b32 v28, v29, v7, v28
.LBB235_56:                             ;   in Loop: Header=BB235_10 Depth=1
	s_or_b64 exec, exec, s[38:39]
.LBB235_57:                             ;   in Loop: Header=BB235_10 Depth=1
	s_or_b64 exec, exec, s[36:37]
.LBB235_58:                             ;   in Loop: Header=BB235_10 Depth=1
	s_or_b64 exec, exec, s[34:35]
	global_load_ubyte v29, v[5:6], off offset:512
	s_waitcnt vmcnt(0)
	v_cmp_ne_u16_e64 s[4:5], 0, v29
	s_and_saveexec_b64 s[34:35], s[4:5]
	s_cbranch_execz .LBB235_64
; %bb.59:                               ;   in Loop: Header=BB235_10 Depth=1
	v_cmp_ne_u16_e64 s[4:5], s42, v29
	v_bfrev_b32_e32 v27, 1
	s_and_saveexec_b64 s[36:37], s[4:5]
	s_cbranch_execz .LBB235_63
; %bb.60:                               ;   in Loop: Header=BB235_10 Depth=1
	v_and_b32_e32 v7, 0xffff, v29
	v_and_b32_e32 v30, 0x7f, v7
	v_cmp_ne_u32_e64 s[4:5], s43, v30
	v_mov_b32_e32 v27, 0x7f800001
	s_and_saveexec_b64 s[38:39], s[4:5]
	s_cbranch_execz .LBB235_62
; %bb.61:                               ;   in Loop: Header=BB235_10 Depth=1
	v_and_b32_e32 v27, 7, v7
	v_ffbh_u32_e32 v31, v27
	v_min_u32_e32 v34, 32, v31
	v_subrev_u32_e32 v31, 28, v34
	v_lshlrev_b64 v[31:32], v31, v[7:8]
	v_lshrrev_b32_e32 v33, 3, v30
	v_sub_u32_e32 v7, 29, v34
	v_and_b32_e32 v31, 7, v31
	v_cmp_gt_u32_e64 s[4:5], 8, v30
	v_cndmask_b32_e64 v7, v33, v7, s[4:5]
	v_cndmask_b32_e64 v27, v27, v31, s[4:5]
	v_lshlrev_b32_e32 v29, 24, v29
	v_lshlrev_b32_e32 v27, 20, v27
	v_and_b32_e32 v29, 0x80000000, v29
	v_lshl_add_u32 v7, v7, 23, v17
	v_or3_b32 v27, v29, v7, v27
.LBB235_62:                             ;   in Loop: Header=BB235_10 Depth=1
	s_or_b64 exec, exec, s[38:39]
.LBB235_63:                             ;   in Loop: Header=BB235_10 Depth=1
	s_or_b64 exec, exec, s[36:37]
.LBB235_64:                             ;   in Loop: Header=BB235_10 Depth=1
	s_or_b64 exec, exec, s[34:35]
	global_load_ubyte v31, v[5:6], off offset:520
	v_mov_b32_e32 v29, 0
	v_mov_b32_e32 v30, 0
	s_waitcnt vmcnt(0)
	v_cmp_ne_u16_e64 s[4:5], 0, v31
	s_and_saveexec_b64 s[34:35], s[4:5]
	s_cbranch_execz .LBB235_70
; %bb.65:                               ;   in Loop: Header=BB235_10 Depth=1
	v_cmp_ne_u16_e64 s[4:5], s42, v31
	v_bfrev_b32_e32 v30, 1
	s_and_saveexec_b64 s[36:37], s[4:5]
	s_cbranch_execz .LBB235_69
; %bb.66:                               ;   in Loop: Header=BB235_10 Depth=1
	v_and_b32_e32 v7, 0xffff, v31
	v_and_b32_e32 v32, 0x7f, v7
	v_cmp_ne_u32_e64 s[4:5], s43, v32
	v_mov_b32_e32 v30, 0x7f800001
	s_and_saveexec_b64 s[38:39], s[4:5]
	s_cbranch_execz .LBB235_68
; %bb.67:                               ;   in Loop: Header=BB235_10 Depth=1
	v_and_b32_e32 v30, 7, v7
	v_ffbh_u32_e32 v33, v30
	v_min_u32_e32 v36, 32, v33
	v_subrev_u32_e32 v33, 28, v36
	v_lshlrev_b64 v[33:34], v33, v[7:8]
	v_lshrrev_b32_e32 v35, 3, v32
	v_sub_u32_e32 v7, 29, v36
	v_and_b32_e32 v33, 7, v33
	v_cmp_gt_u32_e64 s[4:5], 8, v32
	v_cndmask_b32_e64 v7, v35, v7, s[4:5]
	v_cndmask_b32_e64 v30, v30, v33, s[4:5]
	v_lshlrev_b32_e32 v31, 24, v31
	v_lshlrev_b32_e32 v30, 20, v30
	v_and_b32_e32 v31, 0x80000000, v31
	v_lshl_add_u32 v7, v7, 23, v17
	v_or3_b32 v30, v31, v7, v30
.LBB235_68:                             ;   in Loop: Header=BB235_10 Depth=1
	s_or_b64 exec, exec, s[38:39]
.LBB235_69:                             ;   in Loop: Header=BB235_10 Depth=1
	s_or_b64 exec, exec, s[36:37]
.LBB235_70:                             ;   in Loop: Header=BB235_10 Depth=1
	s_or_b64 exec, exec, s[34:35]
	global_load_ubyte v31, v[5:6], off offset:640
	s_waitcnt vmcnt(0)
	v_cmp_ne_u16_e64 s[4:5], 0, v31
	s_and_saveexec_b64 s[34:35], s[4:5]
	s_cbranch_execz .LBB235_76
; %bb.71:                               ;   in Loop: Header=BB235_10 Depth=1
	v_cmp_ne_u16_e64 s[4:5], s42, v31
	v_bfrev_b32_e32 v29, 1
	s_and_saveexec_b64 s[36:37], s[4:5]
	s_cbranch_execz .LBB235_75
; %bb.72:                               ;   in Loop: Header=BB235_10 Depth=1
	v_and_b32_e32 v7, 0xffff, v31
	v_and_b32_e32 v32, 0x7f, v7
	v_cmp_ne_u32_e64 s[4:5], s43, v32
	v_mov_b32_e32 v29, 0x7f800001
	s_and_saveexec_b64 s[38:39], s[4:5]
	s_cbranch_execz .LBB235_74
; %bb.73:                               ;   in Loop: Header=BB235_10 Depth=1
	v_and_b32_e32 v29, 7, v7
	v_ffbh_u32_e32 v33, v29
	v_min_u32_e32 v36, 32, v33
	v_subrev_u32_e32 v33, 28, v36
	v_lshlrev_b64 v[33:34], v33, v[7:8]
	v_lshrrev_b32_e32 v35, 3, v32
	v_sub_u32_e32 v7, 29, v36
	v_and_b32_e32 v33, 7, v33
	v_cmp_gt_u32_e64 s[4:5], 8, v32
	v_cndmask_b32_e64 v7, v35, v7, s[4:5]
	v_cndmask_b32_e64 v29, v29, v33, s[4:5]
	v_lshlrev_b32_e32 v31, 24, v31
	v_lshlrev_b32_e32 v29, 20, v29
	v_and_b32_e32 v31, 0x80000000, v31
	v_lshl_add_u32 v7, v7, 23, v17
	v_or3_b32 v29, v31, v7, v29
.LBB235_74:                             ;   in Loop: Header=BB235_10 Depth=1
	s_or_b64 exec, exec, s[38:39]
.LBB235_75:                             ;   in Loop: Header=BB235_10 Depth=1
	s_or_b64 exec, exec, s[36:37]
.LBB235_76:                             ;   in Loop: Header=BB235_10 Depth=1
	s_or_b64 exec, exec, s[34:35]
	global_load_ubyte v33, v[5:6], off offset:648
	v_mov_b32_e32 v31, 0
	v_mov_b32_e32 v32, 0
	s_waitcnt vmcnt(0)
	v_cmp_ne_u16_e64 s[4:5], 0, v33
	s_and_saveexec_b64 s[34:35], s[4:5]
	s_cbranch_execz .LBB235_82
; %bb.77:                               ;   in Loop: Header=BB235_10 Depth=1
	v_cmp_ne_u16_e64 s[4:5], s42, v33
	v_bfrev_b32_e32 v32, 1
	s_and_saveexec_b64 s[36:37], s[4:5]
	s_cbranch_execz .LBB235_81
; %bb.78:                               ;   in Loop: Header=BB235_10 Depth=1
	v_and_b32_e32 v7, 0xffff, v33
	v_and_b32_e32 v34, 0x7f, v7
	v_cmp_ne_u32_e64 s[4:5], s43, v34
	v_mov_b32_e32 v32, 0x7f800001
	s_and_saveexec_b64 s[38:39], s[4:5]
	s_cbranch_execz .LBB235_80
; %bb.79:                               ;   in Loop: Header=BB235_10 Depth=1
	v_and_b32_e32 v32, 7, v7
	v_ffbh_u32_e32 v35, v32
	v_min_u32_e32 v38, 32, v35
	v_subrev_u32_e32 v35, 28, v38
	v_lshlrev_b64 v[35:36], v35, v[7:8]
	v_lshrrev_b32_e32 v37, 3, v34
	v_sub_u32_e32 v7, 29, v38
	v_and_b32_e32 v35, 7, v35
	v_cmp_gt_u32_e64 s[4:5], 8, v34
	v_cndmask_b32_e64 v7, v37, v7, s[4:5]
	v_cndmask_b32_e64 v32, v32, v35, s[4:5]
	v_lshlrev_b32_e32 v33, 24, v33
	v_lshlrev_b32_e32 v32, 20, v32
	v_and_b32_e32 v33, 0x80000000, v33
	v_lshl_add_u32 v7, v7, 23, v17
	v_or3_b32 v32, v33, v7, v32
.LBB235_80:                             ;   in Loop: Header=BB235_10 Depth=1
	s_or_b64 exec, exec, s[38:39]
.LBB235_81:                             ;   in Loop: Header=BB235_10 Depth=1
	s_or_b64 exec, exec, s[36:37]
.LBB235_82:                             ;   in Loop: Header=BB235_10 Depth=1
	s_or_b64 exec, exec, s[34:35]
	global_load_ubyte v33, v[5:6], off offset:768
	s_waitcnt vmcnt(0)
	v_cmp_ne_u16_e64 s[4:5], 0, v33
	s_and_saveexec_b64 s[34:35], s[4:5]
	s_cbranch_execz .LBB235_88
; %bb.83:                               ;   in Loop: Header=BB235_10 Depth=1
	v_cmp_ne_u16_e64 s[4:5], s42, v33
	v_bfrev_b32_e32 v31, 1
	s_and_saveexec_b64 s[36:37], s[4:5]
	s_cbranch_execz .LBB235_87
; %bb.84:                               ;   in Loop: Header=BB235_10 Depth=1
	v_and_b32_e32 v7, 0xffff, v33
	v_and_b32_e32 v34, 0x7f, v7
	v_cmp_ne_u32_e64 s[4:5], s43, v34
	v_mov_b32_e32 v31, 0x7f800001
	s_and_saveexec_b64 s[38:39], s[4:5]
	s_cbranch_execz .LBB235_86
; %bb.85:                               ;   in Loop: Header=BB235_10 Depth=1
	v_and_b32_e32 v31, 7, v7
	v_ffbh_u32_e32 v35, v31
	v_min_u32_e32 v38, 32, v35
	v_subrev_u32_e32 v35, 28, v38
	v_lshlrev_b64 v[35:36], v35, v[7:8]
	v_lshrrev_b32_e32 v37, 3, v34
	v_sub_u32_e32 v7, 29, v38
	v_and_b32_e32 v35, 7, v35
	v_cmp_gt_u32_e64 s[4:5], 8, v34
	v_cndmask_b32_e64 v7, v37, v7, s[4:5]
	v_cndmask_b32_e64 v31, v31, v35, s[4:5]
	v_lshlrev_b32_e32 v33, 24, v33
	v_lshlrev_b32_e32 v31, 20, v31
	v_and_b32_e32 v33, 0x80000000, v33
	v_lshl_add_u32 v7, v7, 23, v17
	v_or3_b32 v31, v33, v7, v31
.LBB235_86:                             ;   in Loop: Header=BB235_10 Depth=1
	s_or_b64 exec, exec, s[38:39]
.LBB235_87:                             ;   in Loop: Header=BB235_10 Depth=1
	s_or_b64 exec, exec, s[36:37]
.LBB235_88:                             ;   in Loop: Header=BB235_10 Depth=1
	s_or_b64 exec, exec, s[34:35]
	global_load_ubyte v35, v[5:6], off offset:776
	v_mov_b32_e32 v33, 0
	v_mov_b32_e32 v34, 0
	s_waitcnt vmcnt(0)
	v_cmp_ne_u16_e64 s[4:5], 0, v35
	s_and_saveexec_b64 s[34:35], s[4:5]
	s_cbranch_execz .LBB235_94
; %bb.89:                               ;   in Loop: Header=BB235_10 Depth=1
	v_cmp_ne_u16_e64 s[4:5], s42, v35
	v_bfrev_b32_e32 v34, 1
	s_and_saveexec_b64 s[36:37], s[4:5]
	s_cbranch_execz .LBB235_93
; %bb.90:                               ;   in Loop: Header=BB235_10 Depth=1
	v_and_b32_e32 v7, 0xffff, v35
	v_and_b32_e32 v36, 0x7f, v7
	v_cmp_ne_u32_e64 s[4:5], s43, v36
	v_mov_b32_e32 v34, 0x7f800001
	s_and_saveexec_b64 s[38:39], s[4:5]
	s_cbranch_execz .LBB235_92
; %bb.91:                               ;   in Loop: Header=BB235_10 Depth=1
	v_and_b32_e32 v34, 7, v7
	v_ffbh_u32_e32 v37, v34
	v_min_u32_e32 v40, 32, v37
	v_subrev_u32_e32 v37, 28, v40
	v_lshlrev_b64 v[37:38], v37, v[7:8]
	v_lshrrev_b32_e32 v39, 3, v36
	v_sub_u32_e32 v7, 29, v40
	v_and_b32_e32 v37, 7, v37
	v_cmp_gt_u32_e64 s[4:5], 8, v36
	v_cndmask_b32_e64 v7, v39, v7, s[4:5]
	v_cndmask_b32_e64 v34, v34, v37, s[4:5]
	v_lshlrev_b32_e32 v35, 24, v35
	v_lshlrev_b32_e32 v34, 20, v34
	v_and_b32_e32 v35, 0x80000000, v35
	v_lshl_add_u32 v7, v7, 23, v17
	v_or3_b32 v34, v35, v7, v34
.LBB235_92:                             ;   in Loop: Header=BB235_10 Depth=1
	s_or_b64 exec, exec, s[38:39]
.LBB235_93:                             ;   in Loop: Header=BB235_10 Depth=1
	s_or_b64 exec, exec, s[36:37]
.LBB235_94:                             ;   in Loop: Header=BB235_10 Depth=1
	s_or_b64 exec, exec, s[34:35]
	global_load_ubyte v35, v[5:6], off offset:896
	s_waitcnt vmcnt(0)
	v_cmp_ne_u16_e64 s[4:5], 0, v35
	s_and_saveexec_b64 s[34:35], s[4:5]
	s_cbranch_execz .LBB235_100
; %bb.95:                               ;   in Loop: Header=BB235_10 Depth=1
	v_cmp_ne_u16_e64 s[4:5], s42, v35
	v_bfrev_b32_e32 v33, 1
	s_and_saveexec_b64 s[36:37], s[4:5]
	s_cbranch_execz .LBB235_99
; %bb.96:                               ;   in Loop: Header=BB235_10 Depth=1
	v_and_b32_e32 v7, 0xffff, v35
	v_and_b32_e32 v36, 0x7f, v7
	v_cmp_ne_u32_e64 s[4:5], s43, v36
	v_mov_b32_e32 v33, 0x7f800001
	s_and_saveexec_b64 s[38:39], s[4:5]
	s_cbranch_execz .LBB235_98
; %bb.97:                               ;   in Loop: Header=BB235_10 Depth=1
	v_and_b32_e32 v33, 7, v7
	v_ffbh_u32_e32 v37, v33
	v_min_u32_e32 v40, 32, v37
	v_subrev_u32_e32 v37, 28, v40
	v_lshlrev_b64 v[37:38], v37, v[7:8]
	v_lshrrev_b32_e32 v39, 3, v36
	v_sub_u32_e32 v7, 29, v40
	v_and_b32_e32 v37, 7, v37
	v_cmp_gt_u32_e64 s[4:5], 8, v36
	v_cndmask_b32_e64 v7, v39, v7, s[4:5]
	v_cndmask_b32_e64 v33, v33, v37, s[4:5]
	v_lshlrev_b32_e32 v35, 24, v35
	v_lshlrev_b32_e32 v33, 20, v33
	v_and_b32_e32 v35, 0x80000000, v35
	v_lshl_add_u32 v7, v7, 23, v17
	v_or3_b32 v33, v35, v7, v33
.LBB235_98:                             ;   in Loop: Header=BB235_10 Depth=1
	s_or_b64 exec, exec, s[38:39]
.LBB235_99:                             ;   in Loop: Header=BB235_10 Depth=1
	s_or_b64 exec, exec, s[36:37]
.LBB235_100:                            ;   in Loop: Header=BB235_10 Depth=1
	s_or_b64 exec, exec, s[34:35]
	global_load_ubyte v37, v[5:6], off offset:904
	v_mov_b32_e32 v35, 0
	v_mov_b32_e32 v36, 0
	s_waitcnt vmcnt(0)
	v_cmp_ne_u16_e64 s[4:5], 0, v37
	s_and_saveexec_b64 s[34:35], s[4:5]
	s_cbranch_execz .LBB235_106
; %bb.101:                              ;   in Loop: Header=BB235_10 Depth=1
	v_cmp_ne_u16_e64 s[4:5], s42, v37
	v_bfrev_b32_e32 v36, 1
	s_and_saveexec_b64 s[36:37], s[4:5]
	s_cbranch_execz .LBB235_105
; %bb.102:                              ;   in Loop: Header=BB235_10 Depth=1
	v_and_b32_e32 v7, 0xffff, v37
	v_and_b32_e32 v38, 0x7f, v7
	v_cmp_ne_u32_e64 s[4:5], s43, v38
	v_mov_b32_e32 v36, 0x7f800001
	s_and_saveexec_b64 s[38:39], s[4:5]
	s_cbranch_execz .LBB235_104
; %bb.103:                              ;   in Loop: Header=BB235_10 Depth=1
	v_and_b32_e32 v36, 7, v7
	v_ffbh_u32_e32 v39, v36
	v_min_u32_e32 v42, 32, v39
	v_subrev_u32_e32 v39, 28, v42
	v_lshlrev_b64 v[39:40], v39, v[7:8]
	v_lshrrev_b32_e32 v41, 3, v38
	v_sub_u32_e32 v7, 29, v42
	v_and_b32_e32 v39, 7, v39
	v_cmp_gt_u32_e64 s[4:5], 8, v38
	v_cndmask_b32_e64 v7, v41, v7, s[4:5]
	v_cndmask_b32_e64 v36, v36, v39, s[4:5]
	v_lshlrev_b32_e32 v37, 24, v37
	v_lshlrev_b32_e32 v36, 20, v36
	v_and_b32_e32 v37, 0x80000000, v37
	v_lshl_add_u32 v7, v7, 23, v17
	v_or3_b32 v36, v37, v7, v36
.LBB235_104:                            ;   in Loop: Header=BB235_10 Depth=1
	s_or_b64 exec, exec, s[38:39]
.LBB235_105:                            ;   in Loop: Header=BB235_10 Depth=1
	s_or_b64 exec, exec, s[36:37]
.LBB235_106:                            ;   in Loop: Header=BB235_10 Depth=1
	s_or_b64 exec, exec, s[34:35]
	global_load_ubyte v37, v[5:6], off offset:1024
	s_waitcnt vmcnt(0)
	v_cmp_ne_u16_e64 s[4:5], 0, v37
	s_and_saveexec_b64 s[34:35], s[4:5]
	s_cbranch_execz .LBB235_112
; %bb.107:                              ;   in Loop: Header=BB235_10 Depth=1
	v_cmp_ne_u16_e64 s[4:5], s42, v37
	v_bfrev_b32_e32 v35, 1
	s_and_saveexec_b64 s[36:37], s[4:5]
	s_cbranch_execz .LBB235_111
; %bb.108:                              ;   in Loop: Header=BB235_10 Depth=1
	v_and_b32_e32 v7, 0xffff, v37
	v_and_b32_e32 v38, 0x7f, v7
	v_cmp_ne_u32_e64 s[4:5], s43, v38
	v_mov_b32_e32 v35, 0x7f800001
	s_and_saveexec_b64 s[38:39], s[4:5]
	s_cbranch_execz .LBB235_110
; %bb.109:                              ;   in Loop: Header=BB235_10 Depth=1
	v_and_b32_e32 v35, 7, v7
	v_ffbh_u32_e32 v39, v35
	v_min_u32_e32 v42, 32, v39
	v_subrev_u32_e32 v39, 28, v42
	v_lshlrev_b64 v[39:40], v39, v[7:8]
	v_lshrrev_b32_e32 v41, 3, v38
	v_sub_u32_e32 v7, 29, v42
	v_and_b32_e32 v39, 7, v39
	v_cmp_gt_u32_e64 s[4:5], 8, v38
	v_cndmask_b32_e64 v7, v41, v7, s[4:5]
	v_cndmask_b32_e64 v35, v35, v39, s[4:5]
	v_lshlrev_b32_e32 v37, 24, v37
	v_lshlrev_b32_e32 v35, 20, v35
	v_and_b32_e32 v37, 0x80000000, v37
	v_lshl_add_u32 v7, v7, 23, v17
	v_or3_b32 v35, v37, v7, v35
.LBB235_110:                            ;   in Loop: Header=BB235_10 Depth=1
	s_or_b64 exec, exec, s[38:39]
.LBB235_111:                            ;   in Loop: Header=BB235_10 Depth=1
	s_or_b64 exec, exec, s[36:37]
.LBB235_112:                            ;   in Loop: Header=BB235_10 Depth=1
	s_or_b64 exec, exec, s[34:35]
	global_load_ubyte v39, v[5:6], off offset:1032
	v_mov_b32_e32 v37, 0
	v_mov_b32_e32 v38, 0
	s_waitcnt vmcnt(0)
	v_cmp_ne_u16_e64 s[4:5], 0, v39
	s_and_saveexec_b64 s[34:35], s[4:5]
	s_cbranch_execz .LBB235_118
; %bb.113:                              ;   in Loop: Header=BB235_10 Depth=1
	v_cmp_ne_u16_e64 s[4:5], s42, v39
	v_bfrev_b32_e32 v38, 1
	s_and_saveexec_b64 s[36:37], s[4:5]
	s_cbranch_execz .LBB235_117
; %bb.114:                              ;   in Loop: Header=BB235_10 Depth=1
	v_and_b32_e32 v7, 0xffff, v39
	v_and_b32_e32 v40, 0x7f, v7
	v_cmp_ne_u32_e64 s[4:5], s43, v40
	v_mov_b32_e32 v38, 0x7f800001
	s_and_saveexec_b64 s[38:39], s[4:5]
	s_cbranch_execz .LBB235_116
; %bb.115:                              ;   in Loop: Header=BB235_10 Depth=1
	v_and_b32_e32 v38, 7, v7
	v_ffbh_u32_e32 v41, v38
	v_min_u32_e32 v44, 32, v41
	v_subrev_u32_e32 v41, 28, v44
	v_lshlrev_b64 v[41:42], v41, v[7:8]
	v_lshrrev_b32_e32 v43, 3, v40
	v_sub_u32_e32 v7, 29, v44
	v_and_b32_e32 v41, 7, v41
	v_cmp_gt_u32_e64 s[4:5], 8, v40
	v_cndmask_b32_e64 v7, v43, v7, s[4:5]
	v_cndmask_b32_e64 v38, v38, v41, s[4:5]
	v_lshlrev_b32_e32 v39, 24, v39
	v_lshlrev_b32_e32 v38, 20, v38
	v_and_b32_e32 v39, 0x80000000, v39
	v_lshl_add_u32 v7, v7, 23, v17
	v_or3_b32 v38, v39, v7, v38
.LBB235_116:                            ;   in Loop: Header=BB235_10 Depth=1
	s_or_b64 exec, exec, s[38:39]
.LBB235_117:                            ;   in Loop: Header=BB235_10 Depth=1
	s_or_b64 exec, exec, s[36:37]
.LBB235_118:                            ;   in Loop: Header=BB235_10 Depth=1
	s_or_b64 exec, exec, s[34:35]
	global_load_ubyte v39, v[5:6], off offset:1152
	s_waitcnt vmcnt(0)
	v_cmp_ne_u16_e64 s[4:5], 0, v39
	s_and_saveexec_b64 s[34:35], s[4:5]
	s_cbranch_execz .LBB235_124
; %bb.119:                              ;   in Loop: Header=BB235_10 Depth=1
	v_cmp_ne_u16_e64 s[4:5], s42, v39
	v_bfrev_b32_e32 v37, 1
	s_and_saveexec_b64 s[36:37], s[4:5]
	s_cbranch_execz .LBB235_123
; %bb.120:                              ;   in Loop: Header=BB235_10 Depth=1
	v_and_b32_e32 v7, 0xffff, v39
	v_and_b32_e32 v40, 0x7f, v7
	v_cmp_ne_u32_e64 s[4:5], s43, v40
	v_mov_b32_e32 v37, 0x7f800001
	s_and_saveexec_b64 s[38:39], s[4:5]
	s_cbranch_execz .LBB235_122
; %bb.121:                              ;   in Loop: Header=BB235_10 Depth=1
	v_and_b32_e32 v37, 7, v7
	v_ffbh_u32_e32 v41, v37
	v_min_u32_e32 v44, 32, v41
	v_subrev_u32_e32 v41, 28, v44
	v_lshlrev_b64 v[41:42], v41, v[7:8]
	v_lshrrev_b32_e32 v43, 3, v40
	v_sub_u32_e32 v7, 29, v44
	v_and_b32_e32 v41, 7, v41
	v_cmp_gt_u32_e64 s[4:5], 8, v40
	v_cndmask_b32_e64 v7, v43, v7, s[4:5]
	v_cndmask_b32_e64 v37, v37, v41, s[4:5]
	v_lshlrev_b32_e32 v39, 24, v39
	v_lshlrev_b32_e32 v37, 20, v37
	v_and_b32_e32 v39, 0x80000000, v39
	v_lshl_add_u32 v7, v7, 23, v17
	v_or3_b32 v37, v39, v7, v37
.LBB235_122:                            ;   in Loop: Header=BB235_10 Depth=1
	s_or_b64 exec, exec, s[38:39]
.LBB235_123:                            ;   in Loop: Header=BB235_10 Depth=1
	s_or_b64 exec, exec, s[36:37]
.LBB235_124:                            ;   in Loop: Header=BB235_10 Depth=1
	s_or_b64 exec, exec, s[34:35]
	global_load_ubyte v41, v[5:6], off offset:1160
	v_mov_b32_e32 v39, 0
	v_mov_b32_e32 v40, 0
	s_waitcnt vmcnt(0)
	v_cmp_ne_u16_e64 s[4:5], 0, v41
	s_and_saveexec_b64 s[34:35], s[4:5]
	s_cbranch_execz .LBB235_130
; %bb.125:                              ;   in Loop: Header=BB235_10 Depth=1
	v_cmp_ne_u16_e64 s[4:5], s42, v41
	v_bfrev_b32_e32 v40, 1
	s_and_saveexec_b64 s[36:37], s[4:5]
	s_cbranch_execz .LBB235_129
; %bb.126:                              ;   in Loop: Header=BB235_10 Depth=1
	v_and_b32_e32 v7, 0xffff, v41
	v_and_b32_e32 v42, 0x7f, v7
	v_cmp_ne_u32_e64 s[4:5], s43, v42
	v_mov_b32_e32 v40, 0x7f800001
	s_and_saveexec_b64 s[38:39], s[4:5]
	s_cbranch_execz .LBB235_128
; %bb.127:                              ;   in Loop: Header=BB235_10 Depth=1
	v_and_b32_e32 v40, 7, v7
	v_ffbh_u32_e32 v43, v40
	v_min_u32_e32 v46, 32, v43
	v_subrev_u32_e32 v43, 28, v46
	v_lshlrev_b64 v[43:44], v43, v[7:8]
	v_lshrrev_b32_e32 v45, 3, v42
	v_sub_u32_e32 v7, 29, v46
	v_and_b32_e32 v43, 7, v43
	v_cmp_gt_u32_e64 s[4:5], 8, v42
	v_cndmask_b32_e64 v7, v45, v7, s[4:5]
	v_cndmask_b32_e64 v40, v40, v43, s[4:5]
	v_lshlrev_b32_e32 v41, 24, v41
	v_lshlrev_b32_e32 v40, 20, v40
	v_and_b32_e32 v41, 0x80000000, v41
	v_lshl_add_u32 v7, v7, 23, v17
	v_or3_b32 v40, v41, v7, v40
.LBB235_128:                            ;   in Loop: Header=BB235_10 Depth=1
	s_or_b64 exec, exec, s[38:39]
.LBB235_129:                            ;   in Loop: Header=BB235_10 Depth=1
	s_or_b64 exec, exec, s[36:37]
.LBB235_130:                            ;   in Loop: Header=BB235_10 Depth=1
	s_or_b64 exec, exec, s[34:35]
	global_load_ubyte v41, v[5:6], off offset:1280
	s_waitcnt vmcnt(0)
	v_cmp_ne_u16_e64 s[4:5], 0, v41
	s_and_saveexec_b64 s[34:35], s[4:5]
	s_cbranch_execz .LBB235_136
; %bb.131:                              ;   in Loop: Header=BB235_10 Depth=1
	v_cmp_ne_u16_e64 s[4:5], s42, v41
	v_bfrev_b32_e32 v39, 1
	s_and_saveexec_b64 s[36:37], s[4:5]
	s_cbranch_execz .LBB235_135
; %bb.132:                              ;   in Loop: Header=BB235_10 Depth=1
	v_and_b32_e32 v7, 0xffff, v41
	v_and_b32_e32 v42, 0x7f, v7
	v_cmp_ne_u32_e64 s[4:5], s43, v42
	v_mov_b32_e32 v39, 0x7f800001
	s_and_saveexec_b64 s[38:39], s[4:5]
	s_cbranch_execz .LBB235_134
; %bb.133:                              ;   in Loop: Header=BB235_10 Depth=1
	v_and_b32_e32 v39, 7, v7
	v_ffbh_u32_e32 v43, v39
	v_min_u32_e32 v46, 32, v43
	v_subrev_u32_e32 v43, 28, v46
	v_lshlrev_b64 v[43:44], v43, v[7:8]
	v_lshrrev_b32_e32 v45, 3, v42
	v_sub_u32_e32 v7, 29, v46
	v_and_b32_e32 v43, 7, v43
	v_cmp_gt_u32_e64 s[4:5], 8, v42
	v_cndmask_b32_e64 v7, v45, v7, s[4:5]
	v_cndmask_b32_e64 v39, v39, v43, s[4:5]
	v_lshlrev_b32_e32 v41, 24, v41
	v_lshlrev_b32_e32 v39, 20, v39
	v_and_b32_e32 v41, 0x80000000, v41
	v_lshl_add_u32 v7, v7, 23, v17
	v_or3_b32 v39, v41, v7, v39
.LBB235_134:                            ;   in Loop: Header=BB235_10 Depth=1
	s_or_b64 exec, exec, s[38:39]
.LBB235_135:                            ;   in Loop: Header=BB235_10 Depth=1
	s_or_b64 exec, exec, s[36:37]
.LBB235_136:                            ;   in Loop: Header=BB235_10 Depth=1
	s_or_b64 exec, exec, s[34:35]
	global_load_ubyte v41, v[5:6], off offset:1288
	v_mov_b32_e32 v45, 0
	v_mov_b32_e32 v46, 0
	s_waitcnt vmcnt(0)
	v_cmp_ne_u16_e64 s[4:5], 0, v41
	s_and_saveexec_b64 s[34:35], s[4:5]
	s_cbranch_execz .LBB235_142
; %bb.137:                              ;   in Loop: Header=BB235_10 Depth=1
	v_cmp_ne_u16_e64 s[4:5], s42, v41
	v_bfrev_b32_e32 v46, 1
	s_and_saveexec_b64 s[36:37], s[4:5]
	s_cbranch_execz .LBB235_141
; %bb.138:                              ;   in Loop: Header=BB235_10 Depth=1
	v_and_b32_e32 v7, 0xffff, v41
	v_and_b32_e32 v42, 0x7f, v7
	v_cmp_ne_u32_e64 s[4:5], s43, v42
	v_mov_b32_e32 v46, 0x7f800001
	s_and_saveexec_b64 s[38:39], s[4:5]
	s_cbranch_execz .LBB235_140
; %bb.139:                              ;   in Loop: Header=BB235_10 Depth=1
	v_and_b32_e32 v46, 7, v7
	v_ffbh_u32_e32 v43, v46
	v_min_u32_e32 v48, 32, v43
	v_subrev_u32_e32 v43, 28, v48
	v_lshlrev_b64 v[43:44], v43, v[7:8]
	v_lshrrev_b32_e32 v47, 3, v42
	v_sub_u32_e32 v7, 29, v48
	v_and_b32_e32 v43, 7, v43
	v_cmp_gt_u32_e64 s[4:5], 8, v42
	v_cndmask_b32_e64 v7, v47, v7, s[4:5]
	v_cndmask_b32_e64 v42, v46, v43, s[4:5]
	v_lshlrev_b32_e32 v41, 24, v41
	v_lshlrev_b32_e32 v42, 20, v42
	v_and_b32_e32 v41, 0x80000000, v41
	v_lshl_add_u32 v7, v7, 23, v17
	v_or3_b32 v46, v41, v7, v42
.LBB235_140:                            ;   in Loop: Header=BB235_10 Depth=1
	s_or_b64 exec, exec, s[38:39]
.LBB235_141:                            ;   in Loop: Header=BB235_10 Depth=1
	s_or_b64 exec, exec, s[36:37]
.LBB235_142:                            ;   in Loop: Header=BB235_10 Depth=1
	s_or_b64 exec, exec, s[34:35]
	global_load_ubyte v41, v[5:6], off offset:1408
	s_waitcnt vmcnt(0)
	v_cmp_ne_u16_e64 s[4:5], 0, v41
	s_and_saveexec_b64 s[34:35], s[4:5]
	s_cbranch_execz .LBB235_148
; %bb.143:                              ;   in Loop: Header=BB235_10 Depth=1
	v_cmp_ne_u16_e64 s[4:5], s42, v41
	v_bfrev_b32_e32 v45, 1
	s_and_saveexec_b64 s[36:37], s[4:5]
	s_cbranch_execz .LBB235_147
; %bb.144:                              ;   in Loop: Header=BB235_10 Depth=1
	v_and_b32_e32 v7, 0xffff, v41
	v_and_b32_e32 v42, 0x7f, v7
	v_cmp_ne_u32_e64 s[4:5], s43, v42
	v_mov_b32_e32 v45, 0x7f800001
	s_and_saveexec_b64 s[38:39], s[4:5]
	s_cbranch_execz .LBB235_146
; %bb.145:                              ;   in Loop: Header=BB235_10 Depth=1
	v_and_b32_e32 v45, 7, v7
	v_ffbh_u32_e32 v43, v45
	v_min_u32_e32 v48, 32, v43
	v_subrev_u32_e32 v43, 28, v48
	v_lshlrev_b64 v[43:44], v43, v[7:8]
	v_lshrrev_b32_e32 v47, 3, v42
	v_sub_u32_e32 v7, 29, v48
	v_and_b32_e32 v43, 7, v43
	v_cmp_gt_u32_e64 s[4:5], 8, v42
	v_cndmask_b32_e64 v7, v47, v7, s[4:5]
	v_cndmask_b32_e64 v42, v45, v43, s[4:5]
	v_lshlrev_b32_e32 v41, 24, v41
	v_lshlrev_b32_e32 v42, 20, v42
	v_and_b32_e32 v41, 0x80000000, v41
	v_lshl_add_u32 v7, v7, 23, v17
	v_or3_b32 v45, v41, v7, v42
.LBB235_146:                            ;   in Loop: Header=BB235_10 Depth=1
	s_or_b64 exec, exec, s[38:39]
.LBB235_147:                            ;   in Loop: Header=BB235_10 Depth=1
	s_or_b64 exec, exec, s[36:37]
.LBB235_148:                            ;   in Loop: Header=BB235_10 Depth=1
	s_or_b64 exec, exec, s[34:35]
	global_load_ubyte v41, v[5:6], off offset:1416
	v_mov_b32_e32 v47, 0
	v_mov_b32_e32 v48, 0
	s_waitcnt vmcnt(0)
	v_cmp_ne_u16_e64 s[4:5], 0, v41
	s_and_saveexec_b64 s[34:35], s[4:5]
	s_cbranch_execz .LBB235_154
; %bb.149:                              ;   in Loop: Header=BB235_10 Depth=1
	v_cmp_ne_u16_e64 s[4:5], s42, v41
	v_bfrev_b32_e32 v48, 1
	s_and_saveexec_b64 s[36:37], s[4:5]
	s_cbranch_execz .LBB235_153
; %bb.150:                              ;   in Loop: Header=BB235_10 Depth=1
	v_and_b32_e32 v7, 0xffff, v41
	v_and_b32_e32 v42, 0x7f, v7
	v_cmp_ne_u32_e64 s[4:5], s43, v42
	v_mov_b32_e32 v48, 0x7f800001
	s_and_saveexec_b64 s[38:39], s[4:5]
	s_cbranch_execz .LBB235_152
; %bb.151:                              ;   in Loop: Header=BB235_10 Depth=1
	v_and_b32_e32 v48, 7, v7
	v_ffbh_u32_e32 v43, v48
	v_min_u32_e32 v50, 32, v43
	v_subrev_u32_e32 v43, 28, v50
	v_lshlrev_b64 v[43:44], v43, v[7:8]
	v_lshrrev_b32_e32 v49, 3, v42
	v_sub_u32_e32 v7, 29, v50
	v_and_b32_e32 v43, 7, v43
	v_cmp_gt_u32_e64 s[4:5], 8, v42
	v_cndmask_b32_e64 v7, v49, v7, s[4:5]
	v_cndmask_b32_e64 v42, v48, v43, s[4:5]
	v_lshlrev_b32_e32 v41, 24, v41
	v_lshlrev_b32_e32 v42, 20, v42
	v_and_b32_e32 v41, 0x80000000, v41
	v_lshl_add_u32 v7, v7, 23, v17
	v_or3_b32 v48, v41, v7, v42
.LBB235_152:                            ;   in Loop: Header=BB235_10 Depth=1
	s_or_b64 exec, exec, s[38:39]
.LBB235_153:                            ;   in Loop: Header=BB235_10 Depth=1
	s_or_b64 exec, exec, s[36:37]
.LBB235_154:                            ;   in Loop: Header=BB235_10 Depth=1
	s_or_b64 exec, exec, s[34:35]
	global_load_ubyte v41, v[5:6], off offset:1536
	s_waitcnt vmcnt(0)
	v_cmp_ne_u16_e64 s[4:5], 0, v41
	s_and_saveexec_b64 s[34:35], s[4:5]
	s_cbranch_execz .LBB235_160
; %bb.155:                              ;   in Loop: Header=BB235_10 Depth=1
	v_cmp_ne_u16_e64 s[4:5], s42, v41
	v_bfrev_b32_e32 v47, 1
	s_and_saveexec_b64 s[36:37], s[4:5]
	s_cbranch_execz .LBB235_159
; %bb.156:                              ;   in Loop: Header=BB235_10 Depth=1
	v_and_b32_e32 v7, 0xffff, v41
	v_and_b32_e32 v42, 0x7f, v7
	v_cmp_ne_u32_e64 s[4:5], s43, v42
	v_mov_b32_e32 v47, 0x7f800001
	s_and_saveexec_b64 s[38:39], s[4:5]
	s_cbranch_execz .LBB235_158
; %bb.157:                              ;   in Loop: Header=BB235_10 Depth=1
	v_and_b32_e32 v47, 7, v7
	v_ffbh_u32_e32 v43, v47
	v_min_u32_e32 v50, 32, v43
	v_subrev_u32_e32 v43, 28, v50
	v_lshlrev_b64 v[43:44], v43, v[7:8]
	v_lshrrev_b32_e32 v49, 3, v42
	v_sub_u32_e32 v7, 29, v50
	v_and_b32_e32 v43, 7, v43
	v_cmp_gt_u32_e64 s[4:5], 8, v42
	v_cndmask_b32_e64 v7, v49, v7, s[4:5]
	v_cndmask_b32_e64 v42, v47, v43, s[4:5]
	v_lshlrev_b32_e32 v41, 24, v41
	v_lshlrev_b32_e32 v42, 20, v42
	v_and_b32_e32 v41, 0x80000000, v41
	v_lshl_add_u32 v7, v7, 23, v17
	v_or3_b32 v47, v41, v7, v42
.LBB235_158:                            ;   in Loop: Header=BB235_10 Depth=1
	s_or_b64 exec, exec, s[38:39]
.LBB235_159:                            ;   in Loop: Header=BB235_10 Depth=1
	s_or_b64 exec, exec, s[36:37]
.LBB235_160:                            ;   in Loop: Header=BB235_10 Depth=1
	s_or_b64 exec, exec, s[34:35]
	global_load_ubyte v41, v[5:6], off offset:1544
	v_mov_b32_e32 v43, 0
	v_mov_b32_e32 v44, 0
	s_waitcnt vmcnt(0)
	v_cmp_ne_u16_e64 s[4:5], 0, v41
	s_and_saveexec_b64 s[34:35], s[4:5]
	s_cbranch_execz .LBB235_166
; %bb.161:                              ;   in Loop: Header=BB235_10 Depth=1
	v_cmp_ne_u16_e64 s[4:5], s42, v41
	v_bfrev_b32_e32 v44, 1
	s_and_saveexec_b64 s[36:37], s[4:5]
	s_cbranch_execz .LBB235_165
; %bb.162:                              ;   in Loop: Header=BB235_10 Depth=1
	v_and_b32_e32 v7, 0xffff, v41
	v_and_b32_e32 v42, 0x7f, v7
	v_cmp_ne_u32_e64 s[4:5], s43, v42
	v_mov_b32_e32 v44, 0x7f800001
	s_and_saveexec_b64 s[38:39], s[4:5]
	s_cbranch_execz .LBB235_164
; %bb.163:                              ;   in Loop: Header=BB235_10 Depth=1
	v_and_b32_e32 v44, 7, v7
	v_ffbh_u32_e32 v49, v44
	v_min_u32_e32 v52, 32, v49
	v_subrev_u32_e32 v49, 28, v52
	v_lshlrev_b64 v[49:50], v49, v[7:8]
	v_lshrrev_b32_e32 v51, 3, v42
	v_sub_u32_e32 v7, 29, v52
	v_and_b32_e32 v49, 7, v49
	v_cmp_gt_u32_e64 s[4:5], 8, v42
	v_cndmask_b32_e64 v7, v51, v7, s[4:5]
	v_cndmask_b32_e64 v42, v44, v49, s[4:5]
	v_lshlrev_b32_e32 v41, 24, v41
	v_lshlrev_b32_e32 v42, 20, v42
	v_and_b32_e32 v41, 0x80000000, v41
	v_lshl_add_u32 v7, v7, 23, v17
	v_or3_b32 v44, v41, v7, v42
.LBB235_164:                            ;   in Loop: Header=BB235_10 Depth=1
	s_or_b64 exec, exec, s[38:39]
.LBB235_165:                            ;   in Loop: Header=BB235_10 Depth=1
	s_or_b64 exec, exec, s[36:37]
.LBB235_166:                            ;   in Loop: Header=BB235_10 Depth=1
	s_or_b64 exec, exec, s[34:35]
	global_load_ubyte v41, v[5:6], off offset:1664
	s_waitcnt vmcnt(0)
	v_cmp_ne_u16_e64 s[4:5], 0, v41
	s_and_saveexec_b64 s[34:35], s[4:5]
	s_cbranch_execz .LBB235_172
; %bb.167:                              ;   in Loop: Header=BB235_10 Depth=1
	v_cmp_ne_u16_e64 s[4:5], s42, v41
	v_bfrev_b32_e32 v43, 1
	s_and_saveexec_b64 s[36:37], s[4:5]
	s_cbranch_execz .LBB235_171
; %bb.168:                              ;   in Loop: Header=BB235_10 Depth=1
	v_and_b32_e32 v7, 0xffff, v41
	v_and_b32_e32 v42, 0x7f, v7
	v_cmp_ne_u32_e64 s[4:5], s43, v42
	v_mov_b32_e32 v43, 0x7f800001
	s_and_saveexec_b64 s[38:39], s[4:5]
	s_cbranch_execz .LBB235_170
; %bb.169:                              ;   in Loop: Header=BB235_10 Depth=1
	v_and_b32_e32 v43, 7, v7
	v_ffbh_u32_e32 v49, v43
	v_min_u32_e32 v52, 32, v49
	v_subrev_u32_e32 v49, 28, v52
	v_lshlrev_b64 v[49:50], v49, v[7:8]
	v_lshrrev_b32_e32 v51, 3, v42
	v_sub_u32_e32 v7, 29, v52
	v_and_b32_e32 v49, 7, v49
	v_cmp_gt_u32_e64 s[4:5], 8, v42
	v_cndmask_b32_e64 v7, v51, v7, s[4:5]
	v_cndmask_b32_e64 v42, v43, v49, s[4:5]
	v_lshlrev_b32_e32 v41, 24, v41
	v_lshlrev_b32_e32 v42, 20, v42
	v_and_b32_e32 v41, 0x80000000, v41
	v_lshl_add_u32 v7, v7, 23, v17
	v_or3_b32 v43, v41, v7, v42
.LBB235_170:                            ;   in Loop: Header=BB235_10 Depth=1
	s_or_b64 exec, exec, s[38:39]
.LBB235_171:                            ;   in Loop: Header=BB235_10 Depth=1
	s_or_b64 exec, exec, s[36:37]
.LBB235_172:                            ;   in Loop: Header=BB235_10 Depth=1
	s_or_b64 exec, exec, s[34:35]
	global_load_ubyte v49, v[5:6], off offset:1672
	v_mov_b32_e32 v41, 0
	v_mov_b32_e32 v42, 0
	s_waitcnt vmcnt(0)
	v_cmp_ne_u16_e64 s[4:5], 0, v49
	s_and_saveexec_b64 s[34:35], s[4:5]
	s_cbranch_execz .LBB235_178
; %bb.173:                              ;   in Loop: Header=BB235_10 Depth=1
	v_cmp_ne_u16_e64 s[4:5], s42, v49
	v_bfrev_b32_e32 v42, 1
	s_and_saveexec_b64 s[36:37], s[4:5]
	s_cbranch_execz .LBB235_177
; %bb.174:                              ;   in Loop: Header=BB235_10 Depth=1
	v_and_b32_e32 v7, 0xffff, v49
	v_and_b32_e32 v50, 0x7f, v7
	v_cmp_ne_u32_e64 s[4:5], s43, v50
	v_mov_b32_e32 v42, 0x7f800001
	s_and_saveexec_b64 s[38:39], s[4:5]
	s_cbranch_execz .LBB235_176
; %bb.175:                              ;   in Loop: Header=BB235_10 Depth=1
	v_and_b32_e32 v42, 7, v7
	v_ffbh_u32_e32 v51, v42
	v_min_u32_e32 v54, 32, v51
	v_subrev_u32_e32 v51, 28, v54
	v_lshlrev_b64 v[51:52], v51, v[7:8]
	v_lshrrev_b32_e32 v53, 3, v50
	v_sub_u32_e32 v7, 29, v54
	v_and_b32_e32 v51, 7, v51
	v_cmp_gt_u32_e64 s[4:5], 8, v50
	v_cndmask_b32_e64 v7, v53, v7, s[4:5]
	v_cndmask_b32_e64 v42, v42, v51, s[4:5]
	v_lshlrev_b32_e32 v49, 24, v49
	v_lshlrev_b32_e32 v42, 20, v42
	v_and_b32_e32 v49, 0x80000000, v49
	v_lshl_add_u32 v7, v7, 23, v17
	v_or3_b32 v42, v49, v7, v42
.LBB235_176:                            ;   in Loop: Header=BB235_10 Depth=1
	s_or_b64 exec, exec, s[38:39]
.LBB235_177:                            ;   in Loop: Header=BB235_10 Depth=1
	s_or_b64 exec, exec, s[36:37]
.LBB235_178:                            ;   in Loop: Header=BB235_10 Depth=1
	s_or_b64 exec, exec, s[34:35]
	global_load_ubyte v49, v[5:6], off offset:1792
	s_waitcnt vmcnt(0)
	v_cmp_ne_u16_e64 s[4:5], 0, v49
	s_and_saveexec_b64 s[34:35], s[4:5]
	s_cbranch_execz .LBB235_184
; %bb.179:                              ;   in Loop: Header=BB235_10 Depth=1
	v_cmp_ne_u16_e64 s[4:5], s42, v49
	v_bfrev_b32_e32 v41, 1
	s_and_saveexec_b64 s[36:37], s[4:5]
	s_cbranch_execz .LBB235_183
; %bb.180:                              ;   in Loop: Header=BB235_10 Depth=1
	v_and_b32_e32 v7, 0xffff, v49
	v_and_b32_e32 v50, 0x7f, v7
	v_cmp_ne_u32_e64 s[4:5], s43, v50
	v_mov_b32_e32 v41, 0x7f800001
	s_and_saveexec_b64 s[38:39], s[4:5]
	s_cbranch_execz .LBB235_182
; %bb.181:                              ;   in Loop: Header=BB235_10 Depth=1
	v_and_b32_e32 v41, 7, v7
	v_ffbh_u32_e32 v51, v41
	v_min_u32_e32 v54, 32, v51
	v_subrev_u32_e32 v51, 28, v54
	v_lshlrev_b64 v[51:52], v51, v[7:8]
	v_lshrrev_b32_e32 v53, 3, v50
	v_sub_u32_e32 v7, 29, v54
	v_and_b32_e32 v51, 7, v51
	v_cmp_gt_u32_e64 s[4:5], 8, v50
	v_cndmask_b32_e64 v7, v53, v7, s[4:5]
	v_cndmask_b32_e64 v41, v41, v51, s[4:5]
	v_lshlrev_b32_e32 v49, 24, v49
	v_lshlrev_b32_e32 v41, 20, v41
	v_and_b32_e32 v49, 0x80000000, v49
	v_lshl_add_u32 v7, v7, 23, v17
	v_or3_b32 v41, v49, v7, v41
.LBB235_182:                            ;   in Loop: Header=BB235_10 Depth=1
	s_or_b64 exec, exec, s[38:39]
.LBB235_183:                            ;   in Loop: Header=BB235_10 Depth=1
	s_or_b64 exec, exec, s[36:37]
.LBB235_184:                            ;   in Loop: Header=BB235_10 Depth=1
	s_or_b64 exec, exec, s[34:35]
	global_load_ubyte v51, v[5:6], off offset:1800
	v_mov_b32_e32 v49, 0
	v_mov_b32_e32 v50, 0
	s_waitcnt vmcnt(0)
	v_cmp_ne_u16_e64 s[4:5], 0, v51
	s_and_saveexec_b64 s[34:35], s[4:5]
	s_cbranch_execz .LBB235_190
; %bb.185:                              ;   in Loop: Header=BB235_10 Depth=1
	v_cmp_ne_u16_e64 s[4:5], s42, v51
	v_bfrev_b32_e32 v50, 1
	s_and_saveexec_b64 s[36:37], s[4:5]
	s_cbranch_execz .LBB235_189
; %bb.186:                              ;   in Loop: Header=BB235_10 Depth=1
	v_and_b32_e32 v7, 0xffff, v51
	v_and_b32_e32 v52, 0x7f, v7
	v_cmp_ne_u32_e64 s[4:5], s43, v52
	v_mov_b32_e32 v50, 0x7f800001
	s_and_saveexec_b64 s[38:39], s[4:5]
	s_cbranch_execz .LBB235_188
; %bb.187:                              ;   in Loop: Header=BB235_10 Depth=1
	v_and_b32_e32 v50, 7, v7
	v_ffbh_u32_e32 v53, v50
	v_min_u32_e32 v56, 32, v53
	v_subrev_u32_e32 v53, 28, v56
	v_lshlrev_b64 v[53:54], v53, v[7:8]
	v_lshrrev_b32_e32 v55, 3, v52
	v_sub_u32_e32 v7, 29, v56
	v_and_b32_e32 v53, 7, v53
	v_cmp_gt_u32_e64 s[4:5], 8, v52
	v_cndmask_b32_e64 v7, v55, v7, s[4:5]
	v_cndmask_b32_e64 v50, v50, v53, s[4:5]
	v_lshlrev_b32_e32 v51, 24, v51
	v_lshlrev_b32_e32 v50, 20, v50
	v_and_b32_e32 v51, 0x80000000, v51
	v_lshl_add_u32 v7, v7, 23, v17
	v_or3_b32 v50, v51, v7, v50
.LBB235_188:                            ;   in Loop: Header=BB235_10 Depth=1
	s_or_b64 exec, exec, s[38:39]
.LBB235_189:                            ;   in Loop: Header=BB235_10 Depth=1
	s_or_b64 exec, exec, s[36:37]
.LBB235_190:                            ;   in Loop: Header=BB235_10 Depth=1
	s_or_b64 exec, exec, s[34:35]
	global_load_ubyte v51, v[5:6], off offset:1920
	s_waitcnt vmcnt(0)
	v_cmp_ne_u16_e64 s[4:5], 0, v51
	s_and_saveexec_b64 s[34:35], s[4:5]
	s_cbranch_execz .LBB235_196
; %bb.191:                              ;   in Loop: Header=BB235_10 Depth=1
	v_cmp_ne_u16_e64 s[4:5], s42, v51
	v_bfrev_b32_e32 v49, 1
	s_and_saveexec_b64 s[36:37], s[4:5]
	s_cbranch_execz .LBB235_195
; %bb.192:                              ;   in Loop: Header=BB235_10 Depth=1
	v_and_b32_e32 v7, 0xffff, v51
	v_and_b32_e32 v52, 0x7f, v7
	v_cmp_ne_u32_e64 s[4:5], s43, v52
	v_mov_b32_e32 v49, 0x7f800001
	s_and_saveexec_b64 s[38:39], s[4:5]
	s_cbranch_execz .LBB235_194
; %bb.193:                              ;   in Loop: Header=BB235_10 Depth=1
	v_and_b32_e32 v49, 7, v7
	v_ffbh_u32_e32 v53, v49
	v_min_u32_e32 v56, 32, v53
	v_subrev_u32_e32 v53, 28, v56
	v_lshlrev_b64 v[53:54], v53, v[7:8]
	v_lshrrev_b32_e32 v55, 3, v52
	v_sub_u32_e32 v7, 29, v56
	v_and_b32_e32 v53, 7, v53
	v_cmp_gt_u32_e64 s[4:5], 8, v52
	v_cndmask_b32_e64 v7, v55, v7, s[4:5]
	v_cndmask_b32_e64 v49, v49, v53, s[4:5]
	v_lshlrev_b32_e32 v51, 24, v51
	v_lshlrev_b32_e32 v49, 20, v49
	v_and_b32_e32 v51, 0x80000000, v51
	v_lshl_add_u32 v7, v7, 23, v17
	v_or3_b32 v49, v51, v7, v49
.LBB235_194:                            ;   in Loop: Header=BB235_10 Depth=1
	s_or_b64 exec, exec, s[38:39]
.LBB235_195:                            ;   in Loop: Header=BB235_10 Depth=1
	s_or_b64 exec, exec, s[36:37]
.LBB235_196:                            ;   in Loop: Header=BB235_10 Depth=1
	s_or_b64 exec, exec, s[34:35]
	global_load_ubyte v7, v[5:6], off offset:1928
	v_mov_b32_e32 v6, 0
	s_waitcnt vmcnt(0)
	v_cmp_ne_u16_e64 s[4:5], 0, v7
	s_and_saveexec_b64 s[34:35], s[4:5]
	s_cbranch_execz .LBB235_202
; %bb.197:                              ;   in Loop: Header=BB235_10 Depth=1
	v_cmp_ne_u16_e64 s[4:5], s42, v7
	v_bfrev_b32_e32 v6, 1
	s_and_saveexec_b64 s[36:37], s[4:5]
	s_cbranch_execz .LBB235_201
; %bb.198:                              ;   in Loop: Header=BB235_10 Depth=1
	v_and_b32_e32 v5, 0xffff, v7
	v_and_b32_e32 v51, 0x7f, v5
	v_cmp_ne_u32_e64 s[4:5], s43, v51
	v_mov_b32_e32 v6, 0x7f800001
	s_and_saveexec_b64 s[38:39], s[4:5]
	s_cbranch_execz .LBB235_200
; %bb.199:                              ;   in Loop: Header=BB235_10 Depth=1
	v_and_b32_e32 v52, 7, v5
	v_ffbh_u32_e32 v6, v52
	v_min_u32_e32 v54, 32, v6
	v_subrev_u32_e32 v6, 28, v54
	v_lshlrev_b64 v[5:6], v6, v[5:6]
	v_lshrrev_b32_e32 v53, 3, v51
	v_sub_u32_e32 v6, 29, v54
	v_and_b32_e32 v5, 7, v5
	v_cmp_gt_u32_e64 s[4:5], 8, v51
	v_cndmask_b32_e64 v6, v53, v6, s[4:5]
	v_cndmask_b32_e64 v5, v52, v5, s[4:5]
	v_lshlrev_b32_e32 v7, 24, v7
	v_lshlrev_b32_e32 v5, 20, v5
	v_and_b32_e32 v7, 0x80000000, v7
	v_lshl_add_u32 v6, v6, 23, v17
	v_or3_b32 v6, v7, v6, v5
.LBB235_200:                            ;   in Loop: Header=BB235_10 Depth=1
	s_or_b64 exec, exec, s[38:39]
.LBB235_201:                            ;   in Loop: Header=BB235_10 Depth=1
	s_or_b64 exec, exec, s[36:37]
.LBB235_202:                            ;   in Loop: Header=BB235_10 Depth=1
	s_or_b64 exec, exec, s[34:35]
	v_fma_mixlo_f16 v5, v19, v49, 0
	v_fma_mixlo_f16 v7, v19, v50, 0
	;; [unrolled: 1-line block ×32, first 2 shown]
	ds_read_u16 v19, v14
	s_waitcnt lgkmcnt(0)
	;;#ASMSTART
	v_cvt_f32_f16 v49, v19;
	;;#ASMEND
	v_and_b32_e32 v19, 0xffff, v20
	;;#ASMSTART
	v_cvt_f32_f16 v20, v19;
	;;#ASMEND
	ds_read_u16 v19, v14 offset:2
	s_waitcnt lgkmcnt(0)
	;;#ASMSTART
	v_cvt_f32_f16 v19, v19;
	;;#ASMEND
	v_and_b32_e32 v22, 0xffff, v22
	;;#ASMSTART
	v_cvt_f32_f16 v22, v22;
	;;#ASMEND
	v_mul_f32_e32 v19, v19, v22
	v_fmac_f32_e32 v19, v49, v20
	ds_read_u16 v20, v14 offset:4
	s_waitcnt lgkmcnt(0)
	;;#ASMSTART
	v_cvt_f32_f16 v20, v20;
	;;#ASMEND
	v_and_b32_e32 v21, 0xffff, v21
	;;#ASMSTART
	v_cvt_f32_f16 v21, v21;
	;;#ASMEND
	v_fmac_f32_e32 v19, v20, v21
	ds_read_u16 v20, v14 offset:6
	s_waitcnt lgkmcnt(0)
	;;#ASMSTART
	v_cvt_f32_f16 v20, v20;
	;;#ASMEND
	v_and_b32_e32 v21, 0xffff, v24
	;;#ASMSTART
	v_cvt_f32_f16 v21, v21;
	;;#ASMEND
	;; [unrolled: 10-line block ×27, first 2 shown]
	v_fmac_f32_e32 v19, v20, v21
	ds_read_u16 v20, v14 offset:58
	v_and_b32_e32 v7, 0xffff, v7
	s_waitcnt lgkmcnt(0)
	;;#ASMSTART
	v_cvt_f32_f16 v20, v20;
	;;#ASMEND
	;;#ASMSTART
	v_cvt_f32_f16 v7, v7;
	;;#ASMEND
	v_fmac_f32_e32 v19, v20, v7
	ds_read_u16 v7, v14 offset:60
	v_and_b32_e32 v5, 0xffff, v5
	s_waitcnt lgkmcnt(0)
	;;#ASMSTART
	v_cvt_f32_f16 v7, v7;
	;;#ASMEND
	;;#ASMSTART
	v_cvt_f32_f16 v5, v5;
	;;#ASMEND
	;; [unrolled: 10-line block ×3, first 2 shown]
	v_fmac_f32_e32 v19, v5, v6
	v_and_b32_e32 v6, 64, v9
	v_add_u32_e32 v5, 64, v6
	v_xor_b32_e32 v7, 4, v9
	v_cmp_lt_i32_e64 s[4:5], v7, v5
	v_cndmask_b32_e64 v7, v9, v7, s[4:5]
	v_lshlrev_b32_e32 v7, 2, v7
	ds_bpermute_b32 v7, v7, v19
	s_waitcnt lgkmcnt(0)
	v_add_f32_e32 v7, v19, v7
	v_xor_b32_e32 v19, 2, v9
	v_cmp_lt_i32_e64 s[4:5], v19, v5
	v_cndmask_b32_e64 v19, v9, v19, s[4:5]
	v_lshlrev_b32_e32 v19, 2, v19
	ds_bpermute_b32 v19, v19, v7
	s_waitcnt lgkmcnt(0)
	v_add_f32_e32 v7, v7, v19
	v_xor_b32_e32 v19, 1, v9
	v_cmp_lt_i32_e64 s[4:5], v19, v5
	v_cndmask_b32_e64 v19, v9, v19, s[4:5]
	v_lshlrev_b32_e32 v19, 2, v19
	ds_bpermute_b32 v19, v19, v7
	s_and_saveexec_b64 s[34:35], vcc
	s_cbranch_execz .LBB235_9
; %bb.203:                              ;   in Loop: Header=BB235_10 Depth=1
	v_add_u32_e32 v20, s41, v15
	v_cvt_f32_i32_e32 v20, v20
	s_waitcnt lgkmcnt(0)
	v_add_f32_e32 v7, v7, v19
	v_cmp_gt_i32_e64 s[4:5], s30, v15
	v_max_f32_e32 v19, v10, v10
	v_mul_f32_e32 v20, s33, v20
	v_cndmask_b32_e64 v20, 0, v20, s[2:3]
	v_fmac_f32_e32 v20, s31, v7
	v_cndmask_b32_e64 v7, 0, v20, s[4:5]
	ds_write_b32 v16, v7
	v_max_f32_e32 v7, v19, v20
	v_cndmask_b32_e64 v10, v10, v7, s[4:5]
	s_branch .LBB235_9
.LBB235_204:
	s_or_b64 exec, exec, s[18:19]
.LBB235_205:
	s_or_b64 exec, exec, s[6:7]
	v_xor_b32_e32 v1, 32, v9
	v_cmp_lt_i32_e32 vcc, v1, v5
	v_cndmask_b32_e32 v1, v9, v1, vcc
	v_lshlrev_b32_e32 v2, 2, v1
	ds_bpermute_b32 v1, v2, v10
	v_xor_b32_e32 v4, 16, v9
	v_max_f32_e32 v3, v10, v10
	v_cmp_lt_i32_e32 vcc, v4, v5
	v_xor_b32_e32 v7, 8, v9
	s_waitcnt lgkmcnt(0)
	v_max_f32_e32 v1, v1, v1
	v_max_f32_e32 v1, v3, v1
	v_cndmask_b32_e32 v3, v9, v4, vcc
	v_lshlrev_b32_e32 v4, 2, v3
	ds_bpermute_b32 v3, v4, v1
	v_cmp_lt_i32_e32 vcc, v7, v5
	v_and_b32_e32 v13, 63, v0
	s_waitcnt lgkmcnt(0)
	v_max_f32_e32 v3, v3, v3
	v_max_f32_e32 v3, v1, v3
	v_cndmask_b32_e32 v1, v9, v7, vcc
	v_lshlrev_b32_e32 v10, 2, v1
	ds_bpermute_b32 v7, v10, v3
	v_cmp_eq_u32_e32 vcc, 0, v13
	v_lshlrev_b32_e32 v1, 2, v12
	s_and_saveexec_b64 s[2:3], vcc
	s_cbranch_execz .LBB235_207
; %bb.206:
	s_waitcnt lgkmcnt(0)
	v_max_f32_e32 v7, v7, v7
	v_max_f32_e32 v3, v3, v3
	;; [unrolled: 1-line block ×3, first 2 shown]
	ds_write_b32 v1, v3 offset:512
.LBB235_207:
	s_or_b64 exec, exec, s[2:3]
	v_cmp_gt_u32_e64 s[2:3], 2, v13
	v_mov_b32_e32 v14, 0xff7fffff
	v_lshlrev_b32_e32 v3, 2, v13
	s_waitcnt lgkmcnt(0)
	s_barrier
	s_and_saveexec_b64 s[4:5], s[2:3]
; %bb.208:
	ds_read_b32 v14, v3 offset:512
; %bb.209:
	s_or_b64 exec, exec, s[4:5]
	v_xor_b32_e32 v7, 1, v9
	v_cmp_lt_i32_e64 s[4:5], v7, v5
	v_cndmask_b32_e64 v7, v9, v7, s[4:5]
	v_lshlrev_b32_e32 v7, 2, v7
	s_waitcnt lgkmcnt(0)
	ds_bpermute_b32 v15, v7, v14
	v_max_f32_e32 v14, v14, v14
	v_lshlrev_b32_e32 v6, 2, v6
	s_lshl_b32 s4, s21, 3
	s_min_i32 s31, s4, s30
	s_waitcnt lgkmcnt(0)
	v_max_f32_e32 v15, v15, v15
	v_max_f32_e32 v14, v14, v15
	ds_bpermute_b32 v14, v6, v14
	v_cmp_gt_i32_e64 s[4:5], s31, v0
	v_mov_b32_e32 v6, 0
	s_and_saveexec_b64 s[12:13], s[4:5]
	s_cbranch_execz .LBB235_213
; %bb.210:
	v_mov_b32_e32 v6, 0x210
	v_lshl_add_u32 v15, v0, 2, v6
	v_mov_b32_e32 v6, 0
	s_mov_b64 s[18:19], 0
	v_mov_b32_e32 v16, v0
.LBB235_211:                            ; =>This Inner Loop Header: Depth=1
	ds_read_b32 v17, v15
	v_add_u32_e32 v16, 0x80, v16
	v_cmp_le_i32_e64 s[6:7], s31, v16
	s_or_b64 s[18:19], s[6:7], s[18:19]
	s_waitcnt lgkmcnt(0)
	v_sub_f32_e32 v17, v17, v14
	v_mul_f32_e32 v17, 0x3fb8aa3b, v17
	v_exp_f32_e32 v17, v17
	ds_write_b32 v15, v17
	v_add_f32_e32 v6, v6, v17
	v_add_u32_e32 v15, 0x200, v15
	s_andn2_b64 exec, exec, s[18:19]
	s_cbranch_execnz .LBB235_211
; %bb.212:
	s_or_b64 exec, exec, s[18:19]
.LBB235_213:
	s_or_b64 exec, exec, s[12:13]
	ds_bpermute_b32 v2, v2, v6
	s_waitcnt lgkmcnt(0)
	v_add_f32_e32 v2, v6, v2
	ds_bpermute_b32 v4, v4, v2
	v_xor_b32_e32 v6, 4, v9
	v_cmp_lt_i32_e64 s[6:7], v6, v5
	v_cndmask_b32_e64 v6, v9, v6, s[6:7]
	v_lshlrev_b32_e32 v6, 2, v6
	s_waitcnt lgkmcnt(0)
	v_add_f32_e32 v2, v2, v4
	ds_bpermute_b32 v4, v10, v2
	s_waitcnt lgkmcnt(0)
	v_add_f32_e32 v2, v2, v4
	ds_bpermute_b32 v4, v6, v2
	v_xor_b32_e32 v6, 2, v9
	v_cmp_lt_i32_e64 s[6:7], v6, v5
	v_cndmask_b32_e64 v5, v9, v6, s[6:7]
	s_waitcnt lgkmcnt(0)
	v_add_f32_e32 v2, v2, v4
	v_lshlrev_b32_e32 v4, 2, v5
	ds_bpermute_b32 v4, v4, v2
	s_waitcnt lgkmcnt(0)
	v_add_f32_e32 v2, v2, v4
	ds_bpermute_b32 v4, v7, v2
	s_waitcnt lgkmcnt(0)
	v_add_f32_e32 v2, v2, v4
	s_and_saveexec_b64 s[6:7], vcc
; %bb.214:
	ds_write_b32 v1, v2 offset:520
; %bb.215:
	s_or_b64 exec, exec, s[6:7]
	s_waitcnt lgkmcnt(0)
	s_barrier
	s_and_saveexec_b64 s[6:7], s[2:3]
; %bb.216:
	ds_read_b32 v2, v3 offset:520
; %bb.217:
	s_or_b64 exec, exec, s[6:7]
	s_waitcnt lgkmcnt(0)
	ds_bpermute_b32 v1, v7, v2
	v_lshlrev_b32_e32 v3, 2, v9
	s_waitcnt lgkmcnt(0)
	v_add_f32_e32 v1, v2, v1
	v_and_b32_e32 v2, 0xffffff00, v3
	ds_bpermute_b32 v1, v2, v1
	s_and_saveexec_b64 s[2:3], s[4:5]
	s_cbranch_execz .LBB235_220
; %bb.218:
	s_waitcnt lgkmcnt(0)
	v_add_f32_e32 v2, 0x358637bd, v1
	v_div_scale_f32 v1, s[4:5], v2, v2, 1.0
	v_div_scale_f32 v3, vcc, 1.0, v2, 1.0
	s_mov_b64 s[4:5], 0
	v_rcp_f32_e32 v4, v1
	v_fma_f32 v5, -v1, v4, 1.0
	v_fmac_f32_e32 v4, v5, v4
	v_mul_f32_e32 v5, v3, v4
	v_fma_f32 v6, -v1, v5, v3
	v_fmac_f32_e32 v5, v6, v4
	v_fma_f32 v1, -v1, v5, v3
	v_div_fmas_f32 v3, v1, v4, v5
	v_mov_b32_e32 v1, 0x210
	v_lshl_add_u32 v1, v0, 2, v1
	v_div_fixup_f32 v2, v3, v2, 1.0
	v_mov_b32_e32 v3, v0
.LBB235_219:                            ; =>This Inner Loop Header: Depth=1
	ds_read_b32 v4, v1
	v_add_u32_e32 v3, 0x80, v3
	v_cmp_le_i32_e32 vcc, s31, v3
	s_or_b64 s[4:5], vcc, s[4:5]
	s_waitcnt lgkmcnt(0)
	v_mul_f32_e32 v4, v2, v4
	ds_write_b32 v1, v4
	v_add_u32_e32 v1, 0x200, v1
	s_andn2_b64 exec, exec, s[4:5]
	s_cbranch_execnz .LBB235_219
.LBB235_220:
	s_or_b64 exec, exec, s[2:3]
	v_mov_b32_e32 v17, 0
	v_mov_b32_e32 v16, 0
	v_mov_b32_e32 v15, 0
	v_mov_b32_e32 v14, 0
	s_waitcnt lgkmcnt(0)
	s_barrier
	s_and_saveexec_b64 s[2:3], s[0:1]
	s_cbranch_execz .LBB235_424
; %bb.221:
	s_ashr_i32 s0, s16, 31
	s_add_u32 s1, s28, s16
	s_addc_u32 s0, s29, s0
	v_lshlrev_b32_e32 v1, 3, v13
	s_add_i32 s28, s21, -1
	v_mov_b32_e32 v4, s0
	v_add_co_u32_e32 v3, vcc, s1, v1
	s_lshl_b64 s[0:1], s[26:27], 2
	v_mov_b32_e32 v1, 0x210
	s_add_u32 s0, s24, s0
	v_addc_co_u32_e32 v4, vcc, 0, v4, vcc
	v_lshl_add_u32 v19, v12, 5, v1
	v_and_b32_e32 v1, 60, v8
	s_addc_u32 s1, s25, s1
	s_mov_b32 s4, -1
	v_mov_b32_e32 v6, s1
	v_add_co_u32_e32 v5, vcc, s0, v1
	s_mov_b32 s31, s17
	s_mov_b32 s5, 0xffffff
	v_mov_b32_e32 v2, 0
	v_lshl_or_b32 v18, v12, 3, 7
	v_addc_co_u32_e32 v6, vcc, 0, v6, vcc
	s_mov_b64 s[6:7], 0
	s_movk_i32 s24, 0x80
	s_movk_i32 s25, 0x7f
	s_mov_b32 s26, 0x8000
	v_mov_b32_e32 v20, 0x2000
	v_mov_b32_e32 v14, 0
	;; [unrolled: 1-line block ×5, first 2 shown]
	s_branch .LBB235_223
.LBB235_222:                            ;   in Loop: Header=BB235_223 Depth=1
	s_or_b64 exec, exec, s[0:1]
	v_add_f32_e32 v9, v9, v10
	v_add_f32_e32 v15, v15, v9
	;; [unrolled: 1-line block ×5, first 2 shown]
	;;#ASMSTART
	v_pk_mul_f16 v7, v28, v7;

	;;#ASMEND
	;;#ASMSTART
	v_pk_mul_f16 v1, v29, v1;

	;;#ASMEND
	v_add_f32_e32 v17, v17, v9
	;;#ASMSTART
	v_pk_mul_f16 v8, v30, v8;

	;;#ASMEND
	;;#ASMSTART
	v_pk_mul_f16 v9, v31, v36;

	;;#ASMEND
	;;#ASMSTART
	v_pk_add_f16 v1, v7, v1;

	;;#ASMEND
	;;#ASMSTART
	v_pk_add_f16 v1, v1, v8;
	;; [unrolled: 4-line block ×3, first 2 shown]

	;;#ASMEND
	v_lshrrev_b32_e32 v7, 16, v1
	v_and_b32_e32 v1, 0xffff, v1
	v_add_u32_e32 v12, 2, v12
	;;#ASMSTART
	v_cvt_f32_f16 v1, v1;
	;;#ASMEND
	v_cmp_le_i32_e32 vcc, s21, v12
	;;#ASMSTART
	v_cvt_f32_f16 v7, v7;
	;;#ASMEND
	v_add_f32_e32 v1, v1, v7
	s_or_b64 s[6:7], vcc, s[6:7]
	v_add_co_u32_e32 v5, vcc, 8, v5
	v_add_f32_e32 v14, v14, v1
	v_add_u32_e32 v18, 16, v18
	v_add_u32_e32 v19, 64, v19
	v_addc_co_u32_e32 v6, vcc, 0, v6, vcc
	s_andn2_b64 exec, exec, s[6:7]
	s_cbranch_execz .LBB235_423
.LBB235_223:                            ; =>This Inner Loop Header: Depth=1
	global_load_dword v1, v[5:6], off
	ds_read2_b64 v[7:10], v19 offset1:1
	ds_read2_b64 v[21:24], v19 offset0:2 offset1:3
	s_waitcnt lgkmcnt(1)
	;;#ASMSTART
	v_cvt_f16_f32 v28, v7;

	;;#ASMEND
	;;#ASMSTART
	v_cvt_f16_f32 v29, v8;

	;;#ASMEND
	;; [unrolled: 4-line block ×4, first 2 shown]
	s_waitcnt lgkmcnt(0)
	;;#ASMSTART
	v_cvt_f16_f32 v32, v21;

	;;#ASMEND
	;;#ASMSTART
	v_cvt_f16_f32 v33, v22;

	;;#ASMEND
	;; [unrolled: 4-line block ×4, first 2 shown]
	v_mov_b32_e32 v23, 0
	s_waitcnt vmcnt(0)
	v_mad_i64_i32 v[7:8], s[0:1], v1, s31, v[3:4]
	global_load_dwordx2 v[9:10], v[7:8], off
	global_load_dword v22, v2, s[14:15]
	s_waitcnt vmcnt(1)
	v_cmp_ne_u16_sdwa s[12:13], v9, v2 src0_sel:BYTE_0 src1_sel:DWORD
	s_and_saveexec_b64 s[0:1], s[12:13]
	s_cbranch_execz .LBB235_229
; %bb.224:                              ;   in Loop: Header=BB235_223 Depth=1
	v_cmp_ne_u16_sdwa s[16:17], v9, s24 src0_sel:BYTE_0 src1_sel:DWORD
	v_mov_b32_e32 v23, 0x8000
	s_and_saveexec_b64 s[12:13], s[16:17]
	s_cbranch_execz .LBB235_228
; %bb.225:                              ;   in Loop: Header=BB235_223 Depth=1
	v_and_b32_e32 v1, 0x7f, v9
	v_cmp_ne_u32_e32 vcc, s25, v1
	v_mov_b32_e32 v23, 0x7c01
	s_and_saveexec_b64 s[16:17], vcc
	s_cbranch_execz .LBB235_227
; %bb.226:                              ;   in Loop: Header=BB235_223 Depth=1
	v_and_b32_e32 v21, 7, v9
	v_ffbh_u32_e32 v23, v21
	v_min_u32_e32 v26, 32, v23
	v_subrev_u32_e32 v23, 28, v26
	v_lshlrev_b64 v[23:24], v23, v[9:10]
	v_lshrrev_b32_e32 v25, 3, v1
	v_sub_u32_e32 v24, 29, v26
	v_cmp_gt_u32_e32 vcc, 8, v1
	v_cndmask_b32_e32 v1, v25, v24, vcc
	v_lshl_add_u32 v1, v1, 10, v20
	v_lshlrev_b32_e32 v24, 8, v9
	v_and_b32_e32 v23, 7, v23
	v_and_b32_e32 v1, 0xfc00, v1
	v_cndmask_b32_e32 v21, v21, v23, vcc
	v_and_or_b32 v1, v24, s26, v1
	v_lshl_or_b32 v23, v21, 7, v1
.LBB235_227:                            ;   in Loop: Header=BB235_223 Depth=1
	s_or_b64 exec, exec, s[16:17]
.LBB235_228:                            ;   in Loop: Header=BB235_223 Depth=1
	s_or_b64 exec, exec, s[12:13]
.LBB235_229:                            ;   in Loop: Header=BB235_223 Depth=1
	s_or_b64 exec, exec, s[0:1]
	v_lshrrev_b16_e32 v1, 8, v9
	v_cmp_ne_u16_e32 vcc, 0, v1
	v_mov_b32_e32 v25, 0
	v_mov_b32_e32 v24, 0
	s_and_saveexec_b64 s[0:1], vcc
	s_cbranch_execz .LBB235_235
; %bb.230:                              ;   in Loop: Header=BB235_223 Depth=1
	v_cmp_ne_u16_e32 vcc, s24, v1
	v_bfrev_b32_e32 v24, 1
	s_and_saveexec_b64 s[12:13], vcc
	s_cbranch_execz .LBB235_234
; %bb.231:                              ;   in Loop: Header=BB235_223 Depth=1
	v_and_b32_e32 v21, 0x7f, v1
	v_cmp_ne_u32_e32 vcc, s25, v21
	v_mov_b32_e32 v24, 0x7c010000
	s_and_saveexec_b64 s[16:17], vcc
	s_cbranch_execz .LBB235_233
; %bb.232:                              ;   in Loop: Header=BB235_223 Depth=1
	v_and_b32_e32 v24, 7, v1
	v_ffbh_u32_e32 v26, v24
	v_min_u32_e32 v37, 32, v26
	v_subrev_u32_e32 v26, 28, v37
	v_lshlrev_b64 v[26:27], v26, v[1:2]
	v_lshrrev_b32_e32 v36, 3, v21
	v_sub_u32_e32 v27, 29, v37
	v_cmp_gt_u32_e32 vcc, 8, v21
	v_cndmask_b32_e32 v21, v36, v27, vcc
	v_lshlrev_b32_e32 v1, 8, v1
	v_lshl_add_u32 v21, v21, 10, v20
	v_and_b32_e32 v26, 7, v26
	v_and_or_b32 v1, v1, s26, v21
	v_cndmask_b32_e32 v24, v24, v26, vcc
	v_lshlrev_b32_e32 v1, 16, v1
	v_lshl_or_b32 v24, v24, 23, v1
.LBB235_233:                            ;   in Loop: Header=BB235_223 Depth=1
	s_or_b64 exec, exec, s[16:17]
.LBB235_234:                            ;   in Loop: Header=BB235_223 Depth=1
	s_or_b64 exec, exec, s[12:13]
.LBB235_235:                            ;   in Loop: Header=BB235_223 Depth=1
	s_or_b64 exec, exec, s[0:1]
	v_lshrrev_b32_e32 v1, 16, v9
	v_cmp_ne_u16_sdwa s[12:13], v1, v2 src0_sel:BYTE_0 src1_sel:DWORD
	s_and_saveexec_b64 s[0:1], s[12:13]
	s_cbranch_execz .LBB235_241
; %bb.236:                              ;   in Loop: Header=BB235_223 Depth=1
	v_cmp_ne_u16_sdwa s[16:17], v1, s24 src0_sel:BYTE_0 src1_sel:DWORD
	v_mov_b32_e32 v25, 0x8000
	s_and_saveexec_b64 s[12:13], s[16:17]
	s_cbranch_execz .LBB235_240
; %bb.237:                              ;   in Loop: Header=BB235_223 Depth=1
	v_bfe_u32 v21, v9, 16, 7
	v_cmp_ne_u32_e32 vcc, s25, v21
	v_mov_b32_e32 v25, 0x7c01
	s_and_saveexec_b64 s[16:17], vcc
	s_cbranch_execz .LBB235_239
; %bb.238:                              ;   in Loop: Header=BB235_223 Depth=1
	v_and_b32_e32 v27, 7, v1
	v_ffbh_u32_e32 v25, v27
	v_min_u32_e32 v37, 32, v25
	v_subrev_u32_e32 v25, 28, v37
	v_lshlrev_b64 v[25:26], v25, v[1:2]
	v_lshrrev_b32_e32 v36, 3, v21
	v_sub_u32_e32 v26, 29, v37
	v_cmp_gt_u32_e32 vcc, 8, v21
	v_cndmask_b32_e32 v21, v36, v26, vcc
	v_lshl_add_u32 v21, v21, 10, v20
	v_lshlrev_b32_e32 v1, 8, v1
	v_and_b32_e32 v25, 7, v25
	v_and_b32_e32 v21, 0xfc00, v21
	v_cndmask_b32_e32 v25, v27, v25, vcc
	v_and_or_b32 v1, v1, s26, v21
	v_lshl_or_b32 v25, v25, 7, v1
.LBB235_239:                            ;   in Loop: Header=BB235_223 Depth=1
	s_or_b64 exec, exec, s[16:17]
.LBB235_240:                            ;   in Loop: Header=BB235_223 Depth=1
	s_or_b64 exec, exec, s[12:13]
.LBB235_241:                            ;   in Loop: Header=BB235_223 Depth=1
	s_or_b64 exec, exec, s[0:1]
	v_cmp_lt_u32_e32 vcc, s5, v9
	v_mov_b32_e32 v26, 0
	v_mov_b32_e32 v27, 0
	s_and_saveexec_b64 s[0:1], vcc
	s_cbranch_execz .LBB235_247
; %bb.242:                              ;   in Loop: Header=BB235_223 Depth=1
	v_lshrrev_b32_e32 v1, 24, v9
	v_cmp_ne_u32_e32 vcc, s24, v1
	v_bfrev_b32_e32 v27, 1
	s_and_saveexec_b64 s[12:13], vcc
	s_cbranch_execz .LBB235_246
; %bb.243:                              ;   in Loop: Header=BB235_223 Depth=1
	v_and_b32_e32 v21, 0x7f, v1
	v_cmp_ne_u32_e32 vcc, s25, v21
	v_mov_b32_e32 v27, 0x7c010000
	s_and_saveexec_b64 s[16:17], vcc
	s_cbranch_execz .LBB235_245
; %bb.244:                              ;   in Loop: Header=BB235_223 Depth=1
	v_and_b32_e32 v27, 7, v1
	v_ffbh_u32_e32 v36, v27
	v_min_u32_e32 v39, 32, v36
	v_subrev_u32_e32 v36, 28, v39
	v_lshlrev_b64 v[36:37], v36, v[1:2]
	v_lshrrev_b32_e32 v38, 3, v21
	v_sub_u32_e32 v37, 29, v39
	v_cmp_gt_u32_e32 vcc, 8, v21
	v_cndmask_b32_e32 v21, v38, v37, vcc
	v_lshlrev_b32_e32 v1, 8, v1
	v_lshl_add_u32 v21, v21, 10, v20
	v_and_b32_e32 v36, 7, v36
	v_and_or_b32 v1, v1, s26, v21
	v_cndmask_b32_e32 v27, v27, v36, vcc
	v_lshlrev_b32_e32 v1, 16, v1
	v_lshl_or_b32 v27, v27, 23, v1
.LBB235_245:                            ;   in Loop: Header=BB235_223 Depth=1
	s_or_b64 exec, exec, s[16:17]
.LBB235_246:                            ;   in Loop: Header=BB235_223 Depth=1
	s_or_b64 exec, exec, s[12:13]
.LBB235_247:                            ;   in Loop: Header=BB235_223 Depth=1
	s_or_b64 exec, exec, s[0:1]
	v_mov_b32_e32 v1, v10
	v_cmp_ne_u16_sdwa s[12:13], v10, v2 src0_sel:BYTE_0 src1_sel:DWORD
	s_and_saveexec_b64 s[0:1], s[12:13]
	s_cbranch_execz .LBB235_253
; %bb.248:                              ;   in Loop: Header=BB235_223 Depth=1
	v_cmp_ne_u16_sdwa s[16:17], v10, s24 src0_sel:BYTE_0 src1_sel:DWORD
	v_mov_b32_e32 v26, 0x8000
	s_and_saveexec_b64 s[12:13], s[16:17]
	s_cbranch_execz .LBB235_252
; %bb.249:                              ;   in Loop: Header=BB235_223 Depth=1
	v_and_b32_e32 v21, 0x7f, v10
	v_cmp_ne_u32_e32 vcc, s25, v21
	v_mov_b32_e32 v26, 0x7c01
	s_and_saveexec_b64 s[16:17], vcc
	s_cbranch_execz .LBB235_251
; %bb.250:                              ;   in Loop: Header=BB235_223 Depth=1
	v_and_b32_e32 v26, 7, v10
	v_ffbh_u32_e32 v36, v26
	v_min_u32_e32 v39, 32, v36
	v_subrev_u32_e32 v36, 28, v39
	v_lshlrev_b64 v[36:37], v36, v[1:2]
	v_lshrrev_b32_e32 v38, 3, v21
	v_sub_u32_e32 v37, 29, v39
	v_cmp_gt_u32_e32 vcc, 8, v21
	v_cndmask_b32_e32 v21, v38, v37, vcc
	v_lshl_add_u32 v21, v21, 10, v20
	v_lshlrev_b32_e32 v37, 8, v10
	v_and_b32_e32 v36, 7, v36
	v_and_b32_e32 v21, 0xfc00, v21
	v_cndmask_b32_e32 v26, v26, v36, vcc
	v_and_or_b32 v21, v37, s26, v21
	v_lshl_or_b32 v26, v26, 7, v21
.LBB235_251:                            ;   in Loop: Header=BB235_223 Depth=1
	s_or_b64 exec, exec, s[16:17]
.LBB235_252:                            ;   in Loop: Header=BB235_223 Depth=1
	s_or_b64 exec, exec, s[12:13]
.LBB235_253:                            ;   in Loop: Header=BB235_223 Depth=1
	s_or_b64 exec, exec, s[0:1]
	v_lshrrev_b16_e32 v1, 8, v1
	v_cmp_ne_u16_e32 vcc, 0, v1
	v_mov_b32_e32 v36, 0
	v_mov_b32_e32 v37, 0
	s_and_saveexec_b64 s[0:1], vcc
	s_cbranch_execz .LBB235_259
; %bb.254:                              ;   in Loop: Header=BB235_223 Depth=1
	v_cmp_ne_u16_e32 vcc, s24, v1
	v_bfrev_b32_e32 v37, 1
	s_and_saveexec_b64 s[12:13], vcc
	s_cbranch_execz .LBB235_258
; %bb.255:                              ;   in Loop: Header=BB235_223 Depth=1
	v_and_b32_e32 v21, 0x7f, v1
	v_cmp_ne_u32_e32 vcc, s25, v21
	v_mov_b32_e32 v37, 0x7c010000
	s_and_saveexec_b64 s[16:17], vcc
	s_cbranch_execz .LBB235_257
; %bb.256:                              ;   in Loop: Header=BB235_223 Depth=1
	v_and_b32_e32 v39, 7, v1
	v_ffbh_u32_e32 v37, v39
	v_min_u32_e32 v41, 32, v37
	v_subrev_u32_e32 v37, 28, v41
	v_lshlrev_b64 v[37:38], v37, v[1:2]
	v_lshrrev_b32_e32 v40, 3, v21
	v_sub_u32_e32 v38, 29, v41
	v_cmp_gt_u32_e32 vcc, 8, v21
	v_cndmask_b32_e32 v21, v40, v38, vcc
	v_lshlrev_b32_e32 v1, 8, v1
	v_lshl_add_u32 v21, v21, 10, v20
	v_and_b32_e32 v37, 7, v37
	v_and_or_b32 v1, v1, s26, v21
	v_cndmask_b32_e32 v37, v39, v37, vcc
	v_lshlrev_b32_e32 v1, 16, v1
	v_lshl_or_b32 v37, v37, 23, v1
.LBB235_257:                            ;   in Loop: Header=BB235_223 Depth=1
	s_or_b64 exec, exec, s[16:17]
.LBB235_258:                            ;   in Loop: Header=BB235_223 Depth=1
	s_or_b64 exec, exec, s[12:13]
.LBB235_259:                            ;   in Loop: Header=BB235_223 Depth=1
	s_or_b64 exec, exec, s[0:1]
	v_lshrrev_b32_e32 v1, 16, v10
	v_cmp_ne_u16_sdwa s[12:13], v1, v2 src0_sel:BYTE_0 src1_sel:DWORD
	s_and_saveexec_b64 s[0:1], s[12:13]
	s_cbranch_execz .LBB235_265
; %bb.260:                              ;   in Loop: Header=BB235_223 Depth=1
	v_cmp_ne_u16_sdwa s[16:17], v1, s24 src0_sel:BYTE_0 src1_sel:DWORD
	v_mov_b32_e32 v36, 0x8000
	s_and_saveexec_b64 s[12:13], s[16:17]
	s_cbranch_execz .LBB235_264
; %bb.261:                              ;   in Loop: Header=BB235_223 Depth=1
	v_bfe_u32 v21, v10, 16, 7
	v_cmp_ne_u32_e32 vcc, s25, v21
	v_mov_b32_e32 v36, 0x7c01
	s_and_saveexec_b64 s[16:17], vcc
	s_cbranch_execz .LBB235_263
; %bb.262:                              ;   in Loop: Header=BB235_223 Depth=1
	v_and_b32_e32 v36, 7, v1
	v_ffbh_u32_e32 v38, v36
	v_min_u32_e32 v41, 32, v38
	v_subrev_u32_e32 v38, 28, v41
	v_lshlrev_b64 v[38:39], v38, v[1:2]
	v_lshrrev_b32_e32 v40, 3, v21
	v_sub_u32_e32 v39, 29, v41
	v_cmp_gt_u32_e32 vcc, 8, v21
	v_cndmask_b32_e32 v21, v40, v39, vcc
	v_lshl_add_u32 v21, v21, 10, v20
	v_lshlrev_b32_e32 v1, 8, v1
	v_and_b32_e32 v38, 7, v38
	v_and_b32_e32 v21, 0xfc00, v21
	v_cndmask_b32_e32 v36, v36, v38, vcc
	v_and_or_b32 v1, v1, s26, v21
	v_lshl_or_b32 v36, v36, 7, v1
.LBB235_263:                            ;   in Loop: Header=BB235_223 Depth=1
	s_or_b64 exec, exec, s[16:17]
.LBB235_264:                            ;   in Loop: Header=BB235_223 Depth=1
	s_or_b64 exec, exec, s[12:13]
.LBB235_265:                            ;   in Loop: Header=BB235_223 Depth=1
	s_or_b64 exec, exec, s[0:1]
	v_cmp_lt_u64_e32 vcc, s[4:5], v[9:10]
	v_mov_b32_e32 v38, 0
	s_and_saveexec_b64 s[0:1], vcc
	s_cbranch_execz .LBB235_271
; %bb.266:                              ;   in Loop: Header=BB235_223 Depth=1
	v_lshrrev_b32_e32 v1, 24, v10
	v_cmp_ne_u32_e32 vcc, s24, v1
	v_bfrev_b32_e32 v38, 1
	s_and_saveexec_b64 s[12:13], vcc
	s_cbranch_execz .LBB235_270
; %bb.267:                              ;   in Loop: Header=BB235_223 Depth=1
	v_and_b32_e32 v9, 0x7f, v1
	v_cmp_ne_u32_e32 vcc, s25, v9
	v_mov_b32_e32 v38, 0x7c010000
	s_and_saveexec_b64 s[16:17], vcc
	s_cbranch_execz .LBB235_269
; %bb.268:                              ;   in Loop: Header=BB235_223 Depth=1
	v_and_b32_e32 v10, 7, v1
	v_ffbh_u32_e32 v38, v10
	v_min_u32_e32 v40, 32, v38
	v_subrev_u32_e32 v38, 28, v40
	v_lshlrev_b64 v[38:39], v38, v[1:2]
	v_lshrrev_b32_e32 v21, 3, v9
	v_sub_u32_e32 v39, 29, v40
	v_cmp_gt_u32_e32 vcc, 8, v9
	v_cndmask_b32_e32 v9, v21, v39, vcc
	v_lshlrev_b32_e32 v1, 8, v1
	v_lshl_add_u32 v9, v9, 10, v20
	v_and_b32_e32 v21, 7, v38
	v_and_or_b32 v1, v1, s26, v9
	v_cndmask_b32_e32 v10, v10, v21, vcc
	v_lshlrev_b32_e32 v1, 16, v1
	v_lshl_or_b32 v38, v10, 23, v1
.LBB235_269:                            ;   in Loop: Header=BB235_223 Depth=1
	s_or_b64 exec, exec, s[16:17]
.LBB235_270:                            ;   in Loop: Header=BB235_223 Depth=1
	s_or_b64 exec, exec, s[12:13]
.LBB235_271:                            ;   in Loop: Header=BB235_223 Depth=1
	s_or_b64 exec, exec, s[0:1]
	s_waitcnt vmcnt(0)
	v_fma_mixlo_f16 v9, v22, v27, 0 op_sel:[0,1,0] op_sel_hi:[0,1,0]
	v_lshlrev_b32_e32 v39, 16, v9
	v_or_b32_e32 v9, v24, v23
	v_fma_mixlo_f16 v10, v22, v24, 0 op_sel:[0,1,0] op_sel_hi:[0,1,0]
	v_fma_mixlo_f16 v23, v22, v37, 0 op_sel:[0,1,0] op_sel_hi:[0,1,0]
	v_or_b32_e32 v1, v27, v25
	v_lshlrev_b32_e32 v41, 16, v10
	v_or_b32_e32 v10, v37, v26
	v_lshlrev_b32_e32 v37, 16, v23
	v_or_b32_e32 v23, v38, v36
	v_fma_mixlo_f16 v1, v22, v1, 0 op_sel_hi:[0,1,0]
	v_fma_mixlo_f16 v9, v22, v9, 0 op_sel_hi:[0,1,0]
	;; [unrolled: 1-line block ×4, first 2 shown]
	v_fma_mixlo_f16 v22, v22, v38, 0 op_sel:[0,1,0] op_sel_hi:[0,1,0]
	v_and_b32_e32 v40, 0xffff, v1
	v_and_b32_e32 v44, 0xffff, v9
	v_and_b32_e32 v42, 0xffff, v10
	v_lshlrev_b32_e32 v38, 16, v22
	v_and_b32_e32 v43, 0xffff, v23
	v_add_u32_e32 v21, -7, v18
	v_cmp_eq_u32_e32 vcc, s28, v12
	v_or_b32_e32 v1, v39, v40
	v_or_b32_e32 v9, v41, v44
	;; [unrolled: 1-line block ×4, first 2 shown]
	v_add_u32_e32 v27, -6, v18
	v_add_u32_e32 v26, -5, v18
	;; [unrolled: 1-line block ×6, first 2 shown]
	s_and_saveexec_b64 s[12:13], vcc
	s_cbranch_execz .LBB235_273
; %bb.272:                              ;   in Loop: Header=BB235_223 Depth=1
	v_cmp_gt_i32_e64 s[0:1], s30, v21
	v_cndmask_b32_e64 v1, 0, v44, s[0:1]
	v_cmp_gt_i32_e64 s[0:1], s30, v27
	v_cndmask_b32_e64 v9, 0, v41, s[0:1]
	v_cmp_gt_i32_e64 s[0:1], s30, v26
	v_or_b32_e32 v9, v9, v1
	v_cndmask_b32_e64 v1, 0, v40, s[0:1]
	v_cmp_gt_i32_e64 s[0:1], s30, v25
	v_cndmask_b32_e64 v10, 0, v39, s[0:1]
	v_cmp_gt_i32_e64 s[0:1], s30, v24
	v_or_b32_e32 v1, v10, v1
	;; [unrolled: 5-line block ×3, first 2 shown]
	v_cndmask_b32_e64 v36, 0, v43, s[0:1]
	v_cmp_gt_i32_e64 s[0:1], s30, v18
	v_cndmask_b32_e64 v37, 0, v38, s[0:1]
	v_or_b32_e32 v36, v37, v36
.LBB235_273:                            ;   in Loop: Header=BB235_223 Depth=1
	s_or_b64 exec, exec, s[12:13]
	v_and_b32_e32 v28, 0xffff, v28
	v_lshl_or_b32 v28, v29, 16, v28
	v_and_b32_e32 v29, 0xffff, v30
	v_lshl_or_b32 v29, v31, 16, v29
	v_and_b32_e32 v30, 0xffff, v32
	v_and_b32_e32 v31, 0xffff, v34
	;;#ASMSTART
	v_pk_mul_f16 v9, v28, v9;

	;;#ASMEND
	;;#ASMSTART
	v_pk_mul_f16 v1, v29, v1;

	;;#ASMEND
	v_lshl_or_b32 v30, v33, 16, v30
	v_lshl_or_b32 v31, v35, 16, v31
	;;#ASMSTART
	v_pk_mul_f16 v10, v30, v10;

	;;#ASMEND
	;;#ASMSTART
	v_pk_mul_f16 v32, v31, v36;

	;;#ASMEND
	;;#ASMSTART
	v_pk_add_f16 v1, v9, v1;

	;;#ASMEND
	;;#ASMSTART
	v_pk_add_f16 v1, v1, v10;
	;; [unrolled: 4-line block ×3, first 2 shown]

	;;#ASMEND
	v_lshrrev_b32_e32 v9, 16, v1
	v_and_b32_e32 v1, 0xffff, v1
	;;#ASMSTART
	v_cvt_f32_f16 v32, v1;
	;;#ASMEND
	;;#ASMSTART
	v_cvt_f32_f16 v33, v9;
	;;#ASMEND
	global_load_dwordx2 v[9:10], v[7:8], off offset:512
	v_mov_b32_e32 v35, 0
	global_load_dword v34, v35, s[14:15]
	v_mov_b32_e32 v36, 0
	s_waitcnt vmcnt(1)
	v_cmp_ne_u16_sdwa s[0:1], v9, v2 src0_sel:BYTE_0 src1_sel:DWORD
	s_and_saveexec_b64 s[12:13], s[0:1]
	s_cbranch_execz .LBB235_279
; %bb.274:                              ;   in Loop: Header=BB235_223 Depth=1
	v_cmp_ne_u16_sdwa s[0:1], v9, s24 src0_sel:BYTE_0 src1_sel:DWORD
	v_mov_b32_e32 v36, 0x8000
	s_and_saveexec_b64 s[16:17], s[0:1]
	s_cbranch_execz .LBB235_278
; %bb.275:                              ;   in Loop: Header=BB235_223 Depth=1
	v_and_b32_e32 v1, 0x7f, v9
	v_cmp_ne_u32_e64 s[0:1], s25, v1
	v_mov_b32_e32 v36, 0x7c01
	s_and_saveexec_b64 s[18:19], s[0:1]
	s_cbranch_execz .LBB235_277
; %bb.276:                              ;   in Loop: Header=BB235_223 Depth=1
	v_and_b32_e32 v38, 7, v9
	v_ffbh_u32_e32 v36, v38
	v_min_u32_e32 v40, 32, v36
	v_subrev_u32_e32 v36, 28, v40
	v_lshlrev_b64 v[36:37], v36, v[9:10]
	v_lshrrev_b32_e32 v39, 3, v1
	v_sub_u32_e32 v37, 29, v40
	v_cmp_gt_u32_e64 s[0:1], 8, v1
	v_cndmask_b32_e64 v1, v39, v37, s[0:1]
	v_lshl_add_u32 v1, v1, 10, v20
	v_lshlrev_b32_e32 v37, 8, v9
	v_and_b32_e32 v36, 7, v36
	v_and_b32_e32 v1, 0xfc00, v1
	v_cndmask_b32_e64 v36, v38, v36, s[0:1]
	v_and_or_b32 v1, v37, s26, v1
	v_lshl_or_b32 v36, v36, 7, v1
.LBB235_277:                            ;   in Loop: Header=BB235_223 Depth=1
	s_or_b64 exec, exec, s[18:19]
.LBB235_278:                            ;   in Loop: Header=BB235_223 Depth=1
	s_or_b64 exec, exec, s[16:17]
.LBB235_279:                            ;   in Loop: Header=BB235_223 Depth=1
	s_or_b64 exec, exec, s[12:13]
	v_lshrrev_b16_e32 v1, 8, v9
	v_cmp_ne_u16_e64 s[0:1], 0, v1
	s_and_saveexec_b64 s[12:13], s[0:1]
	s_cbranch_execz .LBB235_285
; %bb.280:                              ;   in Loop: Header=BB235_223 Depth=1
	v_cmp_ne_u16_e64 s[0:1], s24, v1
	v_bfrev_b32_e32 v35, 1
	s_and_saveexec_b64 s[16:17], s[0:1]
	s_cbranch_execz .LBB235_284
; %bb.281:                              ;   in Loop: Header=BB235_223 Depth=1
	v_and_b32_e32 v37, 0x7f, v1
	v_cmp_ne_u32_e64 s[0:1], s25, v37
	v_mov_b32_e32 v35, 0x7c010000
	s_and_saveexec_b64 s[18:19], s[0:1]
	s_cbranch_execz .LBB235_283
; %bb.282:                              ;   in Loop: Header=BB235_223 Depth=1
	v_and_b32_e32 v35, 7, v1
	v_ffbh_u32_e32 v38, v35
	v_min_u32_e32 v41, 32, v38
	v_subrev_u32_e32 v38, 28, v41
	v_lshlrev_b64 v[38:39], v38, v[1:2]
	v_lshrrev_b32_e32 v40, 3, v37
	v_sub_u32_e32 v39, 29, v41
	v_cmp_gt_u32_e64 s[0:1], 8, v37
	v_cndmask_b32_e64 v37, v40, v39, s[0:1]
	v_lshlrev_b32_e32 v1, 8, v1
	v_lshl_add_u32 v37, v37, 10, v20
	v_and_b32_e32 v38, 7, v38
	v_and_or_b32 v1, v1, s26, v37
	v_cndmask_b32_e64 v35, v35, v38, s[0:1]
	v_lshlrev_b32_e32 v1, 16, v1
	v_lshl_or_b32 v35, v35, 23, v1
.LBB235_283:                            ;   in Loop: Header=BB235_223 Depth=1
	s_or_b64 exec, exec, s[18:19]
.LBB235_284:                            ;   in Loop: Header=BB235_223 Depth=1
	s_or_b64 exec, exec, s[16:17]
.LBB235_285:                            ;   in Loop: Header=BB235_223 Depth=1
	s_or_b64 exec, exec, s[12:13]
	v_lshrrev_b32_e32 v1, 16, v9
	v_cmp_ne_u16_sdwa s[0:1], v1, v2 src0_sel:BYTE_0 src1_sel:DWORD
	v_mov_b32_e32 v37, 0
	v_mov_b32_e32 v38, 0
	s_and_saveexec_b64 s[12:13], s[0:1]
	s_cbranch_execz .LBB235_291
; %bb.286:                              ;   in Loop: Header=BB235_223 Depth=1
	v_cmp_ne_u16_sdwa s[0:1], v1, s24 src0_sel:BYTE_0 src1_sel:DWORD
	v_mov_b32_e32 v38, 0x8000
	s_and_saveexec_b64 s[16:17], s[0:1]
	s_cbranch_execz .LBB235_290
; %bb.287:                              ;   in Loop: Header=BB235_223 Depth=1
	v_bfe_u32 v39, v9, 16, 7
	v_cmp_ne_u32_e64 s[0:1], s25, v39
	v_mov_b32_e32 v38, 0x7c01
	s_and_saveexec_b64 s[18:19], s[0:1]
	s_cbranch_execz .LBB235_289
; %bb.288:                              ;   in Loop: Header=BB235_223 Depth=1
	v_and_b32_e32 v38, 7, v1
	v_ffbh_u32_e32 v40, v38
	v_min_u32_e32 v43, 32, v40
	v_subrev_u32_e32 v40, 28, v43
	v_lshlrev_b64 v[40:41], v40, v[1:2]
	v_lshrrev_b32_e32 v42, 3, v39
	v_sub_u32_e32 v41, 29, v43
	v_cmp_gt_u32_e64 s[0:1], 8, v39
	v_cndmask_b32_e64 v39, v42, v41, s[0:1]
	v_lshl_add_u32 v39, v39, 10, v20
	v_lshlrev_b32_e32 v1, 8, v1
	v_and_b32_e32 v40, 7, v40
	v_and_b32_e32 v39, 0xfc00, v39
	v_cndmask_b32_e64 v38, v38, v40, s[0:1]
	v_and_or_b32 v1, v1, s26, v39
	v_lshl_or_b32 v38, v38, 7, v1
.LBB235_289:                            ;   in Loop: Header=BB235_223 Depth=1
	s_or_b64 exec, exec, s[18:19]
.LBB235_290:                            ;   in Loop: Header=BB235_223 Depth=1
	s_or_b64 exec, exec, s[16:17]
.LBB235_291:                            ;   in Loop: Header=BB235_223 Depth=1
	s_or_b64 exec, exec, s[12:13]
	v_cmp_lt_u32_e64 s[0:1], s5, v9
	s_and_saveexec_b64 s[12:13], s[0:1]
	s_cbranch_execz .LBB235_297
; %bb.292:                              ;   in Loop: Header=BB235_223 Depth=1
	v_lshrrev_b32_e32 v1, 24, v9
	v_cmp_ne_u32_e64 s[0:1], s24, v1
	v_bfrev_b32_e32 v37, 1
	s_and_saveexec_b64 s[16:17], s[0:1]
	s_cbranch_execz .LBB235_296
; %bb.293:                              ;   in Loop: Header=BB235_223 Depth=1
	v_and_b32_e32 v39, 0x7f, v1
	v_cmp_ne_u32_e64 s[0:1], s25, v39
	v_mov_b32_e32 v37, 0x7c010000
	s_and_saveexec_b64 s[18:19], s[0:1]
	s_cbranch_execz .LBB235_295
; %bb.294:                              ;   in Loop: Header=BB235_223 Depth=1
	v_and_b32_e32 v37, 7, v1
	v_ffbh_u32_e32 v40, v37
	v_min_u32_e32 v43, 32, v40
	v_subrev_u32_e32 v40, 28, v43
	v_lshlrev_b64 v[40:41], v40, v[1:2]
	v_lshrrev_b32_e32 v42, 3, v39
	v_sub_u32_e32 v41, 29, v43
	v_cmp_gt_u32_e64 s[0:1], 8, v39
	v_cndmask_b32_e64 v39, v42, v41, s[0:1]
	v_lshlrev_b32_e32 v1, 8, v1
	v_lshl_add_u32 v39, v39, 10, v20
	v_and_b32_e32 v40, 7, v40
	v_and_or_b32 v1, v1, s26, v39
	v_cndmask_b32_e64 v37, v37, v40, s[0:1]
	v_lshlrev_b32_e32 v1, 16, v1
	v_lshl_or_b32 v37, v37, 23, v1
.LBB235_295:                            ;   in Loop: Header=BB235_223 Depth=1
	s_or_b64 exec, exec, s[18:19]
.LBB235_296:                            ;   in Loop: Header=BB235_223 Depth=1
	s_or_b64 exec, exec, s[16:17]
.LBB235_297:                            ;   in Loop: Header=BB235_223 Depth=1
	s_or_b64 exec, exec, s[12:13]
	v_mov_b32_e32 v1, v10
	v_cmp_ne_u16_sdwa s[0:1], v10, v2 src0_sel:BYTE_0 src1_sel:DWORD
	v_mov_b32_e32 v39, 0
	v_mov_b32_e32 v40, 0
	s_and_saveexec_b64 s[12:13], s[0:1]
	s_cbranch_execz .LBB235_303
; %bb.298:                              ;   in Loop: Header=BB235_223 Depth=1
	v_cmp_ne_u16_sdwa s[0:1], v10, s24 src0_sel:BYTE_0 src1_sel:DWORD
	v_mov_b32_e32 v40, 0x8000
	s_and_saveexec_b64 s[16:17], s[0:1]
	s_cbranch_execz .LBB235_302
; %bb.299:                              ;   in Loop: Header=BB235_223 Depth=1
	v_and_b32_e32 v41, 0x7f, v10
	v_cmp_ne_u32_e64 s[0:1], s25, v41
	v_mov_b32_e32 v40, 0x7c01
	s_and_saveexec_b64 s[18:19], s[0:1]
	s_cbranch_execz .LBB235_301
; %bb.300:                              ;   in Loop: Header=BB235_223 Depth=1
	v_and_b32_e32 v40, 7, v10
	v_ffbh_u32_e32 v42, v40
	v_min_u32_e32 v45, 32, v42
	v_subrev_u32_e32 v42, 28, v45
	v_lshlrev_b64 v[42:43], v42, v[1:2]
	v_lshrrev_b32_e32 v44, 3, v41
	v_sub_u32_e32 v43, 29, v45
	v_cmp_gt_u32_e64 s[0:1], 8, v41
	v_cndmask_b32_e64 v41, v44, v43, s[0:1]
	v_lshl_add_u32 v41, v41, 10, v20
	v_lshlrev_b32_e32 v43, 8, v10
	v_and_b32_e32 v42, 7, v42
	v_and_b32_e32 v41, 0xfc00, v41
	v_cndmask_b32_e64 v40, v40, v42, s[0:1]
	v_and_or_b32 v41, v43, s26, v41
	v_lshl_or_b32 v40, v40, 7, v41
.LBB235_301:                            ;   in Loop: Header=BB235_223 Depth=1
	s_or_b64 exec, exec, s[18:19]
.LBB235_302:                            ;   in Loop: Header=BB235_223 Depth=1
	s_or_b64 exec, exec, s[16:17]
.LBB235_303:                            ;   in Loop: Header=BB235_223 Depth=1
	s_or_b64 exec, exec, s[12:13]
	v_lshrrev_b16_e32 v1, 8, v1
	v_cmp_ne_u16_e64 s[0:1], 0, v1
	v_mov_b32_e32 v41, 0
	s_and_saveexec_b64 s[12:13], s[0:1]
	s_cbranch_execz .LBB235_309
; %bb.304:                              ;   in Loop: Header=BB235_223 Depth=1
	v_cmp_ne_u16_e64 s[0:1], s24, v1
	v_bfrev_b32_e32 v41, 1
	s_and_saveexec_b64 s[16:17], s[0:1]
	s_cbranch_execz .LBB235_308
; %bb.305:                              ;   in Loop: Header=BB235_223 Depth=1
	v_and_b32_e32 v42, 0x7f, v1
	v_cmp_ne_u32_e64 s[0:1], s25, v42
	v_mov_b32_e32 v41, 0x7c010000
	s_and_saveexec_b64 s[18:19], s[0:1]
	s_cbranch_execz .LBB235_307
; %bb.306:                              ;   in Loop: Header=BB235_223 Depth=1
	v_and_b32_e32 v41, 7, v1
	v_ffbh_u32_e32 v43, v41
	v_min_u32_e32 v46, 32, v43
	v_subrev_u32_e32 v43, 28, v46
	v_lshlrev_b64 v[43:44], v43, v[1:2]
	v_lshrrev_b32_e32 v45, 3, v42
	v_sub_u32_e32 v44, 29, v46
	v_cmp_gt_u32_e64 s[0:1], 8, v42
	v_cndmask_b32_e64 v42, v45, v44, s[0:1]
	v_lshlrev_b32_e32 v1, 8, v1
	v_lshl_add_u32 v42, v42, 10, v20
	v_and_b32_e32 v43, 7, v43
	v_and_or_b32 v1, v1, s26, v42
	v_cndmask_b32_e64 v41, v41, v43, s[0:1]
	v_lshlrev_b32_e32 v1, 16, v1
	v_lshl_or_b32 v41, v41, 23, v1
.LBB235_307:                            ;   in Loop: Header=BB235_223 Depth=1
	s_or_b64 exec, exec, s[18:19]
.LBB235_308:                            ;   in Loop: Header=BB235_223 Depth=1
	s_or_b64 exec, exec, s[16:17]
.LBB235_309:                            ;   in Loop: Header=BB235_223 Depth=1
	s_or_b64 exec, exec, s[12:13]
	v_lshrrev_b32_e32 v1, 16, v10
	v_cmp_ne_u16_sdwa s[0:1], v1, v2 src0_sel:BYTE_0 src1_sel:DWORD
	s_and_saveexec_b64 s[12:13], s[0:1]
	s_cbranch_execz .LBB235_315
; %bb.310:                              ;   in Loop: Header=BB235_223 Depth=1
	v_cmp_ne_u16_sdwa s[0:1], v1, s24 src0_sel:BYTE_0 src1_sel:DWORD
	v_mov_b32_e32 v39, 0x8000
	s_and_saveexec_b64 s[16:17], s[0:1]
	s_cbranch_execz .LBB235_314
; %bb.311:                              ;   in Loop: Header=BB235_223 Depth=1
	v_bfe_u32 v42, v10, 16, 7
	v_cmp_ne_u32_e64 s[0:1], s25, v42
	v_mov_b32_e32 v39, 0x7c01
	s_and_saveexec_b64 s[18:19], s[0:1]
	s_cbranch_execz .LBB235_313
; %bb.312:                              ;   in Loop: Header=BB235_223 Depth=1
	v_and_b32_e32 v39, 7, v1
	v_ffbh_u32_e32 v43, v39
	v_min_u32_e32 v46, 32, v43
	v_subrev_u32_e32 v43, 28, v46
	v_lshlrev_b64 v[43:44], v43, v[1:2]
	v_lshrrev_b32_e32 v45, 3, v42
	v_sub_u32_e32 v44, 29, v46
	v_cmp_gt_u32_e64 s[0:1], 8, v42
	v_cndmask_b32_e64 v42, v45, v44, s[0:1]
	v_lshl_add_u32 v42, v42, 10, v20
	v_lshlrev_b32_e32 v1, 8, v1
	v_and_b32_e32 v43, 7, v43
	v_and_b32_e32 v42, 0xfc00, v42
	v_cndmask_b32_e64 v39, v39, v43, s[0:1]
	v_and_or_b32 v1, v1, s26, v42
	v_lshl_or_b32 v39, v39, 7, v1
.LBB235_313:                            ;   in Loop: Header=BB235_223 Depth=1
	s_or_b64 exec, exec, s[18:19]
.LBB235_314:                            ;   in Loop: Header=BB235_223 Depth=1
	s_or_b64 exec, exec, s[16:17]
.LBB235_315:                            ;   in Loop: Header=BB235_223 Depth=1
	s_or_b64 exec, exec, s[12:13]
	v_cmp_lt_u64_e64 s[0:1], s[4:5], v[9:10]
	v_mov_b32_e32 v9, 0
	s_and_saveexec_b64 s[12:13], s[0:1]
	s_cbranch_execz .LBB235_321
; %bb.316:                              ;   in Loop: Header=BB235_223 Depth=1
	v_lshrrev_b32_e32 v1, 24, v10
	v_cmp_ne_u32_e64 s[0:1], s24, v1
	v_bfrev_b32_e32 v9, 1
	s_and_saveexec_b64 s[16:17], s[0:1]
	s_cbranch_execz .LBB235_320
; %bb.317:                              ;   in Loop: Header=BB235_223 Depth=1
	v_and_b32_e32 v10, 0x7f, v1
	v_cmp_ne_u32_e64 s[0:1], s25, v10
	v_mov_b32_e32 v9, 0x7c010000
	s_and_saveexec_b64 s[18:19], s[0:1]
	s_cbranch_execz .LBB235_319
; %bb.318:                              ;   in Loop: Header=BB235_223 Depth=1
	v_and_b32_e32 v9, 7, v1
	v_ffbh_u32_e32 v42, v9
	v_min_u32_e32 v45, 32, v42
	v_subrev_u32_e32 v42, 28, v45
	v_lshlrev_b64 v[42:43], v42, v[1:2]
	v_lshrrev_b32_e32 v44, 3, v10
	v_sub_u32_e32 v43, 29, v45
	v_cmp_gt_u32_e64 s[0:1], 8, v10
	v_cndmask_b32_e64 v10, v44, v43, s[0:1]
	v_lshlrev_b32_e32 v1, 8, v1
	v_lshl_add_u32 v10, v10, 10, v20
	v_and_b32_e32 v42, 7, v42
	v_and_or_b32 v1, v1, s26, v10
	v_cndmask_b32_e64 v9, v9, v42, s[0:1]
	v_lshlrev_b32_e32 v1, 16, v1
	v_lshl_or_b32 v9, v9, 23, v1
.LBB235_319:                            ;   in Loop: Header=BB235_223 Depth=1
	s_or_b64 exec, exec, s[18:19]
.LBB235_320:                            ;   in Loop: Header=BB235_223 Depth=1
	s_or_b64 exec, exec, s[16:17]
.LBB235_321:                            ;   in Loop: Header=BB235_223 Depth=1
	s_or_b64 exec, exec, s[12:13]
	s_waitcnt vmcnt(0)
	v_fma_mixlo_f16 v10, v34, v37, 0 op_sel:[0,1,0] op_sel_hi:[0,1,0]
	v_or_b32_e32 v1, v37, v38
	v_lshlrev_b32_e32 v37, 16, v10
	v_or_b32_e32 v10, v35, v36
	v_fma_mixlo_f16 v35, v34, v35, 0 op_sel:[0,1,0] op_sel_hi:[0,1,0]
	v_lshlrev_b32_e32 v42, 16, v35
	v_or_b32_e32 v35, v41, v40
	v_or_b32_e32 v39, v9, v39
	v_fma_mixlo_f16 v1, v34, v1, 0 op_sel_hi:[0,1,0]
	v_fma_mixlo_f16 v10, v34, v10, 0 op_sel_hi:[0,1,0]
	v_fma_mixlo_f16 v36, v34, v41, 0 op_sel:[0,1,0] op_sel_hi:[0,1,0]
	v_fma_mixlo_f16 v35, v34, v35, 0 op_sel_hi:[0,1,0]
	v_fma_mixlo_f16 v39, v34, v39, 0 op_sel_hi:[0,1,0]
	v_fma_mixlo_f16 v9, v34, v9, 0 op_sel:[0,1,0] op_sel_hi:[0,1,0]
	v_and_b32_e32 v38, 0xffff, v1
	v_and_b32_e32 v43, 0xffff, v10
	v_lshlrev_b32_e32 v36, 16, v36
	v_and_b32_e32 v40, 0xffff, v35
	v_lshlrev_b32_e32 v9, 16, v9
	v_and_b32_e32 v34, 0xffff, v39
	v_or_b32_e32 v1, v37, v38
	v_or_b32_e32 v10, v42, v43
	;; [unrolled: 1-line block ×4, first 2 shown]
	s_and_saveexec_b64 s[12:13], vcc
	s_cbranch_execz .LBB235_323
; %bb.322:                              ;   in Loop: Header=BB235_223 Depth=1
	v_cmp_gt_i32_e64 s[0:1], s30, v21
	v_cndmask_b32_e64 v1, 0, v43, s[0:1]
	v_cmp_gt_i32_e64 s[0:1], s30, v27
	v_cndmask_b32_e64 v10, 0, v42, s[0:1]
	v_cmp_gt_i32_e64 s[0:1], s30, v26
	v_or_b32_e32 v10, v10, v1
	v_cndmask_b32_e64 v1, 0, v38, s[0:1]
	v_cmp_gt_i32_e64 s[0:1], s30, v25
	v_cndmask_b32_e64 v35, 0, v37, s[0:1]
	v_cmp_gt_i32_e64 s[0:1], s30, v24
	v_or_b32_e32 v1, v35, v1
	v_cndmask_b32_e64 v35, 0, v40, s[0:1]
	v_cmp_gt_i32_e64 s[0:1], s30, v23
	v_cndmask_b32_e64 v36, 0, v36, s[0:1]
	v_cmp_gt_i32_e64 s[0:1], s30, v22
	;; [unrolled: 2-line block ×3, first 2 shown]
	v_cndmask_b32_e64 v9, 0, v9, s[0:1]
	v_or_b32_e32 v35, v36, v35
	v_or_b32_e32 v39, v9, v34
.LBB235_323:                            ;   in Loop: Header=BB235_223 Depth=1
	s_or_b64 exec, exec, s[12:13]
	;;#ASMSTART
	v_pk_mul_f16 v9, v28, v10;

	;;#ASMEND
	;;#ASMSTART
	v_pk_mul_f16 v1, v29, v1;

	;;#ASMEND
	;; [unrolled: 4-line block ×4, first 2 shown]
	;;#ASMSTART
	v_pk_add_f16 v1, v9, v1;

	;;#ASMEND
	;;#ASMSTART
	v_pk_add_f16 v1, v1, v10;

	;;#ASMEND
	;;#ASMSTART
	v_pk_add_f16 v1, v1, v34;

	;;#ASMEND
	v_lshrrev_b32_e32 v9, 16, v1
	v_and_b32_e32 v1, 0xffff, v1
	;;#ASMSTART
	v_cvt_f32_f16 v34, v1;
	;;#ASMEND
	;;#ASMSTART
	v_cvt_f32_f16 v35, v9;
	;;#ASMEND
	global_load_dwordx2 v[9:10], v[7:8], off offset:1024
	v_mov_b32_e32 v37, 0
	global_load_dword v36, v37, s[14:15]
	v_mov_b32_e32 v38, 0
	s_waitcnt vmcnt(1)
	v_cmp_ne_u16_sdwa s[0:1], v9, v2 src0_sel:BYTE_0 src1_sel:DWORD
	s_and_saveexec_b64 s[12:13], s[0:1]
	s_cbranch_execz .LBB235_329
; %bb.324:                              ;   in Loop: Header=BB235_223 Depth=1
	v_cmp_ne_u16_sdwa s[0:1], v9, s24 src0_sel:BYTE_0 src1_sel:DWORD
	v_mov_b32_e32 v38, 0x8000
	s_and_saveexec_b64 s[16:17], s[0:1]
	s_cbranch_execz .LBB235_328
; %bb.325:                              ;   in Loop: Header=BB235_223 Depth=1
	v_and_b32_e32 v1, 0x7f, v9
	v_cmp_ne_u32_e64 s[0:1], s25, v1
	v_mov_b32_e32 v38, 0x7c01
	s_and_saveexec_b64 s[18:19], s[0:1]
	s_cbranch_execz .LBB235_327
; %bb.326:                              ;   in Loop: Header=BB235_223 Depth=1
	v_and_b32_e32 v40, 7, v9
	v_ffbh_u32_e32 v38, v40
	v_min_u32_e32 v42, 32, v38
	v_subrev_u32_e32 v38, 28, v42
	v_lshlrev_b64 v[38:39], v38, v[9:10]
	v_lshrrev_b32_e32 v41, 3, v1
	v_sub_u32_e32 v39, 29, v42
	v_cmp_gt_u32_e64 s[0:1], 8, v1
	v_cndmask_b32_e64 v1, v41, v39, s[0:1]
	v_lshl_add_u32 v1, v1, 10, v20
	v_lshlrev_b32_e32 v39, 8, v9
	v_and_b32_e32 v38, 7, v38
	v_and_b32_e32 v1, 0xfc00, v1
	v_cndmask_b32_e64 v38, v40, v38, s[0:1]
	v_and_or_b32 v1, v39, s26, v1
	v_lshl_or_b32 v38, v38, 7, v1
.LBB235_327:                            ;   in Loop: Header=BB235_223 Depth=1
	s_or_b64 exec, exec, s[18:19]
.LBB235_328:                            ;   in Loop: Header=BB235_223 Depth=1
	s_or_b64 exec, exec, s[16:17]
.LBB235_329:                            ;   in Loop: Header=BB235_223 Depth=1
	s_or_b64 exec, exec, s[12:13]
	v_lshrrev_b16_e32 v1, 8, v9
	v_cmp_ne_u16_e64 s[0:1], 0, v1
	s_and_saveexec_b64 s[12:13], s[0:1]
	s_cbranch_execz .LBB235_335
; %bb.330:                              ;   in Loop: Header=BB235_223 Depth=1
	v_cmp_ne_u16_e64 s[0:1], s24, v1
	v_bfrev_b32_e32 v37, 1
	s_and_saveexec_b64 s[16:17], s[0:1]
	s_cbranch_execz .LBB235_334
; %bb.331:                              ;   in Loop: Header=BB235_223 Depth=1
	v_and_b32_e32 v39, 0x7f, v1
	v_cmp_ne_u32_e64 s[0:1], s25, v39
	v_mov_b32_e32 v37, 0x7c010000
	s_and_saveexec_b64 s[18:19], s[0:1]
	s_cbranch_execz .LBB235_333
; %bb.332:                              ;   in Loop: Header=BB235_223 Depth=1
	v_and_b32_e32 v37, 7, v1
	v_ffbh_u32_e32 v40, v37
	v_min_u32_e32 v43, 32, v40
	v_subrev_u32_e32 v40, 28, v43
	v_lshlrev_b64 v[40:41], v40, v[1:2]
	v_lshrrev_b32_e32 v42, 3, v39
	v_sub_u32_e32 v41, 29, v43
	v_cmp_gt_u32_e64 s[0:1], 8, v39
	v_cndmask_b32_e64 v39, v42, v41, s[0:1]
	v_lshlrev_b32_e32 v1, 8, v1
	v_lshl_add_u32 v39, v39, 10, v20
	v_and_b32_e32 v40, 7, v40
	v_and_or_b32 v1, v1, s26, v39
	v_cndmask_b32_e64 v37, v37, v40, s[0:1]
	v_lshlrev_b32_e32 v1, 16, v1
	v_lshl_or_b32 v37, v37, 23, v1
.LBB235_333:                            ;   in Loop: Header=BB235_223 Depth=1
	s_or_b64 exec, exec, s[18:19]
.LBB235_334:                            ;   in Loop: Header=BB235_223 Depth=1
	s_or_b64 exec, exec, s[16:17]
.LBB235_335:                            ;   in Loop: Header=BB235_223 Depth=1
	s_or_b64 exec, exec, s[12:13]
	v_lshrrev_b32_e32 v1, 16, v9
	v_cmp_ne_u16_sdwa s[0:1], v1, v2 src0_sel:BYTE_0 src1_sel:DWORD
	v_mov_b32_e32 v39, 0
	v_mov_b32_e32 v40, 0
	s_and_saveexec_b64 s[12:13], s[0:1]
	s_cbranch_execz .LBB235_341
; %bb.336:                              ;   in Loop: Header=BB235_223 Depth=1
	v_cmp_ne_u16_sdwa s[0:1], v1, s24 src0_sel:BYTE_0 src1_sel:DWORD
	v_mov_b32_e32 v40, 0x8000
	s_and_saveexec_b64 s[16:17], s[0:1]
	s_cbranch_execz .LBB235_340
; %bb.337:                              ;   in Loop: Header=BB235_223 Depth=1
	v_bfe_u32 v41, v9, 16, 7
	v_cmp_ne_u32_e64 s[0:1], s25, v41
	v_mov_b32_e32 v40, 0x7c01
	s_and_saveexec_b64 s[18:19], s[0:1]
	s_cbranch_execz .LBB235_339
; %bb.338:                              ;   in Loop: Header=BB235_223 Depth=1
	v_and_b32_e32 v40, 7, v1
	v_ffbh_u32_e32 v42, v40
	v_min_u32_e32 v45, 32, v42
	v_subrev_u32_e32 v42, 28, v45
	v_lshlrev_b64 v[42:43], v42, v[1:2]
	v_lshrrev_b32_e32 v44, 3, v41
	v_sub_u32_e32 v43, 29, v45
	v_cmp_gt_u32_e64 s[0:1], 8, v41
	v_cndmask_b32_e64 v41, v44, v43, s[0:1]
	v_lshl_add_u32 v41, v41, 10, v20
	v_lshlrev_b32_e32 v1, 8, v1
	v_and_b32_e32 v42, 7, v42
	v_and_b32_e32 v41, 0xfc00, v41
	v_cndmask_b32_e64 v40, v40, v42, s[0:1]
	v_and_or_b32 v1, v1, s26, v41
	v_lshl_or_b32 v40, v40, 7, v1
.LBB235_339:                            ;   in Loop: Header=BB235_223 Depth=1
	s_or_b64 exec, exec, s[18:19]
.LBB235_340:                            ;   in Loop: Header=BB235_223 Depth=1
	s_or_b64 exec, exec, s[16:17]
.LBB235_341:                            ;   in Loop: Header=BB235_223 Depth=1
	s_or_b64 exec, exec, s[12:13]
	v_cmp_lt_u32_e64 s[0:1], s5, v9
	s_and_saveexec_b64 s[12:13], s[0:1]
	s_cbranch_execz .LBB235_347
; %bb.342:                              ;   in Loop: Header=BB235_223 Depth=1
	v_lshrrev_b32_e32 v1, 24, v9
	v_cmp_ne_u32_e64 s[0:1], s24, v1
	v_bfrev_b32_e32 v39, 1
	s_and_saveexec_b64 s[16:17], s[0:1]
	s_cbranch_execz .LBB235_346
; %bb.343:                              ;   in Loop: Header=BB235_223 Depth=1
	v_and_b32_e32 v41, 0x7f, v1
	v_cmp_ne_u32_e64 s[0:1], s25, v41
	v_mov_b32_e32 v39, 0x7c010000
	s_and_saveexec_b64 s[18:19], s[0:1]
	s_cbranch_execz .LBB235_345
; %bb.344:                              ;   in Loop: Header=BB235_223 Depth=1
	v_and_b32_e32 v39, 7, v1
	v_ffbh_u32_e32 v42, v39
	v_min_u32_e32 v45, 32, v42
	v_subrev_u32_e32 v42, 28, v45
	v_lshlrev_b64 v[42:43], v42, v[1:2]
	v_lshrrev_b32_e32 v44, 3, v41
	v_sub_u32_e32 v43, 29, v45
	v_cmp_gt_u32_e64 s[0:1], 8, v41
	v_cndmask_b32_e64 v41, v44, v43, s[0:1]
	v_lshlrev_b32_e32 v1, 8, v1
	v_lshl_add_u32 v41, v41, 10, v20
	v_and_b32_e32 v42, 7, v42
	v_and_or_b32 v1, v1, s26, v41
	v_cndmask_b32_e64 v39, v39, v42, s[0:1]
	v_lshlrev_b32_e32 v1, 16, v1
	v_lshl_or_b32 v39, v39, 23, v1
.LBB235_345:                            ;   in Loop: Header=BB235_223 Depth=1
	s_or_b64 exec, exec, s[18:19]
.LBB235_346:                            ;   in Loop: Header=BB235_223 Depth=1
	s_or_b64 exec, exec, s[16:17]
.LBB235_347:                            ;   in Loop: Header=BB235_223 Depth=1
	s_or_b64 exec, exec, s[12:13]
	v_mov_b32_e32 v1, v10
	v_cmp_ne_u16_sdwa s[0:1], v10, v2 src0_sel:BYTE_0 src1_sel:DWORD
	v_mov_b32_e32 v41, 0
	v_mov_b32_e32 v42, 0
	s_and_saveexec_b64 s[12:13], s[0:1]
	s_cbranch_execz .LBB235_353
; %bb.348:                              ;   in Loop: Header=BB235_223 Depth=1
	v_cmp_ne_u16_sdwa s[0:1], v10, s24 src0_sel:BYTE_0 src1_sel:DWORD
	v_mov_b32_e32 v42, 0x8000
	s_and_saveexec_b64 s[16:17], s[0:1]
	s_cbranch_execz .LBB235_352
; %bb.349:                              ;   in Loop: Header=BB235_223 Depth=1
	v_and_b32_e32 v43, 0x7f, v10
	v_cmp_ne_u32_e64 s[0:1], s25, v43
	v_mov_b32_e32 v42, 0x7c01
	s_and_saveexec_b64 s[18:19], s[0:1]
	s_cbranch_execz .LBB235_351
; %bb.350:                              ;   in Loop: Header=BB235_223 Depth=1
	v_and_b32_e32 v42, 7, v10
	v_ffbh_u32_e32 v44, v42
	v_min_u32_e32 v47, 32, v44
	v_subrev_u32_e32 v44, 28, v47
	v_lshlrev_b64 v[44:45], v44, v[1:2]
	v_lshrrev_b32_e32 v46, 3, v43
	v_sub_u32_e32 v45, 29, v47
	v_cmp_gt_u32_e64 s[0:1], 8, v43
	v_cndmask_b32_e64 v43, v46, v45, s[0:1]
	v_lshl_add_u32 v43, v43, 10, v20
	v_lshlrev_b32_e32 v45, 8, v10
	v_and_b32_e32 v44, 7, v44
	v_and_b32_e32 v43, 0xfc00, v43
	v_cndmask_b32_e64 v42, v42, v44, s[0:1]
	v_and_or_b32 v43, v45, s26, v43
	v_lshl_or_b32 v42, v42, 7, v43
.LBB235_351:                            ;   in Loop: Header=BB235_223 Depth=1
	s_or_b64 exec, exec, s[18:19]
.LBB235_352:                            ;   in Loop: Header=BB235_223 Depth=1
	s_or_b64 exec, exec, s[16:17]
.LBB235_353:                            ;   in Loop: Header=BB235_223 Depth=1
	s_or_b64 exec, exec, s[12:13]
	v_lshrrev_b16_e32 v1, 8, v1
	v_cmp_ne_u16_e64 s[0:1], 0, v1
	v_mov_b32_e32 v43, 0
	s_and_saveexec_b64 s[12:13], s[0:1]
	s_cbranch_execz .LBB235_359
; %bb.354:                              ;   in Loop: Header=BB235_223 Depth=1
	v_cmp_ne_u16_e64 s[0:1], s24, v1
	v_bfrev_b32_e32 v43, 1
	s_and_saveexec_b64 s[16:17], s[0:1]
	s_cbranch_execz .LBB235_358
; %bb.355:                              ;   in Loop: Header=BB235_223 Depth=1
	v_and_b32_e32 v44, 0x7f, v1
	v_cmp_ne_u32_e64 s[0:1], s25, v44
	v_mov_b32_e32 v43, 0x7c010000
	s_and_saveexec_b64 s[18:19], s[0:1]
	s_cbranch_execz .LBB235_357
; %bb.356:                              ;   in Loop: Header=BB235_223 Depth=1
	v_and_b32_e32 v43, 7, v1
	v_ffbh_u32_e32 v45, v43
	v_min_u32_e32 v48, 32, v45
	v_subrev_u32_e32 v45, 28, v48
	v_lshlrev_b64 v[45:46], v45, v[1:2]
	v_lshrrev_b32_e32 v47, 3, v44
	v_sub_u32_e32 v46, 29, v48
	v_cmp_gt_u32_e64 s[0:1], 8, v44
	v_cndmask_b32_e64 v44, v47, v46, s[0:1]
	v_lshlrev_b32_e32 v1, 8, v1
	v_lshl_add_u32 v44, v44, 10, v20
	v_and_b32_e32 v45, 7, v45
	v_and_or_b32 v1, v1, s26, v44
	v_cndmask_b32_e64 v43, v43, v45, s[0:1]
	v_lshlrev_b32_e32 v1, 16, v1
	v_lshl_or_b32 v43, v43, 23, v1
.LBB235_357:                            ;   in Loop: Header=BB235_223 Depth=1
	s_or_b64 exec, exec, s[18:19]
.LBB235_358:                            ;   in Loop: Header=BB235_223 Depth=1
	s_or_b64 exec, exec, s[16:17]
.LBB235_359:                            ;   in Loop: Header=BB235_223 Depth=1
	s_or_b64 exec, exec, s[12:13]
	v_lshrrev_b32_e32 v1, 16, v10
	v_cmp_ne_u16_sdwa s[0:1], v1, v2 src0_sel:BYTE_0 src1_sel:DWORD
	s_and_saveexec_b64 s[12:13], s[0:1]
	s_cbranch_execz .LBB235_365
; %bb.360:                              ;   in Loop: Header=BB235_223 Depth=1
	v_cmp_ne_u16_sdwa s[0:1], v1, s24 src0_sel:BYTE_0 src1_sel:DWORD
	v_mov_b32_e32 v41, 0x8000
	s_and_saveexec_b64 s[16:17], s[0:1]
	s_cbranch_execz .LBB235_364
; %bb.361:                              ;   in Loop: Header=BB235_223 Depth=1
	v_bfe_u32 v44, v10, 16, 7
	v_cmp_ne_u32_e64 s[0:1], s25, v44
	v_mov_b32_e32 v41, 0x7c01
	s_and_saveexec_b64 s[18:19], s[0:1]
	s_cbranch_execz .LBB235_363
; %bb.362:                              ;   in Loop: Header=BB235_223 Depth=1
	v_and_b32_e32 v41, 7, v1
	v_ffbh_u32_e32 v45, v41
	v_min_u32_e32 v48, 32, v45
	v_subrev_u32_e32 v45, 28, v48
	v_lshlrev_b64 v[45:46], v45, v[1:2]
	v_lshrrev_b32_e32 v47, 3, v44
	v_sub_u32_e32 v46, 29, v48
	v_cmp_gt_u32_e64 s[0:1], 8, v44
	v_cndmask_b32_e64 v44, v47, v46, s[0:1]
	v_lshl_add_u32 v44, v44, 10, v20
	v_lshlrev_b32_e32 v1, 8, v1
	v_and_b32_e32 v45, 7, v45
	v_and_b32_e32 v44, 0xfc00, v44
	v_cndmask_b32_e64 v41, v41, v45, s[0:1]
	v_and_or_b32 v1, v1, s26, v44
	v_lshl_or_b32 v41, v41, 7, v1
.LBB235_363:                            ;   in Loop: Header=BB235_223 Depth=1
	s_or_b64 exec, exec, s[18:19]
.LBB235_364:                            ;   in Loop: Header=BB235_223 Depth=1
	s_or_b64 exec, exec, s[16:17]
.LBB235_365:                            ;   in Loop: Header=BB235_223 Depth=1
	s_or_b64 exec, exec, s[12:13]
	v_cmp_lt_u64_e64 s[0:1], s[4:5], v[9:10]
	v_mov_b32_e32 v9, 0
	s_and_saveexec_b64 s[12:13], s[0:1]
	s_cbranch_execz .LBB235_371
; %bb.366:                              ;   in Loop: Header=BB235_223 Depth=1
	v_lshrrev_b32_e32 v1, 24, v10
	v_cmp_ne_u32_e64 s[0:1], s24, v1
	v_bfrev_b32_e32 v9, 1
	s_and_saveexec_b64 s[16:17], s[0:1]
	s_cbranch_execz .LBB235_370
; %bb.367:                              ;   in Loop: Header=BB235_223 Depth=1
	v_and_b32_e32 v10, 0x7f, v1
	v_cmp_ne_u32_e64 s[0:1], s25, v10
	v_mov_b32_e32 v9, 0x7c010000
	s_and_saveexec_b64 s[18:19], s[0:1]
	s_cbranch_execz .LBB235_369
; %bb.368:                              ;   in Loop: Header=BB235_223 Depth=1
	v_and_b32_e32 v9, 7, v1
	v_ffbh_u32_e32 v44, v9
	v_min_u32_e32 v47, 32, v44
	v_subrev_u32_e32 v44, 28, v47
	v_lshlrev_b64 v[44:45], v44, v[1:2]
	v_lshrrev_b32_e32 v46, 3, v10
	v_sub_u32_e32 v45, 29, v47
	v_cmp_gt_u32_e64 s[0:1], 8, v10
	v_cndmask_b32_e64 v10, v46, v45, s[0:1]
	v_lshlrev_b32_e32 v1, 8, v1
	v_lshl_add_u32 v10, v10, 10, v20
	v_and_b32_e32 v44, 7, v44
	v_and_or_b32 v1, v1, s26, v10
	v_cndmask_b32_e64 v9, v9, v44, s[0:1]
	v_lshlrev_b32_e32 v1, 16, v1
	v_lshl_or_b32 v9, v9, 23, v1
.LBB235_369:                            ;   in Loop: Header=BB235_223 Depth=1
	s_or_b64 exec, exec, s[18:19]
.LBB235_370:                            ;   in Loop: Header=BB235_223 Depth=1
	s_or_b64 exec, exec, s[16:17]
.LBB235_371:                            ;   in Loop: Header=BB235_223 Depth=1
	s_or_b64 exec, exec, s[12:13]
	s_waitcnt vmcnt(0)
	v_fma_mixlo_f16 v10, v36, v39, 0 op_sel:[0,1,0] op_sel_hi:[0,1,0]
	v_or_b32_e32 v1, v39, v40
	v_lshlrev_b32_e32 v39, 16, v10
	v_or_b32_e32 v10, v37, v38
	v_fma_mixlo_f16 v37, v36, v37, 0 op_sel:[0,1,0] op_sel_hi:[0,1,0]
	v_lshlrev_b32_e32 v44, 16, v37
	v_or_b32_e32 v37, v43, v42
	v_or_b32_e32 v41, v9, v41
	v_fma_mixlo_f16 v1, v36, v1, 0 op_sel_hi:[0,1,0]
	v_fma_mixlo_f16 v10, v36, v10, 0 op_sel_hi:[0,1,0]
	v_fma_mixlo_f16 v38, v36, v43, 0 op_sel:[0,1,0] op_sel_hi:[0,1,0]
	v_fma_mixlo_f16 v37, v36, v37, 0 op_sel_hi:[0,1,0]
	v_fma_mixlo_f16 v41, v36, v41, 0 op_sel_hi:[0,1,0]
	v_fma_mixlo_f16 v9, v36, v9, 0 op_sel:[0,1,0] op_sel_hi:[0,1,0]
	v_and_b32_e32 v40, 0xffff, v1
	v_and_b32_e32 v45, 0xffff, v10
	v_lshlrev_b32_e32 v38, 16, v38
	v_and_b32_e32 v42, 0xffff, v37
	v_lshlrev_b32_e32 v9, 16, v9
	v_and_b32_e32 v36, 0xffff, v41
	v_or_b32_e32 v1, v39, v40
	v_or_b32_e32 v10, v44, v45
	;; [unrolled: 1-line block ×4, first 2 shown]
	s_and_saveexec_b64 s[12:13], vcc
	s_cbranch_execz .LBB235_373
; %bb.372:                              ;   in Loop: Header=BB235_223 Depth=1
	v_cmp_gt_i32_e64 s[0:1], s30, v21
	v_cndmask_b32_e64 v1, 0, v45, s[0:1]
	v_cmp_gt_i32_e64 s[0:1], s30, v27
	v_cndmask_b32_e64 v10, 0, v44, s[0:1]
	v_cmp_gt_i32_e64 s[0:1], s30, v26
	v_or_b32_e32 v10, v10, v1
	v_cndmask_b32_e64 v1, 0, v40, s[0:1]
	v_cmp_gt_i32_e64 s[0:1], s30, v25
	v_cndmask_b32_e64 v37, 0, v39, s[0:1]
	v_cmp_gt_i32_e64 s[0:1], s30, v24
	v_or_b32_e32 v1, v37, v1
	v_cndmask_b32_e64 v37, 0, v42, s[0:1]
	v_cmp_gt_i32_e64 s[0:1], s30, v23
	v_cndmask_b32_e64 v38, 0, v38, s[0:1]
	v_cmp_gt_i32_e64 s[0:1], s30, v22
	v_cndmask_b32_e64 v36, 0, v36, s[0:1]
	v_cmp_gt_i32_e64 s[0:1], s30, v18
	v_cndmask_b32_e64 v9, 0, v9, s[0:1]
	v_or_b32_e32 v37, v38, v37
	v_or_b32_e32 v41, v9, v36
.LBB235_373:                            ;   in Loop: Header=BB235_223 Depth=1
	s_or_b64 exec, exec, s[12:13]
	;;#ASMSTART
	v_pk_mul_f16 v9, v28, v10;

	;;#ASMEND
	;;#ASMSTART
	v_pk_mul_f16 v1, v29, v1;

	;;#ASMEND
	;; [unrolled: 4-line block ×4, first 2 shown]
	;;#ASMSTART
	v_pk_add_f16 v1, v9, v1;

	;;#ASMEND
	;;#ASMSTART
	v_pk_add_f16 v1, v1, v10;

	;;#ASMEND
	;; [unrolled: 4-line block ×3, first 2 shown]
	v_lshrrev_b32_e32 v10, 16, v1
	v_and_b32_e32 v1, 0xffff, v1
	;;#ASMSTART
	v_cvt_f32_f16 v9, v1;
	;;#ASMEND
	;;#ASMSTART
	v_cvt_f32_f16 v10, v10;
	;;#ASMEND
	global_load_dwordx2 v[7:8], v[7:8], off offset:1536
	v_mov_b32_e32 v37, 0
	global_load_dword v36, v37, s[14:15]
	v_mov_b32_e32 v38, 0
	s_waitcnt vmcnt(1)
	v_cmp_ne_u16_sdwa s[0:1], v7, v2 src0_sel:BYTE_0 src1_sel:DWORD
	s_and_saveexec_b64 s[12:13], s[0:1]
	s_cbranch_execz .LBB235_379
; %bb.374:                              ;   in Loop: Header=BB235_223 Depth=1
	v_cmp_ne_u16_sdwa s[0:1], v7, s24 src0_sel:BYTE_0 src1_sel:DWORD
	v_mov_b32_e32 v38, 0x8000
	s_and_saveexec_b64 s[16:17], s[0:1]
	s_cbranch_execz .LBB235_378
; %bb.375:                              ;   in Loop: Header=BB235_223 Depth=1
	v_and_b32_e32 v1, 0x7f, v7
	v_cmp_ne_u32_e64 s[0:1], s25, v1
	v_mov_b32_e32 v38, 0x7c01
	s_and_saveexec_b64 s[18:19], s[0:1]
	s_cbranch_execz .LBB235_377
; %bb.376:                              ;   in Loop: Header=BB235_223 Depth=1
	v_and_b32_e32 v40, 7, v7
	v_ffbh_u32_e32 v38, v40
	v_min_u32_e32 v42, 32, v38
	v_subrev_u32_e32 v38, 28, v42
	v_lshlrev_b64 v[38:39], v38, v[7:8]
	v_lshrrev_b32_e32 v41, 3, v1
	v_sub_u32_e32 v39, 29, v42
	v_cmp_gt_u32_e64 s[0:1], 8, v1
	v_cndmask_b32_e64 v1, v41, v39, s[0:1]
	v_lshl_add_u32 v1, v1, 10, v20
	v_lshlrev_b32_e32 v39, 8, v7
	v_and_b32_e32 v38, 7, v38
	v_and_b32_e32 v1, 0xfc00, v1
	v_cndmask_b32_e64 v38, v40, v38, s[0:1]
	v_and_or_b32 v1, v39, s26, v1
	v_lshl_or_b32 v38, v38, 7, v1
.LBB235_377:                            ;   in Loop: Header=BB235_223 Depth=1
	s_or_b64 exec, exec, s[18:19]
.LBB235_378:                            ;   in Loop: Header=BB235_223 Depth=1
	s_or_b64 exec, exec, s[16:17]
.LBB235_379:                            ;   in Loop: Header=BB235_223 Depth=1
	s_or_b64 exec, exec, s[12:13]
	v_lshrrev_b16_e32 v1, 8, v7
	v_cmp_ne_u16_e64 s[0:1], 0, v1
	s_and_saveexec_b64 s[12:13], s[0:1]
	s_cbranch_execz .LBB235_385
; %bb.380:                              ;   in Loop: Header=BB235_223 Depth=1
	v_cmp_ne_u16_e64 s[0:1], s24, v1
	v_bfrev_b32_e32 v37, 1
	s_and_saveexec_b64 s[16:17], s[0:1]
	s_cbranch_execz .LBB235_384
; %bb.381:                              ;   in Loop: Header=BB235_223 Depth=1
	v_and_b32_e32 v39, 0x7f, v1
	v_cmp_ne_u32_e64 s[0:1], s25, v39
	v_mov_b32_e32 v37, 0x7c010000
	s_and_saveexec_b64 s[18:19], s[0:1]
	s_cbranch_execz .LBB235_383
; %bb.382:                              ;   in Loop: Header=BB235_223 Depth=1
	v_and_b32_e32 v37, 7, v1
	v_ffbh_u32_e32 v40, v37
	v_min_u32_e32 v43, 32, v40
	v_subrev_u32_e32 v40, 28, v43
	v_lshlrev_b64 v[40:41], v40, v[1:2]
	v_lshrrev_b32_e32 v42, 3, v39
	v_sub_u32_e32 v41, 29, v43
	v_cmp_gt_u32_e64 s[0:1], 8, v39
	v_cndmask_b32_e64 v39, v42, v41, s[0:1]
	v_lshlrev_b32_e32 v1, 8, v1
	v_lshl_add_u32 v39, v39, 10, v20
	v_and_b32_e32 v40, 7, v40
	v_and_or_b32 v1, v1, s26, v39
	v_cndmask_b32_e64 v37, v37, v40, s[0:1]
	v_lshlrev_b32_e32 v1, 16, v1
	v_lshl_or_b32 v37, v37, 23, v1
.LBB235_383:                            ;   in Loop: Header=BB235_223 Depth=1
	s_or_b64 exec, exec, s[18:19]
.LBB235_384:                            ;   in Loop: Header=BB235_223 Depth=1
	s_or_b64 exec, exec, s[16:17]
.LBB235_385:                            ;   in Loop: Header=BB235_223 Depth=1
	s_or_b64 exec, exec, s[12:13]
	v_lshrrev_b32_e32 v1, 16, v7
	v_cmp_ne_u16_sdwa s[0:1], v1, v2 src0_sel:BYTE_0 src1_sel:DWORD
	v_mov_b32_e32 v39, 0
	v_mov_b32_e32 v40, 0
	s_and_saveexec_b64 s[12:13], s[0:1]
	s_cbranch_execz .LBB235_391
; %bb.386:                              ;   in Loop: Header=BB235_223 Depth=1
	v_cmp_ne_u16_sdwa s[0:1], v1, s24 src0_sel:BYTE_0 src1_sel:DWORD
	v_mov_b32_e32 v40, 0x8000
	s_and_saveexec_b64 s[16:17], s[0:1]
	s_cbranch_execz .LBB235_390
; %bb.387:                              ;   in Loop: Header=BB235_223 Depth=1
	v_bfe_u32 v41, v7, 16, 7
	v_cmp_ne_u32_e64 s[0:1], s25, v41
	v_mov_b32_e32 v40, 0x7c01
	s_and_saveexec_b64 s[18:19], s[0:1]
	s_cbranch_execz .LBB235_389
; %bb.388:                              ;   in Loop: Header=BB235_223 Depth=1
	v_and_b32_e32 v40, 7, v1
	v_ffbh_u32_e32 v42, v40
	v_min_u32_e32 v45, 32, v42
	v_subrev_u32_e32 v42, 28, v45
	v_lshlrev_b64 v[42:43], v42, v[1:2]
	v_lshrrev_b32_e32 v44, 3, v41
	v_sub_u32_e32 v43, 29, v45
	v_cmp_gt_u32_e64 s[0:1], 8, v41
	v_cndmask_b32_e64 v41, v44, v43, s[0:1]
	v_lshl_add_u32 v41, v41, 10, v20
	v_lshlrev_b32_e32 v1, 8, v1
	v_and_b32_e32 v42, 7, v42
	v_and_b32_e32 v41, 0xfc00, v41
	v_cndmask_b32_e64 v40, v40, v42, s[0:1]
	v_and_or_b32 v1, v1, s26, v41
	v_lshl_or_b32 v40, v40, 7, v1
.LBB235_389:                            ;   in Loop: Header=BB235_223 Depth=1
	s_or_b64 exec, exec, s[18:19]
.LBB235_390:                            ;   in Loop: Header=BB235_223 Depth=1
	s_or_b64 exec, exec, s[16:17]
.LBB235_391:                            ;   in Loop: Header=BB235_223 Depth=1
	s_or_b64 exec, exec, s[12:13]
	v_cmp_lt_u32_e64 s[0:1], s5, v7
	s_and_saveexec_b64 s[12:13], s[0:1]
	s_cbranch_execz .LBB235_397
; %bb.392:                              ;   in Loop: Header=BB235_223 Depth=1
	v_lshrrev_b32_e32 v1, 24, v7
	v_cmp_ne_u32_e64 s[0:1], s24, v1
	v_bfrev_b32_e32 v39, 1
	s_and_saveexec_b64 s[16:17], s[0:1]
	s_cbranch_execz .LBB235_396
; %bb.393:                              ;   in Loop: Header=BB235_223 Depth=1
	v_and_b32_e32 v41, 0x7f, v1
	v_cmp_ne_u32_e64 s[0:1], s25, v41
	v_mov_b32_e32 v39, 0x7c010000
	s_and_saveexec_b64 s[18:19], s[0:1]
	s_cbranch_execz .LBB235_395
; %bb.394:                              ;   in Loop: Header=BB235_223 Depth=1
	v_and_b32_e32 v39, 7, v1
	v_ffbh_u32_e32 v42, v39
	v_min_u32_e32 v45, 32, v42
	v_subrev_u32_e32 v42, 28, v45
	v_lshlrev_b64 v[42:43], v42, v[1:2]
	v_lshrrev_b32_e32 v44, 3, v41
	v_sub_u32_e32 v43, 29, v45
	v_cmp_gt_u32_e64 s[0:1], 8, v41
	v_cndmask_b32_e64 v41, v44, v43, s[0:1]
	v_lshlrev_b32_e32 v1, 8, v1
	v_lshl_add_u32 v41, v41, 10, v20
	v_and_b32_e32 v42, 7, v42
	v_and_or_b32 v1, v1, s26, v41
	v_cndmask_b32_e64 v39, v39, v42, s[0:1]
	v_lshlrev_b32_e32 v1, 16, v1
	v_lshl_or_b32 v39, v39, 23, v1
.LBB235_395:                            ;   in Loop: Header=BB235_223 Depth=1
	s_or_b64 exec, exec, s[18:19]
.LBB235_396:                            ;   in Loop: Header=BB235_223 Depth=1
	s_or_b64 exec, exec, s[16:17]
.LBB235_397:                            ;   in Loop: Header=BB235_223 Depth=1
	s_or_b64 exec, exec, s[12:13]
	v_mov_b32_e32 v1, v8
	v_cmp_ne_u16_sdwa s[0:1], v8, v2 src0_sel:BYTE_0 src1_sel:DWORD
	v_mov_b32_e32 v41, 0
	v_mov_b32_e32 v42, 0
	s_and_saveexec_b64 s[12:13], s[0:1]
	s_cbranch_execz .LBB235_403
; %bb.398:                              ;   in Loop: Header=BB235_223 Depth=1
	v_cmp_ne_u16_sdwa s[0:1], v8, s24 src0_sel:BYTE_0 src1_sel:DWORD
	v_mov_b32_e32 v42, 0x8000
	s_and_saveexec_b64 s[16:17], s[0:1]
	s_cbranch_execz .LBB235_402
; %bb.399:                              ;   in Loop: Header=BB235_223 Depth=1
	v_and_b32_e32 v43, 0x7f, v8
	v_cmp_ne_u32_e64 s[0:1], s25, v43
	v_mov_b32_e32 v42, 0x7c01
	s_and_saveexec_b64 s[18:19], s[0:1]
	s_cbranch_execz .LBB235_401
; %bb.400:                              ;   in Loop: Header=BB235_223 Depth=1
	v_and_b32_e32 v42, 7, v8
	v_ffbh_u32_e32 v44, v42
	v_min_u32_e32 v47, 32, v44
	v_subrev_u32_e32 v44, 28, v47
	v_lshlrev_b64 v[44:45], v44, v[1:2]
	v_lshrrev_b32_e32 v46, 3, v43
	v_sub_u32_e32 v45, 29, v47
	v_cmp_gt_u32_e64 s[0:1], 8, v43
	v_cndmask_b32_e64 v43, v46, v45, s[0:1]
	v_lshl_add_u32 v43, v43, 10, v20
	v_lshlrev_b32_e32 v45, 8, v8
	v_and_b32_e32 v44, 7, v44
	v_and_b32_e32 v43, 0xfc00, v43
	v_cndmask_b32_e64 v42, v42, v44, s[0:1]
	v_and_or_b32 v43, v45, s26, v43
	v_lshl_or_b32 v42, v42, 7, v43
.LBB235_401:                            ;   in Loop: Header=BB235_223 Depth=1
	s_or_b64 exec, exec, s[18:19]
.LBB235_402:                            ;   in Loop: Header=BB235_223 Depth=1
	s_or_b64 exec, exec, s[16:17]
.LBB235_403:                            ;   in Loop: Header=BB235_223 Depth=1
	s_or_b64 exec, exec, s[12:13]
	v_lshrrev_b16_e32 v1, 8, v1
	v_cmp_ne_u16_e64 s[0:1], 0, v1
	v_mov_b32_e32 v43, 0
	s_and_saveexec_b64 s[12:13], s[0:1]
	s_cbranch_execz .LBB235_409
; %bb.404:                              ;   in Loop: Header=BB235_223 Depth=1
	v_cmp_ne_u16_e64 s[0:1], s24, v1
	v_bfrev_b32_e32 v43, 1
	s_and_saveexec_b64 s[16:17], s[0:1]
	s_cbranch_execz .LBB235_408
; %bb.405:                              ;   in Loop: Header=BB235_223 Depth=1
	v_and_b32_e32 v44, 0x7f, v1
	v_cmp_ne_u32_e64 s[0:1], s25, v44
	v_mov_b32_e32 v43, 0x7c010000
	s_and_saveexec_b64 s[18:19], s[0:1]
	s_cbranch_execz .LBB235_407
; %bb.406:                              ;   in Loop: Header=BB235_223 Depth=1
	v_and_b32_e32 v43, 7, v1
	v_ffbh_u32_e32 v45, v43
	v_min_u32_e32 v48, 32, v45
	v_subrev_u32_e32 v45, 28, v48
	v_lshlrev_b64 v[45:46], v45, v[1:2]
	v_lshrrev_b32_e32 v47, 3, v44
	v_sub_u32_e32 v46, 29, v48
	v_cmp_gt_u32_e64 s[0:1], 8, v44
	v_cndmask_b32_e64 v44, v47, v46, s[0:1]
	v_lshlrev_b32_e32 v1, 8, v1
	v_lshl_add_u32 v44, v44, 10, v20
	v_and_b32_e32 v45, 7, v45
	v_and_or_b32 v1, v1, s26, v44
	v_cndmask_b32_e64 v43, v43, v45, s[0:1]
	v_lshlrev_b32_e32 v1, 16, v1
	v_lshl_or_b32 v43, v43, 23, v1
.LBB235_407:                            ;   in Loop: Header=BB235_223 Depth=1
	s_or_b64 exec, exec, s[18:19]
.LBB235_408:                            ;   in Loop: Header=BB235_223 Depth=1
	s_or_b64 exec, exec, s[16:17]
.LBB235_409:                            ;   in Loop: Header=BB235_223 Depth=1
	s_or_b64 exec, exec, s[12:13]
	v_lshrrev_b32_e32 v1, 16, v8
	v_cmp_ne_u16_sdwa s[0:1], v1, v2 src0_sel:BYTE_0 src1_sel:DWORD
	s_and_saveexec_b64 s[12:13], s[0:1]
	s_cbranch_execz .LBB235_415
; %bb.410:                              ;   in Loop: Header=BB235_223 Depth=1
	v_cmp_ne_u16_sdwa s[0:1], v1, s24 src0_sel:BYTE_0 src1_sel:DWORD
	v_mov_b32_e32 v41, 0x8000
	s_and_saveexec_b64 s[16:17], s[0:1]
	s_cbranch_execz .LBB235_414
; %bb.411:                              ;   in Loop: Header=BB235_223 Depth=1
	v_bfe_u32 v44, v8, 16, 7
	v_cmp_ne_u32_e64 s[0:1], s25, v44
	v_mov_b32_e32 v41, 0x7c01
	s_and_saveexec_b64 s[18:19], s[0:1]
	s_cbranch_execz .LBB235_413
; %bb.412:                              ;   in Loop: Header=BB235_223 Depth=1
	v_and_b32_e32 v41, 7, v1
	v_ffbh_u32_e32 v45, v41
	v_min_u32_e32 v48, 32, v45
	v_subrev_u32_e32 v45, 28, v48
	v_lshlrev_b64 v[45:46], v45, v[1:2]
	v_lshrrev_b32_e32 v47, 3, v44
	v_sub_u32_e32 v46, 29, v48
	v_cmp_gt_u32_e64 s[0:1], 8, v44
	v_cndmask_b32_e64 v44, v47, v46, s[0:1]
	v_lshl_add_u32 v44, v44, 10, v20
	v_lshlrev_b32_e32 v1, 8, v1
	v_and_b32_e32 v45, 7, v45
	v_and_b32_e32 v44, 0xfc00, v44
	v_cndmask_b32_e64 v41, v41, v45, s[0:1]
	v_and_or_b32 v1, v1, s26, v44
	v_lshl_or_b32 v41, v41, 7, v1
.LBB235_413:                            ;   in Loop: Header=BB235_223 Depth=1
	s_or_b64 exec, exec, s[18:19]
.LBB235_414:                            ;   in Loop: Header=BB235_223 Depth=1
	s_or_b64 exec, exec, s[16:17]
.LBB235_415:                            ;   in Loop: Header=BB235_223 Depth=1
	s_or_b64 exec, exec, s[12:13]
	v_cmp_lt_u64_e64 s[0:1], s[4:5], v[7:8]
	v_mov_b32_e32 v44, 0
	s_and_saveexec_b64 s[12:13], s[0:1]
	s_cbranch_execz .LBB235_421
; %bb.416:                              ;   in Loop: Header=BB235_223 Depth=1
	v_lshrrev_b32_e32 v1, 24, v8
	v_cmp_ne_u32_e64 s[0:1], s24, v1
	v_bfrev_b32_e32 v44, 1
	s_and_saveexec_b64 s[16:17], s[0:1]
	s_cbranch_execz .LBB235_420
; %bb.417:                              ;   in Loop: Header=BB235_223 Depth=1
	v_and_b32_e32 v7, 0x7f, v1
	v_cmp_ne_u32_e64 s[0:1], s25, v7
	v_mov_b32_e32 v44, 0x7c010000
	s_and_saveexec_b64 s[18:19], s[0:1]
	s_cbranch_execz .LBB235_419
; %bb.418:                              ;   in Loop: Header=BB235_223 Depth=1
	v_and_b32_e32 v8, 7, v1
	v_ffbh_u32_e32 v44, v8
	v_min_u32_e32 v47, 32, v44
	v_subrev_u32_e32 v44, 28, v47
	v_lshlrev_b64 v[44:45], v44, v[1:2]
	v_lshrrev_b32_e32 v46, 3, v7
	v_sub_u32_e32 v45, 29, v47
	v_cmp_gt_u32_e64 s[0:1], 8, v7
	v_cndmask_b32_e64 v7, v46, v45, s[0:1]
	v_lshlrev_b32_e32 v1, 8, v1
	v_lshl_add_u32 v7, v7, 10, v20
	v_and_b32_e32 v44, 7, v44
	v_and_or_b32 v1, v1, s26, v7
	v_cndmask_b32_e64 v8, v8, v44, s[0:1]
	v_lshlrev_b32_e32 v1, 16, v1
	v_lshl_or_b32 v44, v8, 23, v1
.LBB235_419:                            ;   in Loop: Header=BB235_223 Depth=1
	s_or_b64 exec, exec, s[18:19]
.LBB235_420:                            ;   in Loop: Header=BB235_223 Depth=1
	s_or_b64 exec, exec, s[16:17]
.LBB235_421:                            ;   in Loop: Header=BB235_223 Depth=1
	s_or_b64 exec, exec, s[12:13]
	s_waitcnt vmcnt(0)
	v_fma_mixlo_f16 v7, v36, v39, 0 op_sel:[0,1,0] op_sel_hi:[0,1,0]
	v_fma_mixlo_f16 v8, v36, v37, 0 op_sel:[0,1,0] op_sel_hi:[0,1,0]
	v_or_b32_e32 v1, v39, v40
	v_lshlrev_b32_e32 v39, 16, v7
	v_or_b32_e32 v7, v37, v38
	v_lshlrev_b32_e32 v45, 16, v8
	v_or_b32_e32 v8, v43, v42
	v_or_b32_e32 v38, v44, v41
	v_fma_mixlo_f16 v1, v36, v1, 0 op_sel_hi:[0,1,0]
	v_fma_mixlo_f16 v7, v36, v7, 0 op_sel_hi:[0,1,0]
	v_fma_mixlo_f16 v37, v36, v43, 0 op_sel:[0,1,0] op_sel_hi:[0,1,0]
	v_fma_mixlo_f16 v8, v36, v8, 0 op_sel_hi:[0,1,0]
	v_fma_mixlo_f16 v41, v36, v38, 0 op_sel_hi:[0,1,0]
	v_fma_mixlo_f16 v36, v36, v44, 0 op_sel:[0,1,0] op_sel_hi:[0,1,0]
	v_and_b32_e32 v40, 0xffff, v1
	v_and_b32_e32 v46, 0xffff, v7
	v_lshlrev_b32_e32 v37, 16, v37
	v_and_b32_e32 v42, 0xffff, v8
	v_lshlrev_b32_e32 v38, 16, v36
	v_and_b32_e32 v41, 0xffff, v41
	v_or_b32_e32 v1, v39, v40
	v_or_b32_e32 v7, v45, v46
	;; [unrolled: 1-line block ×4, first 2 shown]
	s_and_saveexec_b64 s[0:1], vcc
	s_cbranch_execz .LBB235_222
; %bb.422:                              ;   in Loop: Header=BB235_223 Depth=1
	v_cmp_gt_i32_e32 vcc, s30, v21
	v_cndmask_b32_e32 v1, 0, v46, vcc
	v_cmp_gt_i32_e32 vcc, s30, v27
	v_cndmask_b32_e32 v7, 0, v45, vcc
	v_cmp_gt_i32_e32 vcc, s30, v26
	v_or_b32_e32 v7, v7, v1
	v_cndmask_b32_e32 v1, 0, v40, vcc
	v_cmp_gt_i32_e32 vcc, s30, v25
	v_cndmask_b32_e32 v8, 0, v39, vcc
	v_cmp_gt_i32_e32 vcc, s30, v24
	v_or_b32_e32 v1, v8, v1
	;; [unrolled: 5-line block ×3, first 2 shown]
	v_cndmask_b32_e32 v21, 0, v41, vcc
	v_cmp_gt_i32_e32 vcc, s30, v18
	v_cndmask_b32_e32 v22, 0, v38, vcc
	v_or_b32_e32 v36, v22, v21
	s_branch .LBB235_222
.LBB235_423:
	s_or_b64 exec, exec, s[6:7]
.LBB235_424:
	s_or_b64 exec, exec, s[2:3]
	v_and_b32_e32 v1, 0x3c0, v0
	v_cmp_eq_u32_e32 vcc, 64, v1
	s_barrier
	s_and_saveexec_b64 s[0:1], vcc
	s_cbranch_execz .LBB235_426
; %bb.425:
	v_mov_b32_e32 v1, 0x210
	v_lshl_add_u32 v1, v13, 2, v1
	ds_write2st64_b32 v1, v17, v16 offset1:1
	ds_write2st64_b32 v1, v15, v14 offset0:2 offset1:3
.LBB235_426:
	s_or_b64 exec, exec, s[0:1]
	v_cmp_gt_u32_e32 vcc, 64, v0
	s_waitcnt lgkmcnt(0)
	s_barrier
	s_and_saveexec_b64 s[0:1], vcc
	s_cbranch_execz .LBB235_428
; %bb.427:
	v_mov_b32_e32 v1, 0x210
	v_lshl_add_u32 v2, v0, 2, v1
	ds_read2st64_b32 v[0:1], v2 offset1:1
	ds_read2st64_b32 v[2:3], v2 offset0:2 offset1:3
	s_waitcnt lgkmcnt(1)
	v_add_f32_e32 v17, v17, v0
	v_add_f32_e32 v16, v16, v1
	s_waitcnt lgkmcnt(0)
	v_add_f32_e32 v15, v15, v2
	v_add_f32_e32 v14, v14, v3
.LBB235_428:
	s_or_b64 exec, exec, s[0:1]
	s_barrier
	s_and_saveexec_b64 s[0:1], vcc
	s_cbranch_execz .LBB235_430
; %bb.429:
	s_mul_i32 s0, s10, s11
	s_mul_i32 s0, s0, s9
	s_lshl_b32 s0, s0, 8
	s_ashr_i32 s1, s0, 31
	s_lshl_b64 s[0:1], s[0:1], 1
	s_add_u32 s2, s22, s0
	s_mul_i32 s0, s11, s20
	s_addc_u32 s3, s23, s1
	s_ashr_i32 s1, s0, 31
	s_lshl_b64 s[0:1], s[0:1], 1
	s_add_u32 s2, s2, s0
	s_addc_u32 s3, s3, s1
	s_lshl_b32 s0, s8, 8
	s_ashr_i32 s1, s0, 31
	s_lshl_b64 s[0:1], s[0:1], 1
	s_add_u32 s0, s2, s0
	s_addc_u32 s1, s3, s1
	;;#ASMSTART
	v_cvt_f16_f32 v0, v17;

	;;#ASMEND
	global_store_short v11, v0, s[0:1]
	;;#ASMSTART
	v_cvt_f16_f32 v0, v16;

	;;#ASMEND
	global_store_short v11, v0, s[0:1] offset:128
	;;#ASMSTART
	v_cvt_f16_f32 v0, v15;

	;;#ASMEND
	global_store_short v11, v0, s[0:1] offset:256
	;; [unrolled: 5-line block ×3, first 2 shown]
.LBB235_430:
	s_endpgm
	.section	.rodata,"a",@progbits
	.p2align	6, 0x0
	.amdhsa_kernel _ZN4vllm25paged_attention_v1_kernelIthLi256ELi8ELi128ELNS_18Fp8KVCacheDataTypeE1ELb0EEEvPT_PKS2_PKT0_S8_ifPKiSA_iPKfiiiSC_SC_iiiii
		.amdhsa_group_segment_fixed_size 528
		.amdhsa_private_segment_fixed_size 0
		.amdhsa_kernarg_size 384
		.amdhsa_user_sgpr_count 6
		.amdhsa_user_sgpr_private_segment_buffer 1
		.amdhsa_user_sgpr_dispatch_ptr 0
		.amdhsa_user_sgpr_queue_ptr 0
		.amdhsa_user_sgpr_kernarg_segment_ptr 1
		.amdhsa_user_sgpr_dispatch_id 0
		.amdhsa_user_sgpr_flat_scratch_init 0
		.amdhsa_user_sgpr_private_segment_size 0
		.amdhsa_uses_dynamic_stack 0
		.amdhsa_system_sgpr_private_segment_wavefront_offset 0
		.amdhsa_system_sgpr_workgroup_id_x 1
		.amdhsa_system_sgpr_workgroup_id_y 1
		.amdhsa_system_sgpr_workgroup_id_z 1
		.amdhsa_system_sgpr_workgroup_info 0
		.amdhsa_system_vgpr_workitem_id 0
		.amdhsa_next_free_vgpr 57
		.amdhsa_next_free_sgpr 44
		.amdhsa_reserve_vcc 1
		.amdhsa_reserve_flat_scratch 0
		.amdhsa_float_round_mode_32 0
		.amdhsa_float_round_mode_16_64 0
		.amdhsa_float_denorm_mode_32 3
		.amdhsa_float_denorm_mode_16_64 3
		.amdhsa_dx10_clamp 1
		.amdhsa_ieee_mode 1
		.amdhsa_fp16_overflow 0
		.amdhsa_exception_fp_ieee_invalid_op 0
		.amdhsa_exception_fp_denorm_src 0
		.amdhsa_exception_fp_ieee_div_zero 0
		.amdhsa_exception_fp_ieee_overflow 0
		.amdhsa_exception_fp_ieee_underflow 0
		.amdhsa_exception_fp_ieee_inexact 0
		.amdhsa_exception_int_div_zero 0
	.end_amdhsa_kernel
	.section	.text._ZN4vllm25paged_attention_v1_kernelIthLi256ELi8ELi128ELNS_18Fp8KVCacheDataTypeE1ELb0EEEvPT_PKS2_PKT0_S8_ifPKiSA_iPKfiiiSC_SC_iiiii,"axG",@progbits,_ZN4vllm25paged_attention_v1_kernelIthLi256ELi8ELi128ELNS_18Fp8KVCacheDataTypeE1ELb0EEEvPT_PKS2_PKT0_S8_ifPKiSA_iPKfiiiSC_SC_iiiii,comdat
.Lfunc_end235:
	.size	_ZN4vllm25paged_attention_v1_kernelIthLi256ELi8ELi128ELNS_18Fp8KVCacheDataTypeE1ELb0EEEvPT_PKS2_PKT0_S8_ifPKiSA_iPKfiiiSC_SC_iiiii, .Lfunc_end235-_ZN4vllm25paged_attention_v1_kernelIthLi256ELi8ELi128ELNS_18Fp8KVCacheDataTypeE1ELb0EEEvPT_PKS2_PKT0_S8_ifPKiSA_iPKfiiiSC_SC_iiiii
                                        ; -- End function
	.set _ZN4vllm25paged_attention_v1_kernelIthLi256ELi8ELi128ELNS_18Fp8KVCacheDataTypeE1ELb0EEEvPT_PKS2_PKT0_S8_ifPKiSA_iPKfiiiSC_SC_iiiii.num_vgpr, 57
	.set _ZN4vllm25paged_attention_v1_kernelIthLi256ELi8ELi128ELNS_18Fp8KVCacheDataTypeE1ELb0EEEvPT_PKS2_PKT0_S8_ifPKiSA_iPKfiiiSC_SC_iiiii.num_agpr, 0
	.set _ZN4vllm25paged_attention_v1_kernelIthLi256ELi8ELi128ELNS_18Fp8KVCacheDataTypeE1ELb0EEEvPT_PKS2_PKT0_S8_ifPKiSA_iPKfiiiSC_SC_iiiii.numbered_sgpr, 44
	.set _ZN4vllm25paged_attention_v1_kernelIthLi256ELi8ELi128ELNS_18Fp8KVCacheDataTypeE1ELb0EEEvPT_PKS2_PKT0_S8_ifPKiSA_iPKfiiiSC_SC_iiiii.num_named_barrier, 0
	.set _ZN4vllm25paged_attention_v1_kernelIthLi256ELi8ELi128ELNS_18Fp8KVCacheDataTypeE1ELb0EEEvPT_PKS2_PKT0_S8_ifPKiSA_iPKfiiiSC_SC_iiiii.private_seg_size, 0
	.set _ZN4vllm25paged_attention_v1_kernelIthLi256ELi8ELi128ELNS_18Fp8KVCacheDataTypeE1ELb0EEEvPT_PKS2_PKT0_S8_ifPKiSA_iPKfiiiSC_SC_iiiii.uses_vcc, 1
	.set _ZN4vllm25paged_attention_v1_kernelIthLi256ELi8ELi128ELNS_18Fp8KVCacheDataTypeE1ELb0EEEvPT_PKS2_PKT0_S8_ifPKiSA_iPKfiiiSC_SC_iiiii.uses_flat_scratch, 0
	.set _ZN4vllm25paged_attention_v1_kernelIthLi256ELi8ELi128ELNS_18Fp8KVCacheDataTypeE1ELb0EEEvPT_PKS2_PKT0_S8_ifPKiSA_iPKfiiiSC_SC_iiiii.has_dyn_sized_stack, 0
	.set _ZN4vllm25paged_attention_v1_kernelIthLi256ELi8ELi128ELNS_18Fp8KVCacheDataTypeE1ELb0EEEvPT_PKS2_PKT0_S8_ifPKiSA_iPKfiiiSC_SC_iiiii.has_recursion, 0
	.set _ZN4vllm25paged_attention_v1_kernelIthLi256ELi8ELi128ELNS_18Fp8KVCacheDataTypeE1ELb0EEEvPT_PKS2_PKT0_S8_ifPKiSA_iPKfiiiSC_SC_iiiii.has_indirect_call, 0
	.section	.AMDGPU.csdata,"",@progbits
; Kernel info:
; codeLenInByte = 17800
; TotalNumSgprs: 48
; NumVgprs: 57
; ScratchSize: 0
; MemoryBound: 0
; FloatMode: 240
; IeeeMode: 1
; LDSByteSize: 528 bytes/workgroup (compile time only)
; SGPRBlocks: 5
; VGPRBlocks: 14
; NumSGPRsForWavesPerEU: 48
; NumVGPRsForWavesPerEU: 57
; Occupancy: 4
; WaveLimiterHint : 1
; COMPUTE_PGM_RSRC2:SCRATCH_EN: 0
; COMPUTE_PGM_RSRC2:USER_SGPR: 6
; COMPUTE_PGM_RSRC2:TRAP_HANDLER: 0
; COMPUTE_PGM_RSRC2:TGID_X_EN: 1
; COMPUTE_PGM_RSRC2:TGID_Y_EN: 1
; COMPUTE_PGM_RSRC2:TGID_Z_EN: 1
; COMPUTE_PGM_RSRC2:TIDIG_COMP_CNT: 0
	.section	.text._ZN4vllm25paged_attention_v1_kernelIthLi32ELi16ELi128ELNS_18Fp8KVCacheDataTypeE1ELb1EEEvPT_PKS2_PKT0_S8_ifPKiSA_iPKfiiiSC_SC_iiiii,"axG",@progbits,_ZN4vllm25paged_attention_v1_kernelIthLi32ELi16ELi128ELNS_18Fp8KVCacheDataTypeE1ELb1EEEvPT_PKS2_PKT0_S8_ifPKiSA_iPKfiiiSC_SC_iiiii,comdat
	.protected	_ZN4vllm25paged_attention_v1_kernelIthLi32ELi16ELi128ELNS_18Fp8KVCacheDataTypeE1ELb1EEEvPT_PKS2_PKT0_S8_ifPKiSA_iPKfiiiSC_SC_iiiii ; -- Begin function _ZN4vllm25paged_attention_v1_kernelIthLi32ELi16ELi128ELNS_18Fp8KVCacheDataTypeE1ELb1EEEvPT_PKS2_PKT0_S8_ifPKiSA_iPKfiiiSC_SC_iiiii
	.globl	_ZN4vllm25paged_attention_v1_kernelIthLi32ELi16ELi128ELNS_18Fp8KVCacheDataTypeE1ELb1EEEvPT_PKS2_PKT0_S8_ifPKiSA_iPKfiiiSC_SC_iiiii
	.p2align	8
	.type	_ZN4vllm25paged_attention_v1_kernelIthLi32ELi16ELi128ELNS_18Fp8KVCacheDataTypeE1ELb1EEEvPT_PKS2_PKT0_S8_ifPKiSA_iPKfiiiSC_SC_iiiii,@function
_ZN4vllm25paged_attention_v1_kernelIthLi32ELi16ELi128ELNS_18Fp8KVCacheDataTypeE1ELb1EEEvPT_PKS2_PKT0_S8_ifPKiSA_iPKfiiiSC_SC_iiiii: ; @_ZN4vllm25paged_attention_v1_kernelIthLi32ELi16ELi128ELNS_18Fp8KVCacheDataTypeE1ELb1EEEvPT_PKS2_PKT0_S8_ifPKiSA_iPKfiiiSC_SC_iiiii
; %bb.0:
	s_load_dword s9, s[4:5], 0x80
	s_load_dwordx2 s[0:1], s[4:5], 0x30
	s_load_dwordx2 s[36:37], s[4:5], 0x20
	s_mov_b32 s10, s7
	s_ashr_i32 s11, s7, 31
	s_lshl_b64 s[2:3], s[10:11], 2
	s_waitcnt lgkmcnt(0)
	s_add_u32 s0, s0, s2
	s_addc_u32 s1, s1, s3
	s_abs_i32 s2, s36
	v_cvt_f32_u32_e32 v1, s2
	s_sub_i32 s11, 0, s2
	s_abs_i32 s7, s9
	s_xor_b32 s3, s9, s36
	v_rcp_iflag_f32_e32 v1, v1
	s_ashr_i32 s3, s3, 31
	s_mov_b32 s48, 0
	v_mul_f32_e32 v1, 0x4f7ffffe, v1
	v_cvt_u32_f32_e32 v1, v1
	v_readfirstlane_b32 s12, v1
	s_mul_i32 s11, s11, s12
	s_mul_hi_u32 s11, s12, s11
	s_add_i32 s12, s12, s11
	s_mul_hi_u32 s11, s7, s12
	s_mul_i32 s12, s11, s2
	s_sub_i32 s7, s7, s12
	s_add_i32 s12, s11, 1
	s_sub_i32 s13, s7, s2
	s_cmp_ge_u32 s7, s2
	s_cselect_b32 s11, s12, s11
	s_cselect_b32 s7, s13, s7
	s_add_i32 s12, s11, 1
	s_cmp_ge_u32 s7, s2
	s_cselect_b32 s2, s12, s11
	s_xor_b32 s2, s2, s3
	s_sub_i32 s15, s2, s3
	s_abs_i32 s12, s15
	v_cvt_f32_u32_e32 v1, s12
	s_load_dwordx2 s[2:3], s[4:5], 0x40
	s_sub_i32 s7, 0, s12
	s_abs_i32 s13, s6
	v_rcp_iflag_f32_e32 v1, v1
	v_mul_f32_e32 v1, 0x4f7ffffe, v1
	v_cvt_u32_f32_e32 v1, v1
	v_readfirstlane_b32 s11, v1
	s_mul_i32 s7, s7, s11
	s_mul_hi_u32 s7, s11, s7
	s_add_i32 s11, s11, s7
	s_waitcnt lgkmcnt(0)
	s_cmp_eq_u64 s[2:3], 0
	s_mul_hi_u32 s14, s13, s11
	s_cbranch_scc1 .LBB236_2
; %bb.1:
	s_ashr_i32 s7, s6, 31
	s_lshl_b64 s[16:17], s[6:7], 2
	s_add_u32 s2, s2, s16
	s_addc_u32 s3, s3, s17
	s_load_dword s48, s[2:3], 0x0
.LBB236_2:
	s_load_dword s11, s[0:1], 0x0
	s_load_dwordx4 s[16:19], s[4:5], 0x48
	s_ashr_i32 s3, s6, 31
	s_ashr_i32 s7, s15, 31
	v_and_b32_e32 v1, 3, v0
	s_lshl_b32 s24, s6, 5
	v_cmp_gt_u32_e32 vcc, 16, v0
	s_and_saveexec_b64 s[0:1], vcc
	s_cbranch_execz .LBB236_4
; %bb.3:
	s_load_dwordx2 s[20:21], s[4:5], 0x8
	s_waitcnt lgkmcnt(0)
	s_mul_i32 s22, s16, s10
	s_ashr_i32 s23, s22, 31
	s_lshl_b64 s[22:23], s[22:23], 1
	v_lshlrev_b32_e32 v2, 2, v0
	s_add_u32 s2, s20, s22
	s_addc_u32 s15, s21, s23
	s_ashr_i32 s25, s24, 31
	s_lshl_b64 s[20:21], s[24:25], 1
	s_add_u32 s20, s2, s20
	s_addc_u32 s21, s15, s21
	global_load_dword v2, v2, s[20:21]
	v_and_b32_e32 v3, 0x3fc, v0
	v_lshl_add_u32 v3, v1, 4, v3
	s_waitcnt vmcnt(0)
	ds_write_b32 v3, v2
.LBB236_4:
	s_or_b64 exec, exec, s[0:1]
	s_mul_i32 s1, s14, s12
	s_sub_i32 s1, s13, s1
	s_xor_b32 s0, s3, s7
	s_add_i32 s3, s14, 1
	s_sub_i32 s7, s1, s12
	s_load_dwordx4 s[20:23], s[4:5], 0x68
	s_load_dword s2, s[4:5], 0x78
	s_cmp_ge_u32 s1, s12
	s_cselect_b32 s3, s3, s14
	s_cselect_b32 s1, s7, s1
	s_add_i32 s7, s3, 1
	s_cmp_ge_u32 s1, s12
	s_cselect_b32 s1, s7, s3
	s_waitcnt lgkmcnt(0)
	s_abs_i32 s25, s23
	v_cvt_f32_u32_e32 v2, s25
	s_xor_b32 s1, s1, s0
	s_sub_i32 s47, s1, s0
	s_sub_i32 s0, 0, s25
	v_rcp_iflag_f32_e32 v2, v2
	s_add_i32 s12, s11, -1
	s_abs_i32 s3, s12
	v_mul_f32_e32 v2, 0x4f7ffffe, v2
	v_cvt_u32_f32_e32 v2, v2
	s_barrier
	v_readfirstlane_b32 s33, v2
	s_mul_i32 s0, s0, s33
	s_mul_hi_u32 s0, s33, s0
	s_add_i32 s33, s33, s0
	s_cmp_lt_i32 s2, 0
	s_mul_hi_u32 s7, s3, s33
	s_cbranch_scc0 .LBB236_6
; %bb.5:
	s_mul_i32 s0, s20, s36
	s_add_i32 s0, s47, s0
	s_mul_i32 s0, s0, s2
	s_sub_i32 s36, 1, s0
	s_mov_b64 s[0:1], 0
	s_branch .LBB236_7
.LBB236_6:
	s_mov_b64 s[0:1], -1
                                        ; implicit-def: $sgpr36
.LBB236_7:
	s_load_dwordx2 s[28:29], s[4:5], 0x28
	s_ashr_i32 s16, s12, 31
	s_andn2_b64 vcc, exec, s[0:1]
	s_ashr_i32 s23, s23, 31
	s_cbranch_vccnz .LBB236_9
; %bb.8:
	s_mul_i32 s0, s9, s20
	s_add_i32 s0, s0, s6
	s_mul_i32 s0, s0, s2
	s_add_i32 s36, s0, 1
.LBB236_9:
	s_load_dword s0, s[4:5], 0x38
	s_load_dwordx2 s[26:27], s[4:5], 0x0
	s_load_dwordx2 s[34:35], s[4:5], 0x18
	s_load_dword s20, s[4:5], 0x88
	s_load_dwordx4 s[12:15], s[4:5], 0x58
	s_mul_i32 s1, s7, s25
	s_waitcnt lgkmcnt(0)
	s_mul_i32 s30, s0, s10
	s_sub_i32 s1, s3, s1
	s_ashr_i32 s31, s30, 31
	s_xor_b32 s0, s16, s23
	s_add_i32 s2, s7, 1
	s_sub_i32 s3, s1, s25
	s_cmp_ge_u32 s1, s25
	s_cselect_b32 s2, s2, s7
	s_cselect_b32 s1, s3, s1
	s_add_i32 s3, s2, 1
	s_cmp_ge_u32 s1, s25
	s_cselect_b32 s1, s3, s2
	s_xor_b32 s1, s1, s0
	s_sub_i32 s16, s1, s0
	s_add_i32 s0, s11, 15
	s_ashr_i32 s1, s0, 31
	s_lshr_b32 s1, s1, 28
	s_add_i32 s0, s0, s1
	s_ashr_i32 s46, s0, 4
	v_lshrrev_b32_e32 v10, 6, v0
	v_cmp_gt_i32_e64 s[0:1], s46, v10
	v_mov_b32_e32 v16, 0xff7fffff
	s_mul_i32 s47, s47, s18
	v_lshrrev_b32_e32 v9, 4, v0
	v_lshlrev_b32_e32 v11, 4, v10
	v_mbcnt_lo_u32_b32 v12, -1, 0
	s_and_saveexec_b64 s[18:19], s[0:1]
	s_cbranch_execz .LBB236_69
; %bb.10:
	s_load_dwordx2 s[2:3], s[4:5], 0x10
	s_sub_i32 s49, s16, s21
	s_ashr_i32 s4, s47, 31
	v_cmp_eq_u32_e32 vcc, 0, v1
	v_lshlrev_b32_e32 v4, 1, v1
	s_waitcnt lgkmcnt(0)
	s_add_u32 s5, s2, s47
	s_addc_u32 s4, s3, s4
	s_abs_i32 s50, s22
	v_cvt_f32_u32_e32 v2, s50
	s_sub_i32 s2, 0, s50
	v_lshlrev_b32_e32 v14, 4, v1
	v_bfe_u32 v13, v0, 2, 4
	v_rcp_iflag_f32_e32 v3, v2
	v_lshlrev_b32_e32 v5, 4, v13
	v_mov_b32_e32 v6, s4
	v_add_co_u32_e64 v5, s[4:5], s5, v5
	v_mul_f32_e32 v3, 0x4f7ffffe, v3
	v_cvt_u32_f32_e32 v3, v3
	v_addc_co_u32_e64 v6, s[4:5], 0, v6, s[4:5]
	s_mov_b32 s51, s17
	v_mul_lo_u32 v1, s2, v3
	v_mov_b32_e32 v2, 0
	v_cmp_neq_f32_e64 s[2:3], s48, 0
	v_lshlrev_b32_e32 v17, 4, v10
	v_mul_hi_u32 v1, v3, v1
	v_mov_b32_e32 v20, 0xff7fffff
	s_mov_b64 s[38:39], 0
	s_movk_i32 s52, 0x80
	v_add_u32_e32 v15, v3, v1
	v_add_co_u32_e64 v3, s[4:5], v5, v4
	v_addc_co_u32_e64 v4, s[4:5], 0, v6, s[4:5]
	s_lshl_b64 s[4:5], s[30:31], 2
	s_add_u32 s4, s28, s4
	v_and_b32_e32 v1, 60, v9
	s_addc_u32 s5, s29, s5
	v_mov_b32_e32 v6, s5
	v_add_co_u32_e64 v5, s[4:5], s4, v1
	v_subrev_u32_e32 v1, s11, v13
	v_add_u32_e32 v18, 1, v1
	v_lshlrev_b32_e32 v1, 2, v13
	v_lshl_or_b32 v1, v10, 6, v1
	v_addc_co_u32_e64 v6, s[4:5], 0, v6, s[4:5]
	v_add_u32_e32 v19, 0x50, v1
	s_movk_i32 s53, 0x7f
	s_mov_b32 s54, 0x8000
	v_mov_b32_e32 v21, 0x2000
	v_mbcnt_hi_u32_b32 v22, -1, v12
	v_mov_b32_e32 v16, 0xff7fffff
	v_mov_b32_e32 v23, v10
	s_branch .LBB236_13
.LBB236_11:                             ;   in Loop: Header=BB236_13 Depth=1
	s_or_b64 exec, exec, s[40:41]
.LBB236_12:                             ;   in Loop: Header=BB236_13 Depth=1
	s_or_b64 exec, exec, s[6:7]
	v_add_co_u32_e64 v5, s[4:5], 8, v5
	v_add_u32_e32 v23, 2, v23
	v_addc_co_u32_e64 v6, s[4:5], 0, v6, s[4:5]
	v_cmp_le_i32_e64 s[4:5], s46, v23
	v_add_u32_e32 v17, 32, v17
	s_or_b64 s[38:39], s[4:5], s[38:39]
	v_add_u32_e32 v19, 0x80, v19
	s_andn2_b64 exec, exec, s[38:39]
	s_cbranch_execz .LBB236_68
.LBB236_13:                             ; =>This Inner Loop Header: Depth=1
	v_mul_hi_u32 v1, v17, s33
	s_waitcnt lgkmcnt(0)
	v_mul_lo_u32 v7, v1, s25
	v_add_u32_e32 v8, 1, v1
	v_sub_u32_e32 v7, v17, v7
	v_cmp_le_u32_e64 s[4:5], s25, v7
	v_cndmask_b32_e64 v1, v1, v8, s[4:5]
	v_subrev_u32_e32 v8, s25, v7
	v_cndmask_b32_e64 v7, v7, v8, s[4:5]
	v_add_u32_e32 v8, 1, v1
	v_cmp_le_u32_e64 s[4:5], s25, v7
	v_cndmask_b32_e64 v1, v1, v8, s[4:5]
	v_xor_b32_e32 v1, s23, v1
	v_subrev_u32_e32 v1, s23, v1
	v_add_u32_e32 v7, s36, v1
	v_sub_u32_e32 v8, 0, v7
	v_max_i32_e32 v8, v7, v8
	v_mul_hi_u32 v24, v8, v15
	v_ashrrev_i32_e32 v7, 31, v7
	v_cmp_ge_i32_e64 s[6:7], s49, v1
	v_mul_lo_u32 v24, v24, s50
	v_sub_u32_e32 v8, v8, v24
	v_subrev_u32_e32 v24, s50, v8
	v_cmp_le_u32_e64 s[4:5], s50, v8
	v_cndmask_b32_e64 v8, v8, v24, s[4:5]
	v_subrev_u32_e32 v24, s50, v8
	v_cmp_le_u32_e64 s[4:5], s50, v8
	v_cndmask_b32_e64 v8, v8, v24, s[4:5]
	v_xor_b32_e32 v8, v8, v7
	v_sub_u32_e32 v7, v8, v7
	v_cmp_ne_u32_e64 s[4:5], 0, v7
	s_and_b64 s[4:5], s[4:5], s[6:7]
	s_and_saveexec_b64 s[6:7], s[4:5]
	s_xor_b64 s[4:5], exec, s[6:7]
	s_cbranch_execz .LBB236_17
; %bb.14:                               ;   in Loop: Header=BB236_13 Depth=1
	s_and_saveexec_b64 s[6:7], vcc
; %bb.15:                               ;   in Loop: Header=BB236_13 Depth=1
	ds_write_b32 v19, v20
; %bb.16:                               ;   in Loop: Header=BB236_13 Depth=1
	s_or_b64 exec, exec, s[6:7]
.LBB236_17:                             ;   in Loop: Header=BB236_13 Depth=1
	s_andn2_saveexec_b64 s[6:7], s[4:5]
	s_cbranch_execz .LBB236_12
; %bb.18:                               ;   in Loop: Header=BB236_13 Depth=1
	global_load_dword v1, v[5:6], off
	v_mov_b32_e32 v25, 0
	global_load_dword v24, v25, s[12:13]
	s_waitcnt vmcnt(1)
	v_mad_i64_i32 v[7:8], s[4:5], v1, s51, v[3:4]
	global_load_ushort v26, v[7:8], off
	s_waitcnt vmcnt(0)
	v_and_b32_e32 v1, 0xffff, v26
	v_cmp_ne_u16_sdwa s[4:5], v26, v2 src0_sel:BYTE_0 src1_sel:DWORD
	v_mov_b32_e32 v26, 0
	s_and_saveexec_b64 s[40:41], s[4:5]
	s_cbranch_execz .LBB236_24
; %bb.19:                               ;   in Loop: Header=BB236_13 Depth=1
	v_cmp_ne_u16_sdwa s[4:5], v1, s52 src0_sel:BYTE_0 src1_sel:DWORD
	v_mov_b32_e32 v26, 0x8000
	s_and_saveexec_b64 s[42:43], s[4:5]
	s_cbranch_execz .LBB236_23
; %bb.20:                               ;   in Loop: Header=BB236_13 Depth=1
	v_and_b32_e32 v27, 0x7f, v1
	v_cmp_ne_u32_e64 s[4:5], s53, v27
	v_mov_b32_e32 v26, 0x7c01
	s_and_saveexec_b64 s[44:45], s[4:5]
	s_cbranch_execz .LBB236_22
; %bb.21:                               ;   in Loop: Header=BB236_13 Depth=1
	v_and_b32_e32 v26, 7, v1
	v_ffbh_u32_e32 v28, v26
	v_min_u32_e32 v31, 32, v28
	v_subrev_u32_e32 v28, 28, v31
	v_lshlrev_b64 v[28:29], v28, v[1:2]
	v_lshrrev_b32_e32 v30, 3, v27
	v_sub_u32_e32 v29, 29, v31
	v_cmp_gt_u32_e64 s[4:5], 8, v27
	v_cndmask_b32_e64 v27, v30, v29, s[4:5]
	v_lshl_add_u32 v27, v27, 10, v21
	v_lshlrev_b32_e32 v29, 8, v1
	v_and_b32_e32 v28, 7, v28
	v_and_b32_e32 v27, 0xfc00, v27
	v_cndmask_b32_e64 v26, v26, v28, s[4:5]
	v_and_or_b32 v27, v29, s54, v27
	v_lshl_or_b32 v26, v26, 7, v27
.LBB236_22:                             ;   in Loop: Header=BB236_13 Depth=1
	s_or_b64 exec, exec, s[44:45]
.LBB236_23:                             ;   in Loop: Header=BB236_13 Depth=1
	s_or_b64 exec, exec, s[42:43]
.LBB236_24:                             ;   in Loop: Header=BB236_13 Depth=1
	s_or_b64 exec, exec, s[40:41]
	v_lshrrev_b16_e32 v1, 8, v1
	v_cmp_ne_u16_e64 s[4:5], 0, v1
	s_and_saveexec_b64 s[40:41], s[4:5]
	s_cbranch_execz .LBB236_30
; %bb.25:                               ;   in Loop: Header=BB236_13 Depth=1
	v_cmp_ne_u16_e64 s[4:5], s52, v1
	v_bfrev_b32_e32 v25, 1
	s_and_saveexec_b64 s[42:43], s[4:5]
	s_cbranch_execz .LBB236_29
; %bb.26:                               ;   in Loop: Header=BB236_13 Depth=1
	v_and_b32_e32 v27, 0x7f, v1
	v_cmp_ne_u32_e64 s[4:5], s53, v27
	v_mov_b32_e32 v25, 0x7c010000
	s_and_saveexec_b64 s[44:45], s[4:5]
	s_cbranch_execz .LBB236_28
; %bb.27:                               ;   in Loop: Header=BB236_13 Depth=1
	v_and_b32_e32 v25, 7, v1
	v_ffbh_u32_e32 v28, v25
	v_min_u32_e32 v31, 32, v28
	v_subrev_u32_e32 v28, 28, v31
	v_lshlrev_b64 v[28:29], v28, v[1:2]
	v_lshrrev_b32_e32 v30, 3, v27
	v_sub_u32_e32 v29, 29, v31
	v_cmp_gt_u32_e64 s[4:5], 8, v27
	v_cndmask_b32_e64 v27, v30, v29, s[4:5]
	v_lshlrev_b32_e32 v1, 8, v1
	v_lshl_add_u32 v27, v27, 10, v21
	v_and_b32_e32 v28, 7, v28
	v_and_or_b32 v1, v1, s54, v27
	v_cndmask_b32_e64 v25, v25, v28, s[4:5]
	v_lshlrev_b32_e32 v1, 16, v1
	v_lshl_or_b32 v25, v25, 23, v1
.LBB236_28:                             ;   in Loop: Header=BB236_13 Depth=1
	s_or_b64 exec, exec, s[44:45]
.LBB236_29:                             ;   in Loop: Header=BB236_13 Depth=1
	s_or_b64 exec, exec, s[42:43]
.LBB236_30:                             ;   in Loop: Header=BB236_13 Depth=1
	s_or_b64 exec, exec, s[40:41]
	global_load_ushort v28, v[7:8], off offset:8
	v_mov_b32_e32 v27, 0
	s_waitcnt vmcnt(0)
	v_and_b32_e32 v1, 0xffff, v28
	v_cmp_ne_u16_sdwa s[4:5], v28, v2 src0_sel:BYTE_0 src1_sel:DWORD
	v_mov_b32_e32 v28, 0
	s_and_saveexec_b64 s[40:41], s[4:5]
	s_cbranch_execz .LBB236_36
; %bb.31:                               ;   in Loop: Header=BB236_13 Depth=1
	v_cmp_ne_u16_sdwa s[4:5], v1, s52 src0_sel:BYTE_0 src1_sel:DWORD
	v_mov_b32_e32 v28, 0x8000
	s_and_saveexec_b64 s[42:43], s[4:5]
	s_cbranch_execz .LBB236_35
; %bb.32:                               ;   in Loop: Header=BB236_13 Depth=1
	v_and_b32_e32 v29, 0x7f, v1
	v_cmp_ne_u32_e64 s[4:5], s53, v29
	v_mov_b32_e32 v28, 0x7c01
	s_and_saveexec_b64 s[44:45], s[4:5]
	s_cbranch_execz .LBB236_34
; %bb.33:                               ;   in Loop: Header=BB236_13 Depth=1
	v_and_b32_e32 v28, 7, v1
	v_ffbh_u32_e32 v30, v28
	v_min_u32_e32 v33, 32, v30
	v_subrev_u32_e32 v30, 28, v33
	v_lshlrev_b64 v[30:31], v30, v[1:2]
	v_lshrrev_b32_e32 v32, 3, v29
	v_sub_u32_e32 v31, 29, v33
	v_cmp_gt_u32_e64 s[4:5], 8, v29
	v_cndmask_b32_e64 v29, v32, v31, s[4:5]
	v_lshl_add_u32 v29, v29, 10, v21
	v_lshlrev_b32_e32 v31, 8, v1
	v_and_b32_e32 v30, 7, v30
	v_and_b32_e32 v29, 0xfc00, v29
	v_cndmask_b32_e64 v28, v28, v30, s[4:5]
	v_and_or_b32 v29, v31, s54, v29
	v_lshl_or_b32 v28, v28, 7, v29
.LBB236_34:                             ;   in Loop: Header=BB236_13 Depth=1
	s_or_b64 exec, exec, s[44:45]
.LBB236_35:                             ;   in Loop: Header=BB236_13 Depth=1
	s_or_b64 exec, exec, s[42:43]
.LBB236_36:                             ;   in Loop: Header=BB236_13 Depth=1
	s_or_b64 exec, exec, s[40:41]
	v_lshrrev_b16_e32 v1, 8, v1
	v_cmp_ne_u16_e64 s[4:5], 0, v1
	s_and_saveexec_b64 s[40:41], s[4:5]
	s_cbranch_execz .LBB236_42
; %bb.37:                               ;   in Loop: Header=BB236_13 Depth=1
	v_cmp_ne_u16_e64 s[4:5], s52, v1
	v_bfrev_b32_e32 v27, 1
	s_and_saveexec_b64 s[42:43], s[4:5]
	s_cbranch_execz .LBB236_41
; %bb.38:                               ;   in Loop: Header=BB236_13 Depth=1
	v_and_b32_e32 v29, 0x7f, v1
	v_cmp_ne_u32_e64 s[4:5], s53, v29
	v_mov_b32_e32 v27, 0x7c010000
	s_and_saveexec_b64 s[44:45], s[4:5]
	s_cbranch_execz .LBB236_40
; %bb.39:                               ;   in Loop: Header=BB236_13 Depth=1
	v_and_b32_e32 v27, 7, v1
	v_ffbh_u32_e32 v30, v27
	v_min_u32_e32 v33, 32, v30
	v_subrev_u32_e32 v30, 28, v33
	v_lshlrev_b64 v[30:31], v30, v[1:2]
	v_lshrrev_b32_e32 v32, 3, v29
	v_sub_u32_e32 v31, 29, v33
	v_cmp_gt_u32_e64 s[4:5], 8, v29
	v_cndmask_b32_e64 v29, v32, v31, s[4:5]
	v_lshlrev_b32_e32 v1, 8, v1
	v_lshl_add_u32 v29, v29, 10, v21
	v_and_b32_e32 v30, 7, v30
	v_and_or_b32 v1, v1, s54, v29
	v_cndmask_b32_e64 v27, v27, v30, s[4:5]
	v_lshlrev_b32_e32 v1, 16, v1
	v_lshl_or_b32 v27, v27, 23, v1
.LBB236_40:                             ;   in Loop: Header=BB236_13 Depth=1
	s_or_b64 exec, exec, s[44:45]
.LBB236_41:                             ;   in Loop: Header=BB236_13 Depth=1
	s_or_b64 exec, exec, s[42:43]
.LBB236_42:                             ;   in Loop: Header=BB236_13 Depth=1
	s_or_b64 exec, exec, s[40:41]
	global_load_ushort v30, v[7:8], off offset:256
	v_mov_b32_e32 v29, 0
	s_waitcnt vmcnt(0)
	v_and_b32_e32 v1, 0xffff, v30
	v_cmp_ne_u16_sdwa s[4:5], v30, v2 src0_sel:BYTE_0 src1_sel:DWORD
	v_mov_b32_e32 v30, 0
	s_and_saveexec_b64 s[40:41], s[4:5]
	s_cbranch_execz .LBB236_48
; %bb.43:                               ;   in Loop: Header=BB236_13 Depth=1
	v_cmp_ne_u16_sdwa s[4:5], v1, s52 src0_sel:BYTE_0 src1_sel:DWORD
	v_mov_b32_e32 v30, 0x8000
	s_and_saveexec_b64 s[42:43], s[4:5]
	s_cbranch_execz .LBB236_47
; %bb.44:                               ;   in Loop: Header=BB236_13 Depth=1
	v_and_b32_e32 v31, 0x7f, v1
	v_cmp_ne_u32_e64 s[4:5], s53, v31
	v_mov_b32_e32 v30, 0x7c01
	s_and_saveexec_b64 s[44:45], s[4:5]
	s_cbranch_execz .LBB236_46
; %bb.45:                               ;   in Loop: Header=BB236_13 Depth=1
	v_and_b32_e32 v30, 7, v1
	v_ffbh_u32_e32 v32, v30
	v_min_u32_e32 v35, 32, v32
	v_subrev_u32_e32 v32, 28, v35
	v_lshlrev_b64 v[32:33], v32, v[1:2]
	v_lshrrev_b32_e32 v34, 3, v31
	v_sub_u32_e32 v33, 29, v35
	v_cmp_gt_u32_e64 s[4:5], 8, v31
	v_cndmask_b32_e64 v31, v34, v33, s[4:5]
	v_lshl_add_u32 v31, v31, 10, v21
	v_lshlrev_b32_e32 v33, 8, v1
	v_and_b32_e32 v32, 7, v32
	v_and_b32_e32 v31, 0xfc00, v31
	v_cndmask_b32_e64 v30, v30, v32, s[4:5]
	v_and_or_b32 v31, v33, s54, v31
	v_lshl_or_b32 v30, v30, 7, v31
.LBB236_46:                             ;   in Loop: Header=BB236_13 Depth=1
	s_or_b64 exec, exec, s[44:45]
.LBB236_47:                             ;   in Loop: Header=BB236_13 Depth=1
	s_or_b64 exec, exec, s[42:43]
.LBB236_48:                             ;   in Loop: Header=BB236_13 Depth=1
	s_or_b64 exec, exec, s[40:41]
	v_lshrrev_b16_e32 v1, 8, v1
	v_cmp_ne_u16_e64 s[4:5], 0, v1
	s_and_saveexec_b64 s[40:41], s[4:5]
	s_cbranch_execz .LBB236_54
; %bb.49:                               ;   in Loop: Header=BB236_13 Depth=1
	v_cmp_ne_u16_e64 s[4:5], s52, v1
	v_bfrev_b32_e32 v29, 1
	s_and_saveexec_b64 s[42:43], s[4:5]
	s_cbranch_execz .LBB236_53
; %bb.50:                               ;   in Loop: Header=BB236_13 Depth=1
	v_and_b32_e32 v31, 0x7f, v1
	v_cmp_ne_u32_e64 s[4:5], s53, v31
	v_mov_b32_e32 v29, 0x7c010000
	s_and_saveexec_b64 s[44:45], s[4:5]
	s_cbranch_execz .LBB236_52
; %bb.51:                               ;   in Loop: Header=BB236_13 Depth=1
	v_and_b32_e32 v29, 7, v1
	v_ffbh_u32_e32 v32, v29
	v_min_u32_e32 v35, 32, v32
	v_subrev_u32_e32 v32, 28, v35
	v_lshlrev_b64 v[32:33], v32, v[1:2]
	v_lshrrev_b32_e32 v34, 3, v31
	v_sub_u32_e32 v33, 29, v35
	v_cmp_gt_u32_e64 s[4:5], 8, v31
	v_cndmask_b32_e64 v31, v34, v33, s[4:5]
	v_lshlrev_b32_e32 v1, 8, v1
	v_lshl_add_u32 v31, v31, 10, v21
	v_and_b32_e32 v32, 7, v32
	v_and_or_b32 v1, v1, s54, v31
	v_cndmask_b32_e64 v29, v29, v32, s[4:5]
	v_lshlrev_b32_e32 v1, 16, v1
	v_lshl_or_b32 v29, v29, 23, v1
.LBB236_52:                             ;   in Loop: Header=BB236_13 Depth=1
	s_or_b64 exec, exec, s[44:45]
.LBB236_53:                             ;   in Loop: Header=BB236_13 Depth=1
	s_or_b64 exec, exec, s[42:43]
.LBB236_54:                             ;   in Loop: Header=BB236_13 Depth=1
	s_or_b64 exec, exec, s[40:41]
	global_load_ushort v8, v[7:8], off offset:264
	v_mov_b32_e32 v7, 0
	s_waitcnt vmcnt(0)
	v_and_b32_e32 v1, 0xffff, v8
	v_cmp_ne_u16_sdwa s[4:5], v8, v2 src0_sel:BYTE_0 src1_sel:DWORD
	v_mov_b32_e32 v8, 0
	s_and_saveexec_b64 s[40:41], s[4:5]
	s_cbranch_execz .LBB236_60
; %bb.55:                               ;   in Loop: Header=BB236_13 Depth=1
	v_cmp_ne_u16_sdwa s[4:5], v1, s52 src0_sel:BYTE_0 src1_sel:DWORD
	v_mov_b32_e32 v8, 0x8000
	s_and_saveexec_b64 s[42:43], s[4:5]
	s_cbranch_execz .LBB236_59
; %bb.56:                               ;   in Loop: Header=BB236_13 Depth=1
	v_and_b32_e32 v31, 0x7f, v1
	v_cmp_ne_u32_e64 s[4:5], s53, v31
	v_mov_b32_e32 v8, 0x7c01
	s_and_saveexec_b64 s[44:45], s[4:5]
	s_cbranch_execz .LBB236_58
; %bb.57:                               ;   in Loop: Header=BB236_13 Depth=1
	v_and_b32_e32 v8, 7, v1
	v_ffbh_u32_e32 v32, v8
	v_min_u32_e32 v35, 32, v32
	v_subrev_u32_e32 v32, 28, v35
	v_lshlrev_b64 v[32:33], v32, v[1:2]
	v_lshrrev_b32_e32 v34, 3, v31
	v_sub_u32_e32 v33, 29, v35
	v_cmp_gt_u32_e64 s[4:5], 8, v31
	v_cndmask_b32_e64 v31, v34, v33, s[4:5]
	v_lshl_add_u32 v31, v31, 10, v21
	v_lshlrev_b32_e32 v33, 8, v1
	v_and_b32_e32 v32, 7, v32
	v_and_b32_e32 v31, 0xfc00, v31
	v_cndmask_b32_e64 v8, v8, v32, s[4:5]
	v_and_or_b32 v31, v33, s54, v31
	v_lshl_or_b32 v8, v8, 7, v31
.LBB236_58:                             ;   in Loop: Header=BB236_13 Depth=1
	s_or_b64 exec, exec, s[44:45]
.LBB236_59:                             ;   in Loop: Header=BB236_13 Depth=1
	s_or_b64 exec, exec, s[42:43]
.LBB236_60:                             ;   in Loop: Header=BB236_13 Depth=1
	s_or_b64 exec, exec, s[40:41]
	v_lshrrev_b16_e32 v1, 8, v1
	v_cmp_ne_u16_e64 s[4:5], 0, v1
	s_and_saveexec_b64 s[40:41], s[4:5]
	s_cbranch_execz .LBB236_66
; %bb.61:                               ;   in Loop: Header=BB236_13 Depth=1
	v_cmp_ne_u16_e64 s[4:5], s52, v1
	v_bfrev_b32_e32 v7, 1
	s_and_saveexec_b64 s[42:43], s[4:5]
	s_cbranch_execz .LBB236_65
; %bb.62:                               ;   in Loop: Header=BB236_13 Depth=1
	v_and_b32_e32 v31, 0x7f, v1
	v_cmp_ne_u32_e64 s[4:5], s53, v31
	v_mov_b32_e32 v7, 0x7c010000
	s_and_saveexec_b64 s[44:45], s[4:5]
	s_cbranch_execz .LBB236_64
; %bb.63:                               ;   in Loop: Header=BB236_13 Depth=1
	v_and_b32_e32 v7, 7, v1
	v_ffbh_u32_e32 v32, v7
	v_min_u32_e32 v35, 32, v32
	v_subrev_u32_e32 v32, 28, v35
	v_lshlrev_b64 v[32:33], v32, v[1:2]
	v_lshrrev_b32_e32 v34, 3, v31
	v_sub_u32_e32 v33, 29, v35
	v_cmp_gt_u32_e64 s[4:5], 8, v31
	v_cndmask_b32_e64 v31, v34, v33, s[4:5]
	v_lshlrev_b32_e32 v1, 8, v1
	v_lshl_add_u32 v31, v31, 10, v21
	v_and_b32_e32 v32, 7, v32
	v_and_or_b32 v1, v1, s54, v31
	v_cndmask_b32_e64 v7, v7, v32, s[4:5]
	v_lshlrev_b32_e32 v1, 16, v1
	v_lshl_or_b32 v7, v7, 23, v1
.LBB236_64:                             ;   in Loop: Header=BB236_13 Depth=1
	s_or_b64 exec, exec, s[44:45]
.LBB236_65:                             ;   in Loop: Header=BB236_13 Depth=1
	s_or_b64 exec, exec, s[42:43]
.LBB236_66:                             ;   in Loop: Header=BB236_13 Depth=1
	s_or_b64 exec, exec, s[40:41]
	v_or_b32_e32 v1, v25, v26
	v_or_b32_e32 v26, v27, v28
	ds_read_b32 v28, v14
	v_fma_mixlo_f16 v1, v24, v1, 0 op_sel_hi:[0,1,0]
	v_fma_mixlo_f16 v25, v24, v25, 0 op_sel:[0,1,0] op_sel_hi:[0,1,0]
	v_fma_mixlo_f16 v26, v24, v26, 0 op_sel_hi:[0,1,0]
	v_and_b32_e32 v33, 0xffff, v26
	v_or_b32_e32 v26, v29, v30
	s_waitcnt lgkmcnt(0)
	v_lshrrev_b32_e32 v30, 16, v28
	v_and_b32_e32 v28, 0xffff, v28
	v_and_b32_e32 v25, 0xffff, v25
	;; [unrolled: 1-line block ×3, first 2 shown]
	;;#ASMSTART
	v_cvt_f32_f16 v28, v28;
	;;#ASMEND
	;;#ASMSTART
	v_cvt_f32_f16 v30, v30;
	;;#ASMEND
	;;#ASMSTART
	v_cvt_f32_f16 v1, v1;
	;;#ASMEND
	;;#ASMSTART
	v_cvt_f32_f16 v25, v25;
	;;#ASMEND
	ds_read_b32 v31, v14 offset:4
	v_fma_mixlo_f16 v27, v24, v27, 0 op_sel:[0,1,0] op_sel_hi:[0,1,0]
	v_and_b32_e32 v34, 0xffff, v27
	v_or_b32_e32 v8, v7, v8
	v_fma_mixlo_f16 v8, v24, v8, 0 op_sel_hi:[0,1,0]
	s_waitcnt lgkmcnt(0)
	v_lshrrev_b32_e32 v32, 16, v31
	v_and_b32_e32 v31, 0xffff, v31
	;;#ASMSTART
	v_cvt_f32_f16 v31, v31;
	;;#ASMEND
	;;#ASMSTART
	v_cvt_f32_f16 v32, v32;
	;;#ASMEND
	;; [unrolled: 3-line block ×4, first 2 shown]
	ds_read_b32 v34, v14 offset:8
	v_fma_mixlo_f16 v26, v24, v26, 0 op_sel_hi:[0,1,0]
	v_fma_mixlo_f16 v29, v24, v29, 0 op_sel:[0,1,0] op_sel_hi:[0,1,0]
	v_and_b32_e32 v35, 0xffff, v8
	v_mul_f32_e32 v8, v31, v27
	v_fma_mixlo_f16 v7, v24, v7, 0 op_sel:[0,1,0] op_sel_hi:[0,1,0]
	v_fmac_f32_e32 v8, v28, v1
	s_waitcnt lgkmcnt(0)
	v_lshrrev_b32_e32 v24, 16, v34
	v_and_b32_e32 v1, 0xffff, v34
	v_and_b32_e32 v27, 0xffff, v29
	;; [unrolled: 1-line block ×3, first 2 shown]
	;;#ASMSTART
	v_cvt_f32_f16 v1, v1;
	;;#ASMEND
	;;#ASMSTART
	v_cvt_f32_f16 v24, v24;
	;;#ASMEND
	;; [unrolled: 3-line block ×4, first 2 shown]
	ds_read_b32 v28, v14 offset:12
	v_mul_f32_e32 v29, v32, v33
	v_fmac_f32_e32 v29, v30, v25
	v_fmac_f32_e32 v8, v1, v26
	;; [unrolled: 1-line block ×3, first 2 shown]
	s_waitcnt lgkmcnt(0)
	v_lshrrev_b32_e32 v24, 16, v28
	v_and_b32_e32 v1, 0xffff, v28
	;;#ASMSTART
	v_cvt_f32_f16 v1, v1;
	;;#ASMEND
	;;#ASMSTART
	v_cvt_f32_f16 v24, v24;
	;;#ASMEND
	v_and_b32_e32 v25, 0xffff, v7
	;;#ASMSTART
	v_cvt_f32_f16 v7, v35;
	;;#ASMEND
	;;#ASMSTART
	v_cvt_f32_f16 v25, v25;
	;;#ASMEND
	v_fmac_f32_e32 v8, v1, v7
	v_fmac_f32_e32 v29, v24, v25
	v_and_b32_e32 v7, 64, v22
	v_add_f32_e32 v1, v8, v29
	v_add_u32_e32 v7, 64, v7
	v_xor_b32_e32 v8, 2, v22
	v_cmp_lt_i32_e64 s[4:5], v8, v7
	v_cndmask_b32_e64 v8, v22, v8, s[4:5]
	v_lshlrev_b32_e32 v8, 2, v8
	ds_bpermute_b32 v8, v8, v1
	s_waitcnt lgkmcnt(0)
	v_add_f32_e32 v1, v1, v8
	v_xor_b32_e32 v8, 1, v22
	v_cmp_lt_i32_e64 s[4:5], v8, v7
	v_cndmask_b32_e64 v7, v22, v8, s[4:5]
	v_lshlrev_b32_e32 v7, 2, v7
	ds_bpermute_b32 v7, v7, v1
	s_and_saveexec_b64 s[40:41], vcc
	s_cbranch_execz .LBB236_11
; %bb.67:                               ;   in Loop: Header=BB236_13 Depth=1
	v_add_u32_e32 v8, v18, v17
	v_cvt_f32_i32_e32 v8, v8
	s_waitcnt lgkmcnt(0)
	v_add_f32_e32 v1, v1, v7
	v_add_u32_e32 v24, v13, v17
	v_cmp_gt_i32_e64 s[4:5], s11, v24
	v_mul_f32_e32 v7, s48, v8
	v_cndmask_b32_e64 v7, 0, v7, s[2:3]
	v_fmac_f32_e32 v7, s37, v1
	v_cndmask_b32_e64 v1, 0, v7, s[4:5]
	ds_write_b32 v19, v1
	v_max_f32_e32 v1, v16, v16
	v_max_f32_e32 v1, v1, v7
	v_cndmask_b32_e64 v16, v16, v1, s[4:5]
	s_branch .LBB236_11
.LBB236_68:
	s_or_b64 exec, exec, s[38:39]
.LBB236_69:
	s_or_b64 exec, exec, s[18:19]
	v_mbcnt_hi_u32_b32 v1, -1, v12
	v_and_b32_e32 v14, 64, v1
	v_add_u32_e32 v2, 64, v14
	v_xor_b32_e32 v3, 32, v1
	v_cmp_lt_i32_e32 vcc, v3, v2
	v_cndmask_b32_e32 v3, v1, v3, vcc
	v_lshlrev_b32_e32 v3, 2, v3
	ds_bpermute_b32 v4, v3, v16
	v_xor_b32_e32 v6, 16, v1
	v_max_f32_e32 v5, v16, v16
	v_cmp_lt_i32_e32 vcc, v6, v2
	s_waitcnt lgkmcnt(1)
	v_xor_b32_e32 v7, 8, v1
	s_waitcnt lgkmcnt(0)
	v_max_f32_e32 v4, v4, v4
	v_max_f32_e32 v5, v5, v4
	v_cndmask_b32_e32 v4, v1, v6, vcc
	v_lshlrev_b32_e32 v4, 2, v4
	ds_bpermute_b32 v6, v4, v5
	v_cmp_lt_i32_e32 vcc, v7, v2
	v_xor_b32_e32 v8, 4, v1
	v_and_b32_e32 v12, 63, v0
	s_waitcnt lgkmcnt(0)
	v_max_f32_e32 v6, v6, v6
	v_max_f32_e32 v5, v5, v6
	v_cndmask_b32_e32 v6, v1, v7, vcc
	v_lshlrev_b32_e32 v7, 2, v6
	ds_bpermute_b32 v6, v7, v5
	v_cmp_lt_i32_e32 vcc, v8, v2
	s_waitcnt lgkmcnt(0)
	v_max_f32_e32 v6, v6, v6
	v_max_f32_e32 v6, v5, v6
	v_cndmask_b32_e32 v5, v1, v8, vcc
	v_lshlrev_b32_e32 v8, 2, v5
	ds_bpermute_b32 v13, v8, v6
	v_cmp_eq_u32_e32 vcc, 0, v12
	v_lshlrev_b32_e32 v5, 2, v10
	s_and_saveexec_b64 s[2:3], vcc
	s_cbranch_execz .LBB236_71
; %bb.70:
	s_waitcnt lgkmcnt(0)
	v_max_f32_e32 v13, v13, v13
	v_max_f32_e32 v6, v6, v6
	;; [unrolled: 1-line block ×3, first 2 shown]
	ds_write_b32 v5, v6 offset:64
.LBB236_71:
	s_or_b64 exec, exec, s[2:3]
	v_cmp_gt_u32_e64 s[2:3], 2, v12
	v_mov_b32_e32 v15, 0xff7fffff
	v_lshlrev_b32_e32 v6, 2, v12
	s_waitcnt lgkmcnt(0)
	s_barrier
	s_and_saveexec_b64 s[4:5], s[2:3]
; %bb.72:
	ds_read_b32 v15, v6 offset:64
; %bb.73:
	s_or_b64 exec, exec, s[4:5]
	v_xor_b32_e32 v13, 1, v1
	v_cmp_lt_i32_e64 s[4:5], v13, v2
	v_cndmask_b32_e64 v13, v1, v13, s[4:5]
	v_lshlrev_b32_e32 v13, 2, v13
	s_waitcnt lgkmcnt(0)
	ds_bpermute_b32 v16, v13, v15
	v_max_f32_e32 v15, v15, v15
	v_lshlrev_b32_e32 v14, 2, v14
	s_lshl_b32 s4, s46, 4
	s_min_i32 s37, s4, s11
	s_waitcnt lgkmcnt(0)
	v_max_f32_e32 v16, v16, v16
	v_max_f32_e32 v15, v15, v16
	ds_bpermute_b32 v15, v14, v15
	v_cmp_gt_i32_e64 s[4:5], s37, v0
	v_mov_b32_e32 v14, 0
	s_and_saveexec_b64 s[12:13], s[4:5]
	s_cbranch_execz .LBB236_77
; %bb.74:
	v_mov_b32_e32 v14, 0x50
	v_lshl_add_u32 v16, v0, 2, v14
	v_mov_b32_e32 v14, 0
	s_mov_b64 s[18:19], 0
	v_mov_b32_e32 v17, v0
.LBB236_75:                             ; =>This Inner Loop Header: Depth=1
	ds_read_b32 v18, v16
	v_add_u32_e32 v17, 0x80, v17
	v_cmp_le_i32_e64 s[6:7], s37, v17
	s_or_b64 s[18:19], s[6:7], s[18:19]
	s_waitcnt lgkmcnt(0)
	v_sub_f32_e32 v18, v18, v15
	v_mul_f32_e32 v18, 0x3fb8aa3b, v18
	v_exp_f32_e32 v18, v18
	ds_write_b32 v16, v18
	v_add_f32_e32 v14, v14, v18
	v_add_u32_e32 v16, 0x200, v16
	s_andn2_b64 exec, exec, s[18:19]
	s_cbranch_execnz .LBB236_75
; %bb.76:
	s_or_b64 exec, exec, s[18:19]
.LBB236_77:
	s_or_b64 exec, exec, s[12:13]
	ds_bpermute_b32 v3, v3, v14
	s_waitcnt lgkmcnt(0)
	v_add_f32_e32 v3, v14, v3
	ds_bpermute_b32 v4, v4, v3
	s_waitcnt lgkmcnt(0)
	v_add_f32_e32 v3, v3, v4
	ds_bpermute_b32 v4, v7, v3
	v_xor_b32_e32 v7, 2, v1
	v_cmp_lt_i32_e64 s[6:7], v7, v2
	v_cndmask_b32_e64 v2, v1, v7, s[6:7]
	v_lshlrev_b32_e32 v2, 2, v2
	s_waitcnt lgkmcnt(0)
	v_add_f32_e32 v3, v3, v4
	ds_bpermute_b32 v4, v8, v3
	s_waitcnt lgkmcnt(0)
	v_add_f32_e32 v3, v3, v4
	ds_bpermute_b32 v2, v2, v3
	;; [unrolled: 3-line block ×3, first 2 shown]
	s_waitcnt lgkmcnt(0)
	v_add_f32_e32 v2, v2, v3
	s_and_saveexec_b64 s[6:7], vcc
; %bb.78:
	ds_write_b32 v5, v2 offset:72
; %bb.79:
	s_or_b64 exec, exec, s[6:7]
	s_waitcnt lgkmcnt(0)
	s_barrier
	s_and_saveexec_b64 s[6:7], s[2:3]
; %bb.80:
	ds_read_b32 v2, v6 offset:72
; %bb.81:
	s_or_b64 exec, exec, s[6:7]
	s_waitcnt lgkmcnt(0)
	ds_bpermute_b32 v3, v13, v2
	v_lshlrev_b32_e32 v1, 2, v1
	v_and_b32_e32 v1, 0x100, v1
	s_waitcnt lgkmcnt(0)
	v_add_f32_e32 v2, v2, v3
	ds_bpermute_b32 v1, v1, v2
	s_and_saveexec_b64 s[2:3], s[4:5]
	s_cbranch_execz .LBB236_84
; %bb.82:
	s_waitcnt lgkmcnt(0)
	v_add_f32_e32 v2, 0x358637bd, v1
	v_div_scale_f32 v1, s[4:5], v2, v2, 1.0
	v_div_scale_f32 v3, vcc, 1.0, v2, 1.0
	s_mov_b64 s[4:5], 0
	v_rcp_f32_e32 v4, v1
	v_fma_f32 v5, -v1, v4, 1.0
	v_fmac_f32_e32 v4, v5, v4
	v_mul_f32_e32 v5, v3, v4
	v_fma_f32 v6, -v1, v5, v3
	v_fmac_f32_e32 v5, v6, v4
	v_fma_f32 v1, -v1, v5, v3
	v_div_fmas_f32 v3, v1, v4, v5
	v_mov_b32_e32 v1, 0x50
	v_lshl_add_u32 v1, v0, 2, v1
	v_div_fixup_f32 v2, v3, v2, 1.0
	v_mov_b32_e32 v3, v0
.LBB236_83:                             ; =>This Inner Loop Header: Depth=1
	ds_read_b32 v4, v1
	v_add_u32_e32 v3, 0x80, v3
	v_cmp_le_i32_e32 vcc, s37, v3
	s_or_b64 s[4:5], vcc, s[4:5]
	s_waitcnt lgkmcnt(0)
	v_mul_f32_e32 v4, v2, v4
	ds_write_b32 v1, v4
	v_add_u32_e32 v1, 0x200, v1
	s_andn2_b64 exec, exec, s[4:5]
	s_cbranch_execnz .LBB236_83
.LBB236_84:
	s_or_b64 exec, exec, s[2:3]
	v_mov_b32_e32 v16, 0
	s_waitcnt lgkmcnt(0)
	s_barrier
	s_and_saveexec_b64 s[2:3], s[0:1]
	s_cbranch_execz .LBB236_140
; %bb.85:
	s_sub_i32 s21, s16, s21
	s_ashr_i32 s0, s47, 31
	s_add_u32 s1, s34, s47
	s_addc_u32 s0, s35, s0
	s_abs_i32 s22, s22
	v_cvt_f32_u32_e32 v1, s22
	s_sub_i32 s6, 0, s22
	v_lshlrev_b32_e32 v3, 3, v0
	v_and_b32_e32 v14, 8, v3
	v_rcp_iflag_f32_e32 v1, v1
	v_and_b32_e32 v3, 0x1f8, v3
	s_add_i32 s35, s46, -1
	v_mov_b32_e32 v5, s0
	v_mul_f32_e32 v1, 0x4f7ffffe, v1
	v_cvt_u32_f32_e32 v1, v1
	v_add_co_u32_e32 v3, vcc, s1, v3
	s_lshl_b64 s[0:1], s[30:31], 2
	v_mul_lo_u32 v4, s6, v1
	s_add_u32 s0, s28, s0
	s_addc_u32 s1, s29, s1
	s_mov_b32 s4, -1
	v_mul_hi_u32 v6, v1, v4
	v_addc_co_u32_e32 v4, vcc, 0, v5, vcc
	s_mov_b32 s34, s17
	v_add_u32_e32 v15, v1, v6
	v_and_b32_e32 v1, 60, v9
	v_add_co_u32_e32 v5, vcc, s0, v1
	v_and_b32_e32 v1, 1, v0
	v_lshlrev_b32_e32 v1, 5, v1
	v_mov_b32_e32 v6, s1
	v_lshl_or_b32 v1, v10, 6, v1
	v_mov_b32_e32 v2, 0
	s_mov_b32 s5, 0xffffff
	v_addc_co_u32_e32 v6, vcc, 0, v6, vcc
	v_add_u32_e32 v17, 0x50, v1
	s_mov_b64 s[6:7], 0
	s_movk_i32 s28, 0x7f
	s_movk_i32 s29, 0x80
	s_mov_b32 s30, 0xffff
	s_mov_b32 s31, 0x8000
	v_mov_b32_e32 v18, 0x2000
	v_mov_b32_e32 v19, 0x7c01
	;; [unrolled: 1-line block ×3, first 2 shown]
	v_bfrev_b32_e32 v21, 1
	v_mov_b32_e32 v16, 0
	s_branch .LBB236_88
.LBB236_86:                             ;   in Loop: Header=BB236_88 Depth=1
	s_or_b64 exec, exec, s[0:1]
	v_and_b32_e32 v9, 0xffff, v22
	v_and_b32_e32 v22, 0xffff, v24
	v_lshl_or_b32 v9, v23, 16, v9
	v_lshl_or_b32 v22, v25, 16, v22
	v_and_b32_e32 v23, 0xffff, v26
	v_and_b32_e32 v24, 0xffff, v28
	;;#ASMSTART
	v_pk_mul_f16 v7, v9, v7;

	;;#ASMEND
	;;#ASMSTART
	v_pk_mul_f16 v1, v22, v1;

	;;#ASMEND
	v_lshl_or_b32 v23, v27, 16, v23
	v_lshl_or_b32 v24, v29, 16, v24
	;;#ASMSTART
	v_pk_mul_f16 v8, v23, v8;

	;;#ASMEND
	;;#ASMSTART
	v_pk_mul_f16 v9, v24, v32;

	;;#ASMEND
	;;#ASMSTART
	v_pk_add_f16 v1, v7, v1;

	;;#ASMEND
	;;#ASMSTART
	v_pk_add_f16 v1, v1, v8;
	;; [unrolled: 4-line block ×3, first 2 shown]

	;;#ASMEND
	v_lshrrev_b32_e32 v7, 16, v1
	v_and_b32_e32 v1, 0xffff, v1
	;;#ASMSTART
	v_cvt_f32_f16 v1, v1;
	;;#ASMEND
	;;#ASMSTART
	v_cvt_f32_f16 v7, v7;
	;;#ASMEND
	v_add_f32_e32 v1, v1, v7
	v_add_f32_e32 v16, v16, v1
.LBB236_87:                             ;   in Loop: Header=BB236_88 Depth=1
	s_or_b64 exec, exec, s[12:13]
	v_add_co_u32_e32 v5, vcc, 8, v5
	v_add_u32_e32 v10, 2, v10
	v_addc_co_u32_e32 v6, vcc, 0, v6, vcc
	v_cmp_le_i32_e32 vcc, s46, v10
	v_add_u32_e32 v11, 32, v11
	s_or_b64 s[6:7], vcc, s[6:7]
	v_add_u32_e32 v17, 0x80, v17
	s_andn2_b64 exec, exec, s[6:7]
	s_cbranch_execz .LBB236_139
.LBB236_88:                             ; =>This Inner Loop Header: Depth=1
	v_mul_hi_u32 v1, v11, s33
	v_mul_lo_u32 v7, v1, s25
	v_add_u32_e32 v8, 1, v1
	v_sub_u32_e32 v7, v11, v7
	v_cmp_le_u32_e32 vcc, s25, v7
	v_cndmask_b32_e32 v1, v1, v8, vcc
	v_subrev_u32_e32 v8, s25, v7
	v_cndmask_b32_e32 v7, v7, v8, vcc
	v_add_u32_e32 v8, 1, v1
	v_cmp_le_u32_e32 vcc, s25, v7
	v_cndmask_b32_e32 v1, v1, v8, vcc
	v_xor_b32_e32 v1, s23, v1
	v_subrev_u32_e32 v1, s23, v1
	v_add_u32_e32 v7, s36, v1
	v_sub_u32_e32 v8, 0, v7
	v_max_i32_e32 v8, v7, v8
	v_mul_hi_u32 v9, v8, v15
	v_ashrrev_i32_e32 v7, 31, v7
	v_cmp_lt_i32_e64 s[0:1], s21, v1
	v_mul_lo_u32 v9, v9, s22
	v_sub_u32_e32 v8, v8, v9
	v_subrev_u32_e32 v9, s22, v8
	v_cmp_le_u32_e32 vcc, s22, v8
	v_cndmask_b32_e32 v8, v8, v9, vcc
	v_subrev_u32_e32 v9, s22, v8
	v_cmp_le_u32_e32 vcc, s22, v8
	v_cndmask_b32_e32 v8, v8, v9, vcc
	v_xor_b32_e32 v8, v8, v7
	v_sub_u32_e32 v7, v8, v7
	v_cmp_eq_u32_e32 vcc, 0, v7
	s_or_b64 s[0:1], vcc, s[0:1]
	s_and_saveexec_b64 s[12:13], s[0:1]
	s_cbranch_execz .LBB236_87
; %bb.89:                               ;   in Loop: Header=BB236_88 Depth=1
	ds_read2_b64 v[22:25], v17 offset1:1
	ds_read2_b64 v[26:29], v17 offset0:2 offset1:3
	s_waitcnt lgkmcnt(1)
	;;#ASMSTART
	v_cvt_f16_f32 v22, v22;

	;;#ASMEND
	;;#ASMSTART
	v_cvt_f16_f32 v23, v23;

	;;#ASMEND
	;; [unrolled: 4-line block ×4, first 2 shown]
	s_waitcnt lgkmcnt(0)
	;;#ASMSTART
	v_cvt_f16_f32 v26, v26;

	;;#ASMEND
	;;#ASMSTART
	v_cvt_f16_f32 v27, v27;

	;;#ASMEND
	;; [unrolled: 4-line block ×4, first 2 shown]
	global_load_dword v1, v[5:6], off
	s_waitcnt vmcnt(0)
	v_mad_i64_i32 v[31:32], s[0:1], v1, s34, v[3:4]
	global_load_dwordx2 v[7:8], v[31:32], off
	global_load_dword v30, v2, s[14:15]
	s_mov_b64 s[0:1], 0
	s_waitcnt vmcnt(1)
	v_cmp_gt_i16_sdwa s[16:17], v7, s28 src0_sel:BYTE_0 src1_sel:DWORD
	s_and_saveexec_b64 s[18:19], s[16:17]
	s_xor_b64 s[16:17], exec, s[18:19]
	s_cbranch_execnz .LBB236_115
; %bb.90:                               ;   in Loop: Header=BB236_88 Depth=1
	s_or_saveexec_b64 s[16:17], s[16:17]
	v_mov_b32_e32 v31, 0x8000
	s_xor_b64 exec, exec, s[16:17]
	s_cbranch_execnz .LBB236_118
.LBB236_91:                             ;   in Loop: Header=BB236_88 Depth=1
	s_or_b64 exec, exec, s[16:17]
	s_and_saveexec_b64 s[16:17], s[0:1]
	s_cbranch_execz .LBB236_93
.LBB236_92:                             ;   in Loop: Header=BB236_88 Depth=1
	v_and_b32_e32 v1, 7, v7
	v_ffbh_u32_e32 v9, v1
	v_min_u32_e32 v9, 32, v9
	v_subrev_u32_e32 v31, 28, v9
	v_lshlrev_b64 v[31:32], v31, v[7:8]
	v_and_b32_e32 v32, 0x7f, v7
	v_cmp_gt_u32_e32 vcc, 8, v32
	v_sub_u32_e32 v9, 29, v9
	v_bfe_u32 v33, v7, 3, 4
	v_cndmask_b32_e32 v9, v33, v9, vcc
	v_and_b32_e32 v31, 7, v31
	v_lshl_add_u32 v9, v9, 10, v18
	v_cndmask_b32_e32 v1, v1, v31, vcc
	v_lshlrev_b32_e32 v31, 8, v7
	v_and_b32_e32 v9, 0xfc00, v9
	v_and_or_b32 v9, v31, s31, v9
	v_lshl_or_b32 v1, v1, 7, v9
	v_cmp_ne_u32_e32 vcc, s28, v32
	v_cndmask_b32_e32 v31, v19, v1, vcc
.LBB236_93:                             ;   in Loop: Header=BB236_88 Depth=1
	s_or_b64 exec, exec, s[16:17]
	v_lshrrev_b16_e32 v1, 8, v7
	v_cmp_lt_i16_e32 vcc, s28, v1
	s_mov_b64 s[0:1], 0
	s_and_saveexec_b64 s[16:17], vcc
	s_xor_b64 s[16:17], exec, s[16:17]
	s_cbranch_execnz .LBB236_119
; %bb.94:                               ;   in Loop: Header=BB236_88 Depth=1
	s_or_saveexec_b64 s[16:17], s[16:17]
	v_bfrev_b32_e32 v32, 1
	s_xor_b64 exec, exec, s[16:17]
	s_cbranch_execnz .LBB236_122
.LBB236_95:                             ;   in Loop: Header=BB236_88 Depth=1
	s_or_b64 exec, exec, s[16:17]
	s_and_saveexec_b64 s[16:17], s[0:1]
	s_cbranch_execz .LBB236_97
.LBB236_96:                             ;   in Loop: Header=BB236_88 Depth=1
	v_and_b32_e32 v9, 7, v1
	v_ffbh_u32_e32 v32, v9
	v_min_u32_e32 v36, 32, v32
	v_subrev_u32_e32 v32, 28, v36
	v_and_b32_e32 v34, 0x7f, v1
	v_lshlrev_b64 v[32:33], v32, v[1:2]
	v_bfe_u32 v35, v1, 3, 4
	v_sub_u32_e32 v33, 29, v36
	v_cmp_gt_u32_e32 vcc, 8, v34
	v_cndmask_b32_e32 v33, v35, v33, vcc
	v_lshlrev_b32_e32 v1, 8, v1
	v_lshl_add_u32 v33, v33, 10, v18
	v_and_b32_e32 v32, 7, v32
	v_and_or_b32 v1, v1, s31, v33
	v_cndmask_b32_e32 v9, v9, v32, vcc
	v_lshlrev_b32_e32 v1, 16, v1
	v_lshl_or_b32 v1, v9, 23, v1
	v_cmp_ne_u32_e32 vcc, s28, v34
	v_cndmask_b32_e32 v32, v20, v1, vcc
.LBB236_97:                             ;   in Loop: Header=BB236_88 Depth=1
	s_or_b64 exec, exec, s[16:17]
	v_lshrrev_b32_e32 v9, 16, v7
	v_cmp_gt_i16_sdwa s[16:17], v9, s28 src0_sel:BYTE_0 src1_sel:DWORD
	s_mov_b64 s[0:1], 0
	s_and_saveexec_b64 s[18:19], s[16:17]
	s_xor_b64 s[16:17], exec, s[18:19]
	s_cbranch_execnz .LBB236_123
; %bb.98:                               ;   in Loop: Header=BB236_88 Depth=1
	s_or_saveexec_b64 s[16:17], s[16:17]
	v_mov_b32_e32 v33, 0x8000
	s_xor_b64 exec, exec, s[16:17]
	s_cbranch_execnz .LBB236_126
.LBB236_99:                             ;   in Loop: Header=BB236_88 Depth=1
	s_or_b64 exec, exec, s[16:17]
	s_and_saveexec_b64 s[16:17], s[0:1]
	s_cbranch_execz .LBB236_101
.LBB236_100:                            ;   in Loop: Header=BB236_88 Depth=1
	v_and_b32_e32 v1, 7, v9
	v_ffbh_u32_e32 v33, v1
	v_min_u32_e32 v37, 32, v33
	v_subrev_u32_e32 v33, 28, v37
	v_and_b32_e32 v35, 0x7f, v9
	v_lshlrev_b64 v[33:34], v33, v[9:10]
	v_bfe_u32 v36, v9, 3, 4
	v_sub_u32_e32 v34, 29, v37
	v_cmp_gt_u32_e32 vcc, 8, v35
	v_cndmask_b32_e32 v34, v36, v34, vcc
	v_lshl_add_u32 v34, v34, 10, v18
	v_and_b32_e32 v33, 7, v33
	v_lshlrev_b32_e32 v36, 8, v9
	v_cndmask_b32_e32 v1, v1, v33, vcc
	v_and_b32_e32 v33, 0xfc00, v34
	v_and_or_b32 v33, v36, s31, v33
	v_lshl_or_b32 v1, v1, 7, v33
	v_cmp_ne_u32_e32 vcc, s28, v35
	v_cndmask_b32_e32 v33, v19, v1, vcc
.LBB236_101:                            ;   in Loop: Header=BB236_88 Depth=1
	s_or_b64 exec, exec, s[16:17]
	v_cmp_gt_i16_sdwa s[16:17], v8, s28 src0_sel:BYTE_0 src1_sel:DWORD
	s_mov_b64 s[0:1], 0
	s_and_saveexec_b64 s[18:19], s[16:17]
	s_xor_b64 s[16:17], exec, s[18:19]
	s_cbranch_execnz .LBB236_127
; %bb.102:                              ;   in Loop: Header=BB236_88 Depth=1
	s_or_saveexec_b64 s[16:17], s[16:17]
	v_mov_b32_e32 v34, 0x8000
	s_xor_b64 exec, exec, s[16:17]
	s_cbranch_execnz .LBB236_130
.LBB236_103:                            ;   in Loop: Header=BB236_88 Depth=1
	s_or_b64 exec, exec, s[16:17]
	v_mov_b32_e32 v1, v8
	s_and_saveexec_b64 s[16:17], s[0:1]
	s_cbranch_execz .LBB236_105
.LBB236_104:                            ;   in Loop: Header=BB236_88 Depth=1
	v_and_b32_e32 v36, 7, v8
	v_ffbh_u32_e32 v34, v36
	v_min_u32_e32 v39, 32, v34
	v_subrev_u32_e32 v34, 28, v39
	v_and_b32_e32 v37, 0x7f, v8
	v_lshlrev_b64 v[34:35], v34, v[1:2]
	v_bfe_u32 v38, v8, 3, 4
	v_sub_u32_e32 v35, 29, v39
	v_cmp_gt_u32_e32 vcc, 8, v37
	v_cndmask_b32_e32 v35, v38, v35, vcc
	v_lshl_add_u32 v35, v35, 10, v18
	v_lshlrev_b32_e32 v38, 8, v8
	v_and_b32_e32 v34, 7, v34
	v_and_b32_e32 v35, 0xfc00, v35
	v_cndmask_b32_e32 v34, v36, v34, vcc
	v_and_or_b32 v35, v38, s31, v35
	v_lshl_or_b32 v34, v34, 7, v35
	v_cmp_ne_u32_e32 vcc, s28, v37
	v_cndmask_b32_e32 v34, v19, v34, vcc
.LBB236_105:                            ;   in Loop: Header=BB236_88 Depth=1
	s_or_b64 exec, exec, s[16:17]
	v_lshrrev_b16_e32 v1, 8, v1
	v_cmp_lt_i16_e32 vcc, s28, v1
	s_mov_b64 s[0:1], 0
	s_and_saveexec_b64 s[16:17], vcc
	s_xor_b64 s[16:17], exec, s[16:17]
	s_cbranch_execnz .LBB236_131
; %bb.106:                              ;   in Loop: Header=BB236_88 Depth=1
	s_or_saveexec_b64 s[16:17], s[16:17]
	v_bfrev_b32_e32 v35, 1
	s_xor_b64 exec, exec, s[16:17]
	s_cbranch_execnz .LBB236_134
.LBB236_107:                            ;   in Loop: Header=BB236_88 Depth=1
	s_or_b64 exec, exec, s[16:17]
	s_and_saveexec_b64 s[16:17], s[0:1]
	s_cbranch_execz .LBB236_109
.LBB236_108:                            ;   in Loop: Header=BB236_88 Depth=1
	v_and_b32_e32 v37, 7, v1
	v_ffbh_u32_e32 v35, v37
	v_min_u32_e32 v40, 32, v35
	v_subrev_u32_e32 v35, 28, v40
	v_and_b32_e32 v38, 0x7f, v1
	v_lshlrev_b64 v[35:36], v35, v[1:2]
	v_bfe_u32 v39, v1, 3, 4
	v_sub_u32_e32 v36, 29, v40
	v_cmp_gt_u32_e32 vcc, 8, v38
	v_cndmask_b32_e32 v36, v39, v36, vcc
	v_lshlrev_b32_e32 v1, 8, v1
	v_lshl_add_u32 v36, v36, 10, v18
	v_and_b32_e32 v35, 7, v35
	v_and_or_b32 v1, v1, s31, v36
	v_cndmask_b32_e32 v35, v37, v35, vcc
	v_lshlrev_b32_e32 v1, 16, v1
	v_lshl_or_b32 v1, v35, 23, v1
	v_cmp_ne_u32_e32 vcc, s28, v38
	v_cndmask_b32_e32 v35, v20, v1, vcc
.LBB236_109:                            ;   in Loop: Header=BB236_88 Depth=1
	s_or_b64 exec, exec, s[16:17]
	v_lshrrev_b32_e32 v1, 16, v8
	v_cmp_gt_i16_sdwa s[16:17], v1, s28 src0_sel:BYTE_0 src1_sel:DWORD
	s_mov_b64 s[0:1], 0
	s_and_saveexec_b64 s[18:19], s[16:17]
	s_xor_b64 s[16:17], exec, s[18:19]
	s_cbranch_execnz .LBB236_135
; %bb.110:                              ;   in Loop: Header=BB236_88 Depth=1
	s_or_saveexec_b64 s[16:17], s[16:17]
	v_mov_b32_e32 v36, 0x8000
	s_xor_b64 exec, exec, s[16:17]
	s_cbranch_execnz .LBB236_138
.LBB236_111:                            ;   in Loop: Header=BB236_88 Depth=1
	s_or_b64 exec, exec, s[16:17]
	s_and_saveexec_b64 s[16:17], s[0:1]
	s_cbranch_execz .LBB236_113
.LBB236_112:                            ;   in Loop: Header=BB236_88 Depth=1
	v_and_b32_e32 v38, 7, v1
	v_ffbh_u32_e32 v36, v38
	v_min_u32_e32 v41, 32, v36
	v_subrev_u32_e32 v36, 28, v41
	v_and_b32_e32 v39, 0x7f, v1
	v_lshlrev_b64 v[36:37], v36, v[1:2]
	v_bfe_u32 v40, v1, 3, 4
	v_sub_u32_e32 v37, 29, v41
	v_cmp_gt_u32_e32 vcc, 8, v39
	v_cndmask_b32_e32 v37, v40, v37, vcc
	v_lshl_add_u32 v37, v37, 10, v18
	v_lshlrev_b32_e32 v40, 8, v1
	v_and_b32_e32 v36, 7, v36
	v_and_b32_e32 v37, 0xfc00, v37
	v_cndmask_b32_e32 v36, v38, v36, vcc
	v_and_or_b32 v37, v40, s31, v37
	v_lshl_or_b32 v36, v36, 7, v37
	v_cmp_ne_u32_e32 vcc, s28, v39
	v_cndmask_b32_e32 v36, v19, v36, vcc
.LBB236_113:                            ;   in Loop: Header=BB236_88 Depth=1
	s_or_b64 exec, exec, s[16:17]
	v_bfe_u32 v40, v7, 24, 3
	v_ffbh_u32_e32 v38, v40
	v_min_u32_e32 v43, 32, v38
	v_lshrrev_b32_e32 v37, 24, v7
	v_subrev_u32_e32 v38, 28, v43
	v_bfe_u32 v41, v7, 24, 7
	v_lshlrev_b64 v[38:39], v38, v[37:38]
	v_bfe_u32 v42, v37, 3, 4
	v_sub_u32_e32 v39, 29, v43
	v_cmp_gt_u32_e32 vcc, 8, v41
	v_cndmask_b32_e32 v39, v42, v39, vcc
	v_lshl_add_u32 v39, v39, 10, v18
	v_and_b32_e32 v38, 7, v38
	v_and_or_b32 v9, v9, s31, v39
	v_cndmask_b32_e32 v38, v40, v38, vcc
	v_lshlrev_b32_e32 v9, 16, v9
	v_lshl_or_b32 v9, v38, 23, v9
	v_cmp_ne_u32_e32 vcc, s28, v41
	v_bfe_u32 v40, v8, 24, 3
	v_cndmask_b32_e32 v9, v20, v9, vcc
	v_cmp_ne_u32_e32 vcc, s29, v37
	v_ffbh_u32_e32 v37, v40
	v_cndmask_b32_e32 v9, v21, v9, vcc
	v_cmp_lt_u32_e32 vcc, s5, v7
	v_min_u32_e32 v43, 32, v37
	v_cndmask_b32_e32 v39, 0, v9, vcc
	v_lshrrev_b32_e32 v9, 24, v8
	v_subrev_u32_e32 v37, 28, v43
	v_bfe_u32 v41, v8, 24, 7
	v_lshlrev_b64 v[37:38], v37, v[9:10]
	v_bfe_u32 v42, v9, 3, 4
	v_sub_u32_e32 v38, 29, v43
	v_cmp_gt_u32_e32 vcc, 8, v41
	v_cndmask_b32_e32 v38, v42, v38, vcc
	v_lshl_add_u32 v38, v38, 10, v18
	v_and_b32_e32 v37, 7, v37
	v_and_or_b32 v1, v1, s31, v38
	v_cndmask_b32_e32 v37, v40, v37, vcc
	v_lshlrev_b32_e32 v1, 16, v1
	v_lshl_or_b32 v1, v37, 23, v1
	v_cmp_ne_u32_e64 s[0:1], s28, v41
	v_cndmask_b32_e64 v1, v20, v1, s[0:1]
	v_cmp_ne_u32_e64 s[0:1], s29, v9
	v_cndmask_b32_e64 v1, v21, v1, s[0:1]
	v_cmp_lt_u64_e64 s[0:1], s[4:5], v[7:8]
	s_waitcnt vmcnt(0)
	v_fma_mixlo_f16 v7, v30, v39, 0 op_sel:[0,1,0] op_sel_hi:[0,1,0]
	v_cndmask_b32_e64 v40, 0, v1, s[0:1]
	v_fma_mixlo_f16 v8, v30, v32, 0 op_sel:[0,1,0] op_sel_hi:[0,1,0]
	v_or_b32_e32 v1, v33, v39
	v_lshlrev_b32_e32 v9, 16, v7
	v_or_b32_e32 v7, v32, v31
	v_lshlrev_b32_e32 v37, 16, v8
	v_or_b32_e32 v8, v35, v34
	v_or_b32_e32 v32, v36, v40
	v_fma_mixlo_f16 v1, v30, v1, 0 op_sel_hi:[0,1,0]
	v_fma_mixlo_f16 v7, v30, v7, 0 op_sel_hi:[0,1,0]
	v_fma_mixlo_f16 v31, v30, v35, 0 op_sel:[0,1,0] op_sel_hi:[0,1,0]
	v_fma_mixlo_f16 v8, v30, v8, 0 op_sel_hi:[0,1,0]
	v_fma_mixlo_f16 v32, v30, v32, 0 op_sel_hi:[0,1,0]
	v_fma_mixlo_f16 v30, v30, v40, 0 op_sel:[0,1,0] op_sel_hi:[0,1,0]
	v_and_b32_e32 v33, 0xffff, v1
	v_and_b32_e32 v38, 0xffff, v7
	v_lshlrev_b32_e32 v31, 16, v31
	v_and_b32_e32 v35, 0xffff, v8
	v_lshlrev_b32_e32 v30, 16, v30
	v_and_b32_e32 v34, 0xffff, v32
	v_cmp_eq_u32_e32 vcc, s35, v10
	v_or_b32_e32 v1, v9, v33
	v_or_b32_e32 v7, v37, v38
	;; [unrolled: 1-line block ×4, first 2 shown]
	s_and_saveexec_b64 s[0:1], vcc
	s_cbranch_execz .LBB236_86
; %bb.114:                              ;   in Loop: Header=BB236_88 Depth=1
	v_add_u32_e32 v32, v14, v11
	v_cmp_gt_i32_e32 vcc, s11, v32
	v_add_u32_e32 v7, 1, v32
	v_cndmask_b32_e32 v1, 0, v38, vcc
	v_cmp_gt_i32_e32 vcc, s11, v7
	v_cndmask_b32_e32 v7, 0, v37, vcc
	v_or_b32_e32 v7, v7, v1
	v_add_u32_e32 v1, 2, v32
	v_cmp_gt_i32_e32 vcc, s11, v1
	v_add_u32_e32 v8, 3, v32
	v_cndmask_b32_e32 v1, 0, v33, vcc
	v_cmp_gt_i32_e32 vcc, s11, v8
	v_cndmask_b32_e32 v8, 0, v9, vcc
	v_or_b32_e32 v1, v8, v1
	;; [unrolled: 7-line block ×4, first 2 shown]
	s_branch .LBB236_86
.LBB236_115:                            ;   in Loop: Header=BB236_88 Depth=1
	v_cmp_eq_u16_sdwa s[38:39], v7, s29 src0_sel:BYTE_0 src1_sel:DWORD
	s_mov_b64 s[0:1], -1
	s_and_saveexec_b64 s[18:19], s[38:39]
; %bb.116:                              ;   in Loop: Header=BB236_88 Depth=1
	s_xor_b64 s[0:1], exec, -1
; %bb.117:                              ;   in Loop: Header=BB236_88 Depth=1
	s_or_b64 exec, exec, s[18:19]
	s_and_b64 s[0:1], s[0:1], exec
	s_or_saveexec_b64 s[16:17], s[16:17]
	v_mov_b32_e32 v31, 0x8000
	s_xor_b64 exec, exec, s[16:17]
	s_cbranch_execz .LBB236_91
.LBB236_118:                            ;   in Loop: Header=BB236_88 Depth=1
	v_cmp_ne_u16_sdwa s[18:19], v7, v2 src0_sel:BYTE_0 src1_sel:DWORD
	s_andn2_b64 s[0:1], s[0:1], exec
	s_and_b64 s[18:19], s[18:19], exec
	v_and_b32_sdwa v31, s30, v7 dst_sel:DWORD dst_unused:UNUSED_PAD src0_sel:DWORD src1_sel:BYTE_0
	s_or_b64 s[0:1], s[0:1], s[18:19]
	s_or_b64 exec, exec, s[16:17]
	s_and_saveexec_b64 s[16:17], s[0:1]
	s_cbranch_execnz .LBB236_92
	s_branch .LBB236_93
.LBB236_119:                            ;   in Loop: Header=BB236_88 Depth=1
	v_cmp_eq_u16_e32 vcc, s29, v1
	s_mov_b64 s[0:1], -1
	s_and_saveexec_b64 s[18:19], vcc
; %bb.120:                              ;   in Loop: Header=BB236_88 Depth=1
	s_xor_b64 s[0:1], exec, -1
; %bb.121:                              ;   in Loop: Header=BB236_88 Depth=1
	s_or_b64 exec, exec, s[18:19]
	s_and_b64 s[0:1], s[0:1], exec
	s_or_saveexec_b64 s[16:17], s[16:17]
	v_bfrev_b32_e32 v32, 1
	s_xor_b64 exec, exec, s[16:17]
	s_cbranch_execz .LBB236_95
.LBB236_122:                            ;   in Loop: Header=BB236_88 Depth=1
	v_cmp_ne_u16_e32 vcc, 0, v1
	s_andn2_b64 s[0:1], s[0:1], exec
	s_and_b64 s[18:19], vcc, exec
	s_or_b64 s[0:1], s[0:1], s[18:19]
	v_mov_b32_e32 v32, v1
	s_or_b64 exec, exec, s[16:17]
	s_and_saveexec_b64 s[16:17], s[0:1]
	s_cbranch_execnz .LBB236_96
	s_branch .LBB236_97
.LBB236_123:                            ;   in Loop: Header=BB236_88 Depth=1
	v_cmp_eq_u16_sdwa s[38:39], v9, s29 src0_sel:BYTE_0 src1_sel:DWORD
	s_mov_b64 s[0:1], -1
	s_and_saveexec_b64 s[18:19], s[38:39]
; %bb.124:                              ;   in Loop: Header=BB236_88 Depth=1
	s_xor_b64 s[0:1], exec, -1
; %bb.125:                              ;   in Loop: Header=BB236_88 Depth=1
	s_or_b64 exec, exec, s[18:19]
	s_and_b64 s[0:1], s[0:1], exec
	s_or_saveexec_b64 s[16:17], s[16:17]
	v_mov_b32_e32 v33, 0x8000
	s_xor_b64 exec, exec, s[16:17]
	s_cbranch_execz .LBB236_99
.LBB236_126:                            ;   in Loop: Header=BB236_88 Depth=1
	v_cmp_ne_u16_sdwa s[18:19], v9, v2 src0_sel:BYTE_0 src1_sel:DWORD
	s_andn2_b64 s[0:1], s[0:1], exec
	s_and_b64 s[18:19], s[18:19], exec
	v_and_b32_sdwa v33, s30, v9 dst_sel:DWORD dst_unused:UNUSED_PAD src0_sel:DWORD src1_sel:BYTE_0
	s_or_b64 s[0:1], s[0:1], s[18:19]
	s_or_b64 exec, exec, s[16:17]
	s_and_saveexec_b64 s[16:17], s[0:1]
	s_cbranch_execnz .LBB236_100
	s_branch .LBB236_101
.LBB236_127:                            ;   in Loop: Header=BB236_88 Depth=1
	v_cmp_eq_u16_sdwa s[38:39], v8, s29 src0_sel:BYTE_0 src1_sel:DWORD
	s_mov_b64 s[0:1], -1
	s_and_saveexec_b64 s[18:19], s[38:39]
; %bb.128:                              ;   in Loop: Header=BB236_88 Depth=1
	s_xor_b64 s[0:1], exec, -1
; %bb.129:                              ;   in Loop: Header=BB236_88 Depth=1
	s_or_b64 exec, exec, s[18:19]
	s_and_b64 s[0:1], s[0:1], exec
	s_or_saveexec_b64 s[16:17], s[16:17]
	v_mov_b32_e32 v34, 0x8000
	s_xor_b64 exec, exec, s[16:17]
	s_cbranch_execz .LBB236_103
.LBB236_130:                            ;   in Loop: Header=BB236_88 Depth=1
	v_cmp_ne_u16_sdwa s[18:19], v8, v2 src0_sel:BYTE_0 src1_sel:DWORD
	s_andn2_b64 s[0:1], s[0:1], exec
	s_and_b64 s[18:19], s[18:19], exec
	v_and_b32_sdwa v34, s30, v8 dst_sel:DWORD dst_unused:UNUSED_PAD src0_sel:DWORD src1_sel:BYTE_0
	s_or_b64 s[0:1], s[0:1], s[18:19]
	s_or_b64 exec, exec, s[16:17]
	v_mov_b32_e32 v1, v8
	s_and_saveexec_b64 s[16:17], s[0:1]
	s_cbranch_execnz .LBB236_104
	s_branch .LBB236_105
.LBB236_131:                            ;   in Loop: Header=BB236_88 Depth=1
	v_cmp_eq_u16_e32 vcc, s29, v1
	s_mov_b64 s[0:1], -1
	s_and_saveexec_b64 s[18:19], vcc
; %bb.132:                              ;   in Loop: Header=BB236_88 Depth=1
	s_xor_b64 s[0:1], exec, -1
; %bb.133:                              ;   in Loop: Header=BB236_88 Depth=1
	s_or_b64 exec, exec, s[18:19]
	s_and_b64 s[0:1], s[0:1], exec
	s_or_saveexec_b64 s[16:17], s[16:17]
	v_bfrev_b32_e32 v35, 1
	s_xor_b64 exec, exec, s[16:17]
	s_cbranch_execz .LBB236_107
.LBB236_134:                            ;   in Loop: Header=BB236_88 Depth=1
	v_cmp_ne_u16_e32 vcc, 0, v1
	s_andn2_b64 s[0:1], s[0:1], exec
	s_and_b64 s[18:19], vcc, exec
	s_or_b64 s[0:1], s[0:1], s[18:19]
	v_mov_b32_e32 v35, v1
	s_or_b64 exec, exec, s[16:17]
	s_and_saveexec_b64 s[16:17], s[0:1]
	s_cbranch_execnz .LBB236_108
	s_branch .LBB236_109
.LBB236_135:                            ;   in Loop: Header=BB236_88 Depth=1
	v_cmp_eq_u16_sdwa s[38:39], v1, s29 src0_sel:BYTE_0 src1_sel:DWORD
	s_mov_b64 s[0:1], -1
	s_and_saveexec_b64 s[18:19], s[38:39]
; %bb.136:                              ;   in Loop: Header=BB236_88 Depth=1
	s_xor_b64 s[0:1], exec, -1
; %bb.137:                              ;   in Loop: Header=BB236_88 Depth=1
	s_or_b64 exec, exec, s[18:19]
	s_and_b64 s[0:1], s[0:1], exec
	s_or_saveexec_b64 s[16:17], s[16:17]
	v_mov_b32_e32 v36, 0x8000
	s_xor_b64 exec, exec, s[16:17]
	s_cbranch_execz .LBB236_111
.LBB236_138:                            ;   in Loop: Header=BB236_88 Depth=1
	v_cmp_ne_u16_sdwa s[18:19], v1, v2 src0_sel:BYTE_0 src1_sel:DWORD
	s_andn2_b64 s[0:1], s[0:1], exec
	s_and_b64 s[18:19], s[18:19], exec
	v_and_b32_sdwa v36, s30, v1 dst_sel:DWORD dst_unused:UNUSED_PAD src0_sel:DWORD src1_sel:BYTE_0
	s_or_b64 s[0:1], s[0:1], s[18:19]
	s_or_b64 exec, exec, s[16:17]
	s_and_saveexec_b64 s[16:17], s[0:1]
	s_cbranch_execnz .LBB236_112
	s_branch .LBB236_113
.LBB236_139:
	s_or_b64 exec, exec, s[6:7]
.LBB236_140:
	s_or_b64 exec, exec, s[2:3]
	ds_bpermute_b32 v1, v13, v16
	v_and_b32_e32 v2, 0x3c1, v0
	v_cmp_eq_u32_e32 vcc, 64, v2
	s_waitcnt lgkmcnt(0)
	s_barrier
	v_add_f32_e32 v1, v16, v1
	s_and_saveexec_b64 s[0:1], vcc
; %bb.141:
	v_mov_b32_e32 v3, 0x50
	v_lshl_add_u32 v3, v12, 1, v3
	ds_write_b32 v3, v1
; %bb.142:
	s_or_b64 exec, exec, s[0:1]
	v_lshrrev_b32_e32 v0, 1, v0
	v_cmp_eq_u32_e32 vcc, 0, v2
	s_waitcnt lgkmcnt(0)
	s_barrier
	s_and_saveexec_b64 s[0:1], vcc
	s_cbranch_execz .LBB236_144
; %bb.143:
	v_mov_b32_e32 v2, 0x50
	v_lshl_add_u32 v2, v0, 2, v2
	ds_read_b32 v2, v2
	s_waitcnt lgkmcnt(0)
	v_add_f32_e32 v1, v1, v2
.LBB236_144:
	s_or_b64 exec, exec, s[0:1]
	s_barrier
	s_and_saveexec_b64 s[0:1], vcc
	s_cbranch_execz .LBB236_146
; %bb.145:
	s_mul_i32 s0, s10, s20
	s_mul_i32 s0, s0, s9
	s_lshl_b32 s0, s0, 5
	s_ashr_i32 s1, s0, 31
	s_lshl_b64 s[0:1], s[0:1], 1
	s_add_u32 s2, s26, s0
	s_mul_i32 s0, s20, s24
	s_addc_u32 s3, s27, s1
	s_ashr_i32 s1, s0, 31
	s_lshl_b64 s[0:1], s[0:1], 1
	s_add_u32 s2, s2, s0
	s_addc_u32 s3, s3, s1
	s_lshl_b32 s0, s8, 5
	s_ashr_i32 s1, s0, 31
	s_lshl_b64 s[0:1], s[0:1], 1
	s_add_u32 s0, s2, s0
	s_addc_u32 s1, s3, s1
	v_lshlrev_b32_e32 v0, 1, v0
	;;#ASMSTART
	v_cvt_f16_f32 v1, v1;

	;;#ASMEND
	global_store_short v0, v1, s[0:1]
.LBB236_146:
	s_endpgm
	.section	.rodata,"a",@progbits
	.p2align	6, 0x0
	.amdhsa_kernel _ZN4vllm25paged_attention_v1_kernelIthLi32ELi16ELi128ELNS_18Fp8KVCacheDataTypeE1ELb1EEEvPT_PKS2_PKT0_S8_ifPKiSA_iPKfiiiSC_SC_iiiii
		.amdhsa_group_segment_fixed_size 80
		.amdhsa_private_segment_fixed_size 0
		.amdhsa_kernarg_size 384
		.amdhsa_user_sgpr_count 6
		.amdhsa_user_sgpr_private_segment_buffer 1
		.amdhsa_user_sgpr_dispatch_ptr 0
		.amdhsa_user_sgpr_queue_ptr 0
		.amdhsa_user_sgpr_kernarg_segment_ptr 1
		.amdhsa_user_sgpr_dispatch_id 0
		.amdhsa_user_sgpr_flat_scratch_init 0
		.amdhsa_user_sgpr_private_segment_size 0
		.amdhsa_uses_dynamic_stack 0
		.amdhsa_system_sgpr_private_segment_wavefront_offset 0
		.amdhsa_system_sgpr_workgroup_id_x 1
		.amdhsa_system_sgpr_workgroup_id_y 1
		.amdhsa_system_sgpr_workgroup_id_z 1
		.amdhsa_system_sgpr_workgroup_info 0
		.amdhsa_system_vgpr_workitem_id 0
		.amdhsa_next_free_vgpr 44
		.amdhsa_next_free_sgpr 55
		.amdhsa_reserve_vcc 1
		.amdhsa_reserve_flat_scratch 0
		.amdhsa_float_round_mode_32 0
		.amdhsa_float_round_mode_16_64 0
		.amdhsa_float_denorm_mode_32 3
		.amdhsa_float_denorm_mode_16_64 3
		.amdhsa_dx10_clamp 1
		.amdhsa_ieee_mode 1
		.amdhsa_fp16_overflow 0
		.amdhsa_exception_fp_ieee_invalid_op 0
		.amdhsa_exception_fp_denorm_src 0
		.amdhsa_exception_fp_ieee_div_zero 0
		.amdhsa_exception_fp_ieee_overflow 0
		.amdhsa_exception_fp_ieee_underflow 0
		.amdhsa_exception_fp_ieee_inexact 0
		.amdhsa_exception_int_div_zero 0
	.end_amdhsa_kernel
	.section	.text._ZN4vllm25paged_attention_v1_kernelIthLi32ELi16ELi128ELNS_18Fp8KVCacheDataTypeE1ELb1EEEvPT_PKS2_PKT0_S8_ifPKiSA_iPKfiiiSC_SC_iiiii,"axG",@progbits,_ZN4vllm25paged_attention_v1_kernelIthLi32ELi16ELi128ELNS_18Fp8KVCacheDataTypeE1ELb1EEEvPT_PKS2_PKT0_S8_ifPKiSA_iPKfiiiSC_SC_iiiii,comdat
.Lfunc_end236:
	.size	_ZN4vllm25paged_attention_v1_kernelIthLi32ELi16ELi128ELNS_18Fp8KVCacheDataTypeE1ELb1EEEvPT_PKS2_PKT0_S8_ifPKiSA_iPKfiiiSC_SC_iiiii, .Lfunc_end236-_ZN4vllm25paged_attention_v1_kernelIthLi32ELi16ELi128ELNS_18Fp8KVCacheDataTypeE1ELb1EEEvPT_PKS2_PKT0_S8_ifPKiSA_iPKfiiiSC_SC_iiiii
                                        ; -- End function
	.set _ZN4vllm25paged_attention_v1_kernelIthLi32ELi16ELi128ELNS_18Fp8KVCacheDataTypeE1ELb1EEEvPT_PKS2_PKT0_S8_ifPKiSA_iPKfiiiSC_SC_iiiii.num_vgpr, 44
	.set _ZN4vllm25paged_attention_v1_kernelIthLi32ELi16ELi128ELNS_18Fp8KVCacheDataTypeE1ELb1EEEvPT_PKS2_PKT0_S8_ifPKiSA_iPKfiiiSC_SC_iiiii.num_agpr, 0
	.set _ZN4vllm25paged_attention_v1_kernelIthLi32ELi16ELi128ELNS_18Fp8KVCacheDataTypeE1ELb1EEEvPT_PKS2_PKT0_S8_ifPKiSA_iPKfiiiSC_SC_iiiii.numbered_sgpr, 55
	.set _ZN4vllm25paged_attention_v1_kernelIthLi32ELi16ELi128ELNS_18Fp8KVCacheDataTypeE1ELb1EEEvPT_PKS2_PKT0_S8_ifPKiSA_iPKfiiiSC_SC_iiiii.num_named_barrier, 0
	.set _ZN4vllm25paged_attention_v1_kernelIthLi32ELi16ELi128ELNS_18Fp8KVCacheDataTypeE1ELb1EEEvPT_PKS2_PKT0_S8_ifPKiSA_iPKfiiiSC_SC_iiiii.private_seg_size, 0
	.set _ZN4vllm25paged_attention_v1_kernelIthLi32ELi16ELi128ELNS_18Fp8KVCacheDataTypeE1ELb1EEEvPT_PKS2_PKT0_S8_ifPKiSA_iPKfiiiSC_SC_iiiii.uses_vcc, 1
	.set _ZN4vllm25paged_attention_v1_kernelIthLi32ELi16ELi128ELNS_18Fp8KVCacheDataTypeE1ELb1EEEvPT_PKS2_PKT0_S8_ifPKiSA_iPKfiiiSC_SC_iiiii.uses_flat_scratch, 0
	.set _ZN4vllm25paged_attention_v1_kernelIthLi32ELi16ELi128ELNS_18Fp8KVCacheDataTypeE1ELb1EEEvPT_PKS2_PKT0_S8_ifPKiSA_iPKfiiiSC_SC_iiiii.has_dyn_sized_stack, 0
	.set _ZN4vllm25paged_attention_v1_kernelIthLi32ELi16ELi128ELNS_18Fp8KVCacheDataTypeE1ELb1EEEvPT_PKS2_PKT0_S8_ifPKiSA_iPKfiiiSC_SC_iiiii.has_recursion, 0
	.set _ZN4vllm25paged_attention_v1_kernelIthLi32ELi16ELi128ELNS_18Fp8KVCacheDataTypeE1ELb1EEEvPT_PKS2_PKT0_S8_ifPKiSA_iPKfiiiSC_SC_iiiii.has_indirect_call, 0
	.section	.AMDGPU.csdata,"",@progbits
; Kernel info:
; codeLenInByte = 7324
; TotalNumSgprs: 59
; NumVgprs: 44
; ScratchSize: 0
; MemoryBound: 0
; FloatMode: 240
; IeeeMode: 1
; LDSByteSize: 80 bytes/workgroup (compile time only)
; SGPRBlocks: 7
; VGPRBlocks: 10
; NumSGPRsForWavesPerEU: 59
; NumVGPRsForWavesPerEU: 44
; Occupancy: 5
; WaveLimiterHint : 1
; COMPUTE_PGM_RSRC2:SCRATCH_EN: 0
; COMPUTE_PGM_RSRC2:USER_SGPR: 6
; COMPUTE_PGM_RSRC2:TRAP_HANDLER: 0
; COMPUTE_PGM_RSRC2:TGID_X_EN: 1
; COMPUTE_PGM_RSRC2:TGID_Y_EN: 1
; COMPUTE_PGM_RSRC2:TGID_Z_EN: 1
; COMPUTE_PGM_RSRC2:TIDIG_COMP_CNT: 0
	.section	.text._ZN4vllm25paged_attention_v1_kernelIthLi64ELi16ELi128ELNS_18Fp8KVCacheDataTypeE1ELb1EEEvPT_PKS2_PKT0_S8_ifPKiSA_iPKfiiiSC_SC_iiiii,"axG",@progbits,_ZN4vllm25paged_attention_v1_kernelIthLi64ELi16ELi128ELNS_18Fp8KVCacheDataTypeE1ELb1EEEvPT_PKS2_PKT0_S8_ifPKiSA_iPKfiiiSC_SC_iiiii,comdat
	.protected	_ZN4vllm25paged_attention_v1_kernelIthLi64ELi16ELi128ELNS_18Fp8KVCacheDataTypeE1ELb1EEEvPT_PKS2_PKT0_S8_ifPKiSA_iPKfiiiSC_SC_iiiii ; -- Begin function _ZN4vllm25paged_attention_v1_kernelIthLi64ELi16ELi128ELNS_18Fp8KVCacheDataTypeE1ELb1EEEvPT_PKS2_PKT0_S8_ifPKiSA_iPKfiiiSC_SC_iiiii
	.globl	_ZN4vllm25paged_attention_v1_kernelIthLi64ELi16ELi128ELNS_18Fp8KVCacheDataTypeE1ELb1EEEvPT_PKS2_PKT0_S8_ifPKiSA_iPKfiiiSC_SC_iiiii
	.p2align	8
	.type	_ZN4vllm25paged_attention_v1_kernelIthLi64ELi16ELi128ELNS_18Fp8KVCacheDataTypeE1ELb1EEEvPT_PKS2_PKT0_S8_ifPKiSA_iPKfiiiSC_SC_iiiii,@function
_ZN4vllm25paged_attention_v1_kernelIthLi64ELi16ELi128ELNS_18Fp8KVCacheDataTypeE1ELb1EEEvPT_PKS2_PKT0_S8_ifPKiSA_iPKfiiiSC_SC_iiiii: ; @_ZN4vllm25paged_attention_v1_kernelIthLi64ELi16ELi128ELNS_18Fp8KVCacheDataTypeE1ELb1EEEvPT_PKS2_PKT0_S8_ifPKiSA_iPKfiiiSC_SC_iiiii
; %bb.0:
	s_load_dword s9, s[4:5], 0x80
	s_load_dwordx2 s[0:1], s[4:5], 0x30
	s_load_dwordx2 s[36:37], s[4:5], 0x20
	s_mov_b32 s10, s7
	s_ashr_i32 s11, s7, 31
	s_lshl_b64 s[2:3], s[10:11], 2
	s_waitcnt lgkmcnt(0)
	s_add_u32 s0, s0, s2
	s_addc_u32 s1, s1, s3
	s_abs_i32 s2, s36
	v_cvt_f32_u32_e32 v1, s2
	s_sub_i32 s11, 0, s2
	s_abs_i32 s7, s9
	s_xor_b32 s3, s9, s36
	v_rcp_iflag_f32_e32 v1, v1
	s_ashr_i32 s3, s3, 31
	s_mov_b32 s48, 0
	v_mul_f32_e32 v1, 0x4f7ffffe, v1
	v_cvt_u32_f32_e32 v1, v1
	v_readfirstlane_b32 s12, v1
	s_mul_i32 s11, s11, s12
	s_mul_hi_u32 s11, s12, s11
	s_add_i32 s12, s12, s11
	s_mul_hi_u32 s11, s7, s12
	s_mul_i32 s12, s11, s2
	s_sub_i32 s7, s7, s12
	s_add_i32 s12, s11, 1
	s_sub_i32 s13, s7, s2
	s_cmp_ge_u32 s7, s2
	s_cselect_b32 s11, s12, s11
	s_cselect_b32 s7, s13, s7
	s_add_i32 s12, s11, 1
	s_cmp_ge_u32 s7, s2
	s_cselect_b32 s2, s12, s11
	s_xor_b32 s2, s2, s3
	s_sub_i32 s15, s2, s3
	s_abs_i32 s12, s15
	v_cvt_f32_u32_e32 v1, s12
	s_load_dwordx2 s[2:3], s[4:5], 0x40
	s_sub_i32 s7, 0, s12
	s_abs_i32 s13, s6
	v_rcp_iflag_f32_e32 v1, v1
	v_mul_f32_e32 v1, 0x4f7ffffe, v1
	v_cvt_u32_f32_e32 v1, v1
	v_readfirstlane_b32 s11, v1
	s_mul_i32 s7, s7, s11
	s_mul_hi_u32 s7, s11, s7
	s_add_i32 s11, s11, s7
	s_waitcnt lgkmcnt(0)
	s_cmp_eq_u64 s[2:3], 0
	s_mul_hi_u32 s14, s13, s11
	s_cbranch_scc1 .LBB237_2
; %bb.1:
	s_ashr_i32 s7, s6, 31
	s_lshl_b64 s[16:17], s[6:7], 2
	s_add_u32 s2, s2, s16
	s_addc_u32 s3, s3, s17
	s_load_dword s48, s[2:3], 0x0
.LBB237_2:
	s_load_dword s11, s[0:1], 0x0
	s_load_dwordx4 s[16:19], s[4:5], 0x48
	s_ashr_i32 s2, s6, 31
	s_ashr_i32 s7, s15, 31
	v_and_b32_e32 v1, 3, v0
	s_lshl_b32 s24, s6, 6
	v_cmp_gt_u32_e32 vcc, 32, v0
	s_and_saveexec_b64 s[0:1], vcc
	s_cbranch_execz .LBB237_4
; %bb.3:
	s_load_dwordx2 s[20:21], s[4:5], 0x8
	s_waitcnt lgkmcnt(0)
	s_mul_i32 s22, s16, s10
	s_ashr_i32 s23, s22, 31
	s_lshl_b64 s[22:23], s[22:23], 1
	v_lshlrev_b32_e32 v2, 2, v0
	s_add_u32 s3, s20, s22
	s_addc_u32 s15, s21, s23
	s_ashr_i32 s25, s24, 31
	s_lshl_b64 s[20:21], s[24:25], 1
	s_add_u32 s20, s3, s20
	s_addc_u32 s21, s15, s21
	global_load_dword v2, v2, s[20:21]
	v_and_b32_e32 v3, 0x3fc, v0
	v_lshl_add_u32 v3, v1, 5, v3
	s_waitcnt vmcnt(0)
	ds_write_b32 v3, v2
.LBB237_4:
	s_or_b64 exec, exec, s[0:1]
	s_mul_i32 s1, s14, s12
	s_sub_i32 s1, s13, s1
	s_xor_b32 s0, s2, s7
	s_add_i32 s2, s14, 1
	s_sub_i32 s7, s1, s12
	s_load_dwordx4 s[20:23], s[4:5], 0x68
	s_load_dword s3, s[4:5], 0x78
	s_cmp_ge_u32 s1, s12
	s_cselect_b32 s2, s2, s14
	s_cselect_b32 s1, s7, s1
	s_add_i32 s7, s2, 1
	s_cmp_ge_u32 s1, s12
	s_cselect_b32 s1, s7, s2
	s_waitcnt lgkmcnt(0)
	s_abs_i32 s25, s23
	v_cvt_f32_u32_e32 v2, s25
	s_xor_b32 s1, s1, s0
	s_sub_i32 s2, s1, s0
	s_sub_i32 s0, 0, s25
	v_rcp_iflag_f32_e32 v2, v2
	s_add_i32 s12, s11, -1
	s_abs_i32 s7, s12
	v_mul_f32_e32 v2, 0x4f7ffffe, v2
	v_cvt_u32_f32_e32 v2, v2
	s_barrier
	v_readfirstlane_b32 s33, v2
	s_mul_i32 s0, s0, s33
	s_mul_hi_u32 s0, s33, s0
	s_add_i32 s33, s33, s0
	s_cmp_lt_i32 s3, 0
	s_mul_hi_u32 s16, s7, s33
	s_cbranch_scc0 .LBB237_6
; %bb.5:
	s_mul_i32 s0, s20, s36
	s_add_i32 s0, s2, s0
	s_mul_i32 s0, s0, s3
	s_sub_i32 s36, 1, s0
	s_mov_b64 s[0:1], 0
	s_branch .LBB237_7
.LBB237_6:
	s_mov_b64 s[0:1], -1
                                        ; implicit-def: $sgpr36
.LBB237_7:
	s_load_dwordx2 s[28:29], s[4:5], 0x28
	s_ashr_i32 s19, s12, 31
	s_andn2_b64 vcc, exec, s[0:1]
	s_ashr_i32 s46, s23, 31
	s_cbranch_vccnz .LBB237_9
; %bb.8:
	s_mul_i32 s0, s9, s20
	s_add_i32 s0, s0, s6
	s_mul_i32 s0, s0, s3
	s_add_i32 s36, s0, 1
.LBB237_9:
	s_load_dword s0, s[4:5], 0x38
	s_load_dwordx2 s[26:27], s[4:5], 0x0
	s_load_dwordx2 s[34:35], s[4:5], 0x18
	s_load_dword s23, s[4:5], 0x88
	s_load_dwordx4 s[12:15], s[4:5], 0x58
	s_mul_i32 s1, s16, s25
	s_waitcnt lgkmcnt(0)
	s_mul_i32 s30, s0, s10
	s_sub_i32 s1, s7, s1
	s_ashr_i32 s31, s30, 31
	s_xor_b32 s0, s19, s46
	s_add_i32 s3, s16, 1
	s_sub_i32 s6, s1, s25
	s_cmp_ge_u32 s1, s25
	s_cselect_b32 s3, s3, s16
	s_cselect_b32 s1, s6, s1
	s_add_i32 s6, s3, 1
	s_cmp_ge_u32 s1, s25
	s_cselect_b32 s1, s6, s3
	s_xor_b32 s1, s1, s0
	s_sub_i32 s16, s1, s0
	s_add_i32 s0, s11, 15
	s_ashr_i32 s1, s0, 31
	s_lshr_b32 s1, s1, 28
	s_add_i32 s0, s0, s1
	s_ashr_i32 s47, s0, 4
	v_lshrrev_b32_e32 v11, 6, v0
	v_cmp_gt_i32_e64 s[0:1], s47, v11
	v_mov_b32_e32 v16, 0xff7fffff
	s_mul_i32 s20, s2, s18
	v_lshrrev_b32_e32 v9, 4, v0
	v_lshlrev_b32_e32 v12, 4, v11
	v_mbcnt_lo_u32_b32 v10, -1, 0
	s_and_saveexec_b64 s[18:19], s[0:1]
	s_cbranch_execz .LBB237_117
; %bb.10:
	s_load_dwordx2 s[2:3], s[4:5], 0x10
	s_sub_i32 s49, s16, s21
	s_ashr_i32 s4, s20, 31
	v_cmp_eq_u32_e32 vcc, 0, v1
	v_lshlrev_b32_e32 v4, 1, v1
	s_waitcnt lgkmcnt(0)
	s_add_u32 s5, s2, s20
	s_addc_u32 s4, s3, s4
	s_abs_i32 s50, s22
	v_cvt_f32_u32_e32 v2, s50
	s_sub_i32 s2, 0, s50
	v_lshlrev_b32_e32 v14, 5, v1
	v_bfe_u32 v13, v0, 2, 4
	v_rcp_iflag_f32_e32 v3, v2
	v_lshlrev_b32_e32 v5, 4, v13
	v_mov_b32_e32 v6, s4
	v_add_co_u32_e64 v5, s[4:5], s5, v5
	v_mul_f32_e32 v3, 0x4f7ffffe, v3
	v_cvt_u32_f32_e32 v3, v3
	v_addc_co_u32_e64 v6, s[4:5], 0, v6, s[4:5]
	s_mov_b32 s51, s17
	v_mul_lo_u32 v1, s2, v3
	v_mov_b32_e32 v2, 0
	v_cmp_neq_f32_e64 s[2:3], s48, 0
	v_lshlrev_b32_e32 v17, 4, v11
	v_mul_hi_u32 v1, v3, v1
	v_mov_b32_e32 v20, 0xff7fffff
	s_mov_b64 s[38:39], 0
	s_movk_i32 s52, 0x80
	v_add_u32_e32 v15, v3, v1
	v_add_co_u32_e64 v3, s[4:5], v5, v4
	v_addc_co_u32_e64 v4, s[4:5], 0, v6, s[4:5]
	s_lshl_b64 s[4:5], s[30:31], 2
	s_add_u32 s4, s28, s4
	v_and_b32_e32 v1, 60, v9
	s_addc_u32 s5, s29, s5
	v_mov_b32_e32 v6, s5
	v_add_co_u32_e64 v5, s[4:5], s4, v1
	v_subrev_u32_e32 v1, s11, v13
	v_add_u32_e32 v18, 1, v1
	v_lshlrev_b32_e32 v1, 2, v13
	v_lshl_or_b32 v1, v11, 6, v1
	v_addc_co_u32_e64 v6, s[4:5], 0, v6, s[4:5]
	v_add_u32_e32 v19, 0x90, v1
	s_movk_i32 s53, 0x7f
	s_mov_b32 s54, 0x8000
	v_mov_b32_e32 v21, 0x2000
	v_mbcnt_hi_u32_b32 v22, -1, v10
	v_mov_b32_e32 v16, 0xff7fffff
	v_mov_b32_e32 v23, v11
	s_branch .LBB237_13
.LBB237_11:                             ;   in Loop: Header=BB237_13 Depth=1
	s_or_b64 exec, exec, s[40:41]
.LBB237_12:                             ;   in Loop: Header=BB237_13 Depth=1
	s_or_b64 exec, exec, s[6:7]
	v_add_co_u32_e64 v5, s[4:5], 8, v5
	v_add_u32_e32 v23, 2, v23
	v_addc_co_u32_e64 v6, s[4:5], 0, v6, s[4:5]
	v_cmp_le_i32_e64 s[4:5], s47, v23
	v_add_u32_e32 v17, 32, v17
	s_or_b64 s[38:39], s[4:5], s[38:39]
	v_add_u32_e32 v19, 0x80, v19
	s_andn2_b64 exec, exec, s[38:39]
	s_cbranch_execz .LBB237_116
.LBB237_13:                             ; =>This Inner Loop Header: Depth=1
	v_mul_hi_u32 v1, v17, s33
	s_waitcnt lgkmcnt(0)
	v_mul_lo_u32 v7, v1, s25
	v_add_u32_e32 v8, 1, v1
	v_sub_u32_e32 v7, v17, v7
	v_cmp_le_u32_e64 s[4:5], s25, v7
	v_cndmask_b32_e64 v1, v1, v8, s[4:5]
	v_subrev_u32_e32 v8, s25, v7
	v_cndmask_b32_e64 v7, v7, v8, s[4:5]
	v_add_u32_e32 v8, 1, v1
	v_cmp_le_u32_e64 s[4:5], s25, v7
	v_cndmask_b32_e64 v1, v1, v8, s[4:5]
	v_xor_b32_e32 v1, s46, v1
	v_subrev_u32_e32 v1, s46, v1
	v_add_u32_e32 v7, s36, v1
	v_sub_u32_e32 v8, 0, v7
	v_max_i32_e32 v8, v7, v8
	v_mul_hi_u32 v24, v8, v15
	v_ashrrev_i32_e32 v7, 31, v7
	v_cmp_ge_i32_e64 s[6:7], s49, v1
	v_mul_lo_u32 v24, v24, s50
	v_sub_u32_e32 v8, v8, v24
	v_subrev_u32_e32 v24, s50, v8
	v_cmp_le_u32_e64 s[4:5], s50, v8
	v_cndmask_b32_e64 v8, v8, v24, s[4:5]
	v_subrev_u32_e32 v24, s50, v8
	v_cmp_le_u32_e64 s[4:5], s50, v8
	v_cndmask_b32_e64 v8, v8, v24, s[4:5]
	v_xor_b32_e32 v8, v8, v7
	v_sub_u32_e32 v7, v8, v7
	v_cmp_ne_u32_e64 s[4:5], 0, v7
	s_and_b64 s[4:5], s[4:5], s[6:7]
	s_and_saveexec_b64 s[6:7], s[4:5]
	s_xor_b64 s[4:5], exec, s[6:7]
	s_cbranch_execz .LBB237_17
; %bb.14:                               ;   in Loop: Header=BB237_13 Depth=1
	s_and_saveexec_b64 s[6:7], vcc
; %bb.15:                               ;   in Loop: Header=BB237_13 Depth=1
	ds_write_b32 v19, v20
; %bb.16:                               ;   in Loop: Header=BB237_13 Depth=1
	s_or_b64 exec, exec, s[6:7]
.LBB237_17:                             ;   in Loop: Header=BB237_13 Depth=1
	s_andn2_saveexec_b64 s[6:7], s[4:5]
	s_cbranch_execz .LBB237_12
; %bb.18:                               ;   in Loop: Header=BB237_13 Depth=1
	global_load_dword v1, v[5:6], off
	v_mov_b32_e32 v25, 0
	global_load_dword v24, v25, s[12:13]
	s_waitcnt vmcnt(1)
	v_mad_i64_i32 v[7:8], s[4:5], v1, s51, v[3:4]
	global_load_ushort v26, v[7:8], off
	s_waitcnt vmcnt(0)
	v_and_b32_e32 v1, 0xffff, v26
	v_cmp_ne_u16_sdwa s[4:5], v26, v2 src0_sel:BYTE_0 src1_sel:DWORD
	v_mov_b32_e32 v26, 0
	s_and_saveexec_b64 s[40:41], s[4:5]
	s_cbranch_execz .LBB237_24
; %bb.19:                               ;   in Loop: Header=BB237_13 Depth=1
	v_cmp_ne_u16_sdwa s[4:5], v1, s52 src0_sel:BYTE_0 src1_sel:DWORD
	v_mov_b32_e32 v26, 0x8000
	s_and_saveexec_b64 s[42:43], s[4:5]
	s_cbranch_execz .LBB237_23
; %bb.20:                               ;   in Loop: Header=BB237_13 Depth=1
	v_and_b32_e32 v27, 0x7f, v1
	v_cmp_ne_u32_e64 s[4:5], s53, v27
	v_mov_b32_e32 v26, 0x7c01
	s_and_saveexec_b64 s[44:45], s[4:5]
	s_cbranch_execz .LBB237_22
; %bb.21:                               ;   in Loop: Header=BB237_13 Depth=1
	v_and_b32_e32 v26, 7, v1
	v_ffbh_u32_e32 v28, v26
	v_min_u32_e32 v31, 32, v28
	v_subrev_u32_e32 v28, 28, v31
	v_lshlrev_b64 v[28:29], v28, v[1:2]
	v_lshrrev_b32_e32 v30, 3, v27
	v_sub_u32_e32 v29, 29, v31
	v_cmp_gt_u32_e64 s[4:5], 8, v27
	v_cndmask_b32_e64 v27, v30, v29, s[4:5]
	v_lshl_add_u32 v27, v27, 10, v21
	v_lshlrev_b32_e32 v29, 8, v1
	v_and_b32_e32 v28, 7, v28
	v_and_b32_e32 v27, 0xfc00, v27
	v_cndmask_b32_e64 v26, v26, v28, s[4:5]
	v_and_or_b32 v27, v29, s54, v27
	v_lshl_or_b32 v26, v26, 7, v27
.LBB237_22:                             ;   in Loop: Header=BB237_13 Depth=1
	s_or_b64 exec, exec, s[44:45]
.LBB237_23:                             ;   in Loop: Header=BB237_13 Depth=1
	s_or_b64 exec, exec, s[42:43]
.LBB237_24:                             ;   in Loop: Header=BB237_13 Depth=1
	s_or_b64 exec, exec, s[40:41]
	v_lshrrev_b16_e32 v1, 8, v1
	v_cmp_ne_u16_e64 s[4:5], 0, v1
	s_and_saveexec_b64 s[40:41], s[4:5]
	s_cbranch_execz .LBB237_30
; %bb.25:                               ;   in Loop: Header=BB237_13 Depth=1
	v_cmp_ne_u16_e64 s[4:5], s52, v1
	v_bfrev_b32_e32 v25, 1
	s_and_saveexec_b64 s[42:43], s[4:5]
	s_cbranch_execz .LBB237_29
; %bb.26:                               ;   in Loop: Header=BB237_13 Depth=1
	v_and_b32_e32 v27, 0x7f, v1
	v_cmp_ne_u32_e64 s[4:5], s53, v27
	v_mov_b32_e32 v25, 0x7c010000
	s_and_saveexec_b64 s[44:45], s[4:5]
	s_cbranch_execz .LBB237_28
; %bb.27:                               ;   in Loop: Header=BB237_13 Depth=1
	v_and_b32_e32 v25, 7, v1
	v_ffbh_u32_e32 v28, v25
	v_min_u32_e32 v31, 32, v28
	v_subrev_u32_e32 v28, 28, v31
	v_lshlrev_b64 v[28:29], v28, v[1:2]
	v_lshrrev_b32_e32 v30, 3, v27
	v_sub_u32_e32 v29, 29, v31
	v_cmp_gt_u32_e64 s[4:5], 8, v27
	v_cndmask_b32_e64 v27, v30, v29, s[4:5]
	v_lshlrev_b32_e32 v1, 8, v1
	v_lshl_add_u32 v27, v27, 10, v21
	v_and_b32_e32 v28, 7, v28
	v_and_or_b32 v1, v1, s54, v27
	v_cndmask_b32_e64 v25, v25, v28, s[4:5]
	v_lshlrev_b32_e32 v1, 16, v1
	v_lshl_or_b32 v25, v25, 23, v1
.LBB237_28:                             ;   in Loop: Header=BB237_13 Depth=1
	s_or_b64 exec, exec, s[44:45]
.LBB237_29:                             ;   in Loop: Header=BB237_13 Depth=1
	s_or_b64 exec, exec, s[42:43]
.LBB237_30:                             ;   in Loop: Header=BB237_13 Depth=1
	s_or_b64 exec, exec, s[40:41]
	global_load_ushort v28, v[7:8], off offset:8
	v_mov_b32_e32 v27, 0
	s_waitcnt vmcnt(0)
	v_and_b32_e32 v1, 0xffff, v28
	v_cmp_ne_u16_sdwa s[4:5], v28, v2 src0_sel:BYTE_0 src1_sel:DWORD
	v_mov_b32_e32 v28, 0
	s_and_saveexec_b64 s[40:41], s[4:5]
	s_cbranch_execz .LBB237_36
; %bb.31:                               ;   in Loop: Header=BB237_13 Depth=1
	v_cmp_ne_u16_sdwa s[4:5], v1, s52 src0_sel:BYTE_0 src1_sel:DWORD
	v_mov_b32_e32 v28, 0x8000
	s_and_saveexec_b64 s[42:43], s[4:5]
	s_cbranch_execz .LBB237_35
; %bb.32:                               ;   in Loop: Header=BB237_13 Depth=1
	v_and_b32_e32 v29, 0x7f, v1
	v_cmp_ne_u32_e64 s[4:5], s53, v29
	v_mov_b32_e32 v28, 0x7c01
	s_and_saveexec_b64 s[44:45], s[4:5]
	s_cbranch_execz .LBB237_34
; %bb.33:                               ;   in Loop: Header=BB237_13 Depth=1
	v_and_b32_e32 v28, 7, v1
	v_ffbh_u32_e32 v30, v28
	v_min_u32_e32 v33, 32, v30
	v_subrev_u32_e32 v30, 28, v33
	v_lshlrev_b64 v[30:31], v30, v[1:2]
	v_lshrrev_b32_e32 v32, 3, v29
	v_sub_u32_e32 v31, 29, v33
	v_cmp_gt_u32_e64 s[4:5], 8, v29
	v_cndmask_b32_e64 v29, v32, v31, s[4:5]
	v_lshl_add_u32 v29, v29, 10, v21
	v_lshlrev_b32_e32 v31, 8, v1
	v_and_b32_e32 v30, 7, v30
	v_and_b32_e32 v29, 0xfc00, v29
	v_cndmask_b32_e64 v28, v28, v30, s[4:5]
	v_and_or_b32 v29, v31, s54, v29
	v_lshl_or_b32 v28, v28, 7, v29
.LBB237_34:                             ;   in Loop: Header=BB237_13 Depth=1
	s_or_b64 exec, exec, s[44:45]
.LBB237_35:                             ;   in Loop: Header=BB237_13 Depth=1
	s_or_b64 exec, exec, s[42:43]
.LBB237_36:                             ;   in Loop: Header=BB237_13 Depth=1
	s_or_b64 exec, exec, s[40:41]
	v_lshrrev_b16_e32 v1, 8, v1
	v_cmp_ne_u16_e64 s[4:5], 0, v1
	s_and_saveexec_b64 s[40:41], s[4:5]
	s_cbranch_execz .LBB237_42
; %bb.37:                               ;   in Loop: Header=BB237_13 Depth=1
	v_cmp_ne_u16_e64 s[4:5], s52, v1
	v_bfrev_b32_e32 v27, 1
	s_and_saveexec_b64 s[42:43], s[4:5]
	s_cbranch_execz .LBB237_41
; %bb.38:                               ;   in Loop: Header=BB237_13 Depth=1
	v_and_b32_e32 v29, 0x7f, v1
	v_cmp_ne_u32_e64 s[4:5], s53, v29
	v_mov_b32_e32 v27, 0x7c010000
	s_and_saveexec_b64 s[44:45], s[4:5]
	s_cbranch_execz .LBB237_40
; %bb.39:                               ;   in Loop: Header=BB237_13 Depth=1
	v_and_b32_e32 v27, 7, v1
	v_ffbh_u32_e32 v30, v27
	v_min_u32_e32 v33, 32, v30
	v_subrev_u32_e32 v30, 28, v33
	v_lshlrev_b64 v[30:31], v30, v[1:2]
	v_lshrrev_b32_e32 v32, 3, v29
	v_sub_u32_e32 v31, 29, v33
	v_cmp_gt_u32_e64 s[4:5], 8, v29
	v_cndmask_b32_e64 v29, v32, v31, s[4:5]
	v_lshlrev_b32_e32 v1, 8, v1
	v_lshl_add_u32 v29, v29, 10, v21
	v_and_b32_e32 v30, 7, v30
	v_and_or_b32 v1, v1, s54, v29
	v_cndmask_b32_e64 v27, v27, v30, s[4:5]
	v_lshlrev_b32_e32 v1, 16, v1
	v_lshl_or_b32 v27, v27, 23, v1
.LBB237_40:                             ;   in Loop: Header=BB237_13 Depth=1
	s_or_b64 exec, exec, s[44:45]
.LBB237_41:                             ;   in Loop: Header=BB237_13 Depth=1
	s_or_b64 exec, exec, s[42:43]
.LBB237_42:                             ;   in Loop: Header=BB237_13 Depth=1
	s_or_b64 exec, exec, s[40:41]
	global_load_ushort v30, v[7:8], off offset:256
	v_mov_b32_e32 v29, 0
	s_waitcnt vmcnt(0)
	v_and_b32_e32 v1, 0xffff, v30
	v_cmp_ne_u16_sdwa s[4:5], v30, v2 src0_sel:BYTE_0 src1_sel:DWORD
	v_mov_b32_e32 v30, 0
	s_and_saveexec_b64 s[40:41], s[4:5]
	s_cbranch_execz .LBB237_48
; %bb.43:                               ;   in Loop: Header=BB237_13 Depth=1
	v_cmp_ne_u16_sdwa s[4:5], v1, s52 src0_sel:BYTE_0 src1_sel:DWORD
	v_mov_b32_e32 v30, 0x8000
	s_and_saveexec_b64 s[42:43], s[4:5]
	s_cbranch_execz .LBB237_47
; %bb.44:                               ;   in Loop: Header=BB237_13 Depth=1
	v_and_b32_e32 v31, 0x7f, v1
	v_cmp_ne_u32_e64 s[4:5], s53, v31
	v_mov_b32_e32 v30, 0x7c01
	s_and_saveexec_b64 s[44:45], s[4:5]
	s_cbranch_execz .LBB237_46
; %bb.45:                               ;   in Loop: Header=BB237_13 Depth=1
	v_and_b32_e32 v30, 7, v1
	v_ffbh_u32_e32 v32, v30
	v_min_u32_e32 v35, 32, v32
	v_subrev_u32_e32 v32, 28, v35
	v_lshlrev_b64 v[32:33], v32, v[1:2]
	v_lshrrev_b32_e32 v34, 3, v31
	v_sub_u32_e32 v33, 29, v35
	v_cmp_gt_u32_e64 s[4:5], 8, v31
	v_cndmask_b32_e64 v31, v34, v33, s[4:5]
	v_lshl_add_u32 v31, v31, 10, v21
	v_lshlrev_b32_e32 v33, 8, v1
	v_and_b32_e32 v32, 7, v32
	v_and_b32_e32 v31, 0xfc00, v31
	v_cndmask_b32_e64 v30, v30, v32, s[4:5]
	v_and_or_b32 v31, v33, s54, v31
	v_lshl_or_b32 v30, v30, 7, v31
.LBB237_46:                             ;   in Loop: Header=BB237_13 Depth=1
	s_or_b64 exec, exec, s[44:45]
.LBB237_47:                             ;   in Loop: Header=BB237_13 Depth=1
	s_or_b64 exec, exec, s[42:43]
.LBB237_48:                             ;   in Loop: Header=BB237_13 Depth=1
	s_or_b64 exec, exec, s[40:41]
	v_lshrrev_b16_e32 v1, 8, v1
	v_cmp_ne_u16_e64 s[4:5], 0, v1
	s_and_saveexec_b64 s[40:41], s[4:5]
	s_cbranch_execz .LBB237_54
; %bb.49:                               ;   in Loop: Header=BB237_13 Depth=1
	v_cmp_ne_u16_e64 s[4:5], s52, v1
	v_bfrev_b32_e32 v29, 1
	s_and_saveexec_b64 s[42:43], s[4:5]
	s_cbranch_execz .LBB237_53
; %bb.50:                               ;   in Loop: Header=BB237_13 Depth=1
	v_and_b32_e32 v31, 0x7f, v1
	v_cmp_ne_u32_e64 s[4:5], s53, v31
	v_mov_b32_e32 v29, 0x7c010000
	s_and_saveexec_b64 s[44:45], s[4:5]
	s_cbranch_execz .LBB237_52
; %bb.51:                               ;   in Loop: Header=BB237_13 Depth=1
	v_and_b32_e32 v29, 7, v1
	v_ffbh_u32_e32 v32, v29
	v_min_u32_e32 v35, 32, v32
	v_subrev_u32_e32 v32, 28, v35
	v_lshlrev_b64 v[32:33], v32, v[1:2]
	v_lshrrev_b32_e32 v34, 3, v31
	v_sub_u32_e32 v33, 29, v35
	v_cmp_gt_u32_e64 s[4:5], 8, v31
	v_cndmask_b32_e64 v31, v34, v33, s[4:5]
	v_lshlrev_b32_e32 v1, 8, v1
	v_lshl_add_u32 v31, v31, 10, v21
	v_and_b32_e32 v32, 7, v32
	v_and_or_b32 v1, v1, s54, v31
	v_cndmask_b32_e64 v29, v29, v32, s[4:5]
	v_lshlrev_b32_e32 v1, 16, v1
	v_lshl_or_b32 v29, v29, 23, v1
.LBB237_52:                             ;   in Loop: Header=BB237_13 Depth=1
	s_or_b64 exec, exec, s[44:45]
.LBB237_53:                             ;   in Loop: Header=BB237_13 Depth=1
	s_or_b64 exec, exec, s[42:43]
.LBB237_54:                             ;   in Loop: Header=BB237_13 Depth=1
	s_or_b64 exec, exec, s[40:41]
	global_load_ushort v32, v[7:8], off offset:264
	v_mov_b32_e32 v31, 0
	s_waitcnt vmcnt(0)
	v_and_b32_e32 v1, 0xffff, v32
	v_cmp_ne_u16_sdwa s[4:5], v32, v2 src0_sel:BYTE_0 src1_sel:DWORD
	v_mov_b32_e32 v32, 0
	s_and_saveexec_b64 s[40:41], s[4:5]
	s_cbranch_execz .LBB237_60
; %bb.55:                               ;   in Loop: Header=BB237_13 Depth=1
	v_cmp_ne_u16_sdwa s[4:5], v1, s52 src0_sel:BYTE_0 src1_sel:DWORD
	v_mov_b32_e32 v32, 0x8000
	s_and_saveexec_b64 s[42:43], s[4:5]
	s_cbranch_execz .LBB237_59
; %bb.56:                               ;   in Loop: Header=BB237_13 Depth=1
	v_and_b32_e32 v33, 0x7f, v1
	v_cmp_ne_u32_e64 s[4:5], s53, v33
	v_mov_b32_e32 v32, 0x7c01
	s_and_saveexec_b64 s[44:45], s[4:5]
	s_cbranch_execz .LBB237_58
; %bb.57:                               ;   in Loop: Header=BB237_13 Depth=1
	v_and_b32_e32 v32, 7, v1
	v_ffbh_u32_e32 v34, v32
	v_min_u32_e32 v37, 32, v34
	v_subrev_u32_e32 v34, 28, v37
	v_lshlrev_b64 v[34:35], v34, v[1:2]
	v_lshrrev_b32_e32 v36, 3, v33
	v_sub_u32_e32 v35, 29, v37
	v_cmp_gt_u32_e64 s[4:5], 8, v33
	v_cndmask_b32_e64 v33, v36, v35, s[4:5]
	v_lshl_add_u32 v33, v33, 10, v21
	v_lshlrev_b32_e32 v35, 8, v1
	v_and_b32_e32 v34, 7, v34
	v_and_b32_e32 v33, 0xfc00, v33
	v_cndmask_b32_e64 v32, v32, v34, s[4:5]
	v_and_or_b32 v33, v35, s54, v33
	v_lshl_or_b32 v32, v32, 7, v33
.LBB237_58:                             ;   in Loop: Header=BB237_13 Depth=1
	s_or_b64 exec, exec, s[44:45]
.LBB237_59:                             ;   in Loop: Header=BB237_13 Depth=1
	s_or_b64 exec, exec, s[42:43]
.LBB237_60:                             ;   in Loop: Header=BB237_13 Depth=1
	s_or_b64 exec, exec, s[40:41]
	v_lshrrev_b16_e32 v1, 8, v1
	v_cmp_ne_u16_e64 s[4:5], 0, v1
	s_and_saveexec_b64 s[40:41], s[4:5]
	s_cbranch_execz .LBB237_66
; %bb.61:                               ;   in Loop: Header=BB237_13 Depth=1
	v_cmp_ne_u16_e64 s[4:5], s52, v1
	v_bfrev_b32_e32 v31, 1
	s_and_saveexec_b64 s[42:43], s[4:5]
	s_cbranch_execz .LBB237_65
; %bb.62:                               ;   in Loop: Header=BB237_13 Depth=1
	v_and_b32_e32 v33, 0x7f, v1
	v_cmp_ne_u32_e64 s[4:5], s53, v33
	v_mov_b32_e32 v31, 0x7c010000
	s_and_saveexec_b64 s[44:45], s[4:5]
	s_cbranch_execz .LBB237_64
; %bb.63:                               ;   in Loop: Header=BB237_13 Depth=1
	v_and_b32_e32 v31, 7, v1
	v_ffbh_u32_e32 v34, v31
	v_min_u32_e32 v37, 32, v34
	v_subrev_u32_e32 v34, 28, v37
	v_lshlrev_b64 v[34:35], v34, v[1:2]
	v_lshrrev_b32_e32 v36, 3, v33
	v_sub_u32_e32 v35, 29, v37
	v_cmp_gt_u32_e64 s[4:5], 8, v33
	v_cndmask_b32_e64 v33, v36, v35, s[4:5]
	v_lshlrev_b32_e32 v1, 8, v1
	v_lshl_add_u32 v33, v33, 10, v21
	v_and_b32_e32 v34, 7, v34
	v_and_or_b32 v1, v1, s54, v33
	v_cndmask_b32_e64 v31, v31, v34, s[4:5]
	v_lshlrev_b32_e32 v1, 16, v1
	v_lshl_or_b32 v31, v31, 23, v1
.LBB237_64:                             ;   in Loop: Header=BB237_13 Depth=1
	s_or_b64 exec, exec, s[44:45]
.LBB237_65:                             ;   in Loop: Header=BB237_13 Depth=1
	s_or_b64 exec, exec, s[42:43]
.LBB237_66:                             ;   in Loop: Header=BB237_13 Depth=1
	s_or_b64 exec, exec, s[40:41]
	global_load_ushort v34, v[7:8], off offset:512
	v_mov_b32_e32 v33, 0
	s_waitcnt vmcnt(0)
	v_and_b32_e32 v1, 0xffff, v34
	v_cmp_ne_u16_sdwa s[4:5], v34, v2 src0_sel:BYTE_0 src1_sel:DWORD
	v_mov_b32_e32 v34, 0
	s_and_saveexec_b64 s[40:41], s[4:5]
	s_cbranch_execz .LBB237_72
; %bb.67:                               ;   in Loop: Header=BB237_13 Depth=1
	v_cmp_ne_u16_sdwa s[4:5], v1, s52 src0_sel:BYTE_0 src1_sel:DWORD
	v_mov_b32_e32 v34, 0x8000
	s_and_saveexec_b64 s[42:43], s[4:5]
	s_cbranch_execz .LBB237_71
; %bb.68:                               ;   in Loop: Header=BB237_13 Depth=1
	v_and_b32_e32 v35, 0x7f, v1
	v_cmp_ne_u32_e64 s[4:5], s53, v35
	v_mov_b32_e32 v34, 0x7c01
	s_and_saveexec_b64 s[44:45], s[4:5]
	s_cbranch_execz .LBB237_70
; %bb.69:                               ;   in Loop: Header=BB237_13 Depth=1
	v_and_b32_e32 v34, 7, v1
	v_ffbh_u32_e32 v36, v34
	v_min_u32_e32 v39, 32, v36
	v_subrev_u32_e32 v36, 28, v39
	v_lshlrev_b64 v[36:37], v36, v[1:2]
	v_lshrrev_b32_e32 v38, 3, v35
	v_sub_u32_e32 v37, 29, v39
	v_cmp_gt_u32_e64 s[4:5], 8, v35
	v_cndmask_b32_e64 v35, v38, v37, s[4:5]
	v_lshl_add_u32 v35, v35, 10, v21
	v_lshlrev_b32_e32 v37, 8, v1
	v_and_b32_e32 v36, 7, v36
	v_and_b32_e32 v35, 0xfc00, v35
	v_cndmask_b32_e64 v34, v34, v36, s[4:5]
	v_and_or_b32 v35, v37, s54, v35
	v_lshl_or_b32 v34, v34, 7, v35
.LBB237_70:                             ;   in Loop: Header=BB237_13 Depth=1
	s_or_b64 exec, exec, s[44:45]
.LBB237_71:                             ;   in Loop: Header=BB237_13 Depth=1
	s_or_b64 exec, exec, s[42:43]
.LBB237_72:                             ;   in Loop: Header=BB237_13 Depth=1
	s_or_b64 exec, exec, s[40:41]
	v_lshrrev_b16_e32 v1, 8, v1
	v_cmp_ne_u16_e64 s[4:5], 0, v1
	s_and_saveexec_b64 s[40:41], s[4:5]
	s_cbranch_execz .LBB237_78
; %bb.73:                               ;   in Loop: Header=BB237_13 Depth=1
	v_cmp_ne_u16_e64 s[4:5], s52, v1
	v_bfrev_b32_e32 v33, 1
	s_and_saveexec_b64 s[42:43], s[4:5]
	s_cbranch_execz .LBB237_77
; %bb.74:                               ;   in Loop: Header=BB237_13 Depth=1
	v_and_b32_e32 v35, 0x7f, v1
	v_cmp_ne_u32_e64 s[4:5], s53, v35
	v_mov_b32_e32 v33, 0x7c010000
	s_and_saveexec_b64 s[44:45], s[4:5]
	s_cbranch_execz .LBB237_76
; %bb.75:                               ;   in Loop: Header=BB237_13 Depth=1
	v_and_b32_e32 v33, 7, v1
	v_ffbh_u32_e32 v36, v33
	v_min_u32_e32 v39, 32, v36
	v_subrev_u32_e32 v36, 28, v39
	v_lshlrev_b64 v[36:37], v36, v[1:2]
	v_lshrrev_b32_e32 v38, 3, v35
	v_sub_u32_e32 v37, 29, v39
	v_cmp_gt_u32_e64 s[4:5], 8, v35
	v_cndmask_b32_e64 v35, v38, v37, s[4:5]
	v_lshlrev_b32_e32 v1, 8, v1
	v_lshl_add_u32 v35, v35, 10, v21
	v_and_b32_e32 v36, 7, v36
	v_and_or_b32 v1, v1, s54, v35
	v_cndmask_b32_e64 v33, v33, v36, s[4:5]
	v_lshlrev_b32_e32 v1, 16, v1
	v_lshl_or_b32 v33, v33, 23, v1
.LBB237_76:                             ;   in Loop: Header=BB237_13 Depth=1
	s_or_b64 exec, exec, s[44:45]
.LBB237_77:                             ;   in Loop: Header=BB237_13 Depth=1
	s_or_b64 exec, exec, s[42:43]
.LBB237_78:                             ;   in Loop: Header=BB237_13 Depth=1
	s_or_b64 exec, exec, s[40:41]
	global_load_ushort v36, v[7:8], off offset:520
	v_mov_b32_e32 v35, 0
	s_waitcnt vmcnt(0)
	v_and_b32_e32 v1, 0xffff, v36
	v_cmp_ne_u16_sdwa s[4:5], v36, v2 src0_sel:BYTE_0 src1_sel:DWORD
	v_mov_b32_e32 v36, 0
	s_and_saveexec_b64 s[40:41], s[4:5]
	s_cbranch_execz .LBB237_84
; %bb.79:                               ;   in Loop: Header=BB237_13 Depth=1
	v_cmp_ne_u16_sdwa s[4:5], v1, s52 src0_sel:BYTE_0 src1_sel:DWORD
	v_mov_b32_e32 v36, 0x8000
	s_and_saveexec_b64 s[42:43], s[4:5]
	s_cbranch_execz .LBB237_83
; %bb.80:                               ;   in Loop: Header=BB237_13 Depth=1
	v_and_b32_e32 v37, 0x7f, v1
	v_cmp_ne_u32_e64 s[4:5], s53, v37
	v_mov_b32_e32 v36, 0x7c01
	s_and_saveexec_b64 s[44:45], s[4:5]
	s_cbranch_execz .LBB237_82
; %bb.81:                               ;   in Loop: Header=BB237_13 Depth=1
	v_and_b32_e32 v36, 7, v1
	v_ffbh_u32_e32 v38, v36
	v_min_u32_e32 v41, 32, v38
	v_subrev_u32_e32 v38, 28, v41
	v_lshlrev_b64 v[38:39], v38, v[1:2]
	v_lshrrev_b32_e32 v40, 3, v37
	v_sub_u32_e32 v39, 29, v41
	v_cmp_gt_u32_e64 s[4:5], 8, v37
	v_cndmask_b32_e64 v37, v40, v39, s[4:5]
	v_lshl_add_u32 v37, v37, 10, v21
	v_lshlrev_b32_e32 v39, 8, v1
	v_and_b32_e32 v38, 7, v38
	v_and_b32_e32 v37, 0xfc00, v37
	v_cndmask_b32_e64 v36, v36, v38, s[4:5]
	v_and_or_b32 v37, v39, s54, v37
	v_lshl_or_b32 v36, v36, 7, v37
.LBB237_82:                             ;   in Loop: Header=BB237_13 Depth=1
	s_or_b64 exec, exec, s[44:45]
.LBB237_83:                             ;   in Loop: Header=BB237_13 Depth=1
	s_or_b64 exec, exec, s[42:43]
.LBB237_84:                             ;   in Loop: Header=BB237_13 Depth=1
	s_or_b64 exec, exec, s[40:41]
	v_lshrrev_b16_e32 v1, 8, v1
	v_cmp_ne_u16_e64 s[4:5], 0, v1
	s_and_saveexec_b64 s[40:41], s[4:5]
	s_cbranch_execz .LBB237_90
; %bb.85:                               ;   in Loop: Header=BB237_13 Depth=1
	v_cmp_ne_u16_e64 s[4:5], s52, v1
	v_bfrev_b32_e32 v35, 1
	s_and_saveexec_b64 s[42:43], s[4:5]
	s_cbranch_execz .LBB237_89
; %bb.86:                               ;   in Loop: Header=BB237_13 Depth=1
	v_and_b32_e32 v37, 0x7f, v1
	v_cmp_ne_u32_e64 s[4:5], s53, v37
	v_mov_b32_e32 v35, 0x7c010000
	s_and_saveexec_b64 s[44:45], s[4:5]
	s_cbranch_execz .LBB237_88
; %bb.87:                               ;   in Loop: Header=BB237_13 Depth=1
	v_and_b32_e32 v35, 7, v1
	v_ffbh_u32_e32 v38, v35
	v_min_u32_e32 v41, 32, v38
	v_subrev_u32_e32 v38, 28, v41
	v_lshlrev_b64 v[38:39], v38, v[1:2]
	v_lshrrev_b32_e32 v40, 3, v37
	v_sub_u32_e32 v39, 29, v41
	v_cmp_gt_u32_e64 s[4:5], 8, v37
	v_cndmask_b32_e64 v37, v40, v39, s[4:5]
	v_lshlrev_b32_e32 v1, 8, v1
	v_lshl_add_u32 v37, v37, 10, v21
	v_and_b32_e32 v38, 7, v38
	v_and_or_b32 v1, v1, s54, v37
	v_cndmask_b32_e64 v35, v35, v38, s[4:5]
	v_lshlrev_b32_e32 v1, 16, v1
	v_lshl_or_b32 v35, v35, 23, v1
.LBB237_88:                             ;   in Loop: Header=BB237_13 Depth=1
	s_or_b64 exec, exec, s[44:45]
.LBB237_89:                             ;   in Loop: Header=BB237_13 Depth=1
	s_or_b64 exec, exec, s[42:43]
.LBB237_90:                             ;   in Loop: Header=BB237_13 Depth=1
	s_or_b64 exec, exec, s[40:41]
	global_load_ushort v38, v[7:8], off offset:768
	v_mov_b32_e32 v37, 0
	s_waitcnt vmcnt(0)
	v_and_b32_e32 v1, 0xffff, v38
	v_cmp_ne_u16_sdwa s[4:5], v38, v2 src0_sel:BYTE_0 src1_sel:DWORD
	v_mov_b32_e32 v38, 0
	s_and_saveexec_b64 s[40:41], s[4:5]
	s_cbranch_execz .LBB237_96
; %bb.91:                               ;   in Loop: Header=BB237_13 Depth=1
	v_cmp_ne_u16_sdwa s[4:5], v1, s52 src0_sel:BYTE_0 src1_sel:DWORD
	v_mov_b32_e32 v38, 0x8000
	s_and_saveexec_b64 s[42:43], s[4:5]
	s_cbranch_execz .LBB237_95
; %bb.92:                               ;   in Loop: Header=BB237_13 Depth=1
	v_and_b32_e32 v39, 0x7f, v1
	v_cmp_ne_u32_e64 s[4:5], s53, v39
	v_mov_b32_e32 v38, 0x7c01
	s_and_saveexec_b64 s[44:45], s[4:5]
	s_cbranch_execz .LBB237_94
; %bb.93:                               ;   in Loop: Header=BB237_13 Depth=1
	v_and_b32_e32 v38, 7, v1
	v_ffbh_u32_e32 v40, v38
	v_min_u32_e32 v43, 32, v40
	v_subrev_u32_e32 v40, 28, v43
	v_lshlrev_b64 v[40:41], v40, v[1:2]
	v_lshrrev_b32_e32 v42, 3, v39
	v_sub_u32_e32 v41, 29, v43
	v_cmp_gt_u32_e64 s[4:5], 8, v39
	v_cndmask_b32_e64 v39, v42, v41, s[4:5]
	v_lshl_add_u32 v39, v39, 10, v21
	v_lshlrev_b32_e32 v41, 8, v1
	v_and_b32_e32 v40, 7, v40
	v_and_b32_e32 v39, 0xfc00, v39
	v_cndmask_b32_e64 v38, v38, v40, s[4:5]
	v_and_or_b32 v39, v41, s54, v39
	v_lshl_or_b32 v38, v38, 7, v39
.LBB237_94:                             ;   in Loop: Header=BB237_13 Depth=1
	s_or_b64 exec, exec, s[44:45]
.LBB237_95:                             ;   in Loop: Header=BB237_13 Depth=1
	s_or_b64 exec, exec, s[42:43]
.LBB237_96:                             ;   in Loop: Header=BB237_13 Depth=1
	s_or_b64 exec, exec, s[40:41]
	v_lshrrev_b16_e32 v1, 8, v1
	v_cmp_ne_u16_e64 s[4:5], 0, v1
	s_and_saveexec_b64 s[40:41], s[4:5]
	s_cbranch_execz .LBB237_102
; %bb.97:                               ;   in Loop: Header=BB237_13 Depth=1
	v_cmp_ne_u16_e64 s[4:5], s52, v1
	v_bfrev_b32_e32 v37, 1
	s_and_saveexec_b64 s[42:43], s[4:5]
	s_cbranch_execz .LBB237_101
; %bb.98:                               ;   in Loop: Header=BB237_13 Depth=1
	v_and_b32_e32 v39, 0x7f, v1
	v_cmp_ne_u32_e64 s[4:5], s53, v39
	v_mov_b32_e32 v37, 0x7c010000
	s_and_saveexec_b64 s[44:45], s[4:5]
	s_cbranch_execz .LBB237_100
; %bb.99:                               ;   in Loop: Header=BB237_13 Depth=1
	v_and_b32_e32 v37, 7, v1
	v_ffbh_u32_e32 v40, v37
	v_min_u32_e32 v43, 32, v40
	v_subrev_u32_e32 v40, 28, v43
	v_lshlrev_b64 v[40:41], v40, v[1:2]
	v_lshrrev_b32_e32 v42, 3, v39
	v_sub_u32_e32 v41, 29, v43
	v_cmp_gt_u32_e64 s[4:5], 8, v39
	v_cndmask_b32_e64 v39, v42, v41, s[4:5]
	v_lshlrev_b32_e32 v1, 8, v1
	v_lshl_add_u32 v39, v39, 10, v21
	v_and_b32_e32 v40, 7, v40
	v_and_or_b32 v1, v1, s54, v39
	v_cndmask_b32_e64 v37, v37, v40, s[4:5]
	v_lshlrev_b32_e32 v1, 16, v1
	v_lshl_or_b32 v37, v37, 23, v1
.LBB237_100:                            ;   in Loop: Header=BB237_13 Depth=1
	s_or_b64 exec, exec, s[44:45]
.LBB237_101:                            ;   in Loop: Header=BB237_13 Depth=1
	s_or_b64 exec, exec, s[42:43]
.LBB237_102:                            ;   in Loop: Header=BB237_13 Depth=1
	s_or_b64 exec, exec, s[40:41]
	global_load_ushort v8, v[7:8], off offset:776
	v_mov_b32_e32 v7, 0
	s_waitcnt vmcnt(0)
	v_and_b32_e32 v1, 0xffff, v8
	v_cmp_ne_u16_sdwa s[4:5], v8, v2 src0_sel:BYTE_0 src1_sel:DWORD
	v_mov_b32_e32 v8, 0
	s_and_saveexec_b64 s[40:41], s[4:5]
	s_cbranch_execz .LBB237_108
; %bb.103:                              ;   in Loop: Header=BB237_13 Depth=1
	v_cmp_ne_u16_sdwa s[4:5], v1, s52 src0_sel:BYTE_0 src1_sel:DWORD
	v_mov_b32_e32 v8, 0x8000
	s_and_saveexec_b64 s[42:43], s[4:5]
	s_cbranch_execz .LBB237_107
; %bb.104:                              ;   in Loop: Header=BB237_13 Depth=1
	v_and_b32_e32 v39, 0x7f, v1
	v_cmp_ne_u32_e64 s[4:5], s53, v39
	v_mov_b32_e32 v8, 0x7c01
	s_and_saveexec_b64 s[44:45], s[4:5]
	s_cbranch_execz .LBB237_106
; %bb.105:                              ;   in Loop: Header=BB237_13 Depth=1
	v_and_b32_e32 v8, 7, v1
	v_ffbh_u32_e32 v40, v8
	v_min_u32_e32 v43, 32, v40
	v_subrev_u32_e32 v40, 28, v43
	v_lshlrev_b64 v[40:41], v40, v[1:2]
	v_lshrrev_b32_e32 v42, 3, v39
	v_sub_u32_e32 v41, 29, v43
	v_cmp_gt_u32_e64 s[4:5], 8, v39
	v_cndmask_b32_e64 v39, v42, v41, s[4:5]
	v_lshl_add_u32 v39, v39, 10, v21
	v_lshlrev_b32_e32 v41, 8, v1
	v_and_b32_e32 v40, 7, v40
	v_and_b32_e32 v39, 0xfc00, v39
	v_cndmask_b32_e64 v8, v8, v40, s[4:5]
	v_and_or_b32 v39, v41, s54, v39
	v_lshl_or_b32 v8, v8, 7, v39
.LBB237_106:                            ;   in Loop: Header=BB237_13 Depth=1
	s_or_b64 exec, exec, s[44:45]
.LBB237_107:                            ;   in Loop: Header=BB237_13 Depth=1
	s_or_b64 exec, exec, s[42:43]
.LBB237_108:                            ;   in Loop: Header=BB237_13 Depth=1
	s_or_b64 exec, exec, s[40:41]
	v_lshrrev_b16_e32 v1, 8, v1
	v_cmp_ne_u16_e64 s[4:5], 0, v1
	s_and_saveexec_b64 s[40:41], s[4:5]
	s_cbranch_execz .LBB237_114
; %bb.109:                              ;   in Loop: Header=BB237_13 Depth=1
	v_cmp_ne_u16_e64 s[4:5], s52, v1
	v_bfrev_b32_e32 v7, 1
	s_and_saveexec_b64 s[42:43], s[4:5]
	s_cbranch_execz .LBB237_113
; %bb.110:                              ;   in Loop: Header=BB237_13 Depth=1
	v_and_b32_e32 v39, 0x7f, v1
	v_cmp_ne_u32_e64 s[4:5], s53, v39
	v_mov_b32_e32 v7, 0x7c010000
	s_and_saveexec_b64 s[44:45], s[4:5]
	s_cbranch_execz .LBB237_112
; %bb.111:                              ;   in Loop: Header=BB237_13 Depth=1
	v_and_b32_e32 v7, 7, v1
	v_ffbh_u32_e32 v40, v7
	v_min_u32_e32 v43, 32, v40
	v_subrev_u32_e32 v40, 28, v43
	v_lshlrev_b64 v[40:41], v40, v[1:2]
	v_lshrrev_b32_e32 v42, 3, v39
	v_sub_u32_e32 v41, 29, v43
	v_cmp_gt_u32_e64 s[4:5], 8, v39
	v_cndmask_b32_e64 v39, v42, v41, s[4:5]
	v_lshlrev_b32_e32 v1, 8, v1
	v_lshl_add_u32 v39, v39, 10, v21
	v_and_b32_e32 v40, 7, v40
	v_and_or_b32 v1, v1, s54, v39
	v_cndmask_b32_e64 v7, v7, v40, s[4:5]
	v_lshlrev_b32_e32 v1, 16, v1
	v_lshl_or_b32 v7, v7, 23, v1
.LBB237_112:                            ;   in Loop: Header=BB237_13 Depth=1
	s_or_b64 exec, exec, s[44:45]
.LBB237_113:                            ;   in Loop: Header=BB237_13 Depth=1
	s_or_b64 exec, exec, s[42:43]
.LBB237_114:                            ;   in Loop: Header=BB237_13 Depth=1
	s_or_b64 exec, exec, s[40:41]
	v_or_b32_e32 v1, v25, v26
	v_or_b32_e32 v26, v27, v28
	v_fma_mixlo_f16 v26, v24, v26, 0 op_sel_hi:[0,1,0]
	v_and_b32_e32 v40, 0xffff, v26
	v_or_b32_e32 v26, v29, v30
	v_fma_mixlo_f16 v28, v24, v29, 0 op_sel:[0,1,0] op_sel_hi:[0,1,0]
	ds_read_b32 v29, v14
	v_or_b32_e32 v30, v31, v32
	v_fma_mixlo_f16 v1, v24, v1, 0 op_sel_hi:[0,1,0]
	v_fma_mixlo_f16 v25, v24, v25, 0 op_sel:[0,1,0] op_sel_hi:[0,1,0]
	v_fma_mixlo_f16 v30, v24, v30, 0 op_sel_hi:[0,1,0]
	v_and_b32_e32 v44, 0xffff, v30
	s_waitcnt lgkmcnt(0)
	v_lshrrev_b32_e32 v30, 16, v29
	v_and_b32_e32 v29, 0xffff, v29
	v_and_b32_e32 v25, 0xffff, v25
	;; [unrolled: 1-line block ×3, first 2 shown]
	;;#ASMSTART
	v_cvt_f32_f16 v29, v29;
	;;#ASMEND
	;;#ASMSTART
	v_cvt_f32_f16 v30, v30;
	;;#ASMEND
	;; [unrolled: 3-line block ×4, first 2 shown]
	ds_read_b32 v32, v14 offset:4
	v_fma_mixlo_f16 v27, v24, v27, 0 op_sel:[0,1,0] op_sel_hi:[0,1,0]
	v_and_b32_e32 v41, 0xffff, v27
	v_or_b32_e32 v36, v35, v36
	v_fma_mixlo_f16 v26, v24, v26, 0 op_sel_hi:[0,1,0]
	s_waitcnt lgkmcnt(0)
	v_lshrrev_b32_e32 v39, 16, v32
	v_and_b32_e32 v32, 0xffff, v32
	;;#ASMSTART
	v_cvt_f32_f16 v32, v32;
	;;#ASMEND
	;;#ASMSTART
	v_cvt_f32_f16 v39, v39;
	;;#ASMEND
	;; [unrolled: 3-line block ×4, first 2 shown]
	ds_read_b32 v41, v14 offset:8
	v_fma_mixlo_f16 v36, v24, v36, 0 op_sel_hi:[0,1,0]
	v_and_b32_e32 v46, 0xffff, v36
	v_or_b32_e32 v36, v37, v38
	v_and_b32_e32 v28, 0xffff, v28
	s_waitcnt lgkmcnt(0)
	v_lshrrev_b32_e32 v42, 16, v41
	v_and_b32_e32 v38, 0xffff, v41
	v_and_b32_e32 v26, 0xffff, v26
	;;#ASMSTART
	v_cvt_f32_f16 v38, v38;
	;;#ASMEND
	;;#ASMSTART
	v_cvt_f32_f16 v41, v42;
	;;#ASMEND
	;;#ASMSTART
	v_cvt_f32_f16 v26, v26;
	;;#ASMEND
	;;#ASMSTART
	v_cvt_f32_f16 v28, v28;
	;;#ASMEND
	ds_read_b32 v42, v14 offset:12
	v_fma_mixlo_f16 v31, v24, v31, 0 op_sel:[0,1,0] op_sel_hi:[0,1,0]
	v_and_b32_e32 v45, 0xffff, v31
	v_or_b32_e32 v8, v7, v8
	v_or_b32_e32 v34, v33, v34
	s_waitcnt lgkmcnt(0)
	v_lshrrev_b32_e32 v43, 16, v42
	v_and_b32_e32 v42, 0xffff, v42
	;;#ASMSTART
	v_cvt_f32_f16 v42, v42;
	;;#ASMEND
	;;#ASMSTART
	v_cvt_f32_f16 v43, v43;
	;;#ASMEND
	;; [unrolled: 3-line block ×4, first 2 shown]
	ds_read_b32 v45, v14 offset:16
	v_fma_mixlo_f16 v8, v24, v8, 0 op_sel_hi:[0,1,0]
	v_fma_mixlo_f16 v34, v24, v34, 0 op_sel_hi:[0,1,0]
	v_fma_mixlo_f16 v33, v24, v33, 0 op_sel:[0,1,0] op_sel_hi:[0,1,0]
	v_and_b32_e32 v47, 0xffff, v8
	v_mul_f32_e32 v8, v32, v27
	v_fma_mixlo_f16 v35, v24, v35, 0 op_sel:[0,1,0] op_sel_hi:[0,1,0]
	v_fma_mixlo_f16 v36, v24, v36, 0 op_sel_hi:[0,1,0]
	v_fma_mixlo_f16 v37, v24, v37, 0 op_sel:[0,1,0] op_sel_hi:[0,1,0]
	v_fma_mixlo_f16 v7, v24, v7, 0 op_sel:[0,1,0] op_sel_hi:[0,1,0]
	v_fmac_f32_e32 v8, v29, v1
	s_waitcnt lgkmcnt(0)
	v_lshrrev_b32_e32 v24, 16, v45
	v_and_b32_e32 v1, 0xffff, v45
	v_and_b32_e32 v29, 0xffff, v33
	;; [unrolled: 1-line block ×3, first 2 shown]
	;;#ASMSTART
	v_cvt_f32_f16 v1, v1;
	;;#ASMEND
	;;#ASMSTART
	v_cvt_f32_f16 v24, v24;
	;;#ASMEND
	;; [unrolled: 3-line block ×4, first 2 shown]
	ds_read_b32 v32, v14 offset:20
	v_mul_f32_e32 v33, v39, v40
	v_fmac_f32_e32 v33, v30, v25
	v_fmac_f32_e32 v8, v38, v26
	v_and_b32_e32 v30, 0xffff, v35
	s_waitcnt lgkmcnt(0)
	v_lshrrev_b32_e32 v26, 16, v32
	v_and_b32_e32 v25, 0xffff, v32
	v_fmac_f32_e32 v33, v41, v28
	;;#ASMSTART
	v_cvt_f32_f16 v25, v25;
	;;#ASMEND
	;;#ASMSTART
	v_cvt_f32_f16 v26, v26;
	;;#ASMEND
	;; [unrolled: 3-line block ×4, first 2 shown]
	ds_read_b32 v32, v14 offset:24
	v_fmac_f32_e32 v8, v42, v31
	v_fmac_f32_e32 v33, v43, v44
	;; [unrolled: 1-line block ×4, first 2 shown]
	s_waitcnt lgkmcnt(0)
	v_lshrrev_b32_e32 v24, 16, v32
	v_and_b32_e32 v1, 0xffff, v32
	v_and_b32_e32 v29, 0xffff, v37
	;; [unrolled: 1-line block ×3, first 2 shown]
	;;#ASMSTART
	v_cvt_f32_f16 v1, v1;
	;;#ASMEND
	;;#ASMSTART
	v_cvt_f32_f16 v24, v24;
	;;#ASMEND
	;; [unrolled: 3-line block ×4, first 2 shown]
	ds_read_b32 v31, v14 offset:28
	v_fmac_f32_e32 v8, v25, v28
	v_fmac_f32_e32 v33, v26, v30
	;; [unrolled: 1-line block ×4, first 2 shown]
	s_waitcnt lgkmcnt(0)
	v_lshrrev_b32_e32 v24, 16, v31
	v_and_b32_e32 v1, 0xffff, v31
	;;#ASMSTART
	v_cvt_f32_f16 v1, v1;
	;;#ASMEND
	;;#ASMSTART
	v_cvt_f32_f16 v24, v24;
	;;#ASMEND
	v_and_b32_e32 v25, 0xffff, v7
	;;#ASMSTART
	v_cvt_f32_f16 v7, v47;
	;;#ASMEND
	;;#ASMSTART
	v_cvt_f32_f16 v25, v25;
	;;#ASMEND
	v_fmac_f32_e32 v8, v1, v7
	v_fmac_f32_e32 v33, v24, v25
	v_and_b32_e32 v7, 64, v22
	v_add_f32_e32 v1, v8, v33
	v_add_u32_e32 v7, 64, v7
	v_xor_b32_e32 v8, 2, v22
	v_cmp_lt_i32_e64 s[4:5], v8, v7
	v_cndmask_b32_e64 v8, v22, v8, s[4:5]
	v_lshlrev_b32_e32 v8, 2, v8
	ds_bpermute_b32 v8, v8, v1
	s_waitcnt lgkmcnt(0)
	v_add_f32_e32 v1, v1, v8
	v_xor_b32_e32 v8, 1, v22
	v_cmp_lt_i32_e64 s[4:5], v8, v7
	v_cndmask_b32_e64 v7, v22, v8, s[4:5]
	v_lshlrev_b32_e32 v7, 2, v7
	ds_bpermute_b32 v7, v7, v1
	s_and_saveexec_b64 s[40:41], vcc
	s_cbranch_execz .LBB237_11
; %bb.115:                              ;   in Loop: Header=BB237_13 Depth=1
	v_add_u32_e32 v8, v18, v17
	v_cvt_f32_i32_e32 v8, v8
	s_waitcnt lgkmcnt(0)
	v_add_f32_e32 v1, v1, v7
	v_add_u32_e32 v24, v13, v17
	v_cmp_gt_i32_e64 s[4:5], s11, v24
	v_mul_f32_e32 v7, s48, v8
	v_cndmask_b32_e64 v7, 0, v7, s[2:3]
	v_fmac_f32_e32 v7, s37, v1
	v_cndmask_b32_e64 v1, 0, v7, s[4:5]
	ds_write_b32 v19, v1
	v_max_f32_e32 v1, v16, v16
	v_max_f32_e32 v1, v1, v7
	v_cndmask_b32_e64 v16, v16, v1, s[4:5]
	s_branch .LBB237_11
.LBB237_116:
	s_or_b64 exec, exec, s[38:39]
.LBB237_117:
	s_or_b64 exec, exec, s[18:19]
	v_mbcnt_hi_u32_b32 v1, -1, v10
	v_and_b32_e32 v10, 64, v1
	v_add_u32_e32 v2, 64, v10
	v_xor_b32_e32 v3, 32, v1
	v_cmp_lt_i32_e32 vcc, v3, v2
	v_cndmask_b32_e32 v3, v1, v3, vcc
	v_lshlrev_b32_e32 v3, 2, v3
	ds_bpermute_b32 v4, v3, v16
	v_xor_b32_e32 v6, 16, v1
	v_max_f32_e32 v5, v16, v16
	v_cmp_lt_i32_e32 vcc, v6, v2
	s_waitcnt lgkmcnt(1)
	v_xor_b32_e32 v7, 8, v1
	s_waitcnt lgkmcnt(0)
	v_max_f32_e32 v4, v4, v4
	v_max_f32_e32 v5, v5, v4
	v_cndmask_b32_e32 v4, v1, v6, vcc
	v_lshlrev_b32_e32 v4, 2, v4
	ds_bpermute_b32 v6, v4, v5
	v_cmp_lt_i32_e32 vcc, v7, v2
	v_xor_b32_e32 v8, 4, v1
	v_and_b32_e32 v13, 63, v0
	s_waitcnt lgkmcnt(0)
	v_max_f32_e32 v6, v6, v6
	v_max_f32_e32 v5, v5, v6
	v_cndmask_b32_e32 v6, v1, v7, vcc
	v_lshlrev_b32_e32 v7, 2, v6
	ds_bpermute_b32 v6, v7, v5
	v_cmp_lt_i32_e32 vcc, v8, v2
	s_waitcnt lgkmcnt(0)
	v_max_f32_e32 v6, v6, v6
	v_max_f32_e32 v6, v5, v6
	v_cndmask_b32_e32 v5, v1, v8, vcc
	v_lshlrev_b32_e32 v8, 2, v5
	ds_bpermute_b32 v14, v8, v6
	v_cmp_eq_u32_e32 vcc, 0, v13
	v_lshlrev_b32_e32 v5, 2, v11
	s_and_saveexec_b64 s[2:3], vcc
	s_cbranch_execz .LBB237_119
; %bb.118:
	s_waitcnt lgkmcnt(0)
	v_max_f32_e32 v14, v14, v14
	v_max_f32_e32 v6, v6, v6
	;; [unrolled: 1-line block ×3, first 2 shown]
	ds_write_b32 v5, v6 offset:128
.LBB237_119:
	s_or_b64 exec, exec, s[2:3]
	v_cmp_gt_u32_e64 s[2:3], 2, v13
	v_mov_b32_e32 v15, 0xff7fffff
	v_lshlrev_b32_e32 v6, 2, v13
	s_waitcnt lgkmcnt(0)
	s_barrier
	s_and_saveexec_b64 s[4:5], s[2:3]
; %bb.120:
	ds_read_b32 v15, v6 offset:128
; %bb.121:
	s_or_b64 exec, exec, s[4:5]
	v_xor_b32_e32 v14, 1, v1
	v_cmp_lt_i32_e64 s[4:5], v14, v2
	v_cndmask_b32_e64 v14, v1, v14, s[4:5]
	v_lshlrev_b32_e32 v14, 2, v14
	s_waitcnt lgkmcnt(0)
	ds_bpermute_b32 v16, v14, v15
	v_max_f32_e32 v15, v15, v15
	v_lshlrev_b32_e32 v10, 2, v10
	s_lshl_b32 s4, s47, 4
	s_min_i32 s37, s4, s11
	s_waitcnt lgkmcnt(0)
	v_max_f32_e32 v16, v16, v16
	v_max_f32_e32 v15, v15, v16
	ds_bpermute_b32 v15, v10, v15
	v_cmp_gt_i32_e64 s[4:5], s37, v0
	v_mov_b32_e32 v10, 0
	s_and_saveexec_b64 s[12:13], s[4:5]
	s_cbranch_execz .LBB237_125
; %bb.122:
	v_mov_b32_e32 v10, 0x90
	v_lshl_add_u32 v16, v0, 2, v10
	v_mov_b32_e32 v10, 0
	s_mov_b64 s[18:19], 0
	v_mov_b32_e32 v17, v0
.LBB237_123:                            ; =>This Inner Loop Header: Depth=1
	ds_read_b32 v18, v16
	v_add_u32_e32 v17, 0x80, v17
	v_cmp_le_i32_e64 s[6:7], s37, v17
	s_or_b64 s[18:19], s[6:7], s[18:19]
	s_waitcnt lgkmcnt(0)
	v_sub_f32_e32 v18, v18, v15
	v_mul_f32_e32 v18, 0x3fb8aa3b, v18
	v_exp_f32_e32 v18, v18
	ds_write_b32 v16, v18
	v_add_f32_e32 v10, v10, v18
	v_add_u32_e32 v16, 0x200, v16
	s_andn2_b64 exec, exec, s[18:19]
	s_cbranch_execnz .LBB237_123
; %bb.124:
	s_or_b64 exec, exec, s[18:19]
.LBB237_125:
	s_or_b64 exec, exec, s[12:13]
	ds_bpermute_b32 v3, v3, v10
	s_waitcnt lgkmcnt(0)
	v_add_f32_e32 v3, v10, v3
	ds_bpermute_b32 v4, v4, v3
	s_waitcnt lgkmcnt(0)
	v_add_f32_e32 v3, v3, v4
	ds_bpermute_b32 v4, v7, v3
	v_xor_b32_e32 v7, 2, v1
	v_cmp_lt_i32_e64 s[6:7], v7, v2
	v_cndmask_b32_e64 v2, v1, v7, s[6:7]
	v_lshlrev_b32_e32 v2, 2, v2
	s_waitcnt lgkmcnt(0)
	v_add_f32_e32 v3, v3, v4
	ds_bpermute_b32 v4, v8, v3
	s_waitcnt lgkmcnt(0)
	v_add_f32_e32 v3, v3, v4
	ds_bpermute_b32 v2, v2, v3
	;; [unrolled: 3-line block ×3, first 2 shown]
	s_waitcnt lgkmcnt(0)
	v_add_f32_e32 v2, v2, v3
	s_and_saveexec_b64 s[6:7], vcc
; %bb.126:
	ds_write_b32 v5, v2 offset:136
; %bb.127:
	s_or_b64 exec, exec, s[6:7]
	s_waitcnt lgkmcnt(0)
	s_barrier
	s_and_saveexec_b64 s[6:7], s[2:3]
; %bb.128:
	ds_read_b32 v2, v6 offset:136
; %bb.129:
	s_or_b64 exec, exec, s[6:7]
	s_waitcnt lgkmcnt(0)
	ds_bpermute_b32 v3, v14, v2
	v_lshlrev_b32_e32 v1, 2, v1
	v_and_b32_e32 v1, 0x100, v1
	s_waitcnt lgkmcnt(0)
	v_add_f32_e32 v2, v2, v3
	ds_bpermute_b32 v1, v1, v2
	s_and_saveexec_b64 s[2:3], s[4:5]
	s_cbranch_execz .LBB237_132
; %bb.130:
	s_waitcnt lgkmcnt(0)
	v_add_f32_e32 v2, 0x358637bd, v1
	v_div_scale_f32 v1, s[4:5], v2, v2, 1.0
	v_div_scale_f32 v3, vcc, 1.0, v2, 1.0
	s_mov_b64 s[4:5], 0
	v_rcp_f32_e32 v4, v1
	v_fma_f32 v5, -v1, v4, 1.0
	v_fmac_f32_e32 v4, v5, v4
	v_mul_f32_e32 v5, v3, v4
	v_fma_f32 v6, -v1, v5, v3
	v_fmac_f32_e32 v5, v6, v4
	v_fma_f32 v1, -v1, v5, v3
	v_div_fmas_f32 v3, v1, v4, v5
	v_mov_b32_e32 v1, 0x90
	v_lshl_add_u32 v1, v0, 2, v1
	v_div_fixup_f32 v2, v3, v2, 1.0
	v_mov_b32_e32 v3, v0
.LBB237_131:                            ; =>This Inner Loop Header: Depth=1
	ds_read_b32 v4, v1
	v_add_u32_e32 v3, 0x80, v3
	v_cmp_le_i32_e32 vcc, s37, v3
	s_or_b64 s[4:5], vcc, s[4:5]
	s_waitcnt lgkmcnt(0)
	v_mul_f32_e32 v4, v2, v4
	ds_write_b32 v1, v4
	v_add_u32_e32 v1, 0x200, v1
	s_andn2_b64 exec, exec, s[4:5]
	s_cbranch_execnz .LBB237_131
.LBB237_132:
	s_or_b64 exec, exec, s[2:3]
	v_mov_b32_e32 v17, 0
	v_and_b32_e32 v15, 1, v0
	v_mov_b32_e32 v19, 0
	s_waitcnt lgkmcnt(0)
	s_barrier
	s_and_saveexec_b64 s[2:3], s[0:1]
	s_cbranch_execz .LBB237_238
; %bb.133:
	s_sub_i32 s37, s16, s21
	s_ashr_i32 s0, s20, 31
	s_add_u32 s1, s34, s20
	s_addc_u32 s0, s35, s0
	s_abs_i32 s22, s22
	v_cvt_f32_u32_e32 v1, s22
	s_sub_i32 s6, 0, s22
	v_lshlrev_b32_e32 v3, 3, v0
	v_and_b32_e32 v16, 8, v3
	v_rcp_iflag_f32_e32 v1, v1
	v_and_b32_e32 v3, 0x1f8, v3
	s_add_i32 s35, s47, -1
	v_mov_b32_e32 v5, s0
	v_mul_f32_e32 v1, 0x4f7ffffe, v1
	v_cvt_u32_f32_e32 v1, v1
	v_add_co_u32_e32 v3, vcc, s1, v3
	s_lshl_b64 s[0:1], s[30:31], 2
	v_mul_lo_u32 v4, s6, v1
	s_add_u32 s0, s28, s0
	s_addc_u32 s1, s29, s1
	s_mov_b32 s4, -1
	v_mul_hi_u32 v6, v1, v4
	v_addc_co_u32_e32 v4, vcc, 0, v5, vcc
	s_mov_b32 s34, s17
	v_add_u32_e32 v18, v1, v6
	v_and_b32_e32 v1, 60, v9
	v_add_co_u32_e32 v5, vcc, s0, v1
	v_lshlrev_b32_e32 v1, 5, v15
	v_mov_b32_e32 v6, s1
	v_lshl_or_b32 v1, v11, 6, v1
	s_mov_b32 s5, 0xffffff
	v_mov_b32_e32 v2, 0
	v_addc_co_u32_e32 v6, vcc, 0, v6, vcc
	v_add_u32_e32 v20, 0x90, v1
	s_mov_b64 s[6:7], 0
	s_movk_i32 s28, 0x80
	s_movk_i32 s29, 0x7f
	s_mov_b32 s30, 0x8000
	v_mov_b32_e32 v21, 0x2000
	v_mov_b32_e32 v19, 0
	;; [unrolled: 1-line block ×3, first 2 shown]
	s_branch .LBB237_136
.LBB237_134:                            ;   in Loop: Header=BB237_136 Depth=1
	s_or_b64 exec, exec, s[0:1]
	v_add_f32_e32 v9, v32, v33
	;;#ASMSTART
	v_pk_mul_f16 v8, v31, v8;

	;;#ASMEND
	;;#ASMSTART
	v_pk_mul_f16 v1, v30, v1;

	;;#ASMEND
	v_add_f32_e32 v17, v17, v9
	;;#ASMSTART
	v_pk_mul_f16 v9, v29, v35;

	;;#ASMEND
	;;#ASMSTART
	v_pk_mul_f16 v7, v28, v7;

	;;#ASMEND
	;;#ASMSTART
	v_pk_add_f16 v1, v8, v1;

	;;#ASMEND
	;;#ASMSTART
	v_pk_add_f16 v1, v1, v9;
	;; [unrolled: 4-line block ×3, first 2 shown]

	;;#ASMEND
	v_lshrrev_b32_e32 v7, 16, v1
	v_and_b32_e32 v1, 0xffff, v1
	;;#ASMSTART
	v_cvt_f32_f16 v1, v1;
	;;#ASMEND
	;;#ASMSTART
	v_cvt_f32_f16 v7, v7;
	;;#ASMEND
	v_add_f32_e32 v1, v1, v7
	v_add_f32_e32 v19, v19, v1
.LBB237_135:                            ;   in Loop: Header=BB237_136 Depth=1
	s_or_b64 exec, exec, s[12:13]
	v_add_co_u32_e32 v5, vcc, 8, v5
	v_add_u32_e32 v11, 2, v11
	v_addc_co_u32_e32 v6, vcc, 0, v6, vcc
	v_cmp_le_i32_e32 vcc, s47, v11
	v_add_u32_e32 v12, 32, v12
	s_or_b64 s[6:7], vcc, s[6:7]
	v_add_u32_e32 v20, 0x80, v20
	s_andn2_b64 exec, exec, s[6:7]
	s_cbranch_execz .LBB237_237
.LBB237_136:                            ; =>This Inner Loop Header: Depth=1
	v_mul_hi_u32 v1, v12, s33
	v_mul_lo_u32 v7, v1, s25
	v_add_u32_e32 v8, 1, v1
	v_sub_u32_e32 v7, v12, v7
	v_cmp_le_u32_e32 vcc, s25, v7
	v_cndmask_b32_e32 v1, v1, v8, vcc
	v_subrev_u32_e32 v8, s25, v7
	v_cndmask_b32_e32 v7, v7, v8, vcc
	v_add_u32_e32 v8, 1, v1
	v_cmp_le_u32_e32 vcc, s25, v7
	v_cndmask_b32_e32 v1, v1, v8, vcc
	v_xor_b32_e32 v1, s46, v1
	v_subrev_u32_e32 v1, s46, v1
	v_add_u32_e32 v7, s36, v1
	v_sub_u32_e32 v8, 0, v7
	v_max_i32_e32 v8, v7, v8
	v_mul_hi_u32 v9, v8, v18
	v_ashrrev_i32_e32 v7, 31, v7
	v_cmp_lt_i32_e64 s[0:1], s37, v1
	v_mul_lo_u32 v9, v9, s22
	v_sub_u32_e32 v8, v8, v9
	v_subrev_u32_e32 v9, s22, v8
	v_cmp_le_u32_e32 vcc, s22, v8
	v_cndmask_b32_e32 v8, v8, v9, vcc
	v_subrev_u32_e32 v9, s22, v8
	v_cmp_le_u32_e32 vcc, s22, v8
	v_cndmask_b32_e32 v8, v8, v9, vcc
	v_xor_b32_e32 v8, v8, v7
	v_sub_u32_e32 v7, v8, v7
	v_cmp_eq_u32_e32 vcc, 0, v7
	s_or_b64 s[0:1], vcc, s[0:1]
	s_and_saveexec_b64 s[12:13], s[0:1]
	s_cbranch_execz .LBB237_135
; %bb.137:                              ;   in Loop: Header=BB237_136 Depth=1
	global_load_dword v1, v[5:6], off
	ds_read2_b64 v[7:10], v20 offset1:1
	ds_read2_b64 v[22:25], v20 offset0:2 offset1:3
	s_waitcnt lgkmcnt(1)
	;;#ASMSTART
	v_cvt_f16_f32 v28, v7;

	;;#ASMEND
	;;#ASMSTART
	v_cvt_f16_f32 v29, v8;

	;;#ASMEND
	;; [unrolled: 4-line block ×4, first 2 shown]
	s_waitcnt lgkmcnt(0)
	;;#ASMSTART
	v_cvt_f16_f32 v33, v22;

	;;#ASMEND
	;;#ASMSTART
	v_cvt_f16_f32 v34, v23;

	;;#ASMEND
	;;#ASMSTART
	v_cvt_f16_f32 v35, v24;

	;;#ASMEND
	;;#ASMSTART
	v_cvt_f16_f32 v36, v25;

	;;#ASMEND
	v_mov_b32_e32 v23, 0
	global_load_dword v22, v23, s[14:15]
	v_mov_b32_e32 v24, 0
	s_waitcnt vmcnt(1)
	v_mad_i64_i32 v[7:8], s[0:1], v1, s34, v[3:4]
	global_load_dwordx2 v[9:10], v[7:8], off
	s_waitcnt vmcnt(0)
	v_cmp_ne_u16_sdwa s[16:17], v9, v2 src0_sel:BYTE_0 src1_sel:DWORD
	s_and_saveexec_b64 s[0:1], s[16:17]
	s_cbranch_execz .LBB237_143
; %bb.138:                              ;   in Loop: Header=BB237_136 Depth=1
	v_cmp_ne_u16_sdwa s[18:19], v9, s28 src0_sel:BYTE_0 src1_sel:DWORD
	v_mov_b32_e32 v24, 0x8000
	s_and_saveexec_b64 s[16:17], s[18:19]
	s_cbranch_execz .LBB237_142
; %bb.139:                              ;   in Loop: Header=BB237_136 Depth=1
	v_and_b32_e32 v1, 0x7f, v9
	v_cmp_ne_u32_e32 vcc, s29, v1
	v_mov_b32_e32 v24, 0x7c01
	s_and_saveexec_b64 s[18:19], vcc
	s_cbranch_execz .LBB237_141
; %bb.140:                              ;   in Loop: Header=BB237_136 Depth=1
	v_and_b32_e32 v26, 7, v9
	v_ffbh_u32_e32 v24, v26
	v_min_u32_e32 v31, 32, v24
	v_subrev_u32_e32 v24, 28, v31
	v_lshlrev_b64 v[24:25], v24, v[9:10]
	v_lshrrev_b32_e32 v27, 3, v1
	v_sub_u32_e32 v25, 29, v31
	v_cmp_gt_u32_e32 vcc, 8, v1
	v_cndmask_b32_e32 v1, v27, v25, vcc
	v_lshl_add_u32 v1, v1, 10, v21
	v_lshlrev_b32_e32 v25, 8, v9
	v_and_b32_e32 v24, 7, v24
	v_and_b32_e32 v1, 0xfc00, v1
	v_cndmask_b32_e32 v24, v26, v24, vcc
	v_and_or_b32 v1, v25, s30, v1
	v_lshl_or_b32 v24, v24, 7, v1
.LBB237_141:                            ;   in Loop: Header=BB237_136 Depth=1
	s_or_b64 exec, exec, s[18:19]
.LBB237_142:                            ;   in Loop: Header=BB237_136 Depth=1
	s_or_b64 exec, exec, s[16:17]
.LBB237_143:                            ;   in Loop: Header=BB237_136 Depth=1
	s_or_b64 exec, exec, s[0:1]
	v_lshrrev_b16_e32 v1, 8, v9
	v_cmp_ne_u16_e32 vcc, 0, v1
	s_and_saveexec_b64 s[0:1], vcc
	s_cbranch_execz .LBB237_149
; %bb.144:                              ;   in Loop: Header=BB237_136 Depth=1
	v_cmp_ne_u16_e32 vcc, s28, v1
	v_bfrev_b32_e32 v23, 1
	s_and_saveexec_b64 s[16:17], vcc
	s_cbranch_execz .LBB237_148
; %bb.145:                              ;   in Loop: Header=BB237_136 Depth=1
	v_and_b32_e32 v25, 0x7f, v1
	v_cmp_ne_u32_e32 vcc, s29, v25
	v_mov_b32_e32 v23, 0x7c010000
	s_and_saveexec_b64 s[18:19], vcc
	s_cbranch_execz .LBB237_147
; %bb.146:                              ;   in Loop: Header=BB237_136 Depth=1
	v_and_b32_e32 v23, 7, v1
	v_ffbh_u32_e32 v26, v23
	v_min_u32_e32 v37, 32, v26
	v_subrev_u32_e32 v26, 28, v37
	v_lshlrev_b64 v[26:27], v26, v[1:2]
	v_lshrrev_b32_e32 v31, 3, v25
	v_sub_u32_e32 v27, 29, v37
	v_cmp_gt_u32_e32 vcc, 8, v25
	v_cndmask_b32_e32 v25, v31, v27, vcc
	v_lshlrev_b32_e32 v1, 8, v1
	v_lshl_add_u32 v25, v25, 10, v21
	v_and_b32_e32 v26, 7, v26
	v_and_or_b32 v1, v1, s30, v25
	v_cndmask_b32_e32 v23, v23, v26, vcc
	v_lshlrev_b32_e32 v1, 16, v1
	v_lshl_or_b32 v23, v23, 23, v1
.LBB237_147:                            ;   in Loop: Header=BB237_136 Depth=1
	s_or_b64 exec, exec, s[18:19]
.LBB237_148:                            ;   in Loop: Header=BB237_136 Depth=1
	s_or_b64 exec, exec, s[16:17]
.LBB237_149:                            ;   in Loop: Header=BB237_136 Depth=1
	s_or_b64 exec, exec, s[0:1]
	v_lshrrev_b32_e32 v1, 16, v9
	v_cmp_ne_u16_sdwa s[16:17], v1, v2 src0_sel:BYTE_0 src1_sel:DWORD
	v_mov_b32_e32 v25, 0
	v_mov_b32_e32 v26, 0
	s_and_saveexec_b64 s[0:1], s[16:17]
	s_cbranch_execz .LBB237_155
; %bb.150:                              ;   in Loop: Header=BB237_136 Depth=1
	v_cmp_ne_u16_sdwa s[18:19], v1, s28 src0_sel:BYTE_0 src1_sel:DWORD
	v_mov_b32_e32 v26, 0x8000
	s_and_saveexec_b64 s[16:17], s[18:19]
	s_cbranch_execz .LBB237_154
; %bb.151:                              ;   in Loop: Header=BB237_136 Depth=1
	v_bfe_u32 v27, v9, 16, 7
	v_cmp_ne_u32_e32 vcc, s29, v27
	v_mov_b32_e32 v26, 0x7c01
	s_and_saveexec_b64 s[18:19], vcc
	s_cbranch_execz .LBB237_153
; %bb.152:                              ;   in Loop: Header=BB237_136 Depth=1
	v_and_b32_e32 v26, 7, v1
	v_ffbh_u32_e32 v37, v26
	v_min_u32_e32 v39, 32, v37
	v_subrev_u32_e32 v37, 28, v39
	v_lshlrev_b64 v[37:38], v37, v[1:2]
	v_lshrrev_b32_e32 v31, 3, v27
	v_sub_u32_e32 v38, 29, v39
	v_cmp_gt_u32_e32 vcc, 8, v27
	v_cndmask_b32_e32 v27, v31, v38, vcc
	v_lshl_add_u32 v27, v27, 10, v21
	v_lshlrev_b32_e32 v1, 8, v1
	v_and_b32_e32 v31, 7, v37
	v_and_b32_e32 v27, 0xfc00, v27
	v_cndmask_b32_e32 v26, v26, v31, vcc
	v_and_or_b32 v1, v1, s30, v27
	v_lshl_or_b32 v26, v26, 7, v1
.LBB237_153:                            ;   in Loop: Header=BB237_136 Depth=1
	s_or_b64 exec, exec, s[18:19]
.LBB237_154:                            ;   in Loop: Header=BB237_136 Depth=1
	s_or_b64 exec, exec, s[16:17]
.LBB237_155:                            ;   in Loop: Header=BB237_136 Depth=1
	s_or_b64 exec, exec, s[0:1]
	v_cmp_lt_u32_e32 vcc, s5, v9
	s_and_saveexec_b64 s[0:1], vcc
	s_cbranch_execz .LBB237_161
; %bb.156:                              ;   in Loop: Header=BB237_136 Depth=1
	v_lshrrev_b32_e32 v1, 24, v9
	v_cmp_ne_u32_e32 vcc, s28, v1
	v_bfrev_b32_e32 v25, 1
	s_and_saveexec_b64 s[16:17], vcc
	s_cbranch_execz .LBB237_160
; %bb.157:                              ;   in Loop: Header=BB237_136 Depth=1
	v_and_b32_e32 v27, 0x7f, v1
	v_cmp_ne_u32_e32 vcc, s29, v27
	v_mov_b32_e32 v25, 0x7c010000
	s_and_saveexec_b64 s[18:19], vcc
	s_cbranch_execz .LBB237_159
; %bb.158:                              ;   in Loop: Header=BB237_136 Depth=1
	v_and_b32_e32 v25, 7, v1
	v_ffbh_u32_e32 v37, v25
	v_min_u32_e32 v39, 32, v37
	v_subrev_u32_e32 v37, 28, v39
	v_lshlrev_b64 v[37:38], v37, v[1:2]
	v_lshrrev_b32_e32 v31, 3, v27
	v_sub_u32_e32 v38, 29, v39
	v_cmp_gt_u32_e32 vcc, 8, v27
	v_cndmask_b32_e32 v27, v31, v38, vcc
	v_lshlrev_b32_e32 v1, 8, v1
	v_lshl_add_u32 v27, v27, 10, v21
	v_and_b32_e32 v31, 7, v37
	v_and_or_b32 v1, v1, s30, v27
	v_cndmask_b32_e32 v25, v25, v31, vcc
	v_lshlrev_b32_e32 v1, 16, v1
	v_lshl_or_b32 v25, v25, 23, v1
.LBB237_159:                            ;   in Loop: Header=BB237_136 Depth=1
	s_or_b64 exec, exec, s[18:19]
.LBB237_160:                            ;   in Loop: Header=BB237_136 Depth=1
	s_or_b64 exec, exec, s[16:17]
.LBB237_161:                            ;   in Loop: Header=BB237_136 Depth=1
	s_or_b64 exec, exec, s[0:1]
	v_mov_b32_e32 v1, v10
	v_cmp_ne_u16_sdwa s[16:17], v10, v2 src0_sel:BYTE_0 src1_sel:DWORD
	v_mov_b32_e32 v27, 0
	v_mov_b32_e32 v31, 0
	s_and_saveexec_b64 s[0:1], s[16:17]
	s_cbranch_execz .LBB237_167
; %bb.162:                              ;   in Loop: Header=BB237_136 Depth=1
	v_cmp_ne_u16_sdwa s[18:19], v10, s28 src0_sel:BYTE_0 src1_sel:DWORD
	v_mov_b32_e32 v31, 0x8000
	s_and_saveexec_b64 s[16:17], s[18:19]
	s_cbranch_execz .LBB237_166
; %bb.163:                              ;   in Loop: Header=BB237_136 Depth=1
	v_and_b32_e32 v37, 0x7f, v10
	v_cmp_ne_u32_e32 vcc, s29, v37
	v_mov_b32_e32 v31, 0x7c01
	s_and_saveexec_b64 s[18:19], vcc
	s_cbranch_execz .LBB237_165
; %bb.164:                              ;   in Loop: Header=BB237_136 Depth=1
	v_and_b32_e32 v31, 7, v10
	v_ffbh_u32_e32 v38, v31
	v_min_u32_e32 v41, 32, v38
	v_subrev_u32_e32 v38, 28, v41
	v_lshlrev_b64 v[38:39], v38, v[1:2]
	v_lshrrev_b32_e32 v40, 3, v37
	v_sub_u32_e32 v39, 29, v41
	v_cmp_gt_u32_e32 vcc, 8, v37
	v_cndmask_b32_e32 v37, v40, v39, vcc
	v_lshl_add_u32 v37, v37, 10, v21
	v_lshlrev_b32_e32 v39, 8, v10
	v_and_b32_e32 v38, 7, v38
	v_and_b32_e32 v37, 0xfc00, v37
	v_cndmask_b32_e32 v31, v31, v38, vcc
	v_and_or_b32 v37, v39, s30, v37
	v_lshl_or_b32 v31, v31, 7, v37
.LBB237_165:                            ;   in Loop: Header=BB237_136 Depth=1
	s_or_b64 exec, exec, s[18:19]
.LBB237_166:                            ;   in Loop: Header=BB237_136 Depth=1
	s_or_b64 exec, exec, s[16:17]
.LBB237_167:                            ;   in Loop: Header=BB237_136 Depth=1
	s_or_b64 exec, exec, s[0:1]
	v_lshrrev_b16_e32 v1, 8, v1
	v_cmp_ne_u16_e32 vcc, 0, v1
	v_mov_b32_e32 v37, 0
	s_and_saveexec_b64 s[0:1], vcc
	s_cbranch_execz .LBB237_173
; %bb.168:                              ;   in Loop: Header=BB237_136 Depth=1
	v_cmp_ne_u16_e32 vcc, s28, v1
	v_bfrev_b32_e32 v37, 1
	s_and_saveexec_b64 s[16:17], vcc
	s_cbranch_execz .LBB237_172
; %bb.169:                              ;   in Loop: Header=BB237_136 Depth=1
	v_and_b32_e32 v38, 0x7f, v1
	v_cmp_ne_u32_e32 vcc, s29, v38
	v_mov_b32_e32 v37, 0x7c010000
	s_and_saveexec_b64 s[18:19], vcc
	s_cbranch_execz .LBB237_171
; %bb.170:                              ;   in Loop: Header=BB237_136 Depth=1
	v_and_b32_e32 v37, 7, v1
	v_ffbh_u32_e32 v39, v37
	v_min_u32_e32 v42, 32, v39
	v_subrev_u32_e32 v39, 28, v42
	v_lshlrev_b64 v[39:40], v39, v[1:2]
	v_lshrrev_b32_e32 v41, 3, v38
	v_sub_u32_e32 v40, 29, v42
	v_cmp_gt_u32_e32 vcc, 8, v38
	v_cndmask_b32_e32 v38, v41, v40, vcc
	v_lshlrev_b32_e32 v1, 8, v1
	v_lshl_add_u32 v38, v38, 10, v21
	v_and_b32_e32 v39, 7, v39
	v_and_or_b32 v1, v1, s30, v38
	v_cndmask_b32_e32 v37, v37, v39, vcc
	v_lshlrev_b32_e32 v1, 16, v1
	v_lshl_or_b32 v37, v37, 23, v1
.LBB237_171:                            ;   in Loop: Header=BB237_136 Depth=1
	s_or_b64 exec, exec, s[18:19]
.LBB237_172:                            ;   in Loop: Header=BB237_136 Depth=1
	s_or_b64 exec, exec, s[16:17]
.LBB237_173:                            ;   in Loop: Header=BB237_136 Depth=1
	s_or_b64 exec, exec, s[0:1]
	v_lshrrev_b32_e32 v1, 16, v10
	v_cmp_ne_u16_sdwa s[16:17], v1, v2 src0_sel:BYTE_0 src1_sel:DWORD
	s_and_saveexec_b64 s[0:1], s[16:17]
	s_cbranch_execz .LBB237_179
; %bb.174:                              ;   in Loop: Header=BB237_136 Depth=1
	v_cmp_ne_u16_sdwa s[18:19], v1, s28 src0_sel:BYTE_0 src1_sel:DWORD
	v_mov_b32_e32 v27, 0x8000
	s_and_saveexec_b64 s[16:17], s[18:19]
	s_cbranch_execz .LBB237_178
; %bb.175:                              ;   in Loop: Header=BB237_136 Depth=1
	v_bfe_u32 v38, v10, 16, 7
	v_cmp_ne_u32_e32 vcc, s29, v38
	v_mov_b32_e32 v27, 0x7c01
	s_and_saveexec_b64 s[18:19], vcc
	s_cbranch_execz .LBB237_177
; %bb.176:                              ;   in Loop: Header=BB237_136 Depth=1
	v_and_b32_e32 v27, 7, v1
	v_ffbh_u32_e32 v39, v27
	v_min_u32_e32 v42, 32, v39
	v_subrev_u32_e32 v39, 28, v42
	v_lshlrev_b64 v[39:40], v39, v[1:2]
	v_lshrrev_b32_e32 v41, 3, v38
	v_sub_u32_e32 v40, 29, v42
	v_cmp_gt_u32_e32 vcc, 8, v38
	v_cndmask_b32_e32 v38, v41, v40, vcc
	v_lshl_add_u32 v38, v38, 10, v21
	v_lshlrev_b32_e32 v1, 8, v1
	v_and_b32_e32 v39, 7, v39
	v_and_b32_e32 v38, 0xfc00, v38
	v_cndmask_b32_e32 v27, v27, v39, vcc
	v_and_or_b32 v1, v1, s30, v38
	v_lshl_or_b32 v27, v27, 7, v1
.LBB237_177:                            ;   in Loop: Header=BB237_136 Depth=1
	s_or_b64 exec, exec, s[18:19]
.LBB237_178:                            ;   in Loop: Header=BB237_136 Depth=1
	s_or_b64 exec, exec, s[16:17]
.LBB237_179:                            ;   in Loop: Header=BB237_136 Depth=1
	s_or_b64 exec, exec, s[0:1]
	v_cmp_lt_u64_e32 vcc, s[4:5], v[9:10]
	v_mov_b32_e32 v39, 0
	s_and_saveexec_b64 s[0:1], vcc
	s_cbranch_execz .LBB237_185
; %bb.180:                              ;   in Loop: Header=BB237_136 Depth=1
	v_lshrrev_b32_e32 v1, 24, v10
	v_cmp_ne_u32_e32 vcc, s28, v1
	v_bfrev_b32_e32 v39, 1
	s_and_saveexec_b64 s[16:17], vcc
	s_cbranch_execz .LBB237_184
; %bb.181:                              ;   in Loop: Header=BB237_136 Depth=1
	v_and_b32_e32 v9, 0x7f, v1
	v_cmp_ne_u32_e32 vcc, s29, v9
	v_mov_b32_e32 v39, 0x7c010000
	s_and_saveexec_b64 s[18:19], vcc
	s_cbranch_execz .LBB237_183
; %bb.182:                              ;   in Loop: Header=BB237_136 Depth=1
	v_and_b32_e32 v10, 7, v1
	v_ffbh_u32_e32 v38, v10
	v_min_u32_e32 v41, 32, v38
	v_subrev_u32_e32 v38, 28, v41
	v_lshlrev_b64 v[38:39], v38, v[1:2]
	v_lshrrev_b32_e32 v40, 3, v9
	v_sub_u32_e32 v39, 29, v41
	v_cmp_gt_u32_e32 vcc, 8, v9
	v_cndmask_b32_e32 v9, v40, v39, vcc
	v_lshlrev_b32_e32 v1, 8, v1
	v_lshl_add_u32 v9, v9, 10, v21
	v_and_b32_e32 v38, 7, v38
	v_and_or_b32 v1, v1, s30, v9
	v_cndmask_b32_e32 v10, v10, v38, vcc
	v_lshlrev_b32_e32 v1, 16, v1
	v_lshl_or_b32 v39, v10, 23, v1
.LBB237_183:                            ;   in Loop: Header=BB237_136 Depth=1
	s_or_b64 exec, exec, s[18:19]
.LBB237_184:                            ;   in Loop: Header=BB237_136 Depth=1
	s_or_b64 exec, exec, s[16:17]
.LBB237_185:                            ;   in Loop: Header=BB237_136 Depth=1
	s_or_b64 exec, exec, s[0:1]
	v_fma_mixlo_f16 v10, v22, v25, 0 op_sel:[0,1,0] op_sel_hi:[0,1,0]
	v_lshlrev_b32_e32 v40, 16, v10
	v_or_b32_e32 v10, v23, v24
	v_fma_mixlo_f16 v10, v22, v10, 0 op_sel_hi:[0,1,0]
	v_and_b32_e32 v46, 0xffff, v10
	v_or_b32_e32 v10, v37, v31
	v_fma_mixlo_f16 v10, v22, v10, 0 op_sel_hi:[0,1,0]
	v_or_b32_e32 v1, v25, v26
	v_fma_mixlo_f16 v23, v22, v23, 0 op_sel:[0,1,0] op_sel_hi:[0,1,0]
	v_and_b32_e32 v44, 0xffff, v10
	v_or_b32_e32 v10, v39, v27
	v_fma_mixlo_f16 v1, v22, v1, 0 op_sel_hi:[0,1,0]
	v_lshlrev_b32_e32 v43, 16, v23
	v_fma_mixlo_f16 v23, v22, v37, 0 op_sel:[0,1,0] op_sel_hi:[0,1,0]
	v_fma_mixlo_f16 v10, v22, v10, 0 op_sel_hi:[0,1,0]
	v_fma_mixlo_f16 v22, v22, v39, 0 op_sel:[0,1,0] op_sel_hi:[0,1,0]
	v_add_u32_e32 v9, v16, v12
	v_and_b32_e32 v41, 0xffff, v1
	v_lshlrev_b32_e32 v31, 16, v23
	v_lshlrev_b32_e32 v42, 16, v22
	v_and_b32_e32 v45, 0xffff, v10
	v_cmp_eq_u32_e32 vcc, s35, v11
	v_or_b32_e32 v1, v40, v41
	v_or_b32_e32 v38, v43, v46
	;; [unrolled: 1-line block ×4, first 2 shown]
	v_add_u32_e32 v27, 1, v9
	v_add_u32_e32 v26, 2, v9
	;; [unrolled: 1-line block ×7, first 2 shown]
	s_and_saveexec_b64 s[16:17], vcc
	s_cbranch_execz .LBB237_187
; %bb.186:                              ;   in Loop: Header=BB237_136 Depth=1
	v_cmp_gt_i32_e64 s[0:1], s11, v9
	v_cndmask_b32_e64 v1, 0, v46, s[0:1]
	v_cmp_gt_i32_e64 s[0:1], s11, v27
	v_cndmask_b32_e64 v37, 0, v43, s[0:1]
	v_cmp_gt_i32_e64 s[0:1], s11, v26
	v_or_b32_e32 v38, v37, v1
	v_cndmask_b32_e64 v1, 0, v41, s[0:1]
	v_cmp_gt_i32_e64 s[0:1], s11, v25
	v_cndmask_b32_e64 v37, 0, v40, s[0:1]
	v_cmp_gt_i32_e64 s[0:1], s11, v24
	v_or_b32_e32 v1, v37, v1
	;; [unrolled: 5-line block ×3, first 2 shown]
	v_cndmask_b32_e64 v31, 0, v45, s[0:1]
	v_cmp_gt_i32_e64 s[0:1], s11, v10
	v_cndmask_b32_e64 v39, 0, v42, s[0:1]
	v_or_b32_e32 v39, v39, v31
.LBB237_187:                            ;   in Loop: Header=BB237_136 Depth=1
	s_or_b64 exec, exec, s[16:17]
	v_and_b32_e32 v28, 0xffff, v28
	v_lshl_or_b32 v31, v29, 16, v28
	v_and_b32_e32 v28, 0xffff, v30
	v_lshl_or_b32 v30, v32, 16, v28
	;; [unrolled: 2-line block ×3, first 2 shown]
	v_and_b32_e32 v28, 0xffff, v35
	;;#ASMSTART
	v_pk_mul_f16 v32, v31, v38;

	;;#ASMEND
	;;#ASMSTART
	v_pk_mul_f16 v1, v30, v1;

	;;#ASMEND
	v_lshl_or_b32 v28, v36, 16, v28
	;;#ASMSTART
	v_pk_mul_f16 v33, v29, v37;

	;;#ASMEND
	;;#ASMSTART
	v_pk_mul_f16 v34, v28, v39;

	;;#ASMEND
	;;#ASMSTART
	v_pk_add_f16 v1, v32, v1;

	;;#ASMEND
	;;#ASMSTART
	v_pk_add_f16 v1, v1, v33;
	;; [unrolled: 4-line block ×3, first 2 shown]

	;;#ASMEND
	v_lshrrev_b32_e32 v33, 16, v1
	v_and_b32_e32 v1, 0xffff, v1
	;;#ASMSTART
	v_cvt_f32_f16 v32, v1;
	;;#ASMEND
	;;#ASMSTART
	v_cvt_f32_f16 v33, v33;
	;;#ASMEND
	global_load_dwordx2 v[7:8], v[7:8], off offset:512
	v_mov_b32_e32 v35, 0
	global_load_dword v34, v35, s[14:15]
	v_mov_b32_e32 v36, 0
	s_waitcnt vmcnt(1)
	v_cmp_ne_u16_sdwa s[0:1], v7, v2 src0_sel:BYTE_0 src1_sel:DWORD
	s_and_saveexec_b64 s[16:17], s[0:1]
	s_cbranch_execz .LBB237_193
; %bb.188:                              ;   in Loop: Header=BB237_136 Depth=1
	v_cmp_ne_u16_sdwa s[0:1], v7, s28 src0_sel:BYTE_0 src1_sel:DWORD
	v_mov_b32_e32 v36, 0x8000
	s_and_saveexec_b64 s[18:19], s[0:1]
	s_cbranch_execz .LBB237_192
; %bb.189:                              ;   in Loop: Header=BB237_136 Depth=1
	v_and_b32_e32 v1, 0x7f, v7
	v_cmp_ne_u32_e64 s[0:1], s29, v1
	v_mov_b32_e32 v36, 0x7c01
	s_and_saveexec_b64 s[20:21], s[0:1]
	s_cbranch_execz .LBB237_191
; %bb.190:                              ;   in Loop: Header=BB237_136 Depth=1
	v_and_b32_e32 v38, 7, v7
	v_ffbh_u32_e32 v36, v38
	v_min_u32_e32 v40, 32, v36
	v_subrev_u32_e32 v36, 28, v40
	v_lshlrev_b64 v[36:37], v36, v[7:8]
	v_lshrrev_b32_e32 v39, 3, v1
	v_sub_u32_e32 v37, 29, v40
	v_cmp_gt_u32_e64 s[0:1], 8, v1
	v_cndmask_b32_e64 v1, v39, v37, s[0:1]
	v_lshl_add_u32 v1, v1, 10, v21
	v_lshlrev_b32_e32 v37, 8, v7
	v_and_b32_e32 v36, 7, v36
	v_and_b32_e32 v1, 0xfc00, v1
	v_cndmask_b32_e64 v36, v38, v36, s[0:1]
	v_and_or_b32 v1, v37, s30, v1
	v_lshl_or_b32 v36, v36, 7, v1
.LBB237_191:                            ;   in Loop: Header=BB237_136 Depth=1
	s_or_b64 exec, exec, s[20:21]
.LBB237_192:                            ;   in Loop: Header=BB237_136 Depth=1
	s_or_b64 exec, exec, s[18:19]
.LBB237_193:                            ;   in Loop: Header=BB237_136 Depth=1
	s_or_b64 exec, exec, s[16:17]
	v_lshrrev_b16_e32 v1, 8, v7
	v_cmp_ne_u16_e64 s[0:1], 0, v1
	s_and_saveexec_b64 s[16:17], s[0:1]
	s_cbranch_execz .LBB237_199
; %bb.194:                              ;   in Loop: Header=BB237_136 Depth=1
	v_cmp_ne_u16_e64 s[0:1], s28, v1
	v_bfrev_b32_e32 v35, 1
	s_and_saveexec_b64 s[18:19], s[0:1]
	s_cbranch_execz .LBB237_198
; %bb.195:                              ;   in Loop: Header=BB237_136 Depth=1
	v_and_b32_e32 v37, 0x7f, v1
	v_cmp_ne_u32_e64 s[0:1], s29, v37
	v_mov_b32_e32 v35, 0x7c010000
	s_and_saveexec_b64 s[20:21], s[0:1]
	s_cbranch_execz .LBB237_197
; %bb.196:                              ;   in Loop: Header=BB237_136 Depth=1
	v_and_b32_e32 v35, 7, v1
	v_ffbh_u32_e32 v38, v35
	v_min_u32_e32 v41, 32, v38
	v_subrev_u32_e32 v38, 28, v41
	v_lshlrev_b64 v[38:39], v38, v[1:2]
	v_lshrrev_b32_e32 v40, 3, v37
	v_sub_u32_e32 v39, 29, v41
	v_cmp_gt_u32_e64 s[0:1], 8, v37
	v_cndmask_b32_e64 v37, v40, v39, s[0:1]
	v_lshlrev_b32_e32 v1, 8, v1
	v_lshl_add_u32 v37, v37, 10, v21
	v_and_b32_e32 v38, 7, v38
	v_and_or_b32 v1, v1, s30, v37
	v_cndmask_b32_e64 v35, v35, v38, s[0:1]
	v_lshlrev_b32_e32 v1, 16, v1
	v_lshl_or_b32 v35, v35, 23, v1
.LBB237_197:                            ;   in Loop: Header=BB237_136 Depth=1
	s_or_b64 exec, exec, s[20:21]
.LBB237_198:                            ;   in Loop: Header=BB237_136 Depth=1
	s_or_b64 exec, exec, s[18:19]
.LBB237_199:                            ;   in Loop: Header=BB237_136 Depth=1
	s_or_b64 exec, exec, s[16:17]
	v_lshrrev_b32_e32 v1, 16, v7
	v_cmp_ne_u16_sdwa s[0:1], v1, v2 src0_sel:BYTE_0 src1_sel:DWORD
	v_mov_b32_e32 v37, 0
	v_mov_b32_e32 v38, 0
	s_and_saveexec_b64 s[16:17], s[0:1]
	s_cbranch_execz .LBB237_205
; %bb.200:                              ;   in Loop: Header=BB237_136 Depth=1
	v_cmp_ne_u16_sdwa s[0:1], v1, s28 src0_sel:BYTE_0 src1_sel:DWORD
	v_mov_b32_e32 v38, 0x8000
	s_and_saveexec_b64 s[18:19], s[0:1]
	s_cbranch_execz .LBB237_204
; %bb.201:                              ;   in Loop: Header=BB237_136 Depth=1
	v_bfe_u32 v39, v7, 16, 7
	v_cmp_ne_u32_e64 s[0:1], s29, v39
	v_mov_b32_e32 v38, 0x7c01
	s_and_saveexec_b64 s[20:21], s[0:1]
	s_cbranch_execz .LBB237_203
; %bb.202:                              ;   in Loop: Header=BB237_136 Depth=1
	v_and_b32_e32 v38, 7, v1
	v_ffbh_u32_e32 v40, v38
	v_min_u32_e32 v43, 32, v40
	v_subrev_u32_e32 v40, 28, v43
	v_lshlrev_b64 v[40:41], v40, v[1:2]
	v_lshrrev_b32_e32 v42, 3, v39
	v_sub_u32_e32 v41, 29, v43
	v_cmp_gt_u32_e64 s[0:1], 8, v39
	v_cndmask_b32_e64 v39, v42, v41, s[0:1]
	v_lshl_add_u32 v39, v39, 10, v21
	v_lshlrev_b32_e32 v1, 8, v1
	v_and_b32_e32 v40, 7, v40
	v_and_b32_e32 v39, 0xfc00, v39
	v_cndmask_b32_e64 v38, v38, v40, s[0:1]
	v_and_or_b32 v1, v1, s30, v39
	v_lshl_or_b32 v38, v38, 7, v1
.LBB237_203:                            ;   in Loop: Header=BB237_136 Depth=1
	s_or_b64 exec, exec, s[20:21]
.LBB237_204:                            ;   in Loop: Header=BB237_136 Depth=1
	s_or_b64 exec, exec, s[18:19]
.LBB237_205:                            ;   in Loop: Header=BB237_136 Depth=1
	s_or_b64 exec, exec, s[16:17]
	v_cmp_lt_u32_e64 s[0:1], s5, v7
	s_and_saveexec_b64 s[16:17], s[0:1]
	s_cbranch_execz .LBB237_211
; %bb.206:                              ;   in Loop: Header=BB237_136 Depth=1
	v_lshrrev_b32_e32 v1, 24, v7
	v_cmp_ne_u32_e64 s[0:1], s28, v1
	v_bfrev_b32_e32 v37, 1
	s_and_saveexec_b64 s[18:19], s[0:1]
	s_cbranch_execz .LBB237_210
; %bb.207:                              ;   in Loop: Header=BB237_136 Depth=1
	v_and_b32_e32 v39, 0x7f, v1
	v_cmp_ne_u32_e64 s[0:1], s29, v39
	v_mov_b32_e32 v37, 0x7c010000
	s_and_saveexec_b64 s[20:21], s[0:1]
	s_cbranch_execz .LBB237_209
; %bb.208:                              ;   in Loop: Header=BB237_136 Depth=1
	v_and_b32_e32 v37, 7, v1
	v_ffbh_u32_e32 v40, v37
	v_min_u32_e32 v43, 32, v40
	v_subrev_u32_e32 v40, 28, v43
	v_lshlrev_b64 v[40:41], v40, v[1:2]
	v_lshrrev_b32_e32 v42, 3, v39
	v_sub_u32_e32 v41, 29, v43
	v_cmp_gt_u32_e64 s[0:1], 8, v39
	v_cndmask_b32_e64 v39, v42, v41, s[0:1]
	v_lshlrev_b32_e32 v1, 8, v1
	v_lshl_add_u32 v39, v39, 10, v21
	v_and_b32_e32 v40, 7, v40
	v_and_or_b32 v1, v1, s30, v39
	v_cndmask_b32_e64 v37, v37, v40, s[0:1]
	v_lshlrev_b32_e32 v1, 16, v1
	v_lshl_or_b32 v37, v37, 23, v1
.LBB237_209:                            ;   in Loop: Header=BB237_136 Depth=1
	s_or_b64 exec, exec, s[20:21]
.LBB237_210:                            ;   in Loop: Header=BB237_136 Depth=1
	s_or_b64 exec, exec, s[18:19]
.LBB237_211:                            ;   in Loop: Header=BB237_136 Depth=1
	s_or_b64 exec, exec, s[16:17]
	v_mov_b32_e32 v1, v8
	v_cmp_ne_u16_sdwa s[0:1], v8, v2 src0_sel:BYTE_0 src1_sel:DWORD
	v_mov_b32_e32 v39, 0
	v_mov_b32_e32 v40, 0
	s_and_saveexec_b64 s[16:17], s[0:1]
	s_cbranch_execz .LBB237_217
; %bb.212:                              ;   in Loop: Header=BB237_136 Depth=1
	v_cmp_ne_u16_sdwa s[0:1], v8, s28 src0_sel:BYTE_0 src1_sel:DWORD
	v_mov_b32_e32 v40, 0x8000
	s_and_saveexec_b64 s[18:19], s[0:1]
	s_cbranch_execz .LBB237_216
; %bb.213:                              ;   in Loop: Header=BB237_136 Depth=1
	v_and_b32_e32 v41, 0x7f, v8
	v_cmp_ne_u32_e64 s[0:1], s29, v41
	v_mov_b32_e32 v40, 0x7c01
	s_and_saveexec_b64 s[20:21], s[0:1]
	s_cbranch_execz .LBB237_215
; %bb.214:                              ;   in Loop: Header=BB237_136 Depth=1
	v_and_b32_e32 v40, 7, v8
	v_ffbh_u32_e32 v42, v40
	v_min_u32_e32 v45, 32, v42
	v_subrev_u32_e32 v42, 28, v45
	v_lshlrev_b64 v[42:43], v42, v[1:2]
	v_lshrrev_b32_e32 v44, 3, v41
	v_sub_u32_e32 v43, 29, v45
	v_cmp_gt_u32_e64 s[0:1], 8, v41
	v_cndmask_b32_e64 v41, v44, v43, s[0:1]
	v_lshl_add_u32 v41, v41, 10, v21
	v_lshlrev_b32_e32 v43, 8, v8
	v_and_b32_e32 v42, 7, v42
	v_and_b32_e32 v41, 0xfc00, v41
	v_cndmask_b32_e64 v40, v40, v42, s[0:1]
	v_and_or_b32 v41, v43, s30, v41
	v_lshl_or_b32 v40, v40, 7, v41
.LBB237_215:                            ;   in Loop: Header=BB237_136 Depth=1
	s_or_b64 exec, exec, s[20:21]
.LBB237_216:                            ;   in Loop: Header=BB237_136 Depth=1
	s_or_b64 exec, exec, s[18:19]
.LBB237_217:                            ;   in Loop: Header=BB237_136 Depth=1
	s_or_b64 exec, exec, s[16:17]
	v_lshrrev_b16_e32 v1, 8, v1
	v_cmp_ne_u16_e64 s[0:1], 0, v1
	v_mov_b32_e32 v41, 0
	s_and_saveexec_b64 s[16:17], s[0:1]
	s_cbranch_execz .LBB237_223
; %bb.218:                              ;   in Loop: Header=BB237_136 Depth=1
	v_cmp_ne_u16_e64 s[0:1], s28, v1
	v_bfrev_b32_e32 v41, 1
	s_and_saveexec_b64 s[18:19], s[0:1]
	s_cbranch_execz .LBB237_222
; %bb.219:                              ;   in Loop: Header=BB237_136 Depth=1
	v_and_b32_e32 v42, 0x7f, v1
	v_cmp_ne_u32_e64 s[0:1], s29, v42
	v_mov_b32_e32 v41, 0x7c010000
	s_and_saveexec_b64 s[20:21], s[0:1]
	s_cbranch_execz .LBB237_221
; %bb.220:                              ;   in Loop: Header=BB237_136 Depth=1
	v_and_b32_e32 v41, 7, v1
	v_ffbh_u32_e32 v43, v41
	v_min_u32_e32 v46, 32, v43
	v_subrev_u32_e32 v43, 28, v46
	v_lshlrev_b64 v[43:44], v43, v[1:2]
	v_lshrrev_b32_e32 v45, 3, v42
	v_sub_u32_e32 v44, 29, v46
	v_cmp_gt_u32_e64 s[0:1], 8, v42
	v_cndmask_b32_e64 v42, v45, v44, s[0:1]
	v_lshlrev_b32_e32 v1, 8, v1
	v_lshl_add_u32 v42, v42, 10, v21
	v_and_b32_e32 v43, 7, v43
	v_and_or_b32 v1, v1, s30, v42
	v_cndmask_b32_e64 v41, v41, v43, s[0:1]
	v_lshlrev_b32_e32 v1, 16, v1
	v_lshl_or_b32 v41, v41, 23, v1
.LBB237_221:                            ;   in Loop: Header=BB237_136 Depth=1
	s_or_b64 exec, exec, s[20:21]
.LBB237_222:                            ;   in Loop: Header=BB237_136 Depth=1
	s_or_b64 exec, exec, s[18:19]
.LBB237_223:                            ;   in Loop: Header=BB237_136 Depth=1
	s_or_b64 exec, exec, s[16:17]
	v_lshrrev_b32_e32 v1, 16, v8
	v_cmp_ne_u16_sdwa s[0:1], v1, v2 src0_sel:BYTE_0 src1_sel:DWORD
	s_and_saveexec_b64 s[16:17], s[0:1]
	s_cbranch_execz .LBB237_229
; %bb.224:                              ;   in Loop: Header=BB237_136 Depth=1
	v_cmp_ne_u16_sdwa s[0:1], v1, s28 src0_sel:BYTE_0 src1_sel:DWORD
	v_mov_b32_e32 v39, 0x8000
	s_and_saveexec_b64 s[18:19], s[0:1]
	s_cbranch_execz .LBB237_228
; %bb.225:                              ;   in Loop: Header=BB237_136 Depth=1
	v_bfe_u32 v42, v8, 16, 7
	v_cmp_ne_u32_e64 s[0:1], s29, v42
	v_mov_b32_e32 v39, 0x7c01
	s_and_saveexec_b64 s[20:21], s[0:1]
	s_cbranch_execz .LBB237_227
; %bb.226:                              ;   in Loop: Header=BB237_136 Depth=1
	v_and_b32_e32 v39, 7, v1
	v_ffbh_u32_e32 v43, v39
	v_min_u32_e32 v46, 32, v43
	v_subrev_u32_e32 v43, 28, v46
	v_lshlrev_b64 v[43:44], v43, v[1:2]
	v_lshrrev_b32_e32 v45, 3, v42
	v_sub_u32_e32 v44, 29, v46
	v_cmp_gt_u32_e64 s[0:1], 8, v42
	v_cndmask_b32_e64 v42, v45, v44, s[0:1]
	v_lshl_add_u32 v42, v42, 10, v21
	v_lshlrev_b32_e32 v1, 8, v1
	v_and_b32_e32 v43, 7, v43
	v_and_b32_e32 v42, 0xfc00, v42
	v_cndmask_b32_e64 v39, v39, v43, s[0:1]
	v_and_or_b32 v1, v1, s30, v42
	v_lshl_or_b32 v39, v39, 7, v1
.LBB237_227:                            ;   in Loop: Header=BB237_136 Depth=1
	s_or_b64 exec, exec, s[20:21]
.LBB237_228:                            ;   in Loop: Header=BB237_136 Depth=1
	s_or_b64 exec, exec, s[18:19]
.LBB237_229:                            ;   in Loop: Header=BB237_136 Depth=1
	s_or_b64 exec, exec, s[16:17]
	v_cmp_lt_u64_e64 s[0:1], s[4:5], v[7:8]
	v_mov_b32_e32 v7, 0
	s_and_saveexec_b64 s[16:17], s[0:1]
	s_cbranch_execz .LBB237_235
; %bb.230:                              ;   in Loop: Header=BB237_136 Depth=1
	v_lshrrev_b32_e32 v1, 24, v8
	v_cmp_ne_u32_e64 s[0:1], s28, v1
	v_bfrev_b32_e32 v7, 1
	s_and_saveexec_b64 s[18:19], s[0:1]
	s_cbranch_execz .LBB237_234
; %bb.231:                              ;   in Loop: Header=BB237_136 Depth=1
	v_and_b32_e32 v8, 0x7f, v1
	v_cmp_ne_u32_e64 s[0:1], s29, v8
	v_mov_b32_e32 v7, 0x7c010000
	s_and_saveexec_b64 s[20:21], s[0:1]
	s_cbranch_execz .LBB237_233
; %bb.232:                              ;   in Loop: Header=BB237_136 Depth=1
	v_and_b32_e32 v7, 7, v1
	v_ffbh_u32_e32 v42, v7
	v_min_u32_e32 v45, 32, v42
	v_subrev_u32_e32 v42, 28, v45
	v_lshlrev_b64 v[42:43], v42, v[1:2]
	v_lshrrev_b32_e32 v44, 3, v8
	v_sub_u32_e32 v43, 29, v45
	v_cmp_gt_u32_e64 s[0:1], 8, v8
	v_cndmask_b32_e64 v8, v44, v43, s[0:1]
	v_lshlrev_b32_e32 v1, 8, v1
	v_lshl_add_u32 v8, v8, 10, v21
	v_and_b32_e32 v42, 7, v42
	v_and_or_b32 v1, v1, s30, v8
	v_cndmask_b32_e64 v7, v7, v42, s[0:1]
	v_lshlrev_b32_e32 v1, 16, v1
	v_lshl_or_b32 v7, v7, 23, v1
.LBB237_233:                            ;   in Loop: Header=BB237_136 Depth=1
	s_or_b64 exec, exec, s[20:21]
.LBB237_234:                            ;   in Loop: Header=BB237_136 Depth=1
	s_or_b64 exec, exec, s[18:19]
.LBB237_235:                            ;   in Loop: Header=BB237_136 Depth=1
	s_or_b64 exec, exec, s[16:17]
	s_waitcnt vmcnt(0)
	v_fma_mixlo_f16 v8, v34, v37, 0 op_sel:[0,1,0] op_sel_hi:[0,1,0]
	v_or_b32_e32 v1, v37, v38
	v_lshlrev_b32_e32 v37, 16, v8
	v_or_b32_e32 v8, v35, v36
	v_fma_mixlo_f16 v35, v34, v35, 0 op_sel:[0,1,0] op_sel_hi:[0,1,0]
	v_lshlrev_b32_e32 v42, 16, v35
	v_or_b32_e32 v35, v41, v40
	v_or_b32_e32 v39, v7, v39
	v_fma_mixlo_f16 v1, v34, v1, 0 op_sel_hi:[0,1,0]
	v_fma_mixlo_f16 v8, v34, v8, 0 op_sel_hi:[0,1,0]
	v_fma_mixlo_f16 v36, v34, v41, 0 op_sel:[0,1,0] op_sel_hi:[0,1,0]
	v_fma_mixlo_f16 v35, v34, v35, 0 op_sel_hi:[0,1,0]
	v_fma_mixlo_f16 v39, v34, v39, 0 op_sel_hi:[0,1,0]
	v_fma_mixlo_f16 v7, v34, v7, 0 op_sel:[0,1,0] op_sel_hi:[0,1,0]
	v_and_b32_e32 v38, 0xffff, v1
	v_and_b32_e32 v43, 0xffff, v8
	v_lshlrev_b32_e32 v36, 16, v36
	v_and_b32_e32 v40, 0xffff, v35
	v_lshlrev_b32_e32 v34, 16, v7
	v_and_b32_e32 v39, 0xffff, v39
	v_or_b32_e32 v1, v37, v38
	v_or_b32_e32 v8, v42, v43
	;; [unrolled: 1-line block ×4, first 2 shown]
	s_and_saveexec_b64 s[0:1], vcc
	s_cbranch_execz .LBB237_134
; %bb.236:                              ;   in Loop: Header=BB237_136 Depth=1
	v_cmp_gt_i32_e32 vcc, s11, v9
	v_cndmask_b32_e32 v1, 0, v43, vcc
	v_cmp_gt_i32_e32 vcc, s11, v27
	v_cndmask_b32_e32 v7, 0, v42, vcc
	v_cmp_gt_i32_e32 vcc, s11, v26
	v_or_b32_e32 v8, v7, v1
	v_cndmask_b32_e32 v1, 0, v38, vcc
	v_cmp_gt_i32_e32 vcc, s11, v25
	v_cndmask_b32_e32 v7, 0, v37, vcc
	v_cmp_gt_i32_e32 vcc, s11, v24
	v_or_b32_e32 v1, v7, v1
	;; [unrolled: 5-line block ×3, first 2 shown]
	v_cndmask_b32_e32 v7, 0, v39, vcc
	v_cmp_gt_i32_e32 vcc, s11, v10
	v_cndmask_b32_e32 v9, 0, v34, vcc
	v_or_b32_e32 v7, v9, v7
	s_branch .LBB237_134
.LBB237_237:
	s_or_b64 exec, exec, s[6:7]
.LBB237_238:
	s_or_b64 exec, exec, s[2:3]
	ds_bpermute_b32 v1, v14, v17
	ds_bpermute_b32 v3, v14, v19
	s_waitcnt lgkmcnt(0)
	s_barrier
	v_add_f32_e32 v2, v17, v1
	v_add_f32_e32 v1, v19, v3
	v_and_b32_e32 v3, 0x3c1, v0
	v_cmp_eq_u32_e32 vcc, 64, v3
	s_and_saveexec_b64 s[0:1], vcc
; %bb.239:
	v_mov_b32_e32 v4, 0x90
	v_lshl_add_u32 v4, v13, 1, v4
	ds_write2_b32 v4, v2, v1 offset1:32
; %bb.240:
	s_or_b64 exec, exec, s[0:1]
	v_cmp_gt_u32_e32 vcc, 64, v0
	v_lshrrev_b32_e32 v0, 1, v0
	s_waitcnt lgkmcnt(0)
	s_barrier
	s_and_saveexec_b64 s[0:1], vcc
	s_cbranch_execz .LBB237_246
; %bb.241:
	v_mov_b32_e32 v4, 0x90
	v_cmp_eq_u32_e32 vcc, 0, v15
	v_lshl_add_u32 v4, v0, 2, v4
	s_and_saveexec_b64 s[2:3], vcc
	s_cbranch_execz .LBB237_243
; %bb.242:
	ds_read_b32 v5, v4
	s_waitcnt lgkmcnt(0)
	v_add_f32_e32 v2, v2, v5
.LBB237_243:
	s_or_b64 exec, exec, s[2:3]
	s_and_saveexec_b64 s[2:3], vcc
	s_cbranch_execz .LBB237_245
; %bb.244:
	ds_read_b32 v4, v4 offset:128
	s_waitcnt lgkmcnt(0)
	v_add_f32_e32 v1, v1, v4
.LBB237_245:
	s_or_b64 exec, exec, s[2:3]
.LBB237_246:
	s_or_b64 exec, exec, s[0:1]
	v_cmp_eq_u32_e32 vcc, 0, v3
	s_barrier
	s_and_saveexec_b64 s[0:1], vcc
	s_cbranch_execz .LBB237_248
; %bb.247:
	s_mul_i32 s0, s10, s23
	s_mul_i32 s0, s0, s9
	s_lshl_b32 s0, s0, 6
	s_ashr_i32 s1, s0, 31
	s_lshl_b64 s[0:1], s[0:1], 1
	s_add_u32 s2, s26, s0
	s_mul_i32 s0, s23, s24
	s_addc_u32 s3, s27, s1
	s_ashr_i32 s1, s0, 31
	s_lshl_b64 s[0:1], s[0:1], 1
	s_add_u32 s2, s2, s0
	s_addc_u32 s3, s3, s1
	s_lshl_b32 s0, s8, 6
	s_ashr_i32 s1, s0, 31
	s_lshl_b64 s[0:1], s[0:1], 1
	s_add_u32 s0, s2, s0
	s_addc_u32 s1, s3, s1
	v_lshlrev_b32_e32 v0, 1, v0
	;;#ASMSTART
	v_cvt_f16_f32 v2, v2;

	;;#ASMEND
	global_store_short v0, v2, s[0:1]
	;;#ASMSTART
	v_cvt_f16_f32 v1, v1;

	;;#ASMEND
	global_store_short v0, v1, s[0:1] offset:64
.LBB237_248:
	s_endpgm
	.section	.rodata,"a",@progbits
	.p2align	6, 0x0
	.amdhsa_kernel _ZN4vllm25paged_attention_v1_kernelIthLi64ELi16ELi128ELNS_18Fp8KVCacheDataTypeE1ELb1EEEvPT_PKS2_PKT0_S8_ifPKiSA_iPKfiiiSC_SC_iiiii
		.amdhsa_group_segment_fixed_size 144
		.amdhsa_private_segment_fixed_size 0
		.amdhsa_kernarg_size 384
		.amdhsa_user_sgpr_count 6
		.amdhsa_user_sgpr_private_segment_buffer 1
		.amdhsa_user_sgpr_dispatch_ptr 0
		.amdhsa_user_sgpr_queue_ptr 0
		.amdhsa_user_sgpr_kernarg_segment_ptr 1
		.amdhsa_user_sgpr_dispatch_id 0
		.amdhsa_user_sgpr_flat_scratch_init 0
		.amdhsa_user_sgpr_private_segment_size 0
		.amdhsa_uses_dynamic_stack 0
		.amdhsa_system_sgpr_private_segment_wavefront_offset 0
		.amdhsa_system_sgpr_workgroup_id_x 1
		.amdhsa_system_sgpr_workgroup_id_y 1
		.amdhsa_system_sgpr_workgroup_id_z 1
		.amdhsa_system_sgpr_workgroup_info 0
		.amdhsa_system_vgpr_workitem_id 0
		.amdhsa_next_free_vgpr 48
		.amdhsa_next_free_sgpr 55
		.amdhsa_reserve_vcc 1
		.amdhsa_reserve_flat_scratch 0
		.amdhsa_float_round_mode_32 0
		.amdhsa_float_round_mode_16_64 0
		.amdhsa_float_denorm_mode_32 3
		.amdhsa_float_denorm_mode_16_64 3
		.amdhsa_dx10_clamp 1
		.amdhsa_ieee_mode 1
		.amdhsa_fp16_overflow 0
		.amdhsa_exception_fp_ieee_invalid_op 0
		.amdhsa_exception_fp_denorm_src 0
		.amdhsa_exception_fp_ieee_div_zero 0
		.amdhsa_exception_fp_ieee_overflow 0
		.amdhsa_exception_fp_ieee_underflow 0
		.amdhsa_exception_fp_ieee_inexact 0
		.amdhsa_exception_int_div_zero 0
	.end_amdhsa_kernel
	.section	.text._ZN4vllm25paged_attention_v1_kernelIthLi64ELi16ELi128ELNS_18Fp8KVCacheDataTypeE1ELb1EEEvPT_PKS2_PKT0_S8_ifPKiSA_iPKfiiiSC_SC_iiiii,"axG",@progbits,_ZN4vllm25paged_attention_v1_kernelIthLi64ELi16ELi128ELNS_18Fp8KVCacheDataTypeE1ELb1EEEvPT_PKS2_PKT0_S8_ifPKiSA_iPKfiiiSC_SC_iiiii,comdat
.Lfunc_end237:
	.size	_ZN4vllm25paged_attention_v1_kernelIthLi64ELi16ELi128ELNS_18Fp8KVCacheDataTypeE1ELb1EEEvPT_PKS2_PKT0_S8_ifPKiSA_iPKfiiiSC_SC_iiiii, .Lfunc_end237-_ZN4vllm25paged_attention_v1_kernelIthLi64ELi16ELi128ELNS_18Fp8KVCacheDataTypeE1ELb1EEEvPT_PKS2_PKT0_S8_ifPKiSA_iPKfiiiSC_SC_iiiii
                                        ; -- End function
	.set _ZN4vllm25paged_attention_v1_kernelIthLi64ELi16ELi128ELNS_18Fp8KVCacheDataTypeE1ELb1EEEvPT_PKS2_PKT0_S8_ifPKiSA_iPKfiiiSC_SC_iiiii.num_vgpr, 48
	.set _ZN4vllm25paged_attention_v1_kernelIthLi64ELi16ELi128ELNS_18Fp8KVCacheDataTypeE1ELb1EEEvPT_PKS2_PKT0_S8_ifPKiSA_iPKfiiiSC_SC_iiiii.num_agpr, 0
	.set _ZN4vllm25paged_attention_v1_kernelIthLi64ELi16ELi128ELNS_18Fp8KVCacheDataTypeE1ELb1EEEvPT_PKS2_PKT0_S8_ifPKiSA_iPKfiiiSC_SC_iiiii.numbered_sgpr, 55
	.set _ZN4vllm25paged_attention_v1_kernelIthLi64ELi16ELi128ELNS_18Fp8KVCacheDataTypeE1ELb1EEEvPT_PKS2_PKT0_S8_ifPKiSA_iPKfiiiSC_SC_iiiii.num_named_barrier, 0
	.set _ZN4vllm25paged_attention_v1_kernelIthLi64ELi16ELi128ELNS_18Fp8KVCacheDataTypeE1ELb1EEEvPT_PKS2_PKT0_S8_ifPKiSA_iPKfiiiSC_SC_iiiii.private_seg_size, 0
	.set _ZN4vllm25paged_attention_v1_kernelIthLi64ELi16ELi128ELNS_18Fp8KVCacheDataTypeE1ELb1EEEvPT_PKS2_PKT0_S8_ifPKiSA_iPKfiiiSC_SC_iiiii.uses_vcc, 1
	.set _ZN4vllm25paged_attention_v1_kernelIthLi64ELi16ELi128ELNS_18Fp8KVCacheDataTypeE1ELb1EEEvPT_PKS2_PKT0_S8_ifPKiSA_iPKfiiiSC_SC_iiiii.uses_flat_scratch, 0
	.set _ZN4vllm25paged_attention_v1_kernelIthLi64ELi16ELi128ELNS_18Fp8KVCacheDataTypeE1ELb1EEEvPT_PKS2_PKT0_S8_ifPKiSA_iPKfiiiSC_SC_iiiii.has_dyn_sized_stack, 0
	.set _ZN4vllm25paged_attention_v1_kernelIthLi64ELi16ELi128ELNS_18Fp8KVCacheDataTypeE1ELb1EEEvPT_PKS2_PKT0_S8_ifPKiSA_iPKfiiiSC_SC_iiiii.has_recursion, 0
	.set _ZN4vllm25paged_attention_v1_kernelIthLi64ELi16ELi128ELNS_18Fp8KVCacheDataTypeE1ELb1EEEvPT_PKS2_PKT0_S8_ifPKiSA_iPKfiiiSC_SC_iiiii.has_indirect_call, 0
	.section	.AMDGPU.csdata,"",@progbits
; Kernel info:
; codeLenInByte = 10736
; TotalNumSgprs: 59
; NumVgprs: 48
; ScratchSize: 0
; MemoryBound: 0
; FloatMode: 240
; IeeeMode: 1
; LDSByteSize: 144 bytes/workgroup (compile time only)
; SGPRBlocks: 7
; VGPRBlocks: 11
; NumSGPRsForWavesPerEU: 59
; NumVGPRsForWavesPerEU: 48
; Occupancy: 5
; WaveLimiterHint : 1
; COMPUTE_PGM_RSRC2:SCRATCH_EN: 0
; COMPUTE_PGM_RSRC2:USER_SGPR: 6
; COMPUTE_PGM_RSRC2:TRAP_HANDLER: 0
; COMPUTE_PGM_RSRC2:TGID_X_EN: 1
; COMPUTE_PGM_RSRC2:TGID_Y_EN: 1
; COMPUTE_PGM_RSRC2:TGID_Z_EN: 1
; COMPUTE_PGM_RSRC2:TIDIG_COMP_CNT: 0
	.section	.text._ZN4vllm25paged_attention_v1_kernelIthLi80ELi16ELi128ELNS_18Fp8KVCacheDataTypeE1ELb1EEEvPT_PKS2_PKT0_S8_ifPKiSA_iPKfiiiSC_SC_iiiii,"axG",@progbits,_ZN4vllm25paged_attention_v1_kernelIthLi80ELi16ELi128ELNS_18Fp8KVCacheDataTypeE1ELb1EEEvPT_PKS2_PKT0_S8_ifPKiSA_iPKfiiiSC_SC_iiiii,comdat
	.protected	_ZN4vllm25paged_attention_v1_kernelIthLi80ELi16ELi128ELNS_18Fp8KVCacheDataTypeE1ELb1EEEvPT_PKS2_PKT0_S8_ifPKiSA_iPKfiiiSC_SC_iiiii ; -- Begin function _ZN4vllm25paged_attention_v1_kernelIthLi80ELi16ELi128ELNS_18Fp8KVCacheDataTypeE1ELb1EEEvPT_PKS2_PKT0_S8_ifPKiSA_iPKfiiiSC_SC_iiiii
	.globl	_ZN4vllm25paged_attention_v1_kernelIthLi80ELi16ELi128ELNS_18Fp8KVCacheDataTypeE1ELb1EEEvPT_PKS2_PKT0_S8_ifPKiSA_iPKfiiiSC_SC_iiiii
	.p2align	8
	.type	_ZN4vllm25paged_attention_v1_kernelIthLi80ELi16ELi128ELNS_18Fp8KVCacheDataTypeE1ELb1EEEvPT_PKS2_PKT0_S8_ifPKiSA_iPKfiiiSC_SC_iiiii,@function
_ZN4vllm25paged_attention_v1_kernelIthLi80ELi16ELi128ELNS_18Fp8KVCacheDataTypeE1ELb1EEEvPT_PKS2_PKT0_S8_ifPKiSA_iPKfiiiSC_SC_iiiii: ; @_ZN4vllm25paged_attention_v1_kernelIthLi80ELi16ELi128ELNS_18Fp8KVCacheDataTypeE1ELb1EEEvPT_PKS2_PKT0_S8_ifPKiSA_iPKfiiiSC_SC_iiiii
; %bb.0:
	s_load_dword s9, s[4:5], 0x80
	s_load_dwordx2 s[0:1], s[4:5], 0x30
	s_load_dwordx2 s[36:37], s[4:5], 0x20
	s_mov_b32 s10, s7
	s_ashr_i32 s11, s7, 31
	s_lshl_b64 s[2:3], s[10:11], 2
	s_waitcnt lgkmcnt(0)
	s_add_u32 s0, s0, s2
	s_addc_u32 s1, s1, s3
	s_abs_i32 s2, s36
	v_cvt_f32_u32_e32 v1, s2
	s_sub_i32 s11, 0, s2
	s_abs_i32 s7, s9
	s_xor_b32 s3, s9, s36
	v_rcp_iflag_f32_e32 v1, v1
	s_ashr_i32 s3, s3, 31
	s_mov_b32 s49, 0
	v_mul_f32_e32 v1, 0x4f7ffffe, v1
	v_cvt_u32_f32_e32 v1, v1
	v_readfirstlane_b32 s12, v1
	s_mul_i32 s11, s11, s12
	s_mul_hi_u32 s11, s12, s11
	s_add_i32 s12, s12, s11
	s_mul_hi_u32 s11, s7, s12
	s_mul_i32 s12, s11, s2
	s_sub_i32 s7, s7, s12
	s_add_i32 s12, s11, 1
	s_sub_i32 s13, s7, s2
	s_cmp_ge_u32 s7, s2
	s_cselect_b32 s11, s12, s11
	s_cselect_b32 s7, s13, s7
	s_add_i32 s12, s11, 1
	s_cmp_ge_u32 s7, s2
	s_cselect_b32 s2, s12, s11
	s_xor_b32 s2, s2, s3
	s_sub_i32 s14, s2, s3
	s_abs_i32 s11, s14
	v_cvt_f32_u32_e32 v1, s11
	s_load_dwordx2 s[2:3], s[4:5], 0x40
	s_sub_i32 s7, 0, s11
	s_abs_i32 s12, s6
	v_rcp_iflag_f32_e32 v1, v1
	v_mul_f32_e32 v1, 0x4f7ffffe, v1
	v_cvt_u32_f32_e32 v1, v1
	v_readfirstlane_b32 s13, v1
	s_mul_i32 s7, s7, s13
	s_mul_hi_u32 s7, s13, s7
	s_add_i32 s13, s13, s7
	s_waitcnt lgkmcnt(0)
	s_cmp_eq_u64 s[2:3], 0
	s_mul_hi_u32 s13, s12, s13
	s_cbranch_scc1 .LBB238_2
; %bb.1:
	s_ashr_i32 s7, s6, 31
	s_lshl_b64 s[16:17], s[6:7], 2
	s_add_u32 s2, s2, s16
	s_addc_u32 s3, s3, s17
	s_load_dword s49, s[2:3], 0x0
.LBB238_2:
	s_load_dword s33, s[0:1], 0x0
	s_load_dwordx4 s[16:19], s[4:5], 0x48
	s_ashr_i32 s2, s6, 31
	s_ashr_i32 s7, s14, 31
	v_and_b32_e32 v1, 3, v0
	s_mul_i32 s24, s6, 0x50
	v_cmp_gt_u32_e32 vcc, 40, v0
	s_and_saveexec_b64 s[0:1], vcc
	s_cbranch_execz .LBB238_4
; %bb.3:
	s_load_dwordx2 s[14:15], s[4:5], 0x8
	s_waitcnt lgkmcnt(0)
	s_mul_i32 s20, s16, s10
	s_ashr_i32 s21, s20, 31
	s_lshl_b64 s[20:21], s[20:21], 1
	v_lshlrev_b32_e32 v2, 2, v0
	s_add_u32 s3, s14, s20
	s_addc_u32 s16, s15, s21
	s_ashr_i32 s25, s24, 31
	s_lshl_b64 s[14:15], s[24:25], 1
	s_add_u32 s14, s3, s14
	s_addc_u32 s15, s16, s15
	global_load_dword v2, v2, s[14:15]
	v_and_b32_e32 v3, 0x3fc, v0
	v_mad_u32_u24 v3, v1, 40, v3
	s_waitcnt vmcnt(0)
	ds_write_b32 v3, v2
.LBB238_4:
	s_or_b64 exec, exec, s[0:1]
	s_mul_i32 s1, s13, s11
	s_sub_i32 s1, s12, s1
	s_xor_b32 s0, s2, s7
	s_add_i32 s2, s13, 1
	s_sub_i32 s7, s1, s11
	s_load_dwordx4 s[20:23], s[4:5], 0x68
	s_load_dword s3, s[4:5], 0x78
	s_cmp_ge_u32 s1, s11
	s_cselect_b32 s2, s2, s13
	s_cselect_b32 s1, s7, s1
	s_add_i32 s7, s2, 1
	s_cmp_ge_u32 s1, s11
	s_cselect_b32 s1, s7, s2
	s_waitcnt lgkmcnt(0)
	s_abs_i32 s25, s23
	v_cvt_f32_u32_e32 v2, s25
	s_xor_b32 s1, s1, s0
	s_sub_i32 s2, s1, s0
	s_sub_i32 s0, 0, s25
	v_rcp_iflag_f32_e32 v2, v2
	s_add_i32 s11, s33, -1
	s_abs_i32 s7, s11
	v_mul_f32_e32 v2, 0x4f7ffffe, v2
	v_cvt_u32_f32_e32 v2, v2
	s_barrier
	v_readfirstlane_b32 s46, v2
	s_mul_i32 s0, s0, s46
	s_mul_hi_u32 s0, s46, s0
	s_add_i32 s46, s46, s0
	s_cmp_lt_i32 s3, 0
	s_mul_hi_u32 s16, s7, s46
	s_cbranch_scc0 .LBB238_6
; %bb.5:
	s_mul_i32 s0, s20, s36
	s_add_i32 s0, s2, s0
	s_mul_i32 s0, s0, s3
	s_sub_i32 s36, 1, s0
	s_mov_b64 s[0:1], 0
	s_branch .LBB238_7
.LBB238_6:
	s_mov_b64 s[0:1], -1
                                        ; implicit-def: $sgpr36
.LBB238_7:
	s_load_dwordx2 s[28:29], s[4:5], 0x28
	s_ashr_i32 s19, s11, 31
	s_andn2_b64 vcc, exec, s[0:1]
	s_ashr_i32 s47, s23, 31
	s_cbranch_vccnz .LBB238_9
; %bb.8:
	s_mul_i32 s0, s9, s20
	s_add_i32 s0, s0, s6
	s_mul_i32 s0, s0, s3
	s_add_i32 s36, s0, 1
.LBB238_9:
	s_load_dword s0, s[4:5], 0x38
	s_load_dwordx2 s[26:27], s[4:5], 0x0
	s_load_dwordx2 s[34:35], s[4:5], 0x18
	s_load_dword s11, s[4:5], 0x88
	s_load_dwordx4 s[12:15], s[4:5], 0x58
	s_mul_i32 s1, s16, s25
	s_waitcnt lgkmcnt(0)
	s_mul_i32 s30, s0, s10
	s_sub_i32 s1, s7, s1
	s_ashr_i32 s31, s30, 31
	s_xor_b32 s0, s19, s47
	s_add_i32 s3, s16, 1
	s_sub_i32 s6, s1, s25
	s_cmp_ge_u32 s1, s25
	s_cselect_b32 s3, s3, s16
	s_cselect_b32 s1, s6, s1
	s_add_i32 s6, s3, 1
	s_cmp_ge_u32 s1, s25
	s_cselect_b32 s1, s6, s3
	s_xor_b32 s1, s1, s0
	s_sub_i32 s16, s1, s0
	s_add_i32 s0, s33, 15
	s_ashr_i32 s1, s0, 31
	s_lshr_b32 s1, s1, 28
	s_add_i32 s0, s0, s1
	s_ashr_i32 s48, s0, 4
	v_lshrrev_b32_e32 v11, 6, v0
	v_cmp_le_i32_e64 s[0:1], s48, v11
	v_cmp_gt_i32_e32 vcc, s48, v11
	v_mov_b32_e32 v16, 0xff7fffff
	s_mul_i32 s20, s2, s18
	v_lshrrev_b32_e32 v9, 4, v0
	v_lshlrev_b32_e32 v12, 4, v11
	v_mbcnt_lo_u32_b32 v10, -1, 0
	s_and_saveexec_b64 s[18:19], vcc
	s_cbranch_execz .LBB238_141
; %bb.10:
	s_load_dwordx2 s[2:3], s[4:5], 0x10
	s_sub_i32 s23, s16, s21
	s_ashr_i32 s4, s20, 31
	v_cmp_eq_u32_e32 vcc, 0, v1
	v_lshlrev_b32_e32 v4, 1, v1
	s_waitcnt lgkmcnt(0)
	s_add_u32 s5, s2, s20
	s_addc_u32 s4, s3, s4
	s_abs_i32 s50, s22
	v_cvt_f32_u32_e32 v2, s50
	s_sub_i32 s2, 0, s50
	v_mul_u32_u24_e32 v14, 40, v1
	v_bfe_u32 v13, v0, 2, 4
	v_rcp_iflag_f32_e32 v3, v2
	v_lshlrev_b32_e32 v5, 4, v13
	v_mov_b32_e32 v6, s4
	v_add_co_u32_e64 v5, s[4:5], s5, v5
	v_mul_f32_e32 v3, 0x4f7ffffe, v3
	v_cvt_u32_f32_e32 v3, v3
	v_addc_co_u32_e64 v6, s[4:5], 0, v6, s[4:5]
	s_mov_b32 s51, s17
	v_mul_lo_u32 v1, s2, v3
	v_mov_b32_e32 v2, 0
	v_cmp_neq_f32_e64 s[2:3], s49, 0
	v_lshlrev_b32_e32 v17, 4, v11
	v_mul_hi_u32 v1, v3, v1
	v_mov_b32_e32 v20, 0xff7fffff
	s_mov_b64 s[38:39], 0
	s_movk_i32 s52, 0x80
	v_add_u32_e32 v15, v3, v1
	v_add_co_u32_e64 v3, s[4:5], v5, v4
	v_addc_co_u32_e64 v4, s[4:5], 0, v6, s[4:5]
	s_lshl_b64 s[4:5], s[30:31], 2
	s_add_u32 s4, s28, s4
	v_and_b32_e32 v1, 60, v9
	s_addc_u32 s5, s29, s5
	v_mov_b32_e32 v6, s5
	v_add_co_u32_e64 v5, s[4:5], s4, v1
	v_subrev_u32_e32 v1, s33, v13
	v_add_u32_e32 v18, 1, v1
	v_lshlrev_b32_e32 v1, 2, v13
	v_lshl_or_b32 v1, v11, 6, v1
	v_addc_co_u32_e64 v6, s[4:5], 0, v6, s[4:5]
	v_add_u32_e32 v19, 0xb0, v1
	s_movk_i32 s53, 0x7f
	s_mov_b32 s54, 0x8000
	v_mov_b32_e32 v21, 0x2000
	v_mbcnt_hi_u32_b32 v22, -1, v10
	v_mov_b32_e32 v16, 0xff7fffff
	v_mov_b32_e32 v23, v11
	s_branch .LBB238_13
.LBB238_11:                             ;   in Loop: Header=BB238_13 Depth=1
	s_or_b64 exec, exec, s[40:41]
.LBB238_12:                             ;   in Loop: Header=BB238_13 Depth=1
	s_or_b64 exec, exec, s[6:7]
	v_add_co_u32_e64 v5, s[4:5], 8, v5
	v_add_u32_e32 v23, 2, v23
	v_addc_co_u32_e64 v6, s[4:5], 0, v6, s[4:5]
	v_cmp_le_i32_e64 s[4:5], s48, v23
	v_add_u32_e32 v17, 32, v17
	s_or_b64 s[38:39], s[4:5], s[38:39]
	v_add_u32_e32 v19, 0x80, v19
	s_andn2_b64 exec, exec, s[38:39]
	s_cbranch_execz .LBB238_140
.LBB238_13:                             ; =>This Inner Loop Header: Depth=1
	v_mul_hi_u32 v1, v17, s46
	s_waitcnt lgkmcnt(0)
	v_mul_lo_u32 v7, v1, s25
	v_add_u32_e32 v8, 1, v1
	v_sub_u32_e32 v7, v17, v7
	v_cmp_le_u32_e64 s[4:5], s25, v7
	v_cndmask_b32_e64 v1, v1, v8, s[4:5]
	v_subrev_u32_e32 v8, s25, v7
	v_cndmask_b32_e64 v7, v7, v8, s[4:5]
	v_add_u32_e32 v8, 1, v1
	v_cmp_le_u32_e64 s[4:5], s25, v7
	v_cndmask_b32_e64 v1, v1, v8, s[4:5]
	v_xor_b32_e32 v1, s47, v1
	v_subrev_u32_e32 v1, s47, v1
	v_add_u32_e32 v7, s36, v1
	v_sub_u32_e32 v8, 0, v7
	v_max_i32_e32 v8, v7, v8
	v_mul_hi_u32 v24, v8, v15
	v_ashrrev_i32_e32 v7, 31, v7
	v_cmp_ge_i32_e64 s[6:7], s23, v1
	v_mul_lo_u32 v24, v24, s50
	v_sub_u32_e32 v8, v8, v24
	v_subrev_u32_e32 v24, s50, v8
	v_cmp_le_u32_e64 s[4:5], s50, v8
	v_cndmask_b32_e64 v8, v8, v24, s[4:5]
	v_subrev_u32_e32 v24, s50, v8
	v_cmp_le_u32_e64 s[4:5], s50, v8
	v_cndmask_b32_e64 v8, v8, v24, s[4:5]
	v_xor_b32_e32 v8, v8, v7
	v_sub_u32_e32 v7, v8, v7
	v_cmp_ne_u32_e64 s[4:5], 0, v7
	s_and_b64 s[4:5], s[4:5], s[6:7]
	s_and_saveexec_b64 s[6:7], s[4:5]
	s_xor_b64 s[4:5], exec, s[6:7]
	s_cbranch_execz .LBB238_17
; %bb.14:                               ;   in Loop: Header=BB238_13 Depth=1
	s_and_saveexec_b64 s[6:7], vcc
; %bb.15:                               ;   in Loop: Header=BB238_13 Depth=1
	ds_write_b32 v19, v20
; %bb.16:                               ;   in Loop: Header=BB238_13 Depth=1
	s_or_b64 exec, exec, s[6:7]
.LBB238_17:                             ;   in Loop: Header=BB238_13 Depth=1
	s_andn2_saveexec_b64 s[6:7], s[4:5]
	s_cbranch_execz .LBB238_12
; %bb.18:                               ;   in Loop: Header=BB238_13 Depth=1
	global_load_dword v1, v[5:6], off
	v_mov_b32_e32 v25, 0
	global_load_dword v24, v25, s[12:13]
	s_waitcnt vmcnt(1)
	v_mad_i64_i32 v[7:8], s[4:5], v1, s51, v[3:4]
	global_load_ushort v26, v[7:8], off
	s_waitcnt vmcnt(0)
	v_and_b32_e32 v1, 0xffff, v26
	v_cmp_ne_u16_sdwa s[4:5], v26, v2 src0_sel:BYTE_0 src1_sel:DWORD
	v_mov_b32_e32 v26, 0
	s_and_saveexec_b64 s[40:41], s[4:5]
	s_cbranch_execz .LBB238_24
; %bb.19:                               ;   in Loop: Header=BB238_13 Depth=1
	v_cmp_ne_u16_sdwa s[4:5], v1, s52 src0_sel:BYTE_0 src1_sel:DWORD
	v_mov_b32_e32 v26, 0x8000
	s_and_saveexec_b64 s[42:43], s[4:5]
	s_cbranch_execz .LBB238_23
; %bb.20:                               ;   in Loop: Header=BB238_13 Depth=1
	v_and_b32_e32 v27, 0x7f, v1
	v_cmp_ne_u32_e64 s[4:5], s53, v27
	v_mov_b32_e32 v26, 0x7c01
	s_and_saveexec_b64 s[44:45], s[4:5]
	s_cbranch_execz .LBB238_22
; %bb.21:                               ;   in Loop: Header=BB238_13 Depth=1
	v_and_b32_e32 v26, 7, v1
	v_ffbh_u32_e32 v28, v26
	v_min_u32_e32 v31, 32, v28
	v_subrev_u32_e32 v28, 28, v31
	v_lshlrev_b64 v[28:29], v28, v[1:2]
	v_lshrrev_b32_e32 v30, 3, v27
	v_sub_u32_e32 v29, 29, v31
	v_cmp_gt_u32_e64 s[4:5], 8, v27
	v_cndmask_b32_e64 v27, v30, v29, s[4:5]
	v_lshl_add_u32 v27, v27, 10, v21
	v_lshlrev_b32_e32 v29, 8, v1
	v_and_b32_e32 v28, 7, v28
	v_and_b32_e32 v27, 0xfc00, v27
	v_cndmask_b32_e64 v26, v26, v28, s[4:5]
	v_and_or_b32 v27, v29, s54, v27
	v_lshl_or_b32 v26, v26, 7, v27
.LBB238_22:                             ;   in Loop: Header=BB238_13 Depth=1
	s_or_b64 exec, exec, s[44:45]
.LBB238_23:                             ;   in Loop: Header=BB238_13 Depth=1
	s_or_b64 exec, exec, s[42:43]
.LBB238_24:                             ;   in Loop: Header=BB238_13 Depth=1
	s_or_b64 exec, exec, s[40:41]
	v_lshrrev_b16_e32 v1, 8, v1
	v_cmp_ne_u16_e64 s[4:5], 0, v1
	s_and_saveexec_b64 s[40:41], s[4:5]
	s_cbranch_execz .LBB238_30
; %bb.25:                               ;   in Loop: Header=BB238_13 Depth=1
	v_cmp_ne_u16_e64 s[4:5], s52, v1
	v_bfrev_b32_e32 v25, 1
	s_and_saveexec_b64 s[42:43], s[4:5]
	s_cbranch_execz .LBB238_29
; %bb.26:                               ;   in Loop: Header=BB238_13 Depth=1
	v_and_b32_e32 v27, 0x7f, v1
	v_cmp_ne_u32_e64 s[4:5], s53, v27
	v_mov_b32_e32 v25, 0x7c010000
	s_and_saveexec_b64 s[44:45], s[4:5]
	s_cbranch_execz .LBB238_28
; %bb.27:                               ;   in Loop: Header=BB238_13 Depth=1
	v_and_b32_e32 v25, 7, v1
	v_ffbh_u32_e32 v28, v25
	v_min_u32_e32 v31, 32, v28
	v_subrev_u32_e32 v28, 28, v31
	v_lshlrev_b64 v[28:29], v28, v[1:2]
	v_lshrrev_b32_e32 v30, 3, v27
	v_sub_u32_e32 v29, 29, v31
	v_cmp_gt_u32_e64 s[4:5], 8, v27
	v_cndmask_b32_e64 v27, v30, v29, s[4:5]
	v_lshlrev_b32_e32 v1, 8, v1
	v_lshl_add_u32 v27, v27, 10, v21
	v_and_b32_e32 v28, 7, v28
	v_and_or_b32 v1, v1, s54, v27
	v_cndmask_b32_e64 v25, v25, v28, s[4:5]
	v_lshlrev_b32_e32 v1, 16, v1
	v_lshl_or_b32 v25, v25, 23, v1
.LBB238_28:                             ;   in Loop: Header=BB238_13 Depth=1
	s_or_b64 exec, exec, s[44:45]
.LBB238_29:                             ;   in Loop: Header=BB238_13 Depth=1
	s_or_b64 exec, exec, s[42:43]
.LBB238_30:                             ;   in Loop: Header=BB238_13 Depth=1
	s_or_b64 exec, exec, s[40:41]
	global_load_ushort v28, v[7:8], off offset:8
	v_mov_b32_e32 v27, 0
	s_waitcnt vmcnt(0)
	v_and_b32_e32 v1, 0xffff, v28
	v_cmp_ne_u16_sdwa s[4:5], v28, v2 src0_sel:BYTE_0 src1_sel:DWORD
	v_mov_b32_e32 v28, 0
	s_and_saveexec_b64 s[40:41], s[4:5]
	s_cbranch_execz .LBB238_36
; %bb.31:                               ;   in Loop: Header=BB238_13 Depth=1
	v_cmp_ne_u16_sdwa s[4:5], v1, s52 src0_sel:BYTE_0 src1_sel:DWORD
	v_mov_b32_e32 v28, 0x8000
	s_and_saveexec_b64 s[42:43], s[4:5]
	s_cbranch_execz .LBB238_35
; %bb.32:                               ;   in Loop: Header=BB238_13 Depth=1
	v_and_b32_e32 v29, 0x7f, v1
	v_cmp_ne_u32_e64 s[4:5], s53, v29
	v_mov_b32_e32 v28, 0x7c01
	s_and_saveexec_b64 s[44:45], s[4:5]
	s_cbranch_execz .LBB238_34
; %bb.33:                               ;   in Loop: Header=BB238_13 Depth=1
	v_and_b32_e32 v28, 7, v1
	v_ffbh_u32_e32 v30, v28
	v_min_u32_e32 v33, 32, v30
	v_subrev_u32_e32 v30, 28, v33
	v_lshlrev_b64 v[30:31], v30, v[1:2]
	v_lshrrev_b32_e32 v32, 3, v29
	v_sub_u32_e32 v31, 29, v33
	v_cmp_gt_u32_e64 s[4:5], 8, v29
	v_cndmask_b32_e64 v29, v32, v31, s[4:5]
	v_lshl_add_u32 v29, v29, 10, v21
	v_lshlrev_b32_e32 v31, 8, v1
	v_and_b32_e32 v30, 7, v30
	v_and_b32_e32 v29, 0xfc00, v29
	v_cndmask_b32_e64 v28, v28, v30, s[4:5]
	v_and_or_b32 v29, v31, s54, v29
	v_lshl_or_b32 v28, v28, 7, v29
.LBB238_34:                             ;   in Loop: Header=BB238_13 Depth=1
	s_or_b64 exec, exec, s[44:45]
.LBB238_35:                             ;   in Loop: Header=BB238_13 Depth=1
	s_or_b64 exec, exec, s[42:43]
.LBB238_36:                             ;   in Loop: Header=BB238_13 Depth=1
	s_or_b64 exec, exec, s[40:41]
	v_lshrrev_b16_e32 v1, 8, v1
	v_cmp_ne_u16_e64 s[4:5], 0, v1
	s_and_saveexec_b64 s[40:41], s[4:5]
	s_cbranch_execz .LBB238_42
; %bb.37:                               ;   in Loop: Header=BB238_13 Depth=1
	v_cmp_ne_u16_e64 s[4:5], s52, v1
	v_bfrev_b32_e32 v27, 1
	s_and_saveexec_b64 s[42:43], s[4:5]
	s_cbranch_execz .LBB238_41
; %bb.38:                               ;   in Loop: Header=BB238_13 Depth=1
	v_and_b32_e32 v29, 0x7f, v1
	v_cmp_ne_u32_e64 s[4:5], s53, v29
	v_mov_b32_e32 v27, 0x7c010000
	s_and_saveexec_b64 s[44:45], s[4:5]
	s_cbranch_execz .LBB238_40
; %bb.39:                               ;   in Loop: Header=BB238_13 Depth=1
	v_and_b32_e32 v27, 7, v1
	v_ffbh_u32_e32 v30, v27
	v_min_u32_e32 v33, 32, v30
	v_subrev_u32_e32 v30, 28, v33
	v_lshlrev_b64 v[30:31], v30, v[1:2]
	v_lshrrev_b32_e32 v32, 3, v29
	v_sub_u32_e32 v31, 29, v33
	v_cmp_gt_u32_e64 s[4:5], 8, v29
	v_cndmask_b32_e64 v29, v32, v31, s[4:5]
	v_lshlrev_b32_e32 v1, 8, v1
	v_lshl_add_u32 v29, v29, 10, v21
	v_and_b32_e32 v30, 7, v30
	v_and_or_b32 v1, v1, s54, v29
	v_cndmask_b32_e64 v27, v27, v30, s[4:5]
	v_lshlrev_b32_e32 v1, 16, v1
	v_lshl_or_b32 v27, v27, 23, v1
.LBB238_40:                             ;   in Loop: Header=BB238_13 Depth=1
	s_or_b64 exec, exec, s[44:45]
.LBB238_41:                             ;   in Loop: Header=BB238_13 Depth=1
	s_or_b64 exec, exec, s[42:43]
.LBB238_42:                             ;   in Loop: Header=BB238_13 Depth=1
	s_or_b64 exec, exec, s[40:41]
	global_load_ushort v30, v[7:8], off offset:256
	v_mov_b32_e32 v29, 0
	s_waitcnt vmcnt(0)
	v_and_b32_e32 v1, 0xffff, v30
	v_cmp_ne_u16_sdwa s[4:5], v30, v2 src0_sel:BYTE_0 src1_sel:DWORD
	v_mov_b32_e32 v30, 0
	s_and_saveexec_b64 s[40:41], s[4:5]
	s_cbranch_execz .LBB238_48
; %bb.43:                               ;   in Loop: Header=BB238_13 Depth=1
	v_cmp_ne_u16_sdwa s[4:5], v1, s52 src0_sel:BYTE_0 src1_sel:DWORD
	v_mov_b32_e32 v30, 0x8000
	s_and_saveexec_b64 s[42:43], s[4:5]
	s_cbranch_execz .LBB238_47
; %bb.44:                               ;   in Loop: Header=BB238_13 Depth=1
	v_and_b32_e32 v31, 0x7f, v1
	v_cmp_ne_u32_e64 s[4:5], s53, v31
	v_mov_b32_e32 v30, 0x7c01
	s_and_saveexec_b64 s[44:45], s[4:5]
	s_cbranch_execz .LBB238_46
; %bb.45:                               ;   in Loop: Header=BB238_13 Depth=1
	v_and_b32_e32 v30, 7, v1
	v_ffbh_u32_e32 v32, v30
	v_min_u32_e32 v35, 32, v32
	v_subrev_u32_e32 v32, 28, v35
	v_lshlrev_b64 v[32:33], v32, v[1:2]
	v_lshrrev_b32_e32 v34, 3, v31
	v_sub_u32_e32 v33, 29, v35
	v_cmp_gt_u32_e64 s[4:5], 8, v31
	v_cndmask_b32_e64 v31, v34, v33, s[4:5]
	v_lshl_add_u32 v31, v31, 10, v21
	v_lshlrev_b32_e32 v33, 8, v1
	v_and_b32_e32 v32, 7, v32
	v_and_b32_e32 v31, 0xfc00, v31
	v_cndmask_b32_e64 v30, v30, v32, s[4:5]
	v_and_or_b32 v31, v33, s54, v31
	v_lshl_or_b32 v30, v30, 7, v31
.LBB238_46:                             ;   in Loop: Header=BB238_13 Depth=1
	s_or_b64 exec, exec, s[44:45]
.LBB238_47:                             ;   in Loop: Header=BB238_13 Depth=1
	s_or_b64 exec, exec, s[42:43]
.LBB238_48:                             ;   in Loop: Header=BB238_13 Depth=1
	s_or_b64 exec, exec, s[40:41]
	v_lshrrev_b16_e32 v1, 8, v1
	v_cmp_ne_u16_e64 s[4:5], 0, v1
	s_and_saveexec_b64 s[40:41], s[4:5]
	s_cbranch_execz .LBB238_54
; %bb.49:                               ;   in Loop: Header=BB238_13 Depth=1
	v_cmp_ne_u16_e64 s[4:5], s52, v1
	v_bfrev_b32_e32 v29, 1
	s_and_saveexec_b64 s[42:43], s[4:5]
	s_cbranch_execz .LBB238_53
; %bb.50:                               ;   in Loop: Header=BB238_13 Depth=1
	v_and_b32_e32 v31, 0x7f, v1
	v_cmp_ne_u32_e64 s[4:5], s53, v31
	v_mov_b32_e32 v29, 0x7c010000
	s_and_saveexec_b64 s[44:45], s[4:5]
	s_cbranch_execz .LBB238_52
; %bb.51:                               ;   in Loop: Header=BB238_13 Depth=1
	v_and_b32_e32 v29, 7, v1
	v_ffbh_u32_e32 v32, v29
	v_min_u32_e32 v35, 32, v32
	v_subrev_u32_e32 v32, 28, v35
	v_lshlrev_b64 v[32:33], v32, v[1:2]
	v_lshrrev_b32_e32 v34, 3, v31
	v_sub_u32_e32 v33, 29, v35
	v_cmp_gt_u32_e64 s[4:5], 8, v31
	v_cndmask_b32_e64 v31, v34, v33, s[4:5]
	v_lshlrev_b32_e32 v1, 8, v1
	v_lshl_add_u32 v31, v31, 10, v21
	v_and_b32_e32 v32, 7, v32
	v_and_or_b32 v1, v1, s54, v31
	v_cndmask_b32_e64 v29, v29, v32, s[4:5]
	v_lshlrev_b32_e32 v1, 16, v1
	v_lshl_or_b32 v29, v29, 23, v1
.LBB238_52:                             ;   in Loop: Header=BB238_13 Depth=1
	s_or_b64 exec, exec, s[44:45]
.LBB238_53:                             ;   in Loop: Header=BB238_13 Depth=1
	s_or_b64 exec, exec, s[42:43]
.LBB238_54:                             ;   in Loop: Header=BB238_13 Depth=1
	s_or_b64 exec, exec, s[40:41]
	global_load_ushort v32, v[7:8], off offset:264
	v_mov_b32_e32 v31, 0
	s_waitcnt vmcnt(0)
	v_and_b32_e32 v1, 0xffff, v32
	v_cmp_ne_u16_sdwa s[4:5], v32, v2 src0_sel:BYTE_0 src1_sel:DWORD
	v_mov_b32_e32 v32, 0
	s_and_saveexec_b64 s[40:41], s[4:5]
	s_cbranch_execz .LBB238_60
; %bb.55:                               ;   in Loop: Header=BB238_13 Depth=1
	v_cmp_ne_u16_sdwa s[4:5], v1, s52 src0_sel:BYTE_0 src1_sel:DWORD
	v_mov_b32_e32 v32, 0x8000
	s_and_saveexec_b64 s[42:43], s[4:5]
	s_cbranch_execz .LBB238_59
; %bb.56:                               ;   in Loop: Header=BB238_13 Depth=1
	v_and_b32_e32 v33, 0x7f, v1
	v_cmp_ne_u32_e64 s[4:5], s53, v33
	v_mov_b32_e32 v32, 0x7c01
	s_and_saveexec_b64 s[44:45], s[4:5]
	s_cbranch_execz .LBB238_58
; %bb.57:                               ;   in Loop: Header=BB238_13 Depth=1
	v_and_b32_e32 v32, 7, v1
	v_ffbh_u32_e32 v34, v32
	v_min_u32_e32 v37, 32, v34
	v_subrev_u32_e32 v34, 28, v37
	v_lshlrev_b64 v[34:35], v34, v[1:2]
	v_lshrrev_b32_e32 v36, 3, v33
	v_sub_u32_e32 v35, 29, v37
	v_cmp_gt_u32_e64 s[4:5], 8, v33
	v_cndmask_b32_e64 v33, v36, v35, s[4:5]
	v_lshl_add_u32 v33, v33, 10, v21
	v_lshlrev_b32_e32 v35, 8, v1
	v_and_b32_e32 v34, 7, v34
	v_and_b32_e32 v33, 0xfc00, v33
	v_cndmask_b32_e64 v32, v32, v34, s[4:5]
	v_and_or_b32 v33, v35, s54, v33
	v_lshl_or_b32 v32, v32, 7, v33
.LBB238_58:                             ;   in Loop: Header=BB238_13 Depth=1
	s_or_b64 exec, exec, s[44:45]
.LBB238_59:                             ;   in Loop: Header=BB238_13 Depth=1
	s_or_b64 exec, exec, s[42:43]
.LBB238_60:                             ;   in Loop: Header=BB238_13 Depth=1
	s_or_b64 exec, exec, s[40:41]
	v_lshrrev_b16_e32 v1, 8, v1
	v_cmp_ne_u16_e64 s[4:5], 0, v1
	s_and_saveexec_b64 s[40:41], s[4:5]
	s_cbranch_execz .LBB238_66
; %bb.61:                               ;   in Loop: Header=BB238_13 Depth=1
	v_cmp_ne_u16_e64 s[4:5], s52, v1
	v_bfrev_b32_e32 v31, 1
	s_and_saveexec_b64 s[42:43], s[4:5]
	s_cbranch_execz .LBB238_65
; %bb.62:                               ;   in Loop: Header=BB238_13 Depth=1
	v_and_b32_e32 v33, 0x7f, v1
	v_cmp_ne_u32_e64 s[4:5], s53, v33
	v_mov_b32_e32 v31, 0x7c010000
	s_and_saveexec_b64 s[44:45], s[4:5]
	s_cbranch_execz .LBB238_64
; %bb.63:                               ;   in Loop: Header=BB238_13 Depth=1
	v_and_b32_e32 v31, 7, v1
	v_ffbh_u32_e32 v34, v31
	v_min_u32_e32 v37, 32, v34
	v_subrev_u32_e32 v34, 28, v37
	v_lshlrev_b64 v[34:35], v34, v[1:2]
	v_lshrrev_b32_e32 v36, 3, v33
	v_sub_u32_e32 v35, 29, v37
	v_cmp_gt_u32_e64 s[4:5], 8, v33
	v_cndmask_b32_e64 v33, v36, v35, s[4:5]
	v_lshlrev_b32_e32 v1, 8, v1
	v_lshl_add_u32 v33, v33, 10, v21
	v_and_b32_e32 v34, 7, v34
	v_and_or_b32 v1, v1, s54, v33
	v_cndmask_b32_e64 v31, v31, v34, s[4:5]
	v_lshlrev_b32_e32 v1, 16, v1
	v_lshl_or_b32 v31, v31, 23, v1
.LBB238_64:                             ;   in Loop: Header=BB238_13 Depth=1
	s_or_b64 exec, exec, s[44:45]
.LBB238_65:                             ;   in Loop: Header=BB238_13 Depth=1
	s_or_b64 exec, exec, s[42:43]
.LBB238_66:                             ;   in Loop: Header=BB238_13 Depth=1
	s_or_b64 exec, exec, s[40:41]
	global_load_ushort v34, v[7:8], off offset:512
	v_mov_b32_e32 v33, 0
	s_waitcnt vmcnt(0)
	v_and_b32_e32 v1, 0xffff, v34
	v_cmp_ne_u16_sdwa s[4:5], v34, v2 src0_sel:BYTE_0 src1_sel:DWORD
	v_mov_b32_e32 v34, 0
	s_and_saveexec_b64 s[40:41], s[4:5]
	s_cbranch_execz .LBB238_72
; %bb.67:                               ;   in Loop: Header=BB238_13 Depth=1
	v_cmp_ne_u16_sdwa s[4:5], v1, s52 src0_sel:BYTE_0 src1_sel:DWORD
	v_mov_b32_e32 v34, 0x8000
	s_and_saveexec_b64 s[42:43], s[4:5]
	s_cbranch_execz .LBB238_71
; %bb.68:                               ;   in Loop: Header=BB238_13 Depth=1
	v_and_b32_e32 v35, 0x7f, v1
	v_cmp_ne_u32_e64 s[4:5], s53, v35
	v_mov_b32_e32 v34, 0x7c01
	s_and_saveexec_b64 s[44:45], s[4:5]
	s_cbranch_execz .LBB238_70
; %bb.69:                               ;   in Loop: Header=BB238_13 Depth=1
	v_and_b32_e32 v34, 7, v1
	v_ffbh_u32_e32 v36, v34
	v_min_u32_e32 v39, 32, v36
	v_subrev_u32_e32 v36, 28, v39
	v_lshlrev_b64 v[36:37], v36, v[1:2]
	v_lshrrev_b32_e32 v38, 3, v35
	v_sub_u32_e32 v37, 29, v39
	v_cmp_gt_u32_e64 s[4:5], 8, v35
	v_cndmask_b32_e64 v35, v38, v37, s[4:5]
	v_lshl_add_u32 v35, v35, 10, v21
	v_lshlrev_b32_e32 v37, 8, v1
	v_and_b32_e32 v36, 7, v36
	v_and_b32_e32 v35, 0xfc00, v35
	v_cndmask_b32_e64 v34, v34, v36, s[4:5]
	v_and_or_b32 v35, v37, s54, v35
	v_lshl_or_b32 v34, v34, 7, v35
.LBB238_70:                             ;   in Loop: Header=BB238_13 Depth=1
	s_or_b64 exec, exec, s[44:45]
.LBB238_71:                             ;   in Loop: Header=BB238_13 Depth=1
	s_or_b64 exec, exec, s[42:43]
.LBB238_72:                             ;   in Loop: Header=BB238_13 Depth=1
	s_or_b64 exec, exec, s[40:41]
	v_lshrrev_b16_e32 v1, 8, v1
	v_cmp_ne_u16_e64 s[4:5], 0, v1
	s_and_saveexec_b64 s[40:41], s[4:5]
	s_cbranch_execz .LBB238_78
; %bb.73:                               ;   in Loop: Header=BB238_13 Depth=1
	v_cmp_ne_u16_e64 s[4:5], s52, v1
	v_bfrev_b32_e32 v33, 1
	s_and_saveexec_b64 s[42:43], s[4:5]
	s_cbranch_execz .LBB238_77
; %bb.74:                               ;   in Loop: Header=BB238_13 Depth=1
	v_and_b32_e32 v35, 0x7f, v1
	v_cmp_ne_u32_e64 s[4:5], s53, v35
	v_mov_b32_e32 v33, 0x7c010000
	s_and_saveexec_b64 s[44:45], s[4:5]
	s_cbranch_execz .LBB238_76
; %bb.75:                               ;   in Loop: Header=BB238_13 Depth=1
	v_and_b32_e32 v33, 7, v1
	v_ffbh_u32_e32 v36, v33
	v_min_u32_e32 v39, 32, v36
	v_subrev_u32_e32 v36, 28, v39
	v_lshlrev_b64 v[36:37], v36, v[1:2]
	v_lshrrev_b32_e32 v38, 3, v35
	v_sub_u32_e32 v37, 29, v39
	v_cmp_gt_u32_e64 s[4:5], 8, v35
	v_cndmask_b32_e64 v35, v38, v37, s[4:5]
	v_lshlrev_b32_e32 v1, 8, v1
	v_lshl_add_u32 v35, v35, 10, v21
	v_and_b32_e32 v36, 7, v36
	v_and_or_b32 v1, v1, s54, v35
	v_cndmask_b32_e64 v33, v33, v36, s[4:5]
	v_lshlrev_b32_e32 v1, 16, v1
	v_lshl_or_b32 v33, v33, 23, v1
.LBB238_76:                             ;   in Loop: Header=BB238_13 Depth=1
	s_or_b64 exec, exec, s[44:45]
.LBB238_77:                             ;   in Loop: Header=BB238_13 Depth=1
	s_or_b64 exec, exec, s[42:43]
.LBB238_78:                             ;   in Loop: Header=BB238_13 Depth=1
	s_or_b64 exec, exec, s[40:41]
	global_load_ushort v36, v[7:8], off offset:520
	v_mov_b32_e32 v35, 0
	s_waitcnt vmcnt(0)
	v_and_b32_e32 v1, 0xffff, v36
	v_cmp_ne_u16_sdwa s[4:5], v36, v2 src0_sel:BYTE_0 src1_sel:DWORD
	v_mov_b32_e32 v36, 0
	s_and_saveexec_b64 s[40:41], s[4:5]
	s_cbranch_execz .LBB238_84
; %bb.79:                               ;   in Loop: Header=BB238_13 Depth=1
	v_cmp_ne_u16_sdwa s[4:5], v1, s52 src0_sel:BYTE_0 src1_sel:DWORD
	v_mov_b32_e32 v36, 0x8000
	s_and_saveexec_b64 s[42:43], s[4:5]
	s_cbranch_execz .LBB238_83
; %bb.80:                               ;   in Loop: Header=BB238_13 Depth=1
	v_and_b32_e32 v37, 0x7f, v1
	v_cmp_ne_u32_e64 s[4:5], s53, v37
	v_mov_b32_e32 v36, 0x7c01
	s_and_saveexec_b64 s[44:45], s[4:5]
	s_cbranch_execz .LBB238_82
; %bb.81:                               ;   in Loop: Header=BB238_13 Depth=1
	v_and_b32_e32 v36, 7, v1
	v_ffbh_u32_e32 v38, v36
	v_min_u32_e32 v41, 32, v38
	v_subrev_u32_e32 v38, 28, v41
	v_lshlrev_b64 v[38:39], v38, v[1:2]
	v_lshrrev_b32_e32 v40, 3, v37
	v_sub_u32_e32 v39, 29, v41
	v_cmp_gt_u32_e64 s[4:5], 8, v37
	v_cndmask_b32_e64 v37, v40, v39, s[4:5]
	v_lshl_add_u32 v37, v37, 10, v21
	v_lshlrev_b32_e32 v39, 8, v1
	v_and_b32_e32 v38, 7, v38
	v_and_b32_e32 v37, 0xfc00, v37
	v_cndmask_b32_e64 v36, v36, v38, s[4:5]
	v_and_or_b32 v37, v39, s54, v37
	v_lshl_or_b32 v36, v36, 7, v37
.LBB238_82:                             ;   in Loop: Header=BB238_13 Depth=1
	s_or_b64 exec, exec, s[44:45]
.LBB238_83:                             ;   in Loop: Header=BB238_13 Depth=1
	s_or_b64 exec, exec, s[42:43]
.LBB238_84:                             ;   in Loop: Header=BB238_13 Depth=1
	s_or_b64 exec, exec, s[40:41]
	v_lshrrev_b16_e32 v1, 8, v1
	v_cmp_ne_u16_e64 s[4:5], 0, v1
	s_and_saveexec_b64 s[40:41], s[4:5]
	s_cbranch_execz .LBB238_90
; %bb.85:                               ;   in Loop: Header=BB238_13 Depth=1
	v_cmp_ne_u16_e64 s[4:5], s52, v1
	v_bfrev_b32_e32 v35, 1
	s_and_saveexec_b64 s[42:43], s[4:5]
	s_cbranch_execz .LBB238_89
; %bb.86:                               ;   in Loop: Header=BB238_13 Depth=1
	v_and_b32_e32 v37, 0x7f, v1
	v_cmp_ne_u32_e64 s[4:5], s53, v37
	v_mov_b32_e32 v35, 0x7c010000
	s_and_saveexec_b64 s[44:45], s[4:5]
	s_cbranch_execz .LBB238_88
; %bb.87:                               ;   in Loop: Header=BB238_13 Depth=1
	v_and_b32_e32 v35, 7, v1
	v_ffbh_u32_e32 v38, v35
	v_min_u32_e32 v41, 32, v38
	v_subrev_u32_e32 v38, 28, v41
	v_lshlrev_b64 v[38:39], v38, v[1:2]
	v_lshrrev_b32_e32 v40, 3, v37
	v_sub_u32_e32 v39, 29, v41
	v_cmp_gt_u32_e64 s[4:5], 8, v37
	v_cndmask_b32_e64 v37, v40, v39, s[4:5]
	v_lshlrev_b32_e32 v1, 8, v1
	v_lshl_add_u32 v37, v37, 10, v21
	v_and_b32_e32 v38, 7, v38
	v_and_or_b32 v1, v1, s54, v37
	v_cndmask_b32_e64 v35, v35, v38, s[4:5]
	v_lshlrev_b32_e32 v1, 16, v1
	v_lshl_or_b32 v35, v35, 23, v1
.LBB238_88:                             ;   in Loop: Header=BB238_13 Depth=1
	s_or_b64 exec, exec, s[44:45]
.LBB238_89:                             ;   in Loop: Header=BB238_13 Depth=1
	s_or_b64 exec, exec, s[42:43]
.LBB238_90:                             ;   in Loop: Header=BB238_13 Depth=1
	s_or_b64 exec, exec, s[40:41]
	global_load_ushort v38, v[7:8], off offset:768
	v_mov_b32_e32 v37, 0
	s_waitcnt vmcnt(0)
	v_and_b32_e32 v1, 0xffff, v38
	v_cmp_ne_u16_sdwa s[4:5], v38, v2 src0_sel:BYTE_0 src1_sel:DWORD
	v_mov_b32_e32 v38, 0
	s_and_saveexec_b64 s[40:41], s[4:5]
	s_cbranch_execz .LBB238_96
; %bb.91:                               ;   in Loop: Header=BB238_13 Depth=1
	v_cmp_ne_u16_sdwa s[4:5], v1, s52 src0_sel:BYTE_0 src1_sel:DWORD
	v_mov_b32_e32 v38, 0x8000
	s_and_saveexec_b64 s[42:43], s[4:5]
	s_cbranch_execz .LBB238_95
; %bb.92:                               ;   in Loop: Header=BB238_13 Depth=1
	v_and_b32_e32 v39, 0x7f, v1
	v_cmp_ne_u32_e64 s[4:5], s53, v39
	v_mov_b32_e32 v38, 0x7c01
	s_and_saveexec_b64 s[44:45], s[4:5]
	s_cbranch_execz .LBB238_94
; %bb.93:                               ;   in Loop: Header=BB238_13 Depth=1
	v_and_b32_e32 v38, 7, v1
	v_ffbh_u32_e32 v40, v38
	v_min_u32_e32 v43, 32, v40
	v_subrev_u32_e32 v40, 28, v43
	v_lshlrev_b64 v[40:41], v40, v[1:2]
	v_lshrrev_b32_e32 v42, 3, v39
	v_sub_u32_e32 v41, 29, v43
	v_cmp_gt_u32_e64 s[4:5], 8, v39
	v_cndmask_b32_e64 v39, v42, v41, s[4:5]
	v_lshl_add_u32 v39, v39, 10, v21
	v_lshlrev_b32_e32 v41, 8, v1
	v_and_b32_e32 v40, 7, v40
	v_and_b32_e32 v39, 0xfc00, v39
	v_cndmask_b32_e64 v38, v38, v40, s[4:5]
	v_and_or_b32 v39, v41, s54, v39
	v_lshl_or_b32 v38, v38, 7, v39
.LBB238_94:                             ;   in Loop: Header=BB238_13 Depth=1
	s_or_b64 exec, exec, s[44:45]
.LBB238_95:                             ;   in Loop: Header=BB238_13 Depth=1
	s_or_b64 exec, exec, s[42:43]
.LBB238_96:                             ;   in Loop: Header=BB238_13 Depth=1
	s_or_b64 exec, exec, s[40:41]
	v_lshrrev_b16_e32 v1, 8, v1
	v_cmp_ne_u16_e64 s[4:5], 0, v1
	s_and_saveexec_b64 s[40:41], s[4:5]
	s_cbranch_execz .LBB238_102
; %bb.97:                               ;   in Loop: Header=BB238_13 Depth=1
	v_cmp_ne_u16_e64 s[4:5], s52, v1
	v_bfrev_b32_e32 v37, 1
	s_and_saveexec_b64 s[42:43], s[4:5]
	s_cbranch_execz .LBB238_101
; %bb.98:                               ;   in Loop: Header=BB238_13 Depth=1
	v_and_b32_e32 v39, 0x7f, v1
	v_cmp_ne_u32_e64 s[4:5], s53, v39
	v_mov_b32_e32 v37, 0x7c010000
	s_and_saveexec_b64 s[44:45], s[4:5]
	s_cbranch_execz .LBB238_100
; %bb.99:                               ;   in Loop: Header=BB238_13 Depth=1
	v_and_b32_e32 v37, 7, v1
	v_ffbh_u32_e32 v40, v37
	v_min_u32_e32 v43, 32, v40
	v_subrev_u32_e32 v40, 28, v43
	v_lshlrev_b64 v[40:41], v40, v[1:2]
	v_lshrrev_b32_e32 v42, 3, v39
	v_sub_u32_e32 v41, 29, v43
	v_cmp_gt_u32_e64 s[4:5], 8, v39
	v_cndmask_b32_e64 v39, v42, v41, s[4:5]
	v_lshlrev_b32_e32 v1, 8, v1
	v_lshl_add_u32 v39, v39, 10, v21
	v_and_b32_e32 v40, 7, v40
	v_and_or_b32 v1, v1, s54, v39
	v_cndmask_b32_e64 v37, v37, v40, s[4:5]
	v_lshlrev_b32_e32 v1, 16, v1
	v_lshl_or_b32 v37, v37, 23, v1
.LBB238_100:                            ;   in Loop: Header=BB238_13 Depth=1
	s_or_b64 exec, exec, s[44:45]
.LBB238_101:                            ;   in Loop: Header=BB238_13 Depth=1
	s_or_b64 exec, exec, s[42:43]
.LBB238_102:                            ;   in Loop: Header=BB238_13 Depth=1
	s_or_b64 exec, exec, s[40:41]
	global_load_ushort v40, v[7:8], off offset:776
	v_mov_b32_e32 v39, 0
	s_waitcnt vmcnt(0)
	v_and_b32_e32 v1, 0xffff, v40
	v_cmp_ne_u16_sdwa s[4:5], v40, v2 src0_sel:BYTE_0 src1_sel:DWORD
	v_mov_b32_e32 v40, 0
	s_and_saveexec_b64 s[40:41], s[4:5]
	s_cbranch_execz .LBB238_108
; %bb.103:                              ;   in Loop: Header=BB238_13 Depth=1
	v_cmp_ne_u16_sdwa s[4:5], v1, s52 src0_sel:BYTE_0 src1_sel:DWORD
	v_mov_b32_e32 v40, 0x8000
	s_and_saveexec_b64 s[42:43], s[4:5]
	s_cbranch_execz .LBB238_107
; %bb.104:                              ;   in Loop: Header=BB238_13 Depth=1
	v_and_b32_e32 v41, 0x7f, v1
	v_cmp_ne_u32_e64 s[4:5], s53, v41
	v_mov_b32_e32 v40, 0x7c01
	s_and_saveexec_b64 s[44:45], s[4:5]
	s_cbranch_execz .LBB238_106
; %bb.105:                              ;   in Loop: Header=BB238_13 Depth=1
	v_and_b32_e32 v40, 7, v1
	v_ffbh_u32_e32 v42, v40
	v_min_u32_e32 v45, 32, v42
	v_subrev_u32_e32 v42, 28, v45
	v_lshlrev_b64 v[42:43], v42, v[1:2]
	v_lshrrev_b32_e32 v44, 3, v41
	v_sub_u32_e32 v43, 29, v45
	v_cmp_gt_u32_e64 s[4:5], 8, v41
	v_cndmask_b32_e64 v41, v44, v43, s[4:5]
	v_lshl_add_u32 v41, v41, 10, v21
	v_lshlrev_b32_e32 v43, 8, v1
	v_and_b32_e32 v42, 7, v42
	v_and_b32_e32 v41, 0xfc00, v41
	v_cndmask_b32_e64 v40, v40, v42, s[4:5]
	v_and_or_b32 v41, v43, s54, v41
	v_lshl_or_b32 v40, v40, 7, v41
.LBB238_106:                            ;   in Loop: Header=BB238_13 Depth=1
	s_or_b64 exec, exec, s[44:45]
.LBB238_107:                            ;   in Loop: Header=BB238_13 Depth=1
	s_or_b64 exec, exec, s[42:43]
.LBB238_108:                            ;   in Loop: Header=BB238_13 Depth=1
	s_or_b64 exec, exec, s[40:41]
	v_lshrrev_b16_e32 v1, 8, v1
	v_cmp_ne_u16_e64 s[4:5], 0, v1
	s_and_saveexec_b64 s[40:41], s[4:5]
	s_cbranch_execz .LBB238_114
; %bb.109:                              ;   in Loop: Header=BB238_13 Depth=1
	v_cmp_ne_u16_e64 s[4:5], s52, v1
	v_bfrev_b32_e32 v39, 1
	s_and_saveexec_b64 s[42:43], s[4:5]
	s_cbranch_execz .LBB238_113
; %bb.110:                              ;   in Loop: Header=BB238_13 Depth=1
	v_and_b32_e32 v41, 0x7f, v1
	v_cmp_ne_u32_e64 s[4:5], s53, v41
	v_mov_b32_e32 v39, 0x7c010000
	s_and_saveexec_b64 s[44:45], s[4:5]
	s_cbranch_execz .LBB238_112
; %bb.111:                              ;   in Loop: Header=BB238_13 Depth=1
	v_and_b32_e32 v39, 7, v1
	v_ffbh_u32_e32 v42, v39
	v_min_u32_e32 v45, 32, v42
	v_subrev_u32_e32 v42, 28, v45
	v_lshlrev_b64 v[42:43], v42, v[1:2]
	v_lshrrev_b32_e32 v44, 3, v41
	v_sub_u32_e32 v43, 29, v45
	v_cmp_gt_u32_e64 s[4:5], 8, v41
	v_cndmask_b32_e64 v41, v44, v43, s[4:5]
	v_lshlrev_b32_e32 v1, 8, v1
	v_lshl_add_u32 v41, v41, 10, v21
	v_and_b32_e32 v42, 7, v42
	v_and_or_b32 v1, v1, s54, v41
	v_cndmask_b32_e64 v39, v39, v42, s[4:5]
	v_lshlrev_b32_e32 v1, 16, v1
	v_lshl_or_b32 v39, v39, 23, v1
.LBB238_112:                            ;   in Loop: Header=BB238_13 Depth=1
	s_or_b64 exec, exec, s[44:45]
.LBB238_113:                            ;   in Loop: Header=BB238_13 Depth=1
	s_or_b64 exec, exec, s[42:43]
.LBB238_114:                            ;   in Loop: Header=BB238_13 Depth=1
	s_or_b64 exec, exec, s[40:41]
	global_load_ushort v42, v[7:8], off offset:1024
	v_mov_b32_e32 v41, 0
	s_waitcnt vmcnt(0)
	v_and_b32_e32 v1, 0xffff, v42
	v_cmp_ne_u16_sdwa s[4:5], v42, v2 src0_sel:BYTE_0 src1_sel:DWORD
	v_mov_b32_e32 v42, 0
	s_and_saveexec_b64 s[40:41], s[4:5]
	s_cbranch_execz .LBB238_120
; %bb.115:                              ;   in Loop: Header=BB238_13 Depth=1
	v_cmp_ne_u16_sdwa s[4:5], v1, s52 src0_sel:BYTE_0 src1_sel:DWORD
	v_mov_b32_e32 v42, 0x8000
	s_and_saveexec_b64 s[42:43], s[4:5]
	s_cbranch_execz .LBB238_119
; %bb.116:                              ;   in Loop: Header=BB238_13 Depth=1
	v_and_b32_e32 v43, 0x7f, v1
	v_cmp_ne_u32_e64 s[4:5], s53, v43
	v_mov_b32_e32 v42, 0x7c01
	s_and_saveexec_b64 s[44:45], s[4:5]
	s_cbranch_execz .LBB238_118
; %bb.117:                              ;   in Loop: Header=BB238_13 Depth=1
	v_and_b32_e32 v42, 7, v1
	v_ffbh_u32_e32 v44, v42
	v_min_u32_e32 v47, 32, v44
	v_subrev_u32_e32 v44, 28, v47
	v_lshlrev_b64 v[44:45], v44, v[1:2]
	v_lshrrev_b32_e32 v46, 3, v43
	v_sub_u32_e32 v45, 29, v47
	v_cmp_gt_u32_e64 s[4:5], 8, v43
	v_cndmask_b32_e64 v43, v46, v45, s[4:5]
	v_lshl_add_u32 v43, v43, 10, v21
	v_lshlrev_b32_e32 v45, 8, v1
	v_and_b32_e32 v44, 7, v44
	v_and_b32_e32 v43, 0xfc00, v43
	v_cndmask_b32_e64 v42, v42, v44, s[4:5]
	v_and_or_b32 v43, v45, s54, v43
	v_lshl_or_b32 v42, v42, 7, v43
.LBB238_118:                            ;   in Loop: Header=BB238_13 Depth=1
	s_or_b64 exec, exec, s[44:45]
.LBB238_119:                            ;   in Loop: Header=BB238_13 Depth=1
	s_or_b64 exec, exec, s[42:43]
.LBB238_120:                            ;   in Loop: Header=BB238_13 Depth=1
	s_or_b64 exec, exec, s[40:41]
	v_lshrrev_b16_e32 v1, 8, v1
	v_cmp_ne_u16_e64 s[4:5], 0, v1
	s_and_saveexec_b64 s[40:41], s[4:5]
	s_cbranch_execz .LBB238_126
; %bb.121:                              ;   in Loop: Header=BB238_13 Depth=1
	v_cmp_ne_u16_e64 s[4:5], s52, v1
	v_bfrev_b32_e32 v41, 1
	s_and_saveexec_b64 s[42:43], s[4:5]
	s_cbranch_execz .LBB238_125
; %bb.122:                              ;   in Loop: Header=BB238_13 Depth=1
	v_and_b32_e32 v43, 0x7f, v1
	v_cmp_ne_u32_e64 s[4:5], s53, v43
	v_mov_b32_e32 v41, 0x7c010000
	s_and_saveexec_b64 s[44:45], s[4:5]
	s_cbranch_execz .LBB238_124
; %bb.123:                              ;   in Loop: Header=BB238_13 Depth=1
	v_and_b32_e32 v41, 7, v1
	v_ffbh_u32_e32 v44, v41
	v_min_u32_e32 v47, 32, v44
	v_subrev_u32_e32 v44, 28, v47
	v_lshlrev_b64 v[44:45], v44, v[1:2]
	v_lshrrev_b32_e32 v46, 3, v43
	v_sub_u32_e32 v45, 29, v47
	v_cmp_gt_u32_e64 s[4:5], 8, v43
	v_cndmask_b32_e64 v43, v46, v45, s[4:5]
	v_lshlrev_b32_e32 v1, 8, v1
	v_lshl_add_u32 v43, v43, 10, v21
	v_and_b32_e32 v44, 7, v44
	v_and_or_b32 v1, v1, s54, v43
	v_cndmask_b32_e64 v41, v41, v44, s[4:5]
	v_lshlrev_b32_e32 v1, 16, v1
	v_lshl_or_b32 v41, v41, 23, v1
.LBB238_124:                            ;   in Loop: Header=BB238_13 Depth=1
	s_or_b64 exec, exec, s[44:45]
.LBB238_125:                            ;   in Loop: Header=BB238_13 Depth=1
	s_or_b64 exec, exec, s[42:43]
.LBB238_126:                            ;   in Loop: Header=BB238_13 Depth=1
	s_or_b64 exec, exec, s[40:41]
	global_load_ushort v8, v[7:8], off offset:1032
	v_mov_b32_e32 v7, 0
	s_waitcnt vmcnt(0)
	v_and_b32_e32 v1, 0xffff, v8
	v_cmp_ne_u16_sdwa s[4:5], v8, v2 src0_sel:BYTE_0 src1_sel:DWORD
	v_mov_b32_e32 v8, 0
	s_and_saveexec_b64 s[40:41], s[4:5]
	s_cbranch_execz .LBB238_132
; %bb.127:                              ;   in Loop: Header=BB238_13 Depth=1
	v_cmp_ne_u16_sdwa s[4:5], v1, s52 src0_sel:BYTE_0 src1_sel:DWORD
	v_mov_b32_e32 v8, 0x8000
	s_and_saveexec_b64 s[42:43], s[4:5]
	s_cbranch_execz .LBB238_131
; %bb.128:                              ;   in Loop: Header=BB238_13 Depth=1
	v_and_b32_e32 v43, 0x7f, v1
	v_cmp_ne_u32_e64 s[4:5], s53, v43
	v_mov_b32_e32 v8, 0x7c01
	s_and_saveexec_b64 s[44:45], s[4:5]
	s_cbranch_execz .LBB238_130
; %bb.129:                              ;   in Loop: Header=BB238_13 Depth=1
	v_and_b32_e32 v8, 7, v1
	v_ffbh_u32_e32 v44, v8
	v_min_u32_e32 v47, 32, v44
	v_subrev_u32_e32 v44, 28, v47
	v_lshlrev_b64 v[44:45], v44, v[1:2]
	v_lshrrev_b32_e32 v46, 3, v43
	v_sub_u32_e32 v45, 29, v47
	v_cmp_gt_u32_e64 s[4:5], 8, v43
	v_cndmask_b32_e64 v43, v46, v45, s[4:5]
	v_lshl_add_u32 v43, v43, 10, v21
	v_lshlrev_b32_e32 v45, 8, v1
	v_and_b32_e32 v44, 7, v44
	v_and_b32_e32 v43, 0xfc00, v43
	v_cndmask_b32_e64 v8, v8, v44, s[4:5]
	v_and_or_b32 v43, v45, s54, v43
	v_lshl_or_b32 v8, v8, 7, v43
.LBB238_130:                            ;   in Loop: Header=BB238_13 Depth=1
	s_or_b64 exec, exec, s[44:45]
.LBB238_131:                            ;   in Loop: Header=BB238_13 Depth=1
	s_or_b64 exec, exec, s[42:43]
.LBB238_132:                            ;   in Loop: Header=BB238_13 Depth=1
	s_or_b64 exec, exec, s[40:41]
	v_lshrrev_b16_e32 v1, 8, v1
	v_cmp_ne_u16_e64 s[4:5], 0, v1
	s_and_saveexec_b64 s[40:41], s[4:5]
	s_cbranch_execz .LBB238_138
; %bb.133:                              ;   in Loop: Header=BB238_13 Depth=1
	v_cmp_ne_u16_e64 s[4:5], s52, v1
	v_bfrev_b32_e32 v7, 1
	s_and_saveexec_b64 s[42:43], s[4:5]
	s_cbranch_execz .LBB238_137
; %bb.134:                              ;   in Loop: Header=BB238_13 Depth=1
	v_and_b32_e32 v43, 0x7f, v1
	v_cmp_ne_u32_e64 s[4:5], s53, v43
	v_mov_b32_e32 v7, 0x7c010000
	s_and_saveexec_b64 s[44:45], s[4:5]
	s_cbranch_execz .LBB238_136
; %bb.135:                              ;   in Loop: Header=BB238_13 Depth=1
	v_and_b32_e32 v7, 7, v1
	v_ffbh_u32_e32 v44, v7
	v_min_u32_e32 v47, 32, v44
	v_subrev_u32_e32 v44, 28, v47
	v_lshlrev_b64 v[44:45], v44, v[1:2]
	v_lshrrev_b32_e32 v46, 3, v43
	v_sub_u32_e32 v45, 29, v47
	v_cmp_gt_u32_e64 s[4:5], 8, v43
	v_cndmask_b32_e64 v43, v46, v45, s[4:5]
	v_lshlrev_b32_e32 v1, 8, v1
	v_lshl_add_u32 v43, v43, 10, v21
	v_and_b32_e32 v44, 7, v44
	v_and_or_b32 v1, v1, s54, v43
	v_cndmask_b32_e64 v7, v7, v44, s[4:5]
	v_lshlrev_b32_e32 v1, 16, v1
	v_lshl_or_b32 v7, v7, 23, v1
.LBB238_136:                            ;   in Loop: Header=BB238_13 Depth=1
	s_or_b64 exec, exec, s[44:45]
.LBB238_137:                            ;   in Loop: Header=BB238_13 Depth=1
	s_or_b64 exec, exec, s[42:43]
.LBB238_138:                            ;   in Loop: Header=BB238_13 Depth=1
	s_or_b64 exec, exec, s[40:41]
	v_or_b32_e32 v1, v41, v42
	v_fma_mixlo_f16 v42, v24, v1, 0 op_sel_hi:[0,1,0]
	v_fma_mixlo_f16 v1, v24, v41, 0 op_sel:[0,1,0] op_sel_hi:[0,1,0]
	ds_read_b32 v41, v14
	v_or_b32_e32 v26, v25, v26
	v_fma_mixlo_f16 v26, v24, v26, 0 op_sel_hi:[0,1,0]
	v_fma_mixlo_f16 v25, v24, v25, 0 op_sel:[0,1,0] op_sel_hi:[0,1,0]
	v_and_b32_e32 v26, 0xffff, v26
	s_waitcnt lgkmcnt(0)
	v_lshrrev_b32_e32 v43, 16, v41
	v_and_b32_e32 v41, 0xffff, v41
	v_and_b32_e32 v25, 0xffff, v25
	;;#ASMSTART
	v_cvt_f32_f16 v41, v41;
	;;#ASMEND
	;;#ASMSTART
	v_cvt_f32_f16 v43, v43;
	;;#ASMEND
	;;#ASMSTART
	v_cvt_f32_f16 v26, v26;
	;;#ASMEND
	;;#ASMSTART
	v_cvt_f32_f16 v25, v25;
	;;#ASMEND
	ds_read_b32 v44, v14 offset:4
	v_or_b32_e32 v28, v27, v28
	v_fma_mixlo_f16 v28, v24, v28, 0 op_sel_hi:[0,1,0]
	v_fma_mixlo_f16 v27, v24, v27, 0 op_sel:[0,1,0] op_sel_hi:[0,1,0]
	v_and_b32_e32 v28, 0xffff, v28
	s_waitcnt lgkmcnt(0)
	v_lshrrev_b32_e32 v45, 16, v44
	v_and_b32_e32 v44, 0xffff, v44
	v_and_b32_e32 v27, 0xffff, v27
	;;#ASMSTART
	v_cvt_f32_f16 v44, v44;
	;;#ASMEND
	;;#ASMSTART
	v_cvt_f32_f16 v45, v45;
	;;#ASMEND
	;;#ASMSTART
	v_cvt_f32_f16 v28, v28;
	;;#ASMEND
	;;#ASMSTART
	v_cvt_f32_f16 v27, v27;
	;;#ASMEND
	ds_read_b32 v46, v14 offset:8
	;; [unrolled: 21-line block ×5, first 2 shown]
	v_or_b32_e32 v40, v39, v40
	v_or_b32_e32 v38, v37, v38
	;; [unrolled: 1-line block ×4, first 2 shown]
	v_fma_mixlo_f16 v40, v24, v40, 0 op_sel_hi:[0,1,0]
	v_fma_mixlo_f16 v39, v24, v39, 0 op_sel:[0,1,0] op_sel_hi:[0,1,0]
	v_fma_mixlo_f16 v38, v24, v38, 0 op_sel_hi:[0,1,0]
	v_fma_mixlo_f16 v37, v24, v37, 0 op_sel:[0,1,0] op_sel_hi:[0,1,0]
	;; [unrolled: 2-line block ×4, first 2 shown]
	v_mul_f32_e32 v24, v44, v28
	v_fmac_f32_e32 v24, v41, v26
	s_waitcnt lgkmcnt(0)
	v_lshrrev_b32_e32 v28, 16, v52
	v_and_b32_e32 v26, 0xffff, v52
	v_and_b32_e32 v36, 0xffff, v36
	;; [unrolled: 1-line block ×3, first 2 shown]
	;;#ASMSTART
	v_cvt_f32_f16 v26, v26;
	;;#ASMEND
	;;#ASMSTART
	v_cvt_f32_f16 v28, v28;
	;;#ASMEND
	;; [unrolled: 3-line block ×4, first 2 shown]
	ds_read_b32 v41, v14 offset:24
	v_mul_f32_e32 v27, v45, v27
	v_fmac_f32_e32 v27, v43, v25
	v_fmac_f32_e32 v24, v46, v30
	;; [unrolled: 1-line block ×3, first 2 shown]
	s_waitcnt lgkmcnt(0)
	v_lshrrev_b32_e32 v29, 16, v41
	v_and_b32_e32 v25, 0xffff, v41
	v_and_b32_e32 v30, 0xffff, v38
	;; [unrolled: 1-line block ×3, first 2 shown]
	;;#ASMSTART
	v_cvt_f32_f16 v25, v25;
	;;#ASMEND
	;;#ASMSTART
	v_cvt_f32_f16 v29, v29;
	;;#ASMEND
	;; [unrolled: 3-line block ×4, first 2 shown]
	ds_read_b32 v38, v14 offset:28
	v_fmac_f32_e32 v24, v48, v32
	v_fmac_f32_e32 v27, v49, v31
	;; [unrolled: 1-line block ×4, first 2 shown]
	s_waitcnt lgkmcnt(0)
	v_lshrrev_b32_e32 v32, 16, v38
	v_and_b32_e32 v31, 0xffff, v38
	v_and_b32_e32 v33, 0xffff, v40
	;; [unrolled: 1-line block ×3, first 2 shown]
	;;#ASMSTART
	v_cvt_f32_f16 v31, v31;
	;;#ASMEND
	;;#ASMSTART
	v_cvt_f32_f16 v32, v32;
	;;#ASMEND
	;; [unrolled: 3-line block ×4, first 2 shown]
	ds_read_b32 v38, v14 offset:32
	v_fmac_f32_e32 v24, v26, v36
	v_fmac_f32_e32 v27, v28, v35
	;; [unrolled: 1-line block ×3, first 2 shown]
	v_and_b32_e32 v28, 0xffff, v42
	s_waitcnt lgkmcnt(0)
	v_lshrrev_b32_e32 v26, 16, v38
	v_and_b32_e32 v25, 0xffff, v38
	v_and_b32_e32 v1, 0xffff, v1
	v_fmac_f32_e32 v27, v29, v37
	;;#ASMSTART
	v_cvt_f32_f16 v25, v25;
	;;#ASMEND
	;;#ASMSTART
	v_cvt_f32_f16 v26, v26;
	;;#ASMEND
	;; [unrolled: 3-line block ×4, first 2 shown]
	ds_read_b32 v29, v14 offset:36
	v_fmac_f32_e32 v24, v31, v33
	v_fmac_f32_e32 v27, v32, v34
	;; [unrolled: 1-line block ×4, first 2 shown]
	s_waitcnt lgkmcnt(0)
	v_lshrrev_b32_e32 v25, 16, v29
	v_and_b32_e32 v1, 0xffff, v29
	v_and_b32_e32 v8, 0xffff, v8
	;; [unrolled: 1-line block ×3, first 2 shown]
	;;#ASMSTART
	v_cvt_f32_f16 v1, v1;
	;;#ASMEND
	;;#ASMSTART
	v_cvt_f32_f16 v25, v25;
	;;#ASMEND
	;; [unrolled: 3-line block ×4, first 2 shown]
	v_fmac_f32_e32 v27, v25, v7
	v_and_b32_e32 v7, 64, v22
	v_fmac_f32_e32 v24, v1, v8
	v_add_u32_e32 v7, 64, v7
	v_xor_b32_e32 v8, 2, v22
	v_cmp_lt_i32_e64 s[4:5], v8, v7
	v_cndmask_b32_e64 v8, v22, v8, s[4:5]
	v_add_f32_e32 v1, v24, v27
	v_lshlrev_b32_e32 v8, 2, v8
	ds_bpermute_b32 v8, v8, v1
	s_waitcnt lgkmcnt(0)
	v_add_f32_e32 v1, v1, v8
	v_xor_b32_e32 v8, 1, v22
	v_cmp_lt_i32_e64 s[4:5], v8, v7
	v_cndmask_b32_e64 v7, v22, v8, s[4:5]
	v_lshlrev_b32_e32 v7, 2, v7
	ds_bpermute_b32 v7, v7, v1
	s_and_saveexec_b64 s[40:41], vcc
	s_cbranch_execz .LBB238_11
; %bb.139:                              ;   in Loop: Header=BB238_13 Depth=1
	v_add_u32_e32 v8, v18, v17
	v_cvt_f32_i32_e32 v8, v8
	s_waitcnt lgkmcnt(0)
	v_add_f32_e32 v1, v1, v7
	v_add_u32_e32 v24, v13, v17
	v_cmp_gt_i32_e64 s[4:5], s33, v24
	v_mul_f32_e32 v7, s49, v8
	v_cndmask_b32_e64 v7, 0, v7, s[2:3]
	v_fmac_f32_e32 v7, s37, v1
	v_cndmask_b32_e64 v1, 0, v7, s[4:5]
	ds_write_b32 v19, v1
	v_max_f32_e32 v1, v16, v16
	v_max_f32_e32 v1, v1, v7
	v_cndmask_b32_e64 v16, v16, v1, s[4:5]
	s_branch .LBB238_11
.LBB238_140:
	s_or_b64 exec, exec, s[38:39]
.LBB238_141:
	s_or_b64 exec, exec, s[18:19]
	v_mbcnt_hi_u32_b32 v2, -1, v10
	v_and_b32_e32 v14, 64, v2
	v_add_u32_e32 v3, 64, v14
	v_xor_b32_e32 v1, 32, v2
	v_cmp_lt_i32_e32 vcc, v1, v3
	v_cndmask_b32_e32 v1, v2, v1, vcc
	v_lshlrev_b32_e32 v4, 2, v1
	ds_bpermute_b32 v1, v4, v16
	v_xor_b32_e32 v6, 16, v2
	v_max_f32_e32 v5, v16, v16
	v_cmp_lt_i32_e32 vcc, v6, v3
	s_waitcnt lgkmcnt(1)
	v_xor_b32_e32 v7, 8, v2
	s_waitcnt lgkmcnt(0)
	v_max_f32_e32 v1, v1, v1
	v_max_f32_e32 v1, v5, v1
	v_cndmask_b32_e32 v5, v2, v6, vcc
	v_lshlrev_b32_e32 v5, 2, v5
	ds_bpermute_b32 v6, v5, v1
	v_cmp_lt_i32_e32 vcc, v7, v3
	v_xor_b32_e32 v10, 4, v2
	s_waitcnt lgkmcnt(0)
	v_max_f32_e32 v6, v6, v6
	v_max_f32_e32 v1, v1, v6
	v_cndmask_b32_e32 v6, v2, v7, vcc
	v_lshlrev_b32_e32 v8, 2, v6
	ds_bpermute_b32 v6, v8, v1
	v_cmp_lt_i32_e32 vcc, v10, v3
	s_waitcnt lgkmcnt(0)
	v_max_f32_e32 v6, v6, v6
	v_max_f32_e32 v7, v1, v6
	v_cndmask_b32_e32 v1, v2, v10, vcc
	v_lshlrev_b32_e32 v10, 2, v1
	ds_bpermute_b32 v13, v10, v7
	v_and_b32_e32 v1, 63, v0
	v_cmp_eq_u32_e32 vcc, 0, v1
	v_lshlrev_b32_e32 v6, 2, v11
	s_and_saveexec_b64 s[2:3], vcc
	s_cbranch_execz .LBB238_143
; %bb.142:
	s_waitcnt lgkmcnt(0)
	v_max_f32_e32 v13, v13, v13
	v_max_f32_e32 v7, v7, v7
	;; [unrolled: 1-line block ×3, first 2 shown]
	ds_write_b32 v6, v7 offset:160
.LBB238_143:
	s_or_b64 exec, exec, s[2:3]
	v_cmp_gt_u32_e64 s[2:3], 2, v1
	v_mov_b32_e32 v15, 0xff7fffff
	v_lshlrev_b32_e32 v7, 2, v1
	s_waitcnt lgkmcnt(0)
	s_barrier
	s_and_saveexec_b64 s[4:5], s[2:3]
; %bb.144:
	ds_read_b32 v15, v7 offset:160
; %bb.145:
	s_or_b64 exec, exec, s[4:5]
	v_xor_b32_e32 v13, 1, v2
	v_cmp_lt_i32_e64 s[4:5], v13, v3
	v_cndmask_b32_e64 v13, v2, v13, s[4:5]
	v_lshlrev_b32_e32 v13, 2, v13
	s_waitcnt lgkmcnt(0)
	ds_bpermute_b32 v16, v13, v15
	v_max_f32_e32 v15, v15, v15
	v_lshlrev_b32_e32 v14, 2, v14
	s_lshl_b32 s4, s48, 4
	s_min_i32 s23, s4, s33
	s_waitcnt lgkmcnt(0)
	v_max_f32_e32 v16, v16, v16
	v_max_f32_e32 v15, v15, v16
	ds_bpermute_b32 v15, v14, v15
	v_cmp_gt_i32_e64 s[4:5], s23, v0
	v_mov_b32_e32 v14, 0
	s_and_saveexec_b64 s[12:13], s[4:5]
	s_cbranch_execz .LBB238_149
; %bb.146:
	v_mov_b32_e32 v14, 0xb0
	v_lshl_add_u32 v16, v0, 2, v14
	v_mov_b32_e32 v14, 0
	s_mov_b64 s[18:19], 0
	v_mov_b32_e32 v17, v0
.LBB238_147:                            ; =>This Inner Loop Header: Depth=1
	ds_read_b32 v18, v16
	v_add_u32_e32 v17, 0x80, v17
	v_cmp_le_i32_e64 s[6:7], s23, v17
	s_or_b64 s[18:19], s[6:7], s[18:19]
	s_waitcnt lgkmcnt(0)
	v_sub_f32_e32 v18, v18, v15
	v_mul_f32_e32 v18, 0x3fb8aa3b, v18
	v_exp_f32_e32 v18, v18
	ds_write_b32 v16, v18
	v_add_f32_e32 v14, v14, v18
	v_add_u32_e32 v16, 0x200, v16
	s_andn2_b64 exec, exec, s[18:19]
	s_cbranch_execnz .LBB238_147
; %bb.148:
	s_or_b64 exec, exec, s[18:19]
.LBB238_149:
	s_or_b64 exec, exec, s[12:13]
	ds_bpermute_b32 v4, v4, v14
	s_waitcnt lgkmcnt(0)
	v_add_f32_e32 v4, v14, v4
	ds_bpermute_b32 v5, v5, v4
	s_waitcnt lgkmcnt(0)
	v_add_f32_e32 v4, v4, v5
	ds_bpermute_b32 v5, v8, v4
	v_xor_b32_e32 v8, 2, v2
	v_cmp_lt_i32_e64 s[6:7], v8, v3
	v_cndmask_b32_e64 v3, v2, v8, s[6:7]
	v_lshlrev_b32_e32 v3, 2, v3
	s_waitcnt lgkmcnt(0)
	v_add_f32_e32 v4, v4, v5
	ds_bpermute_b32 v5, v10, v4
	s_waitcnt lgkmcnt(0)
	v_add_f32_e32 v4, v4, v5
	ds_bpermute_b32 v3, v3, v4
	;; [unrolled: 3-line block ×3, first 2 shown]
	s_waitcnt lgkmcnt(0)
	v_add_f32_e32 v3, v3, v4
	s_and_saveexec_b64 s[6:7], vcc
; %bb.150:
	ds_write_b32 v6, v3 offset:168
; %bb.151:
	s_or_b64 exec, exec, s[6:7]
	s_waitcnt lgkmcnt(0)
	s_barrier
	s_and_saveexec_b64 s[6:7], s[2:3]
; %bb.152:
	ds_read_b32 v3, v7 offset:168
; %bb.153:
	s_or_b64 exec, exec, s[6:7]
	s_waitcnt lgkmcnt(0)
	ds_bpermute_b32 v4, v13, v3
	v_lshlrev_b32_e32 v2, 2, v2
	v_and_b32_e32 v2, 0x100, v2
	s_waitcnt lgkmcnt(0)
	v_add_f32_e32 v3, v3, v4
	ds_bpermute_b32 v2, v2, v3
	s_and_saveexec_b64 s[2:3], s[4:5]
	s_cbranch_execz .LBB238_156
; %bb.154:
	s_waitcnt lgkmcnt(0)
	v_add_f32_e32 v3, 0x358637bd, v2
	v_div_scale_f32 v2, s[4:5], v3, v3, 1.0
	v_div_scale_f32 v4, vcc, 1.0, v3, 1.0
	s_mov_b64 s[4:5], 0
	v_rcp_f32_e32 v5, v2
	v_fma_f32 v6, -v2, v5, 1.0
	v_fmac_f32_e32 v5, v6, v5
	v_mul_f32_e32 v6, v4, v5
	v_fma_f32 v7, -v2, v6, v4
	v_fmac_f32_e32 v6, v7, v5
	v_fma_f32 v2, -v2, v6, v4
	v_div_fmas_f32 v4, v2, v5, v6
	v_mov_b32_e32 v2, 0xb0
	v_lshl_add_u32 v2, v0, 2, v2
	v_div_fixup_f32 v3, v4, v3, 1.0
	v_mov_b32_e32 v4, v0
.LBB238_155:                            ; =>This Inner Loop Header: Depth=1
	ds_read_b32 v5, v2
	v_add_u32_e32 v4, 0x80, v4
	v_cmp_le_i32_e32 vcc, s23, v4
	s_or_b64 s[4:5], vcc, s[4:5]
	s_waitcnt lgkmcnt(0)
	v_mul_f32_e32 v5, v3, v5
	ds_write_b32 v2, v5
	v_add_u32_e32 v2, 0x200, v2
	s_andn2_b64 exec, exec, s[4:5]
	s_cbranch_execnz .LBB238_155
.LBB238_156:
	s_or_b64 exec, exec, s[2:3]
	v_lshrrev_b32_e32 v14, 1, v1
	s_waitcnt lgkmcnt(0)
	s_barrier
	s_and_saveexec_b64 s[2:3], s[0:1]
	s_xor_b64 s[0:1], exec, s[2:3]
; %bb.157:
	v_lshrrev_b32_e32 v14, 1, v1
                                        ; implicit-def: $vgpr12
                                        ; implicit-def: $vgpr11
                                        ; implicit-def: $vgpr9
; %bb.158:
	s_or_saveexec_b64 s[4:5], s[0:1]
	v_mov_b32_e32 v17, 0
	v_and_b32_e32 v15, 1, v0
	v_mov_b32_e32 v18, 0
	v_mov_b32_e32 v19, 0
	s_xor_b64 exec, exec, s[4:5]
	s_cbranch_execz .LBB238_316
; %bb.159:
	s_sub_i32 s37, s16, s21
	s_ashr_i32 s0, s20, 31
	s_add_u32 s6, s34, s20
	s_addc_u32 s7, s35, s0
	s_abs_i32 s34, s22
	v_cvt_f32_u32_e32 v1, s34
	s_sub_i32 s1, 0, s34
	v_lshlrev_b32_e32 v3, 3, v0
	v_or_b32_e32 v4, 64, v14
	v_rcp_iflag_f32_e32 v1, v1
	s_movk_i32 s0, 0x50
	v_and_b32_e32 v16, 8, v3
	v_cmp_gt_u32_e32 vcc, s0, v4
	v_mul_f32_e32 v1, 0x4f7ffffe, v1
	v_cvt_u32_f32_e32 v1, v1
	s_add_i32 s38, s48, -1
	v_and_b32_e32 v6, 60, v9
	v_lshl_or_b32 v21, v4, 4, v16
	v_mul_lo_u32 v5, s1, v1
	s_lshl_b64 s[0:1], s[30:31], 2
	s_add_u32 s0, s28, s0
	s_addc_u32 s1, s29, s1
	v_mul_hi_u32 v3, v1, v5
	s_mov_b32 s12, -1
	s_mov_b32 s35, s17
	s_mov_b32 s13, 0xffffff
	v_add_u32_e32 v22, v1, v3
	v_mov_b32_e32 v1, s1
	v_add_co_u32_e64 v3, s[0:1], s0, v6
	v_addc_co_u32_e64 v4, s[0:1], 0, v1, s[0:1]
	v_lshlrev_b32_e32 v1, 5, v15
	v_lshl_or_b32 v1, v11, 6, v1
	v_mov_b32_e32 v2, 0
	v_lshl_or_b32 v20, v14, 4, v16
	v_add_u32_e32 v23, 0xb0, v1
	s_mov_b64 s[16:17], 0
	s_movk_i32 s39, 0x80
	s_movk_i32 s40, 0x7f
	s_mov_b32 s41, 0x8000
	v_mov_b32_e32 v24, 0x2000
	v_mov_b32_e32 v19, 0
	;; [unrolled: 1-line block ×4, first 2 shown]
	s_branch .LBB238_163
.LBB238_160:                            ;   in Loop: Header=BB238_163 Depth=1
	s_or_b64 exec, exec, s[2:3]
	;;#ASMSTART
	v_pk_mul_f16 v5, v29, v5;

	;;#ASMEND
	;;#ASMSTART
	v_pk_mul_f16 v1, v28, v1;

	;;#ASMEND
	;;#ASMSTART
	v_pk_mul_f16 v6, v27, v31;

	;;#ASMEND
	;;#ASMSTART
	v_pk_mul_f16 v9, v26, v35;

	;;#ASMEND
	;;#ASMSTART
	v_pk_add_f16 v1, v5, v1;

	;;#ASMEND
	;;#ASMSTART
	v_pk_add_f16 v1, v1, v6;

	;;#ASMEND
	;; [unrolled: 4-line block ×3, first 2 shown]
	v_lshrrev_b32_e32 v5, 16, v1
	v_and_b32_e32 v1, 0xffff, v1
	;;#ASMSTART
	v_cvt_f32_f16 v1, v1;
	;;#ASMEND
	;;#ASMSTART
	v_cvt_f32_f16 v5, v5;
	;;#ASMEND
	v_add_f32_e32 v1, v1, v5
	v_add_f32_e32 v19, v19, v1
.LBB238_161:                            ;   in Loop: Header=BB238_163 Depth=1
	s_or_b64 exec, exec, s[20:21]
	v_add_f32_e32 v1, v10, v25
	v_add_f32_e32 v17, v17, v1
	;; [unrolled: 1-line block ×4, first 2 shown]
.LBB238_162:                            ;   in Loop: Header=BB238_163 Depth=1
	s_or_b64 exec, exec, s[18:19]
	v_add_co_u32_e64 v3, s[0:1], 8, v3
	v_add_u32_e32 v11, 2, v11
	v_addc_co_u32_e64 v4, s[0:1], 0, v4, s[0:1]
	v_cmp_le_i32_e64 s[0:1], s48, v11
	v_add_u32_e32 v12, 32, v12
	s_or_b64 s[16:17], s[0:1], s[16:17]
	v_add_u32_e32 v23, 0x80, v23
	s_andn2_b64 exec, exec, s[16:17]
	s_cbranch_execz .LBB238_315
.LBB238_163:                            ; =>This Inner Loop Header: Depth=1
	v_mul_hi_u32 v1, v12, s46
	v_mul_lo_u32 v5, v1, s25
	v_add_u32_e32 v6, 1, v1
	v_sub_u32_e32 v5, v12, v5
	v_cmp_le_u32_e64 s[0:1], s25, v5
	v_cndmask_b32_e64 v1, v1, v6, s[0:1]
	v_subrev_u32_e32 v6, s25, v5
	v_cndmask_b32_e64 v5, v5, v6, s[0:1]
	v_add_u32_e32 v6, 1, v1
	v_cmp_le_u32_e64 s[0:1], s25, v5
	v_cndmask_b32_e64 v1, v1, v6, s[0:1]
	v_xor_b32_e32 v1, s47, v1
	v_subrev_u32_e32 v1, s47, v1
	v_add_u32_e32 v5, s36, v1
	v_sub_u32_e32 v6, 0, v5
	v_max_i32_e32 v6, v5, v6
	v_mul_hi_u32 v7, v6, v22
	v_ashrrev_i32_e32 v5, 31, v5
	v_cmp_lt_i32_e64 s[2:3], s37, v1
	v_mul_lo_u32 v7, v7, s34
	v_sub_u32_e32 v6, v6, v7
	v_subrev_u32_e32 v7, s34, v6
	v_cmp_le_u32_e64 s[0:1], s34, v6
	v_cndmask_b32_e64 v6, v6, v7, s[0:1]
	v_subrev_u32_e32 v7, s34, v6
	v_cmp_le_u32_e64 s[0:1], s34, v6
	v_cndmask_b32_e64 v6, v6, v7, s[0:1]
	v_xor_b32_e32 v6, v6, v5
	v_sub_u32_e32 v5, v6, v5
	v_cmp_eq_u32_e64 s[0:1], 0, v5
	s_or_b64 s[0:1], s[0:1], s[2:3]
	s_and_saveexec_b64 s[18:19], s[0:1]
	s_cbranch_execz .LBB238_162
; %bb.164:                              ;   in Loop: Header=BB238_163 Depth=1
	global_load_dword v1, v[3:4], off
	ds_read2_b64 v[5:8], v23 offset1:1
	ds_read2_b64 v[30:33], v23 offset0:2 offset1:3
	v_mov_b32_e32 v10, s7
	v_mov_b32_e32 v9, s6
	s_waitcnt lgkmcnt(1)
	;;#ASMSTART
	v_cvt_f16_f32 v25, v5;

	;;#ASMEND
	;;#ASMSTART
	v_cvt_f16_f32 v26, v6;

	;;#ASMEND
	;; [unrolled: 4-line block ×4, first 2 shown]
	s_waitcnt lgkmcnt(0)
	;;#ASMSTART
	v_cvt_f16_f32 v30, v30;

	;;#ASMEND
	;;#ASMSTART
	v_cvt_f16_f32 v31, v31;

	;;#ASMEND
	;; [unrolled: 4-line block ×4, first 2 shown]
	v_mov_b32_e32 v34, 0
	global_load_dword v29, v34, s[14:15]
	v_mov_b32_e32 v35, 0
	s_waitcnt vmcnt(1)
	v_mad_i64_i32 v[5:6], s[0:1], v1, s35, v[9:10]
	v_add_co_u32_e64 v7, s[0:1], v5, v20
	v_addc_co_u32_e64 v8, s[0:1], 0, v6, s[0:1]
	global_load_dwordx2 v[9:10], v[7:8], off
	s_waitcnt vmcnt(0)
	v_cmp_ne_u16_sdwa s[0:1], v9, v2 src0_sel:BYTE_0 src1_sel:DWORD
	s_and_saveexec_b64 s[2:3], s[0:1]
	s_cbranch_execz .LBB238_170
; %bb.165:                              ;   in Loop: Header=BB238_163 Depth=1
	v_cmp_ne_u16_sdwa s[0:1], v9, s39 src0_sel:BYTE_0 src1_sel:DWORD
	v_mov_b32_e32 v35, 0x8000
	s_and_saveexec_b64 s[20:21], s[0:1]
	s_cbranch_execz .LBB238_169
; %bb.166:                              ;   in Loop: Header=BB238_163 Depth=1
	v_and_b32_e32 v1, 0x7f, v9
	v_cmp_ne_u32_e64 s[0:1], s40, v1
	v_mov_b32_e32 v35, 0x7c01
	s_and_saveexec_b64 s[22:23], s[0:1]
	s_cbranch_execz .LBB238_168
; %bb.167:                              ;   in Loop: Header=BB238_163 Depth=1
	v_and_b32_e32 v37, 7, v9
	v_ffbh_u32_e32 v35, v37
	v_min_u32_e32 v39, 32, v35
	v_subrev_u32_e32 v35, 28, v39
	v_lshlrev_b64 v[35:36], v35, v[9:10]
	v_lshrrev_b32_e32 v38, 3, v1
	v_sub_u32_e32 v36, 29, v39
	v_cmp_gt_u32_e64 s[0:1], 8, v1
	v_cndmask_b32_e64 v1, v38, v36, s[0:1]
	v_lshl_add_u32 v1, v1, 10, v24
	v_lshlrev_b32_e32 v36, 8, v9
	v_and_b32_e32 v35, 7, v35
	v_and_b32_e32 v1, 0xfc00, v1
	v_cndmask_b32_e64 v35, v37, v35, s[0:1]
	v_and_or_b32 v1, v36, s41, v1
	v_lshl_or_b32 v35, v35, 7, v1
.LBB238_168:                            ;   in Loop: Header=BB238_163 Depth=1
	s_or_b64 exec, exec, s[22:23]
.LBB238_169:                            ;   in Loop: Header=BB238_163 Depth=1
	s_or_b64 exec, exec, s[20:21]
.LBB238_170:                            ;   in Loop: Header=BB238_163 Depth=1
	s_or_b64 exec, exec, s[2:3]
	v_lshrrev_b16_e32 v1, 8, v9
	v_cmp_ne_u16_e64 s[0:1], 0, v1
	s_and_saveexec_b64 s[2:3], s[0:1]
	s_cbranch_execz .LBB238_176
; %bb.171:                              ;   in Loop: Header=BB238_163 Depth=1
	v_cmp_ne_u16_e64 s[0:1], s39, v1
	v_bfrev_b32_e32 v34, 1
	s_and_saveexec_b64 s[20:21], s[0:1]
	s_cbranch_execz .LBB238_175
; %bb.172:                              ;   in Loop: Header=BB238_163 Depth=1
	v_and_b32_e32 v36, 0x7f, v1
	v_cmp_ne_u32_e64 s[0:1], s40, v36
	v_mov_b32_e32 v34, 0x7c010000
	s_and_saveexec_b64 s[22:23], s[0:1]
	s_cbranch_execz .LBB238_174
; %bb.173:                              ;   in Loop: Header=BB238_163 Depth=1
	v_and_b32_e32 v34, 7, v1
	v_ffbh_u32_e32 v37, v34
	v_min_u32_e32 v40, 32, v37
	v_subrev_u32_e32 v37, 28, v40
	v_lshlrev_b64 v[37:38], v37, v[1:2]
	v_lshrrev_b32_e32 v39, 3, v36
	v_sub_u32_e32 v38, 29, v40
	v_cmp_gt_u32_e64 s[0:1], 8, v36
	v_cndmask_b32_e64 v36, v39, v38, s[0:1]
	v_lshlrev_b32_e32 v1, 8, v1
	v_lshl_add_u32 v36, v36, 10, v24
	v_and_b32_e32 v37, 7, v37
	v_and_or_b32 v1, v1, s41, v36
	v_cndmask_b32_e64 v34, v34, v37, s[0:1]
	v_lshlrev_b32_e32 v1, 16, v1
	v_lshl_or_b32 v34, v34, 23, v1
.LBB238_174:                            ;   in Loop: Header=BB238_163 Depth=1
	s_or_b64 exec, exec, s[22:23]
.LBB238_175:                            ;   in Loop: Header=BB238_163 Depth=1
	s_or_b64 exec, exec, s[20:21]
.LBB238_176:                            ;   in Loop: Header=BB238_163 Depth=1
	s_or_b64 exec, exec, s[2:3]
	v_lshrrev_b32_e32 v1, 16, v9
	v_cmp_ne_u16_sdwa s[0:1], v1, v2 src0_sel:BYTE_0 src1_sel:DWORD
	v_mov_b32_e32 v36, 0
	v_mov_b32_e32 v37, 0
	s_and_saveexec_b64 s[2:3], s[0:1]
	s_cbranch_execz .LBB238_182
; %bb.177:                              ;   in Loop: Header=BB238_163 Depth=1
	v_cmp_ne_u16_sdwa s[0:1], v1, s39 src0_sel:BYTE_0 src1_sel:DWORD
	v_mov_b32_e32 v37, 0x8000
	s_and_saveexec_b64 s[20:21], s[0:1]
	s_cbranch_execz .LBB238_181
; %bb.178:                              ;   in Loop: Header=BB238_163 Depth=1
	v_bfe_u32 v38, v9, 16, 7
	v_cmp_ne_u32_e64 s[0:1], s40, v38
	v_mov_b32_e32 v37, 0x7c01
	s_and_saveexec_b64 s[22:23], s[0:1]
	s_cbranch_execz .LBB238_180
; %bb.179:                              ;   in Loop: Header=BB238_163 Depth=1
	v_and_b32_e32 v37, 7, v1
	v_ffbh_u32_e32 v39, v37
	v_min_u32_e32 v42, 32, v39
	v_subrev_u32_e32 v39, 28, v42
	v_lshlrev_b64 v[39:40], v39, v[1:2]
	v_lshrrev_b32_e32 v41, 3, v38
	v_sub_u32_e32 v40, 29, v42
	v_cmp_gt_u32_e64 s[0:1], 8, v38
	v_cndmask_b32_e64 v38, v41, v40, s[0:1]
	v_lshl_add_u32 v38, v38, 10, v24
	v_lshlrev_b32_e32 v1, 8, v1
	v_and_b32_e32 v39, 7, v39
	v_and_b32_e32 v38, 0xfc00, v38
	v_cndmask_b32_e64 v37, v37, v39, s[0:1]
	v_and_or_b32 v1, v1, s41, v38
	v_lshl_or_b32 v37, v37, 7, v1
.LBB238_180:                            ;   in Loop: Header=BB238_163 Depth=1
	s_or_b64 exec, exec, s[22:23]
.LBB238_181:                            ;   in Loop: Header=BB238_163 Depth=1
	s_or_b64 exec, exec, s[20:21]
.LBB238_182:                            ;   in Loop: Header=BB238_163 Depth=1
	s_or_b64 exec, exec, s[2:3]
	v_cmp_lt_u32_e64 s[0:1], s13, v9
	s_and_saveexec_b64 s[2:3], s[0:1]
	s_cbranch_execz .LBB238_188
; %bb.183:                              ;   in Loop: Header=BB238_163 Depth=1
	v_lshrrev_b32_e32 v1, 24, v9
	v_cmp_ne_u32_e64 s[0:1], s39, v1
	v_bfrev_b32_e32 v36, 1
	s_and_saveexec_b64 s[20:21], s[0:1]
	s_cbranch_execz .LBB238_187
; %bb.184:                              ;   in Loop: Header=BB238_163 Depth=1
	v_and_b32_e32 v38, 0x7f, v1
	v_cmp_ne_u32_e64 s[0:1], s40, v38
	v_mov_b32_e32 v36, 0x7c010000
	s_and_saveexec_b64 s[22:23], s[0:1]
	s_cbranch_execz .LBB238_186
; %bb.185:                              ;   in Loop: Header=BB238_163 Depth=1
	v_and_b32_e32 v36, 7, v1
	v_ffbh_u32_e32 v39, v36
	v_min_u32_e32 v42, 32, v39
	v_subrev_u32_e32 v39, 28, v42
	v_lshlrev_b64 v[39:40], v39, v[1:2]
	v_lshrrev_b32_e32 v41, 3, v38
	v_sub_u32_e32 v40, 29, v42
	v_cmp_gt_u32_e64 s[0:1], 8, v38
	v_cndmask_b32_e64 v38, v41, v40, s[0:1]
	v_lshlrev_b32_e32 v1, 8, v1
	v_lshl_add_u32 v38, v38, 10, v24
	v_and_b32_e32 v39, 7, v39
	v_and_or_b32 v1, v1, s41, v38
	v_cndmask_b32_e64 v36, v36, v39, s[0:1]
	v_lshlrev_b32_e32 v1, 16, v1
	v_lshl_or_b32 v36, v36, 23, v1
.LBB238_186:                            ;   in Loop: Header=BB238_163 Depth=1
	s_or_b64 exec, exec, s[22:23]
.LBB238_187:                            ;   in Loop: Header=BB238_163 Depth=1
	s_or_b64 exec, exec, s[20:21]
.LBB238_188:                            ;   in Loop: Header=BB238_163 Depth=1
	s_or_b64 exec, exec, s[2:3]
	v_mov_b32_e32 v1, v10
	v_cmp_ne_u16_sdwa s[0:1], v10, v2 src0_sel:BYTE_0 src1_sel:DWORD
	v_mov_b32_e32 v38, 0
	v_mov_b32_e32 v39, 0
	s_and_saveexec_b64 s[2:3], s[0:1]
	s_cbranch_execz .LBB238_194
; %bb.189:                              ;   in Loop: Header=BB238_163 Depth=1
	v_cmp_ne_u16_sdwa s[0:1], v10, s39 src0_sel:BYTE_0 src1_sel:DWORD
	v_mov_b32_e32 v39, 0x8000
	s_and_saveexec_b64 s[20:21], s[0:1]
	s_cbranch_execz .LBB238_193
; %bb.190:                              ;   in Loop: Header=BB238_163 Depth=1
	v_and_b32_e32 v40, 0x7f, v10
	v_cmp_ne_u32_e64 s[0:1], s40, v40
	v_mov_b32_e32 v39, 0x7c01
	s_and_saveexec_b64 s[22:23], s[0:1]
	s_cbranch_execz .LBB238_192
; %bb.191:                              ;   in Loop: Header=BB238_163 Depth=1
	v_and_b32_e32 v39, 7, v10
	v_ffbh_u32_e32 v41, v39
	v_min_u32_e32 v44, 32, v41
	v_subrev_u32_e32 v41, 28, v44
	v_lshlrev_b64 v[41:42], v41, v[1:2]
	v_lshrrev_b32_e32 v43, 3, v40
	v_sub_u32_e32 v42, 29, v44
	v_cmp_gt_u32_e64 s[0:1], 8, v40
	v_cndmask_b32_e64 v40, v43, v42, s[0:1]
	v_lshl_add_u32 v40, v40, 10, v24
	v_lshlrev_b32_e32 v42, 8, v10
	v_and_b32_e32 v41, 7, v41
	v_and_b32_e32 v40, 0xfc00, v40
	v_cndmask_b32_e64 v39, v39, v41, s[0:1]
	v_and_or_b32 v40, v42, s41, v40
	v_lshl_or_b32 v39, v39, 7, v40
.LBB238_192:                            ;   in Loop: Header=BB238_163 Depth=1
	s_or_b64 exec, exec, s[22:23]
.LBB238_193:                            ;   in Loop: Header=BB238_163 Depth=1
	s_or_b64 exec, exec, s[20:21]
.LBB238_194:                            ;   in Loop: Header=BB238_163 Depth=1
	s_or_b64 exec, exec, s[2:3]
	v_lshrrev_b16_e32 v1, 8, v1
	v_cmp_ne_u16_e64 s[0:1], 0, v1
	v_mov_b32_e32 v40, 0
	s_and_saveexec_b64 s[2:3], s[0:1]
	s_cbranch_execz .LBB238_200
; %bb.195:                              ;   in Loop: Header=BB238_163 Depth=1
	v_cmp_ne_u16_e64 s[0:1], s39, v1
	v_bfrev_b32_e32 v40, 1
	s_and_saveexec_b64 s[20:21], s[0:1]
	s_cbranch_execz .LBB238_199
; %bb.196:                              ;   in Loop: Header=BB238_163 Depth=1
	v_and_b32_e32 v41, 0x7f, v1
	v_cmp_ne_u32_e64 s[0:1], s40, v41
	v_mov_b32_e32 v40, 0x7c010000
	s_and_saveexec_b64 s[22:23], s[0:1]
	s_cbranch_execz .LBB238_198
; %bb.197:                              ;   in Loop: Header=BB238_163 Depth=1
	v_and_b32_e32 v40, 7, v1
	v_ffbh_u32_e32 v42, v40
	v_min_u32_e32 v45, 32, v42
	v_subrev_u32_e32 v42, 28, v45
	v_lshlrev_b64 v[42:43], v42, v[1:2]
	v_lshrrev_b32_e32 v44, 3, v41
	v_sub_u32_e32 v43, 29, v45
	v_cmp_gt_u32_e64 s[0:1], 8, v41
	v_cndmask_b32_e64 v41, v44, v43, s[0:1]
	v_lshlrev_b32_e32 v1, 8, v1
	v_lshl_add_u32 v41, v41, 10, v24
	v_and_b32_e32 v42, 7, v42
	v_and_or_b32 v1, v1, s41, v41
	v_cndmask_b32_e64 v40, v40, v42, s[0:1]
	v_lshlrev_b32_e32 v1, 16, v1
	v_lshl_or_b32 v40, v40, 23, v1
.LBB238_198:                            ;   in Loop: Header=BB238_163 Depth=1
	s_or_b64 exec, exec, s[22:23]
.LBB238_199:                            ;   in Loop: Header=BB238_163 Depth=1
	s_or_b64 exec, exec, s[20:21]
.LBB238_200:                            ;   in Loop: Header=BB238_163 Depth=1
	s_or_b64 exec, exec, s[2:3]
	v_lshrrev_b32_e32 v1, 16, v10
	v_cmp_ne_u16_sdwa s[0:1], v1, v2 src0_sel:BYTE_0 src1_sel:DWORD
	s_and_saveexec_b64 s[2:3], s[0:1]
	s_cbranch_execz .LBB238_206
; %bb.201:                              ;   in Loop: Header=BB238_163 Depth=1
	v_cmp_ne_u16_sdwa s[0:1], v1, s39 src0_sel:BYTE_0 src1_sel:DWORD
	v_mov_b32_e32 v38, 0x8000
	s_and_saveexec_b64 s[20:21], s[0:1]
	s_cbranch_execz .LBB238_205
; %bb.202:                              ;   in Loop: Header=BB238_163 Depth=1
	v_bfe_u32 v41, v10, 16, 7
	v_cmp_ne_u32_e64 s[0:1], s40, v41
	v_mov_b32_e32 v38, 0x7c01
	s_and_saveexec_b64 s[22:23], s[0:1]
	s_cbranch_execz .LBB238_204
; %bb.203:                              ;   in Loop: Header=BB238_163 Depth=1
	v_and_b32_e32 v38, 7, v1
	v_ffbh_u32_e32 v42, v38
	v_min_u32_e32 v45, 32, v42
	v_subrev_u32_e32 v42, 28, v45
	v_lshlrev_b64 v[42:43], v42, v[1:2]
	v_lshrrev_b32_e32 v44, 3, v41
	v_sub_u32_e32 v43, 29, v45
	v_cmp_gt_u32_e64 s[0:1], 8, v41
	v_cndmask_b32_e64 v41, v44, v43, s[0:1]
	v_lshl_add_u32 v41, v41, 10, v24
	v_lshlrev_b32_e32 v1, 8, v1
	v_and_b32_e32 v42, 7, v42
	v_and_b32_e32 v41, 0xfc00, v41
	v_cndmask_b32_e64 v38, v38, v42, s[0:1]
	v_and_or_b32 v1, v1, s41, v41
	v_lshl_or_b32 v38, v38, 7, v1
.LBB238_204:                            ;   in Loop: Header=BB238_163 Depth=1
	s_or_b64 exec, exec, s[22:23]
.LBB238_205:                            ;   in Loop: Header=BB238_163 Depth=1
	s_or_b64 exec, exec, s[20:21]
.LBB238_206:                            ;   in Loop: Header=BB238_163 Depth=1
	s_or_b64 exec, exec, s[2:3]
	v_cmp_lt_u64_e64 s[0:1], s[12:13], v[9:10]
	v_mov_b32_e32 v41, 0
	s_and_saveexec_b64 s[2:3], s[0:1]
	s_cbranch_execz .LBB238_212
; %bb.207:                              ;   in Loop: Header=BB238_163 Depth=1
	v_lshrrev_b32_e32 v1, 24, v10
	v_cmp_ne_u32_e64 s[0:1], s39, v1
	v_bfrev_b32_e32 v41, 1
	s_and_saveexec_b64 s[20:21], s[0:1]
	s_cbranch_execz .LBB238_211
; %bb.208:                              ;   in Loop: Header=BB238_163 Depth=1
	v_and_b32_e32 v9, 0x7f, v1
	v_cmp_ne_u32_e64 s[0:1], s40, v9
	v_mov_b32_e32 v41, 0x7c010000
	s_and_saveexec_b64 s[22:23], s[0:1]
	s_cbranch_execz .LBB238_210
; %bb.209:                              ;   in Loop: Header=BB238_163 Depth=1
	v_and_b32_e32 v10, 7, v1
	v_ffbh_u32_e32 v41, v10
	v_min_u32_e32 v44, 32, v41
	v_subrev_u32_e32 v41, 28, v44
	v_lshlrev_b64 v[41:42], v41, v[1:2]
	v_lshrrev_b32_e32 v43, 3, v9
	v_sub_u32_e32 v42, 29, v44
	v_cmp_gt_u32_e64 s[0:1], 8, v9
	v_cndmask_b32_e64 v9, v43, v42, s[0:1]
	v_lshlrev_b32_e32 v1, 8, v1
	v_lshl_add_u32 v9, v9, 10, v24
	v_and_b32_e32 v41, 7, v41
	v_and_or_b32 v1, v1, s41, v9
	v_cndmask_b32_e64 v10, v10, v41, s[0:1]
	v_lshlrev_b32_e32 v1, 16, v1
	v_lshl_or_b32 v41, v10, 23, v1
.LBB238_210:                            ;   in Loop: Header=BB238_163 Depth=1
	s_or_b64 exec, exec, s[22:23]
.LBB238_211:                            ;   in Loop: Header=BB238_163 Depth=1
	s_or_b64 exec, exec, s[20:21]
.LBB238_212:                            ;   in Loop: Header=BB238_163 Depth=1
	s_or_b64 exec, exec, s[2:3]
	v_fma_mixlo_f16 v10, v29, v36, 0 op_sel:[0,1,0] op_sel_hi:[0,1,0]
	v_or_b32_e32 v1, v36, v37
	v_lshlrev_b32_e32 v36, 16, v10
	v_or_b32_e32 v10, v34, v35
	v_fma_mixlo_f16 v34, v29, v34, 0 op_sel:[0,1,0] op_sel_hi:[0,1,0]
	v_lshlrev_b32_e32 v42, 16, v34
	v_or_b32_e32 v34, v40, v39
	v_or_b32_e32 v38, v41, v38
	v_fma_mixlo_f16 v1, v29, v1, 0 op_sel_hi:[0,1,0]
	v_fma_mixlo_f16 v10, v29, v10, 0 op_sel_hi:[0,1,0]
	v_fma_mixlo_f16 v35, v29, v40, 0 op_sel:[0,1,0] op_sel_hi:[0,1,0]
	v_fma_mixlo_f16 v34, v29, v34, 0 op_sel_hi:[0,1,0]
	v_fma_mixlo_f16 v38, v29, v38, 0 op_sel_hi:[0,1,0]
	v_fma_mixlo_f16 v29, v29, v41, 0 op_sel:[0,1,0] op_sel_hi:[0,1,0]
	v_and_b32_e32 v37, 0xffff, v1
	v_and_b32_e32 v43, 0xffff, v10
	v_lshlrev_b32_e32 v35, 16, v35
	v_and_b32_e32 v39, 0xffff, v34
	v_lshlrev_b32_e32 v29, 16, v29
	v_and_b32_e32 v38, 0xffff, v38
	v_add_u32_e32 v9, v16, v12
	v_cmp_eq_u32_e64 s[0:1], s38, v11
	v_or_b32_e32 v1, v36, v37
	v_or_b32_e32 v10, v42, v43
	;; [unrolled: 1-line block ×4, first 2 shown]
	s_and_saveexec_b64 s[20:21], s[0:1]
	s_cbranch_execz .LBB238_214
; %bb.213:                              ;   in Loop: Header=BB238_163 Depth=1
	v_cmp_gt_i32_e64 s[2:3], s33, v9
	v_add_u32_e32 v10, 1, v9
	v_cndmask_b32_e64 v1, 0, v43, s[2:3]
	v_cmp_gt_i32_e64 s[2:3], s33, v10
	v_cndmask_b32_e64 v10, 0, v42, s[2:3]
	v_or_b32_e32 v10, v10, v1
	v_add_u32_e32 v1, 2, v9
	v_cmp_gt_i32_e64 s[2:3], s33, v1
	v_add_u32_e32 v34, 3, v9
	v_cndmask_b32_e64 v1, 0, v37, s[2:3]
	v_cmp_gt_i32_e64 s[2:3], s33, v34
	v_cndmask_b32_e64 v34, 0, v36, s[2:3]
	v_or_b32_e32 v1, v34, v1
	v_add_u32_e32 v34, 4, v9
	;; [unrolled: 7-line block ×3, first 2 shown]
	v_cmp_gt_i32_e64 s[2:3], s33, v35
	v_add_u32_e32 v36, 7, v9
	v_cndmask_b32_e64 v35, 0, v38, s[2:3]
	v_cmp_gt_i32_e64 s[2:3], s33, v36
	v_cndmask_b32_e64 v29, 0, v29, s[2:3]
	v_or_b32_e32 v40, v29, v35
.LBB238_214:                            ;   in Loop: Header=BB238_163 Depth=1
	s_or_b64 exec, exec, s[20:21]
	v_and_b32_e32 v25, 0xffff, v25
	v_lshl_or_b32 v29, v26, 16, v25
	v_and_b32_e32 v25, 0xffff, v27
	v_lshl_or_b32 v28, v28, 16, v25
	;; [unrolled: 2-line block ×3, first 2 shown]
	v_and_b32_e32 v25, 0xffff, v32
	;;#ASMSTART
	v_pk_mul_f16 v10, v29, v10;

	;;#ASMEND
	;;#ASMSTART
	v_pk_mul_f16 v1, v28, v1;

	;;#ASMEND
	v_lshl_or_b32 v26, v33, 16, v25
	;;#ASMSTART
	v_pk_mul_f16 v25, v27, v34;

	;;#ASMEND
	;;#ASMSTART
	v_pk_mul_f16 v30, v26, v40;

	;;#ASMEND
	;;#ASMSTART
	v_pk_add_f16 v1, v10, v1;

	;;#ASMEND
	;;#ASMSTART
	v_pk_add_f16 v1, v1, v25;
	;; [unrolled: 4-line block ×3, first 2 shown]

	;;#ASMEND
	v_lshrrev_b32_e32 v25, 16, v1
	v_and_b32_e32 v1, 0xffff, v1
	;;#ASMSTART
	v_cvt_f32_f16 v10, v1;
	;;#ASMEND
	;;#ASMSTART
	v_cvt_f32_f16 v25, v25;
	;;#ASMEND
	global_load_dwordx2 v[7:8], v[7:8], off offset:512
	v_mov_b32_e32 v31, 0
	global_load_dword v30, v31, s[14:15]
	v_mov_b32_e32 v32, 0
	s_waitcnt vmcnt(1)
	v_cmp_ne_u16_sdwa s[2:3], v7, v2 src0_sel:BYTE_0 src1_sel:DWORD
	s_and_saveexec_b64 s[20:21], s[2:3]
	s_cbranch_execz .LBB238_220
; %bb.215:                              ;   in Loop: Header=BB238_163 Depth=1
	v_cmp_ne_u16_sdwa s[2:3], v7, s39 src0_sel:BYTE_0 src1_sel:DWORD
	v_mov_b32_e32 v32, 0x8000
	s_and_saveexec_b64 s[22:23], s[2:3]
	s_cbranch_execz .LBB238_219
; %bb.216:                              ;   in Loop: Header=BB238_163 Depth=1
	v_and_b32_e32 v1, 0x7f, v7
	v_cmp_ne_u32_e64 s[2:3], s40, v1
	v_mov_b32_e32 v32, 0x7c01
	s_and_saveexec_b64 s[28:29], s[2:3]
	s_cbranch_execz .LBB238_218
; %bb.217:                              ;   in Loop: Header=BB238_163 Depth=1
	v_and_b32_e32 v34, 7, v7
	v_ffbh_u32_e32 v32, v34
	v_min_u32_e32 v36, 32, v32
	v_subrev_u32_e32 v32, 28, v36
	v_lshlrev_b64 v[32:33], v32, v[7:8]
	v_lshrrev_b32_e32 v35, 3, v1
	v_sub_u32_e32 v33, 29, v36
	v_cmp_gt_u32_e64 s[2:3], 8, v1
	v_cndmask_b32_e64 v1, v35, v33, s[2:3]
	v_lshl_add_u32 v1, v1, 10, v24
	v_lshlrev_b32_e32 v33, 8, v7
	v_and_b32_e32 v32, 7, v32
	v_and_b32_e32 v1, 0xfc00, v1
	v_cndmask_b32_e64 v32, v34, v32, s[2:3]
	v_and_or_b32 v1, v33, s41, v1
	v_lshl_or_b32 v32, v32, 7, v1
.LBB238_218:                            ;   in Loop: Header=BB238_163 Depth=1
	s_or_b64 exec, exec, s[28:29]
.LBB238_219:                            ;   in Loop: Header=BB238_163 Depth=1
	s_or_b64 exec, exec, s[22:23]
.LBB238_220:                            ;   in Loop: Header=BB238_163 Depth=1
	s_or_b64 exec, exec, s[20:21]
	v_lshrrev_b16_e32 v1, 8, v7
	v_cmp_ne_u16_e64 s[2:3], 0, v1
	s_and_saveexec_b64 s[20:21], s[2:3]
	s_cbranch_execz .LBB238_226
; %bb.221:                              ;   in Loop: Header=BB238_163 Depth=1
	v_cmp_ne_u16_e64 s[2:3], s39, v1
	v_bfrev_b32_e32 v31, 1
	s_and_saveexec_b64 s[22:23], s[2:3]
	s_cbranch_execz .LBB238_225
; %bb.222:                              ;   in Loop: Header=BB238_163 Depth=1
	v_and_b32_e32 v33, 0x7f, v1
	v_cmp_ne_u32_e64 s[2:3], s40, v33
	v_mov_b32_e32 v31, 0x7c010000
	s_and_saveexec_b64 s[28:29], s[2:3]
	s_cbranch_execz .LBB238_224
; %bb.223:                              ;   in Loop: Header=BB238_163 Depth=1
	v_and_b32_e32 v31, 7, v1
	v_ffbh_u32_e32 v34, v31
	v_min_u32_e32 v37, 32, v34
	v_subrev_u32_e32 v34, 28, v37
	v_lshlrev_b64 v[34:35], v34, v[1:2]
	v_lshrrev_b32_e32 v36, 3, v33
	v_sub_u32_e32 v35, 29, v37
	v_cmp_gt_u32_e64 s[2:3], 8, v33
	v_cndmask_b32_e64 v33, v36, v35, s[2:3]
	v_lshlrev_b32_e32 v1, 8, v1
	v_lshl_add_u32 v33, v33, 10, v24
	v_and_b32_e32 v34, 7, v34
	v_and_or_b32 v1, v1, s41, v33
	v_cndmask_b32_e64 v31, v31, v34, s[2:3]
	v_lshlrev_b32_e32 v1, 16, v1
	v_lshl_or_b32 v31, v31, 23, v1
.LBB238_224:                            ;   in Loop: Header=BB238_163 Depth=1
	s_or_b64 exec, exec, s[28:29]
.LBB238_225:                            ;   in Loop: Header=BB238_163 Depth=1
	s_or_b64 exec, exec, s[22:23]
.LBB238_226:                            ;   in Loop: Header=BB238_163 Depth=1
	s_or_b64 exec, exec, s[20:21]
	v_lshrrev_b32_e32 v1, 16, v7
	v_cmp_ne_u16_sdwa s[2:3], v1, v2 src0_sel:BYTE_0 src1_sel:DWORD
	v_mov_b32_e32 v33, 0
	v_mov_b32_e32 v34, 0
	s_and_saveexec_b64 s[20:21], s[2:3]
	s_cbranch_execz .LBB238_232
; %bb.227:                              ;   in Loop: Header=BB238_163 Depth=1
	v_cmp_ne_u16_sdwa s[2:3], v1, s39 src0_sel:BYTE_0 src1_sel:DWORD
	v_mov_b32_e32 v34, 0x8000
	s_and_saveexec_b64 s[22:23], s[2:3]
	s_cbranch_execz .LBB238_231
; %bb.228:                              ;   in Loop: Header=BB238_163 Depth=1
	v_bfe_u32 v35, v7, 16, 7
	v_cmp_ne_u32_e64 s[2:3], s40, v35
	v_mov_b32_e32 v34, 0x7c01
	s_and_saveexec_b64 s[28:29], s[2:3]
	s_cbranch_execz .LBB238_230
; %bb.229:                              ;   in Loop: Header=BB238_163 Depth=1
	v_and_b32_e32 v34, 7, v1
	v_ffbh_u32_e32 v36, v34
	v_min_u32_e32 v39, 32, v36
	v_subrev_u32_e32 v36, 28, v39
	v_lshlrev_b64 v[36:37], v36, v[1:2]
	v_lshrrev_b32_e32 v38, 3, v35
	v_sub_u32_e32 v37, 29, v39
	v_cmp_gt_u32_e64 s[2:3], 8, v35
	v_cndmask_b32_e64 v35, v38, v37, s[2:3]
	v_lshl_add_u32 v35, v35, 10, v24
	v_lshlrev_b32_e32 v1, 8, v1
	v_and_b32_e32 v36, 7, v36
	v_and_b32_e32 v35, 0xfc00, v35
	v_cndmask_b32_e64 v34, v34, v36, s[2:3]
	v_and_or_b32 v1, v1, s41, v35
	v_lshl_or_b32 v34, v34, 7, v1
.LBB238_230:                            ;   in Loop: Header=BB238_163 Depth=1
	s_or_b64 exec, exec, s[28:29]
.LBB238_231:                            ;   in Loop: Header=BB238_163 Depth=1
	s_or_b64 exec, exec, s[22:23]
.LBB238_232:                            ;   in Loop: Header=BB238_163 Depth=1
	s_or_b64 exec, exec, s[20:21]
	v_cmp_lt_u32_e64 s[2:3], s13, v7
	s_and_saveexec_b64 s[20:21], s[2:3]
	s_cbranch_execz .LBB238_238
; %bb.233:                              ;   in Loop: Header=BB238_163 Depth=1
	v_lshrrev_b32_e32 v1, 24, v7
	v_cmp_ne_u32_e64 s[2:3], s39, v1
	v_bfrev_b32_e32 v33, 1
	s_and_saveexec_b64 s[22:23], s[2:3]
	s_cbranch_execz .LBB238_237
; %bb.234:                              ;   in Loop: Header=BB238_163 Depth=1
	v_and_b32_e32 v35, 0x7f, v1
	v_cmp_ne_u32_e64 s[2:3], s40, v35
	v_mov_b32_e32 v33, 0x7c010000
	s_and_saveexec_b64 s[28:29], s[2:3]
	s_cbranch_execz .LBB238_236
; %bb.235:                              ;   in Loop: Header=BB238_163 Depth=1
	v_and_b32_e32 v33, 7, v1
	v_ffbh_u32_e32 v36, v33
	v_min_u32_e32 v39, 32, v36
	v_subrev_u32_e32 v36, 28, v39
	v_lshlrev_b64 v[36:37], v36, v[1:2]
	v_lshrrev_b32_e32 v38, 3, v35
	v_sub_u32_e32 v37, 29, v39
	v_cmp_gt_u32_e64 s[2:3], 8, v35
	v_cndmask_b32_e64 v35, v38, v37, s[2:3]
	v_lshlrev_b32_e32 v1, 8, v1
	v_lshl_add_u32 v35, v35, 10, v24
	v_and_b32_e32 v36, 7, v36
	v_and_or_b32 v1, v1, s41, v35
	v_cndmask_b32_e64 v33, v33, v36, s[2:3]
	v_lshlrev_b32_e32 v1, 16, v1
	v_lshl_or_b32 v33, v33, 23, v1
.LBB238_236:                            ;   in Loop: Header=BB238_163 Depth=1
	s_or_b64 exec, exec, s[28:29]
.LBB238_237:                            ;   in Loop: Header=BB238_163 Depth=1
	s_or_b64 exec, exec, s[22:23]
.LBB238_238:                            ;   in Loop: Header=BB238_163 Depth=1
	s_or_b64 exec, exec, s[20:21]
	v_mov_b32_e32 v1, v8
	v_cmp_ne_u16_sdwa s[2:3], v8, v2 src0_sel:BYTE_0 src1_sel:DWORD
	v_mov_b32_e32 v35, 0
	v_mov_b32_e32 v36, 0
	s_and_saveexec_b64 s[20:21], s[2:3]
	s_cbranch_execz .LBB238_244
; %bb.239:                              ;   in Loop: Header=BB238_163 Depth=1
	v_cmp_ne_u16_sdwa s[2:3], v8, s39 src0_sel:BYTE_0 src1_sel:DWORD
	v_mov_b32_e32 v36, 0x8000
	s_and_saveexec_b64 s[22:23], s[2:3]
	s_cbranch_execz .LBB238_243
; %bb.240:                              ;   in Loop: Header=BB238_163 Depth=1
	v_and_b32_e32 v37, 0x7f, v8
	v_cmp_ne_u32_e64 s[2:3], s40, v37
	v_mov_b32_e32 v36, 0x7c01
	s_and_saveexec_b64 s[28:29], s[2:3]
	s_cbranch_execz .LBB238_242
; %bb.241:                              ;   in Loop: Header=BB238_163 Depth=1
	v_and_b32_e32 v36, 7, v8
	v_ffbh_u32_e32 v38, v36
	v_min_u32_e32 v41, 32, v38
	v_subrev_u32_e32 v38, 28, v41
	v_lshlrev_b64 v[38:39], v38, v[1:2]
	v_lshrrev_b32_e32 v40, 3, v37
	v_sub_u32_e32 v39, 29, v41
	v_cmp_gt_u32_e64 s[2:3], 8, v37
	v_cndmask_b32_e64 v37, v40, v39, s[2:3]
	v_lshl_add_u32 v37, v37, 10, v24
	v_lshlrev_b32_e32 v39, 8, v8
	v_and_b32_e32 v38, 7, v38
	v_and_b32_e32 v37, 0xfc00, v37
	v_cndmask_b32_e64 v36, v36, v38, s[2:3]
	v_and_or_b32 v37, v39, s41, v37
	v_lshl_or_b32 v36, v36, 7, v37
.LBB238_242:                            ;   in Loop: Header=BB238_163 Depth=1
	s_or_b64 exec, exec, s[28:29]
.LBB238_243:                            ;   in Loop: Header=BB238_163 Depth=1
	s_or_b64 exec, exec, s[22:23]
.LBB238_244:                            ;   in Loop: Header=BB238_163 Depth=1
	s_or_b64 exec, exec, s[20:21]
	v_lshrrev_b16_e32 v1, 8, v1
	v_cmp_ne_u16_e64 s[2:3], 0, v1
	v_mov_b32_e32 v37, 0
	s_and_saveexec_b64 s[20:21], s[2:3]
	s_cbranch_execz .LBB238_250
; %bb.245:                              ;   in Loop: Header=BB238_163 Depth=1
	v_cmp_ne_u16_e64 s[2:3], s39, v1
	v_bfrev_b32_e32 v37, 1
	s_and_saveexec_b64 s[22:23], s[2:3]
	s_cbranch_execz .LBB238_249
; %bb.246:                              ;   in Loop: Header=BB238_163 Depth=1
	v_and_b32_e32 v38, 0x7f, v1
	v_cmp_ne_u32_e64 s[2:3], s40, v38
	v_mov_b32_e32 v37, 0x7c010000
	s_and_saveexec_b64 s[28:29], s[2:3]
	s_cbranch_execz .LBB238_248
; %bb.247:                              ;   in Loop: Header=BB238_163 Depth=1
	v_and_b32_e32 v37, 7, v1
	v_ffbh_u32_e32 v39, v37
	v_min_u32_e32 v42, 32, v39
	v_subrev_u32_e32 v39, 28, v42
	v_lshlrev_b64 v[39:40], v39, v[1:2]
	v_lshrrev_b32_e32 v41, 3, v38
	v_sub_u32_e32 v40, 29, v42
	v_cmp_gt_u32_e64 s[2:3], 8, v38
	v_cndmask_b32_e64 v38, v41, v40, s[2:3]
	v_lshlrev_b32_e32 v1, 8, v1
	v_lshl_add_u32 v38, v38, 10, v24
	v_and_b32_e32 v39, 7, v39
	v_and_or_b32 v1, v1, s41, v38
	v_cndmask_b32_e64 v37, v37, v39, s[2:3]
	v_lshlrev_b32_e32 v1, 16, v1
	v_lshl_or_b32 v37, v37, 23, v1
.LBB238_248:                            ;   in Loop: Header=BB238_163 Depth=1
	s_or_b64 exec, exec, s[28:29]
.LBB238_249:                            ;   in Loop: Header=BB238_163 Depth=1
	s_or_b64 exec, exec, s[22:23]
.LBB238_250:                            ;   in Loop: Header=BB238_163 Depth=1
	s_or_b64 exec, exec, s[20:21]
	v_lshrrev_b32_e32 v1, 16, v8
	v_cmp_ne_u16_sdwa s[2:3], v1, v2 src0_sel:BYTE_0 src1_sel:DWORD
	s_and_saveexec_b64 s[20:21], s[2:3]
	s_cbranch_execz .LBB238_256
; %bb.251:                              ;   in Loop: Header=BB238_163 Depth=1
	v_cmp_ne_u16_sdwa s[2:3], v1, s39 src0_sel:BYTE_0 src1_sel:DWORD
	v_mov_b32_e32 v35, 0x8000
	s_and_saveexec_b64 s[22:23], s[2:3]
	s_cbranch_execz .LBB238_255
; %bb.252:                              ;   in Loop: Header=BB238_163 Depth=1
	v_bfe_u32 v38, v8, 16, 7
	v_cmp_ne_u32_e64 s[2:3], s40, v38
	v_mov_b32_e32 v35, 0x7c01
	s_and_saveexec_b64 s[28:29], s[2:3]
	s_cbranch_execz .LBB238_254
; %bb.253:                              ;   in Loop: Header=BB238_163 Depth=1
	v_and_b32_e32 v35, 7, v1
	v_ffbh_u32_e32 v39, v35
	v_min_u32_e32 v42, 32, v39
	v_subrev_u32_e32 v39, 28, v42
	v_lshlrev_b64 v[39:40], v39, v[1:2]
	v_lshrrev_b32_e32 v41, 3, v38
	v_sub_u32_e32 v40, 29, v42
	v_cmp_gt_u32_e64 s[2:3], 8, v38
	v_cndmask_b32_e64 v38, v41, v40, s[2:3]
	v_lshl_add_u32 v38, v38, 10, v24
	v_lshlrev_b32_e32 v1, 8, v1
	v_and_b32_e32 v39, 7, v39
	v_and_b32_e32 v38, 0xfc00, v38
	v_cndmask_b32_e64 v35, v35, v39, s[2:3]
	v_and_or_b32 v1, v1, s41, v38
	v_lshl_or_b32 v35, v35, 7, v1
.LBB238_254:                            ;   in Loop: Header=BB238_163 Depth=1
	s_or_b64 exec, exec, s[28:29]
.LBB238_255:                            ;   in Loop: Header=BB238_163 Depth=1
	s_or_b64 exec, exec, s[22:23]
.LBB238_256:                            ;   in Loop: Header=BB238_163 Depth=1
	s_or_b64 exec, exec, s[20:21]
	v_cmp_lt_u64_e64 s[2:3], s[12:13], v[7:8]
	v_mov_b32_e32 v38, 0
	s_and_saveexec_b64 s[20:21], s[2:3]
	s_cbranch_execz .LBB238_262
; %bb.257:                              ;   in Loop: Header=BB238_163 Depth=1
	v_lshrrev_b32_e32 v1, 24, v8
	v_cmp_ne_u32_e64 s[2:3], s39, v1
	v_bfrev_b32_e32 v38, 1
	s_and_saveexec_b64 s[22:23], s[2:3]
	s_cbranch_execz .LBB238_261
; %bb.258:                              ;   in Loop: Header=BB238_163 Depth=1
	v_and_b32_e32 v7, 0x7f, v1
	v_cmp_ne_u32_e64 s[2:3], s40, v7
	v_mov_b32_e32 v38, 0x7c010000
	s_and_saveexec_b64 s[28:29], s[2:3]
	s_cbranch_execz .LBB238_260
; %bb.259:                              ;   in Loop: Header=BB238_163 Depth=1
	v_and_b32_e32 v8, 7, v1
	v_ffbh_u32_e32 v38, v8
	v_min_u32_e32 v41, 32, v38
	v_subrev_u32_e32 v38, 28, v41
	v_lshlrev_b64 v[38:39], v38, v[1:2]
	v_lshrrev_b32_e32 v40, 3, v7
	v_sub_u32_e32 v39, 29, v41
	v_cmp_gt_u32_e64 s[2:3], 8, v7
	v_cndmask_b32_e64 v7, v40, v39, s[2:3]
	v_lshlrev_b32_e32 v1, 8, v1
	v_lshl_add_u32 v7, v7, 10, v24
	v_and_b32_e32 v38, 7, v38
	v_and_or_b32 v1, v1, s41, v7
	v_cndmask_b32_e64 v8, v8, v38, s[2:3]
	v_lshlrev_b32_e32 v1, 16, v1
	v_lshl_or_b32 v38, v8, 23, v1
.LBB238_260:                            ;   in Loop: Header=BB238_163 Depth=1
	s_or_b64 exec, exec, s[28:29]
.LBB238_261:                            ;   in Loop: Header=BB238_163 Depth=1
	s_or_b64 exec, exec, s[22:23]
.LBB238_262:                            ;   in Loop: Header=BB238_163 Depth=1
	s_or_b64 exec, exec, s[20:21]
	s_waitcnt vmcnt(0)
	v_fma_mixlo_f16 v7, v30, v33, 0 op_sel:[0,1,0] op_sel_hi:[0,1,0]
	v_lshlrev_b32_e32 v8, 16, v7
	v_or_b32_e32 v7, v31, v32
	v_fma_mixlo_f16 v31, v30, v31, 0 op_sel:[0,1,0] op_sel_hi:[0,1,0]
	v_or_b32_e32 v1, v33, v34
	v_lshlrev_b32_e32 v39, 16, v31
	v_or_b32_e32 v31, v37, v36
	v_or_b32_e32 v34, v38, v35
	v_fma_mixlo_f16 v1, v30, v1, 0 op_sel_hi:[0,1,0]
	v_fma_mixlo_f16 v7, v30, v7, 0 op_sel_hi:[0,1,0]
	v_fma_mixlo_f16 v32, v30, v37, 0 op_sel:[0,1,0] op_sel_hi:[0,1,0]
	v_fma_mixlo_f16 v31, v30, v31, 0 op_sel_hi:[0,1,0]
	v_fma_mixlo_f16 v34, v30, v34, 0 op_sel_hi:[0,1,0]
	v_fma_mixlo_f16 v30, v30, v38, 0 op_sel:[0,1,0] op_sel_hi:[0,1,0]
	v_and_b32_e32 v33, 0xffff, v1
	v_and_b32_e32 v40, 0xffff, v7
	v_lshlrev_b32_e32 v32, 16, v32
	v_and_b32_e32 v36, 0xffff, v31
	v_lshlrev_b32_e32 v30, 16, v30
	v_and_b32_e32 v34, 0xffff, v34
	v_or_b32_e32 v1, v8, v33
	v_or_b32_e32 v7, v39, v40
	;; [unrolled: 1-line block ×4, first 2 shown]
	s_and_saveexec_b64 s[20:21], s[0:1]
	s_cbranch_execz .LBB238_264
; %bb.263:                              ;   in Loop: Header=BB238_163 Depth=1
	v_cmp_gt_i32_e64 s[2:3], s33, v9
	v_add_u32_e32 v7, 1, v9
	v_cndmask_b32_e64 v1, 0, v40, s[2:3]
	v_cmp_gt_i32_e64 s[2:3], s33, v7
	v_cndmask_b32_e64 v7, 0, v39, s[2:3]
	v_or_b32_e32 v7, v7, v1
	v_add_u32_e32 v1, 2, v9
	v_cmp_gt_i32_e64 s[2:3], s33, v1
	v_add_u32_e32 v31, 3, v9
	v_cndmask_b32_e64 v1, 0, v33, s[2:3]
	v_cmp_gt_i32_e64 s[2:3], s33, v31
	v_cndmask_b32_e64 v8, 0, v8, s[2:3]
	v_or_b32_e32 v1, v8, v1
	v_add_u32_e32 v8, 4, v9
	;; [unrolled: 7-line block ×3, first 2 shown]
	v_cmp_gt_i32_e64 s[2:3], s33, v8
	v_add_u32_e32 v32, 7, v9
	v_cndmask_b32_e64 v8, 0, v34, s[2:3]
	v_cmp_gt_i32_e64 s[2:3], s33, v32
	v_cndmask_b32_e64 v30, 0, v30, s[2:3]
	v_or_b32_e32 v35, v30, v8
.LBB238_264:                            ;   in Loop: Header=BB238_163 Depth=1
	s_or_b64 exec, exec, s[20:21]
	;;#ASMSTART
	v_pk_mul_f16 v7, v29, v7;

	;;#ASMEND
	;;#ASMSTART
	v_pk_mul_f16 v1, v28, v1;

	;;#ASMEND
	;; [unrolled: 4-line block ×4, first 2 shown]
	;;#ASMSTART
	v_pk_add_f16 v1, v7, v1;

	;;#ASMEND
	;;#ASMSTART
	v_pk_add_f16 v1, v1, v8;

	;;#ASMEND
	;; [unrolled: 4-line block ×3, first 2 shown]
	v_lshrrev_b32_e32 v8, 16, v1
	v_and_b32_e32 v1, 0xffff, v1
	;;#ASMSTART
	v_cvt_f32_f16 v7, v1;
	;;#ASMEND
	;;#ASMSTART
	v_cvt_f32_f16 v8, v8;
	;;#ASMEND
	s_and_saveexec_b64 s[20:21], vcc
	s_cbranch_execz .LBB238_161
; %bb.265:                              ;   in Loop: Header=BB238_163 Depth=1
	v_add_co_u32_e64 v5, s[2:3], v5, v21
	v_addc_co_u32_e64 v6, s[2:3], 0, v6, s[2:3]
	global_load_dwordx2 v[5:6], v[5:6], off
	v_mov_b32_e32 v31, 0
	global_load_dword v30, v31, s[14:15]
	v_mov_b32_e32 v32, 0
	s_waitcnt vmcnt(1)
	v_cmp_ne_u16_sdwa s[2:3], v5, v2 src0_sel:BYTE_0 src1_sel:DWORD
	s_and_saveexec_b64 s[22:23], s[2:3]
	s_cbranch_execz .LBB238_271
; %bb.266:                              ;   in Loop: Header=BB238_163 Depth=1
	v_cmp_ne_u16_sdwa s[2:3], v5, s39 src0_sel:BYTE_0 src1_sel:DWORD
	v_mov_b32_e32 v32, 0x8000
	s_and_saveexec_b64 s[28:29], s[2:3]
	s_cbranch_execz .LBB238_270
; %bb.267:                              ;   in Loop: Header=BB238_163 Depth=1
	v_and_b32_e32 v1, 0x7f, v5
	v_cmp_ne_u32_e64 s[2:3], s40, v1
	v_mov_b32_e32 v32, 0x7c01
	s_and_saveexec_b64 s[30:31], s[2:3]
	s_cbranch_execz .LBB238_269
; %bb.268:                              ;   in Loop: Header=BB238_163 Depth=1
	v_and_b32_e32 v34, 7, v5
	v_ffbh_u32_e32 v32, v34
	v_min_u32_e32 v36, 32, v32
	v_subrev_u32_e32 v32, 28, v36
	v_lshlrev_b64 v[32:33], v32, v[5:6]
	v_lshrrev_b32_e32 v35, 3, v1
	v_sub_u32_e32 v33, 29, v36
	v_cmp_gt_u32_e64 s[2:3], 8, v1
	v_cndmask_b32_e64 v1, v35, v33, s[2:3]
	v_lshl_add_u32 v1, v1, 10, v24
	v_lshlrev_b32_e32 v33, 8, v5
	v_and_b32_e32 v32, 7, v32
	v_and_b32_e32 v1, 0xfc00, v1
	v_cndmask_b32_e64 v32, v34, v32, s[2:3]
	v_and_or_b32 v1, v33, s41, v1
	v_lshl_or_b32 v32, v32, 7, v1
.LBB238_269:                            ;   in Loop: Header=BB238_163 Depth=1
	s_or_b64 exec, exec, s[30:31]
.LBB238_270:                            ;   in Loop: Header=BB238_163 Depth=1
	s_or_b64 exec, exec, s[28:29]
.LBB238_271:                            ;   in Loop: Header=BB238_163 Depth=1
	s_or_b64 exec, exec, s[22:23]
	v_lshrrev_b16_e32 v1, 8, v5
	v_cmp_ne_u16_e64 s[2:3], 0, v1
	s_and_saveexec_b64 s[22:23], s[2:3]
	s_cbranch_execz .LBB238_277
; %bb.272:                              ;   in Loop: Header=BB238_163 Depth=1
	v_cmp_ne_u16_e64 s[2:3], s39, v1
	v_bfrev_b32_e32 v31, 1
	s_and_saveexec_b64 s[28:29], s[2:3]
	s_cbranch_execz .LBB238_276
; %bb.273:                              ;   in Loop: Header=BB238_163 Depth=1
	v_and_b32_e32 v33, 0x7f, v1
	v_cmp_ne_u32_e64 s[2:3], s40, v33
	v_mov_b32_e32 v31, 0x7c010000
	s_and_saveexec_b64 s[30:31], s[2:3]
	s_cbranch_execz .LBB238_275
; %bb.274:                              ;   in Loop: Header=BB238_163 Depth=1
	v_and_b32_e32 v31, 7, v1
	v_ffbh_u32_e32 v34, v31
	v_min_u32_e32 v37, 32, v34
	v_subrev_u32_e32 v34, 28, v37
	v_lshlrev_b64 v[34:35], v34, v[1:2]
	v_lshrrev_b32_e32 v36, 3, v33
	v_sub_u32_e32 v35, 29, v37
	v_cmp_gt_u32_e64 s[2:3], 8, v33
	v_cndmask_b32_e64 v33, v36, v35, s[2:3]
	v_lshlrev_b32_e32 v1, 8, v1
	v_lshl_add_u32 v33, v33, 10, v24
	v_and_b32_e32 v34, 7, v34
	v_and_or_b32 v1, v1, s41, v33
	v_cndmask_b32_e64 v31, v31, v34, s[2:3]
	v_lshlrev_b32_e32 v1, 16, v1
	v_lshl_or_b32 v31, v31, 23, v1
.LBB238_275:                            ;   in Loop: Header=BB238_163 Depth=1
	s_or_b64 exec, exec, s[30:31]
.LBB238_276:                            ;   in Loop: Header=BB238_163 Depth=1
	s_or_b64 exec, exec, s[28:29]
.LBB238_277:                            ;   in Loop: Header=BB238_163 Depth=1
	s_or_b64 exec, exec, s[22:23]
	v_lshrrev_b32_e32 v1, 16, v5
	v_cmp_ne_u16_sdwa s[2:3], v1, v2 src0_sel:BYTE_0 src1_sel:DWORD
	v_mov_b32_e32 v33, 0
	v_mov_b32_e32 v34, 0
	s_and_saveexec_b64 s[22:23], s[2:3]
	s_cbranch_execz .LBB238_283
; %bb.278:                              ;   in Loop: Header=BB238_163 Depth=1
	v_cmp_ne_u16_sdwa s[2:3], v1, s39 src0_sel:BYTE_0 src1_sel:DWORD
	v_mov_b32_e32 v34, 0x8000
	s_and_saveexec_b64 s[28:29], s[2:3]
	s_cbranch_execz .LBB238_282
; %bb.279:                              ;   in Loop: Header=BB238_163 Depth=1
	v_bfe_u32 v35, v5, 16, 7
	v_cmp_ne_u32_e64 s[2:3], s40, v35
	v_mov_b32_e32 v34, 0x7c01
	s_and_saveexec_b64 s[30:31], s[2:3]
	s_cbranch_execz .LBB238_281
; %bb.280:                              ;   in Loop: Header=BB238_163 Depth=1
	v_and_b32_e32 v34, 7, v1
	v_ffbh_u32_e32 v36, v34
	v_min_u32_e32 v39, 32, v36
	v_subrev_u32_e32 v36, 28, v39
	v_lshlrev_b64 v[36:37], v36, v[1:2]
	v_lshrrev_b32_e32 v38, 3, v35
	v_sub_u32_e32 v37, 29, v39
	v_cmp_gt_u32_e64 s[2:3], 8, v35
	v_cndmask_b32_e64 v35, v38, v37, s[2:3]
	v_lshl_add_u32 v35, v35, 10, v24
	v_lshlrev_b32_e32 v1, 8, v1
	v_and_b32_e32 v36, 7, v36
	v_and_b32_e32 v35, 0xfc00, v35
	v_cndmask_b32_e64 v34, v34, v36, s[2:3]
	v_and_or_b32 v1, v1, s41, v35
	v_lshl_or_b32 v34, v34, 7, v1
.LBB238_281:                            ;   in Loop: Header=BB238_163 Depth=1
	s_or_b64 exec, exec, s[30:31]
.LBB238_282:                            ;   in Loop: Header=BB238_163 Depth=1
	s_or_b64 exec, exec, s[28:29]
.LBB238_283:                            ;   in Loop: Header=BB238_163 Depth=1
	s_or_b64 exec, exec, s[22:23]
	v_cmp_lt_u32_e64 s[2:3], s13, v5
	s_and_saveexec_b64 s[22:23], s[2:3]
	s_cbranch_execz .LBB238_289
; %bb.284:                              ;   in Loop: Header=BB238_163 Depth=1
	v_lshrrev_b32_e32 v1, 24, v5
	v_cmp_ne_u32_e64 s[2:3], s39, v1
	v_bfrev_b32_e32 v33, 1
	s_and_saveexec_b64 s[28:29], s[2:3]
	s_cbranch_execz .LBB238_288
; %bb.285:                              ;   in Loop: Header=BB238_163 Depth=1
	v_and_b32_e32 v35, 0x7f, v1
	v_cmp_ne_u32_e64 s[2:3], s40, v35
	v_mov_b32_e32 v33, 0x7c010000
	s_and_saveexec_b64 s[30:31], s[2:3]
	s_cbranch_execz .LBB238_287
; %bb.286:                              ;   in Loop: Header=BB238_163 Depth=1
	v_and_b32_e32 v33, 7, v1
	v_ffbh_u32_e32 v36, v33
	v_min_u32_e32 v39, 32, v36
	v_subrev_u32_e32 v36, 28, v39
	v_lshlrev_b64 v[36:37], v36, v[1:2]
	v_lshrrev_b32_e32 v38, 3, v35
	v_sub_u32_e32 v37, 29, v39
	v_cmp_gt_u32_e64 s[2:3], 8, v35
	v_cndmask_b32_e64 v35, v38, v37, s[2:3]
	v_lshlrev_b32_e32 v1, 8, v1
	v_lshl_add_u32 v35, v35, 10, v24
	v_and_b32_e32 v36, 7, v36
	v_and_or_b32 v1, v1, s41, v35
	v_cndmask_b32_e64 v33, v33, v36, s[2:3]
	v_lshlrev_b32_e32 v1, 16, v1
	v_lshl_or_b32 v33, v33, 23, v1
.LBB238_287:                            ;   in Loop: Header=BB238_163 Depth=1
	s_or_b64 exec, exec, s[30:31]
.LBB238_288:                            ;   in Loop: Header=BB238_163 Depth=1
	s_or_b64 exec, exec, s[28:29]
.LBB238_289:                            ;   in Loop: Header=BB238_163 Depth=1
	s_or_b64 exec, exec, s[22:23]
	v_mov_b32_e32 v1, v6
	v_cmp_ne_u16_sdwa s[2:3], v6, v2 src0_sel:BYTE_0 src1_sel:DWORD
	v_mov_b32_e32 v35, 0
	v_mov_b32_e32 v36, 0
	s_and_saveexec_b64 s[22:23], s[2:3]
	s_cbranch_execz .LBB238_295
; %bb.290:                              ;   in Loop: Header=BB238_163 Depth=1
	v_cmp_ne_u16_sdwa s[2:3], v6, s39 src0_sel:BYTE_0 src1_sel:DWORD
	v_mov_b32_e32 v36, 0x8000
	s_and_saveexec_b64 s[28:29], s[2:3]
	s_cbranch_execz .LBB238_294
; %bb.291:                              ;   in Loop: Header=BB238_163 Depth=1
	v_and_b32_e32 v37, 0x7f, v6
	v_cmp_ne_u32_e64 s[2:3], s40, v37
	v_mov_b32_e32 v36, 0x7c01
	s_and_saveexec_b64 s[30:31], s[2:3]
	s_cbranch_execz .LBB238_293
; %bb.292:                              ;   in Loop: Header=BB238_163 Depth=1
	v_and_b32_e32 v36, 7, v6
	v_ffbh_u32_e32 v38, v36
	v_min_u32_e32 v41, 32, v38
	v_subrev_u32_e32 v38, 28, v41
	v_lshlrev_b64 v[38:39], v38, v[1:2]
	v_lshrrev_b32_e32 v40, 3, v37
	v_sub_u32_e32 v39, 29, v41
	v_cmp_gt_u32_e64 s[2:3], 8, v37
	v_cndmask_b32_e64 v37, v40, v39, s[2:3]
	v_lshl_add_u32 v37, v37, 10, v24
	v_lshlrev_b32_e32 v39, 8, v6
	v_and_b32_e32 v38, 7, v38
	v_and_b32_e32 v37, 0xfc00, v37
	v_cndmask_b32_e64 v36, v36, v38, s[2:3]
	v_and_or_b32 v37, v39, s41, v37
	v_lshl_or_b32 v36, v36, 7, v37
.LBB238_293:                            ;   in Loop: Header=BB238_163 Depth=1
	s_or_b64 exec, exec, s[30:31]
.LBB238_294:                            ;   in Loop: Header=BB238_163 Depth=1
	s_or_b64 exec, exec, s[28:29]
.LBB238_295:                            ;   in Loop: Header=BB238_163 Depth=1
	s_or_b64 exec, exec, s[22:23]
	v_lshrrev_b16_e32 v1, 8, v1
	v_cmp_ne_u16_e64 s[2:3], 0, v1
	v_mov_b32_e32 v37, 0
	s_and_saveexec_b64 s[22:23], s[2:3]
	s_cbranch_execz .LBB238_301
; %bb.296:                              ;   in Loop: Header=BB238_163 Depth=1
	v_cmp_ne_u16_e64 s[2:3], s39, v1
	v_bfrev_b32_e32 v37, 1
	s_and_saveexec_b64 s[28:29], s[2:3]
	s_cbranch_execz .LBB238_300
; %bb.297:                              ;   in Loop: Header=BB238_163 Depth=1
	v_and_b32_e32 v38, 0x7f, v1
	v_cmp_ne_u32_e64 s[2:3], s40, v38
	v_mov_b32_e32 v37, 0x7c010000
	s_and_saveexec_b64 s[30:31], s[2:3]
	s_cbranch_execz .LBB238_299
; %bb.298:                              ;   in Loop: Header=BB238_163 Depth=1
	v_and_b32_e32 v37, 7, v1
	v_ffbh_u32_e32 v39, v37
	v_min_u32_e32 v42, 32, v39
	v_subrev_u32_e32 v39, 28, v42
	v_lshlrev_b64 v[39:40], v39, v[1:2]
	v_lshrrev_b32_e32 v41, 3, v38
	v_sub_u32_e32 v40, 29, v42
	v_cmp_gt_u32_e64 s[2:3], 8, v38
	v_cndmask_b32_e64 v38, v41, v40, s[2:3]
	v_lshlrev_b32_e32 v1, 8, v1
	v_lshl_add_u32 v38, v38, 10, v24
	v_and_b32_e32 v39, 7, v39
	v_and_or_b32 v1, v1, s41, v38
	v_cndmask_b32_e64 v37, v37, v39, s[2:3]
	v_lshlrev_b32_e32 v1, 16, v1
	v_lshl_or_b32 v37, v37, 23, v1
.LBB238_299:                            ;   in Loop: Header=BB238_163 Depth=1
	s_or_b64 exec, exec, s[30:31]
.LBB238_300:                            ;   in Loop: Header=BB238_163 Depth=1
	s_or_b64 exec, exec, s[28:29]
.LBB238_301:                            ;   in Loop: Header=BB238_163 Depth=1
	s_or_b64 exec, exec, s[22:23]
	v_lshrrev_b32_e32 v1, 16, v6
	v_cmp_ne_u16_sdwa s[2:3], v1, v2 src0_sel:BYTE_0 src1_sel:DWORD
	s_and_saveexec_b64 s[22:23], s[2:3]
	s_cbranch_execz .LBB238_307
; %bb.302:                              ;   in Loop: Header=BB238_163 Depth=1
	v_cmp_ne_u16_sdwa s[2:3], v1, s39 src0_sel:BYTE_0 src1_sel:DWORD
	v_mov_b32_e32 v35, 0x8000
	s_and_saveexec_b64 s[28:29], s[2:3]
	s_cbranch_execz .LBB238_306
; %bb.303:                              ;   in Loop: Header=BB238_163 Depth=1
	v_bfe_u32 v38, v6, 16, 7
	v_cmp_ne_u32_e64 s[2:3], s40, v38
	v_mov_b32_e32 v35, 0x7c01
	s_and_saveexec_b64 s[30:31], s[2:3]
	s_cbranch_execz .LBB238_305
; %bb.304:                              ;   in Loop: Header=BB238_163 Depth=1
	v_and_b32_e32 v35, 7, v1
	v_ffbh_u32_e32 v39, v35
	v_min_u32_e32 v42, 32, v39
	v_subrev_u32_e32 v39, 28, v42
	v_lshlrev_b64 v[39:40], v39, v[1:2]
	v_lshrrev_b32_e32 v41, 3, v38
	v_sub_u32_e32 v40, 29, v42
	v_cmp_gt_u32_e64 s[2:3], 8, v38
	v_cndmask_b32_e64 v38, v41, v40, s[2:3]
	v_lshl_add_u32 v38, v38, 10, v24
	v_lshlrev_b32_e32 v1, 8, v1
	v_and_b32_e32 v39, 7, v39
	v_and_b32_e32 v38, 0xfc00, v38
	v_cndmask_b32_e64 v35, v35, v39, s[2:3]
	v_and_or_b32 v1, v1, s41, v38
	v_lshl_or_b32 v35, v35, 7, v1
.LBB238_305:                            ;   in Loop: Header=BB238_163 Depth=1
	s_or_b64 exec, exec, s[30:31]
.LBB238_306:                            ;   in Loop: Header=BB238_163 Depth=1
	s_or_b64 exec, exec, s[28:29]
.LBB238_307:                            ;   in Loop: Header=BB238_163 Depth=1
	s_or_b64 exec, exec, s[22:23]
	v_cmp_lt_u64_e64 s[2:3], s[12:13], v[5:6]
	v_mov_b32_e32 v38, 0
	s_and_saveexec_b64 s[22:23], s[2:3]
	s_cbranch_execz .LBB238_313
; %bb.308:                              ;   in Loop: Header=BB238_163 Depth=1
	v_lshrrev_b32_e32 v1, 24, v6
	v_cmp_ne_u32_e64 s[2:3], s39, v1
	v_bfrev_b32_e32 v38, 1
	s_and_saveexec_b64 s[28:29], s[2:3]
	s_cbranch_execz .LBB238_312
; %bb.309:                              ;   in Loop: Header=BB238_163 Depth=1
	v_and_b32_e32 v5, 0x7f, v1
	v_cmp_ne_u32_e64 s[2:3], s40, v5
	v_mov_b32_e32 v38, 0x7c010000
	s_and_saveexec_b64 s[30:31], s[2:3]
	s_cbranch_execz .LBB238_311
; %bb.310:                              ;   in Loop: Header=BB238_163 Depth=1
	v_and_b32_e32 v6, 7, v1
	v_ffbh_u32_e32 v38, v6
	v_min_u32_e32 v41, 32, v38
	v_subrev_u32_e32 v38, 28, v41
	v_lshlrev_b64 v[38:39], v38, v[1:2]
	v_lshrrev_b32_e32 v40, 3, v5
	v_sub_u32_e32 v39, 29, v41
	v_cmp_gt_u32_e64 s[2:3], 8, v5
	v_cndmask_b32_e64 v5, v40, v39, s[2:3]
	v_lshlrev_b32_e32 v1, 8, v1
	v_lshl_add_u32 v5, v5, 10, v24
	v_and_b32_e32 v38, 7, v38
	v_and_or_b32 v1, v1, s41, v5
	v_cndmask_b32_e64 v6, v6, v38, s[2:3]
	v_lshlrev_b32_e32 v1, 16, v1
	v_lshl_or_b32 v38, v6, 23, v1
.LBB238_311:                            ;   in Loop: Header=BB238_163 Depth=1
	s_or_b64 exec, exec, s[30:31]
.LBB238_312:                            ;   in Loop: Header=BB238_163 Depth=1
	s_or_b64 exec, exec, s[28:29]
.LBB238_313:                            ;   in Loop: Header=BB238_163 Depth=1
	s_or_b64 exec, exec, s[22:23]
	s_waitcnt vmcnt(0)
	v_fma_mixlo_f16 v5, v30, v33, 0 op_sel:[0,1,0] op_sel_hi:[0,1,0]
	v_lshlrev_b32_e32 v6, 16, v5
	v_or_b32_e32 v5, v31, v32
	v_fma_mixlo_f16 v31, v30, v31, 0 op_sel:[0,1,0] op_sel_hi:[0,1,0]
	v_or_b32_e32 v1, v33, v34
	v_lshlrev_b32_e32 v39, 16, v31
	v_or_b32_e32 v31, v37, v36
	v_or_b32_e32 v34, v38, v35
	v_fma_mixlo_f16 v1, v30, v1, 0 op_sel_hi:[0,1,0]
	v_fma_mixlo_f16 v5, v30, v5, 0 op_sel_hi:[0,1,0]
	v_fma_mixlo_f16 v32, v30, v37, 0 op_sel:[0,1,0] op_sel_hi:[0,1,0]
	v_fma_mixlo_f16 v31, v30, v31, 0 op_sel_hi:[0,1,0]
	v_fma_mixlo_f16 v34, v30, v34, 0 op_sel_hi:[0,1,0]
	v_fma_mixlo_f16 v30, v30, v38, 0 op_sel:[0,1,0] op_sel_hi:[0,1,0]
	v_and_b32_e32 v33, 0xffff, v1
	v_and_b32_e32 v40, 0xffff, v5
	v_lshlrev_b32_e32 v32, 16, v32
	v_and_b32_e32 v36, 0xffff, v31
	v_lshlrev_b32_e32 v30, 16, v30
	v_and_b32_e32 v34, 0xffff, v34
	v_or_b32_e32 v1, v6, v33
	v_or_b32_e32 v5, v39, v40
	v_or_b32_e32 v31, v32, v36
	v_or_b32_e32 v35, v30, v34
	s_and_saveexec_b64 s[2:3], s[0:1]
	s_cbranch_execz .LBB238_160
; %bb.314:                              ;   in Loop: Header=BB238_163 Depth=1
	v_cmp_gt_i32_e64 s[0:1], s33, v9
	v_add_u32_e32 v5, 1, v9
	v_cndmask_b32_e64 v1, 0, v40, s[0:1]
	v_cmp_gt_i32_e64 s[0:1], s33, v5
	v_cndmask_b32_e64 v5, 0, v39, s[0:1]
	v_or_b32_e32 v5, v5, v1
	v_add_u32_e32 v1, 2, v9
	v_cmp_gt_i32_e64 s[0:1], s33, v1
	v_add_u32_e32 v31, 3, v9
	v_cndmask_b32_e64 v1, 0, v33, s[0:1]
	v_cmp_gt_i32_e64 s[0:1], s33, v31
	v_cndmask_b32_e64 v6, 0, v6, s[0:1]
	v_or_b32_e32 v1, v6, v1
	v_add_u32_e32 v6, 4, v9
	;; [unrolled: 7-line block ×3, first 2 shown]
	v_cmp_gt_i32_e64 s[0:1], s33, v6
	v_add_u32_e32 v9, 7, v9
	v_cndmask_b32_e64 v6, 0, v34, s[0:1]
	v_cmp_gt_i32_e64 s[0:1], s33, v9
	v_cndmask_b32_e64 v9, 0, v30, s[0:1]
	v_or_b32_e32 v35, v9, v6
	s_branch .LBB238_160
.LBB238_315:
	s_or_b64 exec, exec, s[16:17]
.LBB238_316:
	s_or_b64 exec, exec, s[4:5]
	ds_bpermute_b32 v1, v13, v17
	ds_bpermute_b32 v4, v13, v19
	;; [unrolled: 1-line block ×3, first 2 shown]
	v_cmp_eq_u32_e32 vcc, 0, v15
	s_waitcnt lgkmcnt(0)
	v_add_f32_e32 v3, v17, v1
	v_add_f32_e32 v1, v19, v4
	v_and_b32_e32 v4, 0x3c0, v0
	v_add_f32_e32 v2, v18, v2
	v_cmp_eq_u32_e64 s[0:1], 64, v4
	s_barrier
	s_and_saveexec_b64 s[2:3], s[0:1]
	s_cbranch_execz .LBB238_321
; %bb.317:
	s_and_saveexec_b64 s[0:1], vcc
; %bb.318:
	v_mov_b32_e32 v4, 0xb0
	v_lshl_add_u32 v4, v14, 2, v4
	ds_write2_b32 v4, v3, v2 offset1:32
; %bb.319:
	s_or_b64 exec, exec, s[0:1]
	v_or_b32_e32 v4, 64, v14
	s_movk_i32 s0, 0x50
	v_cmp_gt_u32_e64 s[0:1], s0, v4
	s_and_b64 s[0:1], vcc, s[0:1]
	s_and_b64 exec, exec, s[0:1]
; %bb.320:
	v_mov_b32_e32 v4, 0xb0
	v_lshl_add_u32 v4, v14, 2, v4
	ds_write_b32 v4, v1 offset:256
.LBB238_321:
	s_or_b64 exec, exec, s[2:3]
	v_cmp_gt_u32_e64 s[0:1], 64, v0
	v_lshrrev_b32_e32 v0, 1, v0
	s_waitcnt lgkmcnt(0)
	s_barrier
	s_and_saveexec_b64 s[4:5], s[0:1]
	s_cbranch_execz .LBB238_329
; %bb.322:
	s_and_saveexec_b64 s[2:3], vcc
	s_cbranch_execz .LBB238_324
; %bb.323:
	v_mov_b32_e32 v4, 0xb0
	v_lshl_add_u32 v4, v0, 2, v4
	ds_read_b32 v4, v4
	s_waitcnt lgkmcnt(0)
	v_add_f32_e32 v3, v3, v4
.LBB238_324:
	s_or_b64 exec, exec, s[2:3]
	v_or_b32_e32 v4, 32, v0
	s_movk_i32 s6, 0x50
	v_cmp_gt_u32_e64 s[2:3], s6, v4
	s_and_b64 s[12:13], vcc, s[2:3]
	s_and_saveexec_b64 s[2:3], s[12:13]
	s_cbranch_execz .LBB238_326
; %bb.325:
	v_mov_b32_e32 v4, 0xb0
	v_lshl_add_u32 v4, v0, 2, v4
	ds_read_b32 v4, v4 offset:128
	s_waitcnt lgkmcnt(0)
	v_add_f32_e32 v2, v2, v4
.LBB238_326:
	s_or_b64 exec, exec, s[2:3]
	v_or_b32_e32 v4, 64, v0
	v_cmp_gt_u32_e64 s[2:3], s6, v4
	s_and_b64 s[6:7], vcc, s[2:3]
	s_and_saveexec_b64 s[2:3], s[6:7]
	s_cbranch_execz .LBB238_328
; %bb.327:
	v_mov_b32_e32 v4, 0xb0
	v_lshl_add_u32 v4, v0, 2, v4
	ds_read_b32 v4, v4 offset:256
	s_waitcnt lgkmcnt(0)
	v_add_f32_e32 v1, v1, v4
.LBB238_328:
	s_or_b64 exec, exec, s[2:3]
.LBB238_329:
	s_or_b64 exec, exec, s[4:5]
	s_barrier
	s_and_saveexec_b64 s[2:3], s[0:1]
	s_cbranch_execz .LBB238_336
; %bb.330:
	s_mul_i32 s0, s10, s11
	s_mul_i32 s0, s0, s9
	s_mulk_i32 s0, 0x50
	s_ashr_i32 s1, s0, 31
	s_lshl_b64 s[0:1], s[0:1], 1
	s_add_u32 s2, s26, s0
	s_mul_i32 s0, s11, s24
	s_addc_u32 s3, s27, s1
	s_ashr_i32 s1, s0, 31
	s_lshl_b64 s[0:1], s[0:1], 1
	s_add_u32 s2, s2, s0
	s_mul_i32 s0, s8, 0x50
	s_addc_u32 s3, s3, s1
	s_ashr_i32 s1, s0, 31
	s_lshl_b64 s[0:1], s[0:1], 1
	s_add_u32 s2, s2, s0
	s_movk_i32 s4, 0x50
	s_addc_u32 s3, s3, s1
	v_lshlrev_b32_e32 v4, 1, v0
	s_and_saveexec_b64 s[0:1], vcc
	s_cbranch_execz .LBB238_332
; %bb.331:
	;;#ASMSTART
	v_cvt_f16_f32 v3, v3;

	;;#ASMEND
	global_store_short v4, v3, s[2:3]
.LBB238_332:
	s_or_b64 exec, exec, s[0:1]
	v_or_b32_e32 v3, 32, v0
	v_cmp_gt_u32_e64 s[0:1], s4, v3
	s_and_b64 s[4:5], vcc, s[0:1]
	s_and_saveexec_b64 s[0:1], s[4:5]
	s_cbranch_execz .LBB238_334
; %bb.333:
	;;#ASMSTART
	v_cvt_f16_f32 v2, v2;

	;;#ASMEND
	global_store_short v4, v2, s[2:3] offset:64
.LBB238_334:
	s_or_b64 exec, exec, s[0:1]
	v_or_b32_e32 v0, 64, v0
	s_movk_i32 s0, 0x50
	v_cmp_gt_u32_e64 s[0:1], s0, v0
	s_and_b64 s[0:1], vcc, s[0:1]
	s_and_b64 exec, exec, s[0:1]
	s_cbranch_execz .LBB238_336
; %bb.335:
	;;#ASMSTART
	v_cvt_f16_f32 v0, v1;

	;;#ASMEND
	global_store_short v4, v0, s[2:3] offset:128
.LBB238_336:
	s_endpgm
	.section	.rodata,"a",@progbits
	.p2align	6, 0x0
	.amdhsa_kernel _ZN4vllm25paged_attention_v1_kernelIthLi80ELi16ELi128ELNS_18Fp8KVCacheDataTypeE1ELb1EEEvPT_PKS2_PKT0_S8_ifPKiSA_iPKfiiiSC_SC_iiiii
		.amdhsa_group_segment_fixed_size 176
		.amdhsa_private_segment_fixed_size 0
		.amdhsa_kernarg_size 384
		.amdhsa_user_sgpr_count 6
		.amdhsa_user_sgpr_private_segment_buffer 1
		.amdhsa_user_sgpr_dispatch_ptr 0
		.amdhsa_user_sgpr_queue_ptr 0
		.amdhsa_user_sgpr_kernarg_segment_ptr 1
		.amdhsa_user_sgpr_dispatch_id 0
		.amdhsa_user_sgpr_flat_scratch_init 0
		.amdhsa_user_sgpr_private_segment_size 0
		.amdhsa_uses_dynamic_stack 0
		.amdhsa_system_sgpr_private_segment_wavefront_offset 0
		.amdhsa_system_sgpr_workgroup_id_x 1
		.amdhsa_system_sgpr_workgroup_id_y 1
		.amdhsa_system_sgpr_workgroup_id_z 1
		.amdhsa_system_sgpr_workgroup_info 0
		.amdhsa_system_vgpr_workitem_id 0
		.amdhsa_next_free_vgpr 53
		.amdhsa_next_free_sgpr 55
		.amdhsa_reserve_vcc 1
		.amdhsa_reserve_flat_scratch 0
		.amdhsa_float_round_mode_32 0
		.amdhsa_float_round_mode_16_64 0
		.amdhsa_float_denorm_mode_32 3
		.amdhsa_float_denorm_mode_16_64 3
		.amdhsa_dx10_clamp 1
		.amdhsa_ieee_mode 1
		.amdhsa_fp16_overflow 0
		.amdhsa_exception_fp_ieee_invalid_op 0
		.amdhsa_exception_fp_denorm_src 0
		.amdhsa_exception_fp_ieee_div_zero 0
		.amdhsa_exception_fp_ieee_overflow 0
		.amdhsa_exception_fp_ieee_underflow 0
		.amdhsa_exception_fp_ieee_inexact 0
		.amdhsa_exception_int_div_zero 0
	.end_amdhsa_kernel
	.section	.text._ZN4vllm25paged_attention_v1_kernelIthLi80ELi16ELi128ELNS_18Fp8KVCacheDataTypeE1ELb1EEEvPT_PKS2_PKT0_S8_ifPKiSA_iPKfiiiSC_SC_iiiii,"axG",@progbits,_ZN4vllm25paged_attention_v1_kernelIthLi80ELi16ELi128ELNS_18Fp8KVCacheDataTypeE1ELb1EEEvPT_PKS2_PKT0_S8_ifPKiSA_iPKfiiiSC_SC_iiiii,comdat
.Lfunc_end238:
	.size	_ZN4vllm25paged_attention_v1_kernelIthLi80ELi16ELi128ELNS_18Fp8KVCacheDataTypeE1ELb1EEEvPT_PKS2_PKT0_S8_ifPKiSA_iPKfiiiSC_SC_iiiii, .Lfunc_end238-_ZN4vllm25paged_attention_v1_kernelIthLi80ELi16ELi128ELNS_18Fp8KVCacheDataTypeE1ELb1EEEvPT_PKS2_PKT0_S8_ifPKiSA_iPKfiiiSC_SC_iiiii
                                        ; -- End function
	.set _ZN4vllm25paged_attention_v1_kernelIthLi80ELi16ELi128ELNS_18Fp8KVCacheDataTypeE1ELb1EEEvPT_PKS2_PKT0_S8_ifPKiSA_iPKfiiiSC_SC_iiiii.num_vgpr, 53
	.set _ZN4vllm25paged_attention_v1_kernelIthLi80ELi16ELi128ELNS_18Fp8KVCacheDataTypeE1ELb1EEEvPT_PKS2_PKT0_S8_ifPKiSA_iPKfiiiSC_SC_iiiii.num_agpr, 0
	.set _ZN4vllm25paged_attention_v1_kernelIthLi80ELi16ELi128ELNS_18Fp8KVCacheDataTypeE1ELb1EEEvPT_PKS2_PKT0_S8_ifPKiSA_iPKfiiiSC_SC_iiiii.numbered_sgpr, 55
	.set _ZN4vllm25paged_attention_v1_kernelIthLi80ELi16ELi128ELNS_18Fp8KVCacheDataTypeE1ELb1EEEvPT_PKS2_PKT0_S8_ifPKiSA_iPKfiiiSC_SC_iiiii.num_named_barrier, 0
	.set _ZN4vllm25paged_attention_v1_kernelIthLi80ELi16ELi128ELNS_18Fp8KVCacheDataTypeE1ELb1EEEvPT_PKS2_PKT0_S8_ifPKiSA_iPKfiiiSC_SC_iiiii.private_seg_size, 0
	.set _ZN4vllm25paged_attention_v1_kernelIthLi80ELi16ELi128ELNS_18Fp8KVCacheDataTypeE1ELb1EEEvPT_PKS2_PKT0_S8_ifPKiSA_iPKfiiiSC_SC_iiiii.uses_vcc, 1
	.set _ZN4vllm25paged_attention_v1_kernelIthLi80ELi16ELi128ELNS_18Fp8KVCacheDataTypeE1ELb1EEEvPT_PKS2_PKT0_S8_ifPKiSA_iPKfiiiSC_SC_iiiii.uses_flat_scratch, 0
	.set _ZN4vllm25paged_attention_v1_kernelIthLi80ELi16ELi128ELNS_18Fp8KVCacheDataTypeE1ELb1EEEvPT_PKS2_PKT0_S8_ifPKiSA_iPKfiiiSC_SC_iiiii.has_dyn_sized_stack, 0
	.set _ZN4vllm25paged_attention_v1_kernelIthLi80ELi16ELi128ELNS_18Fp8KVCacheDataTypeE1ELb1EEEvPT_PKS2_PKT0_S8_ifPKiSA_iPKfiiiSC_SC_iiiii.has_recursion, 0
	.set _ZN4vllm25paged_attention_v1_kernelIthLi80ELi16ELi128ELNS_18Fp8KVCacheDataTypeE1ELb1EEEvPT_PKS2_PKT0_S8_ifPKiSA_iPKfiiiSC_SC_iiiii.has_indirect_call, 0
	.section	.AMDGPU.csdata,"",@progbits
; Kernel info:
; codeLenInByte = 14292
; TotalNumSgprs: 59
; NumVgprs: 53
; ScratchSize: 0
; MemoryBound: 0
; FloatMode: 240
; IeeeMode: 1
; LDSByteSize: 176 bytes/workgroup (compile time only)
; SGPRBlocks: 7
; VGPRBlocks: 13
; NumSGPRsForWavesPerEU: 59
; NumVGPRsForWavesPerEU: 53
; Occupancy: 4
; WaveLimiterHint : 1
; COMPUTE_PGM_RSRC2:SCRATCH_EN: 0
; COMPUTE_PGM_RSRC2:USER_SGPR: 6
; COMPUTE_PGM_RSRC2:TRAP_HANDLER: 0
; COMPUTE_PGM_RSRC2:TGID_X_EN: 1
; COMPUTE_PGM_RSRC2:TGID_Y_EN: 1
; COMPUTE_PGM_RSRC2:TGID_Z_EN: 1
; COMPUTE_PGM_RSRC2:TIDIG_COMP_CNT: 0
	.section	.text._ZN4vllm25paged_attention_v1_kernelIthLi96ELi16ELi128ELNS_18Fp8KVCacheDataTypeE1ELb1EEEvPT_PKS2_PKT0_S8_ifPKiSA_iPKfiiiSC_SC_iiiii,"axG",@progbits,_ZN4vllm25paged_attention_v1_kernelIthLi96ELi16ELi128ELNS_18Fp8KVCacheDataTypeE1ELb1EEEvPT_PKS2_PKT0_S8_ifPKiSA_iPKfiiiSC_SC_iiiii,comdat
	.protected	_ZN4vllm25paged_attention_v1_kernelIthLi96ELi16ELi128ELNS_18Fp8KVCacheDataTypeE1ELb1EEEvPT_PKS2_PKT0_S8_ifPKiSA_iPKfiiiSC_SC_iiiii ; -- Begin function _ZN4vllm25paged_attention_v1_kernelIthLi96ELi16ELi128ELNS_18Fp8KVCacheDataTypeE1ELb1EEEvPT_PKS2_PKT0_S8_ifPKiSA_iPKfiiiSC_SC_iiiii
	.globl	_ZN4vllm25paged_attention_v1_kernelIthLi96ELi16ELi128ELNS_18Fp8KVCacheDataTypeE1ELb1EEEvPT_PKS2_PKT0_S8_ifPKiSA_iPKfiiiSC_SC_iiiii
	.p2align	8
	.type	_ZN4vllm25paged_attention_v1_kernelIthLi96ELi16ELi128ELNS_18Fp8KVCacheDataTypeE1ELb1EEEvPT_PKS2_PKT0_S8_ifPKiSA_iPKfiiiSC_SC_iiiii,@function
_ZN4vllm25paged_attention_v1_kernelIthLi96ELi16ELi128ELNS_18Fp8KVCacheDataTypeE1ELb1EEEvPT_PKS2_PKT0_S8_ifPKiSA_iPKfiiiSC_SC_iiiii: ; @_ZN4vllm25paged_attention_v1_kernelIthLi96ELi16ELi128ELNS_18Fp8KVCacheDataTypeE1ELb1EEEvPT_PKS2_PKT0_S8_ifPKiSA_iPKfiiiSC_SC_iiiii
; %bb.0:
	s_load_dword s9, s[4:5], 0x80
	s_load_dwordx2 s[0:1], s[4:5], 0x30
	s_load_dwordx2 s[36:37], s[4:5], 0x20
	s_mov_b32 s10, s7
	s_ashr_i32 s11, s7, 31
	s_lshl_b64 s[2:3], s[10:11], 2
	s_waitcnt lgkmcnt(0)
	s_add_u32 s0, s0, s2
	s_addc_u32 s1, s1, s3
	s_abs_i32 s2, s36
	v_cvt_f32_u32_e32 v1, s2
	s_sub_i32 s11, 0, s2
	s_abs_i32 s7, s9
	s_xor_b32 s3, s9, s36
	v_rcp_iflag_f32_e32 v1, v1
	s_ashr_i32 s3, s3, 31
	s_mov_b32 s48, 0
	v_mul_f32_e32 v1, 0x4f7ffffe, v1
	v_cvt_u32_f32_e32 v1, v1
	v_readfirstlane_b32 s12, v1
	s_mul_i32 s11, s11, s12
	s_mul_hi_u32 s11, s12, s11
	s_add_i32 s12, s12, s11
	s_mul_hi_u32 s11, s7, s12
	s_mul_i32 s12, s11, s2
	s_sub_i32 s7, s7, s12
	s_add_i32 s12, s11, 1
	s_sub_i32 s13, s7, s2
	s_cmp_ge_u32 s7, s2
	s_cselect_b32 s11, s12, s11
	s_cselect_b32 s7, s13, s7
	s_add_i32 s12, s11, 1
	s_cmp_ge_u32 s7, s2
	s_cselect_b32 s2, s12, s11
	s_xor_b32 s2, s2, s3
	s_sub_i32 s14, s2, s3
	s_abs_i32 s11, s14
	v_cvt_f32_u32_e32 v1, s11
	s_load_dwordx2 s[2:3], s[4:5], 0x40
	s_sub_i32 s7, 0, s11
	s_abs_i32 s12, s6
	v_rcp_iflag_f32_e32 v1, v1
	v_mul_f32_e32 v1, 0x4f7ffffe, v1
	v_cvt_u32_f32_e32 v1, v1
	v_readfirstlane_b32 s13, v1
	s_mul_i32 s7, s7, s13
	s_mul_hi_u32 s7, s13, s7
	s_add_i32 s13, s13, s7
	s_waitcnt lgkmcnt(0)
	s_cmp_eq_u64 s[2:3], 0
	s_mul_hi_u32 s13, s12, s13
	s_cbranch_scc1 .LBB239_2
; %bb.1:
	s_ashr_i32 s7, s6, 31
	s_lshl_b64 s[16:17], s[6:7], 2
	s_add_u32 s2, s2, s16
	s_addc_u32 s3, s3, s17
	s_load_dword s48, s[2:3], 0x0
.LBB239_2:
	s_load_dword s33, s[0:1], 0x0
	s_load_dwordx4 s[16:19], s[4:5], 0x48
	s_ashr_i32 s2, s6, 31
	s_ashr_i32 s7, s14, 31
	v_and_b32_e32 v1, 3, v0
	s_mul_i32 s24, s6, 0x60
	v_cmp_gt_u32_e32 vcc, 48, v0
	s_and_saveexec_b64 s[0:1], vcc
	s_cbranch_execz .LBB239_4
; %bb.3:
	s_load_dwordx2 s[14:15], s[4:5], 0x8
	s_waitcnt lgkmcnt(0)
	s_mul_i32 s20, s16, s10
	s_ashr_i32 s21, s20, 31
	s_lshl_b64 s[20:21], s[20:21], 1
	v_lshlrev_b32_e32 v2, 2, v0
	s_add_u32 s3, s14, s20
	s_addc_u32 s16, s15, s21
	s_ashr_i32 s25, s24, 31
	s_lshl_b64 s[14:15], s[24:25], 1
	s_add_u32 s14, s3, s14
	s_addc_u32 s15, s16, s15
	global_load_dword v2, v2, s[14:15]
	v_and_b32_e32 v3, 0x3fc, v0
	v_mad_u32_u24 v3, v1, 48, v3
	s_waitcnt vmcnt(0)
	ds_write_b32 v3, v2
.LBB239_4:
	s_or_b64 exec, exec, s[0:1]
	s_mul_i32 s1, s13, s11
	s_sub_i32 s1, s12, s1
	s_xor_b32 s0, s2, s7
	s_add_i32 s2, s13, 1
	s_sub_i32 s7, s1, s11
	s_load_dwordx4 s[20:23], s[4:5], 0x68
	s_load_dword s3, s[4:5], 0x78
	s_cmp_ge_u32 s1, s11
	s_cselect_b32 s2, s2, s13
	s_cselect_b32 s1, s7, s1
	s_add_i32 s7, s2, 1
	s_cmp_ge_u32 s1, s11
	s_cselect_b32 s1, s7, s2
	s_waitcnt lgkmcnt(0)
	s_abs_i32 s25, s23
	v_cvt_f32_u32_e32 v2, s25
	s_xor_b32 s1, s1, s0
	s_sub_i32 s2, s1, s0
	s_sub_i32 s0, 0, s25
	v_rcp_iflag_f32_e32 v2, v2
	s_add_i32 s11, s33, -1
	s_abs_i32 s7, s11
	v_mul_f32_e32 v2, 0x4f7ffffe, v2
	v_cvt_u32_f32_e32 v2, v2
	s_barrier
	v_readfirstlane_b32 s46, v2
	s_mul_i32 s0, s0, s46
	s_mul_hi_u32 s0, s46, s0
	s_add_i32 s46, s46, s0
	s_cmp_lt_i32 s3, 0
	s_mul_hi_u32 s16, s7, s46
	s_cbranch_scc0 .LBB239_6
; %bb.5:
	s_mul_i32 s0, s20, s36
	s_add_i32 s0, s2, s0
	s_mul_i32 s0, s0, s3
	s_sub_i32 s36, 1, s0
	s_mov_b64 s[0:1], 0
	s_branch .LBB239_7
.LBB239_6:
	s_mov_b64 s[0:1], -1
                                        ; implicit-def: $sgpr36
.LBB239_7:
	s_load_dwordx2 s[28:29], s[4:5], 0x28
	s_ashr_i32 s19, s11, 31
	s_andn2_b64 vcc, exec, s[0:1]
	s_ashr_i32 s23, s23, 31
	s_cbranch_vccnz .LBB239_9
; %bb.8:
	s_mul_i32 s0, s9, s20
	s_add_i32 s0, s0, s6
	s_mul_i32 s0, s0, s3
	s_add_i32 s36, s0, 1
.LBB239_9:
	s_load_dword s0, s[4:5], 0x38
	s_load_dwordx2 s[26:27], s[4:5], 0x0
	s_load_dwordx2 s[34:35], s[4:5], 0x18
	s_load_dword s11, s[4:5], 0x88
	s_load_dwordx4 s[12:15], s[4:5], 0x58
	s_mul_i32 s1, s16, s25
	s_waitcnt lgkmcnt(0)
	s_mul_i32 s30, s0, s10
	s_sub_i32 s1, s7, s1
	s_ashr_i32 s31, s30, 31
	s_xor_b32 s0, s19, s23
	s_add_i32 s3, s16, 1
	s_sub_i32 s6, s1, s25
	s_cmp_ge_u32 s1, s25
	s_cselect_b32 s3, s3, s16
	s_cselect_b32 s1, s6, s1
	s_add_i32 s6, s3, 1
	s_cmp_ge_u32 s1, s25
	s_cselect_b32 s1, s6, s3
	s_xor_b32 s1, s1, s0
	s_sub_i32 s16, s1, s0
	s_add_i32 s0, s33, 15
	s_ashr_i32 s1, s0, 31
	s_lshr_b32 s1, s1, 28
	s_add_i32 s0, s0, s1
	s_ashr_i32 s47, s0, 4
	v_lshrrev_b32_e32 v11, 6, v0
	v_cmp_gt_i32_e64 s[0:1], s47, v11
	v_mov_b32_e32 v16, 0xff7fffff
	s_mul_i32 s20, s2, s18
	v_lshrrev_b32_e32 v9, 4, v0
	v_lshlrev_b32_e32 v12, 4, v11
	v_mbcnt_lo_u32_b32 v10, -1, 0
	s_and_saveexec_b64 s[18:19], s[0:1]
	s_cbranch_execz .LBB239_165
; %bb.10:
	s_load_dwordx2 s[2:3], s[4:5], 0x10
	s_sub_i32 s49, s16, s21
	s_ashr_i32 s4, s20, 31
	v_cmp_eq_u32_e32 vcc, 0, v1
	v_lshlrev_b32_e32 v4, 1, v1
	s_waitcnt lgkmcnt(0)
	s_add_u32 s5, s2, s20
	s_addc_u32 s4, s3, s4
	s_abs_i32 s50, s22
	v_cvt_f32_u32_e32 v2, s50
	s_sub_i32 s2, 0, s50
	v_mul_u32_u24_e32 v14, 48, v1
	v_bfe_u32 v13, v0, 2, 4
	v_rcp_iflag_f32_e32 v3, v2
	v_lshlrev_b32_e32 v5, 4, v13
	v_mov_b32_e32 v6, s4
	v_add_co_u32_e64 v5, s[4:5], s5, v5
	v_mul_f32_e32 v3, 0x4f7ffffe, v3
	v_cvt_u32_f32_e32 v3, v3
	v_addc_co_u32_e64 v6, s[4:5], 0, v6, s[4:5]
	s_mov_b32 s51, s17
	v_mul_lo_u32 v1, s2, v3
	v_mov_b32_e32 v2, 0
	v_cmp_neq_f32_e64 s[2:3], s48, 0
	v_lshlrev_b32_e32 v17, 4, v11
	v_mul_hi_u32 v1, v3, v1
	v_mov_b32_e32 v20, 0xff7fffff
	s_mov_b64 s[38:39], 0
	s_movk_i32 s52, 0x80
	v_add_u32_e32 v15, v3, v1
	v_add_co_u32_e64 v3, s[4:5], v5, v4
	v_addc_co_u32_e64 v4, s[4:5], 0, v6, s[4:5]
	s_lshl_b64 s[4:5], s[30:31], 2
	s_add_u32 s4, s28, s4
	v_and_b32_e32 v1, 60, v9
	s_addc_u32 s5, s29, s5
	v_mov_b32_e32 v6, s5
	v_add_co_u32_e64 v5, s[4:5], s4, v1
	v_subrev_u32_e32 v1, s33, v13
	v_add_u32_e32 v18, 1, v1
	v_lshlrev_b32_e32 v1, 2, v13
	v_lshl_or_b32 v1, v11, 6, v1
	v_addc_co_u32_e64 v6, s[4:5], 0, v6, s[4:5]
	v_add_u32_e32 v19, 0xd0, v1
	s_movk_i32 s53, 0x7f
	s_mov_b32 s54, 0x8000
	v_mov_b32_e32 v21, 0x2000
	v_mbcnt_hi_u32_b32 v22, -1, v10
	v_mov_b32_e32 v16, 0xff7fffff
	v_mov_b32_e32 v23, v11
	s_branch .LBB239_13
.LBB239_11:                             ;   in Loop: Header=BB239_13 Depth=1
	s_or_b64 exec, exec, s[40:41]
.LBB239_12:                             ;   in Loop: Header=BB239_13 Depth=1
	s_or_b64 exec, exec, s[6:7]
	v_add_co_u32_e64 v5, s[4:5], 8, v5
	v_add_u32_e32 v23, 2, v23
	v_addc_co_u32_e64 v6, s[4:5], 0, v6, s[4:5]
	v_cmp_le_i32_e64 s[4:5], s47, v23
	v_add_u32_e32 v17, 32, v17
	s_or_b64 s[38:39], s[4:5], s[38:39]
	v_add_u32_e32 v19, 0x80, v19
	s_andn2_b64 exec, exec, s[38:39]
	s_cbranch_execz .LBB239_164
.LBB239_13:                             ; =>This Inner Loop Header: Depth=1
	v_mul_hi_u32 v1, v17, s46
	s_waitcnt lgkmcnt(0)
	v_mul_lo_u32 v7, v1, s25
	v_add_u32_e32 v8, 1, v1
	v_sub_u32_e32 v7, v17, v7
	v_cmp_le_u32_e64 s[4:5], s25, v7
	v_cndmask_b32_e64 v1, v1, v8, s[4:5]
	v_subrev_u32_e32 v8, s25, v7
	v_cndmask_b32_e64 v7, v7, v8, s[4:5]
	v_add_u32_e32 v8, 1, v1
	v_cmp_le_u32_e64 s[4:5], s25, v7
	v_cndmask_b32_e64 v1, v1, v8, s[4:5]
	v_xor_b32_e32 v1, s23, v1
	v_subrev_u32_e32 v1, s23, v1
	v_add_u32_e32 v7, s36, v1
	v_sub_u32_e32 v8, 0, v7
	v_max_i32_e32 v8, v7, v8
	v_mul_hi_u32 v24, v8, v15
	v_ashrrev_i32_e32 v7, 31, v7
	v_cmp_ge_i32_e64 s[6:7], s49, v1
	v_mul_lo_u32 v24, v24, s50
	v_sub_u32_e32 v8, v8, v24
	v_subrev_u32_e32 v24, s50, v8
	v_cmp_le_u32_e64 s[4:5], s50, v8
	v_cndmask_b32_e64 v8, v8, v24, s[4:5]
	v_subrev_u32_e32 v24, s50, v8
	v_cmp_le_u32_e64 s[4:5], s50, v8
	v_cndmask_b32_e64 v8, v8, v24, s[4:5]
	v_xor_b32_e32 v8, v8, v7
	v_sub_u32_e32 v7, v8, v7
	v_cmp_ne_u32_e64 s[4:5], 0, v7
	s_and_b64 s[4:5], s[4:5], s[6:7]
	s_and_saveexec_b64 s[6:7], s[4:5]
	s_xor_b64 s[4:5], exec, s[6:7]
	s_cbranch_execz .LBB239_17
; %bb.14:                               ;   in Loop: Header=BB239_13 Depth=1
	s_and_saveexec_b64 s[6:7], vcc
; %bb.15:                               ;   in Loop: Header=BB239_13 Depth=1
	ds_write_b32 v19, v20
; %bb.16:                               ;   in Loop: Header=BB239_13 Depth=1
	s_or_b64 exec, exec, s[6:7]
.LBB239_17:                             ;   in Loop: Header=BB239_13 Depth=1
	s_andn2_saveexec_b64 s[6:7], s[4:5]
	s_cbranch_execz .LBB239_12
; %bb.18:                               ;   in Loop: Header=BB239_13 Depth=1
	global_load_dword v1, v[5:6], off
	v_mov_b32_e32 v25, 0
	global_load_dword v24, v25, s[12:13]
	s_waitcnt vmcnt(1)
	v_mad_i64_i32 v[7:8], s[4:5], v1, s51, v[3:4]
	global_load_ushort v26, v[7:8], off
	s_waitcnt vmcnt(0)
	v_and_b32_e32 v1, 0xffff, v26
	v_cmp_ne_u16_sdwa s[4:5], v26, v2 src0_sel:BYTE_0 src1_sel:DWORD
	v_mov_b32_e32 v26, 0
	s_and_saveexec_b64 s[40:41], s[4:5]
	s_cbranch_execz .LBB239_24
; %bb.19:                               ;   in Loop: Header=BB239_13 Depth=1
	v_cmp_ne_u16_sdwa s[4:5], v1, s52 src0_sel:BYTE_0 src1_sel:DWORD
	v_mov_b32_e32 v26, 0x8000
	s_and_saveexec_b64 s[42:43], s[4:5]
	s_cbranch_execz .LBB239_23
; %bb.20:                               ;   in Loop: Header=BB239_13 Depth=1
	v_and_b32_e32 v27, 0x7f, v1
	v_cmp_ne_u32_e64 s[4:5], s53, v27
	v_mov_b32_e32 v26, 0x7c01
	s_and_saveexec_b64 s[44:45], s[4:5]
	s_cbranch_execz .LBB239_22
; %bb.21:                               ;   in Loop: Header=BB239_13 Depth=1
	v_and_b32_e32 v26, 7, v1
	v_ffbh_u32_e32 v28, v26
	v_min_u32_e32 v31, 32, v28
	v_subrev_u32_e32 v28, 28, v31
	v_lshlrev_b64 v[28:29], v28, v[1:2]
	v_lshrrev_b32_e32 v30, 3, v27
	v_sub_u32_e32 v29, 29, v31
	v_cmp_gt_u32_e64 s[4:5], 8, v27
	v_cndmask_b32_e64 v27, v30, v29, s[4:5]
	v_lshl_add_u32 v27, v27, 10, v21
	v_lshlrev_b32_e32 v29, 8, v1
	v_and_b32_e32 v28, 7, v28
	v_and_b32_e32 v27, 0xfc00, v27
	v_cndmask_b32_e64 v26, v26, v28, s[4:5]
	v_and_or_b32 v27, v29, s54, v27
	v_lshl_or_b32 v26, v26, 7, v27
.LBB239_22:                             ;   in Loop: Header=BB239_13 Depth=1
	s_or_b64 exec, exec, s[44:45]
.LBB239_23:                             ;   in Loop: Header=BB239_13 Depth=1
	s_or_b64 exec, exec, s[42:43]
.LBB239_24:                             ;   in Loop: Header=BB239_13 Depth=1
	s_or_b64 exec, exec, s[40:41]
	v_lshrrev_b16_e32 v1, 8, v1
	v_cmp_ne_u16_e64 s[4:5], 0, v1
	s_and_saveexec_b64 s[40:41], s[4:5]
	s_cbranch_execz .LBB239_30
; %bb.25:                               ;   in Loop: Header=BB239_13 Depth=1
	v_cmp_ne_u16_e64 s[4:5], s52, v1
	v_bfrev_b32_e32 v25, 1
	s_and_saveexec_b64 s[42:43], s[4:5]
	s_cbranch_execz .LBB239_29
; %bb.26:                               ;   in Loop: Header=BB239_13 Depth=1
	v_and_b32_e32 v27, 0x7f, v1
	v_cmp_ne_u32_e64 s[4:5], s53, v27
	v_mov_b32_e32 v25, 0x7c010000
	s_and_saveexec_b64 s[44:45], s[4:5]
	s_cbranch_execz .LBB239_28
; %bb.27:                               ;   in Loop: Header=BB239_13 Depth=1
	v_and_b32_e32 v25, 7, v1
	v_ffbh_u32_e32 v28, v25
	v_min_u32_e32 v31, 32, v28
	v_subrev_u32_e32 v28, 28, v31
	v_lshlrev_b64 v[28:29], v28, v[1:2]
	v_lshrrev_b32_e32 v30, 3, v27
	v_sub_u32_e32 v29, 29, v31
	v_cmp_gt_u32_e64 s[4:5], 8, v27
	v_cndmask_b32_e64 v27, v30, v29, s[4:5]
	v_lshlrev_b32_e32 v1, 8, v1
	v_lshl_add_u32 v27, v27, 10, v21
	v_and_b32_e32 v28, 7, v28
	v_and_or_b32 v1, v1, s54, v27
	v_cndmask_b32_e64 v25, v25, v28, s[4:5]
	v_lshlrev_b32_e32 v1, 16, v1
	v_lshl_or_b32 v25, v25, 23, v1
.LBB239_28:                             ;   in Loop: Header=BB239_13 Depth=1
	s_or_b64 exec, exec, s[44:45]
.LBB239_29:                             ;   in Loop: Header=BB239_13 Depth=1
	s_or_b64 exec, exec, s[42:43]
.LBB239_30:                             ;   in Loop: Header=BB239_13 Depth=1
	s_or_b64 exec, exec, s[40:41]
	global_load_ushort v28, v[7:8], off offset:8
	v_mov_b32_e32 v27, 0
	s_waitcnt vmcnt(0)
	v_and_b32_e32 v1, 0xffff, v28
	v_cmp_ne_u16_sdwa s[4:5], v28, v2 src0_sel:BYTE_0 src1_sel:DWORD
	v_mov_b32_e32 v28, 0
	s_and_saveexec_b64 s[40:41], s[4:5]
	s_cbranch_execz .LBB239_36
; %bb.31:                               ;   in Loop: Header=BB239_13 Depth=1
	v_cmp_ne_u16_sdwa s[4:5], v1, s52 src0_sel:BYTE_0 src1_sel:DWORD
	v_mov_b32_e32 v28, 0x8000
	s_and_saveexec_b64 s[42:43], s[4:5]
	s_cbranch_execz .LBB239_35
; %bb.32:                               ;   in Loop: Header=BB239_13 Depth=1
	v_and_b32_e32 v29, 0x7f, v1
	v_cmp_ne_u32_e64 s[4:5], s53, v29
	v_mov_b32_e32 v28, 0x7c01
	s_and_saveexec_b64 s[44:45], s[4:5]
	s_cbranch_execz .LBB239_34
; %bb.33:                               ;   in Loop: Header=BB239_13 Depth=1
	v_and_b32_e32 v28, 7, v1
	v_ffbh_u32_e32 v30, v28
	v_min_u32_e32 v33, 32, v30
	v_subrev_u32_e32 v30, 28, v33
	v_lshlrev_b64 v[30:31], v30, v[1:2]
	v_lshrrev_b32_e32 v32, 3, v29
	v_sub_u32_e32 v31, 29, v33
	v_cmp_gt_u32_e64 s[4:5], 8, v29
	v_cndmask_b32_e64 v29, v32, v31, s[4:5]
	v_lshl_add_u32 v29, v29, 10, v21
	v_lshlrev_b32_e32 v31, 8, v1
	v_and_b32_e32 v30, 7, v30
	v_and_b32_e32 v29, 0xfc00, v29
	v_cndmask_b32_e64 v28, v28, v30, s[4:5]
	v_and_or_b32 v29, v31, s54, v29
	v_lshl_or_b32 v28, v28, 7, v29
.LBB239_34:                             ;   in Loop: Header=BB239_13 Depth=1
	s_or_b64 exec, exec, s[44:45]
.LBB239_35:                             ;   in Loop: Header=BB239_13 Depth=1
	s_or_b64 exec, exec, s[42:43]
.LBB239_36:                             ;   in Loop: Header=BB239_13 Depth=1
	s_or_b64 exec, exec, s[40:41]
	v_lshrrev_b16_e32 v1, 8, v1
	v_cmp_ne_u16_e64 s[4:5], 0, v1
	s_and_saveexec_b64 s[40:41], s[4:5]
	s_cbranch_execz .LBB239_42
; %bb.37:                               ;   in Loop: Header=BB239_13 Depth=1
	v_cmp_ne_u16_e64 s[4:5], s52, v1
	v_bfrev_b32_e32 v27, 1
	s_and_saveexec_b64 s[42:43], s[4:5]
	s_cbranch_execz .LBB239_41
; %bb.38:                               ;   in Loop: Header=BB239_13 Depth=1
	v_and_b32_e32 v29, 0x7f, v1
	v_cmp_ne_u32_e64 s[4:5], s53, v29
	v_mov_b32_e32 v27, 0x7c010000
	s_and_saveexec_b64 s[44:45], s[4:5]
	s_cbranch_execz .LBB239_40
; %bb.39:                               ;   in Loop: Header=BB239_13 Depth=1
	v_and_b32_e32 v27, 7, v1
	v_ffbh_u32_e32 v30, v27
	v_min_u32_e32 v33, 32, v30
	v_subrev_u32_e32 v30, 28, v33
	v_lshlrev_b64 v[30:31], v30, v[1:2]
	v_lshrrev_b32_e32 v32, 3, v29
	v_sub_u32_e32 v31, 29, v33
	v_cmp_gt_u32_e64 s[4:5], 8, v29
	v_cndmask_b32_e64 v29, v32, v31, s[4:5]
	v_lshlrev_b32_e32 v1, 8, v1
	v_lshl_add_u32 v29, v29, 10, v21
	v_and_b32_e32 v30, 7, v30
	v_and_or_b32 v1, v1, s54, v29
	v_cndmask_b32_e64 v27, v27, v30, s[4:5]
	v_lshlrev_b32_e32 v1, 16, v1
	v_lshl_or_b32 v27, v27, 23, v1
.LBB239_40:                             ;   in Loop: Header=BB239_13 Depth=1
	s_or_b64 exec, exec, s[44:45]
.LBB239_41:                             ;   in Loop: Header=BB239_13 Depth=1
	s_or_b64 exec, exec, s[42:43]
.LBB239_42:                             ;   in Loop: Header=BB239_13 Depth=1
	s_or_b64 exec, exec, s[40:41]
	global_load_ushort v30, v[7:8], off offset:256
	v_mov_b32_e32 v29, 0
	s_waitcnt vmcnt(0)
	v_and_b32_e32 v1, 0xffff, v30
	v_cmp_ne_u16_sdwa s[4:5], v30, v2 src0_sel:BYTE_0 src1_sel:DWORD
	v_mov_b32_e32 v30, 0
	s_and_saveexec_b64 s[40:41], s[4:5]
	s_cbranch_execz .LBB239_48
; %bb.43:                               ;   in Loop: Header=BB239_13 Depth=1
	v_cmp_ne_u16_sdwa s[4:5], v1, s52 src0_sel:BYTE_0 src1_sel:DWORD
	v_mov_b32_e32 v30, 0x8000
	s_and_saveexec_b64 s[42:43], s[4:5]
	s_cbranch_execz .LBB239_47
; %bb.44:                               ;   in Loop: Header=BB239_13 Depth=1
	v_and_b32_e32 v31, 0x7f, v1
	v_cmp_ne_u32_e64 s[4:5], s53, v31
	v_mov_b32_e32 v30, 0x7c01
	s_and_saveexec_b64 s[44:45], s[4:5]
	s_cbranch_execz .LBB239_46
; %bb.45:                               ;   in Loop: Header=BB239_13 Depth=1
	v_and_b32_e32 v30, 7, v1
	v_ffbh_u32_e32 v32, v30
	v_min_u32_e32 v35, 32, v32
	v_subrev_u32_e32 v32, 28, v35
	v_lshlrev_b64 v[32:33], v32, v[1:2]
	v_lshrrev_b32_e32 v34, 3, v31
	v_sub_u32_e32 v33, 29, v35
	v_cmp_gt_u32_e64 s[4:5], 8, v31
	v_cndmask_b32_e64 v31, v34, v33, s[4:5]
	v_lshl_add_u32 v31, v31, 10, v21
	v_lshlrev_b32_e32 v33, 8, v1
	v_and_b32_e32 v32, 7, v32
	v_and_b32_e32 v31, 0xfc00, v31
	v_cndmask_b32_e64 v30, v30, v32, s[4:5]
	v_and_or_b32 v31, v33, s54, v31
	v_lshl_or_b32 v30, v30, 7, v31
.LBB239_46:                             ;   in Loop: Header=BB239_13 Depth=1
	s_or_b64 exec, exec, s[44:45]
.LBB239_47:                             ;   in Loop: Header=BB239_13 Depth=1
	s_or_b64 exec, exec, s[42:43]
.LBB239_48:                             ;   in Loop: Header=BB239_13 Depth=1
	s_or_b64 exec, exec, s[40:41]
	v_lshrrev_b16_e32 v1, 8, v1
	v_cmp_ne_u16_e64 s[4:5], 0, v1
	s_and_saveexec_b64 s[40:41], s[4:5]
	s_cbranch_execz .LBB239_54
; %bb.49:                               ;   in Loop: Header=BB239_13 Depth=1
	v_cmp_ne_u16_e64 s[4:5], s52, v1
	v_bfrev_b32_e32 v29, 1
	s_and_saveexec_b64 s[42:43], s[4:5]
	s_cbranch_execz .LBB239_53
; %bb.50:                               ;   in Loop: Header=BB239_13 Depth=1
	v_and_b32_e32 v31, 0x7f, v1
	v_cmp_ne_u32_e64 s[4:5], s53, v31
	v_mov_b32_e32 v29, 0x7c010000
	s_and_saveexec_b64 s[44:45], s[4:5]
	s_cbranch_execz .LBB239_52
; %bb.51:                               ;   in Loop: Header=BB239_13 Depth=1
	v_and_b32_e32 v29, 7, v1
	v_ffbh_u32_e32 v32, v29
	v_min_u32_e32 v35, 32, v32
	v_subrev_u32_e32 v32, 28, v35
	v_lshlrev_b64 v[32:33], v32, v[1:2]
	v_lshrrev_b32_e32 v34, 3, v31
	v_sub_u32_e32 v33, 29, v35
	v_cmp_gt_u32_e64 s[4:5], 8, v31
	v_cndmask_b32_e64 v31, v34, v33, s[4:5]
	v_lshlrev_b32_e32 v1, 8, v1
	v_lshl_add_u32 v31, v31, 10, v21
	v_and_b32_e32 v32, 7, v32
	v_and_or_b32 v1, v1, s54, v31
	v_cndmask_b32_e64 v29, v29, v32, s[4:5]
	v_lshlrev_b32_e32 v1, 16, v1
	v_lshl_or_b32 v29, v29, 23, v1
.LBB239_52:                             ;   in Loop: Header=BB239_13 Depth=1
	s_or_b64 exec, exec, s[44:45]
.LBB239_53:                             ;   in Loop: Header=BB239_13 Depth=1
	s_or_b64 exec, exec, s[42:43]
.LBB239_54:                             ;   in Loop: Header=BB239_13 Depth=1
	s_or_b64 exec, exec, s[40:41]
	global_load_ushort v32, v[7:8], off offset:264
	v_mov_b32_e32 v31, 0
	s_waitcnt vmcnt(0)
	v_and_b32_e32 v1, 0xffff, v32
	v_cmp_ne_u16_sdwa s[4:5], v32, v2 src0_sel:BYTE_0 src1_sel:DWORD
	v_mov_b32_e32 v32, 0
	s_and_saveexec_b64 s[40:41], s[4:5]
	s_cbranch_execz .LBB239_60
; %bb.55:                               ;   in Loop: Header=BB239_13 Depth=1
	v_cmp_ne_u16_sdwa s[4:5], v1, s52 src0_sel:BYTE_0 src1_sel:DWORD
	v_mov_b32_e32 v32, 0x8000
	s_and_saveexec_b64 s[42:43], s[4:5]
	s_cbranch_execz .LBB239_59
; %bb.56:                               ;   in Loop: Header=BB239_13 Depth=1
	v_and_b32_e32 v33, 0x7f, v1
	v_cmp_ne_u32_e64 s[4:5], s53, v33
	v_mov_b32_e32 v32, 0x7c01
	s_and_saveexec_b64 s[44:45], s[4:5]
	s_cbranch_execz .LBB239_58
; %bb.57:                               ;   in Loop: Header=BB239_13 Depth=1
	v_and_b32_e32 v32, 7, v1
	v_ffbh_u32_e32 v34, v32
	v_min_u32_e32 v37, 32, v34
	v_subrev_u32_e32 v34, 28, v37
	v_lshlrev_b64 v[34:35], v34, v[1:2]
	v_lshrrev_b32_e32 v36, 3, v33
	v_sub_u32_e32 v35, 29, v37
	v_cmp_gt_u32_e64 s[4:5], 8, v33
	v_cndmask_b32_e64 v33, v36, v35, s[4:5]
	v_lshl_add_u32 v33, v33, 10, v21
	v_lshlrev_b32_e32 v35, 8, v1
	v_and_b32_e32 v34, 7, v34
	v_and_b32_e32 v33, 0xfc00, v33
	v_cndmask_b32_e64 v32, v32, v34, s[4:5]
	v_and_or_b32 v33, v35, s54, v33
	v_lshl_or_b32 v32, v32, 7, v33
.LBB239_58:                             ;   in Loop: Header=BB239_13 Depth=1
	s_or_b64 exec, exec, s[44:45]
.LBB239_59:                             ;   in Loop: Header=BB239_13 Depth=1
	s_or_b64 exec, exec, s[42:43]
.LBB239_60:                             ;   in Loop: Header=BB239_13 Depth=1
	s_or_b64 exec, exec, s[40:41]
	v_lshrrev_b16_e32 v1, 8, v1
	v_cmp_ne_u16_e64 s[4:5], 0, v1
	s_and_saveexec_b64 s[40:41], s[4:5]
	s_cbranch_execz .LBB239_66
; %bb.61:                               ;   in Loop: Header=BB239_13 Depth=1
	v_cmp_ne_u16_e64 s[4:5], s52, v1
	v_bfrev_b32_e32 v31, 1
	s_and_saveexec_b64 s[42:43], s[4:5]
	s_cbranch_execz .LBB239_65
; %bb.62:                               ;   in Loop: Header=BB239_13 Depth=1
	v_and_b32_e32 v33, 0x7f, v1
	v_cmp_ne_u32_e64 s[4:5], s53, v33
	v_mov_b32_e32 v31, 0x7c010000
	s_and_saveexec_b64 s[44:45], s[4:5]
	s_cbranch_execz .LBB239_64
; %bb.63:                               ;   in Loop: Header=BB239_13 Depth=1
	v_and_b32_e32 v31, 7, v1
	v_ffbh_u32_e32 v34, v31
	v_min_u32_e32 v37, 32, v34
	v_subrev_u32_e32 v34, 28, v37
	v_lshlrev_b64 v[34:35], v34, v[1:2]
	v_lshrrev_b32_e32 v36, 3, v33
	v_sub_u32_e32 v35, 29, v37
	v_cmp_gt_u32_e64 s[4:5], 8, v33
	v_cndmask_b32_e64 v33, v36, v35, s[4:5]
	v_lshlrev_b32_e32 v1, 8, v1
	v_lshl_add_u32 v33, v33, 10, v21
	v_and_b32_e32 v34, 7, v34
	v_and_or_b32 v1, v1, s54, v33
	v_cndmask_b32_e64 v31, v31, v34, s[4:5]
	v_lshlrev_b32_e32 v1, 16, v1
	v_lshl_or_b32 v31, v31, 23, v1
.LBB239_64:                             ;   in Loop: Header=BB239_13 Depth=1
	s_or_b64 exec, exec, s[44:45]
.LBB239_65:                             ;   in Loop: Header=BB239_13 Depth=1
	s_or_b64 exec, exec, s[42:43]
.LBB239_66:                             ;   in Loop: Header=BB239_13 Depth=1
	s_or_b64 exec, exec, s[40:41]
	global_load_ushort v34, v[7:8], off offset:512
	v_mov_b32_e32 v33, 0
	s_waitcnt vmcnt(0)
	v_and_b32_e32 v1, 0xffff, v34
	v_cmp_ne_u16_sdwa s[4:5], v34, v2 src0_sel:BYTE_0 src1_sel:DWORD
	v_mov_b32_e32 v34, 0
	s_and_saveexec_b64 s[40:41], s[4:5]
	s_cbranch_execz .LBB239_72
; %bb.67:                               ;   in Loop: Header=BB239_13 Depth=1
	v_cmp_ne_u16_sdwa s[4:5], v1, s52 src0_sel:BYTE_0 src1_sel:DWORD
	v_mov_b32_e32 v34, 0x8000
	s_and_saveexec_b64 s[42:43], s[4:5]
	s_cbranch_execz .LBB239_71
; %bb.68:                               ;   in Loop: Header=BB239_13 Depth=1
	v_and_b32_e32 v35, 0x7f, v1
	v_cmp_ne_u32_e64 s[4:5], s53, v35
	v_mov_b32_e32 v34, 0x7c01
	s_and_saveexec_b64 s[44:45], s[4:5]
	s_cbranch_execz .LBB239_70
; %bb.69:                               ;   in Loop: Header=BB239_13 Depth=1
	v_and_b32_e32 v34, 7, v1
	v_ffbh_u32_e32 v36, v34
	v_min_u32_e32 v39, 32, v36
	v_subrev_u32_e32 v36, 28, v39
	v_lshlrev_b64 v[36:37], v36, v[1:2]
	v_lshrrev_b32_e32 v38, 3, v35
	v_sub_u32_e32 v37, 29, v39
	v_cmp_gt_u32_e64 s[4:5], 8, v35
	v_cndmask_b32_e64 v35, v38, v37, s[4:5]
	v_lshl_add_u32 v35, v35, 10, v21
	v_lshlrev_b32_e32 v37, 8, v1
	v_and_b32_e32 v36, 7, v36
	v_and_b32_e32 v35, 0xfc00, v35
	v_cndmask_b32_e64 v34, v34, v36, s[4:5]
	v_and_or_b32 v35, v37, s54, v35
	v_lshl_or_b32 v34, v34, 7, v35
.LBB239_70:                             ;   in Loop: Header=BB239_13 Depth=1
	s_or_b64 exec, exec, s[44:45]
.LBB239_71:                             ;   in Loop: Header=BB239_13 Depth=1
	s_or_b64 exec, exec, s[42:43]
.LBB239_72:                             ;   in Loop: Header=BB239_13 Depth=1
	s_or_b64 exec, exec, s[40:41]
	v_lshrrev_b16_e32 v1, 8, v1
	v_cmp_ne_u16_e64 s[4:5], 0, v1
	s_and_saveexec_b64 s[40:41], s[4:5]
	s_cbranch_execz .LBB239_78
; %bb.73:                               ;   in Loop: Header=BB239_13 Depth=1
	v_cmp_ne_u16_e64 s[4:5], s52, v1
	v_bfrev_b32_e32 v33, 1
	s_and_saveexec_b64 s[42:43], s[4:5]
	s_cbranch_execz .LBB239_77
; %bb.74:                               ;   in Loop: Header=BB239_13 Depth=1
	v_and_b32_e32 v35, 0x7f, v1
	v_cmp_ne_u32_e64 s[4:5], s53, v35
	v_mov_b32_e32 v33, 0x7c010000
	s_and_saveexec_b64 s[44:45], s[4:5]
	s_cbranch_execz .LBB239_76
; %bb.75:                               ;   in Loop: Header=BB239_13 Depth=1
	v_and_b32_e32 v33, 7, v1
	v_ffbh_u32_e32 v36, v33
	v_min_u32_e32 v39, 32, v36
	v_subrev_u32_e32 v36, 28, v39
	v_lshlrev_b64 v[36:37], v36, v[1:2]
	v_lshrrev_b32_e32 v38, 3, v35
	v_sub_u32_e32 v37, 29, v39
	v_cmp_gt_u32_e64 s[4:5], 8, v35
	v_cndmask_b32_e64 v35, v38, v37, s[4:5]
	v_lshlrev_b32_e32 v1, 8, v1
	v_lshl_add_u32 v35, v35, 10, v21
	v_and_b32_e32 v36, 7, v36
	v_and_or_b32 v1, v1, s54, v35
	v_cndmask_b32_e64 v33, v33, v36, s[4:5]
	v_lshlrev_b32_e32 v1, 16, v1
	v_lshl_or_b32 v33, v33, 23, v1
.LBB239_76:                             ;   in Loop: Header=BB239_13 Depth=1
	s_or_b64 exec, exec, s[44:45]
.LBB239_77:                             ;   in Loop: Header=BB239_13 Depth=1
	s_or_b64 exec, exec, s[42:43]
.LBB239_78:                             ;   in Loop: Header=BB239_13 Depth=1
	s_or_b64 exec, exec, s[40:41]
	global_load_ushort v36, v[7:8], off offset:520
	v_mov_b32_e32 v35, 0
	s_waitcnt vmcnt(0)
	v_and_b32_e32 v1, 0xffff, v36
	v_cmp_ne_u16_sdwa s[4:5], v36, v2 src0_sel:BYTE_0 src1_sel:DWORD
	v_mov_b32_e32 v36, 0
	s_and_saveexec_b64 s[40:41], s[4:5]
	s_cbranch_execz .LBB239_84
; %bb.79:                               ;   in Loop: Header=BB239_13 Depth=1
	v_cmp_ne_u16_sdwa s[4:5], v1, s52 src0_sel:BYTE_0 src1_sel:DWORD
	v_mov_b32_e32 v36, 0x8000
	s_and_saveexec_b64 s[42:43], s[4:5]
	s_cbranch_execz .LBB239_83
; %bb.80:                               ;   in Loop: Header=BB239_13 Depth=1
	v_and_b32_e32 v37, 0x7f, v1
	v_cmp_ne_u32_e64 s[4:5], s53, v37
	v_mov_b32_e32 v36, 0x7c01
	s_and_saveexec_b64 s[44:45], s[4:5]
	s_cbranch_execz .LBB239_82
; %bb.81:                               ;   in Loop: Header=BB239_13 Depth=1
	v_and_b32_e32 v36, 7, v1
	v_ffbh_u32_e32 v38, v36
	v_min_u32_e32 v41, 32, v38
	v_subrev_u32_e32 v38, 28, v41
	v_lshlrev_b64 v[38:39], v38, v[1:2]
	v_lshrrev_b32_e32 v40, 3, v37
	v_sub_u32_e32 v39, 29, v41
	v_cmp_gt_u32_e64 s[4:5], 8, v37
	v_cndmask_b32_e64 v37, v40, v39, s[4:5]
	v_lshl_add_u32 v37, v37, 10, v21
	v_lshlrev_b32_e32 v39, 8, v1
	v_and_b32_e32 v38, 7, v38
	v_and_b32_e32 v37, 0xfc00, v37
	v_cndmask_b32_e64 v36, v36, v38, s[4:5]
	v_and_or_b32 v37, v39, s54, v37
	v_lshl_or_b32 v36, v36, 7, v37
.LBB239_82:                             ;   in Loop: Header=BB239_13 Depth=1
	s_or_b64 exec, exec, s[44:45]
.LBB239_83:                             ;   in Loop: Header=BB239_13 Depth=1
	s_or_b64 exec, exec, s[42:43]
.LBB239_84:                             ;   in Loop: Header=BB239_13 Depth=1
	s_or_b64 exec, exec, s[40:41]
	v_lshrrev_b16_e32 v1, 8, v1
	v_cmp_ne_u16_e64 s[4:5], 0, v1
	s_and_saveexec_b64 s[40:41], s[4:5]
	s_cbranch_execz .LBB239_90
; %bb.85:                               ;   in Loop: Header=BB239_13 Depth=1
	v_cmp_ne_u16_e64 s[4:5], s52, v1
	v_bfrev_b32_e32 v35, 1
	s_and_saveexec_b64 s[42:43], s[4:5]
	s_cbranch_execz .LBB239_89
; %bb.86:                               ;   in Loop: Header=BB239_13 Depth=1
	v_and_b32_e32 v37, 0x7f, v1
	v_cmp_ne_u32_e64 s[4:5], s53, v37
	v_mov_b32_e32 v35, 0x7c010000
	s_and_saveexec_b64 s[44:45], s[4:5]
	s_cbranch_execz .LBB239_88
; %bb.87:                               ;   in Loop: Header=BB239_13 Depth=1
	v_and_b32_e32 v35, 7, v1
	v_ffbh_u32_e32 v38, v35
	v_min_u32_e32 v41, 32, v38
	v_subrev_u32_e32 v38, 28, v41
	v_lshlrev_b64 v[38:39], v38, v[1:2]
	v_lshrrev_b32_e32 v40, 3, v37
	v_sub_u32_e32 v39, 29, v41
	v_cmp_gt_u32_e64 s[4:5], 8, v37
	v_cndmask_b32_e64 v37, v40, v39, s[4:5]
	v_lshlrev_b32_e32 v1, 8, v1
	v_lshl_add_u32 v37, v37, 10, v21
	v_and_b32_e32 v38, 7, v38
	v_and_or_b32 v1, v1, s54, v37
	v_cndmask_b32_e64 v35, v35, v38, s[4:5]
	v_lshlrev_b32_e32 v1, 16, v1
	v_lshl_or_b32 v35, v35, 23, v1
.LBB239_88:                             ;   in Loop: Header=BB239_13 Depth=1
	s_or_b64 exec, exec, s[44:45]
.LBB239_89:                             ;   in Loop: Header=BB239_13 Depth=1
	s_or_b64 exec, exec, s[42:43]
.LBB239_90:                             ;   in Loop: Header=BB239_13 Depth=1
	s_or_b64 exec, exec, s[40:41]
	global_load_ushort v38, v[7:8], off offset:768
	v_mov_b32_e32 v37, 0
	s_waitcnt vmcnt(0)
	v_and_b32_e32 v1, 0xffff, v38
	v_cmp_ne_u16_sdwa s[4:5], v38, v2 src0_sel:BYTE_0 src1_sel:DWORD
	v_mov_b32_e32 v38, 0
	s_and_saveexec_b64 s[40:41], s[4:5]
	s_cbranch_execz .LBB239_96
; %bb.91:                               ;   in Loop: Header=BB239_13 Depth=1
	v_cmp_ne_u16_sdwa s[4:5], v1, s52 src0_sel:BYTE_0 src1_sel:DWORD
	v_mov_b32_e32 v38, 0x8000
	s_and_saveexec_b64 s[42:43], s[4:5]
	s_cbranch_execz .LBB239_95
; %bb.92:                               ;   in Loop: Header=BB239_13 Depth=1
	v_and_b32_e32 v39, 0x7f, v1
	v_cmp_ne_u32_e64 s[4:5], s53, v39
	v_mov_b32_e32 v38, 0x7c01
	s_and_saveexec_b64 s[44:45], s[4:5]
	s_cbranch_execz .LBB239_94
; %bb.93:                               ;   in Loop: Header=BB239_13 Depth=1
	v_and_b32_e32 v38, 7, v1
	v_ffbh_u32_e32 v40, v38
	v_min_u32_e32 v43, 32, v40
	v_subrev_u32_e32 v40, 28, v43
	v_lshlrev_b64 v[40:41], v40, v[1:2]
	v_lshrrev_b32_e32 v42, 3, v39
	v_sub_u32_e32 v41, 29, v43
	v_cmp_gt_u32_e64 s[4:5], 8, v39
	v_cndmask_b32_e64 v39, v42, v41, s[4:5]
	v_lshl_add_u32 v39, v39, 10, v21
	v_lshlrev_b32_e32 v41, 8, v1
	v_and_b32_e32 v40, 7, v40
	v_and_b32_e32 v39, 0xfc00, v39
	v_cndmask_b32_e64 v38, v38, v40, s[4:5]
	v_and_or_b32 v39, v41, s54, v39
	v_lshl_or_b32 v38, v38, 7, v39
.LBB239_94:                             ;   in Loop: Header=BB239_13 Depth=1
	s_or_b64 exec, exec, s[44:45]
.LBB239_95:                             ;   in Loop: Header=BB239_13 Depth=1
	s_or_b64 exec, exec, s[42:43]
.LBB239_96:                             ;   in Loop: Header=BB239_13 Depth=1
	s_or_b64 exec, exec, s[40:41]
	v_lshrrev_b16_e32 v1, 8, v1
	v_cmp_ne_u16_e64 s[4:5], 0, v1
	s_and_saveexec_b64 s[40:41], s[4:5]
	s_cbranch_execz .LBB239_102
; %bb.97:                               ;   in Loop: Header=BB239_13 Depth=1
	v_cmp_ne_u16_e64 s[4:5], s52, v1
	v_bfrev_b32_e32 v37, 1
	s_and_saveexec_b64 s[42:43], s[4:5]
	s_cbranch_execz .LBB239_101
; %bb.98:                               ;   in Loop: Header=BB239_13 Depth=1
	v_and_b32_e32 v39, 0x7f, v1
	v_cmp_ne_u32_e64 s[4:5], s53, v39
	v_mov_b32_e32 v37, 0x7c010000
	s_and_saveexec_b64 s[44:45], s[4:5]
	s_cbranch_execz .LBB239_100
; %bb.99:                               ;   in Loop: Header=BB239_13 Depth=1
	v_and_b32_e32 v37, 7, v1
	v_ffbh_u32_e32 v40, v37
	v_min_u32_e32 v43, 32, v40
	v_subrev_u32_e32 v40, 28, v43
	v_lshlrev_b64 v[40:41], v40, v[1:2]
	v_lshrrev_b32_e32 v42, 3, v39
	v_sub_u32_e32 v41, 29, v43
	v_cmp_gt_u32_e64 s[4:5], 8, v39
	v_cndmask_b32_e64 v39, v42, v41, s[4:5]
	v_lshlrev_b32_e32 v1, 8, v1
	v_lshl_add_u32 v39, v39, 10, v21
	v_and_b32_e32 v40, 7, v40
	v_and_or_b32 v1, v1, s54, v39
	v_cndmask_b32_e64 v37, v37, v40, s[4:5]
	v_lshlrev_b32_e32 v1, 16, v1
	v_lshl_or_b32 v37, v37, 23, v1
.LBB239_100:                            ;   in Loop: Header=BB239_13 Depth=1
	s_or_b64 exec, exec, s[44:45]
.LBB239_101:                            ;   in Loop: Header=BB239_13 Depth=1
	s_or_b64 exec, exec, s[42:43]
.LBB239_102:                            ;   in Loop: Header=BB239_13 Depth=1
	s_or_b64 exec, exec, s[40:41]
	global_load_ushort v40, v[7:8], off offset:776
	v_mov_b32_e32 v39, 0
	s_waitcnt vmcnt(0)
	v_and_b32_e32 v1, 0xffff, v40
	v_cmp_ne_u16_sdwa s[4:5], v40, v2 src0_sel:BYTE_0 src1_sel:DWORD
	v_mov_b32_e32 v40, 0
	s_and_saveexec_b64 s[40:41], s[4:5]
	s_cbranch_execz .LBB239_108
; %bb.103:                              ;   in Loop: Header=BB239_13 Depth=1
	v_cmp_ne_u16_sdwa s[4:5], v1, s52 src0_sel:BYTE_0 src1_sel:DWORD
	v_mov_b32_e32 v40, 0x8000
	s_and_saveexec_b64 s[42:43], s[4:5]
	s_cbranch_execz .LBB239_107
; %bb.104:                              ;   in Loop: Header=BB239_13 Depth=1
	v_and_b32_e32 v41, 0x7f, v1
	v_cmp_ne_u32_e64 s[4:5], s53, v41
	v_mov_b32_e32 v40, 0x7c01
	s_and_saveexec_b64 s[44:45], s[4:5]
	s_cbranch_execz .LBB239_106
; %bb.105:                              ;   in Loop: Header=BB239_13 Depth=1
	v_and_b32_e32 v40, 7, v1
	v_ffbh_u32_e32 v42, v40
	v_min_u32_e32 v45, 32, v42
	v_subrev_u32_e32 v42, 28, v45
	v_lshlrev_b64 v[42:43], v42, v[1:2]
	v_lshrrev_b32_e32 v44, 3, v41
	v_sub_u32_e32 v43, 29, v45
	v_cmp_gt_u32_e64 s[4:5], 8, v41
	v_cndmask_b32_e64 v41, v44, v43, s[4:5]
	v_lshl_add_u32 v41, v41, 10, v21
	v_lshlrev_b32_e32 v43, 8, v1
	v_and_b32_e32 v42, 7, v42
	v_and_b32_e32 v41, 0xfc00, v41
	v_cndmask_b32_e64 v40, v40, v42, s[4:5]
	v_and_or_b32 v41, v43, s54, v41
	v_lshl_or_b32 v40, v40, 7, v41
.LBB239_106:                            ;   in Loop: Header=BB239_13 Depth=1
	s_or_b64 exec, exec, s[44:45]
.LBB239_107:                            ;   in Loop: Header=BB239_13 Depth=1
	s_or_b64 exec, exec, s[42:43]
.LBB239_108:                            ;   in Loop: Header=BB239_13 Depth=1
	s_or_b64 exec, exec, s[40:41]
	v_lshrrev_b16_e32 v1, 8, v1
	v_cmp_ne_u16_e64 s[4:5], 0, v1
	s_and_saveexec_b64 s[40:41], s[4:5]
	s_cbranch_execz .LBB239_114
; %bb.109:                              ;   in Loop: Header=BB239_13 Depth=1
	v_cmp_ne_u16_e64 s[4:5], s52, v1
	v_bfrev_b32_e32 v39, 1
	s_and_saveexec_b64 s[42:43], s[4:5]
	s_cbranch_execz .LBB239_113
; %bb.110:                              ;   in Loop: Header=BB239_13 Depth=1
	v_and_b32_e32 v41, 0x7f, v1
	v_cmp_ne_u32_e64 s[4:5], s53, v41
	v_mov_b32_e32 v39, 0x7c010000
	s_and_saveexec_b64 s[44:45], s[4:5]
	s_cbranch_execz .LBB239_112
; %bb.111:                              ;   in Loop: Header=BB239_13 Depth=1
	v_and_b32_e32 v39, 7, v1
	v_ffbh_u32_e32 v42, v39
	v_min_u32_e32 v45, 32, v42
	v_subrev_u32_e32 v42, 28, v45
	v_lshlrev_b64 v[42:43], v42, v[1:2]
	v_lshrrev_b32_e32 v44, 3, v41
	v_sub_u32_e32 v43, 29, v45
	v_cmp_gt_u32_e64 s[4:5], 8, v41
	v_cndmask_b32_e64 v41, v44, v43, s[4:5]
	v_lshlrev_b32_e32 v1, 8, v1
	v_lshl_add_u32 v41, v41, 10, v21
	v_and_b32_e32 v42, 7, v42
	v_and_or_b32 v1, v1, s54, v41
	v_cndmask_b32_e64 v39, v39, v42, s[4:5]
	v_lshlrev_b32_e32 v1, 16, v1
	v_lshl_or_b32 v39, v39, 23, v1
.LBB239_112:                            ;   in Loop: Header=BB239_13 Depth=1
	s_or_b64 exec, exec, s[44:45]
.LBB239_113:                            ;   in Loop: Header=BB239_13 Depth=1
	s_or_b64 exec, exec, s[42:43]
.LBB239_114:                            ;   in Loop: Header=BB239_13 Depth=1
	s_or_b64 exec, exec, s[40:41]
	global_load_ushort v42, v[7:8], off offset:1024
	v_mov_b32_e32 v41, 0
	s_waitcnt vmcnt(0)
	v_and_b32_e32 v1, 0xffff, v42
	v_cmp_ne_u16_sdwa s[4:5], v42, v2 src0_sel:BYTE_0 src1_sel:DWORD
	v_mov_b32_e32 v42, 0
	s_and_saveexec_b64 s[40:41], s[4:5]
	s_cbranch_execz .LBB239_120
; %bb.115:                              ;   in Loop: Header=BB239_13 Depth=1
	v_cmp_ne_u16_sdwa s[4:5], v1, s52 src0_sel:BYTE_0 src1_sel:DWORD
	v_mov_b32_e32 v42, 0x8000
	s_and_saveexec_b64 s[42:43], s[4:5]
	s_cbranch_execz .LBB239_119
; %bb.116:                              ;   in Loop: Header=BB239_13 Depth=1
	v_and_b32_e32 v43, 0x7f, v1
	v_cmp_ne_u32_e64 s[4:5], s53, v43
	v_mov_b32_e32 v42, 0x7c01
	s_and_saveexec_b64 s[44:45], s[4:5]
	s_cbranch_execz .LBB239_118
; %bb.117:                              ;   in Loop: Header=BB239_13 Depth=1
	v_and_b32_e32 v42, 7, v1
	v_ffbh_u32_e32 v44, v42
	v_min_u32_e32 v47, 32, v44
	v_subrev_u32_e32 v44, 28, v47
	v_lshlrev_b64 v[44:45], v44, v[1:2]
	v_lshrrev_b32_e32 v46, 3, v43
	v_sub_u32_e32 v45, 29, v47
	v_cmp_gt_u32_e64 s[4:5], 8, v43
	v_cndmask_b32_e64 v43, v46, v45, s[4:5]
	v_lshl_add_u32 v43, v43, 10, v21
	v_lshlrev_b32_e32 v45, 8, v1
	v_and_b32_e32 v44, 7, v44
	v_and_b32_e32 v43, 0xfc00, v43
	v_cndmask_b32_e64 v42, v42, v44, s[4:5]
	v_and_or_b32 v43, v45, s54, v43
	v_lshl_or_b32 v42, v42, 7, v43
.LBB239_118:                            ;   in Loop: Header=BB239_13 Depth=1
	s_or_b64 exec, exec, s[44:45]
.LBB239_119:                            ;   in Loop: Header=BB239_13 Depth=1
	s_or_b64 exec, exec, s[42:43]
.LBB239_120:                            ;   in Loop: Header=BB239_13 Depth=1
	s_or_b64 exec, exec, s[40:41]
	v_lshrrev_b16_e32 v1, 8, v1
	v_cmp_ne_u16_e64 s[4:5], 0, v1
	s_and_saveexec_b64 s[40:41], s[4:5]
	s_cbranch_execz .LBB239_126
; %bb.121:                              ;   in Loop: Header=BB239_13 Depth=1
	v_cmp_ne_u16_e64 s[4:5], s52, v1
	v_bfrev_b32_e32 v41, 1
	s_and_saveexec_b64 s[42:43], s[4:5]
	s_cbranch_execz .LBB239_125
; %bb.122:                              ;   in Loop: Header=BB239_13 Depth=1
	v_and_b32_e32 v43, 0x7f, v1
	v_cmp_ne_u32_e64 s[4:5], s53, v43
	v_mov_b32_e32 v41, 0x7c010000
	s_and_saveexec_b64 s[44:45], s[4:5]
	s_cbranch_execz .LBB239_124
; %bb.123:                              ;   in Loop: Header=BB239_13 Depth=1
	v_and_b32_e32 v41, 7, v1
	v_ffbh_u32_e32 v44, v41
	v_min_u32_e32 v47, 32, v44
	v_subrev_u32_e32 v44, 28, v47
	v_lshlrev_b64 v[44:45], v44, v[1:2]
	v_lshrrev_b32_e32 v46, 3, v43
	v_sub_u32_e32 v45, 29, v47
	v_cmp_gt_u32_e64 s[4:5], 8, v43
	v_cndmask_b32_e64 v43, v46, v45, s[4:5]
	v_lshlrev_b32_e32 v1, 8, v1
	v_lshl_add_u32 v43, v43, 10, v21
	v_and_b32_e32 v44, 7, v44
	v_and_or_b32 v1, v1, s54, v43
	v_cndmask_b32_e64 v41, v41, v44, s[4:5]
	v_lshlrev_b32_e32 v1, 16, v1
	v_lshl_or_b32 v41, v41, 23, v1
.LBB239_124:                            ;   in Loop: Header=BB239_13 Depth=1
	s_or_b64 exec, exec, s[44:45]
.LBB239_125:                            ;   in Loop: Header=BB239_13 Depth=1
	s_or_b64 exec, exec, s[42:43]
.LBB239_126:                            ;   in Loop: Header=BB239_13 Depth=1
	s_or_b64 exec, exec, s[40:41]
	global_load_ushort v44, v[7:8], off offset:1032
	v_mov_b32_e32 v43, 0
	s_waitcnt vmcnt(0)
	v_and_b32_e32 v1, 0xffff, v44
	v_cmp_ne_u16_sdwa s[4:5], v44, v2 src0_sel:BYTE_0 src1_sel:DWORD
	v_mov_b32_e32 v44, 0
	s_and_saveexec_b64 s[40:41], s[4:5]
	s_cbranch_execz .LBB239_132
; %bb.127:                              ;   in Loop: Header=BB239_13 Depth=1
	v_cmp_ne_u16_sdwa s[4:5], v1, s52 src0_sel:BYTE_0 src1_sel:DWORD
	v_mov_b32_e32 v44, 0x8000
	s_and_saveexec_b64 s[42:43], s[4:5]
	s_cbranch_execz .LBB239_131
; %bb.128:                              ;   in Loop: Header=BB239_13 Depth=1
	v_and_b32_e32 v45, 0x7f, v1
	v_cmp_ne_u32_e64 s[4:5], s53, v45
	v_mov_b32_e32 v44, 0x7c01
	s_and_saveexec_b64 s[44:45], s[4:5]
	s_cbranch_execz .LBB239_130
; %bb.129:                              ;   in Loop: Header=BB239_13 Depth=1
	v_and_b32_e32 v44, 7, v1
	v_ffbh_u32_e32 v46, v44
	v_min_u32_e32 v49, 32, v46
	v_subrev_u32_e32 v46, 28, v49
	v_lshlrev_b64 v[46:47], v46, v[1:2]
	v_lshrrev_b32_e32 v48, 3, v45
	v_sub_u32_e32 v47, 29, v49
	v_cmp_gt_u32_e64 s[4:5], 8, v45
	v_cndmask_b32_e64 v45, v48, v47, s[4:5]
	v_lshl_add_u32 v45, v45, 10, v21
	v_lshlrev_b32_e32 v47, 8, v1
	v_and_b32_e32 v46, 7, v46
	v_and_b32_e32 v45, 0xfc00, v45
	v_cndmask_b32_e64 v44, v44, v46, s[4:5]
	v_and_or_b32 v45, v47, s54, v45
	v_lshl_or_b32 v44, v44, 7, v45
.LBB239_130:                            ;   in Loop: Header=BB239_13 Depth=1
	s_or_b64 exec, exec, s[44:45]
.LBB239_131:                            ;   in Loop: Header=BB239_13 Depth=1
	s_or_b64 exec, exec, s[42:43]
.LBB239_132:                            ;   in Loop: Header=BB239_13 Depth=1
	s_or_b64 exec, exec, s[40:41]
	v_lshrrev_b16_e32 v1, 8, v1
	v_cmp_ne_u16_e64 s[4:5], 0, v1
	s_and_saveexec_b64 s[40:41], s[4:5]
	s_cbranch_execz .LBB239_138
; %bb.133:                              ;   in Loop: Header=BB239_13 Depth=1
	v_cmp_ne_u16_e64 s[4:5], s52, v1
	v_bfrev_b32_e32 v43, 1
	s_and_saveexec_b64 s[42:43], s[4:5]
	s_cbranch_execz .LBB239_137
; %bb.134:                              ;   in Loop: Header=BB239_13 Depth=1
	v_and_b32_e32 v45, 0x7f, v1
	v_cmp_ne_u32_e64 s[4:5], s53, v45
	v_mov_b32_e32 v43, 0x7c010000
	s_and_saveexec_b64 s[44:45], s[4:5]
	s_cbranch_execz .LBB239_136
; %bb.135:                              ;   in Loop: Header=BB239_13 Depth=1
	v_and_b32_e32 v43, 7, v1
	v_ffbh_u32_e32 v46, v43
	v_min_u32_e32 v49, 32, v46
	v_subrev_u32_e32 v46, 28, v49
	v_lshlrev_b64 v[46:47], v46, v[1:2]
	v_lshrrev_b32_e32 v48, 3, v45
	v_sub_u32_e32 v47, 29, v49
	v_cmp_gt_u32_e64 s[4:5], 8, v45
	v_cndmask_b32_e64 v45, v48, v47, s[4:5]
	v_lshlrev_b32_e32 v1, 8, v1
	v_lshl_add_u32 v45, v45, 10, v21
	v_and_b32_e32 v46, 7, v46
	v_and_or_b32 v1, v1, s54, v45
	v_cndmask_b32_e64 v43, v43, v46, s[4:5]
	v_lshlrev_b32_e32 v1, 16, v1
	v_lshl_or_b32 v43, v43, 23, v1
.LBB239_136:                            ;   in Loop: Header=BB239_13 Depth=1
	s_or_b64 exec, exec, s[44:45]
.LBB239_137:                            ;   in Loop: Header=BB239_13 Depth=1
	s_or_b64 exec, exec, s[42:43]
.LBB239_138:                            ;   in Loop: Header=BB239_13 Depth=1
	s_or_b64 exec, exec, s[40:41]
	global_load_ushort v45, v[7:8], off offset:1280
	v_mov_b32_e32 v46, 0
	v_mov_b32_e32 v47, 0
	s_waitcnt vmcnt(0)
	v_and_b32_e32 v1, 0xffff, v45
	v_cmp_ne_u16_sdwa s[4:5], v45, v2 src0_sel:BYTE_0 src1_sel:DWORD
	s_and_saveexec_b64 s[40:41], s[4:5]
	s_cbranch_execz .LBB239_144
; %bb.139:                              ;   in Loop: Header=BB239_13 Depth=1
	v_cmp_ne_u16_sdwa s[4:5], v1, s52 src0_sel:BYTE_0 src1_sel:DWORD
	v_mov_b32_e32 v47, 0x8000
	s_and_saveexec_b64 s[42:43], s[4:5]
	s_cbranch_execz .LBB239_143
; %bb.140:                              ;   in Loop: Header=BB239_13 Depth=1
	v_and_b32_e32 v45, 0x7f, v1
	v_cmp_ne_u32_e64 s[4:5], s53, v45
	v_mov_b32_e32 v47, 0x7c01
	s_and_saveexec_b64 s[44:45], s[4:5]
	s_cbranch_execz .LBB239_142
; %bb.141:                              ;   in Loop: Header=BB239_13 Depth=1
	v_and_b32_e32 v49, 7, v1
	v_ffbh_u32_e32 v47, v49
	v_min_u32_e32 v51, 32, v47
	v_subrev_u32_e32 v47, 28, v51
	v_lshlrev_b64 v[47:48], v47, v[1:2]
	v_lshrrev_b32_e32 v50, 3, v45
	v_sub_u32_e32 v48, 29, v51
	v_cmp_gt_u32_e64 s[4:5], 8, v45
	v_cndmask_b32_e64 v45, v50, v48, s[4:5]
	v_lshl_add_u32 v45, v45, 10, v21
	v_lshlrev_b32_e32 v48, 8, v1
	v_and_b32_e32 v47, 7, v47
	v_and_b32_e32 v45, 0xfc00, v45
	v_cndmask_b32_e64 v47, v49, v47, s[4:5]
	v_and_or_b32 v45, v48, s54, v45
	v_lshl_or_b32 v47, v47, 7, v45
.LBB239_142:                            ;   in Loop: Header=BB239_13 Depth=1
	s_or_b64 exec, exec, s[44:45]
.LBB239_143:                            ;   in Loop: Header=BB239_13 Depth=1
	s_or_b64 exec, exec, s[42:43]
.LBB239_144:                            ;   in Loop: Header=BB239_13 Depth=1
	s_or_b64 exec, exec, s[40:41]
	v_lshrrev_b16_e32 v1, 8, v1
	v_cmp_ne_u16_e64 s[4:5], 0, v1
	s_and_saveexec_b64 s[40:41], s[4:5]
	s_cbranch_execz .LBB239_150
; %bb.145:                              ;   in Loop: Header=BB239_13 Depth=1
	v_cmp_ne_u16_e64 s[4:5], s52, v1
	v_bfrev_b32_e32 v46, 1
	s_and_saveexec_b64 s[42:43], s[4:5]
	s_cbranch_execz .LBB239_149
; %bb.146:                              ;   in Loop: Header=BB239_13 Depth=1
	v_and_b32_e32 v45, 0x7f, v1
	v_cmp_ne_u32_e64 s[4:5], s53, v45
	v_mov_b32_e32 v46, 0x7c010000
	s_and_saveexec_b64 s[44:45], s[4:5]
	s_cbranch_execz .LBB239_148
; %bb.147:                              ;   in Loop: Header=BB239_13 Depth=1
	v_and_b32_e32 v46, 7, v1
	v_ffbh_u32_e32 v48, v46
	v_min_u32_e32 v51, 32, v48
	v_subrev_u32_e32 v48, 28, v51
	v_lshlrev_b64 v[48:49], v48, v[1:2]
	v_lshrrev_b32_e32 v50, 3, v45
	v_sub_u32_e32 v49, 29, v51
	v_cmp_gt_u32_e64 s[4:5], 8, v45
	v_cndmask_b32_e64 v45, v50, v49, s[4:5]
	v_lshlrev_b32_e32 v1, 8, v1
	v_lshl_add_u32 v45, v45, 10, v21
	v_and_b32_e32 v48, 7, v48
	v_and_or_b32 v1, v1, s54, v45
	v_cndmask_b32_e64 v46, v46, v48, s[4:5]
	v_lshlrev_b32_e32 v1, 16, v1
	v_lshl_or_b32 v46, v46, 23, v1
.LBB239_148:                            ;   in Loop: Header=BB239_13 Depth=1
	s_or_b64 exec, exec, s[44:45]
.LBB239_149:                            ;   in Loop: Header=BB239_13 Depth=1
	s_or_b64 exec, exec, s[42:43]
.LBB239_150:                            ;   in Loop: Header=BB239_13 Depth=1
	s_or_b64 exec, exec, s[40:41]
	global_load_ushort v8, v[7:8], off offset:1288
	v_mov_b32_e32 v7, 0
	v_mov_b32_e32 v45, 0
	s_waitcnt vmcnt(0)
	v_and_b32_e32 v1, 0xffff, v8
	v_cmp_ne_u16_sdwa s[4:5], v8, v2 src0_sel:BYTE_0 src1_sel:DWORD
	s_and_saveexec_b64 s[40:41], s[4:5]
	s_cbranch_execz .LBB239_156
; %bb.151:                              ;   in Loop: Header=BB239_13 Depth=1
	v_cmp_ne_u16_sdwa s[4:5], v1, s52 src0_sel:BYTE_0 src1_sel:DWORD
	v_mov_b32_e32 v45, 0x8000
	s_and_saveexec_b64 s[42:43], s[4:5]
	s_cbranch_execz .LBB239_155
; %bb.152:                              ;   in Loop: Header=BB239_13 Depth=1
	v_and_b32_e32 v8, 0x7f, v1
	v_cmp_ne_u32_e64 s[4:5], s53, v8
	v_mov_b32_e32 v45, 0x7c01
	s_and_saveexec_b64 s[44:45], s[4:5]
	s_cbranch_execz .LBB239_154
; %bb.153:                              ;   in Loop: Header=BB239_13 Depth=1
	v_and_b32_e32 v45, 7, v1
	v_ffbh_u32_e32 v48, v45
	v_min_u32_e32 v51, 32, v48
	v_subrev_u32_e32 v48, 28, v51
	v_lshlrev_b64 v[48:49], v48, v[1:2]
	v_lshrrev_b32_e32 v50, 3, v8
	v_sub_u32_e32 v49, 29, v51
	v_cmp_gt_u32_e64 s[4:5], 8, v8
	v_cndmask_b32_e64 v8, v50, v49, s[4:5]
	v_lshl_add_u32 v8, v8, 10, v21
	v_lshlrev_b32_e32 v49, 8, v1
	v_and_b32_e32 v48, 7, v48
	v_and_b32_e32 v8, 0xfc00, v8
	v_cndmask_b32_e64 v45, v45, v48, s[4:5]
	v_and_or_b32 v8, v49, s54, v8
	v_lshl_or_b32 v45, v45, 7, v8
.LBB239_154:                            ;   in Loop: Header=BB239_13 Depth=1
	s_or_b64 exec, exec, s[44:45]
.LBB239_155:                            ;   in Loop: Header=BB239_13 Depth=1
	s_or_b64 exec, exec, s[42:43]
.LBB239_156:                            ;   in Loop: Header=BB239_13 Depth=1
	s_or_b64 exec, exec, s[40:41]
	v_lshrrev_b16_e32 v1, 8, v1
	v_cmp_ne_u16_e64 s[4:5], 0, v1
	s_and_saveexec_b64 s[40:41], s[4:5]
	s_cbranch_execz .LBB239_162
; %bb.157:                              ;   in Loop: Header=BB239_13 Depth=1
	v_cmp_ne_u16_e64 s[4:5], s52, v1
	v_bfrev_b32_e32 v7, 1
	s_and_saveexec_b64 s[42:43], s[4:5]
	s_cbranch_execz .LBB239_161
; %bb.158:                              ;   in Loop: Header=BB239_13 Depth=1
	v_and_b32_e32 v8, 0x7f, v1
	v_cmp_ne_u32_e64 s[4:5], s53, v8
	v_mov_b32_e32 v7, 0x7c010000
	s_and_saveexec_b64 s[44:45], s[4:5]
	s_cbranch_execz .LBB239_160
; %bb.159:                              ;   in Loop: Header=BB239_13 Depth=1
	v_and_b32_e32 v7, 7, v1
	v_ffbh_u32_e32 v48, v7
	v_min_u32_e32 v51, 32, v48
	v_subrev_u32_e32 v48, 28, v51
	v_lshlrev_b64 v[48:49], v48, v[1:2]
	v_lshrrev_b32_e32 v50, 3, v8
	v_sub_u32_e32 v49, 29, v51
	v_cmp_gt_u32_e64 s[4:5], 8, v8
	v_cndmask_b32_e64 v8, v50, v49, s[4:5]
	v_lshlrev_b32_e32 v1, 8, v1
	v_lshl_add_u32 v8, v8, 10, v21
	v_and_b32_e32 v48, 7, v48
	v_and_or_b32 v1, v1, s54, v8
	v_cndmask_b32_e64 v7, v7, v48, s[4:5]
	v_lshlrev_b32_e32 v1, 16, v1
	v_lshl_or_b32 v7, v7, 23, v1
.LBB239_160:                            ;   in Loop: Header=BB239_13 Depth=1
	s_or_b64 exec, exec, s[44:45]
.LBB239_161:                            ;   in Loop: Header=BB239_13 Depth=1
	s_or_b64 exec, exec, s[42:43]
.LBB239_162:                            ;   in Loop: Header=BB239_13 Depth=1
	s_or_b64 exec, exec, s[40:41]
	v_or_b32_e32 v1, v46, v47
	v_fma_mixlo_f16 v8, v24, v1, 0 op_sel_hi:[0,1,0]
	v_fma_mixlo_f16 v1, v24, v46, 0 op_sel:[0,1,0] op_sel_hi:[0,1,0]
	ds_read_b32 v46, v14
	v_or_b32_e32 v26, v25, v26
	v_fma_mixlo_f16 v47, v24, v26, 0 op_sel_hi:[0,1,0]
	v_fma_mixlo_f16 v25, v24, v25, 0 op_sel:[0,1,0] op_sel_hi:[0,1,0]
	v_and_b32_e32 v25, 0xffff, v25
	s_waitcnt lgkmcnt(0)
	v_lshrrev_b32_e32 v26, 16, v46
	v_and_b32_e32 v46, 0xffff, v46
	;;#ASMSTART
	v_cvt_f32_f16 v48, v46;
	;;#ASMEND
	v_and_b32_e32 v46, 0xffff, v47
	;;#ASMSTART
	v_cvt_f32_f16 v26, v26;
	;;#ASMEND
	;;#ASMSTART
	v_cvt_f32_f16 v47, v46;
	;;#ASMEND
	;; [unrolled: 3-line block ×3, first 2 shown]
	ds_read_b32 v49, v14 offset:4
	v_or_b32_e32 v28, v27, v28
	v_fma_mixlo_f16 v28, v24, v28, 0 op_sel_hi:[0,1,0]
	v_fma_mixlo_f16 v27, v24, v27, 0 op_sel:[0,1,0] op_sel_hi:[0,1,0]
	v_or_b32_e32 v40, v39, v40
	v_fma_mixlo_f16 v25, v24, v39, 0 op_sel:[0,1,0] op_sel_hi:[0,1,0]
	s_waitcnt lgkmcnt(0)
	v_lshrrev_b32_e32 v50, 16, v49
	v_and_b32_e32 v39, 0xffff, v49
	v_and_b32_e32 v28, 0xffff, v28
	;; [unrolled: 1-line block ×3, first 2 shown]
	;;#ASMSTART
	v_cvt_f32_f16 v39, v39;
	;;#ASMEND
	;;#ASMSTART
	v_cvt_f32_f16 v49, v50;
	;;#ASMEND
	;;#ASMSTART
	v_cvt_f32_f16 v28, v28;
	;;#ASMEND
	;;#ASMSTART
	v_cvt_f32_f16 v27, v27;
	;;#ASMEND
	ds_read_b32 v50, v14 offset:8
	v_or_b32_e32 v30, v29, v30
	v_fma_mixlo_f16 v30, v24, v30, 0 op_sel_hi:[0,1,0]
	v_fma_mixlo_f16 v29, v24, v29, 0 op_sel:[0,1,0] op_sel_hi:[0,1,0]
	v_and_b32_e32 v30, 0xffff, v30
	s_waitcnt lgkmcnt(0)
	v_lshrrev_b32_e32 v51, 16, v50
	v_and_b32_e32 v50, 0xffff, v50
	v_and_b32_e32 v29, 0xffff, v29
	;;#ASMSTART
	v_cvt_f32_f16 v50, v50;
	;;#ASMEND
	;;#ASMSTART
	v_cvt_f32_f16 v51, v51;
	;;#ASMEND
	;;#ASMSTART
	v_cvt_f32_f16 v30, v30;
	;;#ASMEND
	;;#ASMSTART
	v_cvt_f32_f16 v29, v29;
	;;#ASMEND
	ds_read_b32 v52, v14 offset:12
	v_or_b32_e32 v32, v31, v32
	v_fma_mixlo_f16 v32, v24, v32, 0 op_sel_hi:[0,1,0]
	v_fma_mixlo_f16 v31, v24, v31, 0 op_sel:[0,1,0] op_sel_hi:[0,1,0]
	v_and_b32_e32 v32, 0xffff, v32
	s_waitcnt lgkmcnt(0)
	v_lshrrev_b32_e32 v53, 16, v52
	v_and_b32_e32 v52, 0xffff, v52
	v_and_b32_e32 v31, 0xffff, v31
	;; [unrolled: 21-line block ×4, first 2 shown]
	;;#ASMSTART
	v_cvt_f32_f16 v56, v56;
	;;#ASMEND
	;;#ASMSTART
	v_cvt_f32_f16 v57, v57;
	;;#ASMEND
	;; [unrolled: 3-line block ×4, first 2 shown]
	ds_read_b32 v58, v14 offset:24
	v_or_b32_e32 v38, v37, v38
	v_or_b32_e32 v44, v43, v44
	;; [unrolled: 1-line block ×3, first 2 shown]
	v_fma_mixlo_f16 v38, v24, v38, 0 op_sel_hi:[0,1,0]
	v_fma_mixlo_f16 v37, v24, v37, 0 op_sel:[0,1,0] op_sel_hi:[0,1,0]
	v_or_b32_e32 v45, v7, v45
	v_fma_mixlo_f16 v44, v24, v44, 0 op_sel_hi:[0,1,0]
	v_fma_mixlo_f16 v43, v24, v43, 0 op_sel:[0,1,0] op_sel_hi:[0,1,0]
	v_fma_mixlo_f16 v42, v24, v42, 0 op_sel_hi:[0,1,0]
	v_fma_mixlo_f16 v41, v24, v41, 0 op_sel:[0,1,0] op_sel_hi:[0,1,0]
	v_fma_mixlo_f16 v40, v24, v40, 0 op_sel_hi:[0,1,0]
	v_fma_mixlo_f16 v45, v24, v45, 0 op_sel_hi:[0,1,0]
	v_fma_mixlo_f16 v7, v24, v7, 0 op_sel:[0,1,0] op_sel_hi:[0,1,0]
	v_mul_f32_e32 v24, v39, v28
	s_waitcnt lgkmcnt(0)
	v_lshrrev_b32_e32 v39, 16, v58
	v_and_b32_e32 v28, 0xffff, v58
	v_and_b32_e32 v38, 0xffff, v38
	;; [unrolled: 1-line block ×3, first 2 shown]
	v_fmac_f32_e32 v24, v48, v47
	;;#ASMSTART
	v_cvt_f32_f16 v28, v28;
	;;#ASMEND
	;;#ASMSTART
	v_cvt_f32_f16 v39, v39;
	;;#ASMEND
	;; [unrolled: 3-line block ×4, first 2 shown]
	ds_read_b32 v47, v14 offset:28
	v_mul_f32_e32 v27, v49, v27
	v_fmac_f32_e32 v27, v26, v46
	v_fmac_f32_e32 v24, v50, v30
	v_fmac_f32_e32 v27, v51, v29
	s_waitcnt lgkmcnt(0)
	v_lshrrev_b32_e32 v29, 16, v47
	v_and_b32_e32 v26, 0xffff, v47
	v_and_b32_e32 v30, 0xffff, v40
	v_and_b32_e32 v25, 0xffff, v25
	;;#ASMSTART
	v_cvt_f32_f16 v26, v26;
	;;#ASMEND
	;;#ASMSTART
	v_cvt_f32_f16 v29, v29;
	;;#ASMEND
	;;#ASMSTART
	v_cvt_f32_f16 v30, v30;
	;;#ASMEND
	;;#ASMSTART
	v_cvt_f32_f16 v25, v25;
	;;#ASMEND
	ds_read_b32 v40, v14 offset:32
	v_fmac_f32_e32 v24, v52, v32
	v_fmac_f32_e32 v27, v53, v31
	v_fmac_f32_e32 v24, v54, v34
	v_fmac_f32_e32 v27, v55, v33
	s_waitcnt lgkmcnt(0)
	v_lshrrev_b32_e32 v32, 16, v40
	v_and_b32_e32 v31, 0xffff, v40
	v_and_b32_e32 v33, 0xffff, v42
	v_and_b32_e32 v34, 0xffff, v41
	;;#ASMSTART
	v_cvt_f32_f16 v31, v31;
	;;#ASMEND
	;;#ASMSTART
	v_cvt_f32_f16 v32, v32;
	;;#ASMEND
	;;#ASMSTART
	v_cvt_f32_f16 v33, v33;
	;;#ASMEND
	;;#ASMSTART
	v_cvt_f32_f16 v34, v34;
	;;#ASMEND
	ds_read_b32 v40, v14 offset:36
	v_fmac_f32_e32 v24, v56, v36
	;; [unrolled: 22-line block ×3, first 2 shown]
	v_fmac_f32_e32 v27, v29, v25
	v_and_b32_e32 v8, 0xffff, v8
	v_and_b32_e32 v1, 0xffff, v1
	s_waitcnt lgkmcnt(0)
	v_lshrrev_b32_e32 v26, 16, v38
	v_and_b32_e32 v25, 0xffff, v38
	;;#ASMSTART
	v_cvt_f32_f16 v25, v25;
	;;#ASMEND
	;;#ASMSTART
	v_cvt_f32_f16 v26, v26;
	;;#ASMEND
	;; [unrolled: 3-line block ×4, first 2 shown]
	ds_read_b32 v29, v14 offset:44
	v_fmac_f32_e32 v24, v31, v33
	v_fmac_f32_e32 v27, v32, v34
	v_fmac_f32_e32 v24, v28, v36
	v_fmac_f32_e32 v27, v35, v37
	v_fmac_f32_e32 v24, v25, v8
	v_fmac_f32_e32 v27, v26, v1
	s_waitcnt lgkmcnt(0)
	v_lshrrev_b32_e32 v8, 16, v29
	v_and_b32_e32 v1, 0xffff, v29
	v_and_b32_e32 v25, 0xffff, v45
	;; [unrolled: 1-line block ×3, first 2 shown]
	;;#ASMSTART
	v_cvt_f32_f16 v1, v1;
	;;#ASMEND
	;;#ASMSTART
	v_cvt_f32_f16 v8, v8;
	;;#ASMEND
	;; [unrolled: 3-line block ×4, first 2 shown]
	v_fmac_f32_e32 v27, v8, v7
	v_and_b32_e32 v7, 64, v22
	v_add_u32_e32 v7, 64, v7
	v_xor_b32_e32 v8, 2, v22
	v_cmp_lt_i32_e64 s[4:5], v8, v7
	v_fmac_f32_e32 v24, v1, v25
	v_cndmask_b32_e64 v8, v22, v8, s[4:5]
	v_add_f32_e32 v1, v24, v27
	v_lshlrev_b32_e32 v8, 2, v8
	ds_bpermute_b32 v8, v8, v1
	s_waitcnt lgkmcnt(0)
	v_add_f32_e32 v1, v1, v8
	v_xor_b32_e32 v8, 1, v22
	v_cmp_lt_i32_e64 s[4:5], v8, v7
	v_cndmask_b32_e64 v7, v22, v8, s[4:5]
	v_lshlrev_b32_e32 v7, 2, v7
	ds_bpermute_b32 v7, v7, v1
	s_and_saveexec_b64 s[40:41], vcc
	s_cbranch_execz .LBB239_11
; %bb.163:                              ;   in Loop: Header=BB239_13 Depth=1
	v_add_u32_e32 v8, v18, v17
	v_cvt_f32_i32_e32 v8, v8
	s_waitcnt lgkmcnt(0)
	v_add_f32_e32 v1, v1, v7
	v_add_u32_e32 v24, v13, v17
	v_cmp_gt_i32_e64 s[4:5], s33, v24
	v_mul_f32_e32 v7, s48, v8
	v_cndmask_b32_e64 v7, 0, v7, s[2:3]
	v_fmac_f32_e32 v7, s37, v1
	v_cndmask_b32_e64 v1, 0, v7, s[4:5]
	ds_write_b32 v19, v1
	v_max_f32_e32 v1, v16, v16
	v_max_f32_e32 v1, v1, v7
	v_cndmask_b32_e64 v16, v16, v1, s[4:5]
	s_branch .LBB239_11
.LBB239_164:
	s_or_b64 exec, exec, s[38:39]
.LBB239_165:
	s_or_b64 exec, exec, s[18:19]
	v_mbcnt_hi_u32_b32 v1, -1, v10
	v_and_b32_e32 v10, 64, v1
	v_add_u32_e32 v2, 64, v10
	v_xor_b32_e32 v3, 32, v1
	v_cmp_lt_i32_e32 vcc, v3, v2
	v_cndmask_b32_e32 v3, v1, v3, vcc
	v_lshlrev_b32_e32 v3, 2, v3
	ds_bpermute_b32 v4, v3, v16
	v_xor_b32_e32 v6, 16, v1
	v_max_f32_e32 v5, v16, v16
	v_cmp_lt_i32_e32 vcc, v6, v2
	s_waitcnt lgkmcnt(1)
	v_xor_b32_e32 v7, 8, v1
	s_waitcnt lgkmcnt(0)
	v_max_f32_e32 v4, v4, v4
	v_max_f32_e32 v5, v5, v4
	v_cndmask_b32_e32 v4, v1, v6, vcc
	v_lshlrev_b32_e32 v4, 2, v4
	ds_bpermute_b32 v6, v4, v5
	v_cmp_lt_i32_e32 vcc, v7, v2
	v_xor_b32_e32 v8, 4, v1
	v_and_b32_e32 v13, 63, v0
	s_waitcnt lgkmcnt(0)
	v_max_f32_e32 v6, v6, v6
	v_max_f32_e32 v5, v5, v6
	v_cndmask_b32_e32 v6, v1, v7, vcc
	v_lshlrev_b32_e32 v7, 2, v6
	ds_bpermute_b32 v6, v7, v5
	v_cmp_lt_i32_e32 vcc, v8, v2
	s_waitcnt lgkmcnt(0)
	v_max_f32_e32 v6, v6, v6
	v_max_f32_e32 v6, v5, v6
	v_cndmask_b32_e32 v5, v1, v8, vcc
	v_lshlrev_b32_e32 v8, 2, v5
	ds_bpermute_b32 v14, v8, v6
	v_cmp_eq_u32_e32 vcc, 0, v13
	v_lshlrev_b32_e32 v5, 2, v11
	s_and_saveexec_b64 s[2:3], vcc
	s_cbranch_execz .LBB239_167
; %bb.166:
	s_waitcnt lgkmcnt(0)
	v_max_f32_e32 v14, v14, v14
	v_max_f32_e32 v6, v6, v6
	;; [unrolled: 1-line block ×3, first 2 shown]
	ds_write_b32 v5, v6 offset:192
.LBB239_167:
	s_or_b64 exec, exec, s[2:3]
	v_cmp_gt_u32_e64 s[2:3], 2, v13
	v_mov_b32_e32 v15, 0xff7fffff
	v_lshlrev_b32_e32 v6, 2, v13
	s_waitcnt lgkmcnt(0)
	s_barrier
	s_and_saveexec_b64 s[4:5], s[2:3]
; %bb.168:
	ds_read_b32 v15, v6 offset:192
; %bb.169:
	s_or_b64 exec, exec, s[4:5]
	v_xor_b32_e32 v14, 1, v1
	v_cmp_lt_i32_e64 s[4:5], v14, v2
	v_cndmask_b32_e64 v14, v1, v14, s[4:5]
	v_lshlrev_b32_e32 v14, 2, v14
	s_waitcnt lgkmcnt(0)
	ds_bpermute_b32 v16, v14, v15
	v_max_f32_e32 v15, v15, v15
	v_lshlrev_b32_e32 v10, 2, v10
	s_lshl_b32 s4, s47, 4
	s_min_i32 s37, s4, s33
	s_waitcnt lgkmcnt(0)
	v_max_f32_e32 v16, v16, v16
	v_max_f32_e32 v15, v15, v16
	ds_bpermute_b32 v15, v10, v15
	v_cmp_gt_i32_e64 s[4:5], s37, v0
	v_mov_b32_e32 v10, 0
	s_and_saveexec_b64 s[12:13], s[4:5]
	s_cbranch_execz .LBB239_173
; %bb.170:
	v_mov_b32_e32 v10, 0xd0
	v_lshl_add_u32 v16, v0, 2, v10
	v_mov_b32_e32 v10, 0
	s_mov_b64 s[18:19], 0
	v_mov_b32_e32 v17, v0
.LBB239_171:                            ; =>This Inner Loop Header: Depth=1
	ds_read_b32 v18, v16
	v_add_u32_e32 v17, 0x80, v17
	v_cmp_le_i32_e64 s[6:7], s37, v17
	s_or_b64 s[18:19], s[6:7], s[18:19]
	s_waitcnt lgkmcnt(0)
	v_sub_f32_e32 v18, v18, v15
	v_mul_f32_e32 v18, 0x3fb8aa3b, v18
	v_exp_f32_e32 v18, v18
	ds_write_b32 v16, v18
	v_add_f32_e32 v10, v10, v18
	v_add_u32_e32 v16, 0x200, v16
	s_andn2_b64 exec, exec, s[18:19]
	s_cbranch_execnz .LBB239_171
; %bb.172:
	s_or_b64 exec, exec, s[18:19]
.LBB239_173:
	s_or_b64 exec, exec, s[12:13]
	ds_bpermute_b32 v3, v3, v10
	s_waitcnt lgkmcnt(0)
	v_add_f32_e32 v3, v10, v3
	ds_bpermute_b32 v4, v4, v3
	s_waitcnt lgkmcnt(0)
	v_add_f32_e32 v3, v3, v4
	ds_bpermute_b32 v4, v7, v3
	v_xor_b32_e32 v7, 2, v1
	v_cmp_lt_i32_e64 s[6:7], v7, v2
	v_cndmask_b32_e64 v2, v1, v7, s[6:7]
	v_lshlrev_b32_e32 v2, 2, v2
	s_waitcnt lgkmcnt(0)
	v_add_f32_e32 v3, v3, v4
	ds_bpermute_b32 v4, v8, v3
	s_waitcnt lgkmcnt(0)
	v_add_f32_e32 v3, v3, v4
	ds_bpermute_b32 v2, v2, v3
	;; [unrolled: 3-line block ×3, first 2 shown]
	s_waitcnt lgkmcnt(0)
	v_add_f32_e32 v2, v2, v3
	s_and_saveexec_b64 s[6:7], vcc
; %bb.174:
	ds_write_b32 v5, v2 offset:200
; %bb.175:
	s_or_b64 exec, exec, s[6:7]
	s_waitcnt lgkmcnt(0)
	s_barrier
	s_and_saveexec_b64 s[6:7], s[2:3]
; %bb.176:
	ds_read_b32 v2, v6 offset:200
; %bb.177:
	s_or_b64 exec, exec, s[6:7]
	s_waitcnt lgkmcnt(0)
	ds_bpermute_b32 v3, v14, v2
	v_lshlrev_b32_e32 v1, 2, v1
	v_and_b32_e32 v1, 0x100, v1
	s_waitcnt lgkmcnt(0)
	v_add_f32_e32 v2, v2, v3
	ds_bpermute_b32 v1, v1, v2
	s_and_saveexec_b64 s[2:3], s[4:5]
	s_cbranch_execz .LBB239_180
; %bb.178:
	s_waitcnt lgkmcnt(0)
	v_add_f32_e32 v2, 0x358637bd, v1
	v_div_scale_f32 v1, s[4:5], v2, v2, 1.0
	v_div_scale_f32 v3, vcc, 1.0, v2, 1.0
	s_mov_b64 s[4:5], 0
	v_rcp_f32_e32 v4, v1
	v_fma_f32 v5, -v1, v4, 1.0
	v_fmac_f32_e32 v4, v5, v4
	v_mul_f32_e32 v5, v3, v4
	v_fma_f32 v6, -v1, v5, v3
	v_fmac_f32_e32 v5, v6, v4
	v_fma_f32 v1, -v1, v5, v3
	v_div_fmas_f32 v3, v1, v4, v5
	v_mov_b32_e32 v1, 0xd0
	v_lshl_add_u32 v1, v0, 2, v1
	v_div_fixup_f32 v2, v3, v2, 1.0
	v_mov_b32_e32 v3, v0
.LBB239_179:                            ; =>This Inner Loop Header: Depth=1
	ds_read_b32 v4, v1
	v_add_u32_e32 v3, 0x80, v3
	v_cmp_le_i32_e32 vcc, s37, v3
	s_or_b64 s[4:5], vcc, s[4:5]
	s_waitcnt lgkmcnt(0)
	v_mul_f32_e32 v4, v2, v4
	ds_write_b32 v1, v4
	v_add_u32_e32 v1, 0x200, v1
	s_andn2_b64 exec, exec, s[4:5]
	s_cbranch_execnz .LBB239_179
.LBB239_180:
	s_or_b64 exec, exec, s[2:3]
	v_mov_b32_e32 v18, 0
	v_and_b32_e32 v15, 1, v0
	v_mov_b32_e32 v19, 0
	v_mov_b32_e32 v17, 0
	s_waitcnt lgkmcnt(0)
	s_barrier
	s_and_saveexec_b64 s[2:3], s[0:1]
	s_cbranch_execz .LBB239_336
; %bb.181:
	s_sub_i32 s37, s16, s21
	s_ashr_i32 s0, s20, 31
	s_add_u32 s1, s34, s20
	s_addc_u32 s0, s35, s0
	s_abs_i32 s22, s22
	v_cvt_f32_u32_e32 v1, s22
	s_sub_i32 s6, 0, s22
	v_lshlrev_b32_e32 v3, 3, v0
	v_and_b32_e32 v16, 8, v3
	v_rcp_iflag_f32_e32 v1, v1
	v_and_b32_e32 v3, 0x1f8, v3
	s_add_i32 s35, s47, -1
	v_mov_b32_e32 v5, s0
	v_mul_f32_e32 v1, 0x4f7ffffe, v1
	v_cvt_u32_f32_e32 v1, v1
	v_add_co_u32_e32 v3, vcc, s1, v3
	s_lshl_b64 s[0:1], s[30:31], 2
	v_mul_lo_u32 v4, s6, v1
	s_add_u32 s0, s28, s0
	s_addc_u32 s1, s29, s1
	s_mov_b32 s4, -1
	v_mul_hi_u32 v6, v1, v4
	v_addc_co_u32_e32 v4, vcc, 0, v5, vcc
	s_mov_b32 s34, s17
	v_add_u32_e32 v20, v1, v6
	v_and_b32_e32 v1, 60, v9
	v_add_co_u32_e32 v5, vcc, s0, v1
	v_lshlrev_b32_e32 v1, 5, v15
	v_mov_b32_e32 v6, s1
	v_lshl_or_b32 v1, v11, 6, v1
	s_mov_b32 s5, 0xffffff
	v_mov_b32_e32 v2, 0
	v_addc_co_u32_e32 v6, vcc, 0, v6, vcc
	v_add_u32_e32 v21, 0xd0, v1
	s_mov_b64 s[6:7], 0
	s_movk_i32 s28, 0x80
	s_movk_i32 s29, 0x7f
	s_mov_b32 s30, 0x8000
	v_mov_b32_e32 v22, 0x2000
	v_mov_b32_e32 v17, 0
	;; [unrolled: 1-line block ×4, first 2 shown]
	s_branch .LBB239_184
.LBB239_182:                            ;   in Loop: Header=BB239_184 Depth=1
	s_or_b64 exec, exec, s[0:1]
	v_add_f32_e32 v9, v9, v10
	v_add_f32_e32 v19, v19, v9
	;; [unrolled: 1-line block ×3, first 2 shown]
	;;#ASMSTART
	v_pk_mul_f16 v7, v34, v7;

	;;#ASMEND
	;;#ASMSTART
	v_pk_mul_f16 v1, v33, v1;

	;;#ASMEND
	v_add_f32_e32 v18, v18, v9
	;;#ASMSTART
	v_pk_mul_f16 v8, v32, v8;

	;;#ASMEND
	;;#ASMSTART
	v_pk_mul_f16 v9, v31, v37;

	;;#ASMEND
	;;#ASMSTART
	v_pk_add_f16 v1, v7, v1;

	;;#ASMEND
	;;#ASMSTART
	v_pk_add_f16 v1, v1, v8;

	;;#ASMEND
	;;#ASMSTART
	v_pk_add_f16 v1, v1, v9;

	;;#ASMEND
	v_lshrrev_b32_e32 v7, 16, v1
	v_and_b32_e32 v1, 0xffff, v1
	;;#ASMSTART
	v_cvt_f32_f16 v1, v1;
	;;#ASMEND
	;;#ASMSTART
	v_cvt_f32_f16 v7, v7;
	;;#ASMEND
	v_add_f32_e32 v1, v1, v7
	v_add_f32_e32 v17, v17, v1
.LBB239_183:                            ;   in Loop: Header=BB239_184 Depth=1
	s_or_b64 exec, exec, s[12:13]
	v_add_co_u32_e32 v5, vcc, 8, v5
	v_add_u32_e32 v11, 2, v11
	v_addc_co_u32_e32 v6, vcc, 0, v6, vcc
	v_cmp_le_i32_e32 vcc, s47, v11
	v_add_u32_e32 v12, 32, v12
	s_or_b64 s[6:7], vcc, s[6:7]
	v_add_u32_e32 v21, 0x80, v21
	s_andn2_b64 exec, exec, s[6:7]
	s_cbranch_execz .LBB239_335
.LBB239_184:                            ; =>This Inner Loop Header: Depth=1
	v_mul_hi_u32 v1, v12, s46
	v_mul_lo_u32 v7, v1, s25
	v_add_u32_e32 v8, 1, v1
	v_sub_u32_e32 v7, v12, v7
	v_cmp_le_u32_e32 vcc, s25, v7
	v_cndmask_b32_e32 v1, v1, v8, vcc
	v_subrev_u32_e32 v8, s25, v7
	v_cndmask_b32_e32 v7, v7, v8, vcc
	v_add_u32_e32 v8, 1, v1
	v_cmp_le_u32_e32 vcc, s25, v7
	v_cndmask_b32_e32 v1, v1, v8, vcc
	v_xor_b32_e32 v1, s23, v1
	v_subrev_u32_e32 v1, s23, v1
	v_add_u32_e32 v7, s36, v1
	v_sub_u32_e32 v8, 0, v7
	v_max_i32_e32 v8, v7, v8
	v_mul_hi_u32 v9, v8, v20
	v_ashrrev_i32_e32 v7, 31, v7
	v_cmp_lt_i32_e64 s[0:1], s37, v1
	v_mul_lo_u32 v9, v9, s22
	v_sub_u32_e32 v8, v8, v9
	v_subrev_u32_e32 v9, s22, v8
	v_cmp_le_u32_e32 vcc, s22, v8
	v_cndmask_b32_e32 v8, v8, v9, vcc
	v_subrev_u32_e32 v9, s22, v8
	v_cmp_le_u32_e32 vcc, s22, v8
	v_cndmask_b32_e32 v8, v8, v9, vcc
	v_xor_b32_e32 v8, v8, v7
	v_sub_u32_e32 v7, v8, v7
	v_cmp_eq_u32_e32 vcc, 0, v7
	s_or_b64 s[0:1], vcc, s[0:1]
	s_and_saveexec_b64 s[12:13], s[0:1]
	s_cbranch_execz .LBB239_183
; %bb.185:                              ;   in Loop: Header=BB239_184 Depth=1
	global_load_dword v1, v[5:6], off
	ds_read2_b64 v[7:10], v21 offset1:1
	ds_read2_b64 v[23:26], v21 offset0:2 offset1:3
	s_waitcnt lgkmcnt(1)
	;;#ASMSTART
	v_cvt_f16_f32 v31, v7;

	;;#ASMEND
	;;#ASMSTART
	v_cvt_f16_f32 v32, v8;

	;;#ASMEND
	;; [unrolled: 4-line block ×4, first 2 shown]
	s_waitcnt lgkmcnt(0)
	;;#ASMSTART
	v_cvt_f16_f32 v36, v23;

	;;#ASMEND
	;;#ASMSTART
	v_cvt_f16_f32 v37, v24;

	;;#ASMEND
	;; [unrolled: 4-line block ×4, first 2 shown]
	v_mov_b32_e32 v25, 0
	global_load_dword v24, v25, s[14:15]
	v_mov_b32_e32 v26, 0
	s_waitcnt vmcnt(1)
	v_mad_i64_i32 v[7:8], s[0:1], v1, s34, v[3:4]
	global_load_dwordx2 v[9:10], v[7:8], off
	s_waitcnt vmcnt(0)
	v_cmp_ne_u16_sdwa s[16:17], v9, v2 src0_sel:BYTE_0 src1_sel:DWORD
	s_and_saveexec_b64 s[0:1], s[16:17]
	s_cbranch_execz .LBB239_191
; %bb.186:                              ;   in Loop: Header=BB239_184 Depth=1
	v_cmp_ne_u16_sdwa s[18:19], v9, s28 src0_sel:BYTE_0 src1_sel:DWORD
	v_mov_b32_e32 v26, 0x8000
	s_and_saveexec_b64 s[16:17], s[18:19]
	s_cbranch_execz .LBB239_190
; %bb.187:                              ;   in Loop: Header=BB239_184 Depth=1
	v_and_b32_e32 v1, 0x7f, v9
	v_cmp_ne_u32_e32 vcc, s29, v1
	v_mov_b32_e32 v26, 0x7c01
	s_and_saveexec_b64 s[18:19], vcc
	s_cbranch_execz .LBB239_189
; %bb.188:                              ;   in Loop: Header=BB239_184 Depth=1
	v_and_b32_e32 v23, 7, v9
	v_ffbh_u32_e32 v26, v23
	v_min_u32_e32 v29, 32, v26
	v_subrev_u32_e32 v26, 28, v29
	v_lshlrev_b64 v[26:27], v26, v[9:10]
	v_lshrrev_b32_e32 v28, 3, v1
	v_sub_u32_e32 v27, 29, v29
	v_cmp_gt_u32_e32 vcc, 8, v1
	v_cndmask_b32_e32 v1, v28, v27, vcc
	v_lshl_add_u32 v1, v1, 10, v22
	v_lshlrev_b32_e32 v27, 8, v9
	v_and_b32_e32 v26, 7, v26
	v_and_b32_e32 v1, 0xfc00, v1
	v_cndmask_b32_e32 v23, v23, v26, vcc
	v_and_or_b32 v1, v27, s30, v1
	v_lshl_or_b32 v26, v23, 7, v1
.LBB239_189:                            ;   in Loop: Header=BB239_184 Depth=1
	s_or_b64 exec, exec, s[18:19]
.LBB239_190:                            ;   in Loop: Header=BB239_184 Depth=1
	s_or_b64 exec, exec, s[16:17]
.LBB239_191:                            ;   in Loop: Header=BB239_184 Depth=1
	s_or_b64 exec, exec, s[0:1]
	v_lshrrev_b16_e32 v1, 8, v9
	v_cmp_ne_u16_e32 vcc, 0, v1
	s_and_saveexec_b64 s[0:1], vcc
	s_cbranch_execz .LBB239_197
; %bb.192:                              ;   in Loop: Header=BB239_184 Depth=1
	v_cmp_ne_u16_e32 vcc, s28, v1
	v_bfrev_b32_e32 v25, 1
	s_and_saveexec_b64 s[16:17], vcc
	s_cbranch_execz .LBB239_196
; %bb.193:                              ;   in Loop: Header=BB239_184 Depth=1
	v_and_b32_e32 v23, 0x7f, v1
	v_cmp_ne_u32_e32 vcc, s29, v23
	v_mov_b32_e32 v25, 0x7c010000
	s_and_saveexec_b64 s[18:19], vcc
	s_cbranch_execz .LBB239_195
; %bb.194:                              ;   in Loop: Header=BB239_184 Depth=1
	v_and_b32_e32 v25, 7, v1
	v_ffbh_u32_e32 v27, v25
	v_min_u32_e32 v30, 32, v27
	v_subrev_u32_e32 v27, 28, v30
	v_lshlrev_b64 v[27:28], v27, v[1:2]
	v_lshrrev_b32_e32 v29, 3, v23
	v_sub_u32_e32 v28, 29, v30
	v_cmp_gt_u32_e32 vcc, 8, v23
	v_cndmask_b32_e32 v23, v29, v28, vcc
	v_lshlrev_b32_e32 v1, 8, v1
	v_lshl_add_u32 v23, v23, 10, v22
	v_and_b32_e32 v27, 7, v27
	v_and_or_b32 v1, v1, s30, v23
	v_cndmask_b32_e32 v25, v25, v27, vcc
	v_lshlrev_b32_e32 v1, 16, v1
	v_lshl_or_b32 v25, v25, 23, v1
.LBB239_195:                            ;   in Loop: Header=BB239_184 Depth=1
	s_or_b64 exec, exec, s[18:19]
.LBB239_196:                            ;   in Loop: Header=BB239_184 Depth=1
	s_or_b64 exec, exec, s[16:17]
.LBB239_197:                            ;   in Loop: Header=BB239_184 Depth=1
	s_or_b64 exec, exec, s[0:1]
	v_lshrrev_b32_e32 v1, 16, v9
	v_cmp_ne_u16_sdwa s[16:17], v1, v2 src0_sel:BYTE_0 src1_sel:DWORD
	v_mov_b32_e32 v27, 0
	v_mov_b32_e32 v28, 0
	s_and_saveexec_b64 s[0:1], s[16:17]
	s_cbranch_execz .LBB239_203
; %bb.198:                              ;   in Loop: Header=BB239_184 Depth=1
	v_cmp_ne_u16_sdwa s[18:19], v1, s28 src0_sel:BYTE_0 src1_sel:DWORD
	v_mov_b32_e32 v28, 0x8000
	s_and_saveexec_b64 s[16:17], s[18:19]
	s_cbranch_execz .LBB239_202
; %bb.199:                              ;   in Loop: Header=BB239_184 Depth=1
	v_bfe_u32 v23, v9, 16, 7
	v_cmp_ne_u32_e32 vcc, s29, v23
	v_mov_b32_e32 v28, 0x7c01
	s_and_saveexec_b64 s[18:19], vcc
	s_cbranch_execz .LBB239_201
; %bb.200:                              ;   in Loop: Header=BB239_184 Depth=1
	v_and_b32_e32 v30, 7, v1
	v_ffbh_u32_e32 v28, v30
	v_min_u32_e32 v40, 32, v28
	v_subrev_u32_e32 v28, 28, v40
	v_lshlrev_b64 v[28:29], v28, v[1:2]
	v_lshrrev_b32_e32 v34, 3, v23
	v_sub_u32_e32 v29, 29, v40
	v_cmp_gt_u32_e32 vcc, 8, v23
	v_cndmask_b32_e32 v23, v34, v29, vcc
	v_lshl_add_u32 v23, v23, 10, v22
	v_lshlrev_b32_e32 v1, 8, v1
	v_and_b32_e32 v28, 7, v28
	v_and_b32_e32 v23, 0xfc00, v23
	v_cndmask_b32_e32 v28, v30, v28, vcc
	v_and_or_b32 v1, v1, s30, v23
	v_lshl_or_b32 v28, v28, 7, v1
.LBB239_201:                            ;   in Loop: Header=BB239_184 Depth=1
	s_or_b64 exec, exec, s[18:19]
.LBB239_202:                            ;   in Loop: Header=BB239_184 Depth=1
	s_or_b64 exec, exec, s[16:17]
.LBB239_203:                            ;   in Loop: Header=BB239_184 Depth=1
	s_or_b64 exec, exec, s[0:1]
	v_cmp_lt_u32_e32 vcc, s5, v9
	s_and_saveexec_b64 s[0:1], vcc
	s_cbranch_execz .LBB239_209
; %bb.204:                              ;   in Loop: Header=BB239_184 Depth=1
	v_lshrrev_b32_e32 v1, 24, v9
	v_cmp_ne_u32_e32 vcc, s28, v1
	v_bfrev_b32_e32 v27, 1
	s_and_saveexec_b64 s[16:17], vcc
	s_cbranch_execz .LBB239_208
; %bb.205:                              ;   in Loop: Header=BB239_184 Depth=1
	v_and_b32_e32 v23, 0x7f, v1
	v_cmp_ne_u32_e32 vcc, s29, v23
	v_mov_b32_e32 v27, 0x7c010000
	s_and_saveexec_b64 s[18:19], vcc
	s_cbranch_execz .LBB239_207
; %bb.206:                              ;   in Loop: Header=BB239_184 Depth=1
	v_and_b32_e32 v27, 7, v1
	v_ffbh_u32_e32 v29, v27
	v_min_u32_e32 v40, 32, v29
	v_subrev_u32_e32 v29, 28, v40
	v_lshlrev_b64 v[29:30], v29, v[1:2]
	v_lshrrev_b32_e32 v34, 3, v23
	v_sub_u32_e32 v30, 29, v40
	v_cmp_gt_u32_e32 vcc, 8, v23
	v_cndmask_b32_e32 v23, v34, v30, vcc
	v_lshlrev_b32_e32 v1, 8, v1
	v_lshl_add_u32 v23, v23, 10, v22
	v_and_b32_e32 v29, 7, v29
	v_and_or_b32 v1, v1, s30, v23
	v_cndmask_b32_e32 v27, v27, v29, vcc
	v_lshlrev_b32_e32 v1, 16, v1
	v_lshl_or_b32 v27, v27, 23, v1
.LBB239_207:                            ;   in Loop: Header=BB239_184 Depth=1
	s_or_b64 exec, exec, s[18:19]
.LBB239_208:                            ;   in Loop: Header=BB239_184 Depth=1
	s_or_b64 exec, exec, s[16:17]
.LBB239_209:                            ;   in Loop: Header=BB239_184 Depth=1
	s_or_b64 exec, exec, s[0:1]
	v_mov_b32_e32 v1, v10
	v_cmp_ne_u16_sdwa s[16:17], v10, v2 src0_sel:BYTE_0 src1_sel:DWORD
	v_mov_b32_e32 v29, 0
	v_mov_b32_e32 v30, 0
	s_and_saveexec_b64 s[0:1], s[16:17]
	s_cbranch_execz .LBB239_215
; %bb.210:                              ;   in Loop: Header=BB239_184 Depth=1
	v_cmp_ne_u16_sdwa s[18:19], v10, s28 src0_sel:BYTE_0 src1_sel:DWORD
	v_mov_b32_e32 v30, 0x8000
	s_and_saveexec_b64 s[16:17], s[18:19]
	s_cbranch_execz .LBB239_214
; %bb.211:                              ;   in Loop: Header=BB239_184 Depth=1
	v_and_b32_e32 v23, 0x7f, v10
	v_cmp_ne_u32_e32 vcc, s29, v23
	v_mov_b32_e32 v30, 0x7c01
	s_and_saveexec_b64 s[18:19], vcc
	s_cbranch_execz .LBB239_213
; %bb.212:                              ;   in Loop: Header=BB239_184 Depth=1
	v_and_b32_e32 v30, 7, v10
	v_ffbh_u32_e32 v40, v30
	v_min_u32_e32 v42, 32, v40
	v_subrev_u32_e32 v40, 28, v42
	v_lshlrev_b64 v[40:41], v40, v[1:2]
	v_lshrrev_b32_e32 v34, 3, v23
	v_sub_u32_e32 v41, 29, v42
	v_cmp_gt_u32_e32 vcc, 8, v23
	v_cndmask_b32_e32 v23, v34, v41, vcc
	v_lshl_add_u32 v23, v23, 10, v22
	v_lshlrev_b32_e32 v34, 8, v10
	v_and_b32_e32 v40, 7, v40
	v_and_b32_e32 v23, 0xfc00, v23
	v_cndmask_b32_e32 v30, v30, v40, vcc
	v_and_or_b32 v23, v34, s30, v23
	v_lshl_or_b32 v30, v30, 7, v23
.LBB239_213:                            ;   in Loop: Header=BB239_184 Depth=1
	s_or_b64 exec, exec, s[18:19]
.LBB239_214:                            ;   in Loop: Header=BB239_184 Depth=1
	s_or_b64 exec, exec, s[16:17]
.LBB239_215:                            ;   in Loop: Header=BB239_184 Depth=1
	s_or_b64 exec, exec, s[0:1]
	v_lshrrev_b16_e32 v1, 8, v1
	v_cmp_ne_u16_e32 vcc, 0, v1
	v_mov_b32_e32 v34, 0
	s_and_saveexec_b64 s[0:1], vcc
	s_cbranch_execz .LBB239_221
; %bb.216:                              ;   in Loop: Header=BB239_184 Depth=1
	v_cmp_ne_u16_e32 vcc, s28, v1
	v_bfrev_b32_e32 v34, 1
	s_and_saveexec_b64 s[16:17], vcc
	s_cbranch_execz .LBB239_220
; %bb.217:                              ;   in Loop: Header=BB239_184 Depth=1
	v_and_b32_e32 v23, 0x7f, v1
	v_cmp_ne_u32_e32 vcc, s29, v23
	v_mov_b32_e32 v34, 0x7c010000
	s_and_saveexec_b64 s[18:19], vcc
	s_cbranch_execz .LBB239_219
; %bb.218:                              ;   in Loop: Header=BB239_184 Depth=1
	v_and_b32_e32 v34, 7, v1
	v_ffbh_u32_e32 v40, v34
	v_min_u32_e32 v43, 32, v40
	v_subrev_u32_e32 v40, 28, v43
	v_lshlrev_b64 v[40:41], v40, v[1:2]
	v_lshrrev_b32_e32 v42, 3, v23
	v_sub_u32_e32 v41, 29, v43
	v_cmp_gt_u32_e32 vcc, 8, v23
	v_cndmask_b32_e32 v23, v42, v41, vcc
	v_lshlrev_b32_e32 v1, 8, v1
	v_lshl_add_u32 v23, v23, 10, v22
	v_and_b32_e32 v40, 7, v40
	v_and_or_b32 v1, v1, s30, v23
	v_cndmask_b32_e32 v34, v34, v40, vcc
	v_lshlrev_b32_e32 v1, 16, v1
	v_lshl_or_b32 v34, v34, 23, v1
.LBB239_219:                            ;   in Loop: Header=BB239_184 Depth=1
	s_or_b64 exec, exec, s[18:19]
.LBB239_220:                            ;   in Loop: Header=BB239_184 Depth=1
	s_or_b64 exec, exec, s[16:17]
.LBB239_221:                            ;   in Loop: Header=BB239_184 Depth=1
	s_or_b64 exec, exec, s[0:1]
	v_lshrrev_b32_e32 v1, 16, v10
	v_cmp_ne_u16_sdwa s[16:17], v1, v2 src0_sel:BYTE_0 src1_sel:DWORD
	s_and_saveexec_b64 s[0:1], s[16:17]
	s_cbranch_execz .LBB239_227
; %bb.222:                              ;   in Loop: Header=BB239_184 Depth=1
	v_cmp_ne_u16_sdwa s[18:19], v1, s28 src0_sel:BYTE_0 src1_sel:DWORD
	v_mov_b32_e32 v29, 0x8000
	s_and_saveexec_b64 s[16:17], s[18:19]
	s_cbranch_execz .LBB239_226
; %bb.223:                              ;   in Loop: Header=BB239_184 Depth=1
	v_bfe_u32 v23, v10, 16, 7
	v_cmp_ne_u32_e32 vcc, s29, v23
	v_mov_b32_e32 v29, 0x7c01
	s_and_saveexec_b64 s[18:19], vcc
	s_cbranch_execz .LBB239_225
; %bb.224:                              ;   in Loop: Header=BB239_184 Depth=1
	v_and_b32_e32 v29, 7, v1
	v_ffbh_u32_e32 v40, v29
	v_min_u32_e32 v43, 32, v40
	v_subrev_u32_e32 v40, 28, v43
	v_lshlrev_b64 v[40:41], v40, v[1:2]
	v_lshrrev_b32_e32 v42, 3, v23
	v_sub_u32_e32 v41, 29, v43
	v_cmp_gt_u32_e32 vcc, 8, v23
	v_cndmask_b32_e32 v23, v42, v41, vcc
	v_lshl_add_u32 v23, v23, 10, v22
	v_lshlrev_b32_e32 v1, 8, v1
	v_and_b32_e32 v40, 7, v40
	v_and_b32_e32 v23, 0xfc00, v23
	v_cndmask_b32_e32 v29, v29, v40, vcc
	v_and_or_b32 v1, v1, s30, v23
	v_lshl_or_b32 v29, v29, 7, v1
.LBB239_225:                            ;   in Loop: Header=BB239_184 Depth=1
	s_or_b64 exec, exec, s[18:19]
.LBB239_226:                            ;   in Loop: Header=BB239_184 Depth=1
	s_or_b64 exec, exec, s[16:17]
.LBB239_227:                            ;   in Loop: Header=BB239_184 Depth=1
	s_or_b64 exec, exec, s[0:1]
	v_cmp_lt_u64_e32 vcc, s[4:5], v[9:10]
	v_mov_b32_e32 v40, 0
	s_and_saveexec_b64 s[0:1], vcc
	s_cbranch_execz .LBB239_233
; %bb.228:                              ;   in Loop: Header=BB239_184 Depth=1
	v_lshrrev_b32_e32 v1, 24, v10
	v_cmp_ne_u32_e32 vcc, s28, v1
	v_bfrev_b32_e32 v40, 1
	s_and_saveexec_b64 s[16:17], vcc
	s_cbranch_execz .LBB239_232
; %bb.229:                              ;   in Loop: Header=BB239_184 Depth=1
	v_and_b32_e32 v9, 0x7f, v1
	v_cmp_ne_u32_e32 vcc, s29, v9
	v_mov_b32_e32 v40, 0x7c010000
	s_and_saveexec_b64 s[18:19], vcc
	s_cbranch_execz .LBB239_231
; %bb.230:                              ;   in Loop: Header=BB239_184 Depth=1
	v_and_b32_e32 v10, 7, v1
	v_ffbh_u32_e32 v40, v10
	v_min_u32_e32 v42, 32, v40
	v_subrev_u32_e32 v40, 28, v42
	v_lshlrev_b64 v[40:41], v40, v[1:2]
	v_lshrrev_b32_e32 v23, 3, v9
	v_sub_u32_e32 v41, 29, v42
	v_cmp_gt_u32_e32 vcc, 8, v9
	v_cndmask_b32_e32 v9, v23, v41, vcc
	v_lshlrev_b32_e32 v1, 8, v1
	v_lshl_add_u32 v9, v9, 10, v22
	v_and_b32_e32 v23, 7, v40
	v_and_or_b32 v1, v1, s30, v9
	v_cndmask_b32_e32 v10, v10, v23, vcc
	v_lshlrev_b32_e32 v1, 16, v1
	v_lshl_or_b32 v40, v10, 23, v1
.LBB239_231:                            ;   in Loop: Header=BB239_184 Depth=1
	s_or_b64 exec, exec, s[18:19]
.LBB239_232:                            ;   in Loop: Header=BB239_184 Depth=1
	s_or_b64 exec, exec, s[16:17]
.LBB239_233:                            ;   in Loop: Header=BB239_184 Depth=1
	s_or_b64 exec, exec, s[0:1]
	v_fma_mixlo_f16 v9, v24, v27, 0 op_sel:[0,1,0] op_sel_hi:[0,1,0]
	v_lshlrev_b32_e32 v41, 16, v9
	v_or_b32_e32 v9, v25, v26
	v_fma_mixlo_f16 v10, v24, v25, 0 op_sel:[0,1,0] op_sel_hi:[0,1,0]
	v_fma_mixlo_f16 v25, v24, v34, 0 op_sel:[0,1,0] op_sel_hi:[0,1,0]
	v_or_b32_e32 v1, v27, v28
	v_lshlrev_b32_e32 v44, 16, v10
	v_or_b32_e32 v10, v34, v30
	v_lshlrev_b32_e32 v34, 16, v25
	v_or_b32_e32 v25, v40, v29
	v_fma_mixlo_f16 v1, v24, v1, 0 op_sel_hi:[0,1,0]
	v_fma_mixlo_f16 v9, v24, v9, 0 op_sel_hi:[0,1,0]
	;; [unrolled: 1-line block ×4, first 2 shown]
	v_fma_mixlo_f16 v24, v24, v40, 0 op_sel:[0,1,0] op_sel_hi:[0,1,0]
	v_add_u32_e32 v23, v16, v12
	v_and_b32_e32 v42, 0xffff, v1
	v_and_b32_e32 v47, 0xffff, v9
	;; [unrolled: 1-line block ×3, first 2 shown]
	v_lshlrev_b32_e32 v43, 16, v24
	v_and_b32_e32 v46, 0xffff, v25
	v_cmp_eq_u32_e32 vcc, s35, v11
	v_or_b32_e32 v1, v41, v42
	v_or_b32_e32 v9, v44, v47
	;; [unrolled: 1-line block ×4, first 2 shown]
	v_add_u32_e32 v30, 1, v23
	v_add_u32_e32 v29, 2, v23
	;; [unrolled: 1-line block ×7, first 2 shown]
	s_and_saveexec_b64 s[16:17], vcc
	s_cbranch_execz .LBB239_235
; %bb.234:                              ;   in Loop: Header=BB239_184 Depth=1
	v_cmp_gt_i32_e64 s[0:1], s33, v23
	v_cndmask_b32_e64 v1, 0, v47, s[0:1]
	v_cmp_gt_i32_e64 s[0:1], s33, v30
	v_cndmask_b32_e64 v9, 0, v44, s[0:1]
	v_cmp_gt_i32_e64 s[0:1], s33, v29
	v_or_b32_e32 v9, v9, v1
	v_cndmask_b32_e64 v1, 0, v42, s[0:1]
	v_cmp_gt_i32_e64 s[0:1], s33, v28
	v_cndmask_b32_e64 v10, 0, v41, s[0:1]
	v_cmp_gt_i32_e64 s[0:1], s33, v27
	v_or_b32_e32 v1, v10, v1
	;; [unrolled: 5-line block ×3, first 2 shown]
	v_cndmask_b32_e64 v34, 0, v46, s[0:1]
	v_cmp_gt_i32_e64 s[0:1], s33, v24
	v_cndmask_b32_e64 v40, 0, v43, s[0:1]
	v_or_b32_e32 v40, v40, v34
.LBB239_235:                            ;   in Loop: Header=BB239_184 Depth=1
	s_or_b64 exec, exec, s[16:17]
	v_and_b32_e32 v31, 0xffff, v31
	v_lshl_or_b32 v34, v32, 16, v31
	v_and_b32_e32 v31, 0xffff, v33
	v_lshl_or_b32 v33, v35, 16, v31
	;; [unrolled: 2-line block ×3, first 2 shown]
	v_and_b32_e32 v31, 0xffff, v38
	;;#ASMSTART
	v_pk_mul_f16 v9, v34, v9;

	;;#ASMEND
	;;#ASMSTART
	v_pk_mul_f16 v1, v33, v1;

	;;#ASMEND
	v_lshl_or_b32 v31, v39, 16, v31
	;;#ASMSTART
	v_pk_mul_f16 v10, v32, v10;

	;;#ASMEND
	;;#ASMSTART
	v_pk_mul_f16 v35, v31, v40;

	;;#ASMEND
	;;#ASMSTART
	v_pk_add_f16 v1, v9, v1;

	;;#ASMEND
	;;#ASMSTART
	v_pk_add_f16 v1, v1, v10;
	;; [unrolled: 4-line block ×3, first 2 shown]

	;;#ASMEND
	v_lshrrev_b32_e32 v9, 16, v1
	v_and_b32_e32 v1, 0xffff, v1
	;;#ASMSTART
	v_cvt_f32_f16 v35, v1;
	;;#ASMEND
	;;#ASMSTART
	v_cvt_f32_f16 v36, v9;
	;;#ASMEND
	global_load_dwordx2 v[9:10], v[7:8], off offset:512
	v_mov_b32_e32 v38, 0
	global_load_dword v37, v38, s[14:15]
	v_mov_b32_e32 v39, 0
	s_waitcnt vmcnt(1)
	v_cmp_ne_u16_sdwa s[0:1], v9, v2 src0_sel:BYTE_0 src1_sel:DWORD
	s_and_saveexec_b64 s[16:17], s[0:1]
	s_cbranch_execz .LBB239_241
; %bb.236:                              ;   in Loop: Header=BB239_184 Depth=1
	v_cmp_ne_u16_sdwa s[0:1], v9, s28 src0_sel:BYTE_0 src1_sel:DWORD
	v_mov_b32_e32 v39, 0x8000
	s_and_saveexec_b64 s[18:19], s[0:1]
	s_cbranch_execz .LBB239_240
; %bb.237:                              ;   in Loop: Header=BB239_184 Depth=1
	v_and_b32_e32 v1, 0x7f, v9
	v_cmp_ne_u32_e64 s[0:1], s29, v1
	v_mov_b32_e32 v39, 0x7c01
	s_and_saveexec_b64 s[20:21], s[0:1]
	s_cbranch_execz .LBB239_239
; %bb.238:                              ;   in Loop: Header=BB239_184 Depth=1
	v_and_b32_e32 v41, 7, v9
	v_ffbh_u32_e32 v39, v41
	v_min_u32_e32 v43, 32, v39
	v_subrev_u32_e32 v39, 28, v43
	v_lshlrev_b64 v[39:40], v39, v[9:10]
	v_lshrrev_b32_e32 v42, 3, v1
	v_sub_u32_e32 v40, 29, v43
	v_cmp_gt_u32_e64 s[0:1], 8, v1
	v_cndmask_b32_e64 v1, v42, v40, s[0:1]
	v_lshl_add_u32 v1, v1, 10, v22
	v_lshlrev_b32_e32 v40, 8, v9
	v_and_b32_e32 v39, 7, v39
	v_and_b32_e32 v1, 0xfc00, v1
	v_cndmask_b32_e64 v39, v41, v39, s[0:1]
	v_and_or_b32 v1, v40, s30, v1
	v_lshl_or_b32 v39, v39, 7, v1
.LBB239_239:                            ;   in Loop: Header=BB239_184 Depth=1
	s_or_b64 exec, exec, s[20:21]
.LBB239_240:                            ;   in Loop: Header=BB239_184 Depth=1
	s_or_b64 exec, exec, s[18:19]
.LBB239_241:                            ;   in Loop: Header=BB239_184 Depth=1
	s_or_b64 exec, exec, s[16:17]
	v_lshrrev_b16_e32 v1, 8, v9
	v_cmp_ne_u16_e64 s[0:1], 0, v1
	s_and_saveexec_b64 s[16:17], s[0:1]
	s_cbranch_execz .LBB239_247
; %bb.242:                              ;   in Loop: Header=BB239_184 Depth=1
	v_cmp_ne_u16_e64 s[0:1], s28, v1
	v_bfrev_b32_e32 v38, 1
	s_and_saveexec_b64 s[18:19], s[0:1]
	s_cbranch_execz .LBB239_246
; %bb.243:                              ;   in Loop: Header=BB239_184 Depth=1
	v_and_b32_e32 v40, 0x7f, v1
	v_cmp_ne_u32_e64 s[0:1], s29, v40
	v_mov_b32_e32 v38, 0x7c010000
	s_and_saveexec_b64 s[20:21], s[0:1]
	s_cbranch_execz .LBB239_245
; %bb.244:                              ;   in Loop: Header=BB239_184 Depth=1
	v_and_b32_e32 v38, 7, v1
	v_ffbh_u32_e32 v41, v38
	v_min_u32_e32 v44, 32, v41
	v_subrev_u32_e32 v41, 28, v44
	v_lshlrev_b64 v[41:42], v41, v[1:2]
	v_lshrrev_b32_e32 v43, 3, v40
	v_sub_u32_e32 v42, 29, v44
	v_cmp_gt_u32_e64 s[0:1], 8, v40
	v_cndmask_b32_e64 v40, v43, v42, s[0:1]
	v_lshlrev_b32_e32 v1, 8, v1
	v_lshl_add_u32 v40, v40, 10, v22
	v_and_b32_e32 v41, 7, v41
	v_and_or_b32 v1, v1, s30, v40
	v_cndmask_b32_e64 v38, v38, v41, s[0:1]
	v_lshlrev_b32_e32 v1, 16, v1
	v_lshl_or_b32 v38, v38, 23, v1
.LBB239_245:                            ;   in Loop: Header=BB239_184 Depth=1
	s_or_b64 exec, exec, s[20:21]
.LBB239_246:                            ;   in Loop: Header=BB239_184 Depth=1
	s_or_b64 exec, exec, s[18:19]
.LBB239_247:                            ;   in Loop: Header=BB239_184 Depth=1
	s_or_b64 exec, exec, s[16:17]
	v_lshrrev_b32_e32 v1, 16, v9
	v_cmp_ne_u16_sdwa s[0:1], v1, v2 src0_sel:BYTE_0 src1_sel:DWORD
	v_mov_b32_e32 v40, 0
	v_mov_b32_e32 v41, 0
	s_and_saveexec_b64 s[16:17], s[0:1]
	s_cbranch_execz .LBB239_253
; %bb.248:                              ;   in Loop: Header=BB239_184 Depth=1
	v_cmp_ne_u16_sdwa s[0:1], v1, s28 src0_sel:BYTE_0 src1_sel:DWORD
	v_mov_b32_e32 v41, 0x8000
	s_and_saveexec_b64 s[18:19], s[0:1]
	s_cbranch_execz .LBB239_252
; %bb.249:                              ;   in Loop: Header=BB239_184 Depth=1
	v_bfe_u32 v42, v9, 16, 7
	v_cmp_ne_u32_e64 s[0:1], s29, v42
	v_mov_b32_e32 v41, 0x7c01
	s_and_saveexec_b64 s[20:21], s[0:1]
	s_cbranch_execz .LBB239_251
; %bb.250:                              ;   in Loop: Header=BB239_184 Depth=1
	v_and_b32_e32 v41, 7, v1
	v_ffbh_u32_e32 v43, v41
	v_min_u32_e32 v46, 32, v43
	v_subrev_u32_e32 v43, 28, v46
	v_lshlrev_b64 v[43:44], v43, v[1:2]
	v_lshrrev_b32_e32 v45, 3, v42
	v_sub_u32_e32 v44, 29, v46
	v_cmp_gt_u32_e64 s[0:1], 8, v42
	v_cndmask_b32_e64 v42, v45, v44, s[0:1]
	v_lshl_add_u32 v42, v42, 10, v22
	v_lshlrev_b32_e32 v1, 8, v1
	v_and_b32_e32 v43, 7, v43
	v_and_b32_e32 v42, 0xfc00, v42
	v_cndmask_b32_e64 v41, v41, v43, s[0:1]
	v_and_or_b32 v1, v1, s30, v42
	v_lshl_or_b32 v41, v41, 7, v1
.LBB239_251:                            ;   in Loop: Header=BB239_184 Depth=1
	s_or_b64 exec, exec, s[20:21]
.LBB239_252:                            ;   in Loop: Header=BB239_184 Depth=1
	s_or_b64 exec, exec, s[18:19]
.LBB239_253:                            ;   in Loop: Header=BB239_184 Depth=1
	s_or_b64 exec, exec, s[16:17]
	v_cmp_lt_u32_e64 s[0:1], s5, v9
	s_and_saveexec_b64 s[16:17], s[0:1]
	s_cbranch_execz .LBB239_259
; %bb.254:                              ;   in Loop: Header=BB239_184 Depth=1
	v_lshrrev_b32_e32 v1, 24, v9
	v_cmp_ne_u32_e64 s[0:1], s28, v1
	v_bfrev_b32_e32 v40, 1
	s_and_saveexec_b64 s[18:19], s[0:1]
	s_cbranch_execz .LBB239_258
; %bb.255:                              ;   in Loop: Header=BB239_184 Depth=1
	v_and_b32_e32 v42, 0x7f, v1
	v_cmp_ne_u32_e64 s[0:1], s29, v42
	v_mov_b32_e32 v40, 0x7c010000
	s_and_saveexec_b64 s[20:21], s[0:1]
	s_cbranch_execz .LBB239_257
; %bb.256:                              ;   in Loop: Header=BB239_184 Depth=1
	v_and_b32_e32 v40, 7, v1
	v_ffbh_u32_e32 v43, v40
	v_min_u32_e32 v46, 32, v43
	v_subrev_u32_e32 v43, 28, v46
	v_lshlrev_b64 v[43:44], v43, v[1:2]
	v_lshrrev_b32_e32 v45, 3, v42
	v_sub_u32_e32 v44, 29, v46
	v_cmp_gt_u32_e64 s[0:1], 8, v42
	v_cndmask_b32_e64 v42, v45, v44, s[0:1]
	v_lshlrev_b32_e32 v1, 8, v1
	v_lshl_add_u32 v42, v42, 10, v22
	v_and_b32_e32 v43, 7, v43
	v_and_or_b32 v1, v1, s30, v42
	v_cndmask_b32_e64 v40, v40, v43, s[0:1]
	v_lshlrev_b32_e32 v1, 16, v1
	v_lshl_or_b32 v40, v40, 23, v1
.LBB239_257:                            ;   in Loop: Header=BB239_184 Depth=1
	s_or_b64 exec, exec, s[20:21]
.LBB239_258:                            ;   in Loop: Header=BB239_184 Depth=1
	s_or_b64 exec, exec, s[18:19]
.LBB239_259:                            ;   in Loop: Header=BB239_184 Depth=1
	s_or_b64 exec, exec, s[16:17]
	v_mov_b32_e32 v1, v10
	v_cmp_ne_u16_sdwa s[0:1], v10, v2 src0_sel:BYTE_0 src1_sel:DWORD
	v_mov_b32_e32 v42, 0
	v_mov_b32_e32 v43, 0
	s_and_saveexec_b64 s[16:17], s[0:1]
	s_cbranch_execz .LBB239_265
; %bb.260:                              ;   in Loop: Header=BB239_184 Depth=1
	v_cmp_ne_u16_sdwa s[0:1], v10, s28 src0_sel:BYTE_0 src1_sel:DWORD
	v_mov_b32_e32 v43, 0x8000
	s_and_saveexec_b64 s[18:19], s[0:1]
	s_cbranch_execz .LBB239_264
; %bb.261:                              ;   in Loop: Header=BB239_184 Depth=1
	v_and_b32_e32 v44, 0x7f, v10
	v_cmp_ne_u32_e64 s[0:1], s29, v44
	v_mov_b32_e32 v43, 0x7c01
	s_and_saveexec_b64 s[20:21], s[0:1]
	s_cbranch_execz .LBB239_263
; %bb.262:                              ;   in Loop: Header=BB239_184 Depth=1
	v_and_b32_e32 v43, 7, v10
	v_ffbh_u32_e32 v45, v43
	v_min_u32_e32 v48, 32, v45
	v_subrev_u32_e32 v45, 28, v48
	v_lshlrev_b64 v[45:46], v45, v[1:2]
	v_lshrrev_b32_e32 v47, 3, v44
	v_sub_u32_e32 v46, 29, v48
	v_cmp_gt_u32_e64 s[0:1], 8, v44
	v_cndmask_b32_e64 v44, v47, v46, s[0:1]
	v_lshl_add_u32 v44, v44, 10, v22
	v_lshlrev_b32_e32 v46, 8, v10
	v_and_b32_e32 v45, 7, v45
	v_and_b32_e32 v44, 0xfc00, v44
	v_cndmask_b32_e64 v43, v43, v45, s[0:1]
	v_and_or_b32 v44, v46, s30, v44
	v_lshl_or_b32 v43, v43, 7, v44
.LBB239_263:                            ;   in Loop: Header=BB239_184 Depth=1
	s_or_b64 exec, exec, s[20:21]
.LBB239_264:                            ;   in Loop: Header=BB239_184 Depth=1
	s_or_b64 exec, exec, s[18:19]
.LBB239_265:                            ;   in Loop: Header=BB239_184 Depth=1
	s_or_b64 exec, exec, s[16:17]
	v_lshrrev_b16_e32 v1, 8, v1
	v_cmp_ne_u16_e64 s[0:1], 0, v1
	v_mov_b32_e32 v44, 0
	s_and_saveexec_b64 s[16:17], s[0:1]
	s_cbranch_execz .LBB239_271
; %bb.266:                              ;   in Loop: Header=BB239_184 Depth=1
	v_cmp_ne_u16_e64 s[0:1], s28, v1
	v_bfrev_b32_e32 v44, 1
	s_and_saveexec_b64 s[18:19], s[0:1]
	s_cbranch_execz .LBB239_270
; %bb.267:                              ;   in Loop: Header=BB239_184 Depth=1
	v_and_b32_e32 v45, 0x7f, v1
	v_cmp_ne_u32_e64 s[0:1], s29, v45
	v_mov_b32_e32 v44, 0x7c010000
	s_and_saveexec_b64 s[20:21], s[0:1]
	s_cbranch_execz .LBB239_269
; %bb.268:                              ;   in Loop: Header=BB239_184 Depth=1
	v_and_b32_e32 v44, 7, v1
	v_ffbh_u32_e32 v46, v44
	v_min_u32_e32 v49, 32, v46
	v_subrev_u32_e32 v46, 28, v49
	v_lshlrev_b64 v[46:47], v46, v[1:2]
	v_lshrrev_b32_e32 v48, 3, v45
	v_sub_u32_e32 v47, 29, v49
	v_cmp_gt_u32_e64 s[0:1], 8, v45
	v_cndmask_b32_e64 v45, v48, v47, s[0:1]
	v_lshlrev_b32_e32 v1, 8, v1
	v_lshl_add_u32 v45, v45, 10, v22
	v_and_b32_e32 v46, 7, v46
	v_and_or_b32 v1, v1, s30, v45
	v_cndmask_b32_e64 v44, v44, v46, s[0:1]
	v_lshlrev_b32_e32 v1, 16, v1
	v_lshl_or_b32 v44, v44, 23, v1
.LBB239_269:                            ;   in Loop: Header=BB239_184 Depth=1
	s_or_b64 exec, exec, s[20:21]
.LBB239_270:                            ;   in Loop: Header=BB239_184 Depth=1
	s_or_b64 exec, exec, s[18:19]
.LBB239_271:                            ;   in Loop: Header=BB239_184 Depth=1
	s_or_b64 exec, exec, s[16:17]
	v_lshrrev_b32_e32 v1, 16, v10
	v_cmp_ne_u16_sdwa s[0:1], v1, v2 src0_sel:BYTE_0 src1_sel:DWORD
	s_and_saveexec_b64 s[16:17], s[0:1]
	s_cbranch_execz .LBB239_277
; %bb.272:                              ;   in Loop: Header=BB239_184 Depth=1
	v_cmp_ne_u16_sdwa s[0:1], v1, s28 src0_sel:BYTE_0 src1_sel:DWORD
	v_mov_b32_e32 v42, 0x8000
	s_and_saveexec_b64 s[18:19], s[0:1]
	s_cbranch_execz .LBB239_276
; %bb.273:                              ;   in Loop: Header=BB239_184 Depth=1
	v_bfe_u32 v45, v10, 16, 7
	v_cmp_ne_u32_e64 s[0:1], s29, v45
	v_mov_b32_e32 v42, 0x7c01
	s_and_saveexec_b64 s[20:21], s[0:1]
	s_cbranch_execz .LBB239_275
; %bb.274:                              ;   in Loop: Header=BB239_184 Depth=1
	v_and_b32_e32 v42, 7, v1
	v_ffbh_u32_e32 v46, v42
	v_min_u32_e32 v49, 32, v46
	v_subrev_u32_e32 v46, 28, v49
	v_lshlrev_b64 v[46:47], v46, v[1:2]
	v_lshrrev_b32_e32 v48, 3, v45
	v_sub_u32_e32 v47, 29, v49
	v_cmp_gt_u32_e64 s[0:1], 8, v45
	v_cndmask_b32_e64 v45, v48, v47, s[0:1]
	v_lshl_add_u32 v45, v45, 10, v22
	v_lshlrev_b32_e32 v1, 8, v1
	v_and_b32_e32 v46, 7, v46
	v_and_b32_e32 v45, 0xfc00, v45
	v_cndmask_b32_e64 v42, v42, v46, s[0:1]
	v_and_or_b32 v1, v1, s30, v45
	v_lshl_or_b32 v42, v42, 7, v1
.LBB239_275:                            ;   in Loop: Header=BB239_184 Depth=1
	s_or_b64 exec, exec, s[20:21]
.LBB239_276:                            ;   in Loop: Header=BB239_184 Depth=1
	s_or_b64 exec, exec, s[18:19]
.LBB239_277:                            ;   in Loop: Header=BB239_184 Depth=1
	s_or_b64 exec, exec, s[16:17]
	v_cmp_lt_u64_e64 s[0:1], s[4:5], v[9:10]
	v_mov_b32_e32 v9, 0
	s_and_saveexec_b64 s[16:17], s[0:1]
	s_cbranch_execz .LBB239_283
; %bb.278:                              ;   in Loop: Header=BB239_184 Depth=1
	v_lshrrev_b32_e32 v1, 24, v10
	v_cmp_ne_u32_e64 s[0:1], s28, v1
	v_bfrev_b32_e32 v9, 1
	s_and_saveexec_b64 s[18:19], s[0:1]
	s_cbranch_execz .LBB239_282
; %bb.279:                              ;   in Loop: Header=BB239_184 Depth=1
	v_and_b32_e32 v10, 0x7f, v1
	v_cmp_ne_u32_e64 s[0:1], s29, v10
	v_mov_b32_e32 v9, 0x7c010000
	s_and_saveexec_b64 s[20:21], s[0:1]
	s_cbranch_execz .LBB239_281
; %bb.280:                              ;   in Loop: Header=BB239_184 Depth=1
	v_and_b32_e32 v9, 7, v1
	v_ffbh_u32_e32 v45, v9
	v_min_u32_e32 v48, 32, v45
	v_subrev_u32_e32 v45, 28, v48
	v_lshlrev_b64 v[45:46], v45, v[1:2]
	v_lshrrev_b32_e32 v47, 3, v10
	v_sub_u32_e32 v46, 29, v48
	v_cmp_gt_u32_e64 s[0:1], 8, v10
	v_cndmask_b32_e64 v10, v47, v46, s[0:1]
	v_lshlrev_b32_e32 v1, 8, v1
	v_lshl_add_u32 v10, v10, 10, v22
	v_and_b32_e32 v45, 7, v45
	v_and_or_b32 v1, v1, s30, v10
	v_cndmask_b32_e64 v9, v9, v45, s[0:1]
	v_lshlrev_b32_e32 v1, 16, v1
	v_lshl_or_b32 v9, v9, 23, v1
.LBB239_281:                            ;   in Loop: Header=BB239_184 Depth=1
	s_or_b64 exec, exec, s[20:21]
.LBB239_282:                            ;   in Loop: Header=BB239_184 Depth=1
	s_or_b64 exec, exec, s[18:19]
.LBB239_283:                            ;   in Loop: Header=BB239_184 Depth=1
	s_or_b64 exec, exec, s[16:17]
	s_waitcnt vmcnt(0)
	v_fma_mixlo_f16 v10, v37, v40, 0 op_sel:[0,1,0] op_sel_hi:[0,1,0]
	v_or_b32_e32 v1, v40, v41
	v_lshlrev_b32_e32 v40, 16, v10
	v_or_b32_e32 v10, v38, v39
	v_fma_mixlo_f16 v38, v37, v38, 0 op_sel:[0,1,0] op_sel_hi:[0,1,0]
	v_lshlrev_b32_e32 v45, 16, v38
	v_or_b32_e32 v38, v44, v43
	v_or_b32_e32 v42, v9, v42
	v_fma_mixlo_f16 v1, v37, v1, 0 op_sel_hi:[0,1,0]
	v_fma_mixlo_f16 v10, v37, v10, 0 op_sel_hi:[0,1,0]
	v_fma_mixlo_f16 v39, v37, v44, 0 op_sel:[0,1,0] op_sel_hi:[0,1,0]
	v_fma_mixlo_f16 v38, v37, v38, 0 op_sel_hi:[0,1,0]
	v_fma_mixlo_f16 v42, v37, v42, 0 op_sel_hi:[0,1,0]
	v_fma_mixlo_f16 v9, v37, v9, 0 op_sel:[0,1,0] op_sel_hi:[0,1,0]
	v_and_b32_e32 v41, 0xffff, v1
	v_and_b32_e32 v46, 0xffff, v10
	v_lshlrev_b32_e32 v39, 16, v39
	v_and_b32_e32 v43, 0xffff, v38
	v_lshlrev_b32_e32 v9, 16, v9
	v_and_b32_e32 v37, 0xffff, v42
	v_or_b32_e32 v1, v40, v41
	v_or_b32_e32 v10, v45, v46
	v_or_b32_e32 v38, v39, v43
	v_or_b32_e32 v42, v9, v37
	s_and_saveexec_b64 s[16:17], vcc
	s_cbranch_execz .LBB239_285
; %bb.284:                              ;   in Loop: Header=BB239_184 Depth=1
	v_cmp_gt_i32_e64 s[0:1], s33, v23
	v_cndmask_b32_e64 v1, 0, v46, s[0:1]
	v_cmp_gt_i32_e64 s[0:1], s33, v30
	v_cndmask_b32_e64 v10, 0, v45, s[0:1]
	v_cmp_gt_i32_e64 s[0:1], s33, v29
	v_or_b32_e32 v10, v10, v1
	v_cndmask_b32_e64 v1, 0, v41, s[0:1]
	v_cmp_gt_i32_e64 s[0:1], s33, v28
	v_cndmask_b32_e64 v38, 0, v40, s[0:1]
	v_cmp_gt_i32_e64 s[0:1], s33, v27
	v_or_b32_e32 v1, v38, v1
	v_cndmask_b32_e64 v38, 0, v43, s[0:1]
	v_cmp_gt_i32_e64 s[0:1], s33, v26
	v_cndmask_b32_e64 v39, 0, v39, s[0:1]
	v_cmp_gt_i32_e64 s[0:1], s33, v25
	;; [unrolled: 2-line block ×3, first 2 shown]
	v_cndmask_b32_e64 v9, 0, v9, s[0:1]
	v_or_b32_e32 v38, v39, v38
	v_or_b32_e32 v42, v9, v37
.LBB239_285:                            ;   in Loop: Header=BB239_184 Depth=1
	s_or_b64 exec, exec, s[16:17]
	;;#ASMSTART
	v_pk_mul_f16 v9, v34, v10;

	;;#ASMEND
	;;#ASMSTART
	v_pk_mul_f16 v1, v33, v1;

	;;#ASMEND
	;; [unrolled: 4-line block ×4, first 2 shown]
	;;#ASMSTART
	v_pk_add_f16 v1, v9, v1;

	;;#ASMEND
	;;#ASMSTART
	v_pk_add_f16 v1, v1, v10;

	;;#ASMEND
	;;#ASMSTART
	v_pk_add_f16 v1, v1, v37;

	;;#ASMEND
	v_lshrrev_b32_e32 v10, 16, v1
	v_and_b32_e32 v1, 0xffff, v1
	;;#ASMSTART
	v_cvt_f32_f16 v9, v1;
	;;#ASMEND
	;;#ASMSTART
	v_cvt_f32_f16 v10, v10;
	;;#ASMEND
	global_load_dwordx2 v[7:8], v[7:8], off offset:1024
	v_mov_b32_e32 v38, 0
	global_load_dword v37, v38, s[14:15]
	v_mov_b32_e32 v39, 0
	s_waitcnt vmcnt(1)
	v_cmp_ne_u16_sdwa s[0:1], v7, v2 src0_sel:BYTE_0 src1_sel:DWORD
	s_and_saveexec_b64 s[16:17], s[0:1]
	s_cbranch_execz .LBB239_291
; %bb.286:                              ;   in Loop: Header=BB239_184 Depth=1
	v_cmp_ne_u16_sdwa s[0:1], v7, s28 src0_sel:BYTE_0 src1_sel:DWORD
	v_mov_b32_e32 v39, 0x8000
	s_and_saveexec_b64 s[18:19], s[0:1]
	s_cbranch_execz .LBB239_290
; %bb.287:                              ;   in Loop: Header=BB239_184 Depth=1
	v_and_b32_e32 v1, 0x7f, v7
	v_cmp_ne_u32_e64 s[0:1], s29, v1
	v_mov_b32_e32 v39, 0x7c01
	s_and_saveexec_b64 s[20:21], s[0:1]
	s_cbranch_execz .LBB239_289
; %bb.288:                              ;   in Loop: Header=BB239_184 Depth=1
	v_and_b32_e32 v41, 7, v7
	v_ffbh_u32_e32 v39, v41
	v_min_u32_e32 v43, 32, v39
	v_subrev_u32_e32 v39, 28, v43
	v_lshlrev_b64 v[39:40], v39, v[7:8]
	v_lshrrev_b32_e32 v42, 3, v1
	v_sub_u32_e32 v40, 29, v43
	v_cmp_gt_u32_e64 s[0:1], 8, v1
	v_cndmask_b32_e64 v1, v42, v40, s[0:1]
	v_lshl_add_u32 v1, v1, 10, v22
	v_lshlrev_b32_e32 v40, 8, v7
	v_and_b32_e32 v39, 7, v39
	v_and_b32_e32 v1, 0xfc00, v1
	v_cndmask_b32_e64 v39, v41, v39, s[0:1]
	v_and_or_b32 v1, v40, s30, v1
	v_lshl_or_b32 v39, v39, 7, v1
.LBB239_289:                            ;   in Loop: Header=BB239_184 Depth=1
	s_or_b64 exec, exec, s[20:21]
.LBB239_290:                            ;   in Loop: Header=BB239_184 Depth=1
	s_or_b64 exec, exec, s[18:19]
.LBB239_291:                            ;   in Loop: Header=BB239_184 Depth=1
	s_or_b64 exec, exec, s[16:17]
	v_lshrrev_b16_e32 v1, 8, v7
	v_cmp_ne_u16_e64 s[0:1], 0, v1
	s_and_saveexec_b64 s[16:17], s[0:1]
	s_cbranch_execz .LBB239_297
; %bb.292:                              ;   in Loop: Header=BB239_184 Depth=1
	v_cmp_ne_u16_e64 s[0:1], s28, v1
	v_bfrev_b32_e32 v38, 1
	s_and_saveexec_b64 s[18:19], s[0:1]
	s_cbranch_execz .LBB239_296
; %bb.293:                              ;   in Loop: Header=BB239_184 Depth=1
	v_and_b32_e32 v40, 0x7f, v1
	v_cmp_ne_u32_e64 s[0:1], s29, v40
	v_mov_b32_e32 v38, 0x7c010000
	s_and_saveexec_b64 s[20:21], s[0:1]
	s_cbranch_execz .LBB239_295
; %bb.294:                              ;   in Loop: Header=BB239_184 Depth=1
	v_and_b32_e32 v38, 7, v1
	v_ffbh_u32_e32 v41, v38
	v_min_u32_e32 v44, 32, v41
	v_subrev_u32_e32 v41, 28, v44
	v_lshlrev_b64 v[41:42], v41, v[1:2]
	v_lshrrev_b32_e32 v43, 3, v40
	v_sub_u32_e32 v42, 29, v44
	v_cmp_gt_u32_e64 s[0:1], 8, v40
	v_cndmask_b32_e64 v40, v43, v42, s[0:1]
	v_lshlrev_b32_e32 v1, 8, v1
	v_lshl_add_u32 v40, v40, 10, v22
	v_and_b32_e32 v41, 7, v41
	v_and_or_b32 v1, v1, s30, v40
	v_cndmask_b32_e64 v38, v38, v41, s[0:1]
	v_lshlrev_b32_e32 v1, 16, v1
	v_lshl_or_b32 v38, v38, 23, v1
.LBB239_295:                            ;   in Loop: Header=BB239_184 Depth=1
	s_or_b64 exec, exec, s[20:21]
.LBB239_296:                            ;   in Loop: Header=BB239_184 Depth=1
	s_or_b64 exec, exec, s[18:19]
.LBB239_297:                            ;   in Loop: Header=BB239_184 Depth=1
	s_or_b64 exec, exec, s[16:17]
	v_lshrrev_b32_e32 v1, 16, v7
	v_cmp_ne_u16_sdwa s[0:1], v1, v2 src0_sel:BYTE_0 src1_sel:DWORD
	v_mov_b32_e32 v40, 0
	v_mov_b32_e32 v41, 0
	s_and_saveexec_b64 s[16:17], s[0:1]
	s_cbranch_execz .LBB239_303
; %bb.298:                              ;   in Loop: Header=BB239_184 Depth=1
	v_cmp_ne_u16_sdwa s[0:1], v1, s28 src0_sel:BYTE_0 src1_sel:DWORD
	v_mov_b32_e32 v41, 0x8000
	s_and_saveexec_b64 s[18:19], s[0:1]
	s_cbranch_execz .LBB239_302
; %bb.299:                              ;   in Loop: Header=BB239_184 Depth=1
	v_bfe_u32 v42, v7, 16, 7
	v_cmp_ne_u32_e64 s[0:1], s29, v42
	v_mov_b32_e32 v41, 0x7c01
	s_and_saveexec_b64 s[20:21], s[0:1]
	s_cbranch_execz .LBB239_301
; %bb.300:                              ;   in Loop: Header=BB239_184 Depth=1
	v_and_b32_e32 v41, 7, v1
	v_ffbh_u32_e32 v43, v41
	v_min_u32_e32 v46, 32, v43
	v_subrev_u32_e32 v43, 28, v46
	v_lshlrev_b64 v[43:44], v43, v[1:2]
	v_lshrrev_b32_e32 v45, 3, v42
	v_sub_u32_e32 v44, 29, v46
	v_cmp_gt_u32_e64 s[0:1], 8, v42
	v_cndmask_b32_e64 v42, v45, v44, s[0:1]
	v_lshl_add_u32 v42, v42, 10, v22
	v_lshlrev_b32_e32 v1, 8, v1
	v_and_b32_e32 v43, 7, v43
	v_and_b32_e32 v42, 0xfc00, v42
	v_cndmask_b32_e64 v41, v41, v43, s[0:1]
	v_and_or_b32 v1, v1, s30, v42
	v_lshl_or_b32 v41, v41, 7, v1
.LBB239_301:                            ;   in Loop: Header=BB239_184 Depth=1
	s_or_b64 exec, exec, s[20:21]
.LBB239_302:                            ;   in Loop: Header=BB239_184 Depth=1
	s_or_b64 exec, exec, s[18:19]
.LBB239_303:                            ;   in Loop: Header=BB239_184 Depth=1
	s_or_b64 exec, exec, s[16:17]
	v_cmp_lt_u32_e64 s[0:1], s5, v7
	s_and_saveexec_b64 s[16:17], s[0:1]
	s_cbranch_execz .LBB239_309
; %bb.304:                              ;   in Loop: Header=BB239_184 Depth=1
	v_lshrrev_b32_e32 v1, 24, v7
	v_cmp_ne_u32_e64 s[0:1], s28, v1
	v_bfrev_b32_e32 v40, 1
	s_and_saveexec_b64 s[18:19], s[0:1]
	s_cbranch_execz .LBB239_308
; %bb.305:                              ;   in Loop: Header=BB239_184 Depth=1
	v_and_b32_e32 v42, 0x7f, v1
	v_cmp_ne_u32_e64 s[0:1], s29, v42
	v_mov_b32_e32 v40, 0x7c010000
	s_and_saveexec_b64 s[20:21], s[0:1]
	s_cbranch_execz .LBB239_307
; %bb.306:                              ;   in Loop: Header=BB239_184 Depth=1
	v_and_b32_e32 v40, 7, v1
	v_ffbh_u32_e32 v43, v40
	v_min_u32_e32 v46, 32, v43
	v_subrev_u32_e32 v43, 28, v46
	v_lshlrev_b64 v[43:44], v43, v[1:2]
	v_lshrrev_b32_e32 v45, 3, v42
	v_sub_u32_e32 v44, 29, v46
	v_cmp_gt_u32_e64 s[0:1], 8, v42
	v_cndmask_b32_e64 v42, v45, v44, s[0:1]
	v_lshlrev_b32_e32 v1, 8, v1
	v_lshl_add_u32 v42, v42, 10, v22
	v_and_b32_e32 v43, 7, v43
	v_and_or_b32 v1, v1, s30, v42
	v_cndmask_b32_e64 v40, v40, v43, s[0:1]
	v_lshlrev_b32_e32 v1, 16, v1
	v_lshl_or_b32 v40, v40, 23, v1
.LBB239_307:                            ;   in Loop: Header=BB239_184 Depth=1
	s_or_b64 exec, exec, s[20:21]
.LBB239_308:                            ;   in Loop: Header=BB239_184 Depth=1
	s_or_b64 exec, exec, s[18:19]
.LBB239_309:                            ;   in Loop: Header=BB239_184 Depth=1
	s_or_b64 exec, exec, s[16:17]
	v_mov_b32_e32 v1, v8
	v_cmp_ne_u16_sdwa s[0:1], v8, v2 src0_sel:BYTE_0 src1_sel:DWORD
	v_mov_b32_e32 v42, 0
	v_mov_b32_e32 v43, 0
	s_and_saveexec_b64 s[16:17], s[0:1]
	s_cbranch_execz .LBB239_315
; %bb.310:                              ;   in Loop: Header=BB239_184 Depth=1
	v_cmp_ne_u16_sdwa s[0:1], v8, s28 src0_sel:BYTE_0 src1_sel:DWORD
	v_mov_b32_e32 v43, 0x8000
	s_and_saveexec_b64 s[18:19], s[0:1]
	s_cbranch_execz .LBB239_314
; %bb.311:                              ;   in Loop: Header=BB239_184 Depth=1
	v_and_b32_e32 v44, 0x7f, v8
	v_cmp_ne_u32_e64 s[0:1], s29, v44
	v_mov_b32_e32 v43, 0x7c01
	s_and_saveexec_b64 s[20:21], s[0:1]
	s_cbranch_execz .LBB239_313
; %bb.312:                              ;   in Loop: Header=BB239_184 Depth=1
	v_and_b32_e32 v43, 7, v8
	v_ffbh_u32_e32 v45, v43
	v_min_u32_e32 v48, 32, v45
	v_subrev_u32_e32 v45, 28, v48
	v_lshlrev_b64 v[45:46], v45, v[1:2]
	v_lshrrev_b32_e32 v47, 3, v44
	v_sub_u32_e32 v46, 29, v48
	v_cmp_gt_u32_e64 s[0:1], 8, v44
	v_cndmask_b32_e64 v44, v47, v46, s[0:1]
	v_lshl_add_u32 v44, v44, 10, v22
	v_lshlrev_b32_e32 v46, 8, v8
	v_and_b32_e32 v45, 7, v45
	v_and_b32_e32 v44, 0xfc00, v44
	v_cndmask_b32_e64 v43, v43, v45, s[0:1]
	v_and_or_b32 v44, v46, s30, v44
	v_lshl_or_b32 v43, v43, 7, v44
.LBB239_313:                            ;   in Loop: Header=BB239_184 Depth=1
	s_or_b64 exec, exec, s[20:21]
.LBB239_314:                            ;   in Loop: Header=BB239_184 Depth=1
	s_or_b64 exec, exec, s[18:19]
.LBB239_315:                            ;   in Loop: Header=BB239_184 Depth=1
	s_or_b64 exec, exec, s[16:17]
	v_lshrrev_b16_e32 v1, 8, v1
	v_cmp_ne_u16_e64 s[0:1], 0, v1
	v_mov_b32_e32 v44, 0
	s_and_saveexec_b64 s[16:17], s[0:1]
	s_cbranch_execz .LBB239_321
; %bb.316:                              ;   in Loop: Header=BB239_184 Depth=1
	v_cmp_ne_u16_e64 s[0:1], s28, v1
	v_bfrev_b32_e32 v44, 1
	s_and_saveexec_b64 s[18:19], s[0:1]
	s_cbranch_execz .LBB239_320
; %bb.317:                              ;   in Loop: Header=BB239_184 Depth=1
	v_and_b32_e32 v45, 0x7f, v1
	v_cmp_ne_u32_e64 s[0:1], s29, v45
	v_mov_b32_e32 v44, 0x7c010000
	s_and_saveexec_b64 s[20:21], s[0:1]
	s_cbranch_execz .LBB239_319
; %bb.318:                              ;   in Loop: Header=BB239_184 Depth=1
	v_and_b32_e32 v44, 7, v1
	v_ffbh_u32_e32 v46, v44
	v_min_u32_e32 v49, 32, v46
	v_subrev_u32_e32 v46, 28, v49
	v_lshlrev_b64 v[46:47], v46, v[1:2]
	v_lshrrev_b32_e32 v48, 3, v45
	v_sub_u32_e32 v47, 29, v49
	v_cmp_gt_u32_e64 s[0:1], 8, v45
	v_cndmask_b32_e64 v45, v48, v47, s[0:1]
	v_lshlrev_b32_e32 v1, 8, v1
	v_lshl_add_u32 v45, v45, 10, v22
	v_and_b32_e32 v46, 7, v46
	v_and_or_b32 v1, v1, s30, v45
	v_cndmask_b32_e64 v44, v44, v46, s[0:1]
	v_lshlrev_b32_e32 v1, 16, v1
	v_lshl_or_b32 v44, v44, 23, v1
.LBB239_319:                            ;   in Loop: Header=BB239_184 Depth=1
	s_or_b64 exec, exec, s[20:21]
.LBB239_320:                            ;   in Loop: Header=BB239_184 Depth=1
	s_or_b64 exec, exec, s[18:19]
.LBB239_321:                            ;   in Loop: Header=BB239_184 Depth=1
	s_or_b64 exec, exec, s[16:17]
	v_lshrrev_b32_e32 v1, 16, v8
	v_cmp_ne_u16_sdwa s[0:1], v1, v2 src0_sel:BYTE_0 src1_sel:DWORD
	s_and_saveexec_b64 s[16:17], s[0:1]
	s_cbranch_execz .LBB239_327
; %bb.322:                              ;   in Loop: Header=BB239_184 Depth=1
	v_cmp_ne_u16_sdwa s[0:1], v1, s28 src0_sel:BYTE_0 src1_sel:DWORD
	v_mov_b32_e32 v42, 0x8000
	s_and_saveexec_b64 s[18:19], s[0:1]
	s_cbranch_execz .LBB239_326
; %bb.323:                              ;   in Loop: Header=BB239_184 Depth=1
	v_bfe_u32 v45, v8, 16, 7
	v_cmp_ne_u32_e64 s[0:1], s29, v45
	v_mov_b32_e32 v42, 0x7c01
	s_and_saveexec_b64 s[20:21], s[0:1]
	s_cbranch_execz .LBB239_325
; %bb.324:                              ;   in Loop: Header=BB239_184 Depth=1
	v_and_b32_e32 v42, 7, v1
	v_ffbh_u32_e32 v46, v42
	v_min_u32_e32 v49, 32, v46
	v_subrev_u32_e32 v46, 28, v49
	v_lshlrev_b64 v[46:47], v46, v[1:2]
	v_lshrrev_b32_e32 v48, 3, v45
	v_sub_u32_e32 v47, 29, v49
	v_cmp_gt_u32_e64 s[0:1], 8, v45
	v_cndmask_b32_e64 v45, v48, v47, s[0:1]
	v_lshl_add_u32 v45, v45, 10, v22
	v_lshlrev_b32_e32 v1, 8, v1
	v_and_b32_e32 v46, 7, v46
	v_and_b32_e32 v45, 0xfc00, v45
	v_cndmask_b32_e64 v42, v42, v46, s[0:1]
	v_and_or_b32 v1, v1, s30, v45
	v_lshl_or_b32 v42, v42, 7, v1
.LBB239_325:                            ;   in Loop: Header=BB239_184 Depth=1
	s_or_b64 exec, exec, s[20:21]
.LBB239_326:                            ;   in Loop: Header=BB239_184 Depth=1
	s_or_b64 exec, exec, s[18:19]
.LBB239_327:                            ;   in Loop: Header=BB239_184 Depth=1
	s_or_b64 exec, exec, s[16:17]
	v_cmp_lt_u64_e64 s[0:1], s[4:5], v[7:8]
	v_mov_b32_e32 v45, 0
	s_and_saveexec_b64 s[16:17], s[0:1]
	s_cbranch_execz .LBB239_333
; %bb.328:                              ;   in Loop: Header=BB239_184 Depth=1
	v_lshrrev_b32_e32 v1, 24, v8
	v_cmp_ne_u32_e64 s[0:1], s28, v1
	v_bfrev_b32_e32 v45, 1
	s_and_saveexec_b64 s[18:19], s[0:1]
	s_cbranch_execz .LBB239_332
; %bb.329:                              ;   in Loop: Header=BB239_184 Depth=1
	v_and_b32_e32 v7, 0x7f, v1
	v_cmp_ne_u32_e64 s[0:1], s29, v7
	v_mov_b32_e32 v45, 0x7c010000
	s_and_saveexec_b64 s[20:21], s[0:1]
	s_cbranch_execz .LBB239_331
; %bb.330:                              ;   in Loop: Header=BB239_184 Depth=1
	v_and_b32_e32 v8, 7, v1
	v_ffbh_u32_e32 v45, v8
	v_min_u32_e32 v48, 32, v45
	v_subrev_u32_e32 v45, 28, v48
	v_lshlrev_b64 v[45:46], v45, v[1:2]
	v_lshrrev_b32_e32 v47, 3, v7
	v_sub_u32_e32 v46, 29, v48
	v_cmp_gt_u32_e64 s[0:1], 8, v7
	v_cndmask_b32_e64 v7, v47, v46, s[0:1]
	v_lshlrev_b32_e32 v1, 8, v1
	v_lshl_add_u32 v7, v7, 10, v22
	v_and_b32_e32 v45, 7, v45
	v_and_or_b32 v1, v1, s30, v7
	v_cndmask_b32_e64 v8, v8, v45, s[0:1]
	v_lshlrev_b32_e32 v1, 16, v1
	v_lshl_or_b32 v45, v8, 23, v1
.LBB239_331:                            ;   in Loop: Header=BB239_184 Depth=1
	s_or_b64 exec, exec, s[20:21]
.LBB239_332:                            ;   in Loop: Header=BB239_184 Depth=1
	s_or_b64 exec, exec, s[18:19]
.LBB239_333:                            ;   in Loop: Header=BB239_184 Depth=1
	s_or_b64 exec, exec, s[16:17]
	s_waitcnt vmcnt(0)
	v_fma_mixlo_f16 v7, v37, v40, 0 op_sel:[0,1,0] op_sel_hi:[0,1,0]
	v_fma_mixlo_f16 v8, v37, v38, 0 op_sel:[0,1,0] op_sel_hi:[0,1,0]
	v_or_b32_e32 v1, v40, v41
	v_lshlrev_b32_e32 v40, 16, v7
	v_or_b32_e32 v7, v38, v39
	v_lshlrev_b32_e32 v46, 16, v8
	v_or_b32_e32 v8, v44, v43
	v_or_b32_e32 v39, v45, v42
	v_fma_mixlo_f16 v1, v37, v1, 0 op_sel_hi:[0,1,0]
	v_fma_mixlo_f16 v7, v37, v7, 0 op_sel_hi:[0,1,0]
	v_fma_mixlo_f16 v38, v37, v44, 0 op_sel:[0,1,0] op_sel_hi:[0,1,0]
	v_fma_mixlo_f16 v8, v37, v8, 0 op_sel_hi:[0,1,0]
	v_fma_mixlo_f16 v42, v37, v39, 0 op_sel_hi:[0,1,0]
	v_fma_mixlo_f16 v37, v37, v45, 0 op_sel:[0,1,0] op_sel_hi:[0,1,0]
	v_and_b32_e32 v41, 0xffff, v1
	v_and_b32_e32 v47, 0xffff, v7
	v_lshlrev_b32_e32 v38, 16, v38
	v_and_b32_e32 v43, 0xffff, v8
	v_lshlrev_b32_e32 v39, 16, v37
	v_and_b32_e32 v42, 0xffff, v42
	v_or_b32_e32 v1, v40, v41
	v_or_b32_e32 v7, v46, v47
	;; [unrolled: 1-line block ×4, first 2 shown]
	s_and_saveexec_b64 s[0:1], vcc
	s_cbranch_execz .LBB239_182
; %bb.334:                              ;   in Loop: Header=BB239_184 Depth=1
	v_cmp_gt_i32_e32 vcc, s33, v23
	v_cndmask_b32_e32 v1, 0, v47, vcc
	v_cmp_gt_i32_e32 vcc, s33, v30
	v_cndmask_b32_e32 v7, 0, v46, vcc
	v_cmp_gt_i32_e32 vcc, s33, v29
	v_or_b32_e32 v7, v7, v1
	v_cndmask_b32_e32 v1, 0, v41, vcc
	v_cmp_gt_i32_e32 vcc, s33, v28
	v_cndmask_b32_e32 v8, 0, v40, vcc
	v_cmp_gt_i32_e32 vcc, s33, v27
	v_or_b32_e32 v1, v8, v1
	v_cndmask_b32_e32 v8, 0, v43, vcc
	v_cmp_gt_i32_e32 vcc, s33, v26
	v_cndmask_b32_e32 v23, 0, v38, vcc
	v_cmp_gt_i32_e32 vcc, s33, v25
	v_or_b32_e32 v8, v23, v8
	v_cndmask_b32_e32 v23, 0, v42, vcc
	v_cmp_gt_i32_e32 vcc, s33, v24
	v_cndmask_b32_e32 v24, 0, v39, vcc
	v_or_b32_e32 v37, v24, v23
	s_branch .LBB239_182
.LBB239_335:
	s_or_b64 exec, exec, s[6:7]
.LBB239_336:
	s_or_b64 exec, exec, s[2:3]
	ds_bpermute_b32 v1, v14, v18
	ds_bpermute_b32 v4, v14, v17
	ds_bpermute_b32 v2, v14, v19
	s_waitcnt lgkmcnt(0)
	s_barrier
	v_add_f32_e32 v3, v18, v1
	v_add_f32_e32 v1, v17, v4
	v_and_b32_e32 v4, 0x3c1, v0
	v_add_f32_e32 v2, v19, v2
	v_cmp_eq_u32_e32 vcc, 64, v4
	s_and_saveexec_b64 s[0:1], vcc
	s_cbranch_execz .LBB239_338
; %bb.337:
	v_mov_b32_e32 v5, 0xd0
	v_lshl_add_u32 v5, v13, 1, v5
	ds_write2_b32 v5, v3, v2 offset1:32
	ds_write_b32 v5, v1 offset:256
.LBB239_338:
	s_or_b64 exec, exec, s[0:1]
	v_cmp_gt_u32_e32 vcc, 64, v0
	v_lshrrev_b32_e32 v0, 1, v0
	s_waitcnt lgkmcnt(0)
	s_barrier
	s_and_saveexec_b64 s[0:1], vcc
	s_cbranch_execz .LBB239_344
; %bb.339:
	v_mov_b32_e32 v5, 0xd0
	v_cmp_eq_u32_e32 vcc, 0, v15
	v_lshl_add_u32 v5, v0, 2, v5
	s_and_saveexec_b64 s[2:3], vcc
	s_cbranch_execnz .LBB239_347
; %bb.340:
	s_or_b64 exec, exec, s[2:3]
	s_and_saveexec_b64 s[2:3], vcc
	s_cbranch_execnz .LBB239_348
.LBB239_341:
	s_or_b64 exec, exec, s[2:3]
	s_and_saveexec_b64 s[2:3], vcc
	s_cbranch_execz .LBB239_343
.LBB239_342:
	ds_read_b32 v5, v5 offset:256
	s_waitcnt lgkmcnt(0)
	v_add_f32_e32 v1, v1, v5
.LBB239_343:
	s_or_b64 exec, exec, s[2:3]
.LBB239_344:
	s_or_b64 exec, exec, s[0:1]
	v_cmp_eq_u32_e32 vcc, 0, v4
	s_barrier
	s_and_saveexec_b64 s[0:1], vcc
	s_cbranch_execz .LBB239_346
; %bb.345:
	s_mul_i32 s0, s10, s11
	s_mul_i32 s0, s0, s9
	s_mulk_i32 s0, 0x60
	s_ashr_i32 s1, s0, 31
	s_lshl_b64 s[0:1], s[0:1], 1
	s_add_u32 s2, s26, s0
	s_mul_i32 s0, s11, s24
	s_addc_u32 s3, s27, s1
	s_ashr_i32 s1, s0, 31
	s_lshl_b64 s[0:1], s[0:1], 1
	s_add_u32 s2, s2, s0
	s_mul_i32 s0, s8, 0x60
	s_addc_u32 s3, s3, s1
	s_ashr_i32 s1, s0, 31
	s_lshl_b64 s[0:1], s[0:1], 1
	s_add_u32 s0, s2, s0
	s_addc_u32 s1, s3, s1
	v_lshlrev_b32_e32 v0, 1, v0
	;;#ASMSTART
	v_cvt_f16_f32 v3, v3;

	;;#ASMEND
	global_store_short v0, v3, s[0:1]
	;;#ASMSTART
	v_cvt_f16_f32 v2, v2;

	;;#ASMEND
	global_store_short v0, v2, s[0:1] offset:64
	;;#ASMSTART
	v_cvt_f16_f32 v1, v1;

	;;#ASMEND
	global_store_short v0, v1, s[0:1] offset:128
.LBB239_346:
	s_endpgm
.LBB239_347:
	ds_read_b32 v6, v5
	s_waitcnt lgkmcnt(0)
	v_add_f32_e32 v3, v3, v6
	s_or_b64 exec, exec, s[2:3]
	s_and_saveexec_b64 s[2:3], vcc
	s_cbranch_execz .LBB239_341
.LBB239_348:
	ds_read_b32 v6, v5 offset:128
	s_waitcnt lgkmcnt(0)
	v_add_f32_e32 v2, v2, v6
	s_or_b64 exec, exec, s[2:3]
	s_and_saveexec_b64 s[2:3], vcc
	s_cbranch_execnz .LBB239_342
	s_branch .LBB239_343
	.section	.rodata,"a",@progbits
	.p2align	6, 0x0
	.amdhsa_kernel _ZN4vllm25paged_attention_v1_kernelIthLi96ELi16ELi128ELNS_18Fp8KVCacheDataTypeE1ELb1EEEvPT_PKS2_PKT0_S8_ifPKiSA_iPKfiiiSC_SC_iiiii
		.amdhsa_group_segment_fixed_size 208
		.amdhsa_private_segment_fixed_size 0
		.amdhsa_kernarg_size 384
		.amdhsa_user_sgpr_count 6
		.amdhsa_user_sgpr_private_segment_buffer 1
		.amdhsa_user_sgpr_dispatch_ptr 0
		.amdhsa_user_sgpr_queue_ptr 0
		.amdhsa_user_sgpr_kernarg_segment_ptr 1
		.amdhsa_user_sgpr_dispatch_id 0
		.amdhsa_user_sgpr_flat_scratch_init 0
		.amdhsa_user_sgpr_private_segment_size 0
		.amdhsa_uses_dynamic_stack 0
		.amdhsa_system_sgpr_private_segment_wavefront_offset 0
		.amdhsa_system_sgpr_workgroup_id_x 1
		.amdhsa_system_sgpr_workgroup_id_y 1
		.amdhsa_system_sgpr_workgroup_id_z 1
		.amdhsa_system_sgpr_workgroup_info 0
		.amdhsa_system_vgpr_workitem_id 0
		.amdhsa_next_free_vgpr 59
		.amdhsa_next_free_sgpr 55
		.amdhsa_reserve_vcc 1
		.amdhsa_reserve_flat_scratch 0
		.amdhsa_float_round_mode_32 0
		.amdhsa_float_round_mode_16_64 0
		.amdhsa_float_denorm_mode_32 3
		.amdhsa_float_denorm_mode_16_64 3
		.amdhsa_dx10_clamp 1
		.amdhsa_ieee_mode 1
		.amdhsa_fp16_overflow 0
		.amdhsa_exception_fp_ieee_invalid_op 0
		.amdhsa_exception_fp_denorm_src 0
		.amdhsa_exception_fp_ieee_div_zero 0
		.amdhsa_exception_fp_ieee_overflow 0
		.amdhsa_exception_fp_ieee_underflow 0
		.amdhsa_exception_fp_ieee_inexact 0
		.amdhsa_exception_int_div_zero 0
	.end_amdhsa_kernel
	.section	.text._ZN4vllm25paged_attention_v1_kernelIthLi96ELi16ELi128ELNS_18Fp8KVCacheDataTypeE1ELb1EEEvPT_PKS2_PKT0_S8_ifPKiSA_iPKfiiiSC_SC_iiiii,"axG",@progbits,_ZN4vllm25paged_attention_v1_kernelIthLi96ELi16ELi128ELNS_18Fp8KVCacheDataTypeE1ELb1EEEvPT_PKS2_PKT0_S8_ifPKiSA_iPKfiiiSC_SC_iiiii,comdat
.Lfunc_end239:
	.size	_ZN4vllm25paged_attention_v1_kernelIthLi96ELi16ELi128ELNS_18Fp8KVCacheDataTypeE1ELb1EEEvPT_PKS2_PKT0_S8_ifPKiSA_iPKfiiiSC_SC_iiiii, .Lfunc_end239-_ZN4vllm25paged_attention_v1_kernelIthLi96ELi16ELi128ELNS_18Fp8KVCacheDataTypeE1ELb1EEEvPT_PKS2_PKT0_S8_ifPKiSA_iPKfiiiSC_SC_iiiii
                                        ; -- End function
	.set _ZN4vllm25paged_attention_v1_kernelIthLi96ELi16ELi128ELNS_18Fp8KVCacheDataTypeE1ELb1EEEvPT_PKS2_PKT0_S8_ifPKiSA_iPKfiiiSC_SC_iiiii.num_vgpr, 59
	.set _ZN4vllm25paged_attention_v1_kernelIthLi96ELi16ELi128ELNS_18Fp8KVCacheDataTypeE1ELb1EEEvPT_PKS2_PKT0_S8_ifPKiSA_iPKfiiiSC_SC_iiiii.num_agpr, 0
	.set _ZN4vllm25paged_attention_v1_kernelIthLi96ELi16ELi128ELNS_18Fp8KVCacheDataTypeE1ELb1EEEvPT_PKS2_PKT0_S8_ifPKiSA_iPKfiiiSC_SC_iiiii.numbered_sgpr, 55
	.set _ZN4vllm25paged_attention_v1_kernelIthLi96ELi16ELi128ELNS_18Fp8KVCacheDataTypeE1ELb1EEEvPT_PKS2_PKT0_S8_ifPKiSA_iPKfiiiSC_SC_iiiii.num_named_barrier, 0
	.set _ZN4vllm25paged_attention_v1_kernelIthLi96ELi16ELi128ELNS_18Fp8KVCacheDataTypeE1ELb1EEEvPT_PKS2_PKT0_S8_ifPKiSA_iPKfiiiSC_SC_iiiii.private_seg_size, 0
	.set _ZN4vllm25paged_attention_v1_kernelIthLi96ELi16ELi128ELNS_18Fp8KVCacheDataTypeE1ELb1EEEvPT_PKS2_PKT0_S8_ifPKiSA_iPKfiiiSC_SC_iiiii.uses_vcc, 1
	.set _ZN4vllm25paged_attention_v1_kernelIthLi96ELi16ELi128ELNS_18Fp8KVCacheDataTypeE1ELb1EEEvPT_PKS2_PKT0_S8_ifPKiSA_iPKfiiiSC_SC_iiiii.uses_flat_scratch, 0
	.set _ZN4vllm25paged_attention_v1_kernelIthLi96ELi16ELi128ELNS_18Fp8KVCacheDataTypeE1ELb1EEEvPT_PKS2_PKT0_S8_ifPKiSA_iPKfiiiSC_SC_iiiii.has_dyn_sized_stack, 0
	.set _ZN4vllm25paged_attention_v1_kernelIthLi96ELi16ELi128ELNS_18Fp8KVCacheDataTypeE1ELb1EEEvPT_PKS2_PKT0_S8_ifPKiSA_iPKfiiiSC_SC_iiiii.has_recursion, 0
	.set _ZN4vllm25paged_attention_v1_kernelIthLi96ELi16ELi128ELNS_18Fp8KVCacheDataTypeE1ELb1EEEvPT_PKS2_PKT0_S8_ifPKiSA_iPKfiiiSC_SC_iiiii.has_indirect_call, 0
	.section	.AMDGPU.csdata,"",@progbits
; Kernel info:
; codeLenInByte = 14668
; TotalNumSgprs: 59
; NumVgprs: 59
; ScratchSize: 0
; MemoryBound: 0
; FloatMode: 240
; IeeeMode: 1
; LDSByteSize: 208 bytes/workgroup (compile time only)
; SGPRBlocks: 7
; VGPRBlocks: 14
; NumSGPRsForWavesPerEU: 59
; NumVGPRsForWavesPerEU: 59
; Occupancy: 4
; WaveLimiterHint : 1
; COMPUTE_PGM_RSRC2:SCRATCH_EN: 0
; COMPUTE_PGM_RSRC2:USER_SGPR: 6
; COMPUTE_PGM_RSRC2:TRAP_HANDLER: 0
; COMPUTE_PGM_RSRC2:TGID_X_EN: 1
; COMPUTE_PGM_RSRC2:TGID_Y_EN: 1
; COMPUTE_PGM_RSRC2:TGID_Z_EN: 1
; COMPUTE_PGM_RSRC2:TIDIG_COMP_CNT: 0
	.section	.text._ZN4vllm25paged_attention_v1_kernelIthLi112ELi16ELi128ELNS_18Fp8KVCacheDataTypeE1ELb1EEEvPT_PKS2_PKT0_S8_ifPKiSA_iPKfiiiSC_SC_iiiii,"axG",@progbits,_ZN4vllm25paged_attention_v1_kernelIthLi112ELi16ELi128ELNS_18Fp8KVCacheDataTypeE1ELb1EEEvPT_PKS2_PKT0_S8_ifPKiSA_iPKfiiiSC_SC_iiiii,comdat
	.protected	_ZN4vllm25paged_attention_v1_kernelIthLi112ELi16ELi128ELNS_18Fp8KVCacheDataTypeE1ELb1EEEvPT_PKS2_PKT0_S8_ifPKiSA_iPKfiiiSC_SC_iiiii ; -- Begin function _ZN4vllm25paged_attention_v1_kernelIthLi112ELi16ELi128ELNS_18Fp8KVCacheDataTypeE1ELb1EEEvPT_PKS2_PKT0_S8_ifPKiSA_iPKfiiiSC_SC_iiiii
	.globl	_ZN4vllm25paged_attention_v1_kernelIthLi112ELi16ELi128ELNS_18Fp8KVCacheDataTypeE1ELb1EEEvPT_PKS2_PKT0_S8_ifPKiSA_iPKfiiiSC_SC_iiiii
	.p2align	8
	.type	_ZN4vllm25paged_attention_v1_kernelIthLi112ELi16ELi128ELNS_18Fp8KVCacheDataTypeE1ELb1EEEvPT_PKS2_PKT0_S8_ifPKiSA_iPKfiiiSC_SC_iiiii,@function
_ZN4vllm25paged_attention_v1_kernelIthLi112ELi16ELi128ELNS_18Fp8KVCacheDataTypeE1ELb1EEEvPT_PKS2_PKT0_S8_ifPKiSA_iPKfiiiSC_SC_iiiii: ; @_ZN4vllm25paged_attention_v1_kernelIthLi112ELi16ELi128ELNS_18Fp8KVCacheDataTypeE1ELb1EEEvPT_PKS2_PKT0_S8_ifPKiSA_iPKfiiiSC_SC_iiiii
; %bb.0:
	s_load_dword s9, s[4:5], 0x80
	s_load_dwordx2 s[0:1], s[4:5], 0x30
	s_load_dwordx2 s[36:37], s[4:5], 0x20
	s_mov_b32 s10, s7
	s_ashr_i32 s11, s7, 31
	s_lshl_b64 s[2:3], s[10:11], 2
	s_waitcnt lgkmcnt(0)
	s_add_u32 s0, s0, s2
	s_addc_u32 s1, s1, s3
	s_abs_i32 s2, s36
	v_cvt_f32_u32_e32 v1, s2
	s_sub_i32 s11, 0, s2
	s_abs_i32 s7, s9
	s_xor_b32 s3, s9, s36
	v_rcp_iflag_f32_e32 v1, v1
	s_ashr_i32 s3, s3, 31
	s_mov_b32 s49, 0
	v_mul_f32_e32 v1, 0x4f7ffffe, v1
	v_cvt_u32_f32_e32 v1, v1
	v_readfirstlane_b32 s12, v1
	s_mul_i32 s11, s11, s12
	s_mul_hi_u32 s11, s12, s11
	s_add_i32 s12, s12, s11
	s_mul_hi_u32 s11, s7, s12
	s_mul_i32 s12, s11, s2
	s_sub_i32 s7, s7, s12
	s_add_i32 s12, s11, 1
	s_sub_i32 s13, s7, s2
	s_cmp_ge_u32 s7, s2
	s_cselect_b32 s11, s12, s11
	s_cselect_b32 s7, s13, s7
	s_add_i32 s12, s11, 1
	s_cmp_ge_u32 s7, s2
	s_cselect_b32 s2, s12, s11
	s_xor_b32 s2, s2, s3
	s_sub_i32 s14, s2, s3
	s_abs_i32 s11, s14
	v_cvt_f32_u32_e32 v1, s11
	s_load_dwordx2 s[2:3], s[4:5], 0x40
	s_sub_i32 s7, 0, s11
	s_abs_i32 s12, s6
	v_rcp_iflag_f32_e32 v1, v1
	v_mul_f32_e32 v1, 0x4f7ffffe, v1
	v_cvt_u32_f32_e32 v1, v1
	v_readfirstlane_b32 s13, v1
	s_mul_i32 s7, s7, s13
	s_mul_hi_u32 s7, s13, s7
	s_add_i32 s13, s13, s7
	s_waitcnt lgkmcnt(0)
	s_cmp_eq_u64 s[2:3], 0
	s_mul_hi_u32 s13, s12, s13
	s_cbranch_scc1 .LBB240_2
; %bb.1:
	s_ashr_i32 s7, s6, 31
	s_lshl_b64 s[16:17], s[6:7], 2
	s_add_u32 s2, s2, s16
	s_addc_u32 s3, s3, s17
	s_load_dword s49, s[2:3], 0x0
.LBB240_2:
	s_load_dword s33, s[0:1], 0x0
	s_load_dwordx4 s[16:19], s[4:5], 0x48
	s_ashr_i32 s2, s6, 31
	s_ashr_i32 s7, s14, 31
	v_and_b32_e32 v1, 3, v0
	s_mul_i32 s24, s6, 0x70
	v_cmp_gt_u32_e32 vcc, 56, v0
	s_and_saveexec_b64 s[0:1], vcc
	s_cbranch_execz .LBB240_4
; %bb.3:
	s_load_dwordx2 s[14:15], s[4:5], 0x8
	s_waitcnt lgkmcnt(0)
	s_mul_i32 s20, s16, s10
	s_ashr_i32 s21, s20, 31
	s_lshl_b64 s[20:21], s[20:21], 1
	v_lshlrev_b32_e32 v2, 2, v0
	s_add_u32 s3, s14, s20
	s_addc_u32 s16, s15, s21
	s_ashr_i32 s25, s24, 31
	s_lshl_b64 s[14:15], s[24:25], 1
	s_add_u32 s14, s3, s14
	s_addc_u32 s15, s16, s15
	global_load_dword v2, v2, s[14:15]
	v_and_b32_e32 v3, 0x3fc, v0
	v_mad_u32_u24 v3, v1, 56, v3
	s_waitcnt vmcnt(0)
	ds_write_b32 v3, v2
.LBB240_4:
	s_or_b64 exec, exec, s[0:1]
	s_mul_i32 s1, s13, s11
	s_sub_i32 s1, s12, s1
	s_xor_b32 s0, s2, s7
	s_add_i32 s2, s13, 1
	s_sub_i32 s7, s1, s11
	s_load_dwordx4 s[20:23], s[4:5], 0x68
	s_load_dword s3, s[4:5], 0x78
	s_cmp_ge_u32 s1, s11
	s_cselect_b32 s2, s2, s13
	s_cselect_b32 s1, s7, s1
	s_add_i32 s7, s2, 1
	s_cmp_ge_u32 s1, s11
	s_cselect_b32 s1, s7, s2
	s_waitcnt lgkmcnt(0)
	s_abs_i32 s25, s23
	v_cvt_f32_u32_e32 v2, s25
	s_xor_b32 s1, s1, s0
	s_sub_i32 s2, s1, s0
	s_sub_i32 s0, 0, s25
	v_rcp_iflag_f32_e32 v2, v2
	s_add_i32 s11, s33, -1
	s_abs_i32 s7, s11
	v_mul_f32_e32 v2, 0x4f7ffffe, v2
	v_cvt_u32_f32_e32 v2, v2
	s_barrier
	v_readfirstlane_b32 s46, v2
	s_mul_i32 s0, s0, s46
	s_mul_hi_u32 s0, s46, s0
	s_add_i32 s46, s46, s0
	s_cmp_lt_i32 s3, 0
	s_mul_hi_u32 s16, s7, s46
	s_cbranch_scc0 .LBB240_6
; %bb.5:
	s_mul_i32 s0, s20, s36
	s_add_i32 s0, s2, s0
	s_mul_i32 s0, s0, s3
	s_sub_i32 s36, 1, s0
	s_mov_b64 s[0:1], 0
	s_branch .LBB240_7
.LBB240_6:
	s_mov_b64 s[0:1], -1
                                        ; implicit-def: $sgpr36
.LBB240_7:
	s_load_dwordx2 s[28:29], s[4:5], 0x28
	s_ashr_i32 s19, s11, 31
	s_andn2_b64 vcc, exec, s[0:1]
	s_ashr_i32 s47, s23, 31
	s_cbranch_vccnz .LBB240_9
; %bb.8:
	s_mul_i32 s0, s9, s20
	s_add_i32 s0, s0, s6
	s_mul_i32 s0, s0, s3
	s_add_i32 s36, s0, 1
.LBB240_9:
	s_load_dword s0, s[4:5], 0x38
	s_load_dwordx2 s[26:27], s[4:5], 0x0
	s_load_dwordx2 s[34:35], s[4:5], 0x18
	s_load_dword s11, s[4:5], 0x88
	s_load_dwordx4 s[12:15], s[4:5], 0x58
	s_mul_i32 s1, s16, s25
	s_waitcnt lgkmcnt(0)
	s_mul_i32 s30, s0, s10
	s_sub_i32 s1, s7, s1
	s_ashr_i32 s31, s30, 31
	s_xor_b32 s0, s19, s47
	s_add_i32 s3, s16, 1
	s_sub_i32 s6, s1, s25
	s_cmp_ge_u32 s1, s25
	s_cselect_b32 s3, s3, s16
	s_cselect_b32 s1, s6, s1
	s_add_i32 s6, s3, 1
	s_cmp_ge_u32 s1, s25
	s_cselect_b32 s1, s6, s3
	s_xor_b32 s1, s1, s0
	s_sub_i32 s16, s1, s0
	s_add_i32 s0, s33, 15
	s_ashr_i32 s1, s0, 31
	s_lshr_b32 s1, s1, 28
	s_add_i32 s0, s0, s1
	s_ashr_i32 s48, s0, 4
	v_lshrrev_b32_e32 v11, 6, v0
	v_cmp_le_i32_e64 s[0:1], s48, v11
	v_cmp_gt_i32_e32 vcc, s48, v11
	v_mov_b32_e32 v16, 0xff7fffff
	s_mul_i32 s20, s2, s18
	v_lshrrev_b32_e32 v9, 4, v0
	v_lshlrev_b32_e32 v12, 4, v11
	v_mbcnt_lo_u32_b32 v10, -1, 0
	s_and_saveexec_b64 s[18:19], vcc
	s_cbranch_execz .LBB240_189
; %bb.10:
	s_load_dwordx2 s[2:3], s[4:5], 0x10
	s_sub_i32 s23, s16, s21
	s_ashr_i32 s4, s20, 31
	v_cmp_eq_u32_e32 vcc, 0, v1
	v_lshlrev_b32_e32 v4, 1, v1
	s_waitcnt lgkmcnt(0)
	s_add_u32 s5, s2, s20
	s_addc_u32 s4, s3, s4
	s_abs_i32 s50, s22
	v_cvt_f32_u32_e32 v2, s50
	s_sub_i32 s2, 0, s50
	v_mul_u32_u24_e32 v14, 56, v1
	v_bfe_u32 v13, v0, 2, 4
	v_rcp_iflag_f32_e32 v3, v2
	v_lshlrev_b32_e32 v5, 4, v13
	v_mov_b32_e32 v6, s4
	v_add_co_u32_e64 v5, s[4:5], s5, v5
	v_mul_f32_e32 v3, 0x4f7ffffe, v3
	v_cvt_u32_f32_e32 v3, v3
	v_addc_co_u32_e64 v6, s[4:5], 0, v6, s[4:5]
	s_mov_b32 s51, s17
	v_mul_lo_u32 v1, s2, v3
	v_mov_b32_e32 v2, 0
	v_cmp_neq_f32_e64 s[2:3], s49, 0
	v_lshlrev_b32_e32 v17, 4, v11
	v_mul_hi_u32 v1, v3, v1
	v_mov_b32_e32 v20, 0xff7fffff
	s_mov_b64 s[38:39], 0
	s_movk_i32 s52, 0x80
	v_add_u32_e32 v15, v3, v1
	v_add_co_u32_e64 v3, s[4:5], v5, v4
	v_addc_co_u32_e64 v4, s[4:5], 0, v6, s[4:5]
	s_lshl_b64 s[4:5], s[30:31], 2
	s_add_u32 s4, s28, s4
	v_and_b32_e32 v1, 60, v9
	s_addc_u32 s5, s29, s5
	v_mov_b32_e32 v6, s5
	v_add_co_u32_e64 v5, s[4:5], s4, v1
	v_subrev_u32_e32 v1, s33, v13
	v_add_u32_e32 v18, 1, v1
	v_lshlrev_b32_e32 v1, 2, v13
	v_lshl_or_b32 v1, v11, 6, v1
	v_addc_co_u32_e64 v6, s[4:5], 0, v6, s[4:5]
	v_add_u32_e32 v19, 0xf0, v1
	s_movk_i32 s53, 0x7f
	s_mov_b32 s54, 0x8000
	v_mov_b32_e32 v21, 0x2000
	v_mbcnt_hi_u32_b32 v22, -1, v10
	v_mov_b32_e32 v16, 0xff7fffff
	v_mov_b32_e32 v23, v11
	s_branch .LBB240_13
.LBB240_11:                             ;   in Loop: Header=BB240_13 Depth=1
	s_or_b64 exec, exec, s[40:41]
.LBB240_12:                             ;   in Loop: Header=BB240_13 Depth=1
	s_or_b64 exec, exec, s[6:7]
	v_add_co_u32_e64 v5, s[4:5], 8, v5
	v_add_u32_e32 v23, 2, v23
	v_addc_co_u32_e64 v6, s[4:5], 0, v6, s[4:5]
	v_cmp_le_i32_e64 s[4:5], s48, v23
	v_add_u32_e32 v17, 32, v17
	s_or_b64 s[38:39], s[4:5], s[38:39]
	v_add_u32_e32 v19, 0x80, v19
	s_andn2_b64 exec, exec, s[38:39]
	s_cbranch_execz .LBB240_188
.LBB240_13:                             ; =>This Inner Loop Header: Depth=1
	v_mul_hi_u32 v1, v17, s46
	s_waitcnt lgkmcnt(0)
	v_mul_lo_u32 v7, v1, s25
	v_add_u32_e32 v8, 1, v1
	v_sub_u32_e32 v7, v17, v7
	v_cmp_le_u32_e64 s[4:5], s25, v7
	v_cndmask_b32_e64 v1, v1, v8, s[4:5]
	v_subrev_u32_e32 v8, s25, v7
	v_cndmask_b32_e64 v7, v7, v8, s[4:5]
	v_add_u32_e32 v8, 1, v1
	v_cmp_le_u32_e64 s[4:5], s25, v7
	v_cndmask_b32_e64 v1, v1, v8, s[4:5]
	v_xor_b32_e32 v1, s47, v1
	v_subrev_u32_e32 v1, s47, v1
	v_add_u32_e32 v7, s36, v1
	v_sub_u32_e32 v8, 0, v7
	v_max_i32_e32 v8, v7, v8
	v_mul_hi_u32 v24, v8, v15
	v_ashrrev_i32_e32 v7, 31, v7
	v_cmp_ge_i32_e64 s[6:7], s23, v1
	v_mul_lo_u32 v24, v24, s50
	v_sub_u32_e32 v8, v8, v24
	v_subrev_u32_e32 v24, s50, v8
	v_cmp_le_u32_e64 s[4:5], s50, v8
	v_cndmask_b32_e64 v8, v8, v24, s[4:5]
	v_subrev_u32_e32 v24, s50, v8
	v_cmp_le_u32_e64 s[4:5], s50, v8
	v_cndmask_b32_e64 v8, v8, v24, s[4:5]
	v_xor_b32_e32 v8, v8, v7
	v_sub_u32_e32 v7, v8, v7
	v_cmp_ne_u32_e64 s[4:5], 0, v7
	s_and_b64 s[4:5], s[4:5], s[6:7]
	s_and_saveexec_b64 s[6:7], s[4:5]
	s_xor_b64 s[4:5], exec, s[6:7]
	s_cbranch_execz .LBB240_17
; %bb.14:                               ;   in Loop: Header=BB240_13 Depth=1
	s_and_saveexec_b64 s[6:7], vcc
; %bb.15:                               ;   in Loop: Header=BB240_13 Depth=1
	ds_write_b32 v19, v20
; %bb.16:                               ;   in Loop: Header=BB240_13 Depth=1
	s_or_b64 exec, exec, s[6:7]
.LBB240_17:                             ;   in Loop: Header=BB240_13 Depth=1
	s_andn2_saveexec_b64 s[6:7], s[4:5]
	s_cbranch_execz .LBB240_12
; %bb.18:                               ;   in Loop: Header=BB240_13 Depth=1
	global_load_dword v1, v[5:6], off
	v_mov_b32_e32 v25, 0
	global_load_dword v24, v25, s[12:13]
	s_waitcnt vmcnt(1)
	v_mad_i64_i32 v[7:8], s[4:5], v1, s51, v[3:4]
	global_load_ushort v26, v[7:8], off
	s_waitcnt vmcnt(0)
	v_and_b32_e32 v1, 0xffff, v26
	v_cmp_ne_u16_sdwa s[4:5], v26, v2 src0_sel:BYTE_0 src1_sel:DWORD
	v_mov_b32_e32 v26, 0
	s_and_saveexec_b64 s[40:41], s[4:5]
	s_cbranch_execz .LBB240_24
; %bb.19:                               ;   in Loop: Header=BB240_13 Depth=1
	v_cmp_ne_u16_sdwa s[4:5], v1, s52 src0_sel:BYTE_0 src1_sel:DWORD
	v_mov_b32_e32 v26, 0x8000
	s_and_saveexec_b64 s[42:43], s[4:5]
	s_cbranch_execz .LBB240_23
; %bb.20:                               ;   in Loop: Header=BB240_13 Depth=1
	v_and_b32_e32 v27, 0x7f, v1
	v_cmp_ne_u32_e64 s[4:5], s53, v27
	v_mov_b32_e32 v26, 0x7c01
	s_and_saveexec_b64 s[44:45], s[4:5]
	s_cbranch_execz .LBB240_22
; %bb.21:                               ;   in Loop: Header=BB240_13 Depth=1
	v_and_b32_e32 v26, 7, v1
	v_ffbh_u32_e32 v28, v26
	v_min_u32_e32 v31, 32, v28
	v_subrev_u32_e32 v28, 28, v31
	v_lshlrev_b64 v[28:29], v28, v[1:2]
	v_lshrrev_b32_e32 v30, 3, v27
	v_sub_u32_e32 v29, 29, v31
	v_cmp_gt_u32_e64 s[4:5], 8, v27
	v_cndmask_b32_e64 v27, v30, v29, s[4:5]
	v_lshl_add_u32 v27, v27, 10, v21
	v_lshlrev_b32_e32 v29, 8, v1
	v_and_b32_e32 v28, 7, v28
	v_and_b32_e32 v27, 0xfc00, v27
	v_cndmask_b32_e64 v26, v26, v28, s[4:5]
	v_and_or_b32 v27, v29, s54, v27
	v_lshl_or_b32 v26, v26, 7, v27
.LBB240_22:                             ;   in Loop: Header=BB240_13 Depth=1
	s_or_b64 exec, exec, s[44:45]
.LBB240_23:                             ;   in Loop: Header=BB240_13 Depth=1
	s_or_b64 exec, exec, s[42:43]
.LBB240_24:                             ;   in Loop: Header=BB240_13 Depth=1
	s_or_b64 exec, exec, s[40:41]
	v_lshrrev_b16_e32 v1, 8, v1
	v_cmp_ne_u16_e64 s[4:5], 0, v1
	s_and_saveexec_b64 s[40:41], s[4:5]
	s_cbranch_execz .LBB240_30
; %bb.25:                               ;   in Loop: Header=BB240_13 Depth=1
	v_cmp_ne_u16_e64 s[4:5], s52, v1
	v_bfrev_b32_e32 v25, 1
	s_and_saveexec_b64 s[42:43], s[4:5]
	s_cbranch_execz .LBB240_29
; %bb.26:                               ;   in Loop: Header=BB240_13 Depth=1
	v_and_b32_e32 v27, 0x7f, v1
	v_cmp_ne_u32_e64 s[4:5], s53, v27
	v_mov_b32_e32 v25, 0x7c010000
	s_and_saveexec_b64 s[44:45], s[4:5]
	s_cbranch_execz .LBB240_28
; %bb.27:                               ;   in Loop: Header=BB240_13 Depth=1
	v_and_b32_e32 v25, 7, v1
	v_ffbh_u32_e32 v28, v25
	v_min_u32_e32 v31, 32, v28
	v_subrev_u32_e32 v28, 28, v31
	v_lshlrev_b64 v[28:29], v28, v[1:2]
	v_lshrrev_b32_e32 v30, 3, v27
	v_sub_u32_e32 v29, 29, v31
	v_cmp_gt_u32_e64 s[4:5], 8, v27
	v_cndmask_b32_e64 v27, v30, v29, s[4:5]
	v_lshlrev_b32_e32 v1, 8, v1
	v_lshl_add_u32 v27, v27, 10, v21
	v_and_b32_e32 v28, 7, v28
	v_and_or_b32 v1, v1, s54, v27
	v_cndmask_b32_e64 v25, v25, v28, s[4:5]
	v_lshlrev_b32_e32 v1, 16, v1
	v_lshl_or_b32 v25, v25, 23, v1
.LBB240_28:                             ;   in Loop: Header=BB240_13 Depth=1
	s_or_b64 exec, exec, s[44:45]
.LBB240_29:                             ;   in Loop: Header=BB240_13 Depth=1
	s_or_b64 exec, exec, s[42:43]
.LBB240_30:                             ;   in Loop: Header=BB240_13 Depth=1
	s_or_b64 exec, exec, s[40:41]
	global_load_ushort v28, v[7:8], off offset:8
	v_mov_b32_e32 v27, 0
	s_waitcnt vmcnt(0)
	v_and_b32_e32 v1, 0xffff, v28
	v_cmp_ne_u16_sdwa s[4:5], v28, v2 src0_sel:BYTE_0 src1_sel:DWORD
	v_mov_b32_e32 v28, 0
	s_and_saveexec_b64 s[40:41], s[4:5]
	s_cbranch_execz .LBB240_36
; %bb.31:                               ;   in Loop: Header=BB240_13 Depth=1
	v_cmp_ne_u16_sdwa s[4:5], v1, s52 src0_sel:BYTE_0 src1_sel:DWORD
	v_mov_b32_e32 v28, 0x8000
	s_and_saveexec_b64 s[42:43], s[4:5]
	s_cbranch_execz .LBB240_35
; %bb.32:                               ;   in Loop: Header=BB240_13 Depth=1
	v_and_b32_e32 v29, 0x7f, v1
	v_cmp_ne_u32_e64 s[4:5], s53, v29
	v_mov_b32_e32 v28, 0x7c01
	s_and_saveexec_b64 s[44:45], s[4:5]
	s_cbranch_execz .LBB240_34
; %bb.33:                               ;   in Loop: Header=BB240_13 Depth=1
	v_and_b32_e32 v28, 7, v1
	v_ffbh_u32_e32 v30, v28
	v_min_u32_e32 v33, 32, v30
	v_subrev_u32_e32 v30, 28, v33
	v_lshlrev_b64 v[30:31], v30, v[1:2]
	v_lshrrev_b32_e32 v32, 3, v29
	v_sub_u32_e32 v31, 29, v33
	v_cmp_gt_u32_e64 s[4:5], 8, v29
	v_cndmask_b32_e64 v29, v32, v31, s[4:5]
	v_lshl_add_u32 v29, v29, 10, v21
	v_lshlrev_b32_e32 v31, 8, v1
	v_and_b32_e32 v30, 7, v30
	v_and_b32_e32 v29, 0xfc00, v29
	v_cndmask_b32_e64 v28, v28, v30, s[4:5]
	v_and_or_b32 v29, v31, s54, v29
	v_lshl_or_b32 v28, v28, 7, v29
.LBB240_34:                             ;   in Loop: Header=BB240_13 Depth=1
	s_or_b64 exec, exec, s[44:45]
.LBB240_35:                             ;   in Loop: Header=BB240_13 Depth=1
	s_or_b64 exec, exec, s[42:43]
.LBB240_36:                             ;   in Loop: Header=BB240_13 Depth=1
	s_or_b64 exec, exec, s[40:41]
	v_lshrrev_b16_e32 v1, 8, v1
	v_cmp_ne_u16_e64 s[4:5], 0, v1
	s_and_saveexec_b64 s[40:41], s[4:5]
	s_cbranch_execz .LBB240_42
; %bb.37:                               ;   in Loop: Header=BB240_13 Depth=1
	v_cmp_ne_u16_e64 s[4:5], s52, v1
	v_bfrev_b32_e32 v27, 1
	s_and_saveexec_b64 s[42:43], s[4:5]
	s_cbranch_execz .LBB240_41
; %bb.38:                               ;   in Loop: Header=BB240_13 Depth=1
	v_and_b32_e32 v29, 0x7f, v1
	v_cmp_ne_u32_e64 s[4:5], s53, v29
	v_mov_b32_e32 v27, 0x7c010000
	s_and_saveexec_b64 s[44:45], s[4:5]
	s_cbranch_execz .LBB240_40
; %bb.39:                               ;   in Loop: Header=BB240_13 Depth=1
	v_and_b32_e32 v27, 7, v1
	v_ffbh_u32_e32 v30, v27
	v_min_u32_e32 v33, 32, v30
	v_subrev_u32_e32 v30, 28, v33
	v_lshlrev_b64 v[30:31], v30, v[1:2]
	v_lshrrev_b32_e32 v32, 3, v29
	v_sub_u32_e32 v31, 29, v33
	v_cmp_gt_u32_e64 s[4:5], 8, v29
	v_cndmask_b32_e64 v29, v32, v31, s[4:5]
	v_lshlrev_b32_e32 v1, 8, v1
	v_lshl_add_u32 v29, v29, 10, v21
	v_and_b32_e32 v30, 7, v30
	v_and_or_b32 v1, v1, s54, v29
	v_cndmask_b32_e64 v27, v27, v30, s[4:5]
	v_lshlrev_b32_e32 v1, 16, v1
	v_lshl_or_b32 v27, v27, 23, v1
.LBB240_40:                             ;   in Loop: Header=BB240_13 Depth=1
	s_or_b64 exec, exec, s[44:45]
.LBB240_41:                             ;   in Loop: Header=BB240_13 Depth=1
	s_or_b64 exec, exec, s[42:43]
.LBB240_42:                             ;   in Loop: Header=BB240_13 Depth=1
	s_or_b64 exec, exec, s[40:41]
	global_load_ushort v30, v[7:8], off offset:256
	v_mov_b32_e32 v29, 0
	s_waitcnt vmcnt(0)
	v_and_b32_e32 v1, 0xffff, v30
	v_cmp_ne_u16_sdwa s[4:5], v30, v2 src0_sel:BYTE_0 src1_sel:DWORD
	v_mov_b32_e32 v30, 0
	s_and_saveexec_b64 s[40:41], s[4:5]
	s_cbranch_execz .LBB240_48
; %bb.43:                               ;   in Loop: Header=BB240_13 Depth=1
	v_cmp_ne_u16_sdwa s[4:5], v1, s52 src0_sel:BYTE_0 src1_sel:DWORD
	v_mov_b32_e32 v30, 0x8000
	s_and_saveexec_b64 s[42:43], s[4:5]
	s_cbranch_execz .LBB240_47
; %bb.44:                               ;   in Loop: Header=BB240_13 Depth=1
	v_and_b32_e32 v31, 0x7f, v1
	v_cmp_ne_u32_e64 s[4:5], s53, v31
	v_mov_b32_e32 v30, 0x7c01
	s_and_saveexec_b64 s[44:45], s[4:5]
	s_cbranch_execz .LBB240_46
; %bb.45:                               ;   in Loop: Header=BB240_13 Depth=1
	v_and_b32_e32 v30, 7, v1
	v_ffbh_u32_e32 v32, v30
	v_min_u32_e32 v35, 32, v32
	v_subrev_u32_e32 v32, 28, v35
	v_lshlrev_b64 v[32:33], v32, v[1:2]
	v_lshrrev_b32_e32 v34, 3, v31
	v_sub_u32_e32 v33, 29, v35
	v_cmp_gt_u32_e64 s[4:5], 8, v31
	v_cndmask_b32_e64 v31, v34, v33, s[4:5]
	v_lshl_add_u32 v31, v31, 10, v21
	v_lshlrev_b32_e32 v33, 8, v1
	v_and_b32_e32 v32, 7, v32
	v_and_b32_e32 v31, 0xfc00, v31
	v_cndmask_b32_e64 v30, v30, v32, s[4:5]
	v_and_or_b32 v31, v33, s54, v31
	v_lshl_or_b32 v30, v30, 7, v31
.LBB240_46:                             ;   in Loop: Header=BB240_13 Depth=1
	s_or_b64 exec, exec, s[44:45]
.LBB240_47:                             ;   in Loop: Header=BB240_13 Depth=1
	s_or_b64 exec, exec, s[42:43]
.LBB240_48:                             ;   in Loop: Header=BB240_13 Depth=1
	s_or_b64 exec, exec, s[40:41]
	v_lshrrev_b16_e32 v1, 8, v1
	v_cmp_ne_u16_e64 s[4:5], 0, v1
	s_and_saveexec_b64 s[40:41], s[4:5]
	s_cbranch_execz .LBB240_54
; %bb.49:                               ;   in Loop: Header=BB240_13 Depth=1
	v_cmp_ne_u16_e64 s[4:5], s52, v1
	v_bfrev_b32_e32 v29, 1
	s_and_saveexec_b64 s[42:43], s[4:5]
	s_cbranch_execz .LBB240_53
; %bb.50:                               ;   in Loop: Header=BB240_13 Depth=1
	v_and_b32_e32 v31, 0x7f, v1
	v_cmp_ne_u32_e64 s[4:5], s53, v31
	v_mov_b32_e32 v29, 0x7c010000
	s_and_saveexec_b64 s[44:45], s[4:5]
	s_cbranch_execz .LBB240_52
; %bb.51:                               ;   in Loop: Header=BB240_13 Depth=1
	v_and_b32_e32 v29, 7, v1
	v_ffbh_u32_e32 v32, v29
	v_min_u32_e32 v35, 32, v32
	v_subrev_u32_e32 v32, 28, v35
	v_lshlrev_b64 v[32:33], v32, v[1:2]
	v_lshrrev_b32_e32 v34, 3, v31
	v_sub_u32_e32 v33, 29, v35
	v_cmp_gt_u32_e64 s[4:5], 8, v31
	v_cndmask_b32_e64 v31, v34, v33, s[4:5]
	v_lshlrev_b32_e32 v1, 8, v1
	v_lshl_add_u32 v31, v31, 10, v21
	v_and_b32_e32 v32, 7, v32
	v_and_or_b32 v1, v1, s54, v31
	v_cndmask_b32_e64 v29, v29, v32, s[4:5]
	v_lshlrev_b32_e32 v1, 16, v1
	v_lshl_or_b32 v29, v29, 23, v1
.LBB240_52:                             ;   in Loop: Header=BB240_13 Depth=1
	s_or_b64 exec, exec, s[44:45]
.LBB240_53:                             ;   in Loop: Header=BB240_13 Depth=1
	s_or_b64 exec, exec, s[42:43]
.LBB240_54:                             ;   in Loop: Header=BB240_13 Depth=1
	s_or_b64 exec, exec, s[40:41]
	global_load_ushort v32, v[7:8], off offset:264
	v_mov_b32_e32 v31, 0
	s_waitcnt vmcnt(0)
	v_and_b32_e32 v1, 0xffff, v32
	v_cmp_ne_u16_sdwa s[4:5], v32, v2 src0_sel:BYTE_0 src1_sel:DWORD
	v_mov_b32_e32 v32, 0
	s_and_saveexec_b64 s[40:41], s[4:5]
	s_cbranch_execz .LBB240_60
; %bb.55:                               ;   in Loop: Header=BB240_13 Depth=1
	v_cmp_ne_u16_sdwa s[4:5], v1, s52 src0_sel:BYTE_0 src1_sel:DWORD
	v_mov_b32_e32 v32, 0x8000
	s_and_saveexec_b64 s[42:43], s[4:5]
	s_cbranch_execz .LBB240_59
; %bb.56:                               ;   in Loop: Header=BB240_13 Depth=1
	v_and_b32_e32 v33, 0x7f, v1
	v_cmp_ne_u32_e64 s[4:5], s53, v33
	v_mov_b32_e32 v32, 0x7c01
	s_and_saveexec_b64 s[44:45], s[4:5]
	s_cbranch_execz .LBB240_58
; %bb.57:                               ;   in Loop: Header=BB240_13 Depth=1
	v_and_b32_e32 v32, 7, v1
	v_ffbh_u32_e32 v34, v32
	v_min_u32_e32 v37, 32, v34
	v_subrev_u32_e32 v34, 28, v37
	v_lshlrev_b64 v[34:35], v34, v[1:2]
	v_lshrrev_b32_e32 v36, 3, v33
	v_sub_u32_e32 v35, 29, v37
	v_cmp_gt_u32_e64 s[4:5], 8, v33
	v_cndmask_b32_e64 v33, v36, v35, s[4:5]
	v_lshl_add_u32 v33, v33, 10, v21
	v_lshlrev_b32_e32 v35, 8, v1
	v_and_b32_e32 v34, 7, v34
	v_and_b32_e32 v33, 0xfc00, v33
	v_cndmask_b32_e64 v32, v32, v34, s[4:5]
	v_and_or_b32 v33, v35, s54, v33
	v_lshl_or_b32 v32, v32, 7, v33
.LBB240_58:                             ;   in Loop: Header=BB240_13 Depth=1
	s_or_b64 exec, exec, s[44:45]
.LBB240_59:                             ;   in Loop: Header=BB240_13 Depth=1
	s_or_b64 exec, exec, s[42:43]
.LBB240_60:                             ;   in Loop: Header=BB240_13 Depth=1
	s_or_b64 exec, exec, s[40:41]
	v_lshrrev_b16_e32 v1, 8, v1
	v_cmp_ne_u16_e64 s[4:5], 0, v1
	s_and_saveexec_b64 s[40:41], s[4:5]
	s_cbranch_execz .LBB240_66
; %bb.61:                               ;   in Loop: Header=BB240_13 Depth=1
	v_cmp_ne_u16_e64 s[4:5], s52, v1
	v_bfrev_b32_e32 v31, 1
	s_and_saveexec_b64 s[42:43], s[4:5]
	s_cbranch_execz .LBB240_65
; %bb.62:                               ;   in Loop: Header=BB240_13 Depth=1
	v_and_b32_e32 v33, 0x7f, v1
	v_cmp_ne_u32_e64 s[4:5], s53, v33
	v_mov_b32_e32 v31, 0x7c010000
	s_and_saveexec_b64 s[44:45], s[4:5]
	s_cbranch_execz .LBB240_64
; %bb.63:                               ;   in Loop: Header=BB240_13 Depth=1
	v_and_b32_e32 v31, 7, v1
	v_ffbh_u32_e32 v34, v31
	v_min_u32_e32 v37, 32, v34
	v_subrev_u32_e32 v34, 28, v37
	v_lshlrev_b64 v[34:35], v34, v[1:2]
	v_lshrrev_b32_e32 v36, 3, v33
	v_sub_u32_e32 v35, 29, v37
	v_cmp_gt_u32_e64 s[4:5], 8, v33
	v_cndmask_b32_e64 v33, v36, v35, s[4:5]
	v_lshlrev_b32_e32 v1, 8, v1
	v_lshl_add_u32 v33, v33, 10, v21
	v_and_b32_e32 v34, 7, v34
	v_and_or_b32 v1, v1, s54, v33
	v_cndmask_b32_e64 v31, v31, v34, s[4:5]
	v_lshlrev_b32_e32 v1, 16, v1
	v_lshl_or_b32 v31, v31, 23, v1
.LBB240_64:                             ;   in Loop: Header=BB240_13 Depth=1
	s_or_b64 exec, exec, s[44:45]
.LBB240_65:                             ;   in Loop: Header=BB240_13 Depth=1
	s_or_b64 exec, exec, s[42:43]
.LBB240_66:                             ;   in Loop: Header=BB240_13 Depth=1
	s_or_b64 exec, exec, s[40:41]
	global_load_ushort v34, v[7:8], off offset:512
	v_mov_b32_e32 v33, 0
	s_waitcnt vmcnt(0)
	v_and_b32_e32 v1, 0xffff, v34
	v_cmp_ne_u16_sdwa s[4:5], v34, v2 src0_sel:BYTE_0 src1_sel:DWORD
	v_mov_b32_e32 v34, 0
	s_and_saveexec_b64 s[40:41], s[4:5]
	s_cbranch_execz .LBB240_72
; %bb.67:                               ;   in Loop: Header=BB240_13 Depth=1
	v_cmp_ne_u16_sdwa s[4:5], v1, s52 src0_sel:BYTE_0 src1_sel:DWORD
	v_mov_b32_e32 v34, 0x8000
	s_and_saveexec_b64 s[42:43], s[4:5]
	s_cbranch_execz .LBB240_71
; %bb.68:                               ;   in Loop: Header=BB240_13 Depth=1
	v_and_b32_e32 v35, 0x7f, v1
	v_cmp_ne_u32_e64 s[4:5], s53, v35
	v_mov_b32_e32 v34, 0x7c01
	s_and_saveexec_b64 s[44:45], s[4:5]
	s_cbranch_execz .LBB240_70
; %bb.69:                               ;   in Loop: Header=BB240_13 Depth=1
	v_and_b32_e32 v34, 7, v1
	v_ffbh_u32_e32 v36, v34
	v_min_u32_e32 v39, 32, v36
	v_subrev_u32_e32 v36, 28, v39
	v_lshlrev_b64 v[36:37], v36, v[1:2]
	v_lshrrev_b32_e32 v38, 3, v35
	v_sub_u32_e32 v37, 29, v39
	v_cmp_gt_u32_e64 s[4:5], 8, v35
	v_cndmask_b32_e64 v35, v38, v37, s[4:5]
	v_lshl_add_u32 v35, v35, 10, v21
	v_lshlrev_b32_e32 v37, 8, v1
	v_and_b32_e32 v36, 7, v36
	v_and_b32_e32 v35, 0xfc00, v35
	v_cndmask_b32_e64 v34, v34, v36, s[4:5]
	v_and_or_b32 v35, v37, s54, v35
	v_lshl_or_b32 v34, v34, 7, v35
.LBB240_70:                             ;   in Loop: Header=BB240_13 Depth=1
	s_or_b64 exec, exec, s[44:45]
.LBB240_71:                             ;   in Loop: Header=BB240_13 Depth=1
	s_or_b64 exec, exec, s[42:43]
.LBB240_72:                             ;   in Loop: Header=BB240_13 Depth=1
	s_or_b64 exec, exec, s[40:41]
	v_lshrrev_b16_e32 v1, 8, v1
	v_cmp_ne_u16_e64 s[4:5], 0, v1
	s_and_saveexec_b64 s[40:41], s[4:5]
	s_cbranch_execz .LBB240_78
; %bb.73:                               ;   in Loop: Header=BB240_13 Depth=1
	v_cmp_ne_u16_e64 s[4:5], s52, v1
	v_bfrev_b32_e32 v33, 1
	s_and_saveexec_b64 s[42:43], s[4:5]
	s_cbranch_execz .LBB240_77
; %bb.74:                               ;   in Loop: Header=BB240_13 Depth=1
	v_and_b32_e32 v35, 0x7f, v1
	v_cmp_ne_u32_e64 s[4:5], s53, v35
	v_mov_b32_e32 v33, 0x7c010000
	s_and_saveexec_b64 s[44:45], s[4:5]
	s_cbranch_execz .LBB240_76
; %bb.75:                               ;   in Loop: Header=BB240_13 Depth=1
	v_and_b32_e32 v33, 7, v1
	v_ffbh_u32_e32 v36, v33
	v_min_u32_e32 v39, 32, v36
	v_subrev_u32_e32 v36, 28, v39
	v_lshlrev_b64 v[36:37], v36, v[1:2]
	v_lshrrev_b32_e32 v38, 3, v35
	v_sub_u32_e32 v37, 29, v39
	v_cmp_gt_u32_e64 s[4:5], 8, v35
	v_cndmask_b32_e64 v35, v38, v37, s[4:5]
	v_lshlrev_b32_e32 v1, 8, v1
	v_lshl_add_u32 v35, v35, 10, v21
	v_and_b32_e32 v36, 7, v36
	v_and_or_b32 v1, v1, s54, v35
	v_cndmask_b32_e64 v33, v33, v36, s[4:5]
	v_lshlrev_b32_e32 v1, 16, v1
	v_lshl_or_b32 v33, v33, 23, v1
.LBB240_76:                             ;   in Loop: Header=BB240_13 Depth=1
	s_or_b64 exec, exec, s[44:45]
.LBB240_77:                             ;   in Loop: Header=BB240_13 Depth=1
	s_or_b64 exec, exec, s[42:43]
.LBB240_78:                             ;   in Loop: Header=BB240_13 Depth=1
	s_or_b64 exec, exec, s[40:41]
	global_load_ushort v36, v[7:8], off offset:520
	v_mov_b32_e32 v35, 0
	s_waitcnt vmcnt(0)
	v_and_b32_e32 v1, 0xffff, v36
	v_cmp_ne_u16_sdwa s[4:5], v36, v2 src0_sel:BYTE_0 src1_sel:DWORD
	v_mov_b32_e32 v36, 0
	s_and_saveexec_b64 s[40:41], s[4:5]
	s_cbranch_execz .LBB240_84
; %bb.79:                               ;   in Loop: Header=BB240_13 Depth=1
	v_cmp_ne_u16_sdwa s[4:5], v1, s52 src0_sel:BYTE_0 src1_sel:DWORD
	v_mov_b32_e32 v36, 0x8000
	s_and_saveexec_b64 s[42:43], s[4:5]
	s_cbranch_execz .LBB240_83
; %bb.80:                               ;   in Loop: Header=BB240_13 Depth=1
	v_and_b32_e32 v37, 0x7f, v1
	v_cmp_ne_u32_e64 s[4:5], s53, v37
	v_mov_b32_e32 v36, 0x7c01
	s_and_saveexec_b64 s[44:45], s[4:5]
	s_cbranch_execz .LBB240_82
; %bb.81:                               ;   in Loop: Header=BB240_13 Depth=1
	v_and_b32_e32 v36, 7, v1
	v_ffbh_u32_e32 v38, v36
	v_min_u32_e32 v41, 32, v38
	v_subrev_u32_e32 v38, 28, v41
	v_lshlrev_b64 v[38:39], v38, v[1:2]
	v_lshrrev_b32_e32 v40, 3, v37
	v_sub_u32_e32 v39, 29, v41
	v_cmp_gt_u32_e64 s[4:5], 8, v37
	v_cndmask_b32_e64 v37, v40, v39, s[4:5]
	v_lshl_add_u32 v37, v37, 10, v21
	v_lshlrev_b32_e32 v39, 8, v1
	v_and_b32_e32 v38, 7, v38
	v_and_b32_e32 v37, 0xfc00, v37
	v_cndmask_b32_e64 v36, v36, v38, s[4:5]
	v_and_or_b32 v37, v39, s54, v37
	v_lshl_or_b32 v36, v36, 7, v37
.LBB240_82:                             ;   in Loop: Header=BB240_13 Depth=1
	s_or_b64 exec, exec, s[44:45]
.LBB240_83:                             ;   in Loop: Header=BB240_13 Depth=1
	s_or_b64 exec, exec, s[42:43]
.LBB240_84:                             ;   in Loop: Header=BB240_13 Depth=1
	s_or_b64 exec, exec, s[40:41]
	v_lshrrev_b16_e32 v1, 8, v1
	v_cmp_ne_u16_e64 s[4:5], 0, v1
	s_and_saveexec_b64 s[40:41], s[4:5]
	s_cbranch_execz .LBB240_90
; %bb.85:                               ;   in Loop: Header=BB240_13 Depth=1
	v_cmp_ne_u16_e64 s[4:5], s52, v1
	v_bfrev_b32_e32 v35, 1
	s_and_saveexec_b64 s[42:43], s[4:5]
	s_cbranch_execz .LBB240_89
; %bb.86:                               ;   in Loop: Header=BB240_13 Depth=1
	v_and_b32_e32 v37, 0x7f, v1
	v_cmp_ne_u32_e64 s[4:5], s53, v37
	v_mov_b32_e32 v35, 0x7c010000
	s_and_saveexec_b64 s[44:45], s[4:5]
	s_cbranch_execz .LBB240_88
; %bb.87:                               ;   in Loop: Header=BB240_13 Depth=1
	v_and_b32_e32 v35, 7, v1
	v_ffbh_u32_e32 v38, v35
	v_min_u32_e32 v41, 32, v38
	v_subrev_u32_e32 v38, 28, v41
	v_lshlrev_b64 v[38:39], v38, v[1:2]
	v_lshrrev_b32_e32 v40, 3, v37
	v_sub_u32_e32 v39, 29, v41
	v_cmp_gt_u32_e64 s[4:5], 8, v37
	v_cndmask_b32_e64 v37, v40, v39, s[4:5]
	v_lshlrev_b32_e32 v1, 8, v1
	v_lshl_add_u32 v37, v37, 10, v21
	v_and_b32_e32 v38, 7, v38
	v_and_or_b32 v1, v1, s54, v37
	v_cndmask_b32_e64 v35, v35, v38, s[4:5]
	v_lshlrev_b32_e32 v1, 16, v1
	v_lshl_or_b32 v35, v35, 23, v1
.LBB240_88:                             ;   in Loop: Header=BB240_13 Depth=1
	s_or_b64 exec, exec, s[44:45]
.LBB240_89:                             ;   in Loop: Header=BB240_13 Depth=1
	s_or_b64 exec, exec, s[42:43]
.LBB240_90:                             ;   in Loop: Header=BB240_13 Depth=1
	s_or_b64 exec, exec, s[40:41]
	global_load_ushort v38, v[7:8], off offset:768
	v_mov_b32_e32 v37, 0
	s_waitcnt vmcnt(0)
	v_and_b32_e32 v1, 0xffff, v38
	v_cmp_ne_u16_sdwa s[4:5], v38, v2 src0_sel:BYTE_0 src1_sel:DWORD
	v_mov_b32_e32 v38, 0
	s_and_saveexec_b64 s[40:41], s[4:5]
	s_cbranch_execz .LBB240_96
; %bb.91:                               ;   in Loop: Header=BB240_13 Depth=1
	v_cmp_ne_u16_sdwa s[4:5], v1, s52 src0_sel:BYTE_0 src1_sel:DWORD
	v_mov_b32_e32 v38, 0x8000
	s_and_saveexec_b64 s[42:43], s[4:5]
	s_cbranch_execz .LBB240_95
; %bb.92:                               ;   in Loop: Header=BB240_13 Depth=1
	v_and_b32_e32 v39, 0x7f, v1
	v_cmp_ne_u32_e64 s[4:5], s53, v39
	v_mov_b32_e32 v38, 0x7c01
	s_and_saveexec_b64 s[44:45], s[4:5]
	s_cbranch_execz .LBB240_94
; %bb.93:                               ;   in Loop: Header=BB240_13 Depth=1
	v_and_b32_e32 v38, 7, v1
	v_ffbh_u32_e32 v40, v38
	v_min_u32_e32 v43, 32, v40
	v_subrev_u32_e32 v40, 28, v43
	v_lshlrev_b64 v[40:41], v40, v[1:2]
	v_lshrrev_b32_e32 v42, 3, v39
	v_sub_u32_e32 v41, 29, v43
	v_cmp_gt_u32_e64 s[4:5], 8, v39
	v_cndmask_b32_e64 v39, v42, v41, s[4:5]
	v_lshl_add_u32 v39, v39, 10, v21
	v_lshlrev_b32_e32 v41, 8, v1
	v_and_b32_e32 v40, 7, v40
	v_and_b32_e32 v39, 0xfc00, v39
	v_cndmask_b32_e64 v38, v38, v40, s[4:5]
	v_and_or_b32 v39, v41, s54, v39
	v_lshl_or_b32 v38, v38, 7, v39
.LBB240_94:                             ;   in Loop: Header=BB240_13 Depth=1
	s_or_b64 exec, exec, s[44:45]
.LBB240_95:                             ;   in Loop: Header=BB240_13 Depth=1
	s_or_b64 exec, exec, s[42:43]
.LBB240_96:                             ;   in Loop: Header=BB240_13 Depth=1
	s_or_b64 exec, exec, s[40:41]
	v_lshrrev_b16_e32 v1, 8, v1
	v_cmp_ne_u16_e64 s[4:5], 0, v1
	s_and_saveexec_b64 s[40:41], s[4:5]
	s_cbranch_execz .LBB240_102
; %bb.97:                               ;   in Loop: Header=BB240_13 Depth=1
	v_cmp_ne_u16_e64 s[4:5], s52, v1
	v_bfrev_b32_e32 v37, 1
	s_and_saveexec_b64 s[42:43], s[4:5]
	s_cbranch_execz .LBB240_101
; %bb.98:                               ;   in Loop: Header=BB240_13 Depth=1
	v_and_b32_e32 v39, 0x7f, v1
	v_cmp_ne_u32_e64 s[4:5], s53, v39
	v_mov_b32_e32 v37, 0x7c010000
	s_and_saveexec_b64 s[44:45], s[4:5]
	s_cbranch_execz .LBB240_100
; %bb.99:                               ;   in Loop: Header=BB240_13 Depth=1
	v_and_b32_e32 v37, 7, v1
	v_ffbh_u32_e32 v40, v37
	v_min_u32_e32 v43, 32, v40
	v_subrev_u32_e32 v40, 28, v43
	v_lshlrev_b64 v[40:41], v40, v[1:2]
	v_lshrrev_b32_e32 v42, 3, v39
	v_sub_u32_e32 v41, 29, v43
	v_cmp_gt_u32_e64 s[4:5], 8, v39
	v_cndmask_b32_e64 v39, v42, v41, s[4:5]
	v_lshlrev_b32_e32 v1, 8, v1
	v_lshl_add_u32 v39, v39, 10, v21
	v_and_b32_e32 v40, 7, v40
	v_and_or_b32 v1, v1, s54, v39
	v_cndmask_b32_e64 v37, v37, v40, s[4:5]
	v_lshlrev_b32_e32 v1, 16, v1
	v_lshl_or_b32 v37, v37, 23, v1
.LBB240_100:                            ;   in Loop: Header=BB240_13 Depth=1
	s_or_b64 exec, exec, s[44:45]
.LBB240_101:                            ;   in Loop: Header=BB240_13 Depth=1
	s_or_b64 exec, exec, s[42:43]
.LBB240_102:                            ;   in Loop: Header=BB240_13 Depth=1
	s_or_b64 exec, exec, s[40:41]
	global_load_ushort v40, v[7:8], off offset:776
	v_mov_b32_e32 v39, 0
	s_waitcnt vmcnt(0)
	v_and_b32_e32 v1, 0xffff, v40
	v_cmp_ne_u16_sdwa s[4:5], v40, v2 src0_sel:BYTE_0 src1_sel:DWORD
	v_mov_b32_e32 v40, 0
	s_and_saveexec_b64 s[40:41], s[4:5]
	s_cbranch_execz .LBB240_108
; %bb.103:                              ;   in Loop: Header=BB240_13 Depth=1
	v_cmp_ne_u16_sdwa s[4:5], v1, s52 src0_sel:BYTE_0 src1_sel:DWORD
	v_mov_b32_e32 v40, 0x8000
	s_and_saveexec_b64 s[42:43], s[4:5]
	s_cbranch_execz .LBB240_107
; %bb.104:                              ;   in Loop: Header=BB240_13 Depth=1
	v_and_b32_e32 v41, 0x7f, v1
	v_cmp_ne_u32_e64 s[4:5], s53, v41
	v_mov_b32_e32 v40, 0x7c01
	s_and_saveexec_b64 s[44:45], s[4:5]
	s_cbranch_execz .LBB240_106
; %bb.105:                              ;   in Loop: Header=BB240_13 Depth=1
	v_and_b32_e32 v40, 7, v1
	v_ffbh_u32_e32 v42, v40
	v_min_u32_e32 v45, 32, v42
	v_subrev_u32_e32 v42, 28, v45
	v_lshlrev_b64 v[42:43], v42, v[1:2]
	v_lshrrev_b32_e32 v44, 3, v41
	v_sub_u32_e32 v43, 29, v45
	v_cmp_gt_u32_e64 s[4:5], 8, v41
	v_cndmask_b32_e64 v41, v44, v43, s[4:5]
	v_lshl_add_u32 v41, v41, 10, v21
	v_lshlrev_b32_e32 v43, 8, v1
	v_and_b32_e32 v42, 7, v42
	v_and_b32_e32 v41, 0xfc00, v41
	v_cndmask_b32_e64 v40, v40, v42, s[4:5]
	v_and_or_b32 v41, v43, s54, v41
	v_lshl_or_b32 v40, v40, 7, v41
.LBB240_106:                            ;   in Loop: Header=BB240_13 Depth=1
	s_or_b64 exec, exec, s[44:45]
.LBB240_107:                            ;   in Loop: Header=BB240_13 Depth=1
	s_or_b64 exec, exec, s[42:43]
.LBB240_108:                            ;   in Loop: Header=BB240_13 Depth=1
	s_or_b64 exec, exec, s[40:41]
	v_lshrrev_b16_e32 v1, 8, v1
	v_cmp_ne_u16_e64 s[4:5], 0, v1
	s_and_saveexec_b64 s[40:41], s[4:5]
	s_cbranch_execz .LBB240_114
; %bb.109:                              ;   in Loop: Header=BB240_13 Depth=1
	v_cmp_ne_u16_e64 s[4:5], s52, v1
	v_bfrev_b32_e32 v39, 1
	s_and_saveexec_b64 s[42:43], s[4:5]
	s_cbranch_execz .LBB240_113
; %bb.110:                              ;   in Loop: Header=BB240_13 Depth=1
	v_and_b32_e32 v41, 0x7f, v1
	v_cmp_ne_u32_e64 s[4:5], s53, v41
	v_mov_b32_e32 v39, 0x7c010000
	s_and_saveexec_b64 s[44:45], s[4:5]
	s_cbranch_execz .LBB240_112
; %bb.111:                              ;   in Loop: Header=BB240_13 Depth=1
	v_and_b32_e32 v39, 7, v1
	v_ffbh_u32_e32 v42, v39
	v_min_u32_e32 v45, 32, v42
	v_subrev_u32_e32 v42, 28, v45
	v_lshlrev_b64 v[42:43], v42, v[1:2]
	v_lshrrev_b32_e32 v44, 3, v41
	v_sub_u32_e32 v43, 29, v45
	v_cmp_gt_u32_e64 s[4:5], 8, v41
	v_cndmask_b32_e64 v41, v44, v43, s[4:5]
	v_lshlrev_b32_e32 v1, 8, v1
	v_lshl_add_u32 v41, v41, 10, v21
	v_and_b32_e32 v42, 7, v42
	v_and_or_b32 v1, v1, s54, v41
	v_cndmask_b32_e64 v39, v39, v42, s[4:5]
	v_lshlrev_b32_e32 v1, 16, v1
	v_lshl_or_b32 v39, v39, 23, v1
.LBB240_112:                            ;   in Loop: Header=BB240_13 Depth=1
	s_or_b64 exec, exec, s[44:45]
.LBB240_113:                            ;   in Loop: Header=BB240_13 Depth=1
	s_or_b64 exec, exec, s[42:43]
.LBB240_114:                            ;   in Loop: Header=BB240_13 Depth=1
	s_or_b64 exec, exec, s[40:41]
	global_load_ushort v42, v[7:8], off offset:1024
	v_mov_b32_e32 v41, 0
	s_waitcnt vmcnt(0)
	v_and_b32_e32 v1, 0xffff, v42
	v_cmp_ne_u16_sdwa s[4:5], v42, v2 src0_sel:BYTE_0 src1_sel:DWORD
	v_mov_b32_e32 v42, 0
	s_and_saveexec_b64 s[40:41], s[4:5]
	s_cbranch_execz .LBB240_120
; %bb.115:                              ;   in Loop: Header=BB240_13 Depth=1
	v_cmp_ne_u16_sdwa s[4:5], v1, s52 src0_sel:BYTE_0 src1_sel:DWORD
	v_mov_b32_e32 v42, 0x8000
	s_and_saveexec_b64 s[42:43], s[4:5]
	s_cbranch_execz .LBB240_119
; %bb.116:                              ;   in Loop: Header=BB240_13 Depth=1
	v_and_b32_e32 v43, 0x7f, v1
	v_cmp_ne_u32_e64 s[4:5], s53, v43
	v_mov_b32_e32 v42, 0x7c01
	s_and_saveexec_b64 s[44:45], s[4:5]
	s_cbranch_execz .LBB240_118
; %bb.117:                              ;   in Loop: Header=BB240_13 Depth=1
	v_and_b32_e32 v42, 7, v1
	v_ffbh_u32_e32 v44, v42
	v_min_u32_e32 v47, 32, v44
	v_subrev_u32_e32 v44, 28, v47
	v_lshlrev_b64 v[44:45], v44, v[1:2]
	v_lshrrev_b32_e32 v46, 3, v43
	v_sub_u32_e32 v45, 29, v47
	v_cmp_gt_u32_e64 s[4:5], 8, v43
	v_cndmask_b32_e64 v43, v46, v45, s[4:5]
	v_lshl_add_u32 v43, v43, 10, v21
	v_lshlrev_b32_e32 v45, 8, v1
	v_and_b32_e32 v44, 7, v44
	v_and_b32_e32 v43, 0xfc00, v43
	v_cndmask_b32_e64 v42, v42, v44, s[4:5]
	v_and_or_b32 v43, v45, s54, v43
	v_lshl_or_b32 v42, v42, 7, v43
.LBB240_118:                            ;   in Loop: Header=BB240_13 Depth=1
	s_or_b64 exec, exec, s[44:45]
.LBB240_119:                            ;   in Loop: Header=BB240_13 Depth=1
	s_or_b64 exec, exec, s[42:43]
.LBB240_120:                            ;   in Loop: Header=BB240_13 Depth=1
	s_or_b64 exec, exec, s[40:41]
	v_lshrrev_b16_e32 v1, 8, v1
	v_cmp_ne_u16_e64 s[4:5], 0, v1
	s_and_saveexec_b64 s[40:41], s[4:5]
	s_cbranch_execz .LBB240_126
; %bb.121:                              ;   in Loop: Header=BB240_13 Depth=1
	v_cmp_ne_u16_e64 s[4:5], s52, v1
	v_bfrev_b32_e32 v41, 1
	s_and_saveexec_b64 s[42:43], s[4:5]
	s_cbranch_execz .LBB240_125
; %bb.122:                              ;   in Loop: Header=BB240_13 Depth=1
	v_and_b32_e32 v43, 0x7f, v1
	v_cmp_ne_u32_e64 s[4:5], s53, v43
	v_mov_b32_e32 v41, 0x7c010000
	s_and_saveexec_b64 s[44:45], s[4:5]
	s_cbranch_execz .LBB240_124
; %bb.123:                              ;   in Loop: Header=BB240_13 Depth=1
	v_and_b32_e32 v41, 7, v1
	v_ffbh_u32_e32 v44, v41
	v_min_u32_e32 v47, 32, v44
	v_subrev_u32_e32 v44, 28, v47
	v_lshlrev_b64 v[44:45], v44, v[1:2]
	v_lshrrev_b32_e32 v46, 3, v43
	v_sub_u32_e32 v45, 29, v47
	v_cmp_gt_u32_e64 s[4:5], 8, v43
	v_cndmask_b32_e64 v43, v46, v45, s[4:5]
	v_lshlrev_b32_e32 v1, 8, v1
	v_lshl_add_u32 v43, v43, 10, v21
	v_and_b32_e32 v44, 7, v44
	v_and_or_b32 v1, v1, s54, v43
	v_cndmask_b32_e64 v41, v41, v44, s[4:5]
	v_lshlrev_b32_e32 v1, 16, v1
	v_lshl_or_b32 v41, v41, 23, v1
.LBB240_124:                            ;   in Loop: Header=BB240_13 Depth=1
	s_or_b64 exec, exec, s[44:45]
.LBB240_125:                            ;   in Loop: Header=BB240_13 Depth=1
	s_or_b64 exec, exec, s[42:43]
.LBB240_126:                            ;   in Loop: Header=BB240_13 Depth=1
	s_or_b64 exec, exec, s[40:41]
	global_load_ushort v44, v[7:8], off offset:1032
	v_mov_b32_e32 v43, 0
	s_waitcnt vmcnt(0)
	v_and_b32_e32 v1, 0xffff, v44
	v_cmp_ne_u16_sdwa s[4:5], v44, v2 src0_sel:BYTE_0 src1_sel:DWORD
	v_mov_b32_e32 v44, 0
	s_and_saveexec_b64 s[40:41], s[4:5]
	s_cbranch_execz .LBB240_132
; %bb.127:                              ;   in Loop: Header=BB240_13 Depth=1
	v_cmp_ne_u16_sdwa s[4:5], v1, s52 src0_sel:BYTE_0 src1_sel:DWORD
	v_mov_b32_e32 v44, 0x8000
	s_and_saveexec_b64 s[42:43], s[4:5]
	s_cbranch_execz .LBB240_131
; %bb.128:                              ;   in Loop: Header=BB240_13 Depth=1
	v_and_b32_e32 v45, 0x7f, v1
	v_cmp_ne_u32_e64 s[4:5], s53, v45
	v_mov_b32_e32 v44, 0x7c01
	s_and_saveexec_b64 s[44:45], s[4:5]
	s_cbranch_execz .LBB240_130
; %bb.129:                              ;   in Loop: Header=BB240_13 Depth=1
	v_and_b32_e32 v44, 7, v1
	v_ffbh_u32_e32 v46, v44
	v_min_u32_e32 v49, 32, v46
	v_subrev_u32_e32 v46, 28, v49
	v_lshlrev_b64 v[46:47], v46, v[1:2]
	v_lshrrev_b32_e32 v48, 3, v45
	v_sub_u32_e32 v47, 29, v49
	v_cmp_gt_u32_e64 s[4:5], 8, v45
	v_cndmask_b32_e64 v45, v48, v47, s[4:5]
	v_lshl_add_u32 v45, v45, 10, v21
	v_lshlrev_b32_e32 v47, 8, v1
	v_and_b32_e32 v46, 7, v46
	v_and_b32_e32 v45, 0xfc00, v45
	v_cndmask_b32_e64 v44, v44, v46, s[4:5]
	v_and_or_b32 v45, v47, s54, v45
	v_lshl_or_b32 v44, v44, 7, v45
.LBB240_130:                            ;   in Loop: Header=BB240_13 Depth=1
	s_or_b64 exec, exec, s[44:45]
.LBB240_131:                            ;   in Loop: Header=BB240_13 Depth=1
	s_or_b64 exec, exec, s[42:43]
.LBB240_132:                            ;   in Loop: Header=BB240_13 Depth=1
	s_or_b64 exec, exec, s[40:41]
	v_lshrrev_b16_e32 v1, 8, v1
	v_cmp_ne_u16_e64 s[4:5], 0, v1
	s_and_saveexec_b64 s[40:41], s[4:5]
	s_cbranch_execz .LBB240_138
; %bb.133:                              ;   in Loop: Header=BB240_13 Depth=1
	v_cmp_ne_u16_e64 s[4:5], s52, v1
	v_bfrev_b32_e32 v43, 1
	s_and_saveexec_b64 s[42:43], s[4:5]
	s_cbranch_execz .LBB240_137
; %bb.134:                              ;   in Loop: Header=BB240_13 Depth=1
	v_and_b32_e32 v45, 0x7f, v1
	v_cmp_ne_u32_e64 s[4:5], s53, v45
	v_mov_b32_e32 v43, 0x7c010000
	s_and_saveexec_b64 s[44:45], s[4:5]
	s_cbranch_execz .LBB240_136
; %bb.135:                              ;   in Loop: Header=BB240_13 Depth=1
	v_and_b32_e32 v43, 7, v1
	v_ffbh_u32_e32 v46, v43
	v_min_u32_e32 v49, 32, v46
	v_subrev_u32_e32 v46, 28, v49
	v_lshlrev_b64 v[46:47], v46, v[1:2]
	v_lshrrev_b32_e32 v48, 3, v45
	v_sub_u32_e32 v47, 29, v49
	v_cmp_gt_u32_e64 s[4:5], 8, v45
	v_cndmask_b32_e64 v45, v48, v47, s[4:5]
	v_lshlrev_b32_e32 v1, 8, v1
	v_lshl_add_u32 v45, v45, 10, v21
	v_and_b32_e32 v46, 7, v46
	v_and_or_b32 v1, v1, s54, v45
	v_cndmask_b32_e64 v43, v43, v46, s[4:5]
	v_lshlrev_b32_e32 v1, 16, v1
	v_lshl_or_b32 v43, v43, 23, v1
.LBB240_136:                            ;   in Loop: Header=BB240_13 Depth=1
	s_or_b64 exec, exec, s[44:45]
.LBB240_137:                            ;   in Loop: Header=BB240_13 Depth=1
	s_or_b64 exec, exec, s[42:43]
.LBB240_138:                            ;   in Loop: Header=BB240_13 Depth=1
	s_or_b64 exec, exec, s[40:41]
	global_load_ushort v45, v[7:8], off offset:1280
	v_mov_b32_e32 v47, 0
	v_mov_b32_e32 v48, 0
	s_waitcnt vmcnt(0)
	v_and_b32_e32 v1, 0xffff, v45
	v_cmp_ne_u16_sdwa s[4:5], v45, v2 src0_sel:BYTE_0 src1_sel:DWORD
	s_and_saveexec_b64 s[40:41], s[4:5]
	s_cbranch_execz .LBB240_144
; %bb.139:                              ;   in Loop: Header=BB240_13 Depth=1
	v_cmp_ne_u16_sdwa s[4:5], v1, s52 src0_sel:BYTE_0 src1_sel:DWORD
	v_mov_b32_e32 v48, 0x8000
	s_and_saveexec_b64 s[42:43], s[4:5]
	s_cbranch_execz .LBB240_143
; %bb.140:                              ;   in Loop: Header=BB240_13 Depth=1
	v_and_b32_e32 v45, 0x7f, v1
	v_cmp_ne_u32_e64 s[4:5], s53, v45
	v_mov_b32_e32 v48, 0x7c01
	s_and_saveexec_b64 s[44:45], s[4:5]
	s_cbranch_execz .LBB240_142
; %bb.141:                              ;   in Loop: Header=BB240_13 Depth=1
	v_and_b32_e32 v46, 7, v1
	v_ffbh_u32_e32 v48, v46
	v_min_u32_e32 v51, 32, v48
	v_subrev_u32_e32 v48, 28, v51
	v_lshlrev_b64 v[48:49], v48, v[1:2]
	v_lshrrev_b32_e32 v50, 3, v45
	v_sub_u32_e32 v49, 29, v51
	v_cmp_gt_u32_e64 s[4:5], 8, v45
	v_cndmask_b32_e64 v45, v50, v49, s[4:5]
	v_lshl_add_u32 v45, v45, 10, v21
	v_lshlrev_b32_e32 v49, 8, v1
	v_and_b32_e32 v48, 7, v48
	v_and_b32_e32 v45, 0xfc00, v45
	v_cndmask_b32_e64 v46, v46, v48, s[4:5]
	v_and_or_b32 v45, v49, s54, v45
	v_lshl_or_b32 v48, v46, 7, v45
.LBB240_142:                            ;   in Loop: Header=BB240_13 Depth=1
	s_or_b64 exec, exec, s[44:45]
.LBB240_143:                            ;   in Loop: Header=BB240_13 Depth=1
	s_or_b64 exec, exec, s[42:43]
.LBB240_144:                            ;   in Loop: Header=BB240_13 Depth=1
	s_or_b64 exec, exec, s[40:41]
	v_lshrrev_b16_e32 v1, 8, v1
	v_cmp_ne_u16_e64 s[4:5], 0, v1
	s_and_saveexec_b64 s[40:41], s[4:5]
	s_cbranch_execz .LBB240_150
; %bb.145:                              ;   in Loop: Header=BB240_13 Depth=1
	v_cmp_ne_u16_e64 s[4:5], s52, v1
	v_bfrev_b32_e32 v47, 1
	s_and_saveexec_b64 s[42:43], s[4:5]
	s_cbranch_execz .LBB240_149
; %bb.146:                              ;   in Loop: Header=BB240_13 Depth=1
	v_and_b32_e32 v45, 0x7f, v1
	v_cmp_ne_u32_e64 s[4:5], s53, v45
	v_mov_b32_e32 v47, 0x7c010000
	s_and_saveexec_b64 s[44:45], s[4:5]
	s_cbranch_execz .LBB240_148
; %bb.147:                              ;   in Loop: Header=BB240_13 Depth=1
	v_and_b32_e32 v49, 7, v1
	v_ffbh_u32_e32 v46, v49
	v_min_u32_e32 v51, 32, v46
	v_subrev_u32_e32 v46, 28, v51
	v_lshlrev_b64 v[46:47], v46, v[1:2]
	v_lshrrev_b32_e32 v50, 3, v45
	v_sub_u32_e32 v47, 29, v51
	v_cmp_gt_u32_e64 s[4:5], 8, v45
	v_cndmask_b32_e64 v45, v50, v47, s[4:5]
	v_lshlrev_b32_e32 v1, 8, v1
	v_lshl_add_u32 v45, v45, 10, v21
	v_and_b32_e32 v46, 7, v46
	v_and_or_b32 v1, v1, s54, v45
	v_cndmask_b32_e64 v46, v49, v46, s[4:5]
	v_lshlrev_b32_e32 v1, 16, v1
	v_lshl_or_b32 v47, v46, 23, v1
.LBB240_148:                            ;   in Loop: Header=BB240_13 Depth=1
	s_or_b64 exec, exec, s[44:45]
.LBB240_149:                            ;   in Loop: Header=BB240_13 Depth=1
	s_or_b64 exec, exec, s[42:43]
.LBB240_150:                            ;   in Loop: Header=BB240_13 Depth=1
	s_or_b64 exec, exec, s[40:41]
	global_load_ushort v46, v[7:8], off offset:1288
	v_mov_b32_e32 v45, 0
	s_waitcnt vmcnt(0)
	v_and_b32_e32 v1, 0xffff, v46
	v_cmp_ne_u16_sdwa s[4:5], v46, v2 src0_sel:BYTE_0 src1_sel:DWORD
	v_mov_b32_e32 v46, 0
	s_and_saveexec_b64 s[40:41], s[4:5]
	s_cbranch_execz .LBB240_156
; %bb.151:                              ;   in Loop: Header=BB240_13 Depth=1
	v_cmp_ne_u16_sdwa s[4:5], v1, s52 src0_sel:BYTE_0 src1_sel:DWORD
	v_mov_b32_e32 v46, 0x8000
	s_and_saveexec_b64 s[42:43], s[4:5]
	s_cbranch_execz .LBB240_155
; %bb.152:                              ;   in Loop: Header=BB240_13 Depth=1
	v_and_b32_e32 v49, 0x7f, v1
	v_cmp_ne_u32_e64 s[4:5], s53, v49
	v_mov_b32_e32 v46, 0x7c01
	s_and_saveexec_b64 s[44:45], s[4:5]
	s_cbranch_execz .LBB240_154
; %bb.153:                              ;   in Loop: Header=BB240_13 Depth=1
	v_and_b32_e32 v46, 7, v1
	v_ffbh_u32_e32 v50, v46
	v_min_u32_e32 v53, 32, v50
	v_subrev_u32_e32 v50, 28, v53
	v_lshlrev_b64 v[50:51], v50, v[1:2]
	v_lshrrev_b32_e32 v52, 3, v49
	v_sub_u32_e32 v51, 29, v53
	v_cmp_gt_u32_e64 s[4:5], 8, v49
	v_cndmask_b32_e64 v49, v52, v51, s[4:5]
	v_lshl_add_u32 v49, v49, 10, v21
	v_lshlrev_b32_e32 v51, 8, v1
	v_and_b32_e32 v50, 7, v50
	v_and_b32_e32 v49, 0xfc00, v49
	v_cndmask_b32_e64 v46, v46, v50, s[4:5]
	v_and_or_b32 v49, v51, s54, v49
	v_lshl_or_b32 v46, v46, 7, v49
.LBB240_154:                            ;   in Loop: Header=BB240_13 Depth=1
	s_or_b64 exec, exec, s[44:45]
.LBB240_155:                            ;   in Loop: Header=BB240_13 Depth=1
	s_or_b64 exec, exec, s[42:43]
.LBB240_156:                            ;   in Loop: Header=BB240_13 Depth=1
	s_or_b64 exec, exec, s[40:41]
	v_lshrrev_b16_e32 v1, 8, v1
	v_cmp_ne_u16_e64 s[4:5], 0, v1
	s_and_saveexec_b64 s[40:41], s[4:5]
	s_cbranch_execz .LBB240_162
; %bb.157:                              ;   in Loop: Header=BB240_13 Depth=1
	v_cmp_ne_u16_e64 s[4:5], s52, v1
	v_bfrev_b32_e32 v45, 1
	s_and_saveexec_b64 s[42:43], s[4:5]
	s_cbranch_execz .LBB240_161
; %bb.158:                              ;   in Loop: Header=BB240_13 Depth=1
	v_and_b32_e32 v49, 0x7f, v1
	v_cmp_ne_u32_e64 s[4:5], s53, v49
	v_mov_b32_e32 v45, 0x7c010000
	s_and_saveexec_b64 s[44:45], s[4:5]
	s_cbranch_execz .LBB240_160
; %bb.159:                              ;   in Loop: Header=BB240_13 Depth=1
	v_and_b32_e32 v45, 7, v1
	v_ffbh_u32_e32 v50, v45
	v_min_u32_e32 v53, 32, v50
	v_subrev_u32_e32 v50, 28, v53
	v_lshlrev_b64 v[50:51], v50, v[1:2]
	v_lshrrev_b32_e32 v52, 3, v49
	v_sub_u32_e32 v51, 29, v53
	v_cmp_gt_u32_e64 s[4:5], 8, v49
	v_cndmask_b32_e64 v49, v52, v51, s[4:5]
	v_lshlrev_b32_e32 v1, 8, v1
	v_lshl_add_u32 v49, v49, 10, v21
	v_and_b32_e32 v50, 7, v50
	v_and_or_b32 v1, v1, s54, v49
	v_cndmask_b32_e64 v45, v45, v50, s[4:5]
	v_lshlrev_b32_e32 v1, 16, v1
	v_lshl_or_b32 v45, v45, 23, v1
.LBB240_160:                            ;   in Loop: Header=BB240_13 Depth=1
	s_or_b64 exec, exec, s[44:45]
.LBB240_161:                            ;   in Loop: Header=BB240_13 Depth=1
	s_or_b64 exec, exec, s[42:43]
.LBB240_162:                            ;   in Loop: Header=BB240_13 Depth=1
	s_or_b64 exec, exec, s[40:41]
	global_load_ushort v50, v[7:8], off offset:1536
	v_mov_b32_e32 v49, 0
	s_waitcnt vmcnt(0)
	v_and_b32_e32 v1, 0xffff, v50
	v_cmp_ne_u16_sdwa s[4:5], v50, v2 src0_sel:BYTE_0 src1_sel:DWORD
	v_mov_b32_e32 v50, 0
	s_and_saveexec_b64 s[40:41], s[4:5]
	s_cbranch_execz .LBB240_168
; %bb.163:                              ;   in Loop: Header=BB240_13 Depth=1
	v_cmp_ne_u16_sdwa s[4:5], v1, s52 src0_sel:BYTE_0 src1_sel:DWORD
	v_mov_b32_e32 v50, 0x8000
	s_and_saveexec_b64 s[42:43], s[4:5]
	s_cbranch_execz .LBB240_167
; %bb.164:                              ;   in Loop: Header=BB240_13 Depth=1
	v_and_b32_e32 v51, 0x7f, v1
	v_cmp_ne_u32_e64 s[4:5], s53, v51
	v_mov_b32_e32 v50, 0x7c01
	s_and_saveexec_b64 s[44:45], s[4:5]
	s_cbranch_execz .LBB240_166
; %bb.165:                              ;   in Loop: Header=BB240_13 Depth=1
	v_and_b32_e32 v50, 7, v1
	v_ffbh_u32_e32 v52, v50
	v_min_u32_e32 v55, 32, v52
	v_subrev_u32_e32 v52, 28, v55
	v_lshlrev_b64 v[52:53], v52, v[1:2]
	v_lshrrev_b32_e32 v54, 3, v51
	v_sub_u32_e32 v53, 29, v55
	v_cmp_gt_u32_e64 s[4:5], 8, v51
	v_cndmask_b32_e64 v51, v54, v53, s[4:5]
	v_lshl_add_u32 v51, v51, 10, v21
	v_lshlrev_b32_e32 v53, 8, v1
	v_and_b32_e32 v52, 7, v52
	v_and_b32_e32 v51, 0xfc00, v51
	v_cndmask_b32_e64 v50, v50, v52, s[4:5]
	v_and_or_b32 v51, v53, s54, v51
	v_lshl_or_b32 v50, v50, 7, v51
.LBB240_166:                            ;   in Loop: Header=BB240_13 Depth=1
	s_or_b64 exec, exec, s[44:45]
.LBB240_167:                            ;   in Loop: Header=BB240_13 Depth=1
	s_or_b64 exec, exec, s[42:43]
.LBB240_168:                            ;   in Loop: Header=BB240_13 Depth=1
	s_or_b64 exec, exec, s[40:41]
	v_lshrrev_b16_e32 v1, 8, v1
	v_cmp_ne_u16_e64 s[4:5], 0, v1
	s_and_saveexec_b64 s[40:41], s[4:5]
	s_cbranch_execz .LBB240_174
; %bb.169:                              ;   in Loop: Header=BB240_13 Depth=1
	v_cmp_ne_u16_e64 s[4:5], s52, v1
	v_bfrev_b32_e32 v49, 1
	s_and_saveexec_b64 s[42:43], s[4:5]
	s_cbranch_execz .LBB240_173
; %bb.170:                              ;   in Loop: Header=BB240_13 Depth=1
	v_and_b32_e32 v51, 0x7f, v1
	v_cmp_ne_u32_e64 s[4:5], s53, v51
	v_mov_b32_e32 v49, 0x7c010000
	s_and_saveexec_b64 s[44:45], s[4:5]
	s_cbranch_execz .LBB240_172
; %bb.171:                              ;   in Loop: Header=BB240_13 Depth=1
	v_and_b32_e32 v49, 7, v1
	v_ffbh_u32_e32 v52, v49
	v_min_u32_e32 v55, 32, v52
	v_subrev_u32_e32 v52, 28, v55
	v_lshlrev_b64 v[52:53], v52, v[1:2]
	v_lshrrev_b32_e32 v54, 3, v51
	v_sub_u32_e32 v53, 29, v55
	v_cmp_gt_u32_e64 s[4:5], 8, v51
	v_cndmask_b32_e64 v51, v54, v53, s[4:5]
	v_lshlrev_b32_e32 v1, 8, v1
	v_lshl_add_u32 v51, v51, 10, v21
	v_and_b32_e32 v52, 7, v52
	v_and_or_b32 v1, v1, s54, v51
	v_cndmask_b32_e64 v49, v49, v52, s[4:5]
	v_lshlrev_b32_e32 v1, 16, v1
	v_lshl_or_b32 v49, v49, 23, v1
.LBB240_172:                            ;   in Loop: Header=BB240_13 Depth=1
	s_or_b64 exec, exec, s[44:45]
.LBB240_173:                            ;   in Loop: Header=BB240_13 Depth=1
	s_or_b64 exec, exec, s[42:43]
.LBB240_174:                            ;   in Loop: Header=BB240_13 Depth=1
	s_or_b64 exec, exec, s[40:41]
	global_load_ushort v7, v[7:8], off offset:1544
	v_mov_b32_e32 v8, 0
	v_mov_b32_e32 v51, 0
	s_waitcnt vmcnt(0)
	v_and_b32_e32 v1, 0xffff, v7
	v_cmp_ne_u16_sdwa s[4:5], v7, v2 src0_sel:BYTE_0 src1_sel:DWORD
	s_and_saveexec_b64 s[40:41], s[4:5]
	s_cbranch_execz .LBB240_180
; %bb.175:                              ;   in Loop: Header=BB240_13 Depth=1
	v_cmp_ne_u16_sdwa s[4:5], v1, s52 src0_sel:BYTE_0 src1_sel:DWORD
	v_mov_b32_e32 v51, 0x8000
	s_and_saveexec_b64 s[42:43], s[4:5]
	s_cbranch_execz .LBB240_179
; %bb.176:                              ;   in Loop: Header=BB240_13 Depth=1
	v_and_b32_e32 v7, 0x7f, v1
	v_cmp_ne_u32_e64 s[4:5], s53, v7
	v_mov_b32_e32 v51, 0x7c01
	s_and_saveexec_b64 s[44:45], s[4:5]
	s_cbranch_execz .LBB240_178
; %bb.177:                              ;   in Loop: Header=BB240_13 Depth=1
	v_and_b32_e32 v53, 7, v1
	v_ffbh_u32_e32 v51, v53
	v_min_u32_e32 v55, 32, v51
	v_subrev_u32_e32 v51, 28, v55
	v_lshlrev_b64 v[51:52], v51, v[1:2]
	v_lshrrev_b32_e32 v54, 3, v7
	v_sub_u32_e32 v52, 29, v55
	v_cmp_gt_u32_e64 s[4:5], 8, v7
	v_cndmask_b32_e64 v7, v54, v52, s[4:5]
	v_lshl_add_u32 v7, v7, 10, v21
	v_lshlrev_b32_e32 v52, 8, v1
	v_and_b32_e32 v51, 7, v51
	v_and_b32_e32 v7, 0xfc00, v7
	v_cndmask_b32_e64 v51, v53, v51, s[4:5]
	v_and_or_b32 v7, v52, s54, v7
	v_lshl_or_b32 v51, v51, 7, v7
.LBB240_178:                            ;   in Loop: Header=BB240_13 Depth=1
	s_or_b64 exec, exec, s[44:45]
.LBB240_179:                            ;   in Loop: Header=BB240_13 Depth=1
	s_or_b64 exec, exec, s[42:43]
.LBB240_180:                            ;   in Loop: Header=BB240_13 Depth=1
	s_or_b64 exec, exec, s[40:41]
	v_lshrrev_b16_e32 v1, 8, v1
	v_cmp_ne_u16_e64 s[4:5], 0, v1
	s_and_saveexec_b64 s[40:41], s[4:5]
	s_cbranch_execz .LBB240_186
; %bb.181:                              ;   in Loop: Header=BB240_13 Depth=1
	v_cmp_ne_u16_e64 s[4:5], s52, v1
	v_bfrev_b32_e32 v8, 1
	s_and_saveexec_b64 s[42:43], s[4:5]
	s_cbranch_execz .LBB240_185
; %bb.182:                              ;   in Loop: Header=BB240_13 Depth=1
	v_and_b32_e32 v7, 0x7f, v1
	v_cmp_ne_u32_e64 s[4:5], s53, v7
	v_mov_b32_e32 v8, 0x7c010000
	s_and_saveexec_b64 s[44:45], s[4:5]
	s_cbranch_execz .LBB240_184
; %bb.183:                              ;   in Loop: Header=BB240_13 Depth=1
	v_and_b32_e32 v8, 7, v1
	v_ffbh_u32_e32 v52, v8
	v_min_u32_e32 v55, 32, v52
	v_subrev_u32_e32 v52, 28, v55
	v_lshlrev_b64 v[52:53], v52, v[1:2]
	v_lshrrev_b32_e32 v54, 3, v7
	v_sub_u32_e32 v53, 29, v55
	v_cmp_gt_u32_e64 s[4:5], 8, v7
	v_cndmask_b32_e64 v7, v54, v53, s[4:5]
	v_lshlrev_b32_e32 v1, 8, v1
	v_lshl_add_u32 v7, v7, 10, v21
	v_and_b32_e32 v52, 7, v52
	v_and_or_b32 v1, v1, s54, v7
	v_cndmask_b32_e64 v8, v8, v52, s[4:5]
	v_lshlrev_b32_e32 v1, 16, v1
	v_lshl_or_b32 v8, v8, 23, v1
.LBB240_184:                            ;   in Loop: Header=BB240_13 Depth=1
	s_or_b64 exec, exec, s[44:45]
.LBB240_185:                            ;   in Loop: Header=BB240_13 Depth=1
	s_or_b64 exec, exec, s[42:43]
.LBB240_186:                            ;   in Loop: Header=BB240_13 Depth=1
	s_or_b64 exec, exec, s[40:41]
	v_or_b32_e32 v1, v49, v50
	v_fma_mixlo_f16 v7, v24, v1, 0 op_sel_hi:[0,1,0]
	v_fma_mixlo_f16 v1, v24, v49, 0 op_sel:[0,1,0] op_sel_hi:[0,1,0]
	v_or_b32_e32 v46, v45, v46
	v_or_b32_e32 v48, v47, v48
	;; [unrolled: 1-line block ×12, first 2 shown]
	v_fma_mixlo_f16 v49, v24, v25, 0 op_sel:[0,1,0] op_sel_hi:[0,1,0]
	v_or_b32_e32 v25, v8, v51
	v_fma_mixlo_f16 v46, v24, v46, 0 op_sel_hi:[0,1,0]
	v_fma_mixlo_f16 v45, v24, v45, 0 op_sel:[0,1,0] op_sel_hi:[0,1,0]
	v_fma_mixlo_f16 v48, v24, v48, 0 op_sel_hi:[0,1,0]
	v_fma_mixlo_f16 v47, v24, v47, 0 op_sel:[0,1,0] op_sel_hi:[0,1,0]
	;; [unrolled: 2-line block ×11, first 2 shown]
	v_fma_mixlo_f16 v26, v24, v26, 0 op_sel_hi:[0,1,0]
	v_fma_mixlo_f16 v25, v24, v25, 0 op_sel_hi:[0,1,0]
	v_fma_mixlo_f16 v8, v24, v8, 0 op_sel:[0,1,0] op_sel_hi:[0,1,0]
	ds_read_b32 v24, v14
	v_and_b32_e32 v28, 0xffff, v28
	v_and_b32_e32 v27, 0xffff, v27
	;; [unrolled: 1-line block ×4, first 2 shown]
	s_waitcnt lgkmcnt(0)
	v_lshrrev_b32_e32 v51, 16, v24
	v_and_b32_e32 v24, 0xffff, v24
	;;#ASMSTART
	v_cvt_f32_f16 v50, v24;
	;;#ASMEND
	v_and_b32_e32 v24, 0xffff, v26
	;;#ASMSTART
	v_cvt_f32_f16 v51, v51;
	;;#ASMEND
	;;#ASMSTART
	v_cvt_f32_f16 v26, v24;
	;;#ASMEND
	v_and_b32_e32 v24, 0xffff, v49
	;;#ASMSTART
	v_cvt_f32_f16 v49, v24;
	;;#ASMEND
	ds_read_b32 v24, v14 offset:4
	v_and_b32_e32 v7, 0xffff, v7
	v_and_b32_e32 v1, 0xffff, v1
	;; [unrolled: 1-line block ×4, first 2 shown]
	s_waitcnt lgkmcnt(0)
	v_lshrrev_b32_e32 v52, 16, v24
	v_and_b32_e32 v24, 0xffff, v24
	;;#ASMSTART
	v_cvt_f32_f16 v24, v24;
	;;#ASMEND
	;;#ASMSTART
	v_cvt_f32_f16 v52, v52;
	;;#ASMEND
	;; [unrolled: 3-line block ×4, first 2 shown]
	v_mul_f32_e32 v24, v24, v28
	v_fmac_f32_e32 v24, v50, v26
	v_mul_f32_e32 v26, v52, v27
	ds_read_b32 v27, v14 offset:8
	v_fmac_f32_e32 v26, v51, v49
	s_waitcnt lgkmcnt(0)
	v_lshrrev_b32_e32 v28, 16, v27
	v_and_b32_e32 v27, 0xffff, v27
	;;#ASMSTART
	v_cvt_f32_f16 v27, v27;
	;;#ASMEND
	;;#ASMSTART
	v_cvt_f32_f16 v28, v28;
	;;#ASMEND
	;;#ASMSTART
	v_cvt_f32_f16 v30, v30;
	;;#ASMEND
	;;#ASMSTART
	v_cvt_f32_f16 v29, v29;
	;;#ASMEND
	v_fmac_f32_e32 v24, v27, v30
	ds_read_b32 v27, v14 offset:12
	v_fmac_f32_e32 v26, v28, v29
	v_and_b32_e32 v29, 0xffff, v32
	v_and_b32_e32 v30, 0xffff, v31
	s_waitcnt lgkmcnt(0)
	v_lshrrev_b32_e32 v28, 16, v27
	v_and_b32_e32 v27, 0xffff, v27
	;;#ASMSTART
	v_cvt_f32_f16 v27, v27;
	;;#ASMEND
	;;#ASMSTART
	v_cvt_f32_f16 v28, v28;
	;;#ASMEND
	;;#ASMSTART
	v_cvt_f32_f16 v29, v29;
	;;#ASMEND
	;;#ASMSTART
	v_cvt_f32_f16 v30, v30;
	;;#ASMEND
	v_fmac_f32_e32 v24, v27, v29
	ds_read_b32 v27, v14 offset:16
	v_fmac_f32_e32 v26, v28, v30
	v_and_b32_e32 v29, 0xffff, v34
	v_and_b32_e32 v30, 0xffff, v33
	;; [unrolled: 20-line block ×9, first 2 shown]
	s_waitcnt lgkmcnt(0)
	v_lshrrev_b32_e32 v28, 16, v27
	v_and_b32_e32 v27, 0xffff, v27
	;;#ASMSTART
	v_cvt_f32_f16 v27, v27;
	;;#ASMEND
	;;#ASMSTART
	v_cvt_f32_f16 v28, v28;
	;;#ASMEND
	;; [unrolled: 3-line block ×4, first 2 shown]
	v_fmac_f32_e32 v24, v27, v29
	ds_read_b32 v27, v14 offset:48
	v_fmac_f32_e32 v26, v28, v30
	s_waitcnt lgkmcnt(0)
	v_lshrrev_b32_e32 v28, 16, v27
	v_and_b32_e32 v27, 0xffff, v27
	;;#ASMSTART
	v_cvt_f32_f16 v27, v27;
	;;#ASMEND
	;;#ASMSTART
	v_cvt_f32_f16 v28, v28;
	;;#ASMEND
	;; [unrolled: 3-line block ×4, first 2 shown]
	v_fmac_f32_e32 v26, v28, v1
	ds_read_b32 v1, v14 offset:52
	v_fmac_f32_e32 v24, v27, v7
	s_waitcnt lgkmcnt(0)
	v_lshrrev_b32_e32 v7, 16, v1
	v_and_b32_e32 v1, 0xffff, v1
	;;#ASMSTART
	v_cvt_f32_f16 v1, v1;
	;;#ASMEND
	;;#ASMSTART
	v_cvt_f32_f16 v7, v7;
	;;#ASMEND
	;; [unrolled: 3-line block ×4, first 2 shown]
	v_fmac_f32_e32 v26, v7, v8
	v_and_b32_e32 v7, 64, v22
	v_add_u32_e32 v7, 64, v7
	v_xor_b32_e32 v8, 2, v22
	v_cmp_lt_i32_e64 s[4:5], v8, v7
	v_fmac_f32_e32 v24, v1, v25
	v_cndmask_b32_e64 v8, v22, v8, s[4:5]
	v_add_f32_e32 v1, v24, v26
	v_lshlrev_b32_e32 v8, 2, v8
	ds_bpermute_b32 v8, v8, v1
	s_waitcnt lgkmcnt(0)
	v_add_f32_e32 v1, v1, v8
	v_xor_b32_e32 v8, 1, v22
	v_cmp_lt_i32_e64 s[4:5], v8, v7
	v_cndmask_b32_e64 v7, v22, v8, s[4:5]
	v_lshlrev_b32_e32 v7, 2, v7
	ds_bpermute_b32 v7, v7, v1
	s_and_saveexec_b64 s[40:41], vcc
	s_cbranch_execz .LBB240_11
; %bb.187:                              ;   in Loop: Header=BB240_13 Depth=1
	v_add_u32_e32 v8, v18, v17
	v_cvt_f32_i32_e32 v8, v8
	s_waitcnt lgkmcnt(0)
	v_add_f32_e32 v1, v1, v7
	v_add_u32_e32 v24, v13, v17
	v_cmp_gt_i32_e64 s[4:5], s33, v24
	v_mul_f32_e32 v7, s49, v8
	v_cndmask_b32_e64 v7, 0, v7, s[2:3]
	v_fmac_f32_e32 v7, s37, v1
	v_cndmask_b32_e64 v1, 0, v7, s[4:5]
	ds_write_b32 v19, v1
	v_max_f32_e32 v1, v16, v16
	v_max_f32_e32 v1, v1, v7
	v_cndmask_b32_e64 v16, v16, v1, s[4:5]
	s_branch .LBB240_11
.LBB240_188:
	s_or_b64 exec, exec, s[38:39]
.LBB240_189:
	s_or_b64 exec, exec, s[18:19]
	v_mbcnt_hi_u32_b32 v2, -1, v10
	v_and_b32_e32 v14, 64, v2
	v_add_u32_e32 v3, 64, v14
	v_xor_b32_e32 v1, 32, v2
	v_cmp_lt_i32_e32 vcc, v1, v3
	v_cndmask_b32_e32 v1, v2, v1, vcc
	v_lshlrev_b32_e32 v4, 2, v1
	ds_bpermute_b32 v1, v4, v16
	v_xor_b32_e32 v6, 16, v2
	v_max_f32_e32 v5, v16, v16
	v_cmp_lt_i32_e32 vcc, v6, v3
	s_waitcnt lgkmcnt(1)
	v_xor_b32_e32 v7, 8, v2
	s_waitcnt lgkmcnt(0)
	v_max_f32_e32 v1, v1, v1
	v_max_f32_e32 v1, v5, v1
	v_cndmask_b32_e32 v5, v2, v6, vcc
	v_lshlrev_b32_e32 v5, 2, v5
	ds_bpermute_b32 v6, v5, v1
	v_cmp_lt_i32_e32 vcc, v7, v3
	v_xor_b32_e32 v10, 4, v2
	s_waitcnt lgkmcnt(0)
	v_max_f32_e32 v6, v6, v6
	v_max_f32_e32 v1, v1, v6
	v_cndmask_b32_e32 v6, v2, v7, vcc
	v_lshlrev_b32_e32 v8, 2, v6
	ds_bpermute_b32 v6, v8, v1
	v_cmp_lt_i32_e32 vcc, v10, v3
	s_waitcnt lgkmcnt(0)
	v_max_f32_e32 v6, v6, v6
	v_max_f32_e32 v7, v1, v6
	v_cndmask_b32_e32 v1, v2, v10, vcc
	v_lshlrev_b32_e32 v10, 2, v1
	ds_bpermute_b32 v13, v10, v7
	v_and_b32_e32 v1, 63, v0
	v_cmp_eq_u32_e32 vcc, 0, v1
	v_lshlrev_b32_e32 v6, 2, v11
	s_and_saveexec_b64 s[2:3], vcc
	s_cbranch_execz .LBB240_191
; %bb.190:
	s_waitcnt lgkmcnt(0)
	v_max_f32_e32 v13, v13, v13
	v_max_f32_e32 v7, v7, v7
	v_max_f32_e32 v7, v7, v13
	ds_write_b32 v6, v7 offset:224
.LBB240_191:
	s_or_b64 exec, exec, s[2:3]
	v_cmp_gt_u32_e64 s[2:3], 2, v1
	v_mov_b32_e32 v15, 0xff7fffff
	v_lshlrev_b32_e32 v7, 2, v1
	s_waitcnt lgkmcnt(0)
	s_barrier
	s_and_saveexec_b64 s[4:5], s[2:3]
; %bb.192:
	ds_read_b32 v15, v7 offset:224
; %bb.193:
	s_or_b64 exec, exec, s[4:5]
	v_xor_b32_e32 v13, 1, v2
	v_cmp_lt_i32_e64 s[4:5], v13, v3
	v_cndmask_b32_e64 v13, v2, v13, s[4:5]
	v_lshlrev_b32_e32 v13, 2, v13
	s_waitcnt lgkmcnt(0)
	ds_bpermute_b32 v16, v13, v15
	v_max_f32_e32 v15, v15, v15
	v_lshlrev_b32_e32 v14, 2, v14
	s_lshl_b32 s4, s48, 4
	s_min_i32 s23, s4, s33
	s_waitcnt lgkmcnt(0)
	v_max_f32_e32 v16, v16, v16
	v_max_f32_e32 v15, v15, v16
	ds_bpermute_b32 v15, v14, v15
	v_cmp_gt_i32_e64 s[4:5], s23, v0
	v_mov_b32_e32 v14, 0
	s_and_saveexec_b64 s[12:13], s[4:5]
	s_cbranch_execz .LBB240_197
; %bb.194:
	v_mov_b32_e32 v14, 0xf0
	v_lshl_add_u32 v16, v0, 2, v14
	v_mov_b32_e32 v14, 0
	s_mov_b64 s[18:19], 0
	v_mov_b32_e32 v17, v0
.LBB240_195:                            ; =>This Inner Loop Header: Depth=1
	ds_read_b32 v18, v16
	v_add_u32_e32 v17, 0x80, v17
	v_cmp_le_i32_e64 s[6:7], s23, v17
	s_or_b64 s[18:19], s[6:7], s[18:19]
	s_waitcnt lgkmcnt(0)
	v_sub_f32_e32 v18, v18, v15
	v_mul_f32_e32 v18, 0x3fb8aa3b, v18
	v_exp_f32_e32 v18, v18
	ds_write_b32 v16, v18
	v_add_f32_e32 v14, v14, v18
	v_add_u32_e32 v16, 0x200, v16
	s_andn2_b64 exec, exec, s[18:19]
	s_cbranch_execnz .LBB240_195
; %bb.196:
	s_or_b64 exec, exec, s[18:19]
.LBB240_197:
	s_or_b64 exec, exec, s[12:13]
	ds_bpermute_b32 v4, v4, v14
	s_waitcnt lgkmcnt(0)
	v_add_f32_e32 v4, v14, v4
	ds_bpermute_b32 v5, v5, v4
	s_waitcnt lgkmcnt(0)
	v_add_f32_e32 v4, v4, v5
	ds_bpermute_b32 v5, v8, v4
	v_xor_b32_e32 v8, 2, v2
	v_cmp_lt_i32_e64 s[6:7], v8, v3
	v_cndmask_b32_e64 v3, v2, v8, s[6:7]
	v_lshlrev_b32_e32 v3, 2, v3
	s_waitcnt lgkmcnt(0)
	v_add_f32_e32 v4, v4, v5
	ds_bpermute_b32 v5, v10, v4
	s_waitcnt lgkmcnt(0)
	v_add_f32_e32 v4, v4, v5
	ds_bpermute_b32 v3, v3, v4
	s_waitcnt lgkmcnt(0)
	v_add_f32_e32 v3, v4, v3
	ds_bpermute_b32 v4, v13, v3
	s_waitcnt lgkmcnt(0)
	v_add_f32_e32 v3, v3, v4
	s_and_saveexec_b64 s[6:7], vcc
; %bb.198:
	ds_write_b32 v6, v3 offset:232
; %bb.199:
	s_or_b64 exec, exec, s[6:7]
	s_waitcnt lgkmcnt(0)
	s_barrier
	s_and_saveexec_b64 s[6:7], s[2:3]
; %bb.200:
	ds_read_b32 v3, v7 offset:232
; %bb.201:
	s_or_b64 exec, exec, s[6:7]
	s_waitcnt lgkmcnt(0)
	ds_bpermute_b32 v4, v13, v3
	v_lshlrev_b32_e32 v2, 2, v2
	v_and_b32_e32 v2, 0x100, v2
	s_waitcnt lgkmcnt(0)
	v_add_f32_e32 v3, v3, v4
	ds_bpermute_b32 v2, v2, v3
	s_and_saveexec_b64 s[2:3], s[4:5]
	s_cbranch_execz .LBB240_204
; %bb.202:
	s_waitcnt lgkmcnt(0)
	v_add_f32_e32 v3, 0x358637bd, v2
	v_div_scale_f32 v2, s[4:5], v3, v3, 1.0
	v_div_scale_f32 v4, vcc, 1.0, v3, 1.0
	s_mov_b64 s[4:5], 0
	v_rcp_f32_e32 v5, v2
	v_fma_f32 v6, -v2, v5, 1.0
	v_fmac_f32_e32 v5, v6, v5
	v_mul_f32_e32 v6, v4, v5
	v_fma_f32 v7, -v2, v6, v4
	v_fmac_f32_e32 v6, v7, v5
	v_fma_f32 v2, -v2, v6, v4
	v_div_fmas_f32 v4, v2, v5, v6
	v_mov_b32_e32 v2, 0xf0
	v_lshl_add_u32 v2, v0, 2, v2
	v_div_fixup_f32 v3, v4, v3, 1.0
	v_mov_b32_e32 v4, v0
.LBB240_203:                            ; =>This Inner Loop Header: Depth=1
	ds_read_b32 v5, v2
	v_add_u32_e32 v4, 0x80, v4
	v_cmp_le_i32_e32 vcc, s23, v4
	s_or_b64 s[4:5], vcc, s[4:5]
	s_waitcnt lgkmcnt(0)
	v_mul_f32_e32 v5, v3, v5
	ds_write_b32 v2, v5
	v_add_u32_e32 v2, 0x200, v2
	s_andn2_b64 exec, exec, s[4:5]
	s_cbranch_execnz .LBB240_203
.LBB240_204:
	s_or_b64 exec, exec, s[2:3]
	v_lshrrev_b32_e32 v14, 1, v1
	s_waitcnt lgkmcnt(0)
	s_barrier
	s_and_saveexec_b64 s[2:3], s[0:1]
	s_xor_b64 s[0:1], exec, s[2:3]
; %bb.205:
	v_lshrrev_b32_e32 v14, 1, v1
                                        ; implicit-def: $vgpr12
                                        ; implicit-def: $vgpr11
                                        ; implicit-def: $vgpr9
; %bb.206:
	s_or_saveexec_b64 s[4:5], s[0:1]
	v_mov_b32_e32 v17, 0
	v_and_b32_e32 v15, 1, v0
	v_mov_b32_e32 v18, 0
	v_mov_b32_e32 v16, 0
	;; [unrolled: 1-line block ×3, first 2 shown]
	s_xor_b64 exec, exec, s[4:5]
	s_cbranch_execz .LBB240_414
; %bb.207:
	s_sub_i32 s37, s16, s21
	s_ashr_i32 s0, s20, 31
	s_add_u32 s6, s34, s20
	s_addc_u32 s7, s35, s0
	s_abs_i32 s34, s22
	v_cvt_f32_u32_e32 v1, s34
	s_sub_i32 s1, 0, s34
	v_lshlrev_b32_e32 v3, 3, v0
	v_or_b32_e32 v4, 0x60, v14
	v_rcp_iflag_f32_e32 v1, v1
	s_movk_i32 s0, 0x70
	v_and_b32_e32 v20, 8, v3
	v_cmp_gt_u32_e32 vcc, s0, v4
	v_mul_f32_e32 v1, 0x4f7ffffe, v1
	v_cvt_u32_f32_e32 v1, v1
	s_add_i32 s38, s48, -1
	v_and_b32_e32 v6, 60, v9
	v_lshl_or_b32 v22, v4, 4, v20
	v_mul_lo_u32 v5, s1, v1
	s_lshl_b64 s[0:1], s[30:31], 2
	s_add_u32 s0, s28, s0
	s_addc_u32 s1, s29, s1
	v_mul_hi_u32 v3, v1, v5
	s_mov_b32 s12, -1
	s_mov_b32 s35, s17
	s_mov_b32 s13, 0xffffff
	v_add_u32_e32 v23, v1, v3
	v_mov_b32_e32 v1, s1
	v_add_co_u32_e64 v3, s[0:1], s0, v6
	v_addc_co_u32_e64 v4, s[0:1], 0, v1, s[0:1]
	v_lshlrev_b32_e32 v1, 5, v15
	v_lshl_or_b32 v1, v11, 6, v1
	v_mov_b32_e32 v2, 0
	v_lshl_or_b32 v21, v14, 4, v20
	v_add_u32_e32 v24, 0xf0, v1
	s_mov_b64 s[16:17], 0
	s_movk_i32 s39, 0x80
	s_movk_i32 s40, 0x7f
	s_mov_b32 s41, 0x8000
	v_mov_b32_e32 v25, 0x2000
	v_mov_b32_e32 v19, 0
	;; [unrolled: 1-line block ×5, first 2 shown]
	s_branch .LBB240_211
.LBB240_208:                            ;   in Loop: Header=BB240_211 Depth=1
	s_or_b64 exec, exec, s[2:3]
	;;#ASMSTART
	v_pk_mul_f16 v5, v32, v5;

	;;#ASMEND
	;;#ASMSTART
	v_pk_mul_f16 v1, v31, v1;

	;;#ASMEND
	;; [unrolled: 4-line block ×4, first 2 shown]
	;;#ASMSTART
	v_pk_add_f16 v1, v5, v1;

	;;#ASMEND
	;;#ASMSTART
	v_pk_add_f16 v1, v1, v6;

	;;#ASMEND
	;; [unrolled: 4-line block ×3, first 2 shown]
	v_lshrrev_b32_e32 v5, 16, v1
	v_and_b32_e32 v1, 0xffff, v1
	;;#ASMSTART
	v_cvt_f32_f16 v1, v1;
	;;#ASMEND
	;;#ASMSTART
	v_cvt_f32_f16 v5, v5;
	;;#ASMEND
	v_add_f32_e32 v1, v1, v5
	v_add_f32_e32 v19, v19, v1
.LBB240_209:                            ;   in Loop: Header=BB240_211 Depth=1
	s_or_b64 exec, exec, s[20:21]
	v_add_f32_e32 v1, v9, v10
	v_add_f32_e32 v18, v18, v1
	;; [unrolled: 1-line block ×6, first 2 shown]
.LBB240_210:                            ;   in Loop: Header=BB240_211 Depth=1
	s_or_b64 exec, exec, s[18:19]
	v_add_co_u32_e64 v3, s[0:1], 8, v3
	v_add_u32_e32 v11, 2, v11
	v_addc_co_u32_e64 v4, s[0:1], 0, v4, s[0:1]
	v_cmp_le_i32_e64 s[0:1], s48, v11
	v_add_u32_e32 v12, 32, v12
	s_or_b64 s[16:17], s[0:1], s[16:17]
	v_add_u32_e32 v24, 0x80, v24
	s_andn2_b64 exec, exec, s[16:17]
	s_cbranch_execz .LBB240_413
.LBB240_211:                            ; =>This Inner Loop Header: Depth=1
	v_mul_hi_u32 v1, v12, s46
	v_mul_lo_u32 v5, v1, s25
	v_add_u32_e32 v6, 1, v1
	v_sub_u32_e32 v5, v12, v5
	v_cmp_le_u32_e64 s[0:1], s25, v5
	v_cndmask_b32_e64 v1, v1, v6, s[0:1]
	v_subrev_u32_e32 v6, s25, v5
	v_cndmask_b32_e64 v5, v5, v6, s[0:1]
	v_add_u32_e32 v6, 1, v1
	v_cmp_le_u32_e64 s[0:1], s25, v5
	v_cndmask_b32_e64 v1, v1, v6, s[0:1]
	v_xor_b32_e32 v1, s47, v1
	v_subrev_u32_e32 v1, s47, v1
	v_add_u32_e32 v5, s36, v1
	v_sub_u32_e32 v6, 0, v5
	v_max_i32_e32 v6, v5, v6
	v_mul_hi_u32 v7, v6, v23
	v_ashrrev_i32_e32 v5, 31, v5
	v_cmp_lt_i32_e64 s[2:3], s37, v1
	v_mul_lo_u32 v7, v7, s34
	v_sub_u32_e32 v6, v6, v7
	v_subrev_u32_e32 v7, s34, v6
	v_cmp_le_u32_e64 s[0:1], s34, v6
	v_cndmask_b32_e64 v6, v6, v7, s[0:1]
	v_subrev_u32_e32 v7, s34, v6
	v_cmp_le_u32_e64 s[0:1], s34, v6
	v_cndmask_b32_e64 v6, v6, v7, s[0:1]
	v_xor_b32_e32 v6, v6, v5
	v_sub_u32_e32 v5, v6, v5
	v_cmp_eq_u32_e64 s[0:1], 0, v5
	s_or_b64 s[0:1], s[0:1], s[2:3]
	s_and_saveexec_b64 s[18:19], s[0:1]
	s_cbranch_execz .LBB240_210
; %bb.212:                              ;   in Loop: Header=BB240_211 Depth=1
	global_load_dword v1, v[3:4], off
	ds_read2_b64 v[5:8], v24 offset1:1
	ds_read2_b64 v[33:36], v24 offset0:2 offset1:3
	v_mov_b32_e32 v10, s7
	v_mov_b32_e32 v9, s6
	s_waitcnt lgkmcnt(1)
	;;#ASMSTART
	v_cvt_f16_f32 v27, v5;

	;;#ASMEND
	;;#ASMSTART
	v_cvt_f16_f32 v28, v6;

	;;#ASMEND
	;; [unrolled: 4-line block ×4, first 2 shown]
	s_waitcnt lgkmcnt(0)
	;;#ASMSTART
	v_cvt_f16_f32 v33, v33;

	;;#ASMEND
	;;#ASMSTART
	v_cvt_f16_f32 v34, v34;

	;;#ASMEND
	;; [unrolled: 4-line block ×4, first 2 shown]
	v_mov_b32_e32 v32, 0
	global_load_dword v31, v32, s[14:15]
	v_mov_b32_e32 v37, 0
	s_waitcnt vmcnt(1)
	v_mad_i64_i32 v[5:6], s[0:1], v1, s35, v[9:10]
	v_add_co_u32_e64 v7, s[0:1], v5, v21
	v_addc_co_u32_e64 v8, s[0:1], 0, v6, s[0:1]
	global_load_dwordx2 v[9:10], v[7:8], off
	s_waitcnt vmcnt(0)
	v_cmp_ne_u16_sdwa s[0:1], v9, v2 src0_sel:BYTE_0 src1_sel:DWORD
	s_and_saveexec_b64 s[2:3], s[0:1]
	s_cbranch_execz .LBB240_218
; %bb.213:                              ;   in Loop: Header=BB240_211 Depth=1
	v_cmp_ne_u16_sdwa s[0:1], v9, s39 src0_sel:BYTE_0 src1_sel:DWORD
	v_mov_b32_e32 v37, 0x8000
	s_and_saveexec_b64 s[20:21], s[0:1]
	s_cbranch_execz .LBB240_217
; %bb.214:                              ;   in Loop: Header=BB240_211 Depth=1
	v_and_b32_e32 v1, 0x7f, v9
	v_cmp_ne_u32_e64 s[0:1], s40, v1
	v_mov_b32_e32 v37, 0x7c01
	s_and_saveexec_b64 s[22:23], s[0:1]
	s_cbranch_execz .LBB240_216
; %bb.215:                              ;   in Loop: Header=BB240_211 Depth=1
	v_and_b32_e32 v26, 7, v9
	v_ffbh_u32_e32 v37, v26
	v_min_u32_e32 v40, 32, v37
	v_subrev_u32_e32 v37, 28, v40
	v_lshlrev_b64 v[37:38], v37, v[9:10]
	v_lshrrev_b32_e32 v39, 3, v1
	v_sub_u32_e32 v38, 29, v40
	v_cmp_gt_u32_e64 s[0:1], 8, v1
	v_cndmask_b32_e64 v1, v39, v38, s[0:1]
	v_lshl_add_u32 v1, v1, 10, v25
	v_lshlrev_b32_e32 v38, 8, v9
	v_and_b32_e32 v37, 7, v37
	v_and_b32_e32 v1, 0xfc00, v1
	v_cndmask_b32_e64 v26, v26, v37, s[0:1]
	v_and_or_b32 v1, v38, s41, v1
	v_lshl_or_b32 v37, v26, 7, v1
.LBB240_216:                            ;   in Loop: Header=BB240_211 Depth=1
	s_or_b64 exec, exec, s[22:23]
.LBB240_217:                            ;   in Loop: Header=BB240_211 Depth=1
	s_or_b64 exec, exec, s[20:21]
.LBB240_218:                            ;   in Loop: Header=BB240_211 Depth=1
	s_or_b64 exec, exec, s[2:3]
	v_lshrrev_b16_e32 v1, 8, v9
	v_cmp_ne_u16_e64 s[0:1], 0, v1
	s_and_saveexec_b64 s[2:3], s[0:1]
	s_cbranch_execz .LBB240_224
; %bb.219:                              ;   in Loop: Header=BB240_211 Depth=1
	v_cmp_ne_u16_e64 s[0:1], s39, v1
	v_bfrev_b32_e32 v32, 1
	s_and_saveexec_b64 s[20:21], s[0:1]
	s_cbranch_execz .LBB240_223
; %bb.220:                              ;   in Loop: Header=BB240_211 Depth=1
	v_and_b32_e32 v26, 0x7f, v1
	v_cmp_ne_u32_e64 s[0:1], s40, v26
	v_mov_b32_e32 v32, 0x7c010000
	s_and_saveexec_b64 s[22:23], s[0:1]
	s_cbranch_execz .LBB240_222
; %bb.221:                              ;   in Loop: Header=BB240_211 Depth=1
	v_and_b32_e32 v32, 7, v1
	v_ffbh_u32_e32 v38, v32
	v_min_u32_e32 v41, 32, v38
	v_subrev_u32_e32 v38, 28, v41
	v_lshlrev_b64 v[38:39], v38, v[1:2]
	v_lshrrev_b32_e32 v40, 3, v26
	v_sub_u32_e32 v39, 29, v41
	v_cmp_gt_u32_e64 s[0:1], 8, v26
	v_cndmask_b32_e64 v26, v40, v39, s[0:1]
	v_lshlrev_b32_e32 v1, 8, v1
	v_lshl_add_u32 v26, v26, 10, v25
	v_and_b32_e32 v38, 7, v38
	v_and_or_b32 v1, v1, s41, v26
	v_cndmask_b32_e64 v32, v32, v38, s[0:1]
	v_lshlrev_b32_e32 v1, 16, v1
	v_lshl_or_b32 v32, v32, 23, v1
.LBB240_222:                            ;   in Loop: Header=BB240_211 Depth=1
	s_or_b64 exec, exec, s[22:23]
.LBB240_223:                            ;   in Loop: Header=BB240_211 Depth=1
	s_or_b64 exec, exec, s[20:21]
.LBB240_224:                            ;   in Loop: Header=BB240_211 Depth=1
	s_or_b64 exec, exec, s[2:3]
	v_lshrrev_b32_e32 v1, 16, v9
	v_cmp_ne_u16_sdwa s[0:1], v1, v2 src0_sel:BYTE_0 src1_sel:DWORD
	v_mov_b32_e32 v38, 0
	v_mov_b32_e32 v39, 0
	s_and_saveexec_b64 s[2:3], s[0:1]
	s_cbranch_execz .LBB240_230
; %bb.225:                              ;   in Loop: Header=BB240_211 Depth=1
	v_cmp_ne_u16_sdwa s[0:1], v1, s39 src0_sel:BYTE_0 src1_sel:DWORD
	v_mov_b32_e32 v39, 0x8000
	s_and_saveexec_b64 s[20:21], s[0:1]
	s_cbranch_execz .LBB240_229
; %bb.226:                              ;   in Loop: Header=BB240_211 Depth=1
	v_bfe_u32 v26, v9, 16, 7
	v_cmp_ne_u32_e64 s[0:1], s40, v26
	v_mov_b32_e32 v39, 0x7c01
	s_and_saveexec_b64 s[22:23], s[0:1]
	s_cbranch_execz .LBB240_228
; %bb.227:                              ;   in Loop: Header=BB240_211 Depth=1
	v_and_b32_e32 v41, 7, v1
	v_ffbh_u32_e32 v39, v41
	v_min_u32_e32 v43, 32, v39
	v_subrev_u32_e32 v39, 28, v43
	v_lshlrev_b64 v[39:40], v39, v[1:2]
	v_lshrrev_b32_e32 v42, 3, v26
	v_sub_u32_e32 v40, 29, v43
	v_cmp_gt_u32_e64 s[0:1], 8, v26
	v_cndmask_b32_e64 v26, v42, v40, s[0:1]
	v_lshl_add_u32 v26, v26, 10, v25
	v_lshlrev_b32_e32 v1, 8, v1
	v_and_b32_e32 v39, 7, v39
	v_and_b32_e32 v26, 0xfc00, v26
	v_cndmask_b32_e64 v39, v41, v39, s[0:1]
	v_and_or_b32 v1, v1, s41, v26
	v_lshl_or_b32 v39, v39, 7, v1
.LBB240_228:                            ;   in Loop: Header=BB240_211 Depth=1
	s_or_b64 exec, exec, s[22:23]
.LBB240_229:                            ;   in Loop: Header=BB240_211 Depth=1
	s_or_b64 exec, exec, s[20:21]
.LBB240_230:                            ;   in Loop: Header=BB240_211 Depth=1
	s_or_b64 exec, exec, s[2:3]
	v_cmp_lt_u32_e64 s[0:1], s13, v9
	s_and_saveexec_b64 s[2:3], s[0:1]
	s_cbranch_execz .LBB240_236
; %bb.231:                              ;   in Loop: Header=BB240_211 Depth=1
	v_lshrrev_b32_e32 v1, 24, v9
	v_cmp_ne_u32_e64 s[0:1], s39, v1
	v_bfrev_b32_e32 v38, 1
	s_and_saveexec_b64 s[20:21], s[0:1]
	s_cbranch_execz .LBB240_235
; %bb.232:                              ;   in Loop: Header=BB240_211 Depth=1
	v_and_b32_e32 v26, 0x7f, v1
	v_cmp_ne_u32_e64 s[0:1], s40, v26
	v_mov_b32_e32 v38, 0x7c010000
	s_and_saveexec_b64 s[22:23], s[0:1]
	s_cbranch_execz .LBB240_234
; %bb.233:                              ;   in Loop: Header=BB240_211 Depth=1
	v_and_b32_e32 v38, 7, v1
	v_ffbh_u32_e32 v40, v38
	v_min_u32_e32 v43, 32, v40
	v_subrev_u32_e32 v40, 28, v43
	v_lshlrev_b64 v[40:41], v40, v[1:2]
	v_lshrrev_b32_e32 v42, 3, v26
	v_sub_u32_e32 v41, 29, v43
	v_cmp_gt_u32_e64 s[0:1], 8, v26
	v_cndmask_b32_e64 v26, v42, v41, s[0:1]
	v_lshlrev_b32_e32 v1, 8, v1
	v_lshl_add_u32 v26, v26, 10, v25
	v_and_b32_e32 v40, 7, v40
	v_and_or_b32 v1, v1, s41, v26
	v_cndmask_b32_e64 v38, v38, v40, s[0:1]
	v_lshlrev_b32_e32 v1, 16, v1
	v_lshl_or_b32 v38, v38, 23, v1
.LBB240_234:                            ;   in Loop: Header=BB240_211 Depth=1
	s_or_b64 exec, exec, s[22:23]
.LBB240_235:                            ;   in Loop: Header=BB240_211 Depth=1
	s_or_b64 exec, exec, s[20:21]
.LBB240_236:                            ;   in Loop: Header=BB240_211 Depth=1
	s_or_b64 exec, exec, s[2:3]
	v_mov_b32_e32 v1, v10
	v_cmp_ne_u16_sdwa s[0:1], v10, v2 src0_sel:BYTE_0 src1_sel:DWORD
	v_mov_b32_e32 v40, 0
	v_mov_b32_e32 v41, 0
	s_and_saveexec_b64 s[2:3], s[0:1]
	s_cbranch_execz .LBB240_242
; %bb.237:                              ;   in Loop: Header=BB240_211 Depth=1
	v_cmp_ne_u16_sdwa s[0:1], v10, s39 src0_sel:BYTE_0 src1_sel:DWORD
	v_mov_b32_e32 v41, 0x8000
	s_and_saveexec_b64 s[20:21], s[0:1]
	s_cbranch_execz .LBB240_241
; %bb.238:                              ;   in Loop: Header=BB240_211 Depth=1
	v_and_b32_e32 v26, 0x7f, v10
	v_cmp_ne_u32_e64 s[0:1], s40, v26
	v_mov_b32_e32 v41, 0x7c01
	s_and_saveexec_b64 s[22:23], s[0:1]
	s_cbranch_execz .LBB240_240
; %bb.239:                              ;   in Loop: Header=BB240_211 Depth=1
	v_and_b32_e32 v43, 7, v10
	v_ffbh_u32_e32 v41, v43
	v_min_u32_e32 v45, 32, v41
	v_subrev_u32_e32 v41, 28, v45
	v_lshlrev_b64 v[41:42], v41, v[1:2]
	v_lshrrev_b32_e32 v44, 3, v26
	v_sub_u32_e32 v42, 29, v45
	v_cmp_gt_u32_e64 s[0:1], 8, v26
	v_cndmask_b32_e64 v26, v44, v42, s[0:1]
	v_lshl_add_u32 v26, v26, 10, v25
	v_lshlrev_b32_e32 v42, 8, v10
	v_and_b32_e32 v41, 7, v41
	v_and_b32_e32 v26, 0xfc00, v26
	v_cndmask_b32_e64 v41, v43, v41, s[0:1]
	v_and_or_b32 v26, v42, s41, v26
	v_lshl_or_b32 v41, v41, 7, v26
.LBB240_240:                            ;   in Loop: Header=BB240_211 Depth=1
	s_or_b64 exec, exec, s[22:23]
.LBB240_241:                            ;   in Loop: Header=BB240_211 Depth=1
	s_or_b64 exec, exec, s[20:21]
.LBB240_242:                            ;   in Loop: Header=BB240_211 Depth=1
	s_or_b64 exec, exec, s[2:3]
	v_lshrrev_b16_e32 v1, 8, v1
	v_cmp_ne_u16_e64 s[0:1], 0, v1
	v_mov_b32_e32 v42, 0
	s_and_saveexec_b64 s[2:3], s[0:1]
	s_cbranch_execz .LBB240_248
; %bb.243:                              ;   in Loop: Header=BB240_211 Depth=1
	v_cmp_ne_u16_e64 s[0:1], s39, v1
	v_bfrev_b32_e32 v42, 1
	s_and_saveexec_b64 s[20:21], s[0:1]
	s_cbranch_execz .LBB240_247
; %bb.244:                              ;   in Loop: Header=BB240_211 Depth=1
	v_and_b32_e32 v26, 0x7f, v1
	v_cmp_ne_u32_e64 s[0:1], s40, v26
	v_mov_b32_e32 v42, 0x7c010000
	s_and_saveexec_b64 s[22:23], s[0:1]
	s_cbranch_execz .LBB240_246
; %bb.245:                              ;   in Loop: Header=BB240_211 Depth=1
	v_and_b32_e32 v44, 7, v1
	v_ffbh_u32_e32 v42, v44
	v_min_u32_e32 v46, 32, v42
	v_subrev_u32_e32 v42, 28, v46
	v_lshlrev_b64 v[42:43], v42, v[1:2]
	v_lshrrev_b32_e32 v45, 3, v26
	v_sub_u32_e32 v43, 29, v46
	v_cmp_gt_u32_e64 s[0:1], 8, v26
	v_cndmask_b32_e64 v26, v45, v43, s[0:1]
	v_lshlrev_b32_e32 v1, 8, v1
	v_lshl_add_u32 v26, v26, 10, v25
	v_and_b32_e32 v42, 7, v42
	v_and_or_b32 v1, v1, s41, v26
	v_cndmask_b32_e64 v42, v44, v42, s[0:1]
	v_lshlrev_b32_e32 v1, 16, v1
	v_lshl_or_b32 v42, v42, 23, v1
.LBB240_246:                            ;   in Loop: Header=BB240_211 Depth=1
	s_or_b64 exec, exec, s[22:23]
.LBB240_247:                            ;   in Loop: Header=BB240_211 Depth=1
	s_or_b64 exec, exec, s[20:21]
.LBB240_248:                            ;   in Loop: Header=BB240_211 Depth=1
	s_or_b64 exec, exec, s[2:3]
	v_lshrrev_b32_e32 v1, 16, v10
	v_cmp_ne_u16_sdwa s[0:1], v1, v2 src0_sel:BYTE_0 src1_sel:DWORD
	s_and_saveexec_b64 s[2:3], s[0:1]
	s_cbranch_execz .LBB240_254
; %bb.249:                              ;   in Loop: Header=BB240_211 Depth=1
	v_cmp_ne_u16_sdwa s[0:1], v1, s39 src0_sel:BYTE_0 src1_sel:DWORD
	v_mov_b32_e32 v40, 0x8000
	s_and_saveexec_b64 s[20:21], s[0:1]
	s_cbranch_execz .LBB240_253
; %bb.250:                              ;   in Loop: Header=BB240_211 Depth=1
	v_bfe_u32 v26, v10, 16, 7
	v_cmp_ne_u32_e64 s[0:1], s40, v26
	v_mov_b32_e32 v40, 0x7c01
	s_and_saveexec_b64 s[22:23], s[0:1]
	s_cbranch_execz .LBB240_252
; %bb.251:                              ;   in Loop: Header=BB240_211 Depth=1
	v_and_b32_e32 v40, 7, v1
	v_ffbh_u32_e32 v43, v40
	v_min_u32_e32 v46, 32, v43
	v_subrev_u32_e32 v43, 28, v46
	v_lshlrev_b64 v[43:44], v43, v[1:2]
	v_lshrrev_b32_e32 v45, 3, v26
	v_sub_u32_e32 v44, 29, v46
	v_cmp_gt_u32_e64 s[0:1], 8, v26
	v_cndmask_b32_e64 v26, v45, v44, s[0:1]
	v_lshl_add_u32 v26, v26, 10, v25
	v_lshlrev_b32_e32 v1, 8, v1
	v_and_b32_e32 v43, 7, v43
	v_and_b32_e32 v26, 0xfc00, v26
	v_cndmask_b32_e64 v40, v40, v43, s[0:1]
	v_and_or_b32 v1, v1, s41, v26
	v_lshl_or_b32 v40, v40, 7, v1
.LBB240_252:                            ;   in Loop: Header=BB240_211 Depth=1
	s_or_b64 exec, exec, s[22:23]
.LBB240_253:                            ;   in Loop: Header=BB240_211 Depth=1
	s_or_b64 exec, exec, s[20:21]
.LBB240_254:                            ;   in Loop: Header=BB240_211 Depth=1
	s_or_b64 exec, exec, s[2:3]
	v_cmp_lt_u64_e64 s[0:1], s[12:13], v[9:10]
	v_mov_b32_e32 v43, 0
	s_and_saveexec_b64 s[2:3], s[0:1]
	s_cbranch_execz .LBB240_260
; %bb.255:                              ;   in Loop: Header=BB240_211 Depth=1
	v_lshrrev_b32_e32 v1, 24, v10
	v_cmp_ne_u32_e64 s[0:1], s39, v1
	v_bfrev_b32_e32 v43, 1
	s_and_saveexec_b64 s[20:21], s[0:1]
	s_cbranch_execz .LBB240_259
; %bb.256:                              ;   in Loop: Header=BB240_211 Depth=1
	v_and_b32_e32 v9, 0x7f, v1
	v_cmp_ne_u32_e64 s[0:1], s40, v9
	v_mov_b32_e32 v43, 0x7c010000
	s_and_saveexec_b64 s[22:23], s[0:1]
	s_cbranch_execz .LBB240_258
; %bb.257:                              ;   in Loop: Header=BB240_211 Depth=1
	v_and_b32_e32 v10, 7, v1
	v_ffbh_u32_e32 v43, v10
	v_min_u32_e32 v45, 32, v43
	v_subrev_u32_e32 v43, 28, v45
	v_lshlrev_b64 v[43:44], v43, v[1:2]
	v_lshrrev_b32_e32 v26, 3, v9
	v_sub_u32_e32 v44, 29, v45
	v_cmp_gt_u32_e64 s[0:1], 8, v9
	v_cndmask_b32_e64 v9, v26, v44, s[0:1]
	v_lshlrev_b32_e32 v1, 8, v1
	v_lshl_add_u32 v9, v9, 10, v25
	v_and_b32_e32 v26, 7, v43
	v_and_or_b32 v1, v1, s41, v9
	v_cndmask_b32_e64 v10, v10, v26, s[0:1]
	v_lshlrev_b32_e32 v1, 16, v1
	v_lshl_or_b32 v43, v10, 23, v1
.LBB240_258:                            ;   in Loop: Header=BB240_211 Depth=1
	s_or_b64 exec, exec, s[22:23]
.LBB240_259:                            ;   in Loop: Header=BB240_211 Depth=1
	s_or_b64 exec, exec, s[20:21]
.LBB240_260:                            ;   in Loop: Header=BB240_211 Depth=1
	s_or_b64 exec, exec, s[2:3]
	v_fma_mixlo_f16 v9, v31, v38, 0 op_sel:[0,1,0] op_sel_hi:[0,1,0]
	v_fma_mixlo_f16 v10, v31, v32, 0 op_sel:[0,1,0] op_sel_hi:[0,1,0]
	v_or_b32_e32 v1, v38, v39
	v_lshlrev_b32_e32 v38, 16, v9
	v_or_b32_e32 v9, v32, v37
	v_lshlrev_b32_e32 v44, 16, v10
	v_or_b32_e32 v10, v42, v41
	v_or_b32_e32 v37, v43, v40
	v_fma_mixlo_f16 v1, v31, v1, 0 op_sel_hi:[0,1,0]
	v_fma_mixlo_f16 v9, v31, v9, 0 op_sel_hi:[0,1,0]
	v_fma_mixlo_f16 v32, v31, v42, 0 op_sel:[0,1,0] op_sel_hi:[0,1,0]
	v_fma_mixlo_f16 v10, v31, v10, 0 op_sel_hi:[0,1,0]
	v_fma_mixlo_f16 v37, v31, v37, 0 op_sel_hi:[0,1,0]
	v_fma_mixlo_f16 v31, v31, v43, 0 op_sel:[0,1,0] op_sel_hi:[0,1,0]
	v_and_b32_e32 v39, 0xffff, v1
	v_and_b32_e32 v45, 0xffff, v9
	v_lshlrev_b32_e32 v32, 16, v32
	v_and_b32_e32 v41, 0xffff, v10
	v_lshlrev_b32_e32 v31, 16, v31
	v_and_b32_e32 v37, 0xffff, v37
	v_add_u32_e32 v26, v20, v12
	v_cmp_eq_u32_e64 s[0:1], s38, v11
	v_or_b32_e32 v1, v38, v39
	v_or_b32_e32 v9, v44, v45
	;; [unrolled: 1-line block ×4, first 2 shown]
	s_and_saveexec_b64 s[20:21], s[0:1]
	s_cbranch_execz .LBB240_262
; %bb.261:                              ;   in Loop: Header=BB240_211 Depth=1
	v_cmp_gt_i32_e64 s[2:3], s33, v26
	v_add_u32_e32 v9, 1, v26
	v_cndmask_b32_e64 v1, 0, v45, s[2:3]
	v_cmp_gt_i32_e64 s[2:3], s33, v9
	v_cndmask_b32_e64 v9, 0, v44, s[2:3]
	v_or_b32_e32 v9, v9, v1
	v_add_u32_e32 v1, 2, v26
	v_cmp_gt_i32_e64 s[2:3], s33, v1
	v_add_u32_e32 v10, 3, v26
	v_cndmask_b32_e64 v1, 0, v39, s[2:3]
	v_cmp_gt_i32_e64 s[2:3], s33, v10
	v_cndmask_b32_e64 v10, 0, v38, s[2:3]
	v_or_b32_e32 v1, v10, v1
	v_add_u32_e32 v10, 4, v26
	;; [unrolled: 7-line block ×3, first 2 shown]
	v_cmp_gt_i32_e64 s[2:3], s33, v32
	v_cndmask_b32_e64 v32, 0, v37, s[2:3]
	v_add_u32_e32 v37, 7, v26
	v_cmp_gt_i32_e64 s[2:3], s33, v37
	v_cndmask_b32_e64 v31, 0, v31, s[2:3]
	v_or_b32_e32 v40, v31, v32
.LBB240_262:                            ;   in Loop: Header=BB240_211 Depth=1
	s_or_b64 exec, exec, s[20:21]
	v_and_b32_e32 v27, 0xffff, v27
	v_lshl_or_b32 v32, v28, 16, v27
	v_and_b32_e32 v27, 0xffff, v29
	v_lshl_or_b32 v31, v30, 16, v27
	v_and_b32_e32 v27, 0xffff, v33
	v_lshl_or_b32 v30, v34, 16, v27
	v_and_b32_e32 v27, 0xffff, v35
	;;#ASMSTART
	v_pk_mul_f16 v9, v32, v9;

	;;#ASMEND
	;;#ASMSTART
	v_pk_mul_f16 v1, v31, v1;

	;;#ASMEND
	v_lshl_or_b32 v29, v36, 16, v27
	;;#ASMSTART
	v_pk_mul_f16 v10, v30, v10;

	;;#ASMEND
	;;#ASMSTART
	v_pk_mul_f16 v27, v29, v40;

	;;#ASMEND
	;;#ASMSTART
	v_pk_add_f16 v1, v9, v1;

	;;#ASMEND
	;;#ASMSTART
	v_pk_add_f16 v1, v1, v10;
	;; [unrolled: 4-line block ×3, first 2 shown]

	;;#ASMEND
	v_lshrrev_b32_e32 v9, 16, v1
	v_and_b32_e32 v1, 0xffff, v1
	;;#ASMSTART
	v_cvt_f32_f16 v27, v1;
	;;#ASMEND
	;;#ASMSTART
	v_cvt_f32_f16 v28, v9;
	;;#ASMEND
	global_load_dwordx2 v[9:10], v[7:8], off offset:512
	v_mov_b32_e32 v34, 0
	global_load_dword v33, v34, s[14:15]
	v_mov_b32_e32 v35, 0
	s_waitcnt vmcnt(1)
	v_cmp_ne_u16_sdwa s[2:3], v9, v2 src0_sel:BYTE_0 src1_sel:DWORD
	s_and_saveexec_b64 s[20:21], s[2:3]
	s_cbranch_execz .LBB240_268
; %bb.263:                              ;   in Loop: Header=BB240_211 Depth=1
	v_cmp_ne_u16_sdwa s[2:3], v9, s39 src0_sel:BYTE_0 src1_sel:DWORD
	v_mov_b32_e32 v35, 0x8000
	s_and_saveexec_b64 s[22:23], s[2:3]
	s_cbranch_execz .LBB240_267
; %bb.264:                              ;   in Loop: Header=BB240_211 Depth=1
	v_and_b32_e32 v1, 0x7f, v9
	v_cmp_ne_u32_e64 s[2:3], s40, v1
	v_mov_b32_e32 v35, 0x7c01
	s_and_saveexec_b64 s[28:29], s[2:3]
	s_cbranch_execz .LBB240_266
; %bb.265:                              ;   in Loop: Header=BB240_211 Depth=1
	v_and_b32_e32 v37, 7, v9
	v_ffbh_u32_e32 v35, v37
	v_min_u32_e32 v39, 32, v35
	v_subrev_u32_e32 v35, 28, v39
	v_lshlrev_b64 v[35:36], v35, v[9:10]
	v_lshrrev_b32_e32 v38, 3, v1
	v_sub_u32_e32 v36, 29, v39
	v_cmp_gt_u32_e64 s[2:3], 8, v1
	v_cndmask_b32_e64 v1, v38, v36, s[2:3]
	v_lshl_add_u32 v1, v1, 10, v25
	v_lshlrev_b32_e32 v36, 8, v9
	v_and_b32_e32 v35, 7, v35
	v_and_b32_e32 v1, 0xfc00, v1
	v_cndmask_b32_e64 v35, v37, v35, s[2:3]
	v_and_or_b32 v1, v36, s41, v1
	v_lshl_or_b32 v35, v35, 7, v1
.LBB240_266:                            ;   in Loop: Header=BB240_211 Depth=1
	s_or_b64 exec, exec, s[28:29]
.LBB240_267:                            ;   in Loop: Header=BB240_211 Depth=1
	s_or_b64 exec, exec, s[22:23]
.LBB240_268:                            ;   in Loop: Header=BB240_211 Depth=1
	s_or_b64 exec, exec, s[20:21]
	v_lshrrev_b16_e32 v1, 8, v9
	v_cmp_ne_u16_e64 s[2:3], 0, v1
	s_and_saveexec_b64 s[20:21], s[2:3]
	s_cbranch_execz .LBB240_274
; %bb.269:                              ;   in Loop: Header=BB240_211 Depth=1
	v_cmp_ne_u16_e64 s[2:3], s39, v1
	v_bfrev_b32_e32 v34, 1
	s_and_saveexec_b64 s[22:23], s[2:3]
	s_cbranch_execz .LBB240_273
; %bb.270:                              ;   in Loop: Header=BB240_211 Depth=1
	v_and_b32_e32 v36, 0x7f, v1
	v_cmp_ne_u32_e64 s[2:3], s40, v36
	v_mov_b32_e32 v34, 0x7c010000
	s_and_saveexec_b64 s[28:29], s[2:3]
	s_cbranch_execz .LBB240_272
; %bb.271:                              ;   in Loop: Header=BB240_211 Depth=1
	v_and_b32_e32 v34, 7, v1
	v_ffbh_u32_e32 v37, v34
	v_min_u32_e32 v40, 32, v37
	v_subrev_u32_e32 v37, 28, v40
	v_lshlrev_b64 v[37:38], v37, v[1:2]
	v_lshrrev_b32_e32 v39, 3, v36
	v_sub_u32_e32 v38, 29, v40
	v_cmp_gt_u32_e64 s[2:3], 8, v36
	v_cndmask_b32_e64 v36, v39, v38, s[2:3]
	v_lshlrev_b32_e32 v1, 8, v1
	v_lshl_add_u32 v36, v36, 10, v25
	v_and_b32_e32 v37, 7, v37
	v_and_or_b32 v1, v1, s41, v36
	v_cndmask_b32_e64 v34, v34, v37, s[2:3]
	v_lshlrev_b32_e32 v1, 16, v1
	v_lshl_or_b32 v34, v34, 23, v1
.LBB240_272:                            ;   in Loop: Header=BB240_211 Depth=1
	s_or_b64 exec, exec, s[28:29]
.LBB240_273:                            ;   in Loop: Header=BB240_211 Depth=1
	s_or_b64 exec, exec, s[22:23]
.LBB240_274:                            ;   in Loop: Header=BB240_211 Depth=1
	s_or_b64 exec, exec, s[20:21]
	v_lshrrev_b32_e32 v1, 16, v9
	v_cmp_ne_u16_sdwa s[2:3], v1, v2 src0_sel:BYTE_0 src1_sel:DWORD
	v_mov_b32_e32 v36, 0
	v_mov_b32_e32 v37, 0
	s_and_saveexec_b64 s[20:21], s[2:3]
	s_cbranch_execz .LBB240_280
; %bb.275:                              ;   in Loop: Header=BB240_211 Depth=1
	v_cmp_ne_u16_sdwa s[2:3], v1, s39 src0_sel:BYTE_0 src1_sel:DWORD
	v_mov_b32_e32 v37, 0x8000
	s_and_saveexec_b64 s[22:23], s[2:3]
	s_cbranch_execz .LBB240_279
; %bb.276:                              ;   in Loop: Header=BB240_211 Depth=1
	v_bfe_u32 v38, v9, 16, 7
	v_cmp_ne_u32_e64 s[2:3], s40, v38
	v_mov_b32_e32 v37, 0x7c01
	s_and_saveexec_b64 s[28:29], s[2:3]
	s_cbranch_execz .LBB240_278
; %bb.277:                              ;   in Loop: Header=BB240_211 Depth=1
	v_and_b32_e32 v37, 7, v1
	v_ffbh_u32_e32 v39, v37
	v_min_u32_e32 v42, 32, v39
	v_subrev_u32_e32 v39, 28, v42
	v_lshlrev_b64 v[39:40], v39, v[1:2]
	v_lshrrev_b32_e32 v41, 3, v38
	v_sub_u32_e32 v40, 29, v42
	v_cmp_gt_u32_e64 s[2:3], 8, v38
	v_cndmask_b32_e64 v38, v41, v40, s[2:3]
	v_lshl_add_u32 v38, v38, 10, v25
	v_lshlrev_b32_e32 v1, 8, v1
	v_and_b32_e32 v39, 7, v39
	v_and_b32_e32 v38, 0xfc00, v38
	v_cndmask_b32_e64 v37, v37, v39, s[2:3]
	v_and_or_b32 v1, v1, s41, v38
	v_lshl_or_b32 v37, v37, 7, v1
.LBB240_278:                            ;   in Loop: Header=BB240_211 Depth=1
	s_or_b64 exec, exec, s[28:29]
.LBB240_279:                            ;   in Loop: Header=BB240_211 Depth=1
	s_or_b64 exec, exec, s[22:23]
.LBB240_280:                            ;   in Loop: Header=BB240_211 Depth=1
	s_or_b64 exec, exec, s[20:21]
	v_cmp_lt_u32_e64 s[2:3], s13, v9
	s_and_saveexec_b64 s[20:21], s[2:3]
	s_cbranch_execz .LBB240_286
; %bb.281:                              ;   in Loop: Header=BB240_211 Depth=1
	v_lshrrev_b32_e32 v1, 24, v9
	v_cmp_ne_u32_e64 s[2:3], s39, v1
	v_bfrev_b32_e32 v36, 1
	s_and_saveexec_b64 s[22:23], s[2:3]
	s_cbranch_execz .LBB240_285
; %bb.282:                              ;   in Loop: Header=BB240_211 Depth=1
	v_and_b32_e32 v38, 0x7f, v1
	v_cmp_ne_u32_e64 s[2:3], s40, v38
	v_mov_b32_e32 v36, 0x7c010000
	s_and_saveexec_b64 s[28:29], s[2:3]
	s_cbranch_execz .LBB240_284
; %bb.283:                              ;   in Loop: Header=BB240_211 Depth=1
	v_and_b32_e32 v36, 7, v1
	v_ffbh_u32_e32 v39, v36
	v_min_u32_e32 v42, 32, v39
	v_subrev_u32_e32 v39, 28, v42
	v_lshlrev_b64 v[39:40], v39, v[1:2]
	v_lshrrev_b32_e32 v41, 3, v38
	v_sub_u32_e32 v40, 29, v42
	v_cmp_gt_u32_e64 s[2:3], 8, v38
	v_cndmask_b32_e64 v38, v41, v40, s[2:3]
	v_lshlrev_b32_e32 v1, 8, v1
	v_lshl_add_u32 v38, v38, 10, v25
	v_and_b32_e32 v39, 7, v39
	v_and_or_b32 v1, v1, s41, v38
	v_cndmask_b32_e64 v36, v36, v39, s[2:3]
	v_lshlrev_b32_e32 v1, 16, v1
	v_lshl_or_b32 v36, v36, 23, v1
.LBB240_284:                            ;   in Loop: Header=BB240_211 Depth=1
	s_or_b64 exec, exec, s[28:29]
.LBB240_285:                            ;   in Loop: Header=BB240_211 Depth=1
	s_or_b64 exec, exec, s[22:23]
.LBB240_286:                            ;   in Loop: Header=BB240_211 Depth=1
	s_or_b64 exec, exec, s[20:21]
	v_mov_b32_e32 v1, v10
	v_cmp_ne_u16_sdwa s[2:3], v10, v2 src0_sel:BYTE_0 src1_sel:DWORD
	v_mov_b32_e32 v38, 0
	v_mov_b32_e32 v39, 0
	s_and_saveexec_b64 s[20:21], s[2:3]
	s_cbranch_execz .LBB240_292
; %bb.287:                              ;   in Loop: Header=BB240_211 Depth=1
	v_cmp_ne_u16_sdwa s[2:3], v10, s39 src0_sel:BYTE_0 src1_sel:DWORD
	v_mov_b32_e32 v39, 0x8000
	s_and_saveexec_b64 s[22:23], s[2:3]
	s_cbranch_execz .LBB240_291
; %bb.288:                              ;   in Loop: Header=BB240_211 Depth=1
	v_and_b32_e32 v40, 0x7f, v10
	v_cmp_ne_u32_e64 s[2:3], s40, v40
	v_mov_b32_e32 v39, 0x7c01
	s_and_saveexec_b64 s[28:29], s[2:3]
	s_cbranch_execz .LBB240_290
; %bb.289:                              ;   in Loop: Header=BB240_211 Depth=1
	v_and_b32_e32 v39, 7, v10
	v_ffbh_u32_e32 v41, v39
	v_min_u32_e32 v44, 32, v41
	v_subrev_u32_e32 v41, 28, v44
	v_lshlrev_b64 v[41:42], v41, v[1:2]
	v_lshrrev_b32_e32 v43, 3, v40
	v_sub_u32_e32 v42, 29, v44
	v_cmp_gt_u32_e64 s[2:3], 8, v40
	v_cndmask_b32_e64 v40, v43, v42, s[2:3]
	v_lshl_add_u32 v40, v40, 10, v25
	v_lshlrev_b32_e32 v42, 8, v10
	v_and_b32_e32 v41, 7, v41
	v_and_b32_e32 v40, 0xfc00, v40
	v_cndmask_b32_e64 v39, v39, v41, s[2:3]
	v_and_or_b32 v40, v42, s41, v40
	v_lshl_or_b32 v39, v39, 7, v40
.LBB240_290:                            ;   in Loop: Header=BB240_211 Depth=1
	s_or_b64 exec, exec, s[28:29]
.LBB240_291:                            ;   in Loop: Header=BB240_211 Depth=1
	s_or_b64 exec, exec, s[22:23]
.LBB240_292:                            ;   in Loop: Header=BB240_211 Depth=1
	s_or_b64 exec, exec, s[20:21]
	v_lshrrev_b16_e32 v1, 8, v1
	v_cmp_ne_u16_e64 s[2:3], 0, v1
	v_mov_b32_e32 v40, 0
	s_and_saveexec_b64 s[20:21], s[2:3]
	s_cbranch_execz .LBB240_298
; %bb.293:                              ;   in Loop: Header=BB240_211 Depth=1
	v_cmp_ne_u16_e64 s[2:3], s39, v1
	v_bfrev_b32_e32 v40, 1
	s_and_saveexec_b64 s[22:23], s[2:3]
	s_cbranch_execz .LBB240_297
; %bb.294:                              ;   in Loop: Header=BB240_211 Depth=1
	v_and_b32_e32 v41, 0x7f, v1
	v_cmp_ne_u32_e64 s[2:3], s40, v41
	v_mov_b32_e32 v40, 0x7c010000
	s_and_saveexec_b64 s[28:29], s[2:3]
	s_cbranch_execz .LBB240_296
; %bb.295:                              ;   in Loop: Header=BB240_211 Depth=1
	v_and_b32_e32 v40, 7, v1
	v_ffbh_u32_e32 v42, v40
	v_min_u32_e32 v45, 32, v42
	v_subrev_u32_e32 v42, 28, v45
	v_lshlrev_b64 v[42:43], v42, v[1:2]
	v_lshrrev_b32_e32 v44, 3, v41
	v_sub_u32_e32 v43, 29, v45
	v_cmp_gt_u32_e64 s[2:3], 8, v41
	v_cndmask_b32_e64 v41, v44, v43, s[2:3]
	v_lshlrev_b32_e32 v1, 8, v1
	v_lshl_add_u32 v41, v41, 10, v25
	v_and_b32_e32 v42, 7, v42
	v_and_or_b32 v1, v1, s41, v41
	v_cndmask_b32_e64 v40, v40, v42, s[2:3]
	v_lshlrev_b32_e32 v1, 16, v1
	v_lshl_or_b32 v40, v40, 23, v1
.LBB240_296:                            ;   in Loop: Header=BB240_211 Depth=1
	s_or_b64 exec, exec, s[28:29]
.LBB240_297:                            ;   in Loop: Header=BB240_211 Depth=1
	s_or_b64 exec, exec, s[22:23]
.LBB240_298:                            ;   in Loop: Header=BB240_211 Depth=1
	s_or_b64 exec, exec, s[20:21]
	v_lshrrev_b32_e32 v1, 16, v10
	v_cmp_ne_u16_sdwa s[2:3], v1, v2 src0_sel:BYTE_0 src1_sel:DWORD
	s_and_saveexec_b64 s[20:21], s[2:3]
	s_cbranch_execz .LBB240_304
; %bb.299:                              ;   in Loop: Header=BB240_211 Depth=1
	v_cmp_ne_u16_sdwa s[2:3], v1, s39 src0_sel:BYTE_0 src1_sel:DWORD
	v_mov_b32_e32 v38, 0x8000
	s_and_saveexec_b64 s[22:23], s[2:3]
	s_cbranch_execz .LBB240_303
; %bb.300:                              ;   in Loop: Header=BB240_211 Depth=1
	v_bfe_u32 v41, v10, 16, 7
	v_cmp_ne_u32_e64 s[2:3], s40, v41
	v_mov_b32_e32 v38, 0x7c01
	s_and_saveexec_b64 s[28:29], s[2:3]
	s_cbranch_execz .LBB240_302
; %bb.301:                              ;   in Loop: Header=BB240_211 Depth=1
	v_and_b32_e32 v38, 7, v1
	v_ffbh_u32_e32 v42, v38
	v_min_u32_e32 v45, 32, v42
	v_subrev_u32_e32 v42, 28, v45
	v_lshlrev_b64 v[42:43], v42, v[1:2]
	v_lshrrev_b32_e32 v44, 3, v41
	v_sub_u32_e32 v43, 29, v45
	v_cmp_gt_u32_e64 s[2:3], 8, v41
	v_cndmask_b32_e64 v41, v44, v43, s[2:3]
	v_lshl_add_u32 v41, v41, 10, v25
	v_lshlrev_b32_e32 v1, 8, v1
	v_and_b32_e32 v42, 7, v42
	v_and_b32_e32 v41, 0xfc00, v41
	v_cndmask_b32_e64 v38, v38, v42, s[2:3]
	v_and_or_b32 v1, v1, s41, v41
	v_lshl_or_b32 v38, v38, 7, v1
.LBB240_302:                            ;   in Loop: Header=BB240_211 Depth=1
	s_or_b64 exec, exec, s[28:29]
.LBB240_303:                            ;   in Loop: Header=BB240_211 Depth=1
	s_or_b64 exec, exec, s[22:23]
.LBB240_304:                            ;   in Loop: Header=BB240_211 Depth=1
	s_or_b64 exec, exec, s[20:21]
	v_cmp_lt_u64_e64 s[2:3], s[12:13], v[9:10]
	v_mov_b32_e32 v41, 0
	s_and_saveexec_b64 s[20:21], s[2:3]
	s_cbranch_execz .LBB240_310
; %bb.305:                              ;   in Loop: Header=BB240_211 Depth=1
	v_lshrrev_b32_e32 v1, 24, v10
	v_cmp_ne_u32_e64 s[2:3], s39, v1
	v_bfrev_b32_e32 v41, 1
	s_and_saveexec_b64 s[22:23], s[2:3]
	s_cbranch_execz .LBB240_309
; %bb.306:                              ;   in Loop: Header=BB240_211 Depth=1
	v_and_b32_e32 v9, 0x7f, v1
	v_cmp_ne_u32_e64 s[2:3], s40, v9
	v_mov_b32_e32 v41, 0x7c010000
	s_and_saveexec_b64 s[28:29], s[2:3]
	s_cbranch_execz .LBB240_308
; %bb.307:                              ;   in Loop: Header=BB240_211 Depth=1
	v_and_b32_e32 v10, 7, v1
	v_ffbh_u32_e32 v41, v10
	v_min_u32_e32 v44, 32, v41
	v_subrev_u32_e32 v41, 28, v44
	v_lshlrev_b64 v[41:42], v41, v[1:2]
	v_lshrrev_b32_e32 v43, 3, v9
	v_sub_u32_e32 v42, 29, v44
	v_cmp_gt_u32_e64 s[2:3], 8, v9
	v_cndmask_b32_e64 v9, v43, v42, s[2:3]
	v_lshlrev_b32_e32 v1, 8, v1
	v_lshl_add_u32 v9, v9, 10, v25
	v_and_b32_e32 v41, 7, v41
	v_and_or_b32 v1, v1, s41, v9
	v_cndmask_b32_e64 v10, v10, v41, s[2:3]
	v_lshlrev_b32_e32 v1, 16, v1
	v_lshl_or_b32 v41, v10, 23, v1
.LBB240_308:                            ;   in Loop: Header=BB240_211 Depth=1
	s_or_b64 exec, exec, s[28:29]
.LBB240_309:                            ;   in Loop: Header=BB240_211 Depth=1
	s_or_b64 exec, exec, s[22:23]
.LBB240_310:                            ;   in Loop: Header=BB240_211 Depth=1
	s_or_b64 exec, exec, s[20:21]
	s_waitcnt vmcnt(0)
	v_fma_mixlo_f16 v9, v33, v36, 0 op_sel:[0,1,0] op_sel_hi:[0,1,0]
	v_lshlrev_b32_e32 v10, 16, v9
	v_or_b32_e32 v9, v34, v35
	v_fma_mixlo_f16 v34, v33, v34, 0 op_sel:[0,1,0] op_sel_hi:[0,1,0]
	v_or_b32_e32 v1, v36, v37
	v_lshlrev_b32_e32 v42, 16, v34
	v_or_b32_e32 v34, v40, v39
	v_or_b32_e32 v37, v41, v38
	v_fma_mixlo_f16 v1, v33, v1, 0 op_sel_hi:[0,1,0]
	v_fma_mixlo_f16 v9, v33, v9, 0 op_sel_hi:[0,1,0]
	v_fma_mixlo_f16 v35, v33, v40, 0 op_sel:[0,1,0] op_sel_hi:[0,1,0]
	v_fma_mixlo_f16 v34, v33, v34, 0 op_sel_hi:[0,1,0]
	v_fma_mixlo_f16 v37, v33, v37, 0 op_sel_hi:[0,1,0]
	v_fma_mixlo_f16 v33, v33, v41, 0 op_sel:[0,1,0] op_sel_hi:[0,1,0]
	v_and_b32_e32 v36, 0xffff, v1
	v_and_b32_e32 v43, 0xffff, v9
	v_lshlrev_b32_e32 v35, 16, v35
	v_and_b32_e32 v39, 0xffff, v34
	v_lshlrev_b32_e32 v33, 16, v33
	v_and_b32_e32 v37, 0xffff, v37
	v_or_b32_e32 v1, v10, v36
	v_or_b32_e32 v9, v42, v43
	;; [unrolled: 1-line block ×4, first 2 shown]
	s_and_saveexec_b64 s[20:21], s[0:1]
	s_cbranch_execz .LBB240_312
; %bb.311:                              ;   in Loop: Header=BB240_211 Depth=1
	v_cmp_gt_i32_e64 s[2:3], s33, v26
	v_add_u32_e32 v9, 1, v26
	v_cndmask_b32_e64 v1, 0, v43, s[2:3]
	v_cmp_gt_i32_e64 s[2:3], s33, v9
	v_cndmask_b32_e64 v9, 0, v42, s[2:3]
	v_or_b32_e32 v9, v9, v1
	v_add_u32_e32 v1, 2, v26
	v_cmp_gt_i32_e64 s[2:3], s33, v1
	v_add_u32_e32 v34, 3, v26
	v_cndmask_b32_e64 v1, 0, v36, s[2:3]
	v_cmp_gt_i32_e64 s[2:3], s33, v34
	v_cndmask_b32_e64 v10, 0, v10, s[2:3]
	v_or_b32_e32 v1, v10, v1
	v_add_u32_e32 v10, 4, v26
	;; [unrolled: 7-line block ×3, first 2 shown]
	v_cmp_gt_i32_e64 s[2:3], s33, v10
	v_add_u32_e32 v35, 7, v26
	v_cndmask_b32_e64 v10, 0, v37, s[2:3]
	v_cmp_gt_i32_e64 s[2:3], s33, v35
	v_cndmask_b32_e64 v33, 0, v33, s[2:3]
	v_or_b32_e32 v38, v33, v10
.LBB240_312:                            ;   in Loop: Header=BB240_211 Depth=1
	s_or_b64 exec, exec, s[20:21]
	;;#ASMSTART
	v_pk_mul_f16 v9, v32, v9;

	;;#ASMEND
	;;#ASMSTART
	v_pk_mul_f16 v1, v31, v1;

	;;#ASMEND
	;; [unrolled: 4-line block ×4, first 2 shown]
	;;#ASMSTART
	v_pk_add_f16 v1, v9, v1;

	;;#ASMEND
	;;#ASMSTART
	v_pk_add_f16 v1, v1, v10;

	;;#ASMEND
	;;#ASMSTART
	v_pk_add_f16 v1, v1, v33;

	;;#ASMEND
	v_lshrrev_b32_e32 v10, 16, v1
	v_and_b32_e32 v1, 0xffff, v1
	;;#ASMSTART
	v_cvt_f32_f16 v9, v1;
	;;#ASMEND
	;;#ASMSTART
	v_cvt_f32_f16 v10, v10;
	;;#ASMEND
	global_load_dwordx2 v[7:8], v[7:8], off offset:1024
	v_mov_b32_e32 v34, 0
	global_load_dword v33, v34, s[14:15]
	v_mov_b32_e32 v35, 0
	s_waitcnt vmcnt(1)
	v_cmp_ne_u16_sdwa s[2:3], v7, v2 src0_sel:BYTE_0 src1_sel:DWORD
	s_and_saveexec_b64 s[20:21], s[2:3]
	s_cbranch_execz .LBB240_318
; %bb.313:                              ;   in Loop: Header=BB240_211 Depth=1
	v_cmp_ne_u16_sdwa s[2:3], v7, s39 src0_sel:BYTE_0 src1_sel:DWORD
	v_mov_b32_e32 v35, 0x8000
	s_and_saveexec_b64 s[22:23], s[2:3]
	s_cbranch_execz .LBB240_317
; %bb.314:                              ;   in Loop: Header=BB240_211 Depth=1
	v_and_b32_e32 v1, 0x7f, v7
	v_cmp_ne_u32_e64 s[2:3], s40, v1
	v_mov_b32_e32 v35, 0x7c01
	s_and_saveexec_b64 s[28:29], s[2:3]
	s_cbranch_execz .LBB240_316
; %bb.315:                              ;   in Loop: Header=BB240_211 Depth=1
	v_and_b32_e32 v37, 7, v7
	v_ffbh_u32_e32 v35, v37
	v_min_u32_e32 v39, 32, v35
	v_subrev_u32_e32 v35, 28, v39
	v_lshlrev_b64 v[35:36], v35, v[7:8]
	v_lshrrev_b32_e32 v38, 3, v1
	v_sub_u32_e32 v36, 29, v39
	v_cmp_gt_u32_e64 s[2:3], 8, v1
	v_cndmask_b32_e64 v1, v38, v36, s[2:3]
	v_lshl_add_u32 v1, v1, 10, v25
	v_lshlrev_b32_e32 v36, 8, v7
	v_and_b32_e32 v35, 7, v35
	v_and_b32_e32 v1, 0xfc00, v1
	v_cndmask_b32_e64 v35, v37, v35, s[2:3]
	v_and_or_b32 v1, v36, s41, v1
	v_lshl_or_b32 v35, v35, 7, v1
.LBB240_316:                            ;   in Loop: Header=BB240_211 Depth=1
	s_or_b64 exec, exec, s[28:29]
.LBB240_317:                            ;   in Loop: Header=BB240_211 Depth=1
	s_or_b64 exec, exec, s[22:23]
.LBB240_318:                            ;   in Loop: Header=BB240_211 Depth=1
	s_or_b64 exec, exec, s[20:21]
	v_lshrrev_b16_e32 v1, 8, v7
	v_cmp_ne_u16_e64 s[2:3], 0, v1
	s_and_saveexec_b64 s[20:21], s[2:3]
	s_cbranch_execz .LBB240_324
; %bb.319:                              ;   in Loop: Header=BB240_211 Depth=1
	v_cmp_ne_u16_e64 s[2:3], s39, v1
	v_bfrev_b32_e32 v34, 1
	s_and_saveexec_b64 s[22:23], s[2:3]
	s_cbranch_execz .LBB240_323
; %bb.320:                              ;   in Loop: Header=BB240_211 Depth=1
	v_and_b32_e32 v36, 0x7f, v1
	v_cmp_ne_u32_e64 s[2:3], s40, v36
	v_mov_b32_e32 v34, 0x7c010000
	s_and_saveexec_b64 s[28:29], s[2:3]
	s_cbranch_execz .LBB240_322
; %bb.321:                              ;   in Loop: Header=BB240_211 Depth=1
	v_and_b32_e32 v34, 7, v1
	v_ffbh_u32_e32 v37, v34
	v_min_u32_e32 v40, 32, v37
	v_subrev_u32_e32 v37, 28, v40
	v_lshlrev_b64 v[37:38], v37, v[1:2]
	v_lshrrev_b32_e32 v39, 3, v36
	v_sub_u32_e32 v38, 29, v40
	v_cmp_gt_u32_e64 s[2:3], 8, v36
	v_cndmask_b32_e64 v36, v39, v38, s[2:3]
	v_lshlrev_b32_e32 v1, 8, v1
	v_lshl_add_u32 v36, v36, 10, v25
	v_and_b32_e32 v37, 7, v37
	v_and_or_b32 v1, v1, s41, v36
	v_cndmask_b32_e64 v34, v34, v37, s[2:3]
	v_lshlrev_b32_e32 v1, 16, v1
	v_lshl_or_b32 v34, v34, 23, v1
.LBB240_322:                            ;   in Loop: Header=BB240_211 Depth=1
	s_or_b64 exec, exec, s[28:29]
.LBB240_323:                            ;   in Loop: Header=BB240_211 Depth=1
	s_or_b64 exec, exec, s[22:23]
.LBB240_324:                            ;   in Loop: Header=BB240_211 Depth=1
	s_or_b64 exec, exec, s[20:21]
	v_lshrrev_b32_e32 v1, 16, v7
	v_cmp_ne_u16_sdwa s[2:3], v1, v2 src0_sel:BYTE_0 src1_sel:DWORD
	v_mov_b32_e32 v36, 0
	v_mov_b32_e32 v37, 0
	s_and_saveexec_b64 s[20:21], s[2:3]
	s_cbranch_execz .LBB240_330
; %bb.325:                              ;   in Loop: Header=BB240_211 Depth=1
	v_cmp_ne_u16_sdwa s[2:3], v1, s39 src0_sel:BYTE_0 src1_sel:DWORD
	v_mov_b32_e32 v37, 0x8000
	s_and_saveexec_b64 s[22:23], s[2:3]
	s_cbranch_execz .LBB240_329
; %bb.326:                              ;   in Loop: Header=BB240_211 Depth=1
	v_bfe_u32 v38, v7, 16, 7
	v_cmp_ne_u32_e64 s[2:3], s40, v38
	v_mov_b32_e32 v37, 0x7c01
	s_and_saveexec_b64 s[28:29], s[2:3]
	s_cbranch_execz .LBB240_328
; %bb.327:                              ;   in Loop: Header=BB240_211 Depth=1
	v_and_b32_e32 v37, 7, v1
	v_ffbh_u32_e32 v39, v37
	v_min_u32_e32 v42, 32, v39
	v_subrev_u32_e32 v39, 28, v42
	v_lshlrev_b64 v[39:40], v39, v[1:2]
	v_lshrrev_b32_e32 v41, 3, v38
	v_sub_u32_e32 v40, 29, v42
	v_cmp_gt_u32_e64 s[2:3], 8, v38
	v_cndmask_b32_e64 v38, v41, v40, s[2:3]
	v_lshl_add_u32 v38, v38, 10, v25
	v_lshlrev_b32_e32 v1, 8, v1
	v_and_b32_e32 v39, 7, v39
	v_and_b32_e32 v38, 0xfc00, v38
	v_cndmask_b32_e64 v37, v37, v39, s[2:3]
	v_and_or_b32 v1, v1, s41, v38
	v_lshl_or_b32 v37, v37, 7, v1
.LBB240_328:                            ;   in Loop: Header=BB240_211 Depth=1
	s_or_b64 exec, exec, s[28:29]
.LBB240_329:                            ;   in Loop: Header=BB240_211 Depth=1
	s_or_b64 exec, exec, s[22:23]
.LBB240_330:                            ;   in Loop: Header=BB240_211 Depth=1
	s_or_b64 exec, exec, s[20:21]
	v_cmp_lt_u32_e64 s[2:3], s13, v7
	s_and_saveexec_b64 s[20:21], s[2:3]
	s_cbranch_execz .LBB240_336
; %bb.331:                              ;   in Loop: Header=BB240_211 Depth=1
	v_lshrrev_b32_e32 v1, 24, v7
	v_cmp_ne_u32_e64 s[2:3], s39, v1
	v_bfrev_b32_e32 v36, 1
	s_and_saveexec_b64 s[22:23], s[2:3]
	s_cbranch_execz .LBB240_335
; %bb.332:                              ;   in Loop: Header=BB240_211 Depth=1
	v_and_b32_e32 v38, 0x7f, v1
	v_cmp_ne_u32_e64 s[2:3], s40, v38
	v_mov_b32_e32 v36, 0x7c010000
	s_and_saveexec_b64 s[28:29], s[2:3]
	s_cbranch_execz .LBB240_334
; %bb.333:                              ;   in Loop: Header=BB240_211 Depth=1
	v_and_b32_e32 v36, 7, v1
	v_ffbh_u32_e32 v39, v36
	v_min_u32_e32 v42, 32, v39
	v_subrev_u32_e32 v39, 28, v42
	v_lshlrev_b64 v[39:40], v39, v[1:2]
	v_lshrrev_b32_e32 v41, 3, v38
	v_sub_u32_e32 v40, 29, v42
	v_cmp_gt_u32_e64 s[2:3], 8, v38
	v_cndmask_b32_e64 v38, v41, v40, s[2:3]
	v_lshlrev_b32_e32 v1, 8, v1
	v_lshl_add_u32 v38, v38, 10, v25
	v_and_b32_e32 v39, 7, v39
	v_and_or_b32 v1, v1, s41, v38
	v_cndmask_b32_e64 v36, v36, v39, s[2:3]
	v_lshlrev_b32_e32 v1, 16, v1
	v_lshl_or_b32 v36, v36, 23, v1
.LBB240_334:                            ;   in Loop: Header=BB240_211 Depth=1
	s_or_b64 exec, exec, s[28:29]
.LBB240_335:                            ;   in Loop: Header=BB240_211 Depth=1
	s_or_b64 exec, exec, s[22:23]
.LBB240_336:                            ;   in Loop: Header=BB240_211 Depth=1
	s_or_b64 exec, exec, s[20:21]
	v_mov_b32_e32 v1, v8
	v_cmp_ne_u16_sdwa s[2:3], v8, v2 src0_sel:BYTE_0 src1_sel:DWORD
	v_mov_b32_e32 v38, 0
	v_mov_b32_e32 v39, 0
	s_and_saveexec_b64 s[20:21], s[2:3]
	s_cbranch_execz .LBB240_342
; %bb.337:                              ;   in Loop: Header=BB240_211 Depth=1
	v_cmp_ne_u16_sdwa s[2:3], v8, s39 src0_sel:BYTE_0 src1_sel:DWORD
	v_mov_b32_e32 v39, 0x8000
	s_and_saveexec_b64 s[22:23], s[2:3]
	s_cbranch_execz .LBB240_341
; %bb.338:                              ;   in Loop: Header=BB240_211 Depth=1
	v_and_b32_e32 v40, 0x7f, v8
	v_cmp_ne_u32_e64 s[2:3], s40, v40
	v_mov_b32_e32 v39, 0x7c01
	s_and_saveexec_b64 s[28:29], s[2:3]
	s_cbranch_execz .LBB240_340
; %bb.339:                              ;   in Loop: Header=BB240_211 Depth=1
	v_and_b32_e32 v39, 7, v8
	v_ffbh_u32_e32 v41, v39
	v_min_u32_e32 v44, 32, v41
	v_subrev_u32_e32 v41, 28, v44
	v_lshlrev_b64 v[41:42], v41, v[1:2]
	v_lshrrev_b32_e32 v43, 3, v40
	v_sub_u32_e32 v42, 29, v44
	v_cmp_gt_u32_e64 s[2:3], 8, v40
	v_cndmask_b32_e64 v40, v43, v42, s[2:3]
	v_lshl_add_u32 v40, v40, 10, v25
	v_lshlrev_b32_e32 v42, 8, v8
	v_and_b32_e32 v41, 7, v41
	v_and_b32_e32 v40, 0xfc00, v40
	v_cndmask_b32_e64 v39, v39, v41, s[2:3]
	v_and_or_b32 v40, v42, s41, v40
	v_lshl_or_b32 v39, v39, 7, v40
.LBB240_340:                            ;   in Loop: Header=BB240_211 Depth=1
	s_or_b64 exec, exec, s[28:29]
.LBB240_341:                            ;   in Loop: Header=BB240_211 Depth=1
	s_or_b64 exec, exec, s[22:23]
.LBB240_342:                            ;   in Loop: Header=BB240_211 Depth=1
	s_or_b64 exec, exec, s[20:21]
	v_lshrrev_b16_e32 v1, 8, v1
	v_cmp_ne_u16_e64 s[2:3], 0, v1
	v_mov_b32_e32 v40, 0
	s_and_saveexec_b64 s[20:21], s[2:3]
	s_cbranch_execz .LBB240_348
; %bb.343:                              ;   in Loop: Header=BB240_211 Depth=1
	v_cmp_ne_u16_e64 s[2:3], s39, v1
	v_bfrev_b32_e32 v40, 1
	s_and_saveexec_b64 s[22:23], s[2:3]
	s_cbranch_execz .LBB240_347
; %bb.344:                              ;   in Loop: Header=BB240_211 Depth=1
	v_and_b32_e32 v41, 0x7f, v1
	v_cmp_ne_u32_e64 s[2:3], s40, v41
	v_mov_b32_e32 v40, 0x7c010000
	s_and_saveexec_b64 s[28:29], s[2:3]
	s_cbranch_execz .LBB240_346
; %bb.345:                              ;   in Loop: Header=BB240_211 Depth=1
	v_and_b32_e32 v40, 7, v1
	v_ffbh_u32_e32 v42, v40
	v_min_u32_e32 v45, 32, v42
	v_subrev_u32_e32 v42, 28, v45
	v_lshlrev_b64 v[42:43], v42, v[1:2]
	v_lshrrev_b32_e32 v44, 3, v41
	v_sub_u32_e32 v43, 29, v45
	v_cmp_gt_u32_e64 s[2:3], 8, v41
	v_cndmask_b32_e64 v41, v44, v43, s[2:3]
	v_lshlrev_b32_e32 v1, 8, v1
	v_lshl_add_u32 v41, v41, 10, v25
	v_and_b32_e32 v42, 7, v42
	v_and_or_b32 v1, v1, s41, v41
	v_cndmask_b32_e64 v40, v40, v42, s[2:3]
	v_lshlrev_b32_e32 v1, 16, v1
	v_lshl_or_b32 v40, v40, 23, v1
.LBB240_346:                            ;   in Loop: Header=BB240_211 Depth=1
	s_or_b64 exec, exec, s[28:29]
.LBB240_347:                            ;   in Loop: Header=BB240_211 Depth=1
	s_or_b64 exec, exec, s[22:23]
.LBB240_348:                            ;   in Loop: Header=BB240_211 Depth=1
	s_or_b64 exec, exec, s[20:21]
	v_lshrrev_b32_e32 v1, 16, v8
	v_cmp_ne_u16_sdwa s[2:3], v1, v2 src0_sel:BYTE_0 src1_sel:DWORD
	s_and_saveexec_b64 s[20:21], s[2:3]
	s_cbranch_execz .LBB240_354
; %bb.349:                              ;   in Loop: Header=BB240_211 Depth=1
	v_cmp_ne_u16_sdwa s[2:3], v1, s39 src0_sel:BYTE_0 src1_sel:DWORD
	v_mov_b32_e32 v38, 0x8000
	s_and_saveexec_b64 s[22:23], s[2:3]
	s_cbranch_execz .LBB240_353
; %bb.350:                              ;   in Loop: Header=BB240_211 Depth=1
	v_bfe_u32 v41, v8, 16, 7
	v_cmp_ne_u32_e64 s[2:3], s40, v41
	v_mov_b32_e32 v38, 0x7c01
	s_and_saveexec_b64 s[28:29], s[2:3]
	s_cbranch_execz .LBB240_352
; %bb.351:                              ;   in Loop: Header=BB240_211 Depth=1
	v_and_b32_e32 v38, 7, v1
	v_ffbh_u32_e32 v42, v38
	v_min_u32_e32 v45, 32, v42
	v_subrev_u32_e32 v42, 28, v45
	v_lshlrev_b64 v[42:43], v42, v[1:2]
	v_lshrrev_b32_e32 v44, 3, v41
	v_sub_u32_e32 v43, 29, v45
	v_cmp_gt_u32_e64 s[2:3], 8, v41
	v_cndmask_b32_e64 v41, v44, v43, s[2:3]
	v_lshl_add_u32 v41, v41, 10, v25
	v_lshlrev_b32_e32 v1, 8, v1
	v_and_b32_e32 v42, 7, v42
	v_and_b32_e32 v41, 0xfc00, v41
	v_cndmask_b32_e64 v38, v38, v42, s[2:3]
	v_and_or_b32 v1, v1, s41, v41
	v_lshl_or_b32 v38, v38, 7, v1
.LBB240_352:                            ;   in Loop: Header=BB240_211 Depth=1
	s_or_b64 exec, exec, s[28:29]
.LBB240_353:                            ;   in Loop: Header=BB240_211 Depth=1
	s_or_b64 exec, exec, s[22:23]
.LBB240_354:                            ;   in Loop: Header=BB240_211 Depth=1
	s_or_b64 exec, exec, s[20:21]
	v_cmp_lt_u64_e64 s[2:3], s[12:13], v[7:8]
	v_mov_b32_e32 v41, 0
	s_and_saveexec_b64 s[20:21], s[2:3]
	s_cbranch_execz .LBB240_360
; %bb.355:                              ;   in Loop: Header=BB240_211 Depth=1
	v_lshrrev_b32_e32 v1, 24, v8
	v_cmp_ne_u32_e64 s[2:3], s39, v1
	v_bfrev_b32_e32 v41, 1
	s_and_saveexec_b64 s[22:23], s[2:3]
	s_cbranch_execz .LBB240_359
; %bb.356:                              ;   in Loop: Header=BB240_211 Depth=1
	v_and_b32_e32 v7, 0x7f, v1
	v_cmp_ne_u32_e64 s[2:3], s40, v7
	v_mov_b32_e32 v41, 0x7c010000
	s_and_saveexec_b64 s[28:29], s[2:3]
	s_cbranch_execz .LBB240_358
; %bb.357:                              ;   in Loop: Header=BB240_211 Depth=1
	v_and_b32_e32 v8, 7, v1
	v_ffbh_u32_e32 v41, v8
	v_min_u32_e32 v44, 32, v41
	v_subrev_u32_e32 v41, 28, v44
	v_lshlrev_b64 v[41:42], v41, v[1:2]
	v_lshrrev_b32_e32 v43, 3, v7
	v_sub_u32_e32 v42, 29, v44
	v_cmp_gt_u32_e64 s[2:3], 8, v7
	v_cndmask_b32_e64 v7, v43, v42, s[2:3]
	v_lshlrev_b32_e32 v1, 8, v1
	v_lshl_add_u32 v7, v7, 10, v25
	v_and_b32_e32 v41, 7, v41
	v_and_or_b32 v1, v1, s41, v7
	v_cndmask_b32_e64 v8, v8, v41, s[2:3]
	v_lshlrev_b32_e32 v1, 16, v1
	v_lshl_or_b32 v41, v8, 23, v1
.LBB240_358:                            ;   in Loop: Header=BB240_211 Depth=1
	s_or_b64 exec, exec, s[28:29]
.LBB240_359:                            ;   in Loop: Header=BB240_211 Depth=1
	s_or_b64 exec, exec, s[22:23]
.LBB240_360:                            ;   in Loop: Header=BB240_211 Depth=1
	s_or_b64 exec, exec, s[20:21]
	s_waitcnt vmcnt(0)
	v_fma_mixlo_f16 v7, v33, v36, 0 op_sel:[0,1,0] op_sel_hi:[0,1,0]
	v_lshlrev_b32_e32 v8, 16, v7
	v_or_b32_e32 v7, v34, v35
	v_fma_mixlo_f16 v34, v33, v34, 0 op_sel:[0,1,0] op_sel_hi:[0,1,0]
	v_or_b32_e32 v1, v36, v37
	v_lshlrev_b32_e32 v42, 16, v34
	v_or_b32_e32 v34, v40, v39
	v_or_b32_e32 v37, v41, v38
	v_fma_mixlo_f16 v1, v33, v1, 0 op_sel_hi:[0,1,0]
	v_fma_mixlo_f16 v7, v33, v7, 0 op_sel_hi:[0,1,0]
	v_fma_mixlo_f16 v35, v33, v40, 0 op_sel:[0,1,0] op_sel_hi:[0,1,0]
	v_fma_mixlo_f16 v34, v33, v34, 0 op_sel_hi:[0,1,0]
	v_fma_mixlo_f16 v37, v33, v37, 0 op_sel_hi:[0,1,0]
	v_fma_mixlo_f16 v33, v33, v41, 0 op_sel:[0,1,0] op_sel_hi:[0,1,0]
	v_and_b32_e32 v36, 0xffff, v1
	v_and_b32_e32 v43, 0xffff, v7
	v_lshlrev_b32_e32 v35, 16, v35
	v_and_b32_e32 v39, 0xffff, v34
	v_lshlrev_b32_e32 v33, 16, v33
	v_and_b32_e32 v37, 0xffff, v37
	v_or_b32_e32 v1, v8, v36
	v_or_b32_e32 v7, v42, v43
	;; [unrolled: 1-line block ×4, first 2 shown]
	s_and_saveexec_b64 s[20:21], s[0:1]
	s_cbranch_execz .LBB240_362
; %bb.361:                              ;   in Loop: Header=BB240_211 Depth=1
	v_cmp_gt_i32_e64 s[2:3], s33, v26
	v_add_u32_e32 v7, 1, v26
	v_cndmask_b32_e64 v1, 0, v43, s[2:3]
	v_cmp_gt_i32_e64 s[2:3], s33, v7
	v_cndmask_b32_e64 v7, 0, v42, s[2:3]
	v_or_b32_e32 v7, v7, v1
	v_add_u32_e32 v1, 2, v26
	v_cmp_gt_i32_e64 s[2:3], s33, v1
	v_add_u32_e32 v34, 3, v26
	v_cndmask_b32_e64 v1, 0, v36, s[2:3]
	v_cmp_gt_i32_e64 s[2:3], s33, v34
	v_cndmask_b32_e64 v8, 0, v8, s[2:3]
	v_or_b32_e32 v1, v8, v1
	v_add_u32_e32 v8, 4, v26
	;; [unrolled: 7-line block ×3, first 2 shown]
	v_cmp_gt_i32_e64 s[2:3], s33, v8
	v_add_u32_e32 v35, 7, v26
	v_cndmask_b32_e64 v8, 0, v37, s[2:3]
	v_cmp_gt_i32_e64 s[2:3], s33, v35
	v_cndmask_b32_e64 v33, 0, v33, s[2:3]
	v_or_b32_e32 v38, v33, v8
.LBB240_362:                            ;   in Loop: Header=BB240_211 Depth=1
	s_or_b64 exec, exec, s[20:21]
	;;#ASMSTART
	v_pk_mul_f16 v7, v32, v7;

	;;#ASMEND
	;;#ASMSTART
	v_pk_mul_f16 v1, v31, v1;

	;;#ASMEND
	;; [unrolled: 4-line block ×4, first 2 shown]
	;;#ASMSTART
	v_pk_add_f16 v1, v7, v1;

	;;#ASMEND
	;;#ASMSTART
	v_pk_add_f16 v1, v1, v8;

	;;#ASMEND
	;; [unrolled: 4-line block ×3, first 2 shown]
	v_lshrrev_b32_e32 v8, 16, v1
	v_and_b32_e32 v1, 0xffff, v1
	;;#ASMSTART
	v_cvt_f32_f16 v7, v1;
	;;#ASMEND
	;;#ASMSTART
	v_cvt_f32_f16 v8, v8;
	;;#ASMEND
	s_and_saveexec_b64 s[20:21], vcc
	s_cbranch_execz .LBB240_209
; %bb.363:                              ;   in Loop: Header=BB240_211 Depth=1
	v_add_co_u32_e64 v5, s[2:3], v5, v22
	v_addc_co_u32_e64 v6, s[2:3], 0, v6, s[2:3]
	global_load_dwordx2 v[5:6], v[5:6], off
	v_mov_b32_e32 v34, 0
	global_load_dword v33, v34, s[14:15]
	v_mov_b32_e32 v35, 0
	s_waitcnt vmcnt(1)
	v_cmp_ne_u16_sdwa s[2:3], v5, v2 src0_sel:BYTE_0 src1_sel:DWORD
	s_and_saveexec_b64 s[22:23], s[2:3]
	s_cbranch_execz .LBB240_369
; %bb.364:                              ;   in Loop: Header=BB240_211 Depth=1
	v_cmp_ne_u16_sdwa s[2:3], v5, s39 src0_sel:BYTE_0 src1_sel:DWORD
	v_mov_b32_e32 v35, 0x8000
	s_and_saveexec_b64 s[28:29], s[2:3]
	s_cbranch_execz .LBB240_368
; %bb.365:                              ;   in Loop: Header=BB240_211 Depth=1
	v_and_b32_e32 v1, 0x7f, v5
	v_cmp_ne_u32_e64 s[2:3], s40, v1
	v_mov_b32_e32 v35, 0x7c01
	s_and_saveexec_b64 s[30:31], s[2:3]
	s_cbranch_execz .LBB240_367
; %bb.366:                              ;   in Loop: Header=BB240_211 Depth=1
	v_and_b32_e32 v37, 7, v5
	v_ffbh_u32_e32 v35, v37
	v_min_u32_e32 v39, 32, v35
	v_subrev_u32_e32 v35, 28, v39
	v_lshlrev_b64 v[35:36], v35, v[5:6]
	v_lshrrev_b32_e32 v38, 3, v1
	v_sub_u32_e32 v36, 29, v39
	v_cmp_gt_u32_e64 s[2:3], 8, v1
	v_cndmask_b32_e64 v1, v38, v36, s[2:3]
	v_lshl_add_u32 v1, v1, 10, v25
	v_lshlrev_b32_e32 v36, 8, v5
	v_and_b32_e32 v35, 7, v35
	v_and_b32_e32 v1, 0xfc00, v1
	v_cndmask_b32_e64 v35, v37, v35, s[2:3]
	v_and_or_b32 v1, v36, s41, v1
	v_lshl_or_b32 v35, v35, 7, v1
.LBB240_367:                            ;   in Loop: Header=BB240_211 Depth=1
	s_or_b64 exec, exec, s[30:31]
.LBB240_368:                            ;   in Loop: Header=BB240_211 Depth=1
	s_or_b64 exec, exec, s[28:29]
.LBB240_369:                            ;   in Loop: Header=BB240_211 Depth=1
	s_or_b64 exec, exec, s[22:23]
	v_lshrrev_b16_e32 v1, 8, v5
	v_cmp_ne_u16_e64 s[2:3], 0, v1
	s_and_saveexec_b64 s[22:23], s[2:3]
	s_cbranch_execz .LBB240_375
; %bb.370:                              ;   in Loop: Header=BB240_211 Depth=1
	v_cmp_ne_u16_e64 s[2:3], s39, v1
	v_bfrev_b32_e32 v34, 1
	s_and_saveexec_b64 s[28:29], s[2:3]
	s_cbranch_execz .LBB240_374
; %bb.371:                              ;   in Loop: Header=BB240_211 Depth=1
	v_and_b32_e32 v36, 0x7f, v1
	v_cmp_ne_u32_e64 s[2:3], s40, v36
	v_mov_b32_e32 v34, 0x7c010000
	s_and_saveexec_b64 s[30:31], s[2:3]
	s_cbranch_execz .LBB240_373
; %bb.372:                              ;   in Loop: Header=BB240_211 Depth=1
	v_and_b32_e32 v34, 7, v1
	v_ffbh_u32_e32 v37, v34
	v_min_u32_e32 v40, 32, v37
	v_subrev_u32_e32 v37, 28, v40
	v_lshlrev_b64 v[37:38], v37, v[1:2]
	v_lshrrev_b32_e32 v39, 3, v36
	v_sub_u32_e32 v38, 29, v40
	v_cmp_gt_u32_e64 s[2:3], 8, v36
	v_cndmask_b32_e64 v36, v39, v38, s[2:3]
	v_lshlrev_b32_e32 v1, 8, v1
	v_lshl_add_u32 v36, v36, 10, v25
	v_and_b32_e32 v37, 7, v37
	v_and_or_b32 v1, v1, s41, v36
	v_cndmask_b32_e64 v34, v34, v37, s[2:3]
	v_lshlrev_b32_e32 v1, 16, v1
	v_lshl_or_b32 v34, v34, 23, v1
.LBB240_373:                            ;   in Loop: Header=BB240_211 Depth=1
	s_or_b64 exec, exec, s[30:31]
.LBB240_374:                            ;   in Loop: Header=BB240_211 Depth=1
	s_or_b64 exec, exec, s[28:29]
.LBB240_375:                            ;   in Loop: Header=BB240_211 Depth=1
	s_or_b64 exec, exec, s[22:23]
	v_lshrrev_b32_e32 v1, 16, v5
	v_cmp_ne_u16_sdwa s[2:3], v1, v2 src0_sel:BYTE_0 src1_sel:DWORD
	v_mov_b32_e32 v36, 0
	v_mov_b32_e32 v37, 0
	s_and_saveexec_b64 s[22:23], s[2:3]
	s_cbranch_execz .LBB240_381
; %bb.376:                              ;   in Loop: Header=BB240_211 Depth=1
	v_cmp_ne_u16_sdwa s[2:3], v1, s39 src0_sel:BYTE_0 src1_sel:DWORD
	v_mov_b32_e32 v37, 0x8000
	s_and_saveexec_b64 s[28:29], s[2:3]
	s_cbranch_execz .LBB240_380
; %bb.377:                              ;   in Loop: Header=BB240_211 Depth=1
	v_bfe_u32 v38, v5, 16, 7
	v_cmp_ne_u32_e64 s[2:3], s40, v38
	v_mov_b32_e32 v37, 0x7c01
	s_and_saveexec_b64 s[30:31], s[2:3]
	s_cbranch_execz .LBB240_379
; %bb.378:                              ;   in Loop: Header=BB240_211 Depth=1
	v_and_b32_e32 v37, 7, v1
	v_ffbh_u32_e32 v39, v37
	v_min_u32_e32 v42, 32, v39
	v_subrev_u32_e32 v39, 28, v42
	v_lshlrev_b64 v[39:40], v39, v[1:2]
	v_lshrrev_b32_e32 v41, 3, v38
	v_sub_u32_e32 v40, 29, v42
	v_cmp_gt_u32_e64 s[2:3], 8, v38
	v_cndmask_b32_e64 v38, v41, v40, s[2:3]
	v_lshl_add_u32 v38, v38, 10, v25
	v_lshlrev_b32_e32 v1, 8, v1
	v_and_b32_e32 v39, 7, v39
	v_and_b32_e32 v38, 0xfc00, v38
	v_cndmask_b32_e64 v37, v37, v39, s[2:3]
	v_and_or_b32 v1, v1, s41, v38
	v_lshl_or_b32 v37, v37, 7, v1
.LBB240_379:                            ;   in Loop: Header=BB240_211 Depth=1
	s_or_b64 exec, exec, s[30:31]
.LBB240_380:                            ;   in Loop: Header=BB240_211 Depth=1
	s_or_b64 exec, exec, s[28:29]
.LBB240_381:                            ;   in Loop: Header=BB240_211 Depth=1
	s_or_b64 exec, exec, s[22:23]
	v_cmp_lt_u32_e64 s[2:3], s13, v5
	s_and_saveexec_b64 s[22:23], s[2:3]
	s_cbranch_execz .LBB240_387
; %bb.382:                              ;   in Loop: Header=BB240_211 Depth=1
	v_lshrrev_b32_e32 v1, 24, v5
	v_cmp_ne_u32_e64 s[2:3], s39, v1
	v_bfrev_b32_e32 v36, 1
	s_and_saveexec_b64 s[28:29], s[2:3]
	s_cbranch_execz .LBB240_386
; %bb.383:                              ;   in Loop: Header=BB240_211 Depth=1
	v_and_b32_e32 v38, 0x7f, v1
	v_cmp_ne_u32_e64 s[2:3], s40, v38
	v_mov_b32_e32 v36, 0x7c010000
	s_and_saveexec_b64 s[30:31], s[2:3]
	s_cbranch_execz .LBB240_385
; %bb.384:                              ;   in Loop: Header=BB240_211 Depth=1
	v_and_b32_e32 v36, 7, v1
	v_ffbh_u32_e32 v39, v36
	v_min_u32_e32 v42, 32, v39
	v_subrev_u32_e32 v39, 28, v42
	v_lshlrev_b64 v[39:40], v39, v[1:2]
	v_lshrrev_b32_e32 v41, 3, v38
	v_sub_u32_e32 v40, 29, v42
	v_cmp_gt_u32_e64 s[2:3], 8, v38
	v_cndmask_b32_e64 v38, v41, v40, s[2:3]
	v_lshlrev_b32_e32 v1, 8, v1
	v_lshl_add_u32 v38, v38, 10, v25
	v_and_b32_e32 v39, 7, v39
	v_and_or_b32 v1, v1, s41, v38
	v_cndmask_b32_e64 v36, v36, v39, s[2:3]
	v_lshlrev_b32_e32 v1, 16, v1
	v_lshl_or_b32 v36, v36, 23, v1
.LBB240_385:                            ;   in Loop: Header=BB240_211 Depth=1
	s_or_b64 exec, exec, s[30:31]
.LBB240_386:                            ;   in Loop: Header=BB240_211 Depth=1
	s_or_b64 exec, exec, s[28:29]
.LBB240_387:                            ;   in Loop: Header=BB240_211 Depth=1
	s_or_b64 exec, exec, s[22:23]
	v_mov_b32_e32 v1, v6
	v_cmp_ne_u16_sdwa s[2:3], v6, v2 src0_sel:BYTE_0 src1_sel:DWORD
	v_mov_b32_e32 v38, 0
	v_mov_b32_e32 v39, 0
	s_and_saveexec_b64 s[22:23], s[2:3]
	s_cbranch_execz .LBB240_393
; %bb.388:                              ;   in Loop: Header=BB240_211 Depth=1
	v_cmp_ne_u16_sdwa s[2:3], v6, s39 src0_sel:BYTE_0 src1_sel:DWORD
	v_mov_b32_e32 v39, 0x8000
	s_and_saveexec_b64 s[28:29], s[2:3]
	s_cbranch_execz .LBB240_392
; %bb.389:                              ;   in Loop: Header=BB240_211 Depth=1
	v_and_b32_e32 v40, 0x7f, v6
	v_cmp_ne_u32_e64 s[2:3], s40, v40
	v_mov_b32_e32 v39, 0x7c01
	s_and_saveexec_b64 s[30:31], s[2:3]
	s_cbranch_execz .LBB240_391
; %bb.390:                              ;   in Loop: Header=BB240_211 Depth=1
	v_and_b32_e32 v39, 7, v6
	v_ffbh_u32_e32 v41, v39
	v_min_u32_e32 v44, 32, v41
	v_subrev_u32_e32 v41, 28, v44
	v_lshlrev_b64 v[41:42], v41, v[1:2]
	v_lshrrev_b32_e32 v43, 3, v40
	v_sub_u32_e32 v42, 29, v44
	v_cmp_gt_u32_e64 s[2:3], 8, v40
	v_cndmask_b32_e64 v40, v43, v42, s[2:3]
	v_lshl_add_u32 v40, v40, 10, v25
	v_lshlrev_b32_e32 v42, 8, v6
	v_and_b32_e32 v41, 7, v41
	v_and_b32_e32 v40, 0xfc00, v40
	v_cndmask_b32_e64 v39, v39, v41, s[2:3]
	v_and_or_b32 v40, v42, s41, v40
	v_lshl_or_b32 v39, v39, 7, v40
.LBB240_391:                            ;   in Loop: Header=BB240_211 Depth=1
	s_or_b64 exec, exec, s[30:31]
.LBB240_392:                            ;   in Loop: Header=BB240_211 Depth=1
	s_or_b64 exec, exec, s[28:29]
.LBB240_393:                            ;   in Loop: Header=BB240_211 Depth=1
	s_or_b64 exec, exec, s[22:23]
	v_lshrrev_b16_e32 v1, 8, v1
	v_cmp_ne_u16_e64 s[2:3], 0, v1
	v_mov_b32_e32 v40, 0
	s_and_saveexec_b64 s[22:23], s[2:3]
	s_cbranch_execz .LBB240_399
; %bb.394:                              ;   in Loop: Header=BB240_211 Depth=1
	v_cmp_ne_u16_e64 s[2:3], s39, v1
	v_bfrev_b32_e32 v40, 1
	s_and_saveexec_b64 s[28:29], s[2:3]
	s_cbranch_execz .LBB240_398
; %bb.395:                              ;   in Loop: Header=BB240_211 Depth=1
	v_and_b32_e32 v41, 0x7f, v1
	v_cmp_ne_u32_e64 s[2:3], s40, v41
	v_mov_b32_e32 v40, 0x7c010000
	s_and_saveexec_b64 s[30:31], s[2:3]
	s_cbranch_execz .LBB240_397
; %bb.396:                              ;   in Loop: Header=BB240_211 Depth=1
	v_and_b32_e32 v40, 7, v1
	v_ffbh_u32_e32 v42, v40
	v_min_u32_e32 v45, 32, v42
	v_subrev_u32_e32 v42, 28, v45
	v_lshlrev_b64 v[42:43], v42, v[1:2]
	v_lshrrev_b32_e32 v44, 3, v41
	v_sub_u32_e32 v43, 29, v45
	v_cmp_gt_u32_e64 s[2:3], 8, v41
	v_cndmask_b32_e64 v41, v44, v43, s[2:3]
	v_lshlrev_b32_e32 v1, 8, v1
	v_lshl_add_u32 v41, v41, 10, v25
	v_and_b32_e32 v42, 7, v42
	v_and_or_b32 v1, v1, s41, v41
	v_cndmask_b32_e64 v40, v40, v42, s[2:3]
	v_lshlrev_b32_e32 v1, 16, v1
	v_lshl_or_b32 v40, v40, 23, v1
.LBB240_397:                            ;   in Loop: Header=BB240_211 Depth=1
	s_or_b64 exec, exec, s[30:31]
.LBB240_398:                            ;   in Loop: Header=BB240_211 Depth=1
	s_or_b64 exec, exec, s[28:29]
.LBB240_399:                            ;   in Loop: Header=BB240_211 Depth=1
	s_or_b64 exec, exec, s[22:23]
	v_lshrrev_b32_e32 v1, 16, v6
	v_cmp_ne_u16_sdwa s[2:3], v1, v2 src0_sel:BYTE_0 src1_sel:DWORD
	s_and_saveexec_b64 s[22:23], s[2:3]
	s_cbranch_execz .LBB240_405
; %bb.400:                              ;   in Loop: Header=BB240_211 Depth=1
	v_cmp_ne_u16_sdwa s[2:3], v1, s39 src0_sel:BYTE_0 src1_sel:DWORD
	v_mov_b32_e32 v38, 0x8000
	s_and_saveexec_b64 s[28:29], s[2:3]
	s_cbranch_execz .LBB240_404
; %bb.401:                              ;   in Loop: Header=BB240_211 Depth=1
	v_bfe_u32 v41, v6, 16, 7
	v_cmp_ne_u32_e64 s[2:3], s40, v41
	v_mov_b32_e32 v38, 0x7c01
	s_and_saveexec_b64 s[30:31], s[2:3]
	s_cbranch_execz .LBB240_403
; %bb.402:                              ;   in Loop: Header=BB240_211 Depth=1
	v_and_b32_e32 v38, 7, v1
	v_ffbh_u32_e32 v42, v38
	v_min_u32_e32 v45, 32, v42
	v_subrev_u32_e32 v42, 28, v45
	v_lshlrev_b64 v[42:43], v42, v[1:2]
	v_lshrrev_b32_e32 v44, 3, v41
	v_sub_u32_e32 v43, 29, v45
	v_cmp_gt_u32_e64 s[2:3], 8, v41
	v_cndmask_b32_e64 v41, v44, v43, s[2:3]
	v_lshl_add_u32 v41, v41, 10, v25
	v_lshlrev_b32_e32 v1, 8, v1
	v_and_b32_e32 v42, 7, v42
	v_and_b32_e32 v41, 0xfc00, v41
	v_cndmask_b32_e64 v38, v38, v42, s[2:3]
	v_and_or_b32 v1, v1, s41, v41
	v_lshl_or_b32 v38, v38, 7, v1
.LBB240_403:                            ;   in Loop: Header=BB240_211 Depth=1
	s_or_b64 exec, exec, s[30:31]
.LBB240_404:                            ;   in Loop: Header=BB240_211 Depth=1
	s_or_b64 exec, exec, s[28:29]
.LBB240_405:                            ;   in Loop: Header=BB240_211 Depth=1
	s_or_b64 exec, exec, s[22:23]
	v_cmp_lt_u64_e64 s[2:3], s[12:13], v[5:6]
	v_mov_b32_e32 v41, 0
	s_and_saveexec_b64 s[22:23], s[2:3]
	s_cbranch_execz .LBB240_411
; %bb.406:                              ;   in Loop: Header=BB240_211 Depth=1
	v_lshrrev_b32_e32 v1, 24, v6
	v_cmp_ne_u32_e64 s[2:3], s39, v1
	v_bfrev_b32_e32 v41, 1
	s_and_saveexec_b64 s[28:29], s[2:3]
	s_cbranch_execz .LBB240_410
; %bb.407:                              ;   in Loop: Header=BB240_211 Depth=1
	v_and_b32_e32 v5, 0x7f, v1
	v_cmp_ne_u32_e64 s[2:3], s40, v5
	v_mov_b32_e32 v41, 0x7c010000
	s_and_saveexec_b64 s[30:31], s[2:3]
	s_cbranch_execz .LBB240_409
; %bb.408:                              ;   in Loop: Header=BB240_211 Depth=1
	v_and_b32_e32 v6, 7, v1
	v_ffbh_u32_e32 v41, v6
	v_min_u32_e32 v44, 32, v41
	v_subrev_u32_e32 v41, 28, v44
	v_lshlrev_b64 v[41:42], v41, v[1:2]
	v_lshrrev_b32_e32 v43, 3, v5
	v_sub_u32_e32 v42, 29, v44
	v_cmp_gt_u32_e64 s[2:3], 8, v5
	v_cndmask_b32_e64 v5, v43, v42, s[2:3]
	v_lshlrev_b32_e32 v1, 8, v1
	v_lshl_add_u32 v5, v5, 10, v25
	v_and_b32_e32 v41, 7, v41
	v_and_or_b32 v1, v1, s41, v5
	v_cndmask_b32_e64 v6, v6, v41, s[2:3]
	v_lshlrev_b32_e32 v1, 16, v1
	v_lshl_or_b32 v41, v6, 23, v1
.LBB240_409:                            ;   in Loop: Header=BB240_211 Depth=1
	s_or_b64 exec, exec, s[30:31]
.LBB240_410:                            ;   in Loop: Header=BB240_211 Depth=1
	s_or_b64 exec, exec, s[28:29]
.LBB240_411:                            ;   in Loop: Header=BB240_211 Depth=1
	s_or_b64 exec, exec, s[22:23]
	s_waitcnt vmcnt(0)
	v_fma_mixlo_f16 v5, v33, v36, 0 op_sel:[0,1,0] op_sel_hi:[0,1,0]
	v_lshlrev_b32_e32 v6, 16, v5
	v_or_b32_e32 v5, v34, v35
	v_fma_mixlo_f16 v34, v33, v34, 0 op_sel:[0,1,0] op_sel_hi:[0,1,0]
	v_or_b32_e32 v1, v36, v37
	v_lshlrev_b32_e32 v42, 16, v34
	v_or_b32_e32 v34, v40, v39
	v_or_b32_e32 v37, v41, v38
	v_fma_mixlo_f16 v1, v33, v1, 0 op_sel_hi:[0,1,0]
	v_fma_mixlo_f16 v5, v33, v5, 0 op_sel_hi:[0,1,0]
	v_fma_mixlo_f16 v35, v33, v40, 0 op_sel:[0,1,0] op_sel_hi:[0,1,0]
	v_fma_mixlo_f16 v34, v33, v34, 0 op_sel_hi:[0,1,0]
	v_fma_mixlo_f16 v37, v33, v37, 0 op_sel_hi:[0,1,0]
	v_fma_mixlo_f16 v33, v33, v41, 0 op_sel:[0,1,0] op_sel_hi:[0,1,0]
	v_and_b32_e32 v36, 0xffff, v1
	v_and_b32_e32 v43, 0xffff, v5
	v_lshlrev_b32_e32 v35, 16, v35
	v_and_b32_e32 v39, 0xffff, v34
	v_lshlrev_b32_e32 v33, 16, v33
	v_and_b32_e32 v37, 0xffff, v37
	v_or_b32_e32 v1, v6, v36
	v_or_b32_e32 v5, v42, v43
	;; [unrolled: 1-line block ×4, first 2 shown]
	s_and_saveexec_b64 s[2:3], s[0:1]
	s_cbranch_execz .LBB240_208
; %bb.412:                              ;   in Loop: Header=BB240_211 Depth=1
	v_cmp_gt_i32_e64 s[0:1], s33, v26
	v_add_u32_e32 v5, 1, v26
	v_cndmask_b32_e64 v1, 0, v43, s[0:1]
	v_cmp_gt_i32_e64 s[0:1], s33, v5
	v_cndmask_b32_e64 v5, 0, v42, s[0:1]
	v_or_b32_e32 v5, v5, v1
	v_add_u32_e32 v1, 2, v26
	v_cmp_gt_i32_e64 s[0:1], s33, v1
	v_add_u32_e32 v34, 3, v26
	v_cndmask_b32_e64 v1, 0, v36, s[0:1]
	v_cmp_gt_i32_e64 s[0:1], s33, v34
	v_cndmask_b32_e64 v6, 0, v6, s[0:1]
	v_or_b32_e32 v1, v6, v1
	v_add_u32_e32 v6, 4, v26
	;; [unrolled: 7-line block ×3, first 2 shown]
	v_cmp_gt_i32_e64 s[0:1], s33, v6
	v_add_u32_e32 v26, 7, v26
	v_cndmask_b32_e64 v6, 0, v37, s[0:1]
	v_cmp_gt_i32_e64 s[0:1], s33, v26
	v_cndmask_b32_e64 v26, 0, v33, s[0:1]
	v_or_b32_e32 v38, v26, v6
	s_branch .LBB240_208
.LBB240_413:
	s_or_b64 exec, exec, s[16:17]
.LBB240_414:
	s_or_b64 exec, exec, s[4:5]
	ds_bpermute_b32 v2, v13, v18
	ds_bpermute_b32 v5, v13, v16
	;; [unrolled: 1-line block ×4, first 2 shown]
	v_cmp_eq_u32_e32 vcc, 0, v15
	s_waitcnt lgkmcnt(3)
	v_add_f32_e32 v3, v18, v2
	s_waitcnt lgkmcnt(2)
	v_add_f32_e32 v2, v16, v5
	v_and_b32_e32 v5, 0x3c0, v0
	s_waitcnt lgkmcnt(1)
	v_add_f32_e32 v4, v17, v1
	s_waitcnt lgkmcnt(0)
	v_add_f32_e32 v1, v19, v6
	v_cmp_eq_u32_e64 s[0:1], 64, v5
	s_barrier
	s_and_saveexec_b64 s[2:3], s[0:1]
	s_cbranch_execz .LBB240_419
; %bb.415:
	s_and_saveexec_b64 s[0:1], vcc
	s_cbranch_execz .LBB240_417
; %bb.416:
	v_mov_b32_e32 v5, 0xf0
	v_lshl_add_u32 v5, v14, 2, v5
	ds_write2_b32 v5, v4, v3 offset1:32
	ds_write_b32 v5, v2 offset:256
.LBB240_417:
	s_or_b64 exec, exec, s[0:1]
	v_or_b32_e32 v5, 0x60, v14
	s_movk_i32 s0, 0x70
	v_cmp_gt_u32_e64 s[0:1], s0, v5
	s_and_b64 s[0:1], vcc, s[0:1]
	s_and_b64 exec, exec, s[0:1]
; %bb.418:
	v_mov_b32_e32 v5, 0xf0
	v_lshl_add_u32 v5, v14, 2, v5
	ds_write_b32 v5, v1 offset:384
.LBB240_419:
	s_or_b64 exec, exec, s[2:3]
	v_cmp_gt_u32_e64 s[0:1], 64, v0
	v_lshrrev_b32_e32 v0, 1, v0
	s_waitcnt lgkmcnt(0)
	s_barrier
	s_and_saveexec_b64 s[4:5], s[0:1]
	s_cbranch_execz .LBB240_429
; %bb.420:
	s_and_saveexec_b64 s[2:3], vcc
	s_cbranch_execz .LBB240_422
; %bb.421:
	v_mov_b32_e32 v5, 0xf0
	v_lshl_add_u32 v5, v0, 2, v5
	ds_read_b32 v5, v5
	s_waitcnt lgkmcnt(0)
	v_add_f32_e32 v4, v4, v5
.LBB240_422:
	s_or_b64 exec, exec, s[2:3]
	v_or_b32_e32 v5, 32, v0
	s_movk_i32 s6, 0x70
	v_cmp_gt_u32_e64 s[2:3], s6, v5
	s_and_b64 s[12:13], vcc, s[2:3]
	s_and_saveexec_b64 s[2:3], s[12:13]
	s_cbranch_execz .LBB240_424
; %bb.423:
	v_mov_b32_e32 v5, 0xf0
	v_lshl_add_u32 v5, v0, 2, v5
	ds_read_b32 v5, v5 offset:128
	s_waitcnt lgkmcnt(0)
	v_add_f32_e32 v3, v3, v5
.LBB240_424:
	s_or_b64 exec, exec, s[2:3]
	v_or_b32_e32 v5, 64, v0
	v_cmp_gt_u32_e64 s[2:3], s6, v5
	s_and_b64 s[6:7], vcc, s[2:3]
	s_and_saveexec_b64 s[2:3], s[6:7]
	s_cbranch_execz .LBB240_426
; %bb.425:
	v_mov_b32_e32 v5, 0xf0
	v_lshl_add_u32 v5, v0, 2, v5
	ds_read_b32 v5, v5 offset:256
	s_waitcnt lgkmcnt(0)
	v_add_f32_e32 v2, v2, v5
.LBB240_426:
	s_or_b64 exec, exec, s[2:3]
	v_or_b32_e32 v5, 0x60, v0
	s_movk_i32 s2, 0x70
	v_cmp_gt_u32_e64 s[2:3], s2, v5
	s_and_b64 s[6:7], vcc, s[2:3]
	s_and_saveexec_b64 s[2:3], s[6:7]
	s_cbranch_execz .LBB240_428
; %bb.427:
	v_mov_b32_e32 v5, 0xf0
	v_lshl_add_u32 v5, v0, 2, v5
	ds_read_b32 v5, v5 offset:384
	s_waitcnt lgkmcnt(0)
	v_add_f32_e32 v1, v1, v5
.LBB240_428:
	s_or_b64 exec, exec, s[2:3]
.LBB240_429:
	s_or_b64 exec, exec, s[4:5]
	s_barrier
	s_and_saveexec_b64 s[2:3], s[0:1]
	s_cbranch_execz .LBB240_438
; %bb.430:
	s_mul_i32 s0, s10, s11
	s_mul_i32 s0, s0, s9
	s_mulk_i32 s0, 0x70
	s_ashr_i32 s1, s0, 31
	s_lshl_b64 s[0:1], s[0:1], 1
	s_add_u32 s2, s26, s0
	s_mul_i32 s0, s11, s24
	s_addc_u32 s3, s27, s1
	s_ashr_i32 s1, s0, 31
	s_lshl_b64 s[0:1], s[0:1], 1
	s_add_u32 s2, s2, s0
	s_mul_i32 s0, s8, 0x70
	s_addc_u32 s3, s3, s1
	s_ashr_i32 s1, s0, 31
	s_lshl_b64 s[0:1], s[0:1], 1
	s_add_u32 s2, s2, s0
	s_movk_i32 s4, 0x70
	s_addc_u32 s3, s3, s1
	v_lshlrev_b32_e32 v5, 1, v0
	s_and_saveexec_b64 s[0:1], vcc
	s_cbranch_execz .LBB240_432
; %bb.431:
	;;#ASMSTART
	v_cvt_f16_f32 v4, v4;

	;;#ASMEND
	global_store_short v5, v4, s[2:3]
.LBB240_432:
	s_or_b64 exec, exec, s[0:1]
	v_or_b32_e32 v4, 32, v0
	v_cmp_gt_u32_e64 s[0:1], s4, v4
	s_and_b64 s[4:5], vcc, s[0:1]
	s_and_saveexec_b64 s[0:1], s[4:5]
	s_cbranch_execz .LBB240_434
; %bb.433:
	;;#ASMSTART
	v_cvt_f16_f32 v3, v3;

	;;#ASMEND
	global_store_short v5, v3, s[2:3] offset:64
.LBB240_434:
	s_or_b64 exec, exec, s[0:1]
	v_or_b32_e32 v3, 64, v0
	s_movk_i32 s4, 0x70
	v_cmp_gt_u32_e64 s[0:1], s4, v3
	s_and_b64 s[6:7], vcc, s[0:1]
	s_and_saveexec_b64 s[0:1], s[6:7]
	s_cbranch_execz .LBB240_436
; %bb.435:
	;;#ASMSTART
	v_cvt_f16_f32 v2, v2;

	;;#ASMEND
	global_store_short v5, v2, s[2:3] offset:128
.LBB240_436:
	s_or_b64 exec, exec, s[0:1]
	v_or_b32_e32 v0, 0x60, v0
	v_cmp_gt_u32_e64 s[0:1], s4, v0
	s_and_b64 s[0:1], vcc, s[0:1]
	s_and_b64 exec, exec, s[0:1]
	s_cbranch_execz .LBB240_438
; %bb.437:
	;;#ASMSTART
	v_cvt_f16_f32 v0, v1;

	;;#ASMEND
	global_store_short v5, v0, s[2:3] offset:192
.LBB240_438:
	s_endpgm
	.section	.rodata,"a",@progbits
	.p2align	6, 0x0
	.amdhsa_kernel _ZN4vllm25paged_attention_v1_kernelIthLi112ELi16ELi128ELNS_18Fp8KVCacheDataTypeE1ELb1EEEvPT_PKS2_PKT0_S8_ifPKiSA_iPKfiiiSC_SC_iiiii
		.amdhsa_group_segment_fixed_size 240
		.amdhsa_private_segment_fixed_size 0
		.amdhsa_kernarg_size 384
		.amdhsa_user_sgpr_count 6
		.amdhsa_user_sgpr_private_segment_buffer 1
		.amdhsa_user_sgpr_dispatch_ptr 0
		.amdhsa_user_sgpr_queue_ptr 0
		.amdhsa_user_sgpr_kernarg_segment_ptr 1
		.amdhsa_user_sgpr_dispatch_id 0
		.amdhsa_user_sgpr_flat_scratch_init 0
		.amdhsa_user_sgpr_private_segment_size 0
		.amdhsa_uses_dynamic_stack 0
		.amdhsa_system_sgpr_private_segment_wavefront_offset 0
		.amdhsa_system_sgpr_workgroup_id_x 1
		.amdhsa_system_sgpr_workgroup_id_y 1
		.amdhsa_system_sgpr_workgroup_id_z 1
		.amdhsa_system_sgpr_workgroup_info 0
		.amdhsa_system_vgpr_workitem_id 0
		.amdhsa_next_free_vgpr 56
		.amdhsa_next_free_sgpr 55
		.amdhsa_reserve_vcc 1
		.amdhsa_reserve_flat_scratch 0
		.amdhsa_float_round_mode_32 0
		.amdhsa_float_round_mode_16_64 0
		.amdhsa_float_denorm_mode_32 3
		.amdhsa_float_denorm_mode_16_64 3
		.amdhsa_dx10_clamp 1
		.amdhsa_ieee_mode 1
		.amdhsa_fp16_overflow 0
		.amdhsa_exception_fp_ieee_invalid_op 0
		.amdhsa_exception_fp_denorm_src 0
		.amdhsa_exception_fp_ieee_div_zero 0
		.amdhsa_exception_fp_ieee_overflow 0
		.amdhsa_exception_fp_ieee_underflow 0
		.amdhsa_exception_fp_ieee_inexact 0
		.amdhsa_exception_int_div_zero 0
	.end_amdhsa_kernel
	.section	.text._ZN4vllm25paged_attention_v1_kernelIthLi112ELi16ELi128ELNS_18Fp8KVCacheDataTypeE1ELb1EEEvPT_PKS2_PKT0_S8_ifPKiSA_iPKfiiiSC_SC_iiiii,"axG",@progbits,_ZN4vllm25paged_attention_v1_kernelIthLi112ELi16ELi128ELNS_18Fp8KVCacheDataTypeE1ELb1EEEvPT_PKS2_PKT0_S8_ifPKiSA_iPKfiiiSC_SC_iiiii,comdat
.Lfunc_end240:
	.size	_ZN4vllm25paged_attention_v1_kernelIthLi112ELi16ELi128ELNS_18Fp8KVCacheDataTypeE1ELb1EEEvPT_PKS2_PKT0_S8_ifPKiSA_iPKfiiiSC_SC_iiiii, .Lfunc_end240-_ZN4vllm25paged_attention_v1_kernelIthLi112ELi16ELi128ELNS_18Fp8KVCacheDataTypeE1ELb1EEEvPT_PKS2_PKT0_S8_ifPKiSA_iPKfiiiSC_SC_iiiii
                                        ; -- End function
	.set _ZN4vllm25paged_attention_v1_kernelIthLi112ELi16ELi128ELNS_18Fp8KVCacheDataTypeE1ELb1EEEvPT_PKS2_PKT0_S8_ifPKiSA_iPKfiiiSC_SC_iiiii.num_vgpr, 56
	.set _ZN4vllm25paged_attention_v1_kernelIthLi112ELi16ELi128ELNS_18Fp8KVCacheDataTypeE1ELb1EEEvPT_PKS2_PKT0_S8_ifPKiSA_iPKfiiiSC_SC_iiiii.num_agpr, 0
	.set _ZN4vllm25paged_attention_v1_kernelIthLi112ELi16ELi128ELNS_18Fp8KVCacheDataTypeE1ELb1EEEvPT_PKS2_PKT0_S8_ifPKiSA_iPKfiiiSC_SC_iiiii.numbered_sgpr, 55
	.set _ZN4vllm25paged_attention_v1_kernelIthLi112ELi16ELi128ELNS_18Fp8KVCacheDataTypeE1ELb1EEEvPT_PKS2_PKT0_S8_ifPKiSA_iPKfiiiSC_SC_iiiii.num_named_barrier, 0
	.set _ZN4vllm25paged_attention_v1_kernelIthLi112ELi16ELi128ELNS_18Fp8KVCacheDataTypeE1ELb1EEEvPT_PKS2_PKT0_S8_ifPKiSA_iPKfiiiSC_SC_iiiii.private_seg_size, 0
	.set _ZN4vllm25paged_attention_v1_kernelIthLi112ELi16ELi128ELNS_18Fp8KVCacheDataTypeE1ELb1EEEvPT_PKS2_PKT0_S8_ifPKiSA_iPKfiiiSC_SC_iiiii.uses_vcc, 1
	.set _ZN4vllm25paged_attention_v1_kernelIthLi112ELi16ELi128ELNS_18Fp8KVCacheDataTypeE1ELb1EEEvPT_PKS2_PKT0_S8_ifPKiSA_iPKfiiiSC_SC_iiiii.uses_flat_scratch, 0
	.set _ZN4vllm25paged_attention_v1_kernelIthLi112ELi16ELi128ELNS_18Fp8KVCacheDataTypeE1ELb1EEEvPT_PKS2_PKT0_S8_ifPKiSA_iPKfiiiSC_SC_iiiii.has_dyn_sized_stack, 0
	.set _ZN4vllm25paged_attention_v1_kernelIthLi112ELi16ELi128ELNS_18Fp8KVCacheDataTypeE1ELb1EEEvPT_PKS2_PKT0_S8_ifPKiSA_iPKfiiiSC_SC_iiiii.has_recursion, 0
	.set _ZN4vllm25paged_attention_v1_kernelIthLi112ELi16ELi128ELNS_18Fp8KVCacheDataTypeE1ELb1EEEvPT_PKS2_PKT0_S8_ifPKiSA_iPKfiiiSC_SC_iiiii.has_indirect_call, 0
	.section	.AMDGPU.csdata,"",@progbits
; Kernel info:
; codeLenInByte = 18308
; TotalNumSgprs: 59
; NumVgprs: 56
; ScratchSize: 0
; MemoryBound: 0
; FloatMode: 240
; IeeeMode: 1
; LDSByteSize: 240 bytes/workgroup (compile time only)
; SGPRBlocks: 7
; VGPRBlocks: 13
; NumSGPRsForWavesPerEU: 59
; NumVGPRsForWavesPerEU: 56
; Occupancy: 4
; WaveLimiterHint : 1
; COMPUTE_PGM_RSRC2:SCRATCH_EN: 0
; COMPUTE_PGM_RSRC2:USER_SGPR: 6
; COMPUTE_PGM_RSRC2:TRAP_HANDLER: 0
; COMPUTE_PGM_RSRC2:TGID_X_EN: 1
; COMPUTE_PGM_RSRC2:TGID_Y_EN: 1
; COMPUTE_PGM_RSRC2:TGID_Z_EN: 1
; COMPUTE_PGM_RSRC2:TIDIG_COMP_CNT: 0
	.section	.text._ZN4vllm25paged_attention_v1_kernelIthLi120ELi16ELi128ELNS_18Fp8KVCacheDataTypeE1ELb1EEEvPT_PKS2_PKT0_S8_ifPKiSA_iPKfiiiSC_SC_iiiii,"axG",@progbits,_ZN4vllm25paged_attention_v1_kernelIthLi120ELi16ELi128ELNS_18Fp8KVCacheDataTypeE1ELb1EEEvPT_PKS2_PKT0_S8_ifPKiSA_iPKfiiiSC_SC_iiiii,comdat
	.protected	_ZN4vllm25paged_attention_v1_kernelIthLi120ELi16ELi128ELNS_18Fp8KVCacheDataTypeE1ELb1EEEvPT_PKS2_PKT0_S8_ifPKiSA_iPKfiiiSC_SC_iiiii ; -- Begin function _ZN4vllm25paged_attention_v1_kernelIthLi120ELi16ELi128ELNS_18Fp8KVCacheDataTypeE1ELb1EEEvPT_PKS2_PKT0_S8_ifPKiSA_iPKfiiiSC_SC_iiiii
	.globl	_ZN4vllm25paged_attention_v1_kernelIthLi120ELi16ELi128ELNS_18Fp8KVCacheDataTypeE1ELb1EEEvPT_PKS2_PKT0_S8_ifPKiSA_iPKfiiiSC_SC_iiiii
	.p2align	8
	.type	_ZN4vllm25paged_attention_v1_kernelIthLi120ELi16ELi128ELNS_18Fp8KVCacheDataTypeE1ELb1EEEvPT_PKS2_PKT0_S8_ifPKiSA_iPKfiiiSC_SC_iiiii,@function
_ZN4vllm25paged_attention_v1_kernelIthLi120ELi16ELi128ELNS_18Fp8KVCacheDataTypeE1ELb1EEEvPT_PKS2_PKT0_S8_ifPKiSA_iPKfiiiSC_SC_iiiii: ; @_ZN4vllm25paged_attention_v1_kernelIthLi120ELi16ELi128ELNS_18Fp8KVCacheDataTypeE1ELb1EEEvPT_PKS2_PKT0_S8_ifPKiSA_iPKfiiiSC_SC_iiiii
; %bb.0:
	s_load_dword s9, s[4:5], 0x80
	s_load_dwordx2 s[0:1], s[4:5], 0x30
	s_load_dwordx2 s[36:37], s[4:5], 0x20
	s_mov_b32 s10, s7
	s_ashr_i32 s11, s7, 31
	s_lshl_b64 s[2:3], s[10:11], 2
	s_waitcnt lgkmcnt(0)
	s_add_u32 s0, s0, s2
	s_addc_u32 s1, s1, s3
	s_abs_i32 s2, s36
	v_cvt_f32_u32_e32 v1, s2
	s_sub_i32 s11, 0, s2
	s_abs_i32 s7, s9
	s_xor_b32 s3, s9, s36
	v_rcp_iflag_f32_e32 v1, v1
	s_ashr_i32 s3, s3, 31
	s_mov_b32 s49, 0
	v_mul_f32_e32 v1, 0x4f7ffffe, v1
	v_cvt_u32_f32_e32 v1, v1
	v_readfirstlane_b32 s12, v1
	s_mul_i32 s11, s11, s12
	s_mul_hi_u32 s11, s12, s11
	s_add_i32 s12, s12, s11
	s_mul_hi_u32 s11, s7, s12
	s_mul_i32 s12, s11, s2
	s_sub_i32 s7, s7, s12
	s_add_i32 s12, s11, 1
	s_sub_i32 s13, s7, s2
	s_cmp_ge_u32 s7, s2
	s_cselect_b32 s11, s12, s11
	s_cselect_b32 s7, s13, s7
	s_add_i32 s12, s11, 1
	s_cmp_ge_u32 s7, s2
	s_cselect_b32 s2, s12, s11
	s_xor_b32 s2, s2, s3
	s_sub_i32 s14, s2, s3
	s_abs_i32 s11, s14
	v_cvt_f32_u32_e32 v1, s11
	s_load_dwordx2 s[2:3], s[4:5], 0x40
	s_sub_i32 s7, 0, s11
	s_abs_i32 s12, s6
	v_rcp_iflag_f32_e32 v1, v1
	v_mul_f32_e32 v1, 0x4f7ffffe, v1
	v_cvt_u32_f32_e32 v1, v1
	v_readfirstlane_b32 s13, v1
	s_mul_i32 s7, s7, s13
	s_mul_hi_u32 s7, s13, s7
	s_add_i32 s13, s13, s7
	s_waitcnt lgkmcnt(0)
	s_cmp_eq_u64 s[2:3], 0
	s_mul_hi_u32 s13, s12, s13
	s_cbranch_scc1 .LBB241_2
; %bb.1:
	s_ashr_i32 s7, s6, 31
	s_lshl_b64 s[16:17], s[6:7], 2
	s_add_u32 s2, s2, s16
	s_addc_u32 s3, s3, s17
	s_load_dword s49, s[2:3], 0x0
.LBB241_2:
	s_load_dword s33, s[0:1], 0x0
	s_load_dwordx4 s[16:19], s[4:5], 0x48
	s_ashr_i32 s2, s6, 31
	s_ashr_i32 s7, s14, 31
	v_and_b32_e32 v1, 3, v0
	s_mul_i32 s24, s6, 0x78
	v_cmp_gt_u32_e32 vcc, 60, v0
	s_and_saveexec_b64 s[0:1], vcc
	s_cbranch_execz .LBB241_4
; %bb.3:
	s_load_dwordx2 s[14:15], s[4:5], 0x8
	s_waitcnt lgkmcnt(0)
	s_mul_i32 s20, s16, s10
	s_ashr_i32 s21, s20, 31
	s_lshl_b64 s[20:21], s[20:21], 1
	v_lshlrev_b32_e32 v2, 2, v0
	s_add_u32 s3, s14, s20
	s_addc_u32 s16, s15, s21
	s_ashr_i32 s25, s24, 31
	s_lshl_b64 s[14:15], s[24:25], 1
	s_add_u32 s14, s3, s14
	s_addc_u32 s15, s16, s15
	global_load_dword v2, v2, s[14:15]
	v_and_b32_e32 v3, 0x3fc, v0
	v_mad_u32_u24 v3, v1, 60, v3
	s_waitcnt vmcnt(0)
	ds_write_b32 v3, v2
.LBB241_4:
	s_or_b64 exec, exec, s[0:1]
	s_mul_i32 s1, s13, s11
	s_sub_i32 s1, s12, s1
	s_xor_b32 s0, s2, s7
	s_add_i32 s2, s13, 1
	s_sub_i32 s7, s1, s11
	s_load_dwordx4 s[20:23], s[4:5], 0x68
	s_load_dword s3, s[4:5], 0x78
	s_cmp_ge_u32 s1, s11
	s_cselect_b32 s2, s2, s13
	s_cselect_b32 s1, s7, s1
	s_add_i32 s7, s2, 1
	s_cmp_ge_u32 s1, s11
	s_cselect_b32 s1, s7, s2
	s_waitcnt lgkmcnt(0)
	s_abs_i32 s25, s23
	v_cvt_f32_u32_e32 v2, s25
	s_xor_b32 s1, s1, s0
	s_sub_i32 s2, s1, s0
	s_sub_i32 s0, 0, s25
	v_rcp_iflag_f32_e32 v2, v2
	s_add_i32 s11, s33, -1
	s_abs_i32 s7, s11
	v_mul_f32_e32 v2, 0x4f7ffffe, v2
	v_cvt_u32_f32_e32 v2, v2
	s_barrier
	v_readfirstlane_b32 s46, v2
	s_mul_i32 s0, s0, s46
	s_mul_hi_u32 s0, s46, s0
	s_add_i32 s46, s46, s0
	s_cmp_lt_i32 s3, 0
	s_mul_hi_u32 s16, s7, s46
	s_cbranch_scc0 .LBB241_6
; %bb.5:
	s_mul_i32 s0, s20, s36
	s_add_i32 s0, s2, s0
	s_mul_i32 s0, s0, s3
	s_sub_i32 s36, 1, s0
	s_mov_b64 s[0:1], 0
	s_branch .LBB241_7
.LBB241_6:
	s_mov_b64 s[0:1], -1
                                        ; implicit-def: $sgpr36
.LBB241_7:
	s_load_dwordx2 s[28:29], s[4:5], 0x28
	s_ashr_i32 s19, s11, 31
	s_andn2_b64 vcc, exec, s[0:1]
	s_ashr_i32 s47, s23, 31
	s_cbranch_vccnz .LBB241_9
; %bb.8:
	s_mul_i32 s0, s9, s20
	s_add_i32 s0, s0, s6
	s_mul_i32 s0, s0, s3
	s_add_i32 s36, s0, 1
.LBB241_9:
	s_load_dword s0, s[4:5], 0x38
	s_load_dwordx2 s[26:27], s[4:5], 0x0
	s_load_dwordx2 s[34:35], s[4:5], 0x18
	s_load_dword s11, s[4:5], 0x88
	s_load_dwordx4 s[12:15], s[4:5], 0x58
	s_mul_i32 s1, s16, s25
	s_waitcnt lgkmcnt(0)
	s_mul_i32 s30, s0, s10
	s_sub_i32 s1, s7, s1
	s_ashr_i32 s31, s30, 31
	s_xor_b32 s0, s19, s47
	s_add_i32 s3, s16, 1
	s_sub_i32 s6, s1, s25
	s_cmp_ge_u32 s1, s25
	s_cselect_b32 s3, s3, s16
	s_cselect_b32 s1, s6, s1
	s_add_i32 s6, s3, 1
	s_cmp_ge_u32 s1, s25
	s_cselect_b32 s1, s6, s3
	s_xor_b32 s1, s1, s0
	s_sub_i32 s16, s1, s0
	s_add_i32 s0, s33, 15
	s_ashr_i32 s1, s0, 31
	s_lshr_b32 s1, s1, 28
	s_add_i32 s0, s0, s1
	s_ashr_i32 s48, s0, 4
	v_lshrrev_b32_e32 v11, 6, v0
	v_cmp_le_i32_e64 s[0:1], s48, v11
	v_cmp_gt_i32_e32 vcc, s48, v11
	v_mov_b32_e32 v16, 0xff7fffff
	s_mul_i32 s20, s2, s18
	v_lshrrev_b32_e32 v9, 4, v0
	v_lshlrev_b32_e32 v12, 4, v11
	v_mbcnt_lo_u32_b32 v10, -1, 0
	s_and_saveexec_b64 s[18:19], vcc
	s_cbranch_execz .LBB241_201
; %bb.10:
	s_load_dwordx2 s[2:3], s[4:5], 0x10
	s_sub_i32 s23, s16, s21
	s_ashr_i32 s4, s20, 31
	v_cmp_eq_u32_e32 vcc, 0, v1
	v_lshlrev_b32_e32 v4, 1, v1
	s_waitcnt lgkmcnt(0)
	s_add_u32 s5, s2, s20
	s_addc_u32 s4, s3, s4
	s_abs_i32 s50, s22
	v_cvt_f32_u32_e32 v2, s50
	s_sub_i32 s2, 0, s50
	v_mul_u32_u24_e32 v14, 60, v1
	v_bfe_u32 v13, v0, 2, 4
	v_rcp_iflag_f32_e32 v3, v2
	v_lshlrev_b32_e32 v5, 4, v13
	v_mov_b32_e32 v6, s4
	v_add_co_u32_e64 v5, s[4:5], s5, v5
	v_mul_f32_e32 v3, 0x4f7ffffe, v3
	v_cvt_u32_f32_e32 v3, v3
	v_addc_co_u32_e64 v6, s[4:5], 0, v6, s[4:5]
	s_mov_b32 s51, s17
	v_mul_lo_u32 v1, s2, v3
	v_mov_b32_e32 v2, 0
	v_cmp_neq_f32_e64 s[2:3], s49, 0
	v_lshlrev_b32_e32 v17, 4, v11
	v_mul_hi_u32 v1, v3, v1
	v_mov_b32_e32 v20, 0xff7fffff
	s_mov_b64 s[38:39], 0
	s_movk_i32 s52, 0x80
	v_add_u32_e32 v15, v3, v1
	v_add_co_u32_e64 v3, s[4:5], v5, v4
	v_addc_co_u32_e64 v4, s[4:5], 0, v6, s[4:5]
	s_lshl_b64 s[4:5], s[30:31], 2
	s_add_u32 s4, s28, s4
	v_and_b32_e32 v1, 60, v9
	s_addc_u32 s5, s29, s5
	v_mov_b32_e32 v6, s5
	v_add_co_u32_e64 v5, s[4:5], s4, v1
	v_subrev_u32_e32 v1, s33, v13
	v_add_u32_e32 v18, 1, v1
	v_lshlrev_b32_e32 v1, 2, v13
	v_lshl_or_b32 v1, v11, 6, v1
	v_addc_co_u32_e64 v6, s[4:5], 0, v6, s[4:5]
	v_add_u32_e32 v19, 0x100, v1
	s_movk_i32 s53, 0x7f
	s_mov_b32 s54, 0x8000
	v_mov_b32_e32 v21, 0x2000
	v_mbcnt_hi_u32_b32 v22, -1, v10
	v_mov_b32_e32 v16, 0xff7fffff
	v_mov_b32_e32 v23, v11
	s_branch .LBB241_13
.LBB241_11:                             ;   in Loop: Header=BB241_13 Depth=1
	s_or_b64 exec, exec, s[40:41]
.LBB241_12:                             ;   in Loop: Header=BB241_13 Depth=1
	s_or_b64 exec, exec, s[6:7]
	v_add_co_u32_e64 v5, s[4:5], 8, v5
	v_add_u32_e32 v23, 2, v23
	v_addc_co_u32_e64 v6, s[4:5], 0, v6, s[4:5]
	v_cmp_le_i32_e64 s[4:5], s48, v23
	v_add_u32_e32 v17, 32, v17
	s_or_b64 s[38:39], s[4:5], s[38:39]
	v_add_u32_e32 v19, 0x80, v19
	s_andn2_b64 exec, exec, s[38:39]
	s_cbranch_execz .LBB241_200
.LBB241_13:                             ; =>This Inner Loop Header: Depth=1
	v_mul_hi_u32 v1, v17, s46
	s_waitcnt lgkmcnt(0)
	v_mul_lo_u32 v7, v1, s25
	v_add_u32_e32 v8, 1, v1
	v_sub_u32_e32 v7, v17, v7
	v_cmp_le_u32_e64 s[4:5], s25, v7
	v_cndmask_b32_e64 v1, v1, v8, s[4:5]
	v_subrev_u32_e32 v8, s25, v7
	v_cndmask_b32_e64 v7, v7, v8, s[4:5]
	v_add_u32_e32 v8, 1, v1
	v_cmp_le_u32_e64 s[4:5], s25, v7
	v_cndmask_b32_e64 v1, v1, v8, s[4:5]
	v_xor_b32_e32 v1, s47, v1
	v_subrev_u32_e32 v1, s47, v1
	v_add_u32_e32 v7, s36, v1
	v_sub_u32_e32 v8, 0, v7
	v_max_i32_e32 v8, v7, v8
	v_mul_hi_u32 v24, v8, v15
	v_ashrrev_i32_e32 v7, 31, v7
	v_cmp_ge_i32_e64 s[6:7], s23, v1
	v_mul_lo_u32 v24, v24, s50
	v_sub_u32_e32 v8, v8, v24
	v_subrev_u32_e32 v24, s50, v8
	v_cmp_le_u32_e64 s[4:5], s50, v8
	v_cndmask_b32_e64 v8, v8, v24, s[4:5]
	v_subrev_u32_e32 v24, s50, v8
	v_cmp_le_u32_e64 s[4:5], s50, v8
	v_cndmask_b32_e64 v8, v8, v24, s[4:5]
	v_xor_b32_e32 v8, v8, v7
	v_sub_u32_e32 v7, v8, v7
	v_cmp_ne_u32_e64 s[4:5], 0, v7
	s_and_b64 s[4:5], s[4:5], s[6:7]
	s_and_saveexec_b64 s[6:7], s[4:5]
	s_xor_b64 s[4:5], exec, s[6:7]
	s_cbranch_execz .LBB241_17
; %bb.14:                               ;   in Loop: Header=BB241_13 Depth=1
	s_and_saveexec_b64 s[6:7], vcc
; %bb.15:                               ;   in Loop: Header=BB241_13 Depth=1
	ds_write_b32 v19, v20
; %bb.16:                               ;   in Loop: Header=BB241_13 Depth=1
	s_or_b64 exec, exec, s[6:7]
.LBB241_17:                             ;   in Loop: Header=BB241_13 Depth=1
	s_andn2_saveexec_b64 s[6:7], s[4:5]
	s_cbranch_execz .LBB241_12
; %bb.18:                               ;   in Loop: Header=BB241_13 Depth=1
	global_load_dword v1, v[5:6], off
	v_mov_b32_e32 v25, 0
	global_load_dword v24, v25, s[12:13]
	s_waitcnt vmcnt(1)
	v_mad_i64_i32 v[7:8], s[4:5], v1, s51, v[3:4]
	global_load_ushort v26, v[7:8], off
	s_waitcnt vmcnt(0)
	v_and_b32_e32 v1, 0xffff, v26
	v_cmp_ne_u16_sdwa s[4:5], v26, v2 src0_sel:BYTE_0 src1_sel:DWORD
	v_mov_b32_e32 v26, 0
	s_and_saveexec_b64 s[40:41], s[4:5]
	s_cbranch_execz .LBB241_24
; %bb.19:                               ;   in Loop: Header=BB241_13 Depth=1
	v_cmp_ne_u16_sdwa s[4:5], v1, s52 src0_sel:BYTE_0 src1_sel:DWORD
	v_mov_b32_e32 v26, 0x8000
	s_and_saveexec_b64 s[42:43], s[4:5]
	s_cbranch_execz .LBB241_23
; %bb.20:                               ;   in Loop: Header=BB241_13 Depth=1
	v_and_b32_e32 v27, 0x7f, v1
	v_cmp_ne_u32_e64 s[4:5], s53, v27
	v_mov_b32_e32 v26, 0x7c01
	s_and_saveexec_b64 s[44:45], s[4:5]
	s_cbranch_execz .LBB241_22
; %bb.21:                               ;   in Loop: Header=BB241_13 Depth=1
	v_and_b32_e32 v26, 7, v1
	v_ffbh_u32_e32 v28, v26
	v_min_u32_e32 v31, 32, v28
	v_subrev_u32_e32 v28, 28, v31
	v_lshlrev_b64 v[28:29], v28, v[1:2]
	v_lshrrev_b32_e32 v30, 3, v27
	v_sub_u32_e32 v29, 29, v31
	v_cmp_gt_u32_e64 s[4:5], 8, v27
	v_cndmask_b32_e64 v27, v30, v29, s[4:5]
	v_lshl_add_u32 v27, v27, 10, v21
	v_lshlrev_b32_e32 v29, 8, v1
	v_and_b32_e32 v28, 7, v28
	v_and_b32_e32 v27, 0xfc00, v27
	v_cndmask_b32_e64 v26, v26, v28, s[4:5]
	v_and_or_b32 v27, v29, s54, v27
	v_lshl_or_b32 v26, v26, 7, v27
.LBB241_22:                             ;   in Loop: Header=BB241_13 Depth=1
	s_or_b64 exec, exec, s[44:45]
.LBB241_23:                             ;   in Loop: Header=BB241_13 Depth=1
	s_or_b64 exec, exec, s[42:43]
.LBB241_24:                             ;   in Loop: Header=BB241_13 Depth=1
	s_or_b64 exec, exec, s[40:41]
	v_lshrrev_b16_e32 v1, 8, v1
	v_cmp_ne_u16_e64 s[4:5], 0, v1
	s_and_saveexec_b64 s[40:41], s[4:5]
	s_cbranch_execz .LBB241_30
; %bb.25:                               ;   in Loop: Header=BB241_13 Depth=1
	v_cmp_ne_u16_e64 s[4:5], s52, v1
	v_bfrev_b32_e32 v25, 1
	s_and_saveexec_b64 s[42:43], s[4:5]
	s_cbranch_execz .LBB241_29
; %bb.26:                               ;   in Loop: Header=BB241_13 Depth=1
	v_and_b32_e32 v27, 0x7f, v1
	v_cmp_ne_u32_e64 s[4:5], s53, v27
	v_mov_b32_e32 v25, 0x7c010000
	s_and_saveexec_b64 s[44:45], s[4:5]
	s_cbranch_execz .LBB241_28
; %bb.27:                               ;   in Loop: Header=BB241_13 Depth=1
	v_and_b32_e32 v25, 7, v1
	v_ffbh_u32_e32 v28, v25
	v_min_u32_e32 v31, 32, v28
	v_subrev_u32_e32 v28, 28, v31
	v_lshlrev_b64 v[28:29], v28, v[1:2]
	v_lshrrev_b32_e32 v30, 3, v27
	v_sub_u32_e32 v29, 29, v31
	v_cmp_gt_u32_e64 s[4:5], 8, v27
	v_cndmask_b32_e64 v27, v30, v29, s[4:5]
	v_lshlrev_b32_e32 v1, 8, v1
	v_lshl_add_u32 v27, v27, 10, v21
	v_and_b32_e32 v28, 7, v28
	v_and_or_b32 v1, v1, s54, v27
	v_cndmask_b32_e64 v25, v25, v28, s[4:5]
	v_lshlrev_b32_e32 v1, 16, v1
	v_lshl_or_b32 v25, v25, 23, v1
.LBB241_28:                             ;   in Loop: Header=BB241_13 Depth=1
	s_or_b64 exec, exec, s[44:45]
.LBB241_29:                             ;   in Loop: Header=BB241_13 Depth=1
	s_or_b64 exec, exec, s[42:43]
.LBB241_30:                             ;   in Loop: Header=BB241_13 Depth=1
	s_or_b64 exec, exec, s[40:41]
	global_load_ushort v28, v[7:8], off offset:8
	v_mov_b32_e32 v27, 0
	s_waitcnt vmcnt(0)
	v_and_b32_e32 v1, 0xffff, v28
	v_cmp_ne_u16_sdwa s[4:5], v28, v2 src0_sel:BYTE_0 src1_sel:DWORD
	v_mov_b32_e32 v28, 0
	s_and_saveexec_b64 s[40:41], s[4:5]
	s_cbranch_execz .LBB241_36
; %bb.31:                               ;   in Loop: Header=BB241_13 Depth=1
	v_cmp_ne_u16_sdwa s[4:5], v1, s52 src0_sel:BYTE_0 src1_sel:DWORD
	v_mov_b32_e32 v28, 0x8000
	s_and_saveexec_b64 s[42:43], s[4:5]
	s_cbranch_execz .LBB241_35
; %bb.32:                               ;   in Loop: Header=BB241_13 Depth=1
	v_and_b32_e32 v29, 0x7f, v1
	v_cmp_ne_u32_e64 s[4:5], s53, v29
	v_mov_b32_e32 v28, 0x7c01
	s_and_saveexec_b64 s[44:45], s[4:5]
	s_cbranch_execz .LBB241_34
; %bb.33:                               ;   in Loop: Header=BB241_13 Depth=1
	v_and_b32_e32 v28, 7, v1
	v_ffbh_u32_e32 v30, v28
	v_min_u32_e32 v33, 32, v30
	v_subrev_u32_e32 v30, 28, v33
	v_lshlrev_b64 v[30:31], v30, v[1:2]
	v_lshrrev_b32_e32 v32, 3, v29
	v_sub_u32_e32 v31, 29, v33
	v_cmp_gt_u32_e64 s[4:5], 8, v29
	v_cndmask_b32_e64 v29, v32, v31, s[4:5]
	v_lshl_add_u32 v29, v29, 10, v21
	v_lshlrev_b32_e32 v31, 8, v1
	v_and_b32_e32 v30, 7, v30
	v_and_b32_e32 v29, 0xfc00, v29
	v_cndmask_b32_e64 v28, v28, v30, s[4:5]
	v_and_or_b32 v29, v31, s54, v29
	v_lshl_or_b32 v28, v28, 7, v29
.LBB241_34:                             ;   in Loop: Header=BB241_13 Depth=1
	s_or_b64 exec, exec, s[44:45]
.LBB241_35:                             ;   in Loop: Header=BB241_13 Depth=1
	s_or_b64 exec, exec, s[42:43]
.LBB241_36:                             ;   in Loop: Header=BB241_13 Depth=1
	s_or_b64 exec, exec, s[40:41]
	v_lshrrev_b16_e32 v1, 8, v1
	v_cmp_ne_u16_e64 s[4:5], 0, v1
	s_and_saveexec_b64 s[40:41], s[4:5]
	s_cbranch_execz .LBB241_42
; %bb.37:                               ;   in Loop: Header=BB241_13 Depth=1
	v_cmp_ne_u16_e64 s[4:5], s52, v1
	v_bfrev_b32_e32 v27, 1
	s_and_saveexec_b64 s[42:43], s[4:5]
	s_cbranch_execz .LBB241_41
; %bb.38:                               ;   in Loop: Header=BB241_13 Depth=1
	v_and_b32_e32 v29, 0x7f, v1
	v_cmp_ne_u32_e64 s[4:5], s53, v29
	v_mov_b32_e32 v27, 0x7c010000
	s_and_saveexec_b64 s[44:45], s[4:5]
	s_cbranch_execz .LBB241_40
; %bb.39:                               ;   in Loop: Header=BB241_13 Depth=1
	v_and_b32_e32 v27, 7, v1
	v_ffbh_u32_e32 v30, v27
	v_min_u32_e32 v33, 32, v30
	v_subrev_u32_e32 v30, 28, v33
	v_lshlrev_b64 v[30:31], v30, v[1:2]
	v_lshrrev_b32_e32 v32, 3, v29
	v_sub_u32_e32 v31, 29, v33
	v_cmp_gt_u32_e64 s[4:5], 8, v29
	v_cndmask_b32_e64 v29, v32, v31, s[4:5]
	v_lshlrev_b32_e32 v1, 8, v1
	v_lshl_add_u32 v29, v29, 10, v21
	v_and_b32_e32 v30, 7, v30
	v_and_or_b32 v1, v1, s54, v29
	v_cndmask_b32_e64 v27, v27, v30, s[4:5]
	v_lshlrev_b32_e32 v1, 16, v1
	v_lshl_or_b32 v27, v27, 23, v1
.LBB241_40:                             ;   in Loop: Header=BB241_13 Depth=1
	s_or_b64 exec, exec, s[44:45]
.LBB241_41:                             ;   in Loop: Header=BB241_13 Depth=1
	s_or_b64 exec, exec, s[42:43]
.LBB241_42:                             ;   in Loop: Header=BB241_13 Depth=1
	s_or_b64 exec, exec, s[40:41]
	global_load_ushort v30, v[7:8], off offset:256
	v_mov_b32_e32 v29, 0
	s_waitcnt vmcnt(0)
	v_and_b32_e32 v1, 0xffff, v30
	v_cmp_ne_u16_sdwa s[4:5], v30, v2 src0_sel:BYTE_0 src1_sel:DWORD
	v_mov_b32_e32 v30, 0
	s_and_saveexec_b64 s[40:41], s[4:5]
	s_cbranch_execz .LBB241_48
; %bb.43:                               ;   in Loop: Header=BB241_13 Depth=1
	v_cmp_ne_u16_sdwa s[4:5], v1, s52 src0_sel:BYTE_0 src1_sel:DWORD
	v_mov_b32_e32 v30, 0x8000
	s_and_saveexec_b64 s[42:43], s[4:5]
	s_cbranch_execz .LBB241_47
; %bb.44:                               ;   in Loop: Header=BB241_13 Depth=1
	v_and_b32_e32 v31, 0x7f, v1
	v_cmp_ne_u32_e64 s[4:5], s53, v31
	v_mov_b32_e32 v30, 0x7c01
	s_and_saveexec_b64 s[44:45], s[4:5]
	s_cbranch_execz .LBB241_46
; %bb.45:                               ;   in Loop: Header=BB241_13 Depth=1
	v_and_b32_e32 v30, 7, v1
	v_ffbh_u32_e32 v32, v30
	v_min_u32_e32 v35, 32, v32
	v_subrev_u32_e32 v32, 28, v35
	v_lshlrev_b64 v[32:33], v32, v[1:2]
	v_lshrrev_b32_e32 v34, 3, v31
	v_sub_u32_e32 v33, 29, v35
	v_cmp_gt_u32_e64 s[4:5], 8, v31
	v_cndmask_b32_e64 v31, v34, v33, s[4:5]
	v_lshl_add_u32 v31, v31, 10, v21
	v_lshlrev_b32_e32 v33, 8, v1
	v_and_b32_e32 v32, 7, v32
	v_and_b32_e32 v31, 0xfc00, v31
	v_cndmask_b32_e64 v30, v30, v32, s[4:5]
	v_and_or_b32 v31, v33, s54, v31
	v_lshl_or_b32 v30, v30, 7, v31
.LBB241_46:                             ;   in Loop: Header=BB241_13 Depth=1
	s_or_b64 exec, exec, s[44:45]
.LBB241_47:                             ;   in Loop: Header=BB241_13 Depth=1
	s_or_b64 exec, exec, s[42:43]
.LBB241_48:                             ;   in Loop: Header=BB241_13 Depth=1
	s_or_b64 exec, exec, s[40:41]
	v_lshrrev_b16_e32 v1, 8, v1
	v_cmp_ne_u16_e64 s[4:5], 0, v1
	s_and_saveexec_b64 s[40:41], s[4:5]
	s_cbranch_execz .LBB241_54
; %bb.49:                               ;   in Loop: Header=BB241_13 Depth=1
	v_cmp_ne_u16_e64 s[4:5], s52, v1
	v_bfrev_b32_e32 v29, 1
	s_and_saveexec_b64 s[42:43], s[4:5]
	s_cbranch_execz .LBB241_53
; %bb.50:                               ;   in Loop: Header=BB241_13 Depth=1
	v_and_b32_e32 v31, 0x7f, v1
	v_cmp_ne_u32_e64 s[4:5], s53, v31
	v_mov_b32_e32 v29, 0x7c010000
	s_and_saveexec_b64 s[44:45], s[4:5]
	s_cbranch_execz .LBB241_52
; %bb.51:                               ;   in Loop: Header=BB241_13 Depth=1
	v_and_b32_e32 v29, 7, v1
	v_ffbh_u32_e32 v32, v29
	v_min_u32_e32 v35, 32, v32
	v_subrev_u32_e32 v32, 28, v35
	v_lshlrev_b64 v[32:33], v32, v[1:2]
	v_lshrrev_b32_e32 v34, 3, v31
	v_sub_u32_e32 v33, 29, v35
	v_cmp_gt_u32_e64 s[4:5], 8, v31
	v_cndmask_b32_e64 v31, v34, v33, s[4:5]
	v_lshlrev_b32_e32 v1, 8, v1
	v_lshl_add_u32 v31, v31, 10, v21
	v_and_b32_e32 v32, 7, v32
	v_and_or_b32 v1, v1, s54, v31
	v_cndmask_b32_e64 v29, v29, v32, s[4:5]
	v_lshlrev_b32_e32 v1, 16, v1
	v_lshl_or_b32 v29, v29, 23, v1
.LBB241_52:                             ;   in Loop: Header=BB241_13 Depth=1
	s_or_b64 exec, exec, s[44:45]
.LBB241_53:                             ;   in Loop: Header=BB241_13 Depth=1
	s_or_b64 exec, exec, s[42:43]
.LBB241_54:                             ;   in Loop: Header=BB241_13 Depth=1
	s_or_b64 exec, exec, s[40:41]
	global_load_ushort v32, v[7:8], off offset:264
	v_mov_b32_e32 v31, 0
	s_waitcnt vmcnt(0)
	v_and_b32_e32 v1, 0xffff, v32
	v_cmp_ne_u16_sdwa s[4:5], v32, v2 src0_sel:BYTE_0 src1_sel:DWORD
	v_mov_b32_e32 v32, 0
	s_and_saveexec_b64 s[40:41], s[4:5]
	s_cbranch_execz .LBB241_60
; %bb.55:                               ;   in Loop: Header=BB241_13 Depth=1
	v_cmp_ne_u16_sdwa s[4:5], v1, s52 src0_sel:BYTE_0 src1_sel:DWORD
	v_mov_b32_e32 v32, 0x8000
	s_and_saveexec_b64 s[42:43], s[4:5]
	s_cbranch_execz .LBB241_59
; %bb.56:                               ;   in Loop: Header=BB241_13 Depth=1
	v_and_b32_e32 v33, 0x7f, v1
	v_cmp_ne_u32_e64 s[4:5], s53, v33
	v_mov_b32_e32 v32, 0x7c01
	s_and_saveexec_b64 s[44:45], s[4:5]
	s_cbranch_execz .LBB241_58
; %bb.57:                               ;   in Loop: Header=BB241_13 Depth=1
	v_and_b32_e32 v32, 7, v1
	v_ffbh_u32_e32 v34, v32
	v_min_u32_e32 v37, 32, v34
	v_subrev_u32_e32 v34, 28, v37
	v_lshlrev_b64 v[34:35], v34, v[1:2]
	v_lshrrev_b32_e32 v36, 3, v33
	v_sub_u32_e32 v35, 29, v37
	v_cmp_gt_u32_e64 s[4:5], 8, v33
	v_cndmask_b32_e64 v33, v36, v35, s[4:5]
	v_lshl_add_u32 v33, v33, 10, v21
	v_lshlrev_b32_e32 v35, 8, v1
	v_and_b32_e32 v34, 7, v34
	v_and_b32_e32 v33, 0xfc00, v33
	v_cndmask_b32_e64 v32, v32, v34, s[4:5]
	v_and_or_b32 v33, v35, s54, v33
	v_lshl_or_b32 v32, v32, 7, v33
.LBB241_58:                             ;   in Loop: Header=BB241_13 Depth=1
	s_or_b64 exec, exec, s[44:45]
.LBB241_59:                             ;   in Loop: Header=BB241_13 Depth=1
	s_or_b64 exec, exec, s[42:43]
.LBB241_60:                             ;   in Loop: Header=BB241_13 Depth=1
	s_or_b64 exec, exec, s[40:41]
	v_lshrrev_b16_e32 v1, 8, v1
	v_cmp_ne_u16_e64 s[4:5], 0, v1
	s_and_saveexec_b64 s[40:41], s[4:5]
	s_cbranch_execz .LBB241_66
; %bb.61:                               ;   in Loop: Header=BB241_13 Depth=1
	v_cmp_ne_u16_e64 s[4:5], s52, v1
	v_bfrev_b32_e32 v31, 1
	s_and_saveexec_b64 s[42:43], s[4:5]
	s_cbranch_execz .LBB241_65
; %bb.62:                               ;   in Loop: Header=BB241_13 Depth=1
	v_and_b32_e32 v33, 0x7f, v1
	v_cmp_ne_u32_e64 s[4:5], s53, v33
	v_mov_b32_e32 v31, 0x7c010000
	s_and_saveexec_b64 s[44:45], s[4:5]
	s_cbranch_execz .LBB241_64
; %bb.63:                               ;   in Loop: Header=BB241_13 Depth=1
	v_and_b32_e32 v31, 7, v1
	v_ffbh_u32_e32 v34, v31
	v_min_u32_e32 v37, 32, v34
	v_subrev_u32_e32 v34, 28, v37
	v_lshlrev_b64 v[34:35], v34, v[1:2]
	v_lshrrev_b32_e32 v36, 3, v33
	v_sub_u32_e32 v35, 29, v37
	v_cmp_gt_u32_e64 s[4:5], 8, v33
	v_cndmask_b32_e64 v33, v36, v35, s[4:5]
	v_lshlrev_b32_e32 v1, 8, v1
	v_lshl_add_u32 v33, v33, 10, v21
	v_and_b32_e32 v34, 7, v34
	v_and_or_b32 v1, v1, s54, v33
	v_cndmask_b32_e64 v31, v31, v34, s[4:5]
	v_lshlrev_b32_e32 v1, 16, v1
	v_lshl_or_b32 v31, v31, 23, v1
.LBB241_64:                             ;   in Loop: Header=BB241_13 Depth=1
	s_or_b64 exec, exec, s[44:45]
.LBB241_65:                             ;   in Loop: Header=BB241_13 Depth=1
	s_or_b64 exec, exec, s[42:43]
.LBB241_66:                             ;   in Loop: Header=BB241_13 Depth=1
	s_or_b64 exec, exec, s[40:41]
	global_load_ushort v34, v[7:8], off offset:512
	v_mov_b32_e32 v33, 0
	s_waitcnt vmcnt(0)
	v_and_b32_e32 v1, 0xffff, v34
	v_cmp_ne_u16_sdwa s[4:5], v34, v2 src0_sel:BYTE_0 src1_sel:DWORD
	v_mov_b32_e32 v34, 0
	s_and_saveexec_b64 s[40:41], s[4:5]
	s_cbranch_execz .LBB241_72
; %bb.67:                               ;   in Loop: Header=BB241_13 Depth=1
	v_cmp_ne_u16_sdwa s[4:5], v1, s52 src0_sel:BYTE_0 src1_sel:DWORD
	v_mov_b32_e32 v34, 0x8000
	s_and_saveexec_b64 s[42:43], s[4:5]
	s_cbranch_execz .LBB241_71
; %bb.68:                               ;   in Loop: Header=BB241_13 Depth=1
	v_and_b32_e32 v35, 0x7f, v1
	v_cmp_ne_u32_e64 s[4:5], s53, v35
	v_mov_b32_e32 v34, 0x7c01
	s_and_saveexec_b64 s[44:45], s[4:5]
	s_cbranch_execz .LBB241_70
; %bb.69:                               ;   in Loop: Header=BB241_13 Depth=1
	v_and_b32_e32 v34, 7, v1
	v_ffbh_u32_e32 v36, v34
	v_min_u32_e32 v39, 32, v36
	v_subrev_u32_e32 v36, 28, v39
	v_lshlrev_b64 v[36:37], v36, v[1:2]
	v_lshrrev_b32_e32 v38, 3, v35
	v_sub_u32_e32 v37, 29, v39
	v_cmp_gt_u32_e64 s[4:5], 8, v35
	v_cndmask_b32_e64 v35, v38, v37, s[4:5]
	v_lshl_add_u32 v35, v35, 10, v21
	v_lshlrev_b32_e32 v37, 8, v1
	v_and_b32_e32 v36, 7, v36
	v_and_b32_e32 v35, 0xfc00, v35
	v_cndmask_b32_e64 v34, v34, v36, s[4:5]
	v_and_or_b32 v35, v37, s54, v35
	v_lshl_or_b32 v34, v34, 7, v35
.LBB241_70:                             ;   in Loop: Header=BB241_13 Depth=1
	s_or_b64 exec, exec, s[44:45]
.LBB241_71:                             ;   in Loop: Header=BB241_13 Depth=1
	s_or_b64 exec, exec, s[42:43]
.LBB241_72:                             ;   in Loop: Header=BB241_13 Depth=1
	s_or_b64 exec, exec, s[40:41]
	v_lshrrev_b16_e32 v1, 8, v1
	v_cmp_ne_u16_e64 s[4:5], 0, v1
	s_and_saveexec_b64 s[40:41], s[4:5]
	s_cbranch_execz .LBB241_78
; %bb.73:                               ;   in Loop: Header=BB241_13 Depth=1
	v_cmp_ne_u16_e64 s[4:5], s52, v1
	v_bfrev_b32_e32 v33, 1
	s_and_saveexec_b64 s[42:43], s[4:5]
	s_cbranch_execz .LBB241_77
; %bb.74:                               ;   in Loop: Header=BB241_13 Depth=1
	v_and_b32_e32 v35, 0x7f, v1
	v_cmp_ne_u32_e64 s[4:5], s53, v35
	v_mov_b32_e32 v33, 0x7c010000
	s_and_saveexec_b64 s[44:45], s[4:5]
	s_cbranch_execz .LBB241_76
; %bb.75:                               ;   in Loop: Header=BB241_13 Depth=1
	v_and_b32_e32 v33, 7, v1
	v_ffbh_u32_e32 v36, v33
	v_min_u32_e32 v39, 32, v36
	v_subrev_u32_e32 v36, 28, v39
	v_lshlrev_b64 v[36:37], v36, v[1:2]
	v_lshrrev_b32_e32 v38, 3, v35
	v_sub_u32_e32 v37, 29, v39
	v_cmp_gt_u32_e64 s[4:5], 8, v35
	v_cndmask_b32_e64 v35, v38, v37, s[4:5]
	v_lshlrev_b32_e32 v1, 8, v1
	v_lshl_add_u32 v35, v35, 10, v21
	v_and_b32_e32 v36, 7, v36
	v_and_or_b32 v1, v1, s54, v35
	v_cndmask_b32_e64 v33, v33, v36, s[4:5]
	v_lshlrev_b32_e32 v1, 16, v1
	v_lshl_or_b32 v33, v33, 23, v1
.LBB241_76:                             ;   in Loop: Header=BB241_13 Depth=1
	s_or_b64 exec, exec, s[44:45]
.LBB241_77:                             ;   in Loop: Header=BB241_13 Depth=1
	s_or_b64 exec, exec, s[42:43]
.LBB241_78:                             ;   in Loop: Header=BB241_13 Depth=1
	s_or_b64 exec, exec, s[40:41]
	global_load_ushort v36, v[7:8], off offset:520
	v_mov_b32_e32 v35, 0
	s_waitcnt vmcnt(0)
	v_and_b32_e32 v1, 0xffff, v36
	v_cmp_ne_u16_sdwa s[4:5], v36, v2 src0_sel:BYTE_0 src1_sel:DWORD
	v_mov_b32_e32 v36, 0
	s_and_saveexec_b64 s[40:41], s[4:5]
	s_cbranch_execz .LBB241_84
; %bb.79:                               ;   in Loop: Header=BB241_13 Depth=1
	v_cmp_ne_u16_sdwa s[4:5], v1, s52 src0_sel:BYTE_0 src1_sel:DWORD
	v_mov_b32_e32 v36, 0x8000
	s_and_saveexec_b64 s[42:43], s[4:5]
	s_cbranch_execz .LBB241_83
; %bb.80:                               ;   in Loop: Header=BB241_13 Depth=1
	v_and_b32_e32 v37, 0x7f, v1
	v_cmp_ne_u32_e64 s[4:5], s53, v37
	v_mov_b32_e32 v36, 0x7c01
	s_and_saveexec_b64 s[44:45], s[4:5]
	s_cbranch_execz .LBB241_82
; %bb.81:                               ;   in Loop: Header=BB241_13 Depth=1
	v_and_b32_e32 v36, 7, v1
	v_ffbh_u32_e32 v38, v36
	v_min_u32_e32 v41, 32, v38
	v_subrev_u32_e32 v38, 28, v41
	v_lshlrev_b64 v[38:39], v38, v[1:2]
	v_lshrrev_b32_e32 v40, 3, v37
	v_sub_u32_e32 v39, 29, v41
	v_cmp_gt_u32_e64 s[4:5], 8, v37
	v_cndmask_b32_e64 v37, v40, v39, s[4:5]
	v_lshl_add_u32 v37, v37, 10, v21
	v_lshlrev_b32_e32 v39, 8, v1
	v_and_b32_e32 v38, 7, v38
	v_and_b32_e32 v37, 0xfc00, v37
	v_cndmask_b32_e64 v36, v36, v38, s[4:5]
	v_and_or_b32 v37, v39, s54, v37
	v_lshl_or_b32 v36, v36, 7, v37
.LBB241_82:                             ;   in Loop: Header=BB241_13 Depth=1
	s_or_b64 exec, exec, s[44:45]
.LBB241_83:                             ;   in Loop: Header=BB241_13 Depth=1
	s_or_b64 exec, exec, s[42:43]
.LBB241_84:                             ;   in Loop: Header=BB241_13 Depth=1
	s_or_b64 exec, exec, s[40:41]
	v_lshrrev_b16_e32 v1, 8, v1
	v_cmp_ne_u16_e64 s[4:5], 0, v1
	s_and_saveexec_b64 s[40:41], s[4:5]
	s_cbranch_execz .LBB241_90
; %bb.85:                               ;   in Loop: Header=BB241_13 Depth=1
	v_cmp_ne_u16_e64 s[4:5], s52, v1
	v_bfrev_b32_e32 v35, 1
	s_and_saveexec_b64 s[42:43], s[4:5]
	s_cbranch_execz .LBB241_89
; %bb.86:                               ;   in Loop: Header=BB241_13 Depth=1
	v_and_b32_e32 v37, 0x7f, v1
	v_cmp_ne_u32_e64 s[4:5], s53, v37
	v_mov_b32_e32 v35, 0x7c010000
	s_and_saveexec_b64 s[44:45], s[4:5]
	s_cbranch_execz .LBB241_88
; %bb.87:                               ;   in Loop: Header=BB241_13 Depth=1
	v_and_b32_e32 v35, 7, v1
	v_ffbh_u32_e32 v38, v35
	v_min_u32_e32 v41, 32, v38
	v_subrev_u32_e32 v38, 28, v41
	v_lshlrev_b64 v[38:39], v38, v[1:2]
	v_lshrrev_b32_e32 v40, 3, v37
	v_sub_u32_e32 v39, 29, v41
	v_cmp_gt_u32_e64 s[4:5], 8, v37
	v_cndmask_b32_e64 v37, v40, v39, s[4:5]
	v_lshlrev_b32_e32 v1, 8, v1
	v_lshl_add_u32 v37, v37, 10, v21
	v_and_b32_e32 v38, 7, v38
	v_and_or_b32 v1, v1, s54, v37
	v_cndmask_b32_e64 v35, v35, v38, s[4:5]
	v_lshlrev_b32_e32 v1, 16, v1
	v_lshl_or_b32 v35, v35, 23, v1
.LBB241_88:                             ;   in Loop: Header=BB241_13 Depth=1
	s_or_b64 exec, exec, s[44:45]
.LBB241_89:                             ;   in Loop: Header=BB241_13 Depth=1
	s_or_b64 exec, exec, s[42:43]
.LBB241_90:                             ;   in Loop: Header=BB241_13 Depth=1
	s_or_b64 exec, exec, s[40:41]
	global_load_ushort v38, v[7:8], off offset:768
	v_mov_b32_e32 v37, 0
	s_waitcnt vmcnt(0)
	v_and_b32_e32 v1, 0xffff, v38
	v_cmp_ne_u16_sdwa s[4:5], v38, v2 src0_sel:BYTE_0 src1_sel:DWORD
	v_mov_b32_e32 v38, 0
	s_and_saveexec_b64 s[40:41], s[4:5]
	s_cbranch_execz .LBB241_96
; %bb.91:                               ;   in Loop: Header=BB241_13 Depth=1
	v_cmp_ne_u16_sdwa s[4:5], v1, s52 src0_sel:BYTE_0 src1_sel:DWORD
	v_mov_b32_e32 v38, 0x8000
	s_and_saveexec_b64 s[42:43], s[4:5]
	s_cbranch_execz .LBB241_95
; %bb.92:                               ;   in Loop: Header=BB241_13 Depth=1
	v_and_b32_e32 v39, 0x7f, v1
	v_cmp_ne_u32_e64 s[4:5], s53, v39
	v_mov_b32_e32 v38, 0x7c01
	s_and_saveexec_b64 s[44:45], s[4:5]
	s_cbranch_execz .LBB241_94
; %bb.93:                               ;   in Loop: Header=BB241_13 Depth=1
	v_and_b32_e32 v38, 7, v1
	v_ffbh_u32_e32 v40, v38
	v_min_u32_e32 v43, 32, v40
	v_subrev_u32_e32 v40, 28, v43
	v_lshlrev_b64 v[40:41], v40, v[1:2]
	v_lshrrev_b32_e32 v42, 3, v39
	v_sub_u32_e32 v41, 29, v43
	v_cmp_gt_u32_e64 s[4:5], 8, v39
	v_cndmask_b32_e64 v39, v42, v41, s[4:5]
	v_lshl_add_u32 v39, v39, 10, v21
	v_lshlrev_b32_e32 v41, 8, v1
	v_and_b32_e32 v40, 7, v40
	v_and_b32_e32 v39, 0xfc00, v39
	v_cndmask_b32_e64 v38, v38, v40, s[4:5]
	v_and_or_b32 v39, v41, s54, v39
	v_lshl_or_b32 v38, v38, 7, v39
.LBB241_94:                             ;   in Loop: Header=BB241_13 Depth=1
	s_or_b64 exec, exec, s[44:45]
.LBB241_95:                             ;   in Loop: Header=BB241_13 Depth=1
	s_or_b64 exec, exec, s[42:43]
.LBB241_96:                             ;   in Loop: Header=BB241_13 Depth=1
	s_or_b64 exec, exec, s[40:41]
	v_lshrrev_b16_e32 v1, 8, v1
	v_cmp_ne_u16_e64 s[4:5], 0, v1
	s_and_saveexec_b64 s[40:41], s[4:5]
	s_cbranch_execz .LBB241_102
; %bb.97:                               ;   in Loop: Header=BB241_13 Depth=1
	v_cmp_ne_u16_e64 s[4:5], s52, v1
	v_bfrev_b32_e32 v37, 1
	s_and_saveexec_b64 s[42:43], s[4:5]
	s_cbranch_execz .LBB241_101
; %bb.98:                               ;   in Loop: Header=BB241_13 Depth=1
	v_and_b32_e32 v39, 0x7f, v1
	v_cmp_ne_u32_e64 s[4:5], s53, v39
	v_mov_b32_e32 v37, 0x7c010000
	s_and_saveexec_b64 s[44:45], s[4:5]
	s_cbranch_execz .LBB241_100
; %bb.99:                               ;   in Loop: Header=BB241_13 Depth=1
	v_and_b32_e32 v37, 7, v1
	v_ffbh_u32_e32 v40, v37
	v_min_u32_e32 v43, 32, v40
	v_subrev_u32_e32 v40, 28, v43
	v_lshlrev_b64 v[40:41], v40, v[1:2]
	v_lshrrev_b32_e32 v42, 3, v39
	v_sub_u32_e32 v41, 29, v43
	v_cmp_gt_u32_e64 s[4:5], 8, v39
	v_cndmask_b32_e64 v39, v42, v41, s[4:5]
	v_lshlrev_b32_e32 v1, 8, v1
	v_lshl_add_u32 v39, v39, 10, v21
	v_and_b32_e32 v40, 7, v40
	v_and_or_b32 v1, v1, s54, v39
	v_cndmask_b32_e64 v37, v37, v40, s[4:5]
	v_lshlrev_b32_e32 v1, 16, v1
	v_lshl_or_b32 v37, v37, 23, v1
.LBB241_100:                            ;   in Loop: Header=BB241_13 Depth=1
	s_or_b64 exec, exec, s[44:45]
.LBB241_101:                            ;   in Loop: Header=BB241_13 Depth=1
	s_or_b64 exec, exec, s[42:43]
.LBB241_102:                            ;   in Loop: Header=BB241_13 Depth=1
	s_or_b64 exec, exec, s[40:41]
	global_load_ushort v40, v[7:8], off offset:776
	v_mov_b32_e32 v39, 0
	s_waitcnt vmcnt(0)
	v_and_b32_e32 v1, 0xffff, v40
	v_cmp_ne_u16_sdwa s[4:5], v40, v2 src0_sel:BYTE_0 src1_sel:DWORD
	v_mov_b32_e32 v40, 0
	s_and_saveexec_b64 s[40:41], s[4:5]
	s_cbranch_execz .LBB241_108
; %bb.103:                              ;   in Loop: Header=BB241_13 Depth=1
	v_cmp_ne_u16_sdwa s[4:5], v1, s52 src0_sel:BYTE_0 src1_sel:DWORD
	v_mov_b32_e32 v40, 0x8000
	s_and_saveexec_b64 s[42:43], s[4:5]
	s_cbranch_execz .LBB241_107
; %bb.104:                              ;   in Loop: Header=BB241_13 Depth=1
	v_and_b32_e32 v41, 0x7f, v1
	v_cmp_ne_u32_e64 s[4:5], s53, v41
	v_mov_b32_e32 v40, 0x7c01
	s_and_saveexec_b64 s[44:45], s[4:5]
	s_cbranch_execz .LBB241_106
; %bb.105:                              ;   in Loop: Header=BB241_13 Depth=1
	v_and_b32_e32 v40, 7, v1
	v_ffbh_u32_e32 v42, v40
	v_min_u32_e32 v45, 32, v42
	v_subrev_u32_e32 v42, 28, v45
	v_lshlrev_b64 v[42:43], v42, v[1:2]
	v_lshrrev_b32_e32 v44, 3, v41
	v_sub_u32_e32 v43, 29, v45
	v_cmp_gt_u32_e64 s[4:5], 8, v41
	v_cndmask_b32_e64 v41, v44, v43, s[4:5]
	v_lshl_add_u32 v41, v41, 10, v21
	v_lshlrev_b32_e32 v43, 8, v1
	v_and_b32_e32 v42, 7, v42
	v_and_b32_e32 v41, 0xfc00, v41
	v_cndmask_b32_e64 v40, v40, v42, s[4:5]
	v_and_or_b32 v41, v43, s54, v41
	v_lshl_or_b32 v40, v40, 7, v41
.LBB241_106:                            ;   in Loop: Header=BB241_13 Depth=1
	s_or_b64 exec, exec, s[44:45]
.LBB241_107:                            ;   in Loop: Header=BB241_13 Depth=1
	s_or_b64 exec, exec, s[42:43]
.LBB241_108:                            ;   in Loop: Header=BB241_13 Depth=1
	s_or_b64 exec, exec, s[40:41]
	v_lshrrev_b16_e32 v1, 8, v1
	v_cmp_ne_u16_e64 s[4:5], 0, v1
	s_and_saveexec_b64 s[40:41], s[4:5]
	s_cbranch_execz .LBB241_114
; %bb.109:                              ;   in Loop: Header=BB241_13 Depth=1
	v_cmp_ne_u16_e64 s[4:5], s52, v1
	v_bfrev_b32_e32 v39, 1
	s_and_saveexec_b64 s[42:43], s[4:5]
	s_cbranch_execz .LBB241_113
; %bb.110:                              ;   in Loop: Header=BB241_13 Depth=1
	v_and_b32_e32 v41, 0x7f, v1
	v_cmp_ne_u32_e64 s[4:5], s53, v41
	v_mov_b32_e32 v39, 0x7c010000
	s_and_saveexec_b64 s[44:45], s[4:5]
	s_cbranch_execz .LBB241_112
; %bb.111:                              ;   in Loop: Header=BB241_13 Depth=1
	v_and_b32_e32 v39, 7, v1
	v_ffbh_u32_e32 v42, v39
	v_min_u32_e32 v45, 32, v42
	v_subrev_u32_e32 v42, 28, v45
	v_lshlrev_b64 v[42:43], v42, v[1:2]
	v_lshrrev_b32_e32 v44, 3, v41
	v_sub_u32_e32 v43, 29, v45
	v_cmp_gt_u32_e64 s[4:5], 8, v41
	v_cndmask_b32_e64 v41, v44, v43, s[4:5]
	v_lshlrev_b32_e32 v1, 8, v1
	v_lshl_add_u32 v41, v41, 10, v21
	v_and_b32_e32 v42, 7, v42
	v_and_or_b32 v1, v1, s54, v41
	v_cndmask_b32_e64 v39, v39, v42, s[4:5]
	v_lshlrev_b32_e32 v1, 16, v1
	v_lshl_or_b32 v39, v39, 23, v1
.LBB241_112:                            ;   in Loop: Header=BB241_13 Depth=1
	s_or_b64 exec, exec, s[44:45]
.LBB241_113:                            ;   in Loop: Header=BB241_13 Depth=1
	s_or_b64 exec, exec, s[42:43]
.LBB241_114:                            ;   in Loop: Header=BB241_13 Depth=1
	s_or_b64 exec, exec, s[40:41]
	global_load_ushort v42, v[7:8], off offset:1024
	v_mov_b32_e32 v41, 0
	s_waitcnt vmcnt(0)
	v_and_b32_e32 v1, 0xffff, v42
	v_cmp_ne_u16_sdwa s[4:5], v42, v2 src0_sel:BYTE_0 src1_sel:DWORD
	v_mov_b32_e32 v42, 0
	s_and_saveexec_b64 s[40:41], s[4:5]
	s_cbranch_execz .LBB241_120
; %bb.115:                              ;   in Loop: Header=BB241_13 Depth=1
	v_cmp_ne_u16_sdwa s[4:5], v1, s52 src0_sel:BYTE_0 src1_sel:DWORD
	v_mov_b32_e32 v42, 0x8000
	s_and_saveexec_b64 s[42:43], s[4:5]
	s_cbranch_execz .LBB241_119
; %bb.116:                              ;   in Loop: Header=BB241_13 Depth=1
	v_and_b32_e32 v43, 0x7f, v1
	v_cmp_ne_u32_e64 s[4:5], s53, v43
	v_mov_b32_e32 v42, 0x7c01
	s_and_saveexec_b64 s[44:45], s[4:5]
	s_cbranch_execz .LBB241_118
; %bb.117:                              ;   in Loop: Header=BB241_13 Depth=1
	v_and_b32_e32 v42, 7, v1
	v_ffbh_u32_e32 v44, v42
	v_min_u32_e32 v47, 32, v44
	v_subrev_u32_e32 v44, 28, v47
	v_lshlrev_b64 v[44:45], v44, v[1:2]
	v_lshrrev_b32_e32 v46, 3, v43
	v_sub_u32_e32 v45, 29, v47
	v_cmp_gt_u32_e64 s[4:5], 8, v43
	v_cndmask_b32_e64 v43, v46, v45, s[4:5]
	v_lshl_add_u32 v43, v43, 10, v21
	v_lshlrev_b32_e32 v45, 8, v1
	v_and_b32_e32 v44, 7, v44
	v_and_b32_e32 v43, 0xfc00, v43
	v_cndmask_b32_e64 v42, v42, v44, s[4:5]
	v_and_or_b32 v43, v45, s54, v43
	v_lshl_or_b32 v42, v42, 7, v43
.LBB241_118:                            ;   in Loop: Header=BB241_13 Depth=1
	s_or_b64 exec, exec, s[44:45]
.LBB241_119:                            ;   in Loop: Header=BB241_13 Depth=1
	s_or_b64 exec, exec, s[42:43]
.LBB241_120:                            ;   in Loop: Header=BB241_13 Depth=1
	s_or_b64 exec, exec, s[40:41]
	v_lshrrev_b16_e32 v1, 8, v1
	v_cmp_ne_u16_e64 s[4:5], 0, v1
	s_and_saveexec_b64 s[40:41], s[4:5]
	s_cbranch_execz .LBB241_126
; %bb.121:                              ;   in Loop: Header=BB241_13 Depth=1
	v_cmp_ne_u16_e64 s[4:5], s52, v1
	v_bfrev_b32_e32 v41, 1
	s_and_saveexec_b64 s[42:43], s[4:5]
	s_cbranch_execz .LBB241_125
; %bb.122:                              ;   in Loop: Header=BB241_13 Depth=1
	v_and_b32_e32 v43, 0x7f, v1
	v_cmp_ne_u32_e64 s[4:5], s53, v43
	v_mov_b32_e32 v41, 0x7c010000
	s_and_saveexec_b64 s[44:45], s[4:5]
	s_cbranch_execz .LBB241_124
; %bb.123:                              ;   in Loop: Header=BB241_13 Depth=1
	v_and_b32_e32 v41, 7, v1
	v_ffbh_u32_e32 v44, v41
	v_min_u32_e32 v47, 32, v44
	v_subrev_u32_e32 v44, 28, v47
	v_lshlrev_b64 v[44:45], v44, v[1:2]
	v_lshrrev_b32_e32 v46, 3, v43
	v_sub_u32_e32 v45, 29, v47
	v_cmp_gt_u32_e64 s[4:5], 8, v43
	v_cndmask_b32_e64 v43, v46, v45, s[4:5]
	v_lshlrev_b32_e32 v1, 8, v1
	v_lshl_add_u32 v43, v43, 10, v21
	v_and_b32_e32 v44, 7, v44
	v_and_or_b32 v1, v1, s54, v43
	v_cndmask_b32_e64 v41, v41, v44, s[4:5]
	v_lshlrev_b32_e32 v1, 16, v1
	v_lshl_or_b32 v41, v41, 23, v1
.LBB241_124:                            ;   in Loop: Header=BB241_13 Depth=1
	s_or_b64 exec, exec, s[44:45]
.LBB241_125:                            ;   in Loop: Header=BB241_13 Depth=1
	s_or_b64 exec, exec, s[42:43]
.LBB241_126:                            ;   in Loop: Header=BB241_13 Depth=1
	s_or_b64 exec, exec, s[40:41]
	global_load_ushort v44, v[7:8], off offset:1032
	v_mov_b32_e32 v43, 0
	s_waitcnt vmcnt(0)
	v_and_b32_e32 v1, 0xffff, v44
	v_cmp_ne_u16_sdwa s[4:5], v44, v2 src0_sel:BYTE_0 src1_sel:DWORD
	v_mov_b32_e32 v44, 0
	s_and_saveexec_b64 s[40:41], s[4:5]
	s_cbranch_execz .LBB241_132
; %bb.127:                              ;   in Loop: Header=BB241_13 Depth=1
	v_cmp_ne_u16_sdwa s[4:5], v1, s52 src0_sel:BYTE_0 src1_sel:DWORD
	v_mov_b32_e32 v44, 0x8000
	s_and_saveexec_b64 s[42:43], s[4:5]
	s_cbranch_execz .LBB241_131
; %bb.128:                              ;   in Loop: Header=BB241_13 Depth=1
	v_and_b32_e32 v45, 0x7f, v1
	v_cmp_ne_u32_e64 s[4:5], s53, v45
	v_mov_b32_e32 v44, 0x7c01
	s_and_saveexec_b64 s[44:45], s[4:5]
	s_cbranch_execz .LBB241_130
; %bb.129:                              ;   in Loop: Header=BB241_13 Depth=1
	v_and_b32_e32 v44, 7, v1
	v_ffbh_u32_e32 v46, v44
	v_min_u32_e32 v49, 32, v46
	v_subrev_u32_e32 v46, 28, v49
	v_lshlrev_b64 v[46:47], v46, v[1:2]
	v_lshrrev_b32_e32 v48, 3, v45
	v_sub_u32_e32 v47, 29, v49
	v_cmp_gt_u32_e64 s[4:5], 8, v45
	v_cndmask_b32_e64 v45, v48, v47, s[4:5]
	v_lshl_add_u32 v45, v45, 10, v21
	v_lshlrev_b32_e32 v47, 8, v1
	v_and_b32_e32 v46, 7, v46
	v_and_b32_e32 v45, 0xfc00, v45
	v_cndmask_b32_e64 v44, v44, v46, s[4:5]
	v_and_or_b32 v45, v47, s54, v45
	v_lshl_or_b32 v44, v44, 7, v45
.LBB241_130:                            ;   in Loop: Header=BB241_13 Depth=1
	s_or_b64 exec, exec, s[44:45]
.LBB241_131:                            ;   in Loop: Header=BB241_13 Depth=1
	s_or_b64 exec, exec, s[42:43]
.LBB241_132:                            ;   in Loop: Header=BB241_13 Depth=1
	s_or_b64 exec, exec, s[40:41]
	v_lshrrev_b16_e32 v1, 8, v1
	v_cmp_ne_u16_e64 s[4:5], 0, v1
	s_and_saveexec_b64 s[40:41], s[4:5]
	s_cbranch_execz .LBB241_138
; %bb.133:                              ;   in Loop: Header=BB241_13 Depth=1
	v_cmp_ne_u16_e64 s[4:5], s52, v1
	v_bfrev_b32_e32 v43, 1
	s_and_saveexec_b64 s[42:43], s[4:5]
	s_cbranch_execz .LBB241_137
; %bb.134:                              ;   in Loop: Header=BB241_13 Depth=1
	v_and_b32_e32 v45, 0x7f, v1
	v_cmp_ne_u32_e64 s[4:5], s53, v45
	v_mov_b32_e32 v43, 0x7c010000
	s_and_saveexec_b64 s[44:45], s[4:5]
	s_cbranch_execz .LBB241_136
; %bb.135:                              ;   in Loop: Header=BB241_13 Depth=1
	v_and_b32_e32 v43, 7, v1
	v_ffbh_u32_e32 v46, v43
	v_min_u32_e32 v49, 32, v46
	v_subrev_u32_e32 v46, 28, v49
	v_lshlrev_b64 v[46:47], v46, v[1:2]
	v_lshrrev_b32_e32 v48, 3, v45
	v_sub_u32_e32 v47, 29, v49
	v_cmp_gt_u32_e64 s[4:5], 8, v45
	v_cndmask_b32_e64 v45, v48, v47, s[4:5]
	v_lshlrev_b32_e32 v1, 8, v1
	v_lshl_add_u32 v45, v45, 10, v21
	v_and_b32_e32 v46, 7, v46
	v_and_or_b32 v1, v1, s54, v45
	v_cndmask_b32_e64 v43, v43, v46, s[4:5]
	v_lshlrev_b32_e32 v1, 16, v1
	v_lshl_or_b32 v43, v43, 23, v1
.LBB241_136:                            ;   in Loop: Header=BB241_13 Depth=1
	s_or_b64 exec, exec, s[44:45]
.LBB241_137:                            ;   in Loop: Header=BB241_13 Depth=1
	s_or_b64 exec, exec, s[42:43]
.LBB241_138:                            ;   in Loop: Header=BB241_13 Depth=1
	s_or_b64 exec, exec, s[40:41]
	global_load_ushort v46, v[7:8], off offset:1280
	v_mov_b32_e32 v45, 0
	s_waitcnt vmcnt(0)
	v_and_b32_e32 v1, 0xffff, v46
	v_cmp_ne_u16_sdwa s[4:5], v46, v2 src0_sel:BYTE_0 src1_sel:DWORD
	v_mov_b32_e32 v46, 0
	s_and_saveexec_b64 s[40:41], s[4:5]
	s_cbranch_execz .LBB241_144
; %bb.139:                              ;   in Loop: Header=BB241_13 Depth=1
	v_cmp_ne_u16_sdwa s[4:5], v1, s52 src0_sel:BYTE_0 src1_sel:DWORD
	v_mov_b32_e32 v46, 0x8000
	s_and_saveexec_b64 s[42:43], s[4:5]
	s_cbranch_execz .LBB241_143
; %bb.140:                              ;   in Loop: Header=BB241_13 Depth=1
	v_and_b32_e32 v47, 0x7f, v1
	v_cmp_ne_u32_e64 s[4:5], s53, v47
	v_mov_b32_e32 v46, 0x7c01
	s_and_saveexec_b64 s[44:45], s[4:5]
	s_cbranch_execz .LBB241_142
; %bb.141:                              ;   in Loop: Header=BB241_13 Depth=1
	v_and_b32_e32 v46, 7, v1
	v_ffbh_u32_e32 v48, v46
	v_min_u32_e32 v51, 32, v48
	v_subrev_u32_e32 v48, 28, v51
	v_lshlrev_b64 v[48:49], v48, v[1:2]
	v_lshrrev_b32_e32 v50, 3, v47
	v_sub_u32_e32 v49, 29, v51
	v_cmp_gt_u32_e64 s[4:5], 8, v47
	v_cndmask_b32_e64 v47, v50, v49, s[4:5]
	v_lshl_add_u32 v47, v47, 10, v21
	v_lshlrev_b32_e32 v49, 8, v1
	v_and_b32_e32 v48, 7, v48
	v_and_b32_e32 v47, 0xfc00, v47
	v_cndmask_b32_e64 v46, v46, v48, s[4:5]
	v_and_or_b32 v47, v49, s54, v47
	v_lshl_or_b32 v46, v46, 7, v47
.LBB241_142:                            ;   in Loop: Header=BB241_13 Depth=1
	s_or_b64 exec, exec, s[44:45]
.LBB241_143:                            ;   in Loop: Header=BB241_13 Depth=1
	s_or_b64 exec, exec, s[42:43]
.LBB241_144:                            ;   in Loop: Header=BB241_13 Depth=1
	s_or_b64 exec, exec, s[40:41]
	v_lshrrev_b16_e32 v1, 8, v1
	v_cmp_ne_u16_e64 s[4:5], 0, v1
	s_and_saveexec_b64 s[40:41], s[4:5]
	s_cbranch_execz .LBB241_150
; %bb.145:                              ;   in Loop: Header=BB241_13 Depth=1
	v_cmp_ne_u16_e64 s[4:5], s52, v1
	v_bfrev_b32_e32 v45, 1
	s_and_saveexec_b64 s[42:43], s[4:5]
	s_cbranch_execz .LBB241_149
; %bb.146:                              ;   in Loop: Header=BB241_13 Depth=1
	v_and_b32_e32 v47, 0x7f, v1
	v_cmp_ne_u32_e64 s[4:5], s53, v47
	v_mov_b32_e32 v45, 0x7c010000
	s_and_saveexec_b64 s[44:45], s[4:5]
	s_cbranch_execz .LBB241_148
; %bb.147:                              ;   in Loop: Header=BB241_13 Depth=1
	v_and_b32_e32 v45, 7, v1
	v_ffbh_u32_e32 v48, v45
	v_min_u32_e32 v51, 32, v48
	v_subrev_u32_e32 v48, 28, v51
	v_lshlrev_b64 v[48:49], v48, v[1:2]
	v_lshrrev_b32_e32 v50, 3, v47
	v_sub_u32_e32 v49, 29, v51
	v_cmp_gt_u32_e64 s[4:5], 8, v47
	v_cndmask_b32_e64 v47, v50, v49, s[4:5]
	v_lshlrev_b32_e32 v1, 8, v1
	v_lshl_add_u32 v47, v47, 10, v21
	v_and_b32_e32 v48, 7, v48
	v_and_or_b32 v1, v1, s54, v47
	v_cndmask_b32_e64 v45, v45, v48, s[4:5]
	v_lshlrev_b32_e32 v1, 16, v1
	v_lshl_or_b32 v45, v45, 23, v1
.LBB241_148:                            ;   in Loop: Header=BB241_13 Depth=1
	s_or_b64 exec, exec, s[44:45]
.LBB241_149:                            ;   in Loop: Header=BB241_13 Depth=1
	s_or_b64 exec, exec, s[42:43]
.LBB241_150:                            ;   in Loop: Header=BB241_13 Depth=1
	s_or_b64 exec, exec, s[40:41]
	global_load_ushort v47, v[7:8], off offset:1288
	v_mov_b32_e32 v49, 0
	v_mov_b32_e32 v50, 0
	s_waitcnt vmcnt(0)
	v_and_b32_e32 v1, 0xffff, v47
	v_cmp_ne_u16_sdwa s[4:5], v47, v2 src0_sel:BYTE_0 src1_sel:DWORD
	s_and_saveexec_b64 s[40:41], s[4:5]
	s_cbranch_execz .LBB241_156
; %bb.151:                              ;   in Loop: Header=BB241_13 Depth=1
	v_cmp_ne_u16_sdwa s[4:5], v1, s52 src0_sel:BYTE_0 src1_sel:DWORD
	v_mov_b32_e32 v50, 0x8000
	s_and_saveexec_b64 s[42:43], s[4:5]
	s_cbranch_execz .LBB241_155
; %bb.152:                              ;   in Loop: Header=BB241_13 Depth=1
	v_and_b32_e32 v47, 0x7f, v1
	v_cmp_ne_u32_e64 s[4:5], s53, v47
	v_mov_b32_e32 v50, 0x7c01
	s_and_saveexec_b64 s[44:45], s[4:5]
	s_cbranch_execz .LBB241_154
; %bb.153:                              ;   in Loop: Header=BB241_13 Depth=1
	v_and_b32_e32 v48, 7, v1
	v_ffbh_u32_e32 v50, v48
	v_min_u32_e32 v53, 32, v50
	v_subrev_u32_e32 v50, 28, v53
	v_lshlrev_b64 v[50:51], v50, v[1:2]
	v_lshrrev_b32_e32 v52, 3, v47
	v_sub_u32_e32 v51, 29, v53
	v_cmp_gt_u32_e64 s[4:5], 8, v47
	v_cndmask_b32_e64 v47, v52, v51, s[4:5]
	v_lshl_add_u32 v47, v47, 10, v21
	v_lshlrev_b32_e32 v51, 8, v1
	v_and_b32_e32 v50, 7, v50
	v_and_b32_e32 v47, 0xfc00, v47
	v_cndmask_b32_e64 v48, v48, v50, s[4:5]
	v_and_or_b32 v47, v51, s54, v47
	v_lshl_or_b32 v50, v48, 7, v47
.LBB241_154:                            ;   in Loop: Header=BB241_13 Depth=1
	s_or_b64 exec, exec, s[44:45]
.LBB241_155:                            ;   in Loop: Header=BB241_13 Depth=1
	s_or_b64 exec, exec, s[42:43]
.LBB241_156:                            ;   in Loop: Header=BB241_13 Depth=1
	s_or_b64 exec, exec, s[40:41]
	v_lshrrev_b16_e32 v1, 8, v1
	v_cmp_ne_u16_e64 s[4:5], 0, v1
	s_and_saveexec_b64 s[40:41], s[4:5]
	s_cbranch_execz .LBB241_162
; %bb.157:                              ;   in Loop: Header=BB241_13 Depth=1
	v_cmp_ne_u16_e64 s[4:5], s52, v1
	v_bfrev_b32_e32 v49, 1
	s_and_saveexec_b64 s[42:43], s[4:5]
	s_cbranch_execz .LBB241_161
; %bb.158:                              ;   in Loop: Header=BB241_13 Depth=1
	v_and_b32_e32 v47, 0x7f, v1
	v_cmp_ne_u32_e64 s[4:5], s53, v47
	v_mov_b32_e32 v49, 0x7c010000
	s_and_saveexec_b64 s[44:45], s[4:5]
	s_cbranch_execz .LBB241_160
; %bb.159:                              ;   in Loop: Header=BB241_13 Depth=1
	v_and_b32_e32 v51, 7, v1
	v_ffbh_u32_e32 v48, v51
	v_min_u32_e32 v53, 32, v48
	v_subrev_u32_e32 v48, 28, v53
	v_lshlrev_b64 v[48:49], v48, v[1:2]
	v_lshrrev_b32_e32 v52, 3, v47
	v_sub_u32_e32 v49, 29, v53
	v_cmp_gt_u32_e64 s[4:5], 8, v47
	v_cndmask_b32_e64 v47, v52, v49, s[4:5]
	v_lshlrev_b32_e32 v1, 8, v1
	v_lshl_add_u32 v47, v47, 10, v21
	v_and_b32_e32 v48, 7, v48
	v_and_or_b32 v1, v1, s54, v47
	v_cndmask_b32_e64 v48, v51, v48, s[4:5]
	v_lshlrev_b32_e32 v1, 16, v1
	v_lshl_or_b32 v49, v48, 23, v1
.LBB241_160:                            ;   in Loop: Header=BB241_13 Depth=1
	s_or_b64 exec, exec, s[44:45]
.LBB241_161:                            ;   in Loop: Header=BB241_13 Depth=1
	s_or_b64 exec, exec, s[42:43]
.LBB241_162:                            ;   in Loop: Header=BB241_13 Depth=1
	s_or_b64 exec, exec, s[40:41]
	global_load_ushort v48, v[7:8], off offset:1536
	v_mov_b32_e32 v47, 0
	s_waitcnt vmcnt(0)
	v_and_b32_e32 v1, 0xffff, v48
	v_cmp_ne_u16_sdwa s[4:5], v48, v2 src0_sel:BYTE_0 src1_sel:DWORD
	v_mov_b32_e32 v48, 0
	s_and_saveexec_b64 s[40:41], s[4:5]
	s_cbranch_execz .LBB241_168
; %bb.163:                              ;   in Loop: Header=BB241_13 Depth=1
	v_cmp_ne_u16_sdwa s[4:5], v1, s52 src0_sel:BYTE_0 src1_sel:DWORD
	v_mov_b32_e32 v48, 0x8000
	s_and_saveexec_b64 s[42:43], s[4:5]
	s_cbranch_execz .LBB241_167
; %bb.164:                              ;   in Loop: Header=BB241_13 Depth=1
	v_and_b32_e32 v51, 0x7f, v1
	v_cmp_ne_u32_e64 s[4:5], s53, v51
	v_mov_b32_e32 v48, 0x7c01
	s_and_saveexec_b64 s[44:45], s[4:5]
	s_cbranch_execz .LBB241_166
; %bb.165:                              ;   in Loop: Header=BB241_13 Depth=1
	v_and_b32_e32 v48, 7, v1
	v_ffbh_u32_e32 v52, v48
	v_min_u32_e32 v55, 32, v52
	v_subrev_u32_e32 v52, 28, v55
	v_lshlrev_b64 v[52:53], v52, v[1:2]
	v_lshrrev_b32_e32 v54, 3, v51
	v_sub_u32_e32 v53, 29, v55
	v_cmp_gt_u32_e64 s[4:5], 8, v51
	v_cndmask_b32_e64 v51, v54, v53, s[4:5]
	v_lshl_add_u32 v51, v51, 10, v21
	v_lshlrev_b32_e32 v53, 8, v1
	v_and_b32_e32 v52, 7, v52
	v_and_b32_e32 v51, 0xfc00, v51
	v_cndmask_b32_e64 v48, v48, v52, s[4:5]
	v_and_or_b32 v51, v53, s54, v51
	v_lshl_or_b32 v48, v48, 7, v51
.LBB241_166:                            ;   in Loop: Header=BB241_13 Depth=1
	s_or_b64 exec, exec, s[44:45]
.LBB241_167:                            ;   in Loop: Header=BB241_13 Depth=1
	s_or_b64 exec, exec, s[42:43]
.LBB241_168:                            ;   in Loop: Header=BB241_13 Depth=1
	s_or_b64 exec, exec, s[40:41]
	v_lshrrev_b16_e32 v1, 8, v1
	v_cmp_ne_u16_e64 s[4:5], 0, v1
	s_and_saveexec_b64 s[40:41], s[4:5]
	s_cbranch_execz .LBB241_174
; %bb.169:                              ;   in Loop: Header=BB241_13 Depth=1
	v_cmp_ne_u16_e64 s[4:5], s52, v1
	v_bfrev_b32_e32 v47, 1
	s_and_saveexec_b64 s[42:43], s[4:5]
	s_cbranch_execz .LBB241_173
; %bb.170:                              ;   in Loop: Header=BB241_13 Depth=1
	v_and_b32_e32 v51, 0x7f, v1
	v_cmp_ne_u32_e64 s[4:5], s53, v51
	v_mov_b32_e32 v47, 0x7c010000
	s_and_saveexec_b64 s[44:45], s[4:5]
	s_cbranch_execz .LBB241_172
; %bb.171:                              ;   in Loop: Header=BB241_13 Depth=1
	v_and_b32_e32 v47, 7, v1
	v_ffbh_u32_e32 v52, v47
	v_min_u32_e32 v55, 32, v52
	v_subrev_u32_e32 v52, 28, v55
	v_lshlrev_b64 v[52:53], v52, v[1:2]
	v_lshrrev_b32_e32 v54, 3, v51
	v_sub_u32_e32 v53, 29, v55
	v_cmp_gt_u32_e64 s[4:5], 8, v51
	v_cndmask_b32_e64 v51, v54, v53, s[4:5]
	v_lshlrev_b32_e32 v1, 8, v1
	v_lshl_add_u32 v51, v51, 10, v21
	v_and_b32_e32 v52, 7, v52
	v_and_or_b32 v1, v1, s54, v51
	v_cndmask_b32_e64 v47, v47, v52, s[4:5]
	v_lshlrev_b32_e32 v1, 16, v1
	v_lshl_or_b32 v47, v47, 23, v1
.LBB241_172:                            ;   in Loop: Header=BB241_13 Depth=1
	s_or_b64 exec, exec, s[44:45]
.LBB241_173:                            ;   in Loop: Header=BB241_13 Depth=1
	s_or_b64 exec, exec, s[42:43]
.LBB241_174:                            ;   in Loop: Header=BB241_13 Depth=1
	s_or_b64 exec, exec, s[40:41]
	global_load_ushort v52, v[7:8], off offset:1544
	v_mov_b32_e32 v51, 0
	s_waitcnt vmcnt(0)
	v_and_b32_e32 v1, 0xffff, v52
	v_cmp_ne_u16_sdwa s[4:5], v52, v2 src0_sel:BYTE_0 src1_sel:DWORD
	v_mov_b32_e32 v52, 0
	s_and_saveexec_b64 s[40:41], s[4:5]
	s_cbranch_execz .LBB241_180
; %bb.175:                              ;   in Loop: Header=BB241_13 Depth=1
	v_cmp_ne_u16_sdwa s[4:5], v1, s52 src0_sel:BYTE_0 src1_sel:DWORD
	v_mov_b32_e32 v52, 0x8000
	s_and_saveexec_b64 s[42:43], s[4:5]
	s_cbranch_execz .LBB241_179
; %bb.176:                              ;   in Loop: Header=BB241_13 Depth=1
	v_and_b32_e32 v53, 0x7f, v1
	v_cmp_ne_u32_e64 s[4:5], s53, v53
	v_mov_b32_e32 v52, 0x7c01
	s_and_saveexec_b64 s[44:45], s[4:5]
	s_cbranch_execz .LBB241_178
; %bb.177:                              ;   in Loop: Header=BB241_13 Depth=1
	v_and_b32_e32 v52, 7, v1
	v_ffbh_u32_e32 v54, v52
	v_min_u32_e32 v57, 32, v54
	v_subrev_u32_e32 v54, 28, v57
	v_lshlrev_b64 v[54:55], v54, v[1:2]
	v_lshrrev_b32_e32 v56, 3, v53
	v_sub_u32_e32 v55, 29, v57
	v_cmp_gt_u32_e64 s[4:5], 8, v53
	v_cndmask_b32_e64 v53, v56, v55, s[4:5]
	v_lshl_add_u32 v53, v53, 10, v21
	v_lshlrev_b32_e32 v55, 8, v1
	v_and_b32_e32 v54, 7, v54
	v_and_b32_e32 v53, 0xfc00, v53
	v_cndmask_b32_e64 v52, v52, v54, s[4:5]
	v_and_or_b32 v53, v55, s54, v53
	v_lshl_or_b32 v52, v52, 7, v53
.LBB241_178:                            ;   in Loop: Header=BB241_13 Depth=1
	s_or_b64 exec, exec, s[44:45]
.LBB241_179:                            ;   in Loop: Header=BB241_13 Depth=1
	s_or_b64 exec, exec, s[42:43]
.LBB241_180:                            ;   in Loop: Header=BB241_13 Depth=1
	s_or_b64 exec, exec, s[40:41]
	v_lshrrev_b16_e32 v1, 8, v1
	v_cmp_ne_u16_e64 s[4:5], 0, v1
	s_and_saveexec_b64 s[40:41], s[4:5]
	s_cbranch_execz .LBB241_186
; %bb.181:                              ;   in Loop: Header=BB241_13 Depth=1
	v_cmp_ne_u16_e64 s[4:5], s52, v1
	v_bfrev_b32_e32 v51, 1
	s_and_saveexec_b64 s[42:43], s[4:5]
	s_cbranch_execz .LBB241_185
; %bb.182:                              ;   in Loop: Header=BB241_13 Depth=1
	v_and_b32_e32 v53, 0x7f, v1
	v_cmp_ne_u32_e64 s[4:5], s53, v53
	v_mov_b32_e32 v51, 0x7c010000
	s_and_saveexec_b64 s[44:45], s[4:5]
	s_cbranch_execz .LBB241_184
; %bb.183:                              ;   in Loop: Header=BB241_13 Depth=1
	v_and_b32_e32 v51, 7, v1
	v_ffbh_u32_e32 v54, v51
	v_min_u32_e32 v57, 32, v54
	v_subrev_u32_e32 v54, 28, v57
	v_lshlrev_b64 v[54:55], v54, v[1:2]
	v_lshrrev_b32_e32 v56, 3, v53
	v_sub_u32_e32 v55, 29, v57
	v_cmp_gt_u32_e64 s[4:5], 8, v53
	v_cndmask_b32_e64 v53, v56, v55, s[4:5]
	v_lshlrev_b32_e32 v1, 8, v1
	v_lshl_add_u32 v53, v53, 10, v21
	v_and_b32_e32 v54, 7, v54
	v_and_or_b32 v1, v1, s54, v53
	v_cndmask_b32_e64 v51, v51, v54, s[4:5]
	v_lshlrev_b32_e32 v1, 16, v1
	v_lshl_or_b32 v51, v51, 23, v1
.LBB241_184:                            ;   in Loop: Header=BB241_13 Depth=1
	s_or_b64 exec, exec, s[44:45]
.LBB241_185:                            ;   in Loop: Header=BB241_13 Depth=1
	s_or_b64 exec, exec, s[42:43]
.LBB241_186:                            ;   in Loop: Header=BB241_13 Depth=1
	s_or_b64 exec, exec, s[40:41]
	global_load_ushort v7, v[7:8], off offset:1792
	v_mov_b32_e32 v8, 0
	v_mov_b32_e32 v53, 0
	s_waitcnt vmcnt(0)
	v_and_b32_e32 v1, 0xffff, v7
	v_cmp_ne_u16_sdwa s[4:5], v7, v2 src0_sel:BYTE_0 src1_sel:DWORD
	s_and_saveexec_b64 s[40:41], s[4:5]
	s_cbranch_execz .LBB241_192
; %bb.187:                              ;   in Loop: Header=BB241_13 Depth=1
	v_cmp_ne_u16_sdwa s[4:5], v1, s52 src0_sel:BYTE_0 src1_sel:DWORD
	v_mov_b32_e32 v53, 0x8000
	s_and_saveexec_b64 s[42:43], s[4:5]
	s_cbranch_execz .LBB241_191
; %bb.188:                              ;   in Loop: Header=BB241_13 Depth=1
	v_and_b32_e32 v7, 0x7f, v1
	v_cmp_ne_u32_e64 s[4:5], s53, v7
	v_mov_b32_e32 v53, 0x7c01
	s_and_saveexec_b64 s[44:45], s[4:5]
	s_cbranch_execz .LBB241_190
; %bb.189:                              ;   in Loop: Header=BB241_13 Depth=1
	v_and_b32_e32 v55, 7, v1
	v_ffbh_u32_e32 v53, v55
	v_min_u32_e32 v57, 32, v53
	v_subrev_u32_e32 v53, 28, v57
	v_lshlrev_b64 v[53:54], v53, v[1:2]
	v_lshrrev_b32_e32 v56, 3, v7
	v_sub_u32_e32 v54, 29, v57
	v_cmp_gt_u32_e64 s[4:5], 8, v7
	v_cndmask_b32_e64 v7, v56, v54, s[4:5]
	v_lshl_add_u32 v7, v7, 10, v21
	v_lshlrev_b32_e32 v54, 8, v1
	v_and_b32_e32 v53, 7, v53
	v_and_b32_e32 v7, 0xfc00, v7
	v_cndmask_b32_e64 v53, v55, v53, s[4:5]
	v_and_or_b32 v7, v54, s54, v7
	v_lshl_or_b32 v53, v53, 7, v7
.LBB241_190:                            ;   in Loop: Header=BB241_13 Depth=1
	s_or_b64 exec, exec, s[44:45]
.LBB241_191:                            ;   in Loop: Header=BB241_13 Depth=1
	s_or_b64 exec, exec, s[42:43]
.LBB241_192:                            ;   in Loop: Header=BB241_13 Depth=1
	s_or_b64 exec, exec, s[40:41]
	v_lshrrev_b16_e32 v1, 8, v1
	v_cmp_ne_u16_e64 s[4:5], 0, v1
	s_and_saveexec_b64 s[40:41], s[4:5]
	s_cbranch_execz .LBB241_198
; %bb.193:                              ;   in Loop: Header=BB241_13 Depth=1
	v_cmp_ne_u16_e64 s[4:5], s52, v1
	v_bfrev_b32_e32 v8, 1
	s_and_saveexec_b64 s[42:43], s[4:5]
	s_cbranch_execz .LBB241_197
; %bb.194:                              ;   in Loop: Header=BB241_13 Depth=1
	v_and_b32_e32 v7, 0x7f, v1
	v_cmp_ne_u32_e64 s[4:5], s53, v7
	v_mov_b32_e32 v8, 0x7c010000
	s_and_saveexec_b64 s[44:45], s[4:5]
	s_cbranch_execz .LBB241_196
; %bb.195:                              ;   in Loop: Header=BB241_13 Depth=1
	v_and_b32_e32 v8, 7, v1
	v_ffbh_u32_e32 v54, v8
	v_min_u32_e32 v57, 32, v54
	v_subrev_u32_e32 v54, 28, v57
	v_lshlrev_b64 v[54:55], v54, v[1:2]
	v_lshrrev_b32_e32 v56, 3, v7
	v_sub_u32_e32 v55, 29, v57
	v_cmp_gt_u32_e64 s[4:5], 8, v7
	v_cndmask_b32_e64 v7, v56, v55, s[4:5]
	v_lshlrev_b32_e32 v1, 8, v1
	v_lshl_add_u32 v7, v7, 10, v21
	v_and_b32_e32 v54, 7, v54
	v_and_or_b32 v1, v1, s54, v7
	v_cndmask_b32_e64 v8, v8, v54, s[4:5]
	v_lshlrev_b32_e32 v1, 16, v1
	v_lshl_or_b32 v8, v8, 23, v1
.LBB241_196:                            ;   in Loop: Header=BB241_13 Depth=1
	s_or_b64 exec, exec, s[44:45]
.LBB241_197:                            ;   in Loop: Header=BB241_13 Depth=1
	s_or_b64 exec, exec, s[42:43]
.LBB241_198:                            ;   in Loop: Header=BB241_13 Depth=1
	s_or_b64 exec, exec, s[40:41]
	v_or_b32_e32 v1, v51, v52
	v_fma_mixlo_f16 v7, v24, v1, 0 op_sel_hi:[0,1,0]
	v_fma_mixlo_f16 v1, v24, v51, 0 op_sel:[0,1,0] op_sel_hi:[0,1,0]
	v_or_b32_e32 v48, v47, v48
	v_or_b32_e32 v50, v49, v50
	;; [unrolled: 1-line block ×13, first 2 shown]
	v_fma_mixlo_f16 v51, v24, v25, 0 op_sel:[0,1,0] op_sel_hi:[0,1,0]
	v_or_b32_e32 v25, v8, v53
	v_fma_mixlo_f16 v48, v24, v48, 0 op_sel_hi:[0,1,0]
	v_fma_mixlo_f16 v47, v24, v47, 0 op_sel:[0,1,0] op_sel_hi:[0,1,0]
	v_fma_mixlo_f16 v50, v24, v50, 0 op_sel_hi:[0,1,0]
	v_fma_mixlo_f16 v49, v24, v49, 0 op_sel:[0,1,0] op_sel_hi:[0,1,0]
	;; [unrolled: 2-line block ×12, first 2 shown]
	v_fma_mixlo_f16 v26, v24, v26, 0 op_sel_hi:[0,1,0]
	v_fma_mixlo_f16 v25, v24, v25, 0 op_sel_hi:[0,1,0]
	v_fma_mixlo_f16 v8, v24, v8, 0 op_sel:[0,1,0] op_sel_hi:[0,1,0]
	ds_read_b32 v24, v14
	v_and_b32_e32 v28, 0xffff, v28
	v_and_b32_e32 v27, 0xffff, v27
	;; [unrolled: 1-line block ×4, first 2 shown]
	s_waitcnt lgkmcnt(0)
	v_lshrrev_b32_e32 v53, 16, v24
	v_and_b32_e32 v24, 0xffff, v24
	;;#ASMSTART
	v_cvt_f32_f16 v52, v24;
	;;#ASMEND
	v_and_b32_e32 v24, 0xffff, v26
	;;#ASMSTART
	v_cvt_f32_f16 v53, v53;
	;;#ASMEND
	;;#ASMSTART
	v_cvt_f32_f16 v26, v24;
	;;#ASMEND
	v_and_b32_e32 v24, 0xffff, v51
	;;#ASMSTART
	v_cvt_f32_f16 v51, v24;
	;;#ASMEND
	ds_read_b32 v24, v14 offset:4
	v_and_b32_e32 v7, 0xffff, v7
	v_and_b32_e32 v1, 0xffff, v1
	v_and_b32_e32 v25, 0xffff, v25
	v_and_b32_e32 v8, 0xffff, v8
	s_waitcnt lgkmcnt(0)
	v_lshrrev_b32_e32 v54, 16, v24
	v_and_b32_e32 v24, 0xffff, v24
	;;#ASMSTART
	v_cvt_f32_f16 v24, v24;
	;;#ASMEND
	;;#ASMSTART
	v_cvt_f32_f16 v54, v54;
	;;#ASMEND
	;; [unrolled: 3-line block ×4, first 2 shown]
	v_mul_f32_e32 v24, v24, v28
	v_fmac_f32_e32 v24, v52, v26
	v_mul_f32_e32 v26, v54, v27
	ds_read_b32 v27, v14 offset:8
	v_fmac_f32_e32 v26, v53, v51
	s_waitcnt lgkmcnt(0)
	v_lshrrev_b32_e32 v28, 16, v27
	v_and_b32_e32 v27, 0xffff, v27
	;;#ASMSTART
	v_cvt_f32_f16 v27, v27;
	;;#ASMEND
	;;#ASMSTART
	v_cvt_f32_f16 v28, v28;
	;;#ASMEND
	;;#ASMSTART
	v_cvt_f32_f16 v30, v30;
	;;#ASMEND
	;;#ASMSTART
	v_cvt_f32_f16 v29, v29;
	;;#ASMEND
	v_fmac_f32_e32 v24, v27, v30
	ds_read_b32 v27, v14 offset:12
	v_fmac_f32_e32 v26, v28, v29
	v_and_b32_e32 v29, 0xffff, v32
	v_and_b32_e32 v30, 0xffff, v31
	s_waitcnt lgkmcnt(0)
	v_lshrrev_b32_e32 v28, 16, v27
	v_and_b32_e32 v27, 0xffff, v27
	;;#ASMSTART
	v_cvt_f32_f16 v27, v27;
	;;#ASMEND
	;;#ASMSTART
	v_cvt_f32_f16 v28, v28;
	;;#ASMEND
	;;#ASMSTART
	v_cvt_f32_f16 v29, v29;
	;;#ASMEND
	;;#ASMSTART
	v_cvt_f32_f16 v30, v30;
	;;#ASMEND
	v_fmac_f32_e32 v24, v27, v29
	ds_read_b32 v27, v14 offset:16
	v_fmac_f32_e32 v26, v28, v30
	v_and_b32_e32 v29, 0xffff, v34
	v_and_b32_e32 v30, 0xffff, v33
	s_waitcnt lgkmcnt(0)
	v_lshrrev_b32_e32 v28, 16, v27
	v_and_b32_e32 v27, 0xffff, v27
	;;#ASMSTART
	v_cvt_f32_f16 v27, v27;
	;;#ASMEND
	;;#ASMSTART
	v_cvt_f32_f16 v28, v28;
	;;#ASMEND
	;;#ASMSTART
	v_cvt_f32_f16 v29, v29;
	;;#ASMEND
	;;#ASMSTART
	v_cvt_f32_f16 v30, v30;
	;;#ASMEND
	v_fmac_f32_e32 v24, v27, v29
	ds_read_b32 v27, v14 offset:20
	v_fmac_f32_e32 v26, v28, v30
	v_and_b32_e32 v29, 0xffff, v36
	v_and_b32_e32 v30, 0xffff, v35
	s_waitcnt lgkmcnt(0)
	v_lshrrev_b32_e32 v28, 16, v27
	v_and_b32_e32 v27, 0xffff, v27
	;;#ASMSTART
	v_cvt_f32_f16 v27, v27;
	;;#ASMEND
	;;#ASMSTART
	v_cvt_f32_f16 v28, v28;
	;;#ASMEND
	;;#ASMSTART
	v_cvt_f32_f16 v29, v29;
	;;#ASMEND
	;;#ASMSTART
	v_cvt_f32_f16 v30, v30;
	;;#ASMEND
	v_fmac_f32_e32 v24, v27, v29
	ds_read_b32 v27, v14 offset:24
	v_fmac_f32_e32 v26, v28, v30
	v_and_b32_e32 v29, 0xffff, v38
	v_and_b32_e32 v30, 0xffff, v37
	s_waitcnt lgkmcnt(0)
	v_lshrrev_b32_e32 v28, 16, v27
	v_and_b32_e32 v27, 0xffff, v27
	;;#ASMSTART
	v_cvt_f32_f16 v27, v27;
	;;#ASMEND
	;;#ASMSTART
	v_cvt_f32_f16 v28, v28;
	;;#ASMEND
	;;#ASMSTART
	v_cvt_f32_f16 v29, v29;
	;;#ASMEND
	;;#ASMSTART
	v_cvt_f32_f16 v30, v30;
	;;#ASMEND
	v_fmac_f32_e32 v24, v27, v29
	ds_read_b32 v27, v14 offset:28
	v_fmac_f32_e32 v26, v28, v30
	v_and_b32_e32 v29, 0xffff, v40
	v_and_b32_e32 v30, 0xffff, v39
	s_waitcnt lgkmcnt(0)
	v_lshrrev_b32_e32 v28, 16, v27
	v_and_b32_e32 v27, 0xffff, v27
	;;#ASMSTART
	v_cvt_f32_f16 v27, v27;
	;;#ASMEND
	;;#ASMSTART
	v_cvt_f32_f16 v28, v28;
	;;#ASMEND
	;;#ASMSTART
	v_cvt_f32_f16 v29, v29;
	;;#ASMEND
	;;#ASMSTART
	v_cvt_f32_f16 v30, v30;
	;;#ASMEND
	v_fmac_f32_e32 v24, v27, v29
	ds_read_b32 v27, v14 offset:32
	v_fmac_f32_e32 v26, v28, v30
	v_and_b32_e32 v29, 0xffff, v42
	v_and_b32_e32 v30, 0xffff, v41
	s_waitcnt lgkmcnt(0)
	v_lshrrev_b32_e32 v28, 16, v27
	v_and_b32_e32 v27, 0xffff, v27
	;;#ASMSTART
	v_cvt_f32_f16 v27, v27;
	;;#ASMEND
	;;#ASMSTART
	v_cvt_f32_f16 v28, v28;
	;;#ASMEND
	;;#ASMSTART
	v_cvt_f32_f16 v29, v29;
	;;#ASMEND
	;;#ASMSTART
	v_cvt_f32_f16 v30, v30;
	;;#ASMEND
	v_fmac_f32_e32 v24, v27, v29
	ds_read_b32 v27, v14 offset:36
	v_fmac_f32_e32 v26, v28, v30
	v_and_b32_e32 v29, 0xffff, v44
	v_and_b32_e32 v30, 0xffff, v43
	s_waitcnt lgkmcnt(0)
	v_lshrrev_b32_e32 v28, 16, v27
	v_and_b32_e32 v27, 0xffff, v27
	;;#ASMSTART
	v_cvt_f32_f16 v27, v27;
	;;#ASMEND
	;;#ASMSTART
	v_cvt_f32_f16 v28, v28;
	;;#ASMEND
	;;#ASMSTART
	v_cvt_f32_f16 v29, v29;
	;;#ASMEND
	;;#ASMSTART
	v_cvt_f32_f16 v30, v30;
	;;#ASMEND
	v_fmac_f32_e32 v24, v27, v29
	ds_read_b32 v27, v14 offset:40
	v_fmac_f32_e32 v26, v28, v30
	v_and_b32_e32 v29, 0xffff, v46
	v_and_b32_e32 v30, 0xffff, v45
	s_waitcnt lgkmcnt(0)
	v_lshrrev_b32_e32 v28, 16, v27
	v_and_b32_e32 v27, 0xffff, v27
	;;#ASMSTART
	v_cvt_f32_f16 v27, v27;
	;;#ASMEND
	;;#ASMSTART
	v_cvt_f32_f16 v28, v28;
	;;#ASMEND
	;;#ASMSTART
	v_cvt_f32_f16 v29, v29;
	;;#ASMEND
	;;#ASMSTART
	v_cvt_f32_f16 v30, v30;
	;;#ASMEND
	v_fmac_f32_e32 v24, v27, v29
	ds_read_b32 v27, v14 offset:44
	v_fmac_f32_e32 v26, v28, v30
	v_and_b32_e32 v29, 0xffff, v50
	v_and_b32_e32 v30, 0xffff, v49
	s_waitcnt lgkmcnt(0)
	v_lshrrev_b32_e32 v28, 16, v27
	v_and_b32_e32 v27, 0xffff, v27
	;;#ASMSTART
	v_cvt_f32_f16 v27, v27;
	;;#ASMEND
	;;#ASMSTART
	v_cvt_f32_f16 v28, v28;
	;;#ASMEND
	;;#ASMSTART
	v_cvt_f32_f16 v29, v29;
	;;#ASMEND
	;;#ASMSTART
	v_cvt_f32_f16 v30, v30;
	;;#ASMEND
	v_fmac_f32_e32 v24, v27, v29
	ds_read_b32 v27, v14 offset:48
	v_fmac_f32_e32 v26, v28, v30
	v_and_b32_e32 v29, 0xffff, v48
	v_and_b32_e32 v30, 0xffff, v47
	s_waitcnt lgkmcnt(0)
	v_lshrrev_b32_e32 v28, 16, v27
	v_and_b32_e32 v27, 0xffff, v27
	;;#ASMSTART
	v_cvt_f32_f16 v27, v27;
	;;#ASMEND
	;;#ASMSTART
	v_cvt_f32_f16 v28, v28;
	;;#ASMEND
	;; [unrolled: 3-line block ×4, first 2 shown]
	v_fmac_f32_e32 v24, v27, v29
	ds_read_b32 v27, v14 offset:52
	v_fmac_f32_e32 v26, v28, v30
	s_waitcnt lgkmcnt(0)
	v_lshrrev_b32_e32 v28, 16, v27
	v_and_b32_e32 v27, 0xffff, v27
	;;#ASMSTART
	v_cvt_f32_f16 v27, v27;
	;;#ASMEND
	;;#ASMSTART
	v_cvt_f32_f16 v28, v28;
	;;#ASMEND
	;; [unrolled: 3-line block ×4, first 2 shown]
	v_fmac_f32_e32 v26, v28, v1
	ds_read_b32 v1, v14 offset:56
	v_fmac_f32_e32 v24, v27, v7
	s_waitcnt lgkmcnt(0)
	v_lshrrev_b32_e32 v7, 16, v1
	v_and_b32_e32 v1, 0xffff, v1
	;;#ASMSTART
	v_cvt_f32_f16 v1, v1;
	;;#ASMEND
	;;#ASMSTART
	v_cvt_f32_f16 v7, v7;
	;;#ASMEND
	;; [unrolled: 3-line block ×4, first 2 shown]
	v_fmac_f32_e32 v26, v7, v8
	v_and_b32_e32 v7, 64, v22
	v_add_u32_e32 v7, 64, v7
	v_xor_b32_e32 v8, 2, v22
	v_cmp_lt_i32_e64 s[4:5], v8, v7
	v_fmac_f32_e32 v24, v1, v25
	v_cndmask_b32_e64 v8, v22, v8, s[4:5]
	v_add_f32_e32 v1, v24, v26
	v_lshlrev_b32_e32 v8, 2, v8
	ds_bpermute_b32 v8, v8, v1
	s_waitcnt lgkmcnt(0)
	v_add_f32_e32 v1, v1, v8
	v_xor_b32_e32 v8, 1, v22
	v_cmp_lt_i32_e64 s[4:5], v8, v7
	v_cndmask_b32_e64 v7, v22, v8, s[4:5]
	v_lshlrev_b32_e32 v7, 2, v7
	ds_bpermute_b32 v7, v7, v1
	s_and_saveexec_b64 s[40:41], vcc
	s_cbranch_execz .LBB241_11
; %bb.199:                              ;   in Loop: Header=BB241_13 Depth=1
	v_add_u32_e32 v8, v18, v17
	v_cvt_f32_i32_e32 v8, v8
	s_waitcnt lgkmcnt(0)
	v_add_f32_e32 v1, v1, v7
	v_add_u32_e32 v24, v13, v17
	v_cmp_gt_i32_e64 s[4:5], s33, v24
	v_mul_f32_e32 v7, s49, v8
	v_cndmask_b32_e64 v7, 0, v7, s[2:3]
	v_fmac_f32_e32 v7, s37, v1
	v_cndmask_b32_e64 v1, 0, v7, s[4:5]
	ds_write_b32 v19, v1
	v_max_f32_e32 v1, v16, v16
	v_max_f32_e32 v1, v1, v7
	v_cndmask_b32_e64 v16, v16, v1, s[4:5]
	s_branch .LBB241_11
.LBB241_200:
	s_or_b64 exec, exec, s[38:39]
.LBB241_201:
	s_or_b64 exec, exec, s[18:19]
	v_mbcnt_hi_u32_b32 v2, -1, v10
	v_and_b32_e32 v14, 64, v2
	v_add_u32_e32 v3, 64, v14
	v_xor_b32_e32 v1, 32, v2
	v_cmp_lt_i32_e32 vcc, v1, v3
	v_cndmask_b32_e32 v1, v2, v1, vcc
	v_lshlrev_b32_e32 v4, 2, v1
	ds_bpermute_b32 v1, v4, v16
	v_xor_b32_e32 v6, 16, v2
	v_max_f32_e32 v5, v16, v16
	v_cmp_lt_i32_e32 vcc, v6, v3
	s_waitcnt lgkmcnt(1)
	v_xor_b32_e32 v7, 8, v2
	s_waitcnt lgkmcnt(0)
	v_max_f32_e32 v1, v1, v1
	v_max_f32_e32 v1, v5, v1
	v_cndmask_b32_e32 v5, v2, v6, vcc
	v_lshlrev_b32_e32 v5, 2, v5
	ds_bpermute_b32 v6, v5, v1
	v_cmp_lt_i32_e32 vcc, v7, v3
	v_xor_b32_e32 v10, 4, v2
	s_waitcnt lgkmcnt(0)
	v_max_f32_e32 v6, v6, v6
	v_max_f32_e32 v1, v1, v6
	v_cndmask_b32_e32 v6, v2, v7, vcc
	v_lshlrev_b32_e32 v8, 2, v6
	ds_bpermute_b32 v6, v8, v1
	v_cmp_lt_i32_e32 vcc, v10, v3
	s_waitcnt lgkmcnt(0)
	v_max_f32_e32 v6, v6, v6
	v_max_f32_e32 v7, v1, v6
	v_cndmask_b32_e32 v1, v2, v10, vcc
	v_lshlrev_b32_e32 v10, 2, v1
	ds_bpermute_b32 v13, v10, v7
	v_and_b32_e32 v1, 63, v0
	v_cmp_eq_u32_e32 vcc, 0, v1
	v_lshlrev_b32_e32 v6, 2, v11
	s_and_saveexec_b64 s[2:3], vcc
	s_cbranch_execz .LBB241_203
; %bb.202:
	s_waitcnt lgkmcnt(0)
	v_max_f32_e32 v13, v13, v13
	v_max_f32_e32 v7, v7, v7
	;; [unrolled: 1-line block ×3, first 2 shown]
	ds_write_b32 v6, v7 offset:240
.LBB241_203:
	s_or_b64 exec, exec, s[2:3]
	v_cmp_gt_u32_e64 s[2:3], 2, v1
	v_mov_b32_e32 v15, 0xff7fffff
	v_lshlrev_b32_e32 v7, 2, v1
	s_waitcnt lgkmcnt(0)
	s_barrier
	s_and_saveexec_b64 s[4:5], s[2:3]
; %bb.204:
	ds_read_b32 v15, v7 offset:240
; %bb.205:
	s_or_b64 exec, exec, s[4:5]
	v_xor_b32_e32 v13, 1, v2
	v_cmp_lt_i32_e64 s[4:5], v13, v3
	v_cndmask_b32_e64 v13, v2, v13, s[4:5]
	v_lshlrev_b32_e32 v13, 2, v13
	s_waitcnt lgkmcnt(0)
	ds_bpermute_b32 v16, v13, v15
	v_max_f32_e32 v15, v15, v15
	v_lshlrev_b32_e32 v14, 2, v14
	s_lshl_b32 s4, s48, 4
	s_min_i32 s23, s4, s33
	s_waitcnt lgkmcnt(0)
	v_max_f32_e32 v16, v16, v16
	v_max_f32_e32 v15, v15, v16
	ds_bpermute_b32 v15, v14, v15
	v_cmp_gt_i32_e64 s[4:5], s23, v0
	v_mov_b32_e32 v14, 0
	s_and_saveexec_b64 s[12:13], s[4:5]
	s_cbranch_execz .LBB241_209
; %bb.206:
	v_mov_b32_e32 v14, 0x100
	v_lshl_add_u32 v16, v0, 2, v14
	v_mov_b32_e32 v14, 0
	s_mov_b64 s[18:19], 0
	v_mov_b32_e32 v17, v0
.LBB241_207:                            ; =>This Inner Loop Header: Depth=1
	ds_read_b32 v18, v16
	v_add_u32_e32 v17, 0x80, v17
	v_cmp_le_i32_e64 s[6:7], s23, v17
	s_or_b64 s[18:19], s[6:7], s[18:19]
	s_waitcnt lgkmcnt(0)
	v_sub_f32_e32 v18, v18, v15
	v_mul_f32_e32 v18, 0x3fb8aa3b, v18
	v_exp_f32_e32 v18, v18
	ds_write_b32 v16, v18
	v_add_f32_e32 v14, v14, v18
	v_add_u32_e32 v16, 0x200, v16
	s_andn2_b64 exec, exec, s[18:19]
	s_cbranch_execnz .LBB241_207
; %bb.208:
	s_or_b64 exec, exec, s[18:19]
.LBB241_209:
	s_or_b64 exec, exec, s[12:13]
	ds_bpermute_b32 v4, v4, v14
	s_waitcnt lgkmcnt(0)
	v_add_f32_e32 v4, v14, v4
	ds_bpermute_b32 v5, v5, v4
	s_waitcnt lgkmcnt(0)
	v_add_f32_e32 v4, v4, v5
	ds_bpermute_b32 v5, v8, v4
	v_xor_b32_e32 v8, 2, v2
	v_cmp_lt_i32_e64 s[6:7], v8, v3
	v_cndmask_b32_e64 v3, v2, v8, s[6:7]
	v_lshlrev_b32_e32 v3, 2, v3
	s_waitcnt lgkmcnt(0)
	v_add_f32_e32 v4, v4, v5
	ds_bpermute_b32 v5, v10, v4
	s_waitcnt lgkmcnt(0)
	v_add_f32_e32 v4, v4, v5
	ds_bpermute_b32 v3, v3, v4
	;; [unrolled: 3-line block ×3, first 2 shown]
	s_waitcnt lgkmcnt(0)
	v_add_f32_e32 v3, v3, v4
	s_and_saveexec_b64 s[6:7], vcc
; %bb.210:
	ds_write_b32 v6, v3 offset:248
; %bb.211:
	s_or_b64 exec, exec, s[6:7]
	s_waitcnt lgkmcnt(0)
	s_barrier
	s_and_saveexec_b64 s[6:7], s[2:3]
; %bb.212:
	ds_read_b32 v3, v7 offset:248
; %bb.213:
	s_or_b64 exec, exec, s[6:7]
	s_waitcnt lgkmcnt(0)
	ds_bpermute_b32 v4, v13, v3
	v_lshlrev_b32_e32 v2, 2, v2
	v_and_b32_e32 v2, 0x100, v2
	s_waitcnt lgkmcnt(0)
	v_add_f32_e32 v3, v3, v4
	ds_bpermute_b32 v2, v2, v3
	s_and_saveexec_b64 s[2:3], s[4:5]
	s_cbranch_execz .LBB241_216
; %bb.214:
	s_waitcnt lgkmcnt(0)
	v_add_f32_e32 v3, 0x358637bd, v2
	v_div_scale_f32 v2, s[4:5], v3, v3, 1.0
	v_div_scale_f32 v4, vcc, 1.0, v3, 1.0
	s_mov_b64 s[4:5], 0
	v_rcp_f32_e32 v5, v2
	v_fma_f32 v6, -v2, v5, 1.0
	v_fmac_f32_e32 v5, v6, v5
	v_mul_f32_e32 v6, v4, v5
	v_fma_f32 v7, -v2, v6, v4
	v_fmac_f32_e32 v6, v7, v5
	v_fma_f32 v2, -v2, v6, v4
	v_div_fmas_f32 v4, v2, v5, v6
	v_mov_b32_e32 v2, 0x100
	v_lshl_add_u32 v2, v0, 2, v2
	v_div_fixup_f32 v3, v4, v3, 1.0
	v_mov_b32_e32 v4, v0
.LBB241_215:                            ; =>This Inner Loop Header: Depth=1
	ds_read_b32 v5, v2
	v_add_u32_e32 v4, 0x80, v4
	v_cmp_le_i32_e32 vcc, s23, v4
	s_or_b64 s[4:5], vcc, s[4:5]
	s_waitcnt lgkmcnt(0)
	v_mul_f32_e32 v5, v3, v5
	ds_write_b32 v2, v5
	v_add_u32_e32 v2, 0x200, v2
	s_andn2_b64 exec, exec, s[4:5]
	s_cbranch_execnz .LBB241_215
.LBB241_216:
	s_or_b64 exec, exec, s[2:3]
	v_lshrrev_b32_e32 v14, 1, v1
	s_waitcnt lgkmcnt(0)
	s_barrier
	s_and_saveexec_b64 s[2:3], s[0:1]
	s_xor_b64 s[0:1], exec, s[2:3]
; %bb.217:
	v_lshrrev_b32_e32 v14, 1, v1
                                        ; implicit-def: $vgpr12
                                        ; implicit-def: $vgpr11
                                        ; implicit-def: $vgpr9
; %bb.218:
	s_or_saveexec_b64 s[4:5], s[0:1]
	v_mov_b32_e32 v17, 0
	v_and_b32_e32 v15, 1, v0
	v_mov_b32_e32 v18, 0
	v_mov_b32_e32 v16, 0
	;; [unrolled: 1-line block ×3, first 2 shown]
	s_xor_b64 exec, exec, s[4:5]
	s_cbranch_execz .LBB241_426
; %bb.219:
	s_sub_i32 s37, s16, s21
	s_ashr_i32 s0, s20, 31
	s_add_u32 s6, s34, s20
	s_addc_u32 s7, s35, s0
	s_abs_i32 s34, s22
	v_cvt_f32_u32_e32 v1, s34
	s_sub_i32 s1, 0, s34
	v_lshlrev_b32_e32 v3, 3, v0
	v_or_b32_e32 v4, 0x60, v14
	v_rcp_iflag_f32_e32 v1, v1
	s_movk_i32 s0, 0x78
	v_and_b32_e32 v20, 8, v3
	v_cmp_gt_u32_e32 vcc, s0, v4
	v_mul_f32_e32 v1, 0x4f7ffffe, v1
	v_cvt_u32_f32_e32 v1, v1
	s_add_i32 s38, s48, -1
	v_and_b32_e32 v6, 60, v9
	v_lshl_or_b32 v22, v4, 4, v20
	v_mul_lo_u32 v5, s1, v1
	s_lshl_b64 s[0:1], s[30:31], 2
	s_add_u32 s0, s28, s0
	s_addc_u32 s1, s29, s1
	v_mul_hi_u32 v3, v1, v5
	s_mov_b32 s12, -1
	s_mov_b32 s35, s17
	s_mov_b32 s13, 0xffffff
	v_add_u32_e32 v23, v1, v3
	v_mov_b32_e32 v1, s1
	v_add_co_u32_e64 v3, s[0:1], s0, v6
	v_addc_co_u32_e64 v4, s[0:1], 0, v1, s[0:1]
	v_lshlrev_b32_e32 v1, 5, v15
	v_lshl_or_b32 v1, v11, 6, v1
	v_mov_b32_e32 v2, 0
	v_lshl_or_b32 v21, v14, 4, v20
	v_add_u32_e32 v24, 0x100, v1
	s_mov_b64 s[16:17], 0
	s_movk_i32 s39, 0x80
	s_movk_i32 s40, 0x7f
	s_mov_b32 s41, 0x8000
	v_mov_b32_e32 v25, 0x2000
	v_mov_b32_e32 v19, 0
	;; [unrolled: 1-line block ×5, first 2 shown]
	s_branch .LBB241_223
.LBB241_220:                            ;   in Loop: Header=BB241_223 Depth=1
	s_or_b64 exec, exec, s[2:3]
	;;#ASMSTART
	v_pk_mul_f16 v5, v32, v5;

	;;#ASMEND
	;;#ASMSTART
	v_pk_mul_f16 v1, v31, v1;

	;;#ASMEND
	;; [unrolled: 4-line block ×4, first 2 shown]
	;;#ASMSTART
	v_pk_add_f16 v1, v5, v1;

	;;#ASMEND
	;;#ASMSTART
	v_pk_add_f16 v1, v1, v6;

	;;#ASMEND
	;; [unrolled: 4-line block ×3, first 2 shown]
	v_lshrrev_b32_e32 v5, 16, v1
	v_and_b32_e32 v1, 0xffff, v1
	;;#ASMSTART
	v_cvt_f32_f16 v1, v1;
	;;#ASMEND
	;;#ASMSTART
	v_cvt_f32_f16 v5, v5;
	;;#ASMEND
	v_add_f32_e32 v1, v1, v5
	v_add_f32_e32 v19, v19, v1
.LBB241_221:                            ;   in Loop: Header=BB241_223 Depth=1
	s_or_b64 exec, exec, s[20:21]
	v_add_f32_e32 v1, v9, v10
	v_add_f32_e32 v18, v18, v1
	;; [unrolled: 1-line block ×6, first 2 shown]
.LBB241_222:                            ;   in Loop: Header=BB241_223 Depth=1
	s_or_b64 exec, exec, s[18:19]
	v_add_co_u32_e64 v3, s[0:1], 8, v3
	v_add_u32_e32 v11, 2, v11
	v_addc_co_u32_e64 v4, s[0:1], 0, v4, s[0:1]
	v_cmp_le_i32_e64 s[0:1], s48, v11
	v_add_u32_e32 v12, 32, v12
	s_or_b64 s[16:17], s[0:1], s[16:17]
	v_add_u32_e32 v24, 0x80, v24
	s_andn2_b64 exec, exec, s[16:17]
	s_cbranch_execz .LBB241_425
.LBB241_223:                            ; =>This Inner Loop Header: Depth=1
	v_mul_hi_u32 v1, v12, s46
	v_mul_lo_u32 v5, v1, s25
	v_add_u32_e32 v6, 1, v1
	v_sub_u32_e32 v5, v12, v5
	v_cmp_le_u32_e64 s[0:1], s25, v5
	v_cndmask_b32_e64 v1, v1, v6, s[0:1]
	v_subrev_u32_e32 v6, s25, v5
	v_cndmask_b32_e64 v5, v5, v6, s[0:1]
	v_add_u32_e32 v6, 1, v1
	v_cmp_le_u32_e64 s[0:1], s25, v5
	v_cndmask_b32_e64 v1, v1, v6, s[0:1]
	v_xor_b32_e32 v1, s47, v1
	v_subrev_u32_e32 v1, s47, v1
	v_add_u32_e32 v5, s36, v1
	v_sub_u32_e32 v6, 0, v5
	v_max_i32_e32 v6, v5, v6
	v_mul_hi_u32 v7, v6, v23
	v_ashrrev_i32_e32 v5, 31, v5
	v_cmp_lt_i32_e64 s[2:3], s37, v1
	v_mul_lo_u32 v7, v7, s34
	v_sub_u32_e32 v6, v6, v7
	v_subrev_u32_e32 v7, s34, v6
	v_cmp_le_u32_e64 s[0:1], s34, v6
	v_cndmask_b32_e64 v6, v6, v7, s[0:1]
	v_subrev_u32_e32 v7, s34, v6
	v_cmp_le_u32_e64 s[0:1], s34, v6
	v_cndmask_b32_e64 v6, v6, v7, s[0:1]
	v_xor_b32_e32 v6, v6, v5
	v_sub_u32_e32 v5, v6, v5
	v_cmp_eq_u32_e64 s[0:1], 0, v5
	s_or_b64 s[0:1], s[0:1], s[2:3]
	s_and_saveexec_b64 s[18:19], s[0:1]
	s_cbranch_execz .LBB241_222
; %bb.224:                              ;   in Loop: Header=BB241_223 Depth=1
	global_load_dword v1, v[3:4], off
	ds_read2_b64 v[5:8], v24 offset1:1
	ds_read2_b64 v[33:36], v24 offset0:2 offset1:3
	v_mov_b32_e32 v10, s7
	v_mov_b32_e32 v9, s6
	s_waitcnt lgkmcnt(1)
	;;#ASMSTART
	v_cvt_f16_f32 v27, v5;

	;;#ASMEND
	;;#ASMSTART
	v_cvt_f16_f32 v28, v6;

	;;#ASMEND
	;; [unrolled: 4-line block ×4, first 2 shown]
	s_waitcnt lgkmcnt(0)
	;;#ASMSTART
	v_cvt_f16_f32 v33, v33;

	;;#ASMEND
	;;#ASMSTART
	v_cvt_f16_f32 v34, v34;

	;;#ASMEND
	;; [unrolled: 4-line block ×4, first 2 shown]
	v_mov_b32_e32 v32, 0
	global_load_dword v31, v32, s[14:15]
	v_mov_b32_e32 v37, 0
	s_waitcnt vmcnt(1)
	v_mad_i64_i32 v[5:6], s[0:1], v1, s35, v[9:10]
	v_add_co_u32_e64 v7, s[0:1], v5, v21
	v_addc_co_u32_e64 v8, s[0:1], 0, v6, s[0:1]
	global_load_dwordx2 v[9:10], v[7:8], off
	s_waitcnt vmcnt(0)
	v_cmp_ne_u16_sdwa s[0:1], v9, v2 src0_sel:BYTE_0 src1_sel:DWORD
	s_and_saveexec_b64 s[2:3], s[0:1]
	s_cbranch_execz .LBB241_230
; %bb.225:                              ;   in Loop: Header=BB241_223 Depth=1
	v_cmp_ne_u16_sdwa s[0:1], v9, s39 src0_sel:BYTE_0 src1_sel:DWORD
	v_mov_b32_e32 v37, 0x8000
	s_and_saveexec_b64 s[20:21], s[0:1]
	s_cbranch_execz .LBB241_229
; %bb.226:                              ;   in Loop: Header=BB241_223 Depth=1
	v_and_b32_e32 v1, 0x7f, v9
	v_cmp_ne_u32_e64 s[0:1], s40, v1
	v_mov_b32_e32 v37, 0x7c01
	s_and_saveexec_b64 s[22:23], s[0:1]
	s_cbranch_execz .LBB241_228
; %bb.227:                              ;   in Loop: Header=BB241_223 Depth=1
	v_and_b32_e32 v26, 7, v9
	v_ffbh_u32_e32 v37, v26
	v_min_u32_e32 v40, 32, v37
	v_subrev_u32_e32 v37, 28, v40
	v_lshlrev_b64 v[37:38], v37, v[9:10]
	v_lshrrev_b32_e32 v39, 3, v1
	v_sub_u32_e32 v38, 29, v40
	v_cmp_gt_u32_e64 s[0:1], 8, v1
	v_cndmask_b32_e64 v1, v39, v38, s[0:1]
	v_lshl_add_u32 v1, v1, 10, v25
	v_lshlrev_b32_e32 v38, 8, v9
	v_and_b32_e32 v37, 7, v37
	v_and_b32_e32 v1, 0xfc00, v1
	v_cndmask_b32_e64 v26, v26, v37, s[0:1]
	v_and_or_b32 v1, v38, s41, v1
	v_lshl_or_b32 v37, v26, 7, v1
.LBB241_228:                            ;   in Loop: Header=BB241_223 Depth=1
	s_or_b64 exec, exec, s[22:23]
.LBB241_229:                            ;   in Loop: Header=BB241_223 Depth=1
	s_or_b64 exec, exec, s[20:21]
.LBB241_230:                            ;   in Loop: Header=BB241_223 Depth=1
	s_or_b64 exec, exec, s[2:3]
	v_lshrrev_b16_e32 v1, 8, v9
	v_cmp_ne_u16_e64 s[0:1], 0, v1
	s_and_saveexec_b64 s[2:3], s[0:1]
	s_cbranch_execz .LBB241_236
; %bb.231:                              ;   in Loop: Header=BB241_223 Depth=1
	v_cmp_ne_u16_e64 s[0:1], s39, v1
	v_bfrev_b32_e32 v32, 1
	s_and_saveexec_b64 s[20:21], s[0:1]
	s_cbranch_execz .LBB241_235
; %bb.232:                              ;   in Loop: Header=BB241_223 Depth=1
	v_and_b32_e32 v26, 0x7f, v1
	v_cmp_ne_u32_e64 s[0:1], s40, v26
	v_mov_b32_e32 v32, 0x7c010000
	s_and_saveexec_b64 s[22:23], s[0:1]
	s_cbranch_execz .LBB241_234
; %bb.233:                              ;   in Loop: Header=BB241_223 Depth=1
	v_and_b32_e32 v32, 7, v1
	v_ffbh_u32_e32 v38, v32
	v_min_u32_e32 v41, 32, v38
	v_subrev_u32_e32 v38, 28, v41
	v_lshlrev_b64 v[38:39], v38, v[1:2]
	v_lshrrev_b32_e32 v40, 3, v26
	v_sub_u32_e32 v39, 29, v41
	v_cmp_gt_u32_e64 s[0:1], 8, v26
	v_cndmask_b32_e64 v26, v40, v39, s[0:1]
	v_lshlrev_b32_e32 v1, 8, v1
	v_lshl_add_u32 v26, v26, 10, v25
	v_and_b32_e32 v38, 7, v38
	v_and_or_b32 v1, v1, s41, v26
	v_cndmask_b32_e64 v32, v32, v38, s[0:1]
	v_lshlrev_b32_e32 v1, 16, v1
	v_lshl_or_b32 v32, v32, 23, v1
.LBB241_234:                            ;   in Loop: Header=BB241_223 Depth=1
	s_or_b64 exec, exec, s[22:23]
.LBB241_235:                            ;   in Loop: Header=BB241_223 Depth=1
	s_or_b64 exec, exec, s[20:21]
.LBB241_236:                            ;   in Loop: Header=BB241_223 Depth=1
	s_or_b64 exec, exec, s[2:3]
	v_lshrrev_b32_e32 v1, 16, v9
	v_cmp_ne_u16_sdwa s[0:1], v1, v2 src0_sel:BYTE_0 src1_sel:DWORD
	v_mov_b32_e32 v38, 0
	v_mov_b32_e32 v39, 0
	s_and_saveexec_b64 s[2:3], s[0:1]
	s_cbranch_execz .LBB241_242
; %bb.237:                              ;   in Loop: Header=BB241_223 Depth=1
	v_cmp_ne_u16_sdwa s[0:1], v1, s39 src0_sel:BYTE_0 src1_sel:DWORD
	v_mov_b32_e32 v39, 0x8000
	s_and_saveexec_b64 s[20:21], s[0:1]
	s_cbranch_execz .LBB241_241
; %bb.238:                              ;   in Loop: Header=BB241_223 Depth=1
	v_bfe_u32 v26, v9, 16, 7
	v_cmp_ne_u32_e64 s[0:1], s40, v26
	v_mov_b32_e32 v39, 0x7c01
	s_and_saveexec_b64 s[22:23], s[0:1]
	s_cbranch_execz .LBB241_240
; %bb.239:                              ;   in Loop: Header=BB241_223 Depth=1
	v_and_b32_e32 v41, 7, v1
	v_ffbh_u32_e32 v39, v41
	v_min_u32_e32 v43, 32, v39
	v_subrev_u32_e32 v39, 28, v43
	v_lshlrev_b64 v[39:40], v39, v[1:2]
	v_lshrrev_b32_e32 v42, 3, v26
	v_sub_u32_e32 v40, 29, v43
	v_cmp_gt_u32_e64 s[0:1], 8, v26
	v_cndmask_b32_e64 v26, v42, v40, s[0:1]
	v_lshl_add_u32 v26, v26, 10, v25
	v_lshlrev_b32_e32 v1, 8, v1
	v_and_b32_e32 v39, 7, v39
	v_and_b32_e32 v26, 0xfc00, v26
	v_cndmask_b32_e64 v39, v41, v39, s[0:1]
	v_and_or_b32 v1, v1, s41, v26
	v_lshl_or_b32 v39, v39, 7, v1
.LBB241_240:                            ;   in Loop: Header=BB241_223 Depth=1
	s_or_b64 exec, exec, s[22:23]
.LBB241_241:                            ;   in Loop: Header=BB241_223 Depth=1
	s_or_b64 exec, exec, s[20:21]
.LBB241_242:                            ;   in Loop: Header=BB241_223 Depth=1
	s_or_b64 exec, exec, s[2:3]
	v_cmp_lt_u32_e64 s[0:1], s13, v9
	s_and_saveexec_b64 s[2:3], s[0:1]
	s_cbranch_execz .LBB241_248
; %bb.243:                              ;   in Loop: Header=BB241_223 Depth=1
	v_lshrrev_b32_e32 v1, 24, v9
	v_cmp_ne_u32_e64 s[0:1], s39, v1
	v_bfrev_b32_e32 v38, 1
	s_and_saveexec_b64 s[20:21], s[0:1]
	s_cbranch_execz .LBB241_247
; %bb.244:                              ;   in Loop: Header=BB241_223 Depth=1
	v_and_b32_e32 v26, 0x7f, v1
	v_cmp_ne_u32_e64 s[0:1], s40, v26
	v_mov_b32_e32 v38, 0x7c010000
	s_and_saveexec_b64 s[22:23], s[0:1]
	s_cbranch_execz .LBB241_246
; %bb.245:                              ;   in Loop: Header=BB241_223 Depth=1
	v_and_b32_e32 v38, 7, v1
	v_ffbh_u32_e32 v40, v38
	v_min_u32_e32 v43, 32, v40
	v_subrev_u32_e32 v40, 28, v43
	v_lshlrev_b64 v[40:41], v40, v[1:2]
	v_lshrrev_b32_e32 v42, 3, v26
	v_sub_u32_e32 v41, 29, v43
	v_cmp_gt_u32_e64 s[0:1], 8, v26
	v_cndmask_b32_e64 v26, v42, v41, s[0:1]
	v_lshlrev_b32_e32 v1, 8, v1
	v_lshl_add_u32 v26, v26, 10, v25
	v_and_b32_e32 v40, 7, v40
	v_and_or_b32 v1, v1, s41, v26
	v_cndmask_b32_e64 v38, v38, v40, s[0:1]
	v_lshlrev_b32_e32 v1, 16, v1
	v_lshl_or_b32 v38, v38, 23, v1
.LBB241_246:                            ;   in Loop: Header=BB241_223 Depth=1
	s_or_b64 exec, exec, s[22:23]
.LBB241_247:                            ;   in Loop: Header=BB241_223 Depth=1
	s_or_b64 exec, exec, s[20:21]
.LBB241_248:                            ;   in Loop: Header=BB241_223 Depth=1
	s_or_b64 exec, exec, s[2:3]
	v_mov_b32_e32 v1, v10
	v_cmp_ne_u16_sdwa s[0:1], v10, v2 src0_sel:BYTE_0 src1_sel:DWORD
	v_mov_b32_e32 v40, 0
	v_mov_b32_e32 v41, 0
	s_and_saveexec_b64 s[2:3], s[0:1]
	s_cbranch_execz .LBB241_254
; %bb.249:                              ;   in Loop: Header=BB241_223 Depth=1
	v_cmp_ne_u16_sdwa s[0:1], v10, s39 src0_sel:BYTE_0 src1_sel:DWORD
	v_mov_b32_e32 v41, 0x8000
	s_and_saveexec_b64 s[20:21], s[0:1]
	s_cbranch_execz .LBB241_253
; %bb.250:                              ;   in Loop: Header=BB241_223 Depth=1
	v_and_b32_e32 v26, 0x7f, v10
	v_cmp_ne_u32_e64 s[0:1], s40, v26
	v_mov_b32_e32 v41, 0x7c01
	s_and_saveexec_b64 s[22:23], s[0:1]
	s_cbranch_execz .LBB241_252
; %bb.251:                              ;   in Loop: Header=BB241_223 Depth=1
	v_and_b32_e32 v43, 7, v10
	v_ffbh_u32_e32 v41, v43
	v_min_u32_e32 v45, 32, v41
	v_subrev_u32_e32 v41, 28, v45
	v_lshlrev_b64 v[41:42], v41, v[1:2]
	v_lshrrev_b32_e32 v44, 3, v26
	v_sub_u32_e32 v42, 29, v45
	v_cmp_gt_u32_e64 s[0:1], 8, v26
	v_cndmask_b32_e64 v26, v44, v42, s[0:1]
	v_lshl_add_u32 v26, v26, 10, v25
	v_lshlrev_b32_e32 v42, 8, v10
	v_and_b32_e32 v41, 7, v41
	v_and_b32_e32 v26, 0xfc00, v26
	v_cndmask_b32_e64 v41, v43, v41, s[0:1]
	v_and_or_b32 v26, v42, s41, v26
	v_lshl_or_b32 v41, v41, 7, v26
.LBB241_252:                            ;   in Loop: Header=BB241_223 Depth=1
	s_or_b64 exec, exec, s[22:23]
.LBB241_253:                            ;   in Loop: Header=BB241_223 Depth=1
	s_or_b64 exec, exec, s[20:21]
.LBB241_254:                            ;   in Loop: Header=BB241_223 Depth=1
	s_or_b64 exec, exec, s[2:3]
	v_lshrrev_b16_e32 v1, 8, v1
	v_cmp_ne_u16_e64 s[0:1], 0, v1
	v_mov_b32_e32 v42, 0
	s_and_saveexec_b64 s[2:3], s[0:1]
	s_cbranch_execz .LBB241_260
; %bb.255:                              ;   in Loop: Header=BB241_223 Depth=1
	v_cmp_ne_u16_e64 s[0:1], s39, v1
	v_bfrev_b32_e32 v42, 1
	s_and_saveexec_b64 s[20:21], s[0:1]
	s_cbranch_execz .LBB241_259
; %bb.256:                              ;   in Loop: Header=BB241_223 Depth=1
	v_and_b32_e32 v26, 0x7f, v1
	v_cmp_ne_u32_e64 s[0:1], s40, v26
	v_mov_b32_e32 v42, 0x7c010000
	s_and_saveexec_b64 s[22:23], s[0:1]
	s_cbranch_execz .LBB241_258
; %bb.257:                              ;   in Loop: Header=BB241_223 Depth=1
	v_and_b32_e32 v44, 7, v1
	v_ffbh_u32_e32 v42, v44
	v_min_u32_e32 v46, 32, v42
	v_subrev_u32_e32 v42, 28, v46
	v_lshlrev_b64 v[42:43], v42, v[1:2]
	v_lshrrev_b32_e32 v45, 3, v26
	v_sub_u32_e32 v43, 29, v46
	v_cmp_gt_u32_e64 s[0:1], 8, v26
	v_cndmask_b32_e64 v26, v45, v43, s[0:1]
	v_lshlrev_b32_e32 v1, 8, v1
	v_lshl_add_u32 v26, v26, 10, v25
	v_and_b32_e32 v42, 7, v42
	v_and_or_b32 v1, v1, s41, v26
	v_cndmask_b32_e64 v42, v44, v42, s[0:1]
	v_lshlrev_b32_e32 v1, 16, v1
	v_lshl_or_b32 v42, v42, 23, v1
.LBB241_258:                            ;   in Loop: Header=BB241_223 Depth=1
	s_or_b64 exec, exec, s[22:23]
.LBB241_259:                            ;   in Loop: Header=BB241_223 Depth=1
	s_or_b64 exec, exec, s[20:21]
.LBB241_260:                            ;   in Loop: Header=BB241_223 Depth=1
	s_or_b64 exec, exec, s[2:3]
	v_lshrrev_b32_e32 v1, 16, v10
	v_cmp_ne_u16_sdwa s[0:1], v1, v2 src0_sel:BYTE_0 src1_sel:DWORD
	s_and_saveexec_b64 s[2:3], s[0:1]
	s_cbranch_execz .LBB241_266
; %bb.261:                              ;   in Loop: Header=BB241_223 Depth=1
	v_cmp_ne_u16_sdwa s[0:1], v1, s39 src0_sel:BYTE_0 src1_sel:DWORD
	v_mov_b32_e32 v40, 0x8000
	s_and_saveexec_b64 s[20:21], s[0:1]
	s_cbranch_execz .LBB241_265
; %bb.262:                              ;   in Loop: Header=BB241_223 Depth=1
	v_bfe_u32 v26, v10, 16, 7
	v_cmp_ne_u32_e64 s[0:1], s40, v26
	v_mov_b32_e32 v40, 0x7c01
	s_and_saveexec_b64 s[22:23], s[0:1]
	s_cbranch_execz .LBB241_264
; %bb.263:                              ;   in Loop: Header=BB241_223 Depth=1
	v_and_b32_e32 v40, 7, v1
	v_ffbh_u32_e32 v43, v40
	v_min_u32_e32 v46, 32, v43
	v_subrev_u32_e32 v43, 28, v46
	v_lshlrev_b64 v[43:44], v43, v[1:2]
	v_lshrrev_b32_e32 v45, 3, v26
	v_sub_u32_e32 v44, 29, v46
	v_cmp_gt_u32_e64 s[0:1], 8, v26
	v_cndmask_b32_e64 v26, v45, v44, s[0:1]
	v_lshl_add_u32 v26, v26, 10, v25
	v_lshlrev_b32_e32 v1, 8, v1
	v_and_b32_e32 v43, 7, v43
	v_and_b32_e32 v26, 0xfc00, v26
	v_cndmask_b32_e64 v40, v40, v43, s[0:1]
	v_and_or_b32 v1, v1, s41, v26
	v_lshl_or_b32 v40, v40, 7, v1
.LBB241_264:                            ;   in Loop: Header=BB241_223 Depth=1
	s_or_b64 exec, exec, s[22:23]
.LBB241_265:                            ;   in Loop: Header=BB241_223 Depth=1
	s_or_b64 exec, exec, s[20:21]
.LBB241_266:                            ;   in Loop: Header=BB241_223 Depth=1
	s_or_b64 exec, exec, s[2:3]
	v_cmp_lt_u64_e64 s[0:1], s[12:13], v[9:10]
	v_mov_b32_e32 v43, 0
	s_and_saveexec_b64 s[2:3], s[0:1]
	s_cbranch_execz .LBB241_272
; %bb.267:                              ;   in Loop: Header=BB241_223 Depth=1
	v_lshrrev_b32_e32 v1, 24, v10
	v_cmp_ne_u32_e64 s[0:1], s39, v1
	v_bfrev_b32_e32 v43, 1
	s_and_saveexec_b64 s[20:21], s[0:1]
	s_cbranch_execz .LBB241_271
; %bb.268:                              ;   in Loop: Header=BB241_223 Depth=1
	v_and_b32_e32 v9, 0x7f, v1
	v_cmp_ne_u32_e64 s[0:1], s40, v9
	v_mov_b32_e32 v43, 0x7c010000
	s_and_saveexec_b64 s[22:23], s[0:1]
	s_cbranch_execz .LBB241_270
; %bb.269:                              ;   in Loop: Header=BB241_223 Depth=1
	v_and_b32_e32 v10, 7, v1
	v_ffbh_u32_e32 v43, v10
	v_min_u32_e32 v45, 32, v43
	v_subrev_u32_e32 v43, 28, v45
	v_lshlrev_b64 v[43:44], v43, v[1:2]
	v_lshrrev_b32_e32 v26, 3, v9
	v_sub_u32_e32 v44, 29, v45
	v_cmp_gt_u32_e64 s[0:1], 8, v9
	v_cndmask_b32_e64 v9, v26, v44, s[0:1]
	v_lshlrev_b32_e32 v1, 8, v1
	v_lshl_add_u32 v9, v9, 10, v25
	v_and_b32_e32 v26, 7, v43
	v_and_or_b32 v1, v1, s41, v9
	v_cndmask_b32_e64 v10, v10, v26, s[0:1]
	v_lshlrev_b32_e32 v1, 16, v1
	v_lshl_or_b32 v43, v10, 23, v1
.LBB241_270:                            ;   in Loop: Header=BB241_223 Depth=1
	s_or_b64 exec, exec, s[22:23]
.LBB241_271:                            ;   in Loop: Header=BB241_223 Depth=1
	s_or_b64 exec, exec, s[20:21]
.LBB241_272:                            ;   in Loop: Header=BB241_223 Depth=1
	s_or_b64 exec, exec, s[2:3]
	v_fma_mixlo_f16 v9, v31, v38, 0 op_sel:[0,1,0] op_sel_hi:[0,1,0]
	v_fma_mixlo_f16 v10, v31, v32, 0 op_sel:[0,1,0] op_sel_hi:[0,1,0]
	v_or_b32_e32 v1, v38, v39
	v_lshlrev_b32_e32 v38, 16, v9
	v_or_b32_e32 v9, v32, v37
	v_lshlrev_b32_e32 v44, 16, v10
	v_or_b32_e32 v10, v42, v41
	v_or_b32_e32 v37, v43, v40
	v_fma_mixlo_f16 v1, v31, v1, 0 op_sel_hi:[0,1,0]
	v_fma_mixlo_f16 v9, v31, v9, 0 op_sel_hi:[0,1,0]
	v_fma_mixlo_f16 v32, v31, v42, 0 op_sel:[0,1,0] op_sel_hi:[0,1,0]
	v_fma_mixlo_f16 v10, v31, v10, 0 op_sel_hi:[0,1,0]
	v_fma_mixlo_f16 v37, v31, v37, 0 op_sel_hi:[0,1,0]
	v_fma_mixlo_f16 v31, v31, v43, 0 op_sel:[0,1,0] op_sel_hi:[0,1,0]
	v_and_b32_e32 v39, 0xffff, v1
	v_and_b32_e32 v45, 0xffff, v9
	v_lshlrev_b32_e32 v32, 16, v32
	v_and_b32_e32 v41, 0xffff, v10
	v_lshlrev_b32_e32 v31, 16, v31
	v_and_b32_e32 v37, 0xffff, v37
	v_add_u32_e32 v26, v20, v12
	v_cmp_eq_u32_e64 s[0:1], s38, v11
	v_or_b32_e32 v1, v38, v39
	v_or_b32_e32 v9, v44, v45
	;; [unrolled: 1-line block ×4, first 2 shown]
	s_and_saveexec_b64 s[20:21], s[0:1]
	s_cbranch_execz .LBB241_274
; %bb.273:                              ;   in Loop: Header=BB241_223 Depth=1
	v_cmp_gt_i32_e64 s[2:3], s33, v26
	v_add_u32_e32 v9, 1, v26
	v_cndmask_b32_e64 v1, 0, v45, s[2:3]
	v_cmp_gt_i32_e64 s[2:3], s33, v9
	v_cndmask_b32_e64 v9, 0, v44, s[2:3]
	v_or_b32_e32 v9, v9, v1
	v_add_u32_e32 v1, 2, v26
	v_cmp_gt_i32_e64 s[2:3], s33, v1
	v_add_u32_e32 v10, 3, v26
	v_cndmask_b32_e64 v1, 0, v39, s[2:3]
	v_cmp_gt_i32_e64 s[2:3], s33, v10
	v_cndmask_b32_e64 v10, 0, v38, s[2:3]
	v_or_b32_e32 v1, v10, v1
	v_add_u32_e32 v10, 4, v26
	;; [unrolled: 7-line block ×3, first 2 shown]
	v_cmp_gt_i32_e64 s[2:3], s33, v32
	v_cndmask_b32_e64 v32, 0, v37, s[2:3]
	v_add_u32_e32 v37, 7, v26
	v_cmp_gt_i32_e64 s[2:3], s33, v37
	v_cndmask_b32_e64 v31, 0, v31, s[2:3]
	v_or_b32_e32 v40, v31, v32
.LBB241_274:                            ;   in Loop: Header=BB241_223 Depth=1
	s_or_b64 exec, exec, s[20:21]
	v_and_b32_e32 v27, 0xffff, v27
	v_lshl_or_b32 v32, v28, 16, v27
	v_and_b32_e32 v27, 0xffff, v29
	v_lshl_or_b32 v31, v30, 16, v27
	;; [unrolled: 2-line block ×3, first 2 shown]
	v_and_b32_e32 v27, 0xffff, v35
	;;#ASMSTART
	v_pk_mul_f16 v9, v32, v9;

	;;#ASMEND
	;;#ASMSTART
	v_pk_mul_f16 v1, v31, v1;

	;;#ASMEND
	v_lshl_or_b32 v29, v36, 16, v27
	;;#ASMSTART
	v_pk_mul_f16 v10, v30, v10;

	;;#ASMEND
	;;#ASMSTART
	v_pk_mul_f16 v27, v29, v40;

	;;#ASMEND
	;;#ASMSTART
	v_pk_add_f16 v1, v9, v1;

	;;#ASMEND
	;;#ASMSTART
	v_pk_add_f16 v1, v1, v10;
	;; [unrolled: 4-line block ×3, first 2 shown]

	;;#ASMEND
	v_lshrrev_b32_e32 v9, 16, v1
	v_and_b32_e32 v1, 0xffff, v1
	;;#ASMSTART
	v_cvt_f32_f16 v27, v1;
	;;#ASMEND
	;;#ASMSTART
	v_cvt_f32_f16 v28, v9;
	;;#ASMEND
	global_load_dwordx2 v[9:10], v[7:8], off offset:512
	v_mov_b32_e32 v34, 0
	global_load_dword v33, v34, s[14:15]
	v_mov_b32_e32 v35, 0
	s_waitcnt vmcnt(1)
	v_cmp_ne_u16_sdwa s[2:3], v9, v2 src0_sel:BYTE_0 src1_sel:DWORD
	s_and_saveexec_b64 s[20:21], s[2:3]
	s_cbranch_execz .LBB241_280
; %bb.275:                              ;   in Loop: Header=BB241_223 Depth=1
	v_cmp_ne_u16_sdwa s[2:3], v9, s39 src0_sel:BYTE_0 src1_sel:DWORD
	v_mov_b32_e32 v35, 0x8000
	s_and_saveexec_b64 s[22:23], s[2:3]
	s_cbranch_execz .LBB241_279
; %bb.276:                              ;   in Loop: Header=BB241_223 Depth=1
	v_and_b32_e32 v1, 0x7f, v9
	v_cmp_ne_u32_e64 s[2:3], s40, v1
	v_mov_b32_e32 v35, 0x7c01
	s_and_saveexec_b64 s[28:29], s[2:3]
	s_cbranch_execz .LBB241_278
; %bb.277:                              ;   in Loop: Header=BB241_223 Depth=1
	v_and_b32_e32 v37, 7, v9
	v_ffbh_u32_e32 v35, v37
	v_min_u32_e32 v39, 32, v35
	v_subrev_u32_e32 v35, 28, v39
	v_lshlrev_b64 v[35:36], v35, v[9:10]
	v_lshrrev_b32_e32 v38, 3, v1
	v_sub_u32_e32 v36, 29, v39
	v_cmp_gt_u32_e64 s[2:3], 8, v1
	v_cndmask_b32_e64 v1, v38, v36, s[2:3]
	v_lshl_add_u32 v1, v1, 10, v25
	v_lshlrev_b32_e32 v36, 8, v9
	v_and_b32_e32 v35, 7, v35
	v_and_b32_e32 v1, 0xfc00, v1
	v_cndmask_b32_e64 v35, v37, v35, s[2:3]
	v_and_or_b32 v1, v36, s41, v1
	v_lshl_or_b32 v35, v35, 7, v1
.LBB241_278:                            ;   in Loop: Header=BB241_223 Depth=1
	s_or_b64 exec, exec, s[28:29]
.LBB241_279:                            ;   in Loop: Header=BB241_223 Depth=1
	s_or_b64 exec, exec, s[22:23]
.LBB241_280:                            ;   in Loop: Header=BB241_223 Depth=1
	s_or_b64 exec, exec, s[20:21]
	v_lshrrev_b16_e32 v1, 8, v9
	v_cmp_ne_u16_e64 s[2:3], 0, v1
	s_and_saveexec_b64 s[20:21], s[2:3]
	s_cbranch_execz .LBB241_286
; %bb.281:                              ;   in Loop: Header=BB241_223 Depth=1
	v_cmp_ne_u16_e64 s[2:3], s39, v1
	v_bfrev_b32_e32 v34, 1
	s_and_saveexec_b64 s[22:23], s[2:3]
	s_cbranch_execz .LBB241_285
; %bb.282:                              ;   in Loop: Header=BB241_223 Depth=1
	v_and_b32_e32 v36, 0x7f, v1
	v_cmp_ne_u32_e64 s[2:3], s40, v36
	v_mov_b32_e32 v34, 0x7c010000
	s_and_saveexec_b64 s[28:29], s[2:3]
	s_cbranch_execz .LBB241_284
; %bb.283:                              ;   in Loop: Header=BB241_223 Depth=1
	v_and_b32_e32 v34, 7, v1
	v_ffbh_u32_e32 v37, v34
	v_min_u32_e32 v40, 32, v37
	v_subrev_u32_e32 v37, 28, v40
	v_lshlrev_b64 v[37:38], v37, v[1:2]
	v_lshrrev_b32_e32 v39, 3, v36
	v_sub_u32_e32 v38, 29, v40
	v_cmp_gt_u32_e64 s[2:3], 8, v36
	v_cndmask_b32_e64 v36, v39, v38, s[2:3]
	v_lshlrev_b32_e32 v1, 8, v1
	v_lshl_add_u32 v36, v36, 10, v25
	v_and_b32_e32 v37, 7, v37
	v_and_or_b32 v1, v1, s41, v36
	v_cndmask_b32_e64 v34, v34, v37, s[2:3]
	v_lshlrev_b32_e32 v1, 16, v1
	v_lshl_or_b32 v34, v34, 23, v1
.LBB241_284:                            ;   in Loop: Header=BB241_223 Depth=1
	s_or_b64 exec, exec, s[28:29]
.LBB241_285:                            ;   in Loop: Header=BB241_223 Depth=1
	s_or_b64 exec, exec, s[22:23]
.LBB241_286:                            ;   in Loop: Header=BB241_223 Depth=1
	s_or_b64 exec, exec, s[20:21]
	v_lshrrev_b32_e32 v1, 16, v9
	v_cmp_ne_u16_sdwa s[2:3], v1, v2 src0_sel:BYTE_0 src1_sel:DWORD
	v_mov_b32_e32 v36, 0
	v_mov_b32_e32 v37, 0
	s_and_saveexec_b64 s[20:21], s[2:3]
	s_cbranch_execz .LBB241_292
; %bb.287:                              ;   in Loop: Header=BB241_223 Depth=1
	v_cmp_ne_u16_sdwa s[2:3], v1, s39 src0_sel:BYTE_0 src1_sel:DWORD
	v_mov_b32_e32 v37, 0x8000
	s_and_saveexec_b64 s[22:23], s[2:3]
	s_cbranch_execz .LBB241_291
; %bb.288:                              ;   in Loop: Header=BB241_223 Depth=1
	v_bfe_u32 v38, v9, 16, 7
	v_cmp_ne_u32_e64 s[2:3], s40, v38
	v_mov_b32_e32 v37, 0x7c01
	s_and_saveexec_b64 s[28:29], s[2:3]
	s_cbranch_execz .LBB241_290
; %bb.289:                              ;   in Loop: Header=BB241_223 Depth=1
	v_and_b32_e32 v37, 7, v1
	v_ffbh_u32_e32 v39, v37
	v_min_u32_e32 v42, 32, v39
	v_subrev_u32_e32 v39, 28, v42
	v_lshlrev_b64 v[39:40], v39, v[1:2]
	v_lshrrev_b32_e32 v41, 3, v38
	v_sub_u32_e32 v40, 29, v42
	v_cmp_gt_u32_e64 s[2:3], 8, v38
	v_cndmask_b32_e64 v38, v41, v40, s[2:3]
	v_lshl_add_u32 v38, v38, 10, v25
	v_lshlrev_b32_e32 v1, 8, v1
	v_and_b32_e32 v39, 7, v39
	v_and_b32_e32 v38, 0xfc00, v38
	v_cndmask_b32_e64 v37, v37, v39, s[2:3]
	v_and_or_b32 v1, v1, s41, v38
	v_lshl_or_b32 v37, v37, 7, v1
.LBB241_290:                            ;   in Loop: Header=BB241_223 Depth=1
	s_or_b64 exec, exec, s[28:29]
.LBB241_291:                            ;   in Loop: Header=BB241_223 Depth=1
	s_or_b64 exec, exec, s[22:23]
.LBB241_292:                            ;   in Loop: Header=BB241_223 Depth=1
	s_or_b64 exec, exec, s[20:21]
	v_cmp_lt_u32_e64 s[2:3], s13, v9
	s_and_saveexec_b64 s[20:21], s[2:3]
	s_cbranch_execz .LBB241_298
; %bb.293:                              ;   in Loop: Header=BB241_223 Depth=1
	v_lshrrev_b32_e32 v1, 24, v9
	v_cmp_ne_u32_e64 s[2:3], s39, v1
	v_bfrev_b32_e32 v36, 1
	s_and_saveexec_b64 s[22:23], s[2:3]
	s_cbranch_execz .LBB241_297
; %bb.294:                              ;   in Loop: Header=BB241_223 Depth=1
	v_and_b32_e32 v38, 0x7f, v1
	v_cmp_ne_u32_e64 s[2:3], s40, v38
	v_mov_b32_e32 v36, 0x7c010000
	s_and_saveexec_b64 s[28:29], s[2:3]
	s_cbranch_execz .LBB241_296
; %bb.295:                              ;   in Loop: Header=BB241_223 Depth=1
	v_and_b32_e32 v36, 7, v1
	v_ffbh_u32_e32 v39, v36
	v_min_u32_e32 v42, 32, v39
	v_subrev_u32_e32 v39, 28, v42
	v_lshlrev_b64 v[39:40], v39, v[1:2]
	v_lshrrev_b32_e32 v41, 3, v38
	v_sub_u32_e32 v40, 29, v42
	v_cmp_gt_u32_e64 s[2:3], 8, v38
	v_cndmask_b32_e64 v38, v41, v40, s[2:3]
	v_lshlrev_b32_e32 v1, 8, v1
	v_lshl_add_u32 v38, v38, 10, v25
	v_and_b32_e32 v39, 7, v39
	v_and_or_b32 v1, v1, s41, v38
	v_cndmask_b32_e64 v36, v36, v39, s[2:3]
	v_lshlrev_b32_e32 v1, 16, v1
	v_lshl_or_b32 v36, v36, 23, v1
.LBB241_296:                            ;   in Loop: Header=BB241_223 Depth=1
	s_or_b64 exec, exec, s[28:29]
.LBB241_297:                            ;   in Loop: Header=BB241_223 Depth=1
	s_or_b64 exec, exec, s[22:23]
.LBB241_298:                            ;   in Loop: Header=BB241_223 Depth=1
	s_or_b64 exec, exec, s[20:21]
	v_mov_b32_e32 v1, v10
	v_cmp_ne_u16_sdwa s[2:3], v10, v2 src0_sel:BYTE_0 src1_sel:DWORD
	v_mov_b32_e32 v38, 0
	v_mov_b32_e32 v39, 0
	s_and_saveexec_b64 s[20:21], s[2:3]
	s_cbranch_execz .LBB241_304
; %bb.299:                              ;   in Loop: Header=BB241_223 Depth=1
	v_cmp_ne_u16_sdwa s[2:3], v10, s39 src0_sel:BYTE_0 src1_sel:DWORD
	v_mov_b32_e32 v39, 0x8000
	s_and_saveexec_b64 s[22:23], s[2:3]
	s_cbranch_execz .LBB241_303
; %bb.300:                              ;   in Loop: Header=BB241_223 Depth=1
	v_and_b32_e32 v40, 0x7f, v10
	v_cmp_ne_u32_e64 s[2:3], s40, v40
	v_mov_b32_e32 v39, 0x7c01
	s_and_saveexec_b64 s[28:29], s[2:3]
	s_cbranch_execz .LBB241_302
; %bb.301:                              ;   in Loop: Header=BB241_223 Depth=1
	v_and_b32_e32 v39, 7, v10
	v_ffbh_u32_e32 v41, v39
	v_min_u32_e32 v44, 32, v41
	v_subrev_u32_e32 v41, 28, v44
	v_lshlrev_b64 v[41:42], v41, v[1:2]
	v_lshrrev_b32_e32 v43, 3, v40
	v_sub_u32_e32 v42, 29, v44
	v_cmp_gt_u32_e64 s[2:3], 8, v40
	v_cndmask_b32_e64 v40, v43, v42, s[2:3]
	v_lshl_add_u32 v40, v40, 10, v25
	v_lshlrev_b32_e32 v42, 8, v10
	v_and_b32_e32 v41, 7, v41
	v_and_b32_e32 v40, 0xfc00, v40
	v_cndmask_b32_e64 v39, v39, v41, s[2:3]
	v_and_or_b32 v40, v42, s41, v40
	v_lshl_or_b32 v39, v39, 7, v40
.LBB241_302:                            ;   in Loop: Header=BB241_223 Depth=1
	s_or_b64 exec, exec, s[28:29]
.LBB241_303:                            ;   in Loop: Header=BB241_223 Depth=1
	s_or_b64 exec, exec, s[22:23]
.LBB241_304:                            ;   in Loop: Header=BB241_223 Depth=1
	s_or_b64 exec, exec, s[20:21]
	v_lshrrev_b16_e32 v1, 8, v1
	v_cmp_ne_u16_e64 s[2:3], 0, v1
	v_mov_b32_e32 v40, 0
	s_and_saveexec_b64 s[20:21], s[2:3]
	s_cbranch_execz .LBB241_310
; %bb.305:                              ;   in Loop: Header=BB241_223 Depth=1
	v_cmp_ne_u16_e64 s[2:3], s39, v1
	v_bfrev_b32_e32 v40, 1
	s_and_saveexec_b64 s[22:23], s[2:3]
	s_cbranch_execz .LBB241_309
; %bb.306:                              ;   in Loop: Header=BB241_223 Depth=1
	v_and_b32_e32 v41, 0x7f, v1
	v_cmp_ne_u32_e64 s[2:3], s40, v41
	v_mov_b32_e32 v40, 0x7c010000
	s_and_saveexec_b64 s[28:29], s[2:3]
	s_cbranch_execz .LBB241_308
; %bb.307:                              ;   in Loop: Header=BB241_223 Depth=1
	v_and_b32_e32 v40, 7, v1
	v_ffbh_u32_e32 v42, v40
	v_min_u32_e32 v45, 32, v42
	v_subrev_u32_e32 v42, 28, v45
	v_lshlrev_b64 v[42:43], v42, v[1:2]
	v_lshrrev_b32_e32 v44, 3, v41
	v_sub_u32_e32 v43, 29, v45
	v_cmp_gt_u32_e64 s[2:3], 8, v41
	v_cndmask_b32_e64 v41, v44, v43, s[2:3]
	v_lshlrev_b32_e32 v1, 8, v1
	v_lshl_add_u32 v41, v41, 10, v25
	v_and_b32_e32 v42, 7, v42
	v_and_or_b32 v1, v1, s41, v41
	v_cndmask_b32_e64 v40, v40, v42, s[2:3]
	v_lshlrev_b32_e32 v1, 16, v1
	v_lshl_or_b32 v40, v40, 23, v1
.LBB241_308:                            ;   in Loop: Header=BB241_223 Depth=1
	s_or_b64 exec, exec, s[28:29]
.LBB241_309:                            ;   in Loop: Header=BB241_223 Depth=1
	s_or_b64 exec, exec, s[22:23]
.LBB241_310:                            ;   in Loop: Header=BB241_223 Depth=1
	s_or_b64 exec, exec, s[20:21]
	v_lshrrev_b32_e32 v1, 16, v10
	v_cmp_ne_u16_sdwa s[2:3], v1, v2 src0_sel:BYTE_0 src1_sel:DWORD
	s_and_saveexec_b64 s[20:21], s[2:3]
	s_cbranch_execz .LBB241_316
; %bb.311:                              ;   in Loop: Header=BB241_223 Depth=1
	v_cmp_ne_u16_sdwa s[2:3], v1, s39 src0_sel:BYTE_0 src1_sel:DWORD
	v_mov_b32_e32 v38, 0x8000
	s_and_saveexec_b64 s[22:23], s[2:3]
	s_cbranch_execz .LBB241_315
; %bb.312:                              ;   in Loop: Header=BB241_223 Depth=1
	v_bfe_u32 v41, v10, 16, 7
	v_cmp_ne_u32_e64 s[2:3], s40, v41
	v_mov_b32_e32 v38, 0x7c01
	s_and_saveexec_b64 s[28:29], s[2:3]
	s_cbranch_execz .LBB241_314
; %bb.313:                              ;   in Loop: Header=BB241_223 Depth=1
	v_and_b32_e32 v38, 7, v1
	v_ffbh_u32_e32 v42, v38
	v_min_u32_e32 v45, 32, v42
	v_subrev_u32_e32 v42, 28, v45
	v_lshlrev_b64 v[42:43], v42, v[1:2]
	v_lshrrev_b32_e32 v44, 3, v41
	v_sub_u32_e32 v43, 29, v45
	v_cmp_gt_u32_e64 s[2:3], 8, v41
	v_cndmask_b32_e64 v41, v44, v43, s[2:3]
	v_lshl_add_u32 v41, v41, 10, v25
	v_lshlrev_b32_e32 v1, 8, v1
	v_and_b32_e32 v42, 7, v42
	v_and_b32_e32 v41, 0xfc00, v41
	v_cndmask_b32_e64 v38, v38, v42, s[2:3]
	v_and_or_b32 v1, v1, s41, v41
	v_lshl_or_b32 v38, v38, 7, v1
.LBB241_314:                            ;   in Loop: Header=BB241_223 Depth=1
	s_or_b64 exec, exec, s[28:29]
.LBB241_315:                            ;   in Loop: Header=BB241_223 Depth=1
	s_or_b64 exec, exec, s[22:23]
.LBB241_316:                            ;   in Loop: Header=BB241_223 Depth=1
	s_or_b64 exec, exec, s[20:21]
	v_cmp_lt_u64_e64 s[2:3], s[12:13], v[9:10]
	v_mov_b32_e32 v41, 0
	s_and_saveexec_b64 s[20:21], s[2:3]
	s_cbranch_execz .LBB241_322
; %bb.317:                              ;   in Loop: Header=BB241_223 Depth=1
	v_lshrrev_b32_e32 v1, 24, v10
	v_cmp_ne_u32_e64 s[2:3], s39, v1
	v_bfrev_b32_e32 v41, 1
	s_and_saveexec_b64 s[22:23], s[2:3]
	s_cbranch_execz .LBB241_321
; %bb.318:                              ;   in Loop: Header=BB241_223 Depth=1
	v_and_b32_e32 v9, 0x7f, v1
	v_cmp_ne_u32_e64 s[2:3], s40, v9
	v_mov_b32_e32 v41, 0x7c010000
	s_and_saveexec_b64 s[28:29], s[2:3]
	s_cbranch_execz .LBB241_320
; %bb.319:                              ;   in Loop: Header=BB241_223 Depth=1
	v_and_b32_e32 v10, 7, v1
	v_ffbh_u32_e32 v41, v10
	v_min_u32_e32 v44, 32, v41
	v_subrev_u32_e32 v41, 28, v44
	v_lshlrev_b64 v[41:42], v41, v[1:2]
	v_lshrrev_b32_e32 v43, 3, v9
	v_sub_u32_e32 v42, 29, v44
	v_cmp_gt_u32_e64 s[2:3], 8, v9
	v_cndmask_b32_e64 v9, v43, v42, s[2:3]
	v_lshlrev_b32_e32 v1, 8, v1
	v_lshl_add_u32 v9, v9, 10, v25
	v_and_b32_e32 v41, 7, v41
	v_and_or_b32 v1, v1, s41, v9
	v_cndmask_b32_e64 v10, v10, v41, s[2:3]
	v_lshlrev_b32_e32 v1, 16, v1
	v_lshl_or_b32 v41, v10, 23, v1
.LBB241_320:                            ;   in Loop: Header=BB241_223 Depth=1
	s_or_b64 exec, exec, s[28:29]
.LBB241_321:                            ;   in Loop: Header=BB241_223 Depth=1
	s_or_b64 exec, exec, s[22:23]
.LBB241_322:                            ;   in Loop: Header=BB241_223 Depth=1
	s_or_b64 exec, exec, s[20:21]
	s_waitcnt vmcnt(0)
	v_fma_mixlo_f16 v9, v33, v36, 0 op_sel:[0,1,0] op_sel_hi:[0,1,0]
	v_lshlrev_b32_e32 v10, 16, v9
	v_or_b32_e32 v9, v34, v35
	v_fma_mixlo_f16 v34, v33, v34, 0 op_sel:[0,1,0] op_sel_hi:[0,1,0]
	v_or_b32_e32 v1, v36, v37
	v_lshlrev_b32_e32 v42, 16, v34
	v_or_b32_e32 v34, v40, v39
	v_or_b32_e32 v37, v41, v38
	v_fma_mixlo_f16 v1, v33, v1, 0 op_sel_hi:[0,1,0]
	v_fma_mixlo_f16 v9, v33, v9, 0 op_sel_hi:[0,1,0]
	v_fma_mixlo_f16 v35, v33, v40, 0 op_sel:[0,1,0] op_sel_hi:[0,1,0]
	v_fma_mixlo_f16 v34, v33, v34, 0 op_sel_hi:[0,1,0]
	v_fma_mixlo_f16 v37, v33, v37, 0 op_sel_hi:[0,1,0]
	v_fma_mixlo_f16 v33, v33, v41, 0 op_sel:[0,1,0] op_sel_hi:[0,1,0]
	v_and_b32_e32 v36, 0xffff, v1
	v_and_b32_e32 v43, 0xffff, v9
	v_lshlrev_b32_e32 v35, 16, v35
	v_and_b32_e32 v39, 0xffff, v34
	v_lshlrev_b32_e32 v33, 16, v33
	v_and_b32_e32 v37, 0xffff, v37
	v_or_b32_e32 v1, v10, v36
	v_or_b32_e32 v9, v42, v43
	;; [unrolled: 1-line block ×4, first 2 shown]
	s_and_saveexec_b64 s[20:21], s[0:1]
	s_cbranch_execz .LBB241_324
; %bb.323:                              ;   in Loop: Header=BB241_223 Depth=1
	v_cmp_gt_i32_e64 s[2:3], s33, v26
	v_add_u32_e32 v9, 1, v26
	v_cndmask_b32_e64 v1, 0, v43, s[2:3]
	v_cmp_gt_i32_e64 s[2:3], s33, v9
	v_cndmask_b32_e64 v9, 0, v42, s[2:3]
	v_or_b32_e32 v9, v9, v1
	v_add_u32_e32 v1, 2, v26
	v_cmp_gt_i32_e64 s[2:3], s33, v1
	v_add_u32_e32 v34, 3, v26
	v_cndmask_b32_e64 v1, 0, v36, s[2:3]
	v_cmp_gt_i32_e64 s[2:3], s33, v34
	v_cndmask_b32_e64 v10, 0, v10, s[2:3]
	v_or_b32_e32 v1, v10, v1
	v_add_u32_e32 v10, 4, v26
	;; [unrolled: 7-line block ×3, first 2 shown]
	v_cmp_gt_i32_e64 s[2:3], s33, v10
	v_add_u32_e32 v35, 7, v26
	v_cndmask_b32_e64 v10, 0, v37, s[2:3]
	v_cmp_gt_i32_e64 s[2:3], s33, v35
	v_cndmask_b32_e64 v33, 0, v33, s[2:3]
	v_or_b32_e32 v38, v33, v10
.LBB241_324:                            ;   in Loop: Header=BB241_223 Depth=1
	s_or_b64 exec, exec, s[20:21]
	;;#ASMSTART
	v_pk_mul_f16 v9, v32, v9;

	;;#ASMEND
	;;#ASMSTART
	v_pk_mul_f16 v1, v31, v1;

	;;#ASMEND
	;; [unrolled: 4-line block ×4, first 2 shown]
	;;#ASMSTART
	v_pk_add_f16 v1, v9, v1;

	;;#ASMEND
	;;#ASMSTART
	v_pk_add_f16 v1, v1, v10;

	;;#ASMEND
	;; [unrolled: 4-line block ×3, first 2 shown]
	v_lshrrev_b32_e32 v10, 16, v1
	v_and_b32_e32 v1, 0xffff, v1
	;;#ASMSTART
	v_cvt_f32_f16 v9, v1;
	;;#ASMEND
	;;#ASMSTART
	v_cvt_f32_f16 v10, v10;
	;;#ASMEND
	global_load_dwordx2 v[7:8], v[7:8], off offset:1024
	v_mov_b32_e32 v34, 0
	global_load_dword v33, v34, s[14:15]
	v_mov_b32_e32 v35, 0
	s_waitcnt vmcnt(1)
	v_cmp_ne_u16_sdwa s[2:3], v7, v2 src0_sel:BYTE_0 src1_sel:DWORD
	s_and_saveexec_b64 s[20:21], s[2:3]
	s_cbranch_execz .LBB241_330
; %bb.325:                              ;   in Loop: Header=BB241_223 Depth=1
	v_cmp_ne_u16_sdwa s[2:3], v7, s39 src0_sel:BYTE_0 src1_sel:DWORD
	v_mov_b32_e32 v35, 0x8000
	s_and_saveexec_b64 s[22:23], s[2:3]
	s_cbranch_execz .LBB241_329
; %bb.326:                              ;   in Loop: Header=BB241_223 Depth=1
	v_and_b32_e32 v1, 0x7f, v7
	v_cmp_ne_u32_e64 s[2:3], s40, v1
	v_mov_b32_e32 v35, 0x7c01
	s_and_saveexec_b64 s[28:29], s[2:3]
	s_cbranch_execz .LBB241_328
; %bb.327:                              ;   in Loop: Header=BB241_223 Depth=1
	v_and_b32_e32 v37, 7, v7
	v_ffbh_u32_e32 v35, v37
	v_min_u32_e32 v39, 32, v35
	v_subrev_u32_e32 v35, 28, v39
	v_lshlrev_b64 v[35:36], v35, v[7:8]
	v_lshrrev_b32_e32 v38, 3, v1
	v_sub_u32_e32 v36, 29, v39
	v_cmp_gt_u32_e64 s[2:3], 8, v1
	v_cndmask_b32_e64 v1, v38, v36, s[2:3]
	v_lshl_add_u32 v1, v1, 10, v25
	v_lshlrev_b32_e32 v36, 8, v7
	v_and_b32_e32 v35, 7, v35
	v_and_b32_e32 v1, 0xfc00, v1
	v_cndmask_b32_e64 v35, v37, v35, s[2:3]
	v_and_or_b32 v1, v36, s41, v1
	v_lshl_or_b32 v35, v35, 7, v1
.LBB241_328:                            ;   in Loop: Header=BB241_223 Depth=1
	s_or_b64 exec, exec, s[28:29]
.LBB241_329:                            ;   in Loop: Header=BB241_223 Depth=1
	s_or_b64 exec, exec, s[22:23]
.LBB241_330:                            ;   in Loop: Header=BB241_223 Depth=1
	s_or_b64 exec, exec, s[20:21]
	v_lshrrev_b16_e32 v1, 8, v7
	v_cmp_ne_u16_e64 s[2:3], 0, v1
	s_and_saveexec_b64 s[20:21], s[2:3]
	s_cbranch_execz .LBB241_336
; %bb.331:                              ;   in Loop: Header=BB241_223 Depth=1
	v_cmp_ne_u16_e64 s[2:3], s39, v1
	v_bfrev_b32_e32 v34, 1
	s_and_saveexec_b64 s[22:23], s[2:3]
	s_cbranch_execz .LBB241_335
; %bb.332:                              ;   in Loop: Header=BB241_223 Depth=1
	v_and_b32_e32 v36, 0x7f, v1
	v_cmp_ne_u32_e64 s[2:3], s40, v36
	v_mov_b32_e32 v34, 0x7c010000
	s_and_saveexec_b64 s[28:29], s[2:3]
	s_cbranch_execz .LBB241_334
; %bb.333:                              ;   in Loop: Header=BB241_223 Depth=1
	v_and_b32_e32 v34, 7, v1
	v_ffbh_u32_e32 v37, v34
	v_min_u32_e32 v40, 32, v37
	v_subrev_u32_e32 v37, 28, v40
	v_lshlrev_b64 v[37:38], v37, v[1:2]
	v_lshrrev_b32_e32 v39, 3, v36
	v_sub_u32_e32 v38, 29, v40
	v_cmp_gt_u32_e64 s[2:3], 8, v36
	v_cndmask_b32_e64 v36, v39, v38, s[2:3]
	v_lshlrev_b32_e32 v1, 8, v1
	v_lshl_add_u32 v36, v36, 10, v25
	v_and_b32_e32 v37, 7, v37
	v_and_or_b32 v1, v1, s41, v36
	v_cndmask_b32_e64 v34, v34, v37, s[2:3]
	v_lshlrev_b32_e32 v1, 16, v1
	v_lshl_or_b32 v34, v34, 23, v1
.LBB241_334:                            ;   in Loop: Header=BB241_223 Depth=1
	s_or_b64 exec, exec, s[28:29]
.LBB241_335:                            ;   in Loop: Header=BB241_223 Depth=1
	s_or_b64 exec, exec, s[22:23]
.LBB241_336:                            ;   in Loop: Header=BB241_223 Depth=1
	s_or_b64 exec, exec, s[20:21]
	v_lshrrev_b32_e32 v1, 16, v7
	v_cmp_ne_u16_sdwa s[2:3], v1, v2 src0_sel:BYTE_0 src1_sel:DWORD
	v_mov_b32_e32 v36, 0
	v_mov_b32_e32 v37, 0
	s_and_saveexec_b64 s[20:21], s[2:3]
	s_cbranch_execz .LBB241_342
; %bb.337:                              ;   in Loop: Header=BB241_223 Depth=1
	v_cmp_ne_u16_sdwa s[2:3], v1, s39 src0_sel:BYTE_0 src1_sel:DWORD
	v_mov_b32_e32 v37, 0x8000
	s_and_saveexec_b64 s[22:23], s[2:3]
	s_cbranch_execz .LBB241_341
; %bb.338:                              ;   in Loop: Header=BB241_223 Depth=1
	v_bfe_u32 v38, v7, 16, 7
	v_cmp_ne_u32_e64 s[2:3], s40, v38
	v_mov_b32_e32 v37, 0x7c01
	s_and_saveexec_b64 s[28:29], s[2:3]
	s_cbranch_execz .LBB241_340
; %bb.339:                              ;   in Loop: Header=BB241_223 Depth=1
	v_and_b32_e32 v37, 7, v1
	v_ffbh_u32_e32 v39, v37
	v_min_u32_e32 v42, 32, v39
	v_subrev_u32_e32 v39, 28, v42
	v_lshlrev_b64 v[39:40], v39, v[1:2]
	v_lshrrev_b32_e32 v41, 3, v38
	v_sub_u32_e32 v40, 29, v42
	v_cmp_gt_u32_e64 s[2:3], 8, v38
	v_cndmask_b32_e64 v38, v41, v40, s[2:3]
	v_lshl_add_u32 v38, v38, 10, v25
	v_lshlrev_b32_e32 v1, 8, v1
	v_and_b32_e32 v39, 7, v39
	v_and_b32_e32 v38, 0xfc00, v38
	v_cndmask_b32_e64 v37, v37, v39, s[2:3]
	v_and_or_b32 v1, v1, s41, v38
	v_lshl_or_b32 v37, v37, 7, v1
.LBB241_340:                            ;   in Loop: Header=BB241_223 Depth=1
	s_or_b64 exec, exec, s[28:29]
.LBB241_341:                            ;   in Loop: Header=BB241_223 Depth=1
	s_or_b64 exec, exec, s[22:23]
.LBB241_342:                            ;   in Loop: Header=BB241_223 Depth=1
	s_or_b64 exec, exec, s[20:21]
	v_cmp_lt_u32_e64 s[2:3], s13, v7
	s_and_saveexec_b64 s[20:21], s[2:3]
	s_cbranch_execz .LBB241_348
; %bb.343:                              ;   in Loop: Header=BB241_223 Depth=1
	v_lshrrev_b32_e32 v1, 24, v7
	v_cmp_ne_u32_e64 s[2:3], s39, v1
	v_bfrev_b32_e32 v36, 1
	s_and_saveexec_b64 s[22:23], s[2:3]
	s_cbranch_execz .LBB241_347
; %bb.344:                              ;   in Loop: Header=BB241_223 Depth=1
	v_and_b32_e32 v38, 0x7f, v1
	v_cmp_ne_u32_e64 s[2:3], s40, v38
	v_mov_b32_e32 v36, 0x7c010000
	s_and_saveexec_b64 s[28:29], s[2:3]
	s_cbranch_execz .LBB241_346
; %bb.345:                              ;   in Loop: Header=BB241_223 Depth=1
	v_and_b32_e32 v36, 7, v1
	v_ffbh_u32_e32 v39, v36
	v_min_u32_e32 v42, 32, v39
	v_subrev_u32_e32 v39, 28, v42
	v_lshlrev_b64 v[39:40], v39, v[1:2]
	v_lshrrev_b32_e32 v41, 3, v38
	v_sub_u32_e32 v40, 29, v42
	v_cmp_gt_u32_e64 s[2:3], 8, v38
	v_cndmask_b32_e64 v38, v41, v40, s[2:3]
	v_lshlrev_b32_e32 v1, 8, v1
	v_lshl_add_u32 v38, v38, 10, v25
	v_and_b32_e32 v39, 7, v39
	v_and_or_b32 v1, v1, s41, v38
	v_cndmask_b32_e64 v36, v36, v39, s[2:3]
	v_lshlrev_b32_e32 v1, 16, v1
	v_lshl_or_b32 v36, v36, 23, v1
.LBB241_346:                            ;   in Loop: Header=BB241_223 Depth=1
	s_or_b64 exec, exec, s[28:29]
.LBB241_347:                            ;   in Loop: Header=BB241_223 Depth=1
	s_or_b64 exec, exec, s[22:23]
.LBB241_348:                            ;   in Loop: Header=BB241_223 Depth=1
	s_or_b64 exec, exec, s[20:21]
	v_mov_b32_e32 v1, v8
	v_cmp_ne_u16_sdwa s[2:3], v8, v2 src0_sel:BYTE_0 src1_sel:DWORD
	v_mov_b32_e32 v38, 0
	v_mov_b32_e32 v39, 0
	s_and_saveexec_b64 s[20:21], s[2:3]
	s_cbranch_execz .LBB241_354
; %bb.349:                              ;   in Loop: Header=BB241_223 Depth=1
	v_cmp_ne_u16_sdwa s[2:3], v8, s39 src0_sel:BYTE_0 src1_sel:DWORD
	v_mov_b32_e32 v39, 0x8000
	s_and_saveexec_b64 s[22:23], s[2:3]
	s_cbranch_execz .LBB241_353
; %bb.350:                              ;   in Loop: Header=BB241_223 Depth=1
	v_and_b32_e32 v40, 0x7f, v8
	v_cmp_ne_u32_e64 s[2:3], s40, v40
	v_mov_b32_e32 v39, 0x7c01
	s_and_saveexec_b64 s[28:29], s[2:3]
	s_cbranch_execz .LBB241_352
; %bb.351:                              ;   in Loop: Header=BB241_223 Depth=1
	v_and_b32_e32 v39, 7, v8
	v_ffbh_u32_e32 v41, v39
	v_min_u32_e32 v44, 32, v41
	v_subrev_u32_e32 v41, 28, v44
	v_lshlrev_b64 v[41:42], v41, v[1:2]
	v_lshrrev_b32_e32 v43, 3, v40
	v_sub_u32_e32 v42, 29, v44
	v_cmp_gt_u32_e64 s[2:3], 8, v40
	v_cndmask_b32_e64 v40, v43, v42, s[2:3]
	v_lshl_add_u32 v40, v40, 10, v25
	v_lshlrev_b32_e32 v42, 8, v8
	v_and_b32_e32 v41, 7, v41
	v_and_b32_e32 v40, 0xfc00, v40
	v_cndmask_b32_e64 v39, v39, v41, s[2:3]
	v_and_or_b32 v40, v42, s41, v40
	v_lshl_or_b32 v39, v39, 7, v40
.LBB241_352:                            ;   in Loop: Header=BB241_223 Depth=1
	s_or_b64 exec, exec, s[28:29]
.LBB241_353:                            ;   in Loop: Header=BB241_223 Depth=1
	s_or_b64 exec, exec, s[22:23]
.LBB241_354:                            ;   in Loop: Header=BB241_223 Depth=1
	s_or_b64 exec, exec, s[20:21]
	v_lshrrev_b16_e32 v1, 8, v1
	v_cmp_ne_u16_e64 s[2:3], 0, v1
	v_mov_b32_e32 v40, 0
	s_and_saveexec_b64 s[20:21], s[2:3]
	s_cbranch_execz .LBB241_360
; %bb.355:                              ;   in Loop: Header=BB241_223 Depth=1
	v_cmp_ne_u16_e64 s[2:3], s39, v1
	v_bfrev_b32_e32 v40, 1
	s_and_saveexec_b64 s[22:23], s[2:3]
	s_cbranch_execz .LBB241_359
; %bb.356:                              ;   in Loop: Header=BB241_223 Depth=1
	v_and_b32_e32 v41, 0x7f, v1
	v_cmp_ne_u32_e64 s[2:3], s40, v41
	v_mov_b32_e32 v40, 0x7c010000
	s_and_saveexec_b64 s[28:29], s[2:3]
	s_cbranch_execz .LBB241_358
; %bb.357:                              ;   in Loop: Header=BB241_223 Depth=1
	v_and_b32_e32 v40, 7, v1
	v_ffbh_u32_e32 v42, v40
	v_min_u32_e32 v45, 32, v42
	v_subrev_u32_e32 v42, 28, v45
	v_lshlrev_b64 v[42:43], v42, v[1:2]
	v_lshrrev_b32_e32 v44, 3, v41
	v_sub_u32_e32 v43, 29, v45
	v_cmp_gt_u32_e64 s[2:3], 8, v41
	v_cndmask_b32_e64 v41, v44, v43, s[2:3]
	v_lshlrev_b32_e32 v1, 8, v1
	v_lshl_add_u32 v41, v41, 10, v25
	v_and_b32_e32 v42, 7, v42
	v_and_or_b32 v1, v1, s41, v41
	v_cndmask_b32_e64 v40, v40, v42, s[2:3]
	v_lshlrev_b32_e32 v1, 16, v1
	v_lshl_or_b32 v40, v40, 23, v1
.LBB241_358:                            ;   in Loop: Header=BB241_223 Depth=1
	s_or_b64 exec, exec, s[28:29]
.LBB241_359:                            ;   in Loop: Header=BB241_223 Depth=1
	s_or_b64 exec, exec, s[22:23]
.LBB241_360:                            ;   in Loop: Header=BB241_223 Depth=1
	s_or_b64 exec, exec, s[20:21]
	v_lshrrev_b32_e32 v1, 16, v8
	v_cmp_ne_u16_sdwa s[2:3], v1, v2 src0_sel:BYTE_0 src1_sel:DWORD
	s_and_saveexec_b64 s[20:21], s[2:3]
	s_cbranch_execz .LBB241_366
; %bb.361:                              ;   in Loop: Header=BB241_223 Depth=1
	v_cmp_ne_u16_sdwa s[2:3], v1, s39 src0_sel:BYTE_0 src1_sel:DWORD
	v_mov_b32_e32 v38, 0x8000
	s_and_saveexec_b64 s[22:23], s[2:3]
	s_cbranch_execz .LBB241_365
; %bb.362:                              ;   in Loop: Header=BB241_223 Depth=1
	v_bfe_u32 v41, v8, 16, 7
	v_cmp_ne_u32_e64 s[2:3], s40, v41
	v_mov_b32_e32 v38, 0x7c01
	s_and_saveexec_b64 s[28:29], s[2:3]
	s_cbranch_execz .LBB241_364
; %bb.363:                              ;   in Loop: Header=BB241_223 Depth=1
	v_and_b32_e32 v38, 7, v1
	v_ffbh_u32_e32 v42, v38
	v_min_u32_e32 v45, 32, v42
	v_subrev_u32_e32 v42, 28, v45
	v_lshlrev_b64 v[42:43], v42, v[1:2]
	v_lshrrev_b32_e32 v44, 3, v41
	v_sub_u32_e32 v43, 29, v45
	v_cmp_gt_u32_e64 s[2:3], 8, v41
	v_cndmask_b32_e64 v41, v44, v43, s[2:3]
	v_lshl_add_u32 v41, v41, 10, v25
	v_lshlrev_b32_e32 v1, 8, v1
	v_and_b32_e32 v42, 7, v42
	v_and_b32_e32 v41, 0xfc00, v41
	v_cndmask_b32_e64 v38, v38, v42, s[2:3]
	v_and_or_b32 v1, v1, s41, v41
	v_lshl_or_b32 v38, v38, 7, v1
.LBB241_364:                            ;   in Loop: Header=BB241_223 Depth=1
	s_or_b64 exec, exec, s[28:29]
.LBB241_365:                            ;   in Loop: Header=BB241_223 Depth=1
	s_or_b64 exec, exec, s[22:23]
.LBB241_366:                            ;   in Loop: Header=BB241_223 Depth=1
	s_or_b64 exec, exec, s[20:21]
	v_cmp_lt_u64_e64 s[2:3], s[12:13], v[7:8]
	v_mov_b32_e32 v41, 0
	s_and_saveexec_b64 s[20:21], s[2:3]
	s_cbranch_execz .LBB241_372
; %bb.367:                              ;   in Loop: Header=BB241_223 Depth=1
	v_lshrrev_b32_e32 v1, 24, v8
	v_cmp_ne_u32_e64 s[2:3], s39, v1
	v_bfrev_b32_e32 v41, 1
	s_and_saveexec_b64 s[22:23], s[2:3]
	s_cbranch_execz .LBB241_371
; %bb.368:                              ;   in Loop: Header=BB241_223 Depth=1
	v_and_b32_e32 v7, 0x7f, v1
	v_cmp_ne_u32_e64 s[2:3], s40, v7
	v_mov_b32_e32 v41, 0x7c010000
	s_and_saveexec_b64 s[28:29], s[2:3]
	s_cbranch_execz .LBB241_370
; %bb.369:                              ;   in Loop: Header=BB241_223 Depth=1
	v_and_b32_e32 v8, 7, v1
	v_ffbh_u32_e32 v41, v8
	v_min_u32_e32 v44, 32, v41
	v_subrev_u32_e32 v41, 28, v44
	v_lshlrev_b64 v[41:42], v41, v[1:2]
	v_lshrrev_b32_e32 v43, 3, v7
	v_sub_u32_e32 v42, 29, v44
	v_cmp_gt_u32_e64 s[2:3], 8, v7
	v_cndmask_b32_e64 v7, v43, v42, s[2:3]
	v_lshlrev_b32_e32 v1, 8, v1
	v_lshl_add_u32 v7, v7, 10, v25
	v_and_b32_e32 v41, 7, v41
	v_and_or_b32 v1, v1, s41, v7
	v_cndmask_b32_e64 v8, v8, v41, s[2:3]
	v_lshlrev_b32_e32 v1, 16, v1
	v_lshl_or_b32 v41, v8, 23, v1
.LBB241_370:                            ;   in Loop: Header=BB241_223 Depth=1
	s_or_b64 exec, exec, s[28:29]
.LBB241_371:                            ;   in Loop: Header=BB241_223 Depth=1
	s_or_b64 exec, exec, s[22:23]
.LBB241_372:                            ;   in Loop: Header=BB241_223 Depth=1
	s_or_b64 exec, exec, s[20:21]
	s_waitcnt vmcnt(0)
	v_fma_mixlo_f16 v7, v33, v36, 0 op_sel:[0,1,0] op_sel_hi:[0,1,0]
	v_lshlrev_b32_e32 v8, 16, v7
	v_or_b32_e32 v7, v34, v35
	v_fma_mixlo_f16 v34, v33, v34, 0 op_sel:[0,1,0] op_sel_hi:[0,1,0]
	v_or_b32_e32 v1, v36, v37
	v_lshlrev_b32_e32 v42, 16, v34
	v_or_b32_e32 v34, v40, v39
	v_or_b32_e32 v37, v41, v38
	v_fma_mixlo_f16 v1, v33, v1, 0 op_sel_hi:[0,1,0]
	v_fma_mixlo_f16 v7, v33, v7, 0 op_sel_hi:[0,1,0]
	v_fma_mixlo_f16 v35, v33, v40, 0 op_sel:[0,1,0] op_sel_hi:[0,1,0]
	v_fma_mixlo_f16 v34, v33, v34, 0 op_sel_hi:[0,1,0]
	v_fma_mixlo_f16 v37, v33, v37, 0 op_sel_hi:[0,1,0]
	v_fma_mixlo_f16 v33, v33, v41, 0 op_sel:[0,1,0] op_sel_hi:[0,1,0]
	v_and_b32_e32 v36, 0xffff, v1
	v_and_b32_e32 v43, 0xffff, v7
	v_lshlrev_b32_e32 v35, 16, v35
	v_and_b32_e32 v39, 0xffff, v34
	v_lshlrev_b32_e32 v33, 16, v33
	v_and_b32_e32 v37, 0xffff, v37
	v_or_b32_e32 v1, v8, v36
	v_or_b32_e32 v7, v42, v43
	;; [unrolled: 1-line block ×4, first 2 shown]
	s_and_saveexec_b64 s[20:21], s[0:1]
	s_cbranch_execz .LBB241_374
; %bb.373:                              ;   in Loop: Header=BB241_223 Depth=1
	v_cmp_gt_i32_e64 s[2:3], s33, v26
	v_add_u32_e32 v7, 1, v26
	v_cndmask_b32_e64 v1, 0, v43, s[2:3]
	v_cmp_gt_i32_e64 s[2:3], s33, v7
	v_cndmask_b32_e64 v7, 0, v42, s[2:3]
	v_or_b32_e32 v7, v7, v1
	v_add_u32_e32 v1, 2, v26
	v_cmp_gt_i32_e64 s[2:3], s33, v1
	v_add_u32_e32 v34, 3, v26
	v_cndmask_b32_e64 v1, 0, v36, s[2:3]
	v_cmp_gt_i32_e64 s[2:3], s33, v34
	v_cndmask_b32_e64 v8, 0, v8, s[2:3]
	v_or_b32_e32 v1, v8, v1
	v_add_u32_e32 v8, 4, v26
	;; [unrolled: 7-line block ×3, first 2 shown]
	v_cmp_gt_i32_e64 s[2:3], s33, v8
	v_add_u32_e32 v35, 7, v26
	v_cndmask_b32_e64 v8, 0, v37, s[2:3]
	v_cmp_gt_i32_e64 s[2:3], s33, v35
	v_cndmask_b32_e64 v33, 0, v33, s[2:3]
	v_or_b32_e32 v38, v33, v8
.LBB241_374:                            ;   in Loop: Header=BB241_223 Depth=1
	s_or_b64 exec, exec, s[20:21]
	;;#ASMSTART
	v_pk_mul_f16 v7, v32, v7;

	;;#ASMEND
	;;#ASMSTART
	v_pk_mul_f16 v1, v31, v1;

	;;#ASMEND
	;; [unrolled: 4-line block ×4, first 2 shown]
	;;#ASMSTART
	v_pk_add_f16 v1, v7, v1;

	;;#ASMEND
	;;#ASMSTART
	v_pk_add_f16 v1, v1, v8;

	;;#ASMEND
	;; [unrolled: 4-line block ×3, first 2 shown]
	v_lshrrev_b32_e32 v8, 16, v1
	v_and_b32_e32 v1, 0xffff, v1
	;;#ASMSTART
	v_cvt_f32_f16 v7, v1;
	;;#ASMEND
	;;#ASMSTART
	v_cvt_f32_f16 v8, v8;
	;;#ASMEND
	s_and_saveexec_b64 s[20:21], vcc
	s_cbranch_execz .LBB241_221
; %bb.375:                              ;   in Loop: Header=BB241_223 Depth=1
	v_add_co_u32_e64 v5, s[2:3], v5, v22
	v_addc_co_u32_e64 v6, s[2:3], 0, v6, s[2:3]
	global_load_dwordx2 v[5:6], v[5:6], off
	v_mov_b32_e32 v34, 0
	global_load_dword v33, v34, s[14:15]
	v_mov_b32_e32 v35, 0
	s_waitcnt vmcnt(1)
	v_cmp_ne_u16_sdwa s[2:3], v5, v2 src0_sel:BYTE_0 src1_sel:DWORD
	s_and_saveexec_b64 s[22:23], s[2:3]
	s_cbranch_execz .LBB241_381
; %bb.376:                              ;   in Loop: Header=BB241_223 Depth=1
	v_cmp_ne_u16_sdwa s[2:3], v5, s39 src0_sel:BYTE_0 src1_sel:DWORD
	v_mov_b32_e32 v35, 0x8000
	s_and_saveexec_b64 s[28:29], s[2:3]
	s_cbranch_execz .LBB241_380
; %bb.377:                              ;   in Loop: Header=BB241_223 Depth=1
	v_and_b32_e32 v1, 0x7f, v5
	v_cmp_ne_u32_e64 s[2:3], s40, v1
	v_mov_b32_e32 v35, 0x7c01
	s_and_saveexec_b64 s[30:31], s[2:3]
	s_cbranch_execz .LBB241_379
; %bb.378:                              ;   in Loop: Header=BB241_223 Depth=1
	v_and_b32_e32 v37, 7, v5
	v_ffbh_u32_e32 v35, v37
	v_min_u32_e32 v39, 32, v35
	v_subrev_u32_e32 v35, 28, v39
	v_lshlrev_b64 v[35:36], v35, v[5:6]
	v_lshrrev_b32_e32 v38, 3, v1
	v_sub_u32_e32 v36, 29, v39
	v_cmp_gt_u32_e64 s[2:3], 8, v1
	v_cndmask_b32_e64 v1, v38, v36, s[2:3]
	v_lshl_add_u32 v1, v1, 10, v25
	v_lshlrev_b32_e32 v36, 8, v5
	v_and_b32_e32 v35, 7, v35
	v_and_b32_e32 v1, 0xfc00, v1
	v_cndmask_b32_e64 v35, v37, v35, s[2:3]
	v_and_or_b32 v1, v36, s41, v1
	v_lshl_or_b32 v35, v35, 7, v1
.LBB241_379:                            ;   in Loop: Header=BB241_223 Depth=1
	s_or_b64 exec, exec, s[30:31]
.LBB241_380:                            ;   in Loop: Header=BB241_223 Depth=1
	s_or_b64 exec, exec, s[28:29]
.LBB241_381:                            ;   in Loop: Header=BB241_223 Depth=1
	s_or_b64 exec, exec, s[22:23]
	v_lshrrev_b16_e32 v1, 8, v5
	v_cmp_ne_u16_e64 s[2:3], 0, v1
	s_and_saveexec_b64 s[22:23], s[2:3]
	s_cbranch_execz .LBB241_387
; %bb.382:                              ;   in Loop: Header=BB241_223 Depth=1
	v_cmp_ne_u16_e64 s[2:3], s39, v1
	v_bfrev_b32_e32 v34, 1
	s_and_saveexec_b64 s[28:29], s[2:3]
	s_cbranch_execz .LBB241_386
; %bb.383:                              ;   in Loop: Header=BB241_223 Depth=1
	v_and_b32_e32 v36, 0x7f, v1
	v_cmp_ne_u32_e64 s[2:3], s40, v36
	v_mov_b32_e32 v34, 0x7c010000
	s_and_saveexec_b64 s[30:31], s[2:3]
	s_cbranch_execz .LBB241_385
; %bb.384:                              ;   in Loop: Header=BB241_223 Depth=1
	v_and_b32_e32 v34, 7, v1
	v_ffbh_u32_e32 v37, v34
	v_min_u32_e32 v40, 32, v37
	v_subrev_u32_e32 v37, 28, v40
	v_lshlrev_b64 v[37:38], v37, v[1:2]
	v_lshrrev_b32_e32 v39, 3, v36
	v_sub_u32_e32 v38, 29, v40
	v_cmp_gt_u32_e64 s[2:3], 8, v36
	v_cndmask_b32_e64 v36, v39, v38, s[2:3]
	v_lshlrev_b32_e32 v1, 8, v1
	v_lshl_add_u32 v36, v36, 10, v25
	v_and_b32_e32 v37, 7, v37
	v_and_or_b32 v1, v1, s41, v36
	v_cndmask_b32_e64 v34, v34, v37, s[2:3]
	v_lshlrev_b32_e32 v1, 16, v1
	v_lshl_or_b32 v34, v34, 23, v1
.LBB241_385:                            ;   in Loop: Header=BB241_223 Depth=1
	s_or_b64 exec, exec, s[30:31]
.LBB241_386:                            ;   in Loop: Header=BB241_223 Depth=1
	s_or_b64 exec, exec, s[28:29]
.LBB241_387:                            ;   in Loop: Header=BB241_223 Depth=1
	s_or_b64 exec, exec, s[22:23]
	v_lshrrev_b32_e32 v1, 16, v5
	v_cmp_ne_u16_sdwa s[2:3], v1, v2 src0_sel:BYTE_0 src1_sel:DWORD
	v_mov_b32_e32 v36, 0
	v_mov_b32_e32 v37, 0
	s_and_saveexec_b64 s[22:23], s[2:3]
	s_cbranch_execz .LBB241_393
; %bb.388:                              ;   in Loop: Header=BB241_223 Depth=1
	v_cmp_ne_u16_sdwa s[2:3], v1, s39 src0_sel:BYTE_0 src1_sel:DWORD
	v_mov_b32_e32 v37, 0x8000
	s_and_saveexec_b64 s[28:29], s[2:3]
	s_cbranch_execz .LBB241_392
; %bb.389:                              ;   in Loop: Header=BB241_223 Depth=1
	v_bfe_u32 v38, v5, 16, 7
	v_cmp_ne_u32_e64 s[2:3], s40, v38
	v_mov_b32_e32 v37, 0x7c01
	s_and_saveexec_b64 s[30:31], s[2:3]
	s_cbranch_execz .LBB241_391
; %bb.390:                              ;   in Loop: Header=BB241_223 Depth=1
	v_and_b32_e32 v37, 7, v1
	v_ffbh_u32_e32 v39, v37
	v_min_u32_e32 v42, 32, v39
	v_subrev_u32_e32 v39, 28, v42
	v_lshlrev_b64 v[39:40], v39, v[1:2]
	v_lshrrev_b32_e32 v41, 3, v38
	v_sub_u32_e32 v40, 29, v42
	v_cmp_gt_u32_e64 s[2:3], 8, v38
	v_cndmask_b32_e64 v38, v41, v40, s[2:3]
	v_lshl_add_u32 v38, v38, 10, v25
	v_lshlrev_b32_e32 v1, 8, v1
	v_and_b32_e32 v39, 7, v39
	v_and_b32_e32 v38, 0xfc00, v38
	v_cndmask_b32_e64 v37, v37, v39, s[2:3]
	v_and_or_b32 v1, v1, s41, v38
	v_lshl_or_b32 v37, v37, 7, v1
.LBB241_391:                            ;   in Loop: Header=BB241_223 Depth=1
	s_or_b64 exec, exec, s[30:31]
.LBB241_392:                            ;   in Loop: Header=BB241_223 Depth=1
	s_or_b64 exec, exec, s[28:29]
.LBB241_393:                            ;   in Loop: Header=BB241_223 Depth=1
	s_or_b64 exec, exec, s[22:23]
	v_cmp_lt_u32_e64 s[2:3], s13, v5
	s_and_saveexec_b64 s[22:23], s[2:3]
	s_cbranch_execz .LBB241_399
; %bb.394:                              ;   in Loop: Header=BB241_223 Depth=1
	v_lshrrev_b32_e32 v1, 24, v5
	v_cmp_ne_u32_e64 s[2:3], s39, v1
	v_bfrev_b32_e32 v36, 1
	s_and_saveexec_b64 s[28:29], s[2:3]
	s_cbranch_execz .LBB241_398
; %bb.395:                              ;   in Loop: Header=BB241_223 Depth=1
	v_and_b32_e32 v38, 0x7f, v1
	v_cmp_ne_u32_e64 s[2:3], s40, v38
	v_mov_b32_e32 v36, 0x7c010000
	s_and_saveexec_b64 s[30:31], s[2:3]
	s_cbranch_execz .LBB241_397
; %bb.396:                              ;   in Loop: Header=BB241_223 Depth=1
	v_and_b32_e32 v36, 7, v1
	v_ffbh_u32_e32 v39, v36
	v_min_u32_e32 v42, 32, v39
	v_subrev_u32_e32 v39, 28, v42
	v_lshlrev_b64 v[39:40], v39, v[1:2]
	v_lshrrev_b32_e32 v41, 3, v38
	v_sub_u32_e32 v40, 29, v42
	v_cmp_gt_u32_e64 s[2:3], 8, v38
	v_cndmask_b32_e64 v38, v41, v40, s[2:3]
	v_lshlrev_b32_e32 v1, 8, v1
	v_lshl_add_u32 v38, v38, 10, v25
	v_and_b32_e32 v39, 7, v39
	v_and_or_b32 v1, v1, s41, v38
	v_cndmask_b32_e64 v36, v36, v39, s[2:3]
	v_lshlrev_b32_e32 v1, 16, v1
	v_lshl_or_b32 v36, v36, 23, v1
.LBB241_397:                            ;   in Loop: Header=BB241_223 Depth=1
	s_or_b64 exec, exec, s[30:31]
.LBB241_398:                            ;   in Loop: Header=BB241_223 Depth=1
	s_or_b64 exec, exec, s[28:29]
.LBB241_399:                            ;   in Loop: Header=BB241_223 Depth=1
	s_or_b64 exec, exec, s[22:23]
	v_mov_b32_e32 v1, v6
	v_cmp_ne_u16_sdwa s[2:3], v6, v2 src0_sel:BYTE_0 src1_sel:DWORD
	v_mov_b32_e32 v38, 0
	v_mov_b32_e32 v39, 0
	s_and_saveexec_b64 s[22:23], s[2:3]
	s_cbranch_execz .LBB241_405
; %bb.400:                              ;   in Loop: Header=BB241_223 Depth=1
	v_cmp_ne_u16_sdwa s[2:3], v6, s39 src0_sel:BYTE_0 src1_sel:DWORD
	v_mov_b32_e32 v39, 0x8000
	s_and_saveexec_b64 s[28:29], s[2:3]
	s_cbranch_execz .LBB241_404
; %bb.401:                              ;   in Loop: Header=BB241_223 Depth=1
	v_and_b32_e32 v40, 0x7f, v6
	v_cmp_ne_u32_e64 s[2:3], s40, v40
	v_mov_b32_e32 v39, 0x7c01
	s_and_saveexec_b64 s[30:31], s[2:3]
	s_cbranch_execz .LBB241_403
; %bb.402:                              ;   in Loop: Header=BB241_223 Depth=1
	v_and_b32_e32 v39, 7, v6
	v_ffbh_u32_e32 v41, v39
	v_min_u32_e32 v44, 32, v41
	v_subrev_u32_e32 v41, 28, v44
	v_lshlrev_b64 v[41:42], v41, v[1:2]
	v_lshrrev_b32_e32 v43, 3, v40
	v_sub_u32_e32 v42, 29, v44
	v_cmp_gt_u32_e64 s[2:3], 8, v40
	v_cndmask_b32_e64 v40, v43, v42, s[2:3]
	v_lshl_add_u32 v40, v40, 10, v25
	v_lshlrev_b32_e32 v42, 8, v6
	v_and_b32_e32 v41, 7, v41
	v_and_b32_e32 v40, 0xfc00, v40
	v_cndmask_b32_e64 v39, v39, v41, s[2:3]
	v_and_or_b32 v40, v42, s41, v40
	v_lshl_or_b32 v39, v39, 7, v40
.LBB241_403:                            ;   in Loop: Header=BB241_223 Depth=1
	s_or_b64 exec, exec, s[30:31]
.LBB241_404:                            ;   in Loop: Header=BB241_223 Depth=1
	s_or_b64 exec, exec, s[28:29]
.LBB241_405:                            ;   in Loop: Header=BB241_223 Depth=1
	s_or_b64 exec, exec, s[22:23]
	v_lshrrev_b16_e32 v1, 8, v1
	v_cmp_ne_u16_e64 s[2:3], 0, v1
	v_mov_b32_e32 v40, 0
	s_and_saveexec_b64 s[22:23], s[2:3]
	s_cbranch_execz .LBB241_411
; %bb.406:                              ;   in Loop: Header=BB241_223 Depth=1
	v_cmp_ne_u16_e64 s[2:3], s39, v1
	v_bfrev_b32_e32 v40, 1
	s_and_saveexec_b64 s[28:29], s[2:3]
	s_cbranch_execz .LBB241_410
; %bb.407:                              ;   in Loop: Header=BB241_223 Depth=1
	v_and_b32_e32 v41, 0x7f, v1
	v_cmp_ne_u32_e64 s[2:3], s40, v41
	v_mov_b32_e32 v40, 0x7c010000
	s_and_saveexec_b64 s[30:31], s[2:3]
	s_cbranch_execz .LBB241_409
; %bb.408:                              ;   in Loop: Header=BB241_223 Depth=1
	v_and_b32_e32 v40, 7, v1
	v_ffbh_u32_e32 v42, v40
	v_min_u32_e32 v45, 32, v42
	v_subrev_u32_e32 v42, 28, v45
	v_lshlrev_b64 v[42:43], v42, v[1:2]
	v_lshrrev_b32_e32 v44, 3, v41
	v_sub_u32_e32 v43, 29, v45
	v_cmp_gt_u32_e64 s[2:3], 8, v41
	v_cndmask_b32_e64 v41, v44, v43, s[2:3]
	v_lshlrev_b32_e32 v1, 8, v1
	v_lshl_add_u32 v41, v41, 10, v25
	v_and_b32_e32 v42, 7, v42
	v_and_or_b32 v1, v1, s41, v41
	v_cndmask_b32_e64 v40, v40, v42, s[2:3]
	v_lshlrev_b32_e32 v1, 16, v1
	v_lshl_or_b32 v40, v40, 23, v1
.LBB241_409:                            ;   in Loop: Header=BB241_223 Depth=1
	s_or_b64 exec, exec, s[30:31]
.LBB241_410:                            ;   in Loop: Header=BB241_223 Depth=1
	s_or_b64 exec, exec, s[28:29]
.LBB241_411:                            ;   in Loop: Header=BB241_223 Depth=1
	s_or_b64 exec, exec, s[22:23]
	v_lshrrev_b32_e32 v1, 16, v6
	v_cmp_ne_u16_sdwa s[2:3], v1, v2 src0_sel:BYTE_0 src1_sel:DWORD
	s_and_saveexec_b64 s[22:23], s[2:3]
	s_cbranch_execz .LBB241_417
; %bb.412:                              ;   in Loop: Header=BB241_223 Depth=1
	v_cmp_ne_u16_sdwa s[2:3], v1, s39 src0_sel:BYTE_0 src1_sel:DWORD
	v_mov_b32_e32 v38, 0x8000
	s_and_saveexec_b64 s[28:29], s[2:3]
	s_cbranch_execz .LBB241_416
; %bb.413:                              ;   in Loop: Header=BB241_223 Depth=1
	v_bfe_u32 v41, v6, 16, 7
	v_cmp_ne_u32_e64 s[2:3], s40, v41
	v_mov_b32_e32 v38, 0x7c01
	s_and_saveexec_b64 s[30:31], s[2:3]
	s_cbranch_execz .LBB241_415
; %bb.414:                              ;   in Loop: Header=BB241_223 Depth=1
	v_and_b32_e32 v38, 7, v1
	v_ffbh_u32_e32 v42, v38
	v_min_u32_e32 v45, 32, v42
	v_subrev_u32_e32 v42, 28, v45
	v_lshlrev_b64 v[42:43], v42, v[1:2]
	v_lshrrev_b32_e32 v44, 3, v41
	v_sub_u32_e32 v43, 29, v45
	v_cmp_gt_u32_e64 s[2:3], 8, v41
	v_cndmask_b32_e64 v41, v44, v43, s[2:3]
	v_lshl_add_u32 v41, v41, 10, v25
	v_lshlrev_b32_e32 v1, 8, v1
	v_and_b32_e32 v42, 7, v42
	v_and_b32_e32 v41, 0xfc00, v41
	v_cndmask_b32_e64 v38, v38, v42, s[2:3]
	v_and_or_b32 v1, v1, s41, v41
	v_lshl_or_b32 v38, v38, 7, v1
.LBB241_415:                            ;   in Loop: Header=BB241_223 Depth=1
	s_or_b64 exec, exec, s[30:31]
.LBB241_416:                            ;   in Loop: Header=BB241_223 Depth=1
	s_or_b64 exec, exec, s[28:29]
.LBB241_417:                            ;   in Loop: Header=BB241_223 Depth=1
	s_or_b64 exec, exec, s[22:23]
	v_cmp_lt_u64_e64 s[2:3], s[12:13], v[5:6]
	v_mov_b32_e32 v41, 0
	s_and_saveexec_b64 s[22:23], s[2:3]
	s_cbranch_execz .LBB241_423
; %bb.418:                              ;   in Loop: Header=BB241_223 Depth=1
	v_lshrrev_b32_e32 v1, 24, v6
	v_cmp_ne_u32_e64 s[2:3], s39, v1
	v_bfrev_b32_e32 v41, 1
	s_and_saveexec_b64 s[28:29], s[2:3]
	s_cbranch_execz .LBB241_422
; %bb.419:                              ;   in Loop: Header=BB241_223 Depth=1
	v_and_b32_e32 v5, 0x7f, v1
	v_cmp_ne_u32_e64 s[2:3], s40, v5
	v_mov_b32_e32 v41, 0x7c010000
	s_and_saveexec_b64 s[30:31], s[2:3]
	s_cbranch_execz .LBB241_421
; %bb.420:                              ;   in Loop: Header=BB241_223 Depth=1
	v_and_b32_e32 v6, 7, v1
	v_ffbh_u32_e32 v41, v6
	v_min_u32_e32 v44, 32, v41
	v_subrev_u32_e32 v41, 28, v44
	v_lshlrev_b64 v[41:42], v41, v[1:2]
	v_lshrrev_b32_e32 v43, 3, v5
	v_sub_u32_e32 v42, 29, v44
	v_cmp_gt_u32_e64 s[2:3], 8, v5
	v_cndmask_b32_e64 v5, v43, v42, s[2:3]
	v_lshlrev_b32_e32 v1, 8, v1
	v_lshl_add_u32 v5, v5, 10, v25
	v_and_b32_e32 v41, 7, v41
	v_and_or_b32 v1, v1, s41, v5
	v_cndmask_b32_e64 v6, v6, v41, s[2:3]
	v_lshlrev_b32_e32 v1, 16, v1
	v_lshl_or_b32 v41, v6, 23, v1
.LBB241_421:                            ;   in Loop: Header=BB241_223 Depth=1
	s_or_b64 exec, exec, s[30:31]
.LBB241_422:                            ;   in Loop: Header=BB241_223 Depth=1
	s_or_b64 exec, exec, s[28:29]
.LBB241_423:                            ;   in Loop: Header=BB241_223 Depth=1
	s_or_b64 exec, exec, s[22:23]
	s_waitcnt vmcnt(0)
	v_fma_mixlo_f16 v5, v33, v36, 0 op_sel:[0,1,0] op_sel_hi:[0,1,0]
	v_lshlrev_b32_e32 v6, 16, v5
	v_or_b32_e32 v5, v34, v35
	v_fma_mixlo_f16 v34, v33, v34, 0 op_sel:[0,1,0] op_sel_hi:[0,1,0]
	v_or_b32_e32 v1, v36, v37
	v_lshlrev_b32_e32 v42, 16, v34
	v_or_b32_e32 v34, v40, v39
	v_or_b32_e32 v37, v41, v38
	v_fma_mixlo_f16 v1, v33, v1, 0 op_sel_hi:[0,1,0]
	v_fma_mixlo_f16 v5, v33, v5, 0 op_sel_hi:[0,1,0]
	v_fma_mixlo_f16 v35, v33, v40, 0 op_sel:[0,1,0] op_sel_hi:[0,1,0]
	v_fma_mixlo_f16 v34, v33, v34, 0 op_sel_hi:[0,1,0]
	v_fma_mixlo_f16 v37, v33, v37, 0 op_sel_hi:[0,1,0]
	v_fma_mixlo_f16 v33, v33, v41, 0 op_sel:[0,1,0] op_sel_hi:[0,1,0]
	v_and_b32_e32 v36, 0xffff, v1
	v_and_b32_e32 v43, 0xffff, v5
	v_lshlrev_b32_e32 v35, 16, v35
	v_and_b32_e32 v39, 0xffff, v34
	v_lshlrev_b32_e32 v33, 16, v33
	v_and_b32_e32 v37, 0xffff, v37
	v_or_b32_e32 v1, v6, v36
	v_or_b32_e32 v5, v42, v43
	;; [unrolled: 1-line block ×4, first 2 shown]
	s_and_saveexec_b64 s[2:3], s[0:1]
	s_cbranch_execz .LBB241_220
; %bb.424:                              ;   in Loop: Header=BB241_223 Depth=1
	v_cmp_gt_i32_e64 s[0:1], s33, v26
	v_add_u32_e32 v5, 1, v26
	v_cndmask_b32_e64 v1, 0, v43, s[0:1]
	v_cmp_gt_i32_e64 s[0:1], s33, v5
	v_cndmask_b32_e64 v5, 0, v42, s[0:1]
	v_or_b32_e32 v5, v5, v1
	v_add_u32_e32 v1, 2, v26
	v_cmp_gt_i32_e64 s[0:1], s33, v1
	v_add_u32_e32 v34, 3, v26
	v_cndmask_b32_e64 v1, 0, v36, s[0:1]
	v_cmp_gt_i32_e64 s[0:1], s33, v34
	v_cndmask_b32_e64 v6, 0, v6, s[0:1]
	v_or_b32_e32 v1, v6, v1
	v_add_u32_e32 v6, 4, v26
	;; [unrolled: 7-line block ×3, first 2 shown]
	v_cmp_gt_i32_e64 s[0:1], s33, v6
	v_add_u32_e32 v26, 7, v26
	v_cndmask_b32_e64 v6, 0, v37, s[0:1]
	v_cmp_gt_i32_e64 s[0:1], s33, v26
	v_cndmask_b32_e64 v26, 0, v33, s[0:1]
	v_or_b32_e32 v38, v26, v6
	s_branch .LBB241_220
.LBB241_425:
	s_or_b64 exec, exec, s[16:17]
.LBB241_426:
	s_or_b64 exec, exec, s[4:5]
	ds_bpermute_b32 v2, v13, v18
	ds_bpermute_b32 v5, v13, v16
	;; [unrolled: 1-line block ×4, first 2 shown]
	v_cmp_eq_u32_e32 vcc, 0, v15
	s_waitcnt lgkmcnt(3)
	v_add_f32_e32 v3, v18, v2
	s_waitcnt lgkmcnt(2)
	v_add_f32_e32 v2, v16, v5
	v_and_b32_e32 v5, 0x3c0, v0
	s_waitcnt lgkmcnt(1)
	v_add_f32_e32 v4, v17, v1
	s_waitcnt lgkmcnt(0)
	v_add_f32_e32 v1, v19, v6
	v_cmp_eq_u32_e64 s[0:1], 64, v5
	s_barrier
	s_and_saveexec_b64 s[2:3], s[0:1]
	s_cbranch_execz .LBB241_431
; %bb.427:
	s_and_saveexec_b64 s[0:1], vcc
	s_cbranch_execz .LBB241_429
; %bb.428:
	v_mov_b32_e32 v5, 0x100
	v_lshl_add_u32 v5, v14, 2, v5
	ds_write2_b32 v5, v4, v3 offset1:32
	ds_write_b32 v5, v2 offset:256
.LBB241_429:
	s_or_b64 exec, exec, s[0:1]
	v_or_b32_e32 v5, 0x60, v14
	s_movk_i32 s0, 0x78
	v_cmp_gt_u32_e64 s[0:1], s0, v5
	s_and_b64 s[0:1], vcc, s[0:1]
	s_and_b64 exec, exec, s[0:1]
; %bb.430:
	v_mov_b32_e32 v5, 0x100
	v_lshl_add_u32 v5, v14, 2, v5
	ds_write_b32 v5, v1 offset:384
.LBB241_431:
	s_or_b64 exec, exec, s[2:3]
	v_cmp_gt_u32_e64 s[0:1], 64, v0
	v_lshrrev_b32_e32 v0, 1, v0
	s_waitcnt lgkmcnt(0)
	s_barrier
	s_and_saveexec_b64 s[4:5], s[0:1]
	s_cbranch_execz .LBB241_441
; %bb.432:
	s_and_saveexec_b64 s[2:3], vcc
	s_cbranch_execz .LBB241_434
; %bb.433:
	v_mov_b32_e32 v5, 0x100
	v_lshl_add_u32 v5, v0, 2, v5
	ds_read_b32 v5, v5
	s_waitcnt lgkmcnt(0)
	v_add_f32_e32 v4, v4, v5
.LBB241_434:
	s_or_b64 exec, exec, s[2:3]
	v_or_b32_e32 v5, 32, v0
	s_movk_i32 s6, 0x78
	v_cmp_gt_u32_e64 s[2:3], s6, v5
	s_and_b64 s[12:13], vcc, s[2:3]
	s_and_saveexec_b64 s[2:3], s[12:13]
	s_cbranch_execz .LBB241_436
; %bb.435:
	v_mov_b32_e32 v5, 0x100
	v_lshl_add_u32 v5, v0, 2, v5
	ds_read_b32 v5, v5 offset:128
	s_waitcnt lgkmcnt(0)
	v_add_f32_e32 v3, v3, v5
.LBB241_436:
	s_or_b64 exec, exec, s[2:3]
	v_or_b32_e32 v5, 64, v0
	v_cmp_gt_u32_e64 s[2:3], s6, v5
	s_and_b64 s[6:7], vcc, s[2:3]
	s_and_saveexec_b64 s[2:3], s[6:7]
	s_cbranch_execz .LBB241_438
; %bb.437:
	v_mov_b32_e32 v5, 0x100
	v_lshl_add_u32 v5, v0, 2, v5
	ds_read_b32 v5, v5 offset:256
	s_waitcnt lgkmcnt(0)
	v_add_f32_e32 v2, v2, v5
.LBB241_438:
	s_or_b64 exec, exec, s[2:3]
	v_or_b32_e32 v5, 0x60, v0
	s_movk_i32 s2, 0x78
	v_cmp_gt_u32_e64 s[2:3], s2, v5
	s_and_b64 s[6:7], vcc, s[2:3]
	s_and_saveexec_b64 s[2:3], s[6:7]
	s_cbranch_execz .LBB241_440
; %bb.439:
	v_mov_b32_e32 v5, 0x100
	v_lshl_add_u32 v5, v0, 2, v5
	ds_read_b32 v5, v5 offset:384
	s_waitcnt lgkmcnt(0)
	v_add_f32_e32 v1, v1, v5
.LBB241_440:
	s_or_b64 exec, exec, s[2:3]
.LBB241_441:
	s_or_b64 exec, exec, s[4:5]
	s_barrier
	s_and_saveexec_b64 s[2:3], s[0:1]
	s_cbranch_execz .LBB241_450
; %bb.442:
	s_mul_i32 s0, s10, s11
	s_mul_i32 s0, s0, s9
	s_mulk_i32 s0, 0x78
	s_ashr_i32 s1, s0, 31
	s_lshl_b64 s[0:1], s[0:1], 1
	s_add_u32 s2, s26, s0
	s_mul_i32 s0, s11, s24
	s_addc_u32 s3, s27, s1
	s_ashr_i32 s1, s0, 31
	s_lshl_b64 s[0:1], s[0:1], 1
	s_add_u32 s2, s2, s0
	s_mul_i32 s0, s8, 0x78
	s_addc_u32 s3, s3, s1
	s_ashr_i32 s1, s0, 31
	s_lshl_b64 s[0:1], s[0:1], 1
	s_add_u32 s2, s2, s0
	s_movk_i32 s4, 0x78
	s_addc_u32 s3, s3, s1
	v_lshlrev_b32_e32 v5, 1, v0
	s_and_saveexec_b64 s[0:1], vcc
	s_cbranch_execz .LBB241_444
; %bb.443:
	;;#ASMSTART
	v_cvt_f16_f32 v4, v4;

	;;#ASMEND
	global_store_short v5, v4, s[2:3]
.LBB241_444:
	s_or_b64 exec, exec, s[0:1]
	v_or_b32_e32 v4, 32, v0
	v_cmp_gt_u32_e64 s[0:1], s4, v4
	s_and_b64 s[4:5], vcc, s[0:1]
	s_and_saveexec_b64 s[0:1], s[4:5]
	s_cbranch_execz .LBB241_446
; %bb.445:
	;;#ASMSTART
	v_cvt_f16_f32 v3, v3;

	;;#ASMEND
	global_store_short v5, v3, s[2:3] offset:64
.LBB241_446:
	s_or_b64 exec, exec, s[0:1]
	v_or_b32_e32 v3, 64, v0
	s_movk_i32 s4, 0x78
	v_cmp_gt_u32_e64 s[0:1], s4, v3
	s_and_b64 s[6:7], vcc, s[0:1]
	s_and_saveexec_b64 s[0:1], s[6:7]
	s_cbranch_execz .LBB241_448
; %bb.447:
	;;#ASMSTART
	v_cvt_f16_f32 v2, v2;

	;;#ASMEND
	global_store_short v5, v2, s[2:3] offset:128
.LBB241_448:
	s_or_b64 exec, exec, s[0:1]
	v_or_b32_e32 v0, 0x60, v0
	v_cmp_gt_u32_e64 s[0:1], s4, v0
	s_and_b64 s[0:1], vcc, s[0:1]
	s_and_b64 exec, exec, s[0:1]
	s_cbranch_execz .LBB241_450
; %bb.449:
	;;#ASMSTART
	v_cvt_f16_f32 v0, v1;

	;;#ASMEND
	global_store_short v5, v0, s[2:3] offset:192
.LBB241_450:
	s_endpgm
	.section	.rodata,"a",@progbits
	.p2align	6, 0x0
	.amdhsa_kernel _ZN4vllm25paged_attention_v1_kernelIthLi120ELi16ELi128ELNS_18Fp8KVCacheDataTypeE1ELb1EEEvPT_PKS2_PKT0_S8_ifPKiSA_iPKfiiiSC_SC_iiiii
		.amdhsa_group_segment_fixed_size 256
		.amdhsa_private_segment_fixed_size 0
		.amdhsa_kernarg_size 384
		.amdhsa_user_sgpr_count 6
		.amdhsa_user_sgpr_private_segment_buffer 1
		.amdhsa_user_sgpr_dispatch_ptr 0
		.amdhsa_user_sgpr_queue_ptr 0
		.amdhsa_user_sgpr_kernarg_segment_ptr 1
		.amdhsa_user_sgpr_dispatch_id 0
		.amdhsa_user_sgpr_flat_scratch_init 0
		.amdhsa_user_sgpr_private_segment_size 0
		.amdhsa_uses_dynamic_stack 0
		.amdhsa_system_sgpr_private_segment_wavefront_offset 0
		.amdhsa_system_sgpr_workgroup_id_x 1
		.amdhsa_system_sgpr_workgroup_id_y 1
		.amdhsa_system_sgpr_workgroup_id_z 1
		.amdhsa_system_sgpr_workgroup_info 0
		.amdhsa_system_vgpr_workitem_id 0
		.amdhsa_next_free_vgpr 58
		.amdhsa_next_free_sgpr 55
		.amdhsa_reserve_vcc 1
		.amdhsa_reserve_flat_scratch 0
		.amdhsa_float_round_mode_32 0
		.amdhsa_float_round_mode_16_64 0
		.amdhsa_float_denorm_mode_32 3
		.amdhsa_float_denorm_mode_16_64 3
		.amdhsa_dx10_clamp 1
		.amdhsa_ieee_mode 1
		.amdhsa_fp16_overflow 0
		.amdhsa_exception_fp_ieee_invalid_op 0
		.amdhsa_exception_fp_denorm_src 0
		.amdhsa_exception_fp_ieee_div_zero 0
		.amdhsa_exception_fp_ieee_overflow 0
		.amdhsa_exception_fp_ieee_underflow 0
		.amdhsa_exception_fp_ieee_inexact 0
		.amdhsa_exception_int_div_zero 0
	.end_amdhsa_kernel
	.section	.text._ZN4vllm25paged_attention_v1_kernelIthLi120ELi16ELi128ELNS_18Fp8KVCacheDataTypeE1ELb1EEEvPT_PKS2_PKT0_S8_ifPKiSA_iPKfiiiSC_SC_iiiii,"axG",@progbits,_ZN4vllm25paged_attention_v1_kernelIthLi120ELi16ELi128ELNS_18Fp8KVCacheDataTypeE1ELb1EEEvPT_PKS2_PKT0_S8_ifPKiSA_iPKfiiiSC_SC_iiiii,comdat
.Lfunc_end241:
	.size	_ZN4vllm25paged_attention_v1_kernelIthLi120ELi16ELi128ELNS_18Fp8KVCacheDataTypeE1ELb1EEEvPT_PKS2_PKT0_S8_ifPKiSA_iPKfiiiSC_SC_iiiii, .Lfunc_end241-_ZN4vllm25paged_attention_v1_kernelIthLi120ELi16ELi128ELNS_18Fp8KVCacheDataTypeE1ELb1EEEvPT_PKS2_PKT0_S8_ifPKiSA_iPKfiiiSC_SC_iiiii
                                        ; -- End function
	.set _ZN4vllm25paged_attention_v1_kernelIthLi120ELi16ELi128ELNS_18Fp8KVCacheDataTypeE1ELb1EEEvPT_PKS2_PKT0_S8_ifPKiSA_iPKfiiiSC_SC_iiiii.num_vgpr, 58
	.set _ZN4vllm25paged_attention_v1_kernelIthLi120ELi16ELi128ELNS_18Fp8KVCacheDataTypeE1ELb1EEEvPT_PKS2_PKT0_S8_ifPKiSA_iPKfiiiSC_SC_iiiii.num_agpr, 0
	.set _ZN4vllm25paged_attention_v1_kernelIthLi120ELi16ELi128ELNS_18Fp8KVCacheDataTypeE1ELb1EEEvPT_PKS2_PKT0_S8_ifPKiSA_iPKfiiiSC_SC_iiiii.numbered_sgpr, 55
	.set _ZN4vllm25paged_attention_v1_kernelIthLi120ELi16ELi128ELNS_18Fp8KVCacheDataTypeE1ELb1EEEvPT_PKS2_PKT0_S8_ifPKiSA_iPKfiiiSC_SC_iiiii.num_named_barrier, 0
	.set _ZN4vllm25paged_attention_v1_kernelIthLi120ELi16ELi128ELNS_18Fp8KVCacheDataTypeE1ELb1EEEvPT_PKS2_PKT0_S8_ifPKiSA_iPKfiiiSC_SC_iiiii.private_seg_size, 0
	.set _ZN4vllm25paged_attention_v1_kernelIthLi120ELi16ELi128ELNS_18Fp8KVCacheDataTypeE1ELb1EEEvPT_PKS2_PKT0_S8_ifPKiSA_iPKfiiiSC_SC_iiiii.uses_vcc, 1
	.set _ZN4vllm25paged_attention_v1_kernelIthLi120ELi16ELi128ELNS_18Fp8KVCacheDataTypeE1ELb1EEEvPT_PKS2_PKT0_S8_ifPKiSA_iPKfiiiSC_SC_iiiii.uses_flat_scratch, 0
	.set _ZN4vllm25paged_attention_v1_kernelIthLi120ELi16ELi128ELNS_18Fp8KVCacheDataTypeE1ELb1EEEvPT_PKS2_PKT0_S8_ifPKiSA_iPKfiiiSC_SC_iiiii.has_dyn_sized_stack, 0
	.set _ZN4vllm25paged_attention_v1_kernelIthLi120ELi16ELi128ELNS_18Fp8KVCacheDataTypeE1ELb1EEEvPT_PKS2_PKT0_S8_ifPKiSA_iPKfiiiSC_SC_iiiii.has_recursion, 0
	.set _ZN4vllm25paged_attention_v1_kernelIthLi120ELi16ELi128ELNS_18Fp8KVCacheDataTypeE1ELb1EEEvPT_PKS2_PKT0_S8_ifPKiSA_iPKfiiiSC_SC_iiiii.has_indirect_call, 0
	.section	.AMDGPU.csdata,"",@progbits
; Kernel info:
; codeLenInByte = 18792
; TotalNumSgprs: 59
; NumVgprs: 58
; ScratchSize: 0
; MemoryBound: 0
; FloatMode: 240
; IeeeMode: 1
; LDSByteSize: 256 bytes/workgroup (compile time only)
; SGPRBlocks: 7
; VGPRBlocks: 14
; NumSGPRsForWavesPerEU: 59
; NumVGPRsForWavesPerEU: 58
; Occupancy: 4
; WaveLimiterHint : 1
; COMPUTE_PGM_RSRC2:SCRATCH_EN: 0
; COMPUTE_PGM_RSRC2:USER_SGPR: 6
; COMPUTE_PGM_RSRC2:TRAP_HANDLER: 0
; COMPUTE_PGM_RSRC2:TGID_X_EN: 1
; COMPUTE_PGM_RSRC2:TGID_Y_EN: 1
; COMPUTE_PGM_RSRC2:TGID_Z_EN: 1
; COMPUTE_PGM_RSRC2:TIDIG_COMP_CNT: 0
	.section	.text._ZN4vllm25paged_attention_v1_kernelIthLi128ELi16ELi128ELNS_18Fp8KVCacheDataTypeE1ELb1EEEvPT_PKS2_PKT0_S8_ifPKiSA_iPKfiiiSC_SC_iiiii,"axG",@progbits,_ZN4vllm25paged_attention_v1_kernelIthLi128ELi16ELi128ELNS_18Fp8KVCacheDataTypeE1ELb1EEEvPT_PKS2_PKT0_S8_ifPKiSA_iPKfiiiSC_SC_iiiii,comdat
	.protected	_ZN4vllm25paged_attention_v1_kernelIthLi128ELi16ELi128ELNS_18Fp8KVCacheDataTypeE1ELb1EEEvPT_PKS2_PKT0_S8_ifPKiSA_iPKfiiiSC_SC_iiiii ; -- Begin function _ZN4vllm25paged_attention_v1_kernelIthLi128ELi16ELi128ELNS_18Fp8KVCacheDataTypeE1ELb1EEEvPT_PKS2_PKT0_S8_ifPKiSA_iPKfiiiSC_SC_iiiii
	.globl	_ZN4vllm25paged_attention_v1_kernelIthLi128ELi16ELi128ELNS_18Fp8KVCacheDataTypeE1ELb1EEEvPT_PKS2_PKT0_S8_ifPKiSA_iPKfiiiSC_SC_iiiii
	.p2align	8
	.type	_ZN4vllm25paged_attention_v1_kernelIthLi128ELi16ELi128ELNS_18Fp8KVCacheDataTypeE1ELb1EEEvPT_PKS2_PKT0_S8_ifPKiSA_iPKfiiiSC_SC_iiiii,@function
_ZN4vllm25paged_attention_v1_kernelIthLi128ELi16ELi128ELNS_18Fp8KVCacheDataTypeE1ELb1EEEvPT_PKS2_PKT0_S8_ifPKiSA_iPKfiiiSC_SC_iiiii: ; @_ZN4vllm25paged_attention_v1_kernelIthLi128ELi16ELi128ELNS_18Fp8KVCacheDataTypeE1ELb1EEEvPT_PKS2_PKT0_S8_ifPKiSA_iPKfiiiSC_SC_iiiii
; %bb.0:
	s_load_dword s9, s[4:5], 0x80
	s_load_dwordx2 s[0:1], s[4:5], 0x30
	s_load_dwordx2 s[38:39], s[4:5], 0x20
	s_mov_b32 s24, s7
	s_ashr_i32 s25, s7, 31
	s_lshl_b64 s[2:3], s[24:25], 2
	s_waitcnt lgkmcnt(0)
	s_add_u32 s0, s0, s2
	s_addc_u32 s1, s1, s3
	s_abs_i32 s2, s38
	v_cvt_f32_u32_e32 v1, s2
	s_sub_i32 s10, 0, s2
	s_abs_i32 s7, s9
	s_xor_b32 s3, s9, s38
	v_rcp_iflag_f32_e32 v1, v1
	s_ashr_i32 s3, s3, 31
	s_mov_b32 s50, 0
	v_mul_f32_e32 v1, 0x4f7ffffe, v1
	v_cvt_u32_f32_e32 v1, v1
	v_readfirstlane_b32 s11, v1
	s_mul_i32 s10, s10, s11
	s_mul_hi_u32 s10, s11, s10
	s_add_i32 s11, s11, s10
	s_mul_hi_u32 s10, s7, s11
	s_mul_i32 s11, s10, s2
	s_sub_i32 s7, s7, s11
	s_add_i32 s11, s10, 1
	s_sub_i32 s12, s7, s2
	s_cmp_ge_u32 s7, s2
	s_cselect_b32 s10, s11, s10
	s_cselect_b32 s7, s12, s7
	s_add_i32 s11, s10, 1
	s_cmp_ge_u32 s7, s2
	s_cselect_b32 s2, s11, s10
	s_xor_b32 s2, s2, s3
	s_sub_i32 s11, s2, s3
	s_abs_i32 s10, s11
	v_cvt_f32_u32_e32 v1, s10
	s_load_dwordx2 s[2:3], s[4:5], 0x40
	s_sub_i32 s7, 0, s10
	s_abs_i32 s12, s6
	v_rcp_iflag_f32_e32 v1, v1
	v_mul_f32_e32 v1, 0x4f7ffffe, v1
	v_cvt_u32_f32_e32 v1, v1
	v_readfirstlane_b32 s13, v1
	s_mul_i32 s7, s7, s13
	s_mul_hi_u32 s7, s13, s7
	s_add_i32 s13, s13, s7
	s_waitcnt lgkmcnt(0)
	s_cmp_eq_u64 s[2:3], 0
	s_mul_hi_u32 s13, s12, s13
	s_cbranch_scc1 .LBB242_2
; %bb.1:
	s_ashr_i32 s7, s6, 31
	s_lshl_b64 s[14:15], s[6:7], 2
	s_add_u32 s2, s2, s14
	s_addc_u32 s3, s3, s15
	s_load_dword s50, s[2:3], 0x0
.LBB242_2:
	s_load_dword s25, s[0:1], 0x0
	s_load_dwordx4 s[16:19], s[4:5], 0x48
	s_ashr_i32 s7, s6, 31
	s_ashr_i32 s14, s11, 31
	v_and_b32_e32 v1, 3, v0
	s_lshl_b32 s26, s6, 7
	v_cmp_gt_u32_e64 s[0:1], 64, v0
	s_and_saveexec_b64 s[2:3], s[0:1]
	s_cbranch_execz .LBB242_4
; %bb.3:
	s_load_dwordx2 s[20:21], s[4:5], 0x8
	s_waitcnt lgkmcnt(0)
	s_mul_i32 s22, s16, s24
	s_ashr_i32 s23, s22, 31
	s_lshl_b64 s[22:23], s[22:23], 1
	v_lshlrev_b32_e32 v2, 2, v0
	s_add_u32 s11, s20, s22
	s_addc_u32 s15, s21, s23
	s_ashr_i32 s27, s26, 31
	s_lshl_b64 s[20:21], s[26:27], 1
	s_add_u32 s20, s11, s20
	s_addc_u32 s21, s15, s21
	global_load_dword v2, v2, s[20:21]
	v_and_b32_e32 v3, 0x3fc, v0
	v_lshl_add_u32 v3, v1, 6, v3
	s_waitcnt vmcnt(0)
	ds_write_b32 v3, v2
.LBB242_4:
	s_or_b64 exec, exec, s[2:3]
	s_mul_i32 s3, s13, s10
	s_sub_i32 s3, s12, s3
	s_xor_b32 s2, s7, s14
	s_add_i32 s7, s13, 1
	s_sub_i32 s12, s3, s10
	s_load_dwordx4 s[20:23], s[4:5], 0x68
	s_load_dword s11, s[4:5], 0x78
	s_cmp_ge_u32 s3, s10
	s_cselect_b32 s7, s7, s13
	s_cselect_b32 s3, s12, s3
	s_add_i32 s12, s7, 1
	s_cmp_ge_u32 s3, s10
	s_cselect_b32 s3, s12, s7
	s_waitcnt lgkmcnt(0)
	s_abs_i32 s27, s23
	v_cvt_f32_u32_e32 v2, s27
	s_xor_b32 s3, s3, s2
	s_sub_i32 s7, s3, s2
	s_sub_i32 s2, 0, s27
	v_rcp_iflag_f32_e32 v2, v2
	s_add_i32 s12, s25, -1
	s_abs_i32 s10, s12
	v_mul_f32_e32 v2, 0x4f7ffffe, v2
	v_cvt_u32_f32_e32 v2, v2
	s_barrier
	v_readfirstlane_b32 s33, v2
	s_mul_i32 s2, s2, s33
	s_mul_hi_u32 s2, s33, s2
	s_add_i32 s33, s33, s2
	s_cmp_lt_i32 s11, 0
	s_mul_hi_u32 s16, s10, s33
	s_cbranch_scc0 .LBB242_6
; %bb.5:
	s_mul_i32 s2, s20, s38
	s_add_i32 s2, s7, s2
	s_mul_i32 s2, s2, s11
	s_sub_i32 s38, 1, s2
	s_mov_b64 s[2:3], 0
	s_branch .LBB242_7
.LBB242_6:
	s_mov_b64 s[2:3], -1
                                        ; implicit-def: $sgpr38
.LBB242_7:
	s_load_dwordx2 s[30:31], s[4:5], 0x28
	s_ashr_i32 s19, s12, 31
	s_andn2_b64 vcc, exec, s[2:3]
	s_ashr_i32 s48, s23, 31
	s_cbranch_vccnz .LBB242_9
; %bb.8:
	s_mul_i32 s2, s9, s20
	s_add_i32 s2, s2, s6
	s_mul_i32 s2, s2, s11
	s_add_i32 s38, s2, 1
.LBB242_9:
	s_load_dword s2, s[4:5], 0x38
	s_load_dwordx2 s[28:29], s[4:5], 0x0
	s_load_dwordx2 s[36:37], s[4:5], 0x18
	s_load_dword s23, s[4:5], 0x88
	s_load_dwordx4 s[12:15], s[4:5], 0x58
	s_mul_i32 s3, s16, s27
	s_waitcnt lgkmcnt(0)
	s_mul_i32 s34, s2, s24
	s_sub_i32 s3, s10, s3
	s_ashr_i32 s35, s34, 31
	s_xor_b32 s2, s19, s48
	s_add_i32 s6, s16, 1
	s_sub_i32 s10, s3, s27
	s_cmp_ge_u32 s3, s27
	s_cselect_b32 s6, s6, s16
	s_cselect_b32 s3, s10, s3
	s_add_i32 s10, s6, 1
	s_cmp_ge_u32 s3, s27
	s_cselect_b32 s3, s10, s6
	s_xor_b32 s3, s3, s2
	s_sub_i32 s16, s3, s2
	s_add_i32 s2, s25, 15
	s_ashr_i32 s3, s2, 31
	s_lshr_b32 s3, s3, 28
	s_add_i32 s2, s2, s3
	s_ashr_i32 s49, s2, 4
	v_lshrrev_b32_e32 v11, 6, v0
	v_cmp_gt_i32_e64 s[2:3], s49, v11
	v_mov_b32_e32 v16, 0xff7fffff
	s_mul_i32 s20, s7, s18
	v_lshrrev_b32_e32 v9, 4, v0
	v_lshlrev_b32_e32 v12, 4, v11
	v_mbcnt_lo_u32_b32 v10, -1, 0
	s_and_saveexec_b64 s[18:19], s[2:3]
	s_cbranch_execz .LBB242_213
; %bb.10:
	s_load_dwordx2 s[4:5], s[4:5], 0x10
	s_sub_i32 s51, s16, s21
	s_ashr_i32 s6, s20, 31
	v_cmp_eq_u32_e32 vcc, 0, v1
	v_lshlrev_b32_e32 v4, 1, v1
	s_waitcnt lgkmcnt(0)
	s_add_u32 s7, s4, s20
	s_addc_u32 s6, s5, s6
	s_abs_i32 s52, s22
	v_cvt_f32_u32_e32 v2, s52
	s_sub_i32 s4, 0, s52
	v_lshlrev_b32_e32 v14, 6, v1
	v_bfe_u32 v13, v0, 2, 4
	v_rcp_iflag_f32_e32 v3, v2
	v_lshlrev_b32_e32 v5, 4, v13
	v_mov_b32_e32 v6, s6
	v_add_co_u32_e64 v5, s[6:7], s7, v5
	v_mul_f32_e32 v3, 0x4f7ffffe, v3
	v_cvt_u32_f32_e32 v3, v3
	v_addc_co_u32_e64 v6, s[6:7], 0, v6, s[6:7]
	s_mov_b32 s53, s17
	v_mul_lo_u32 v1, s4, v3
	v_mov_b32_e32 v2, 0
	v_cmp_neq_f32_e64 s[4:5], s50, 0
	v_lshlrev_b32_e32 v17, 4, v11
	v_mul_hi_u32 v1, v3, v1
	v_mov_b32_e32 v20, 0xff7fffff
	s_mov_b64 s[40:41], 0
	s_movk_i32 s54, 0x80
	v_add_u32_e32 v15, v3, v1
	v_add_co_u32_e64 v3, s[6:7], v5, v4
	v_addc_co_u32_e64 v4, s[6:7], 0, v6, s[6:7]
	s_lshl_b64 s[6:7], s[34:35], 2
	s_add_u32 s6, s30, s6
	v_and_b32_e32 v1, 60, v9
	s_addc_u32 s7, s31, s7
	v_mov_b32_e32 v6, s7
	v_add_co_u32_e64 v5, s[6:7], s6, v1
	v_subrev_u32_e32 v1, s25, v13
	v_add_u32_e32 v18, 1, v1
	v_lshlrev_b32_e32 v1, 2, v13
	v_lshl_or_b32 v1, v11, 6, v1
	v_addc_co_u32_e64 v6, s[6:7], 0, v6, s[6:7]
	v_add_u32_e32 v19, 0x110, v1
	s_movk_i32 s55, 0x7f
	s_mov_b32 s56, 0x8000
	v_mov_b32_e32 v21, 0x2000
	v_mbcnt_hi_u32_b32 v22, -1, v10
	v_mov_b32_e32 v16, 0xff7fffff
	v_mov_b32_e32 v23, v11
	s_branch .LBB242_13
.LBB242_11:                             ;   in Loop: Header=BB242_13 Depth=1
	s_or_b64 exec, exec, s[42:43]
.LBB242_12:                             ;   in Loop: Header=BB242_13 Depth=1
	s_or_b64 exec, exec, s[10:11]
	v_add_co_u32_e64 v5, s[6:7], 8, v5
	v_add_u32_e32 v23, 2, v23
	v_addc_co_u32_e64 v6, s[6:7], 0, v6, s[6:7]
	v_cmp_le_i32_e64 s[6:7], s49, v23
	v_add_u32_e32 v17, 32, v17
	s_or_b64 s[40:41], s[6:7], s[40:41]
	v_add_u32_e32 v19, 0x80, v19
	s_andn2_b64 exec, exec, s[40:41]
	s_cbranch_execz .LBB242_212
.LBB242_13:                             ; =>This Inner Loop Header: Depth=1
	v_mul_hi_u32 v1, v17, s33
	s_waitcnt lgkmcnt(0)
	v_mul_lo_u32 v7, v1, s27
	v_add_u32_e32 v8, 1, v1
	v_sub_u32_e32 v7, v17, v7
	v_cmp_le_u32_e64 s[6:7], s27, v7
	v_cndmask_b32_e64 v1, v1, v8, s[6:7]
	v_subrev_u32_e32 v8, s27, v7
	v_cndmask_b32_e64 v7, v7, v8, s[6:7]
	v_add_u32_e32 v8, 1, v1
	v_cmp_le_u32_e64 s[6:7], s27, v7
	v_cndmask_b32_e64 v1, v1, v8, s[6:7]
	v_xor_b32_e32 v1, s48, v1
	v_subrev_u32_e32 v1, s48, v1
	v_add_u32_e32 v7, s38, v1
	v_sub_u32_e32 v8, 0, v7
	v_max_i32_e32 v8, v7, v8
	v_mul_hi_u32 v24, v8, v15
	v_ashrrev_i32_e32 v7, 31, v7
	v_cmp_ge_i32_e64 s[10:11], s51, v1
	v_mul_lo_u32 v24, v24, s52
	v_sub_u32_e32 v8, v8, v24
	v_subrev_u32_e32 v24, s52, v8
	v_cmp_le_u32_e64 s[6:7], s52, v8
	v_cndmask_b32_e64 v8, v8, v24, s[6:7]
	v_subrev_u32_e32 v24, s52, v8
	v_cmp_le_u32_e64 s[6:7], s52, v8
	v_cndmask_b32_e64 v8, v8, v24, s[6:7]
	v_xor_b32_e32 v8, v8, v7
	v_sub_u32_e32 v7, v8, v7
	v_cmp_ne_u32_e64 s[6:7], 0, v7
	s_and_b64 s[6:7], s[6:7], s[10:11]
	s_and_saveexec_b64 s[10:11], s[6:7]
	s_xor_b64 s[6:7], exec, s[10:11]
	s_cbranch_execz .LBB242_17
; %bb.14:                               ;   in Loop: Header=BB242_13 Depth=1
	s_and_saveexec_b64 s[10:11], vcc
; %bb.15:                               ;   in Loop: Header=BB242_13 Depth=1
	ds_write_b32 v19, v20
; %bb.16:                               ;   in Loop: Header=BB242_13 Depth=1
	s_or_b64 exec, exec, s[10:11]
.LBB242_17:                             ;   in Loop: Header=BB242_13 Depth=1
	s_andn2_saveexec_b64 s[10:11], s[6:7]
	s_cbranch_execz .LBB242_12
; %bb.18:                               ;   in Loop: Header=BB242_13 Depth=1
	global_load_dword v1, v[5:6], off
	v_mov_b32_e32 v25, 0
	global_load_dword v24, v25, s[12:13]
	s_waitcnt vmcnt(1)
	v_mad_i64_i32 v[7:8], s[6:7], v1, s53, v[3:4]
	global_load_ushort v26, v[7:8], off
	s_waitcnt vmcnt(0)
	v_and_b32_e32 v1, 0xffff, v26
	v_cmp_ne_u16_sdwa s[6:7], v26, v2 src0_sel:BYTE_0 src1_sel:DWORD
	v_mov_b32_e32 v26, 0
	s_and_saveexec_b64 s[42:43], s[6:7]
	s_cbranch_execz .LBB242_24
; %bb.19:                               ;   in Loop: Header=BB242_13 Depth=1
	v_cmp_ne_u16_sdwa s[6:7], v1, s54 src0_sel:BYTE_0 src1_sel:DWORD
	v_mov_b32_e32 v26, 0x8000
	s_and_saveexec_b64 s[44:45], s[6:7]
	s_cbranch_execz .LBB242_23
; %bb.20:                               ;   in Loop: Header=BB242_13 Depth=1
	v_and_b32_e32 v27, 0x7f, v1
	v_cmp_ne_u32_e64 s[6:7], s55, v27
	v_mov_b32_e32 v26, 0x7c01
	s_and_saveexec_b64 s[46:47], s[6:7]
	s_cbranch_execz .LBB242_22
; %bb.21:                               ;   in Loop: Header=BB242_13 Depth=1
	v_and_b32_e32 v26, 7, v1
	v_ffbh_u32_e32 v28, v26
	v_min_u32_e32 v31, 32, v28
	v_subrev_u32_e32 v28, 28, v31
	v_lshlrev_b64 v[28:29], v28, v[1:2]
	v_lshrrev_b32_e32 v30, 3, v27
	v_sub_u32_e32 v29, 29, v31
	v_cmp_gt_u32_e64 s[6:7], 8, v27
	v_cndmask_b32_e64 v27, v30, v29, s[6:7]
	v_lshl_add_u32 v27, v27, 10, v21
	v_lshlrev_b32_e32 v29, 8, v1
	v_and_b32_e32 v28, 7, v28
	v_and_b32_e32 v27, 0xfc00, v27
	v_cndmask_b32_e64 v26, v26, v28, s[6:7]
	v_and_or_b32 v27, v29, s56, v27
	v_lshl_or_b32 v26, v26, 7, v27
.LBB242_22:                             ;   in Loop: Header=BB242_13 Depth=1
	s_or_b64 exec, exec, s[46:47]
.LBB242_23:                             ;   in Loop: Header=BB242_13 Depth=1
	s_or_b64 exec, exec, s[44:45]
.LBB242_24:                             ;   in Loop: Header=BB242_13 Depth=1
	s_or_b64 exec, exec, s[42:43]
	v_lshrrev_b16_e32 v1, 8, v1
	v_cmp_ne_u16_e64 s[6:7], 0, v1
	s_and_saveexec_b64 s[42:43], s[6:7]
	s_cbranch_execz .LBB242_30
; %bb.25:                               ;   in Loop: Header=BB242_13 Depth=1
	v_cmp_ne_u16_e64 s[6:7], s54, v1
	v_bfrev_b32_e32 v25, 1
	s_and_saveexec_b64 s[44:45], s[6:7]
	s_cbranch_execz .LBB242_29
; %bb.26:                               ;   in Loop: Header=BB242_13 Depth=1
	v_and_b32_e32 v27, 0x7f, v1
	v_cmp_ne_u32_e64 s[6:7], s55, v27
	v_mov_b32_e32 v25, 0x7c010000
	s_and_saveexec_b64 s[46:47], s[6:7]
	s_cbranch_execz .LBB242_28
; %bb.27:                               ;   in Loop: Header=BB242_13 Depth=1
	v_and_b32_e32 v25, 7, v1
	v_ffbh_u32_e32 v28, v25
	v_min_u32_e32 v31, 32, v28
	v_subrev_u32_e32 v28, 28, v31
	v_lshlrev_b64 v[28:29], v28, v[1:2]
	v_lshrrev_b32_e32 v30, 3, v27
	v_sub_u32_e32 v29, 29, v31
	v_cmp_gt_u32_e64 s[6:7], 8, v27
	v_cndmask_b32_e64 v27, v30, v29, s[6:7]
	v_lshlrev_b32_e32 v1, 8, v1
	v_lshl_add_u32 v27, v27, 10, v21
	v_and_b32_e32 v28, 7, v28
	v_and_or_b32 v1, v1, s56, v27
	v_cndmask_b32_e64 v25, v25, v28, s[6:7]
	v_lshlrev_b32_e32 v1, 16, v1
	v_lshl_or_b32 v25, v25, 23, v1
.LBB242_28:                             ;   in Loop: Header=BB242_13 Depth=1
	s_or_b64 exec, exec, s[46:47]
.LBB242_29:                             ;   in Loop: Header=BB242_13 Depth=1
	s_or_b64 exec, exec, s[44:45]
.LBB242_30:                             ;   in Loop: Header=BB242_13 Depth=1
	s_or_b64 exec, exec, s[42:43]
	global_load_ushort v28, v[7:8], off offset:8
	v_mov_b32_e32 v27, 0
	s_waitcnt vmcnt(0)
	v_and_b32_e32 v1, 0xffff, v28
	v_cmp_ne_u16_sdwa s[6:7], v28, v2 src0_sel:BYTE_0 src1_sel:DWORD
	v_mov_b32_e32 v28, 0
	s_and_saveexec_b64 s[42:43], s[6:7]
	s_cbranch_execz .LBB242_36
; %bb.31:                               ;   in Loop: Header=BB242_13 Depth=1
	v_cmp_ne_u16_sdwa s[6:7], v1, s54 src0_sel:BYTE_0 src1_sel:DWORD
	v_mov_b32_e32 v28, 0x8000
	s_and_saveexec_b64 s[44:45], s[6:7]
	s_cbranch_execz .LBB242_35
; %bb.32:                               ;   in Loop: Header=BB242_13 Depth=1
	v_and_b32_e32 v29, 0x7f, v1
	v_cmp_ne_u32_e64 s[6:7], s55, v29
	v_mov_b32_e32 v28, 0x7c01
	s_and_saveexec_b64 s[46:47], s[6:7]
	s_cbranch_execz .LBB242_34
; %bb.33:                               ;   in Loop: Header=BB242_13 Depth=1
	v_and_b32_e32 v28, 7, v1
	v_ffbh_u32_e32 v30, v28
	v_min_u32_e32 v33, 32, v30
	v_subrev_u32_e32 v30, 28, v33
	v_lshlrev_b64 v[30:31], v30, v[1:2]
	v_lshrrev_b32_e32 v32, 3, v29
	v_sub_u32_e32 v31, 29, v33
	v_cmp_gt_u32_e64 s[6:7], 8, v29
	v_cndmask_b32_e64 v29, v32, v31, s[6:7]
	v_lshl_add_u32 v29, v29, 10, v21
	v_lshlrev_b32_e32 v31, 8, v1
	v_and_b32_e32 v30, 7, v30
	v_and_b32_e32 v29, 0xfc00, v29
	v_cndmask_b32_e64 v28, v28, v30, s[6:7]
	v_and_or_b32 v29, v31, s56, v29
	v_lshl_or_b32 v28, v28, 7, v29
.LBB242_34:                             ;   in Loop: Header=BB242_13 Depth=1
	s_or_b64 exec, exec, s[46:47]
.LBB242_35:                             ;   in Loop: Header=BB242_13 Depth=1
	s_or_b64 exec, exec, s[44:45]
.LBB242_36:                             ;   in Loop: Header=BB242_13 Depth=1
	s_or_b64 exec, exec, s[42:43]
	v_lshrrev_b16_e32 v1, 8, v1
	v_cmp_ne_u16_e64 s[6:7], 0, v1
	s_and_saveexec_b64 s[42:43], s[6:7]
	s_cbranch_execz .LBB242_42
; %bb.37:                               ;   in Loop: Header=BB242_13 Depth=1
	v_cmp_ne_u16_e64 s[6:7], s54, v1
	v_bfrev_b32_e32 v27, 1
	s_and_saveexec_b64 s[44:45], s[6:7]
	s_cbranch_execz .LBB242_41
; %bb.38:                               ;   in Loop: Header=BB242_13 Depth=1
	v_and_b32_e32 v29, 0x7f, v1
	v_cmp_ne_u32_e64 s[6:7], s55, v29
	v_mov_b32_e32 v27, 0x7c010000
	s_and_saveexec_b64 s[46:47], s[6:7]
	s_cbranch_execz .LBB242_40
; %bb.39:                               ;   in Loop: Header=BB242_13 Depth=1
	v_and_b32_e32 v27, 7, v1
	v_ffbh_u32_e32 v30, v27
	v_min_u32_e32 v33, 32, v30
	v_subrev_u32_e32 v30, 28, v33
	v_lshlrev_b64 v[30:31], v30, v[1:2]
	v_lshrrev_b32_e32 v32, 3, v29
	v_sub_u32_e32 v31, 29, v33
	v_cmp_gt_u32_e64 s[6:7], 8, v29
	v_cndmask_b32_e64 v29, v32, v31, s[6:7]
	v_lshlrev_b32_e32 v1, 8, v1
	v_lshl_add_u32 v29, v29, 10, v21
	v_and_b32_e32 v30, 7, v30
	v_and_or_b32 v1, v1, s56, v29
	v_cndmask_b32_e64 v27, v27, v30, s[6:7]
	v_lshlrev_b32_e32 v1, 16, v1
	v_lshl_or_b32 v27, v27, 23, v1
.LBB242_40:                             ;   in Loop: Header=BB242_13 Depth=1
	s_or_b64 exec, exec, s[46:47]
.LBB242_41:                             ;   in Loop: Header=BB242_13 Depth=1
	s_or_b64 exec, exec, s[44:45]
.LBB242_42:                             ;   in Loop: Header=BB242_13 Depth=1
	s_or_b64 exec, exec, s[42:43]
	global_load_ushort v30, v[7:8], off offset:256
	v_mov_b32_e32 v29, 0
	s_waitcnt vmcnt(0)
	v_and_b32_e32 v1, 0xffff, v30
	v_cmp_ne_u16_sdwa s[6:7], v30, v2 src0_sel:BYTE_0 src1_sel:DWORD
	v_mov_b32_e32 v30, 0
	s_and_saveexec_b64 s[42:43], s[6:7]
	s_cbranch_execz .LBB242_48
; %bb.43:                               ;   in Loop: Header=BB242_13 Depth=1
	v_cmp_ne_u16_sdwa s[6:7], v1, s54 src0_sel:BYTE_0 src1_sel:DWORD
	v_mov_b32_e32 v30, 0x8000
	s_and_saveexec_b64 s[44:45], s[6:7]
	s_cbranch_execz .LBB242_47
; %bb.44:                               ;   in Loop: Header=BB242_13 Depth=1
	v_and_b32_e32 v31, 0x7f, v1
	v_cmp_ne_u32_e64 s[6:7], s55, v31
	v_mov_b32_e32 v30, 0x7c01
	s_and_saveexec_b64 s[46:47], s[6:7]
	s_cbranch_execz .LBB242_46
; %bb.45:                               ;   in Loop: Header=BB242_13 Depth=1
	v_and_b32_e32 v30, 7, v1
	v_ffbh_u32_e32 v32, v30
	v_min_u32_e32 v35, 32, v32
	v_subrev_u32_e32 v32, 28, v35
	v_lshlrev_b64 v[32:33], v32, v[1:2]
	v_lshrrev_b32_e32 v34, 3, v31
	v_sub_u32_e32 v33, 29, v35
	v_cmp_gt_u32_e64 s[6:7], 8, v31
	v_cndmask_b32_e64 v31, v34, v33, s[6:7]
	v_lshl_add_u32 v31, v31, 10, v21
	v_lshlrev_b32_e32 v33, 8, v1
	v_and_b32_e32 v32, 7, v32
	v_and_b32_e32 v31, 0xfc00, v31
	v_cndmask_b32_e64 v30, v30, v32, s[6:7]
	v_and_or_b32 v31, v33, s56, v31
	v_lshl_or_b32 v30, v30, 7, v31
.LBB242_46:                             ;   in Loop: Header=BB242_13 Depth=1
	s_or_b64 exec, exec, s[46:47]
.LBB242_47:                             ;   in Loop: Header=BB242_13 Depth=1
	s_or_b64 exec, exec, s[44:45]
.LBB242_48:                             ;   in Loop: Header=BB242_13 Depth=1
	s_or_b64 exec, exec, s[42:43]
	v_lshrrev_b16_e32 v1, 8, v1
	v_cmp_ne_u16_e64 s[6:7], 0, v1
	s_and_saveexec_b64 s[42:43], s[6:7]
	s_cbranch_execz .LBB242_54
; %bb.49:                               ;   in Loop: Header=BB242_13 Depth=1
	v_cmp_ne_u16_e64 s[6:7], s54, v1
	v_bfrev_b32_e32 v29, 1
	s_and_saveexec_b64 s[44:45], s[6:7]
	s_cbranch_execz .LBB242_53
; %bb.50:                               ;   in Loop: Header=BB242_13 Depth=1
	v_and_b32_e32 v31, 0x7f, v1
	v_cmp_ne_u32_e64 s[6:7], s55, v31
	v_mov_b32_e32 v29, 0x7c010000
	s_and_saveexec_b64 s[46:47], s[6:7]
	s_cbranch_execz .LBB242_52
; %bb.51:                               ;   in Loop: Header=BB242_13 Depth=1
	v_and_b32_e32 v29, 7, v1
	v_ffbh_u32_e32 v32, v29
	v_min_u32_e32 v35, 32, v32
	v_subrev_u32_e32 v32, 28, v35
	v_lshlrev_b64 v[32:33], v32, v[1:2]
	v_lshrrev_b32_e32 v34, 3, v31
	v_sub_u32_e32 v33, 29, v35
	v_cmp_gt_u32_e64 s[6:7], 8, v31
	v_cndmask_b32_e64 v31, v34, v33, s[6:7]
	v_lshlrev_b32_e32 v1, 8, v1
	v_lshl_add_u32 v31, v31, 10, v21
	v_and_b32_e32 v32, 7, v32
	v_and_or_b32 v1, v1, s56, v31
	v_cndmask_b32_e64 v29, v29, v32, s[6:7]
	v_lshlrev_b32_e32 v1, 16, v1
	v_lshl_or_b32 v29, v29, 23, v1
.LBB242_52:                             ;   in Loop: Header=BB242_13 Depth=1
	s_or_b64 exec, exec, s[46:47]
.LBB242_53:                             ;   in Loop: Header=BB242_13 Depth=1
	s_or_b64 exec, exec, s[44:45]
.LBB242_54:                             ;   in Loop: Header=BB242_13 Depth=1
	s_or_b64 exec, exec, s[42:43]
	global_load_ushort v32, v[7:8], off offset:264
	v_mov_b32_e32 v31, 0
	s_waitcnt vmcnt(0)
	v_and_b32_e32 v1, 0xffff, v32
	v_cmp_ne_u16_sdwa s[6:7], v32, v2 src0_sel:BYTE_0 src1_sel:DWORD
	v_mov_b32_e32 v32, 0
	s_and_saveexec_b64 s[42:43], s[6:7]
	s_cbranch_execz .LBB242_60
; %bb.55:                               ;   in Loop: Header=BB242_13 Depth=1
	v_cmp_ne_u16_sdwa s[6:7], v1, s54 src0_sel:BYTE_0 src1_sel:DWORD
	v_mov_b32_e32 v32, 0x8000
	s_and_saveexec_b64 s[44:45], s[6:7]
	s_cbranch_execz .LBB242_59
; %bb.56:                               ;   in Loop: Header=BB242_13 Depth=1
	v_and_b32_e32 v33, 0x7f, v1
	v_cmp_ne_u32_e64 s[6:7], s55, v33
	v_mov_b32_e32 v32, 0x7c01
	s_and_saveexec_b64 s[46:47], s[6:7]
	s_cbranch_execz .LBB242_58
; %bb.57:                               ;   in Loop: Header=BB242_13 Depth=1
	v_and_b32_e32 v32, 7, v1
	v_ffbh_u32_e32 v34, v32
	v_min_u32_e32 v37, 32, v34
	v_subrev_u32_e32 v34, 28, v37
	v_lshlrev_b64 v[34:35], v34, v[1:2]
	v_lshrrev_b32_e32 v36, 3, v33
	v_sub_u32_e32 v35, 29, v37
	v_cmp_gt_u32_e64 s[6:7], 8, v33
	v_cndmask_b32_e64 v33, v36, v35, s[6:7]
	v_lshl_add_u32 v33, v33, 10, v21
	v_lshlrev_b32_e32 v35, 8, v1
	v_and_b32_e32 v34, 7, v34
	v_and_b32_e32 v33, 0xfc00, v33
	v_cndmask_b32_e64 v32, v32, v34, s[6:7]
	v_and_or_b32 v33, v35, s56, v33
	v_lshl_or_b32 v32, v32, 7, v33
.LBB242_58:                             ;   in Loop: Header=BB242_13 Depth=1
	s_or_b64 exec, exec, s[46:47]
.LBB242_59:                             ;   in Loop: Header=BB242_13 Depth=1
	s_or_b64 exec, exec, s[44:45]
.LBB242_60:                             ;   in Loop: Header=BB242_13 Depth=1
	s_or_b64 exec, exec, s[42:43]
	v_lshrrev_b16_e32 v1, 8, v1
	v_cmp_ne_u16_e64 s[6:7], 0, v1
	s_and_saveexec_b64 s[42:43], s[6:7]
	s_cbranch_execz .LBB242_66
; %bb.61:                               ;   in Loop: Header=BB242_13 Depth=1
	v_cmp_ne_u16_e64 s[6:7], s54, v1
	v_bfrev_b32_e32 v31, 1
	s_and_saveexec_b64 s[44:45], s[6:7]
	s_cbranch_execz .LBB242_65
; %bb.62:                               ;   in Loop: Header=BB242_13 Depth=1
	v_and_b32_e32 v33, 0x7f, v1
	v_cmp_ne_u32_e64 s[6:7], s55, v33
	v_mov_b32_e32 v31, 0x7c010000
	s_and_saveexec_b64 s[46:47], s[6:7]
	s_cbranch_execz .LBB242_64
; %bb.63:                               ;   in Loop: Header=BB242_13 Depth=1
	v_and_b32_e32 v31, 7, v1
	v_ffbh_u32_e32 v34, v31
	v_min_u32_e32 v37, 32, v34
	v_subrev_u32_e32 v34, 28, v37
	v_lshlrev_b64 v[34:35], v34, v[1:2]
	v_lshrrev_b32_e32 v36, 3, v33
	v_sub_u32_e32 v35, 29, v37
	v_cmp_gt_u32_e64 s[6:7], 8, v33
	v_cndmask_b32_e64 v33, v36, v35, s[6:7]
	v_lshlrev_b32_e32 v1, 8, v1
	v_lshl_add_u32 v33, v33, 10, v21
	v_and_b32_e32 v34, 7, v34
	v_and_or_b32 v1, v1, s56, v33
	v_cndmask_b32_e64 v31, v31, v34, s[6:7]
	v_lshlrev_b32_e32 v1, 16, v1
	v_lshl_or_b32 v31, v31, 23, v1
.LBB242_64:                             ;   in Loop: Header=BB242_13 Depth=1
	s_or_b64 exec, exec, s[46:47]
.LBB242_65:                             ;   in Loop: Header=BB242_13 Depth=1
	s_or_b64 exec, exec, s[44:45]
.LBB242_66:                             ;   in Loop: Header=BB242_13 Depth=1
	s_or_b64 exec, exec, s[42:43]
	global_load_ushort v34, v[7:8], off offset:512
	v_mov_b32_e32 v33, 0
	s_waitcnt vmcnt(0)
	v_and_b32_e32 v1, 0xffff, v34
	v_cmp_ne_u16_sdwa s[6:7], v34, v2 src0_sel:BYTE_0 src1_sel:DWORD
	v_mov_b32_e32 v34, 0
	s_and_saveexec_b64 s[42:43], s[6:7]
	s_cbranch_execz .LBB242_72
; %bb.67:                               ;   in Loop: Header=BB242_13 Depth=1
	v_cmp_ne_u16_sdwa s[6:7], v1, s54 src0_sel:BYTE_0 src1_sel:DWORD
	v_mov_b32_e32 v34, 0x8000
	s_and_saveexec_b64 s[44:45], s[6:7]
	s_cbranch_execz .LBB242_71
; %bb.68:                               ;   in Loop: Header=BB242_13 Depth=1
	v_and_b32_e32 v35, 0x7f, v1
	v_cmp_ne_u32_e64 s[6:7], s55, v35
	v_mov_b32_e32 v34, 0x7c01
	s_and_saveexec_b64 s[46:47], s[6:7]
	s_cbranch_execz .LBB242_70
; %bb.69:                               ;   in Loop: Header=BB242_13 Depth=1
	v_and_b32_e32 v34, 7, v1
	v_ffbh_u32_e32 v36, v34
	v_min_u32_e32 v39, 32, v36
	v_subrev_u32_e32 v36, 28, v39
	v_lshlrev_b64 v[36:37], v36, v[1:2]
	v_lshrrev_b32_e32 v38, 3, v35
	v_sub_u32_e32 v37, 29, v39
	v_cmp_gt_u32_e64 s[6:7], 8, v35
	v_cndmask_b32_e64 v35, v38, v37, s[6:7]
	v_lshl_add_u32 v35, v35, 10, v21
	v_lshlrev_b32_e32 v37, 8, v1
	v_and_b32_e32 v36, 7, v36
	v_and_b32_e32 v35, 0xfc00, v35
	v_cndmask_b32_e64 v34, v34, v36, s[6:7]
	v_and_or_b32 v35, v37, s56, v35
	v_lshl_or_b32 v34, v34, 7, v35
.LBB242_70:                             ;   in Loop: Header=BB242_13 Depth=1
	s_or_b64 exec, exec, s[46:47]
.LBB242_71:                             ;   in Loop: Header=BB242_13 Depth=1
	s_or_b64 exec, exec, s[44:45]
.LBB242_72:                             ;   in Loop: Header=BB242_13 Depth=1
	s_or_b64 exec, exec, s[42:43]
	v_lshrrev_b16_e32 v1, 8, v1
	v_cmp_ne_u16_e64 s[6:7], 0, v1
	s_and_saveexec_b64 s[42:43], s[6:7]
	s_cbranch_execz .LBB242_78
; %bb.73:                               ;   in Loop: Header=BB242_13 Depth=1
	v_cmp_ne_u16_e64 s[6:7], s54, v1
	v_bfrev_b32_e32 v33, 1
	s_and_saveexec_b64 s[44:45], s[6:7]
	s_cbranch_execz .LBB242_77
; %bb.74:                               ;   in Loop: Header=BB242_13 Depth=1
	v_and_b32_e32 v35, 0x7f, v1
	v_cmp_ne_u32_e64 s[6:7], s55, v35
	v_mov_b32_e32 v33, 0x7c010000
	s_and_saveexec_b64 s[46:47], s[6:7]
	s_cbranch_execz .LBB242_76
; %bb.75:                               ;   in Loop: Header=BB242_13 Depth=1
	v_and_b32_e32 v33, 7, v1
	v_ffbh_u32_e32 v36, v33
	v_min_u32_e32 v39, 32, v36
	v_subrev_u32_e32 v36, 28, v39
	v_lshlrev_b64 v[36:37], v36, v[1:2]
	v_lshrrev_b32_e32 v38, 3, v35
	v_sub_u32_e32 v37, 29, v39
	v_cmp_gt_u32_e64 s[6:7], 8, v35
	v_cndmask_b32_e64 v35, v38, v37, s[6:7]
	v_lshlrev_b32_e32 v1, 8, v1
	v_lshl_add_u32 v35, v35, 10, v21
	v_and_b32_e32 v36, 7, v36
	v_and_or_b32 v1, v1, s56, v35
	v_cndmask_b32_e64 v33, v33, v36, s[6:7]
	v_lshlrev_b32_e32 v1, 16, v1
	v_lshl_or_b32 v33, v33, 23, v1
.LBB242_76:                             ;   in Loop: Header=BB242_13 Depth=1
	s_or_b64 exec, exec, s[46:47]
.LBB242_77:                             ;   in Loop: Header=BB242_13 Depth=1
	s_or_b64 exec, exec, s[44:45]
.LBB242_78:                             ;   in Loop: Header=BB242_13 Depth=1
	s_or_b64 exec, exec, s[42:43]
	global_load_ushort v36, v[7:8], off offset:520
	v_mov_b32_e32 v35, 0
	s_waitcnt vmcnt(0)
	v_and_b32_e32 v1, 0xffff, v36
	v_cmp_ne_u16_sdwa s[6:7], v36, v2 src0_sel:BYTE_0 src1_sel:DWORD
	v_mov_b32_e32 v36, 0
	s_and_saveexec_b64 s[42:43], s[6:7]
	s_cbranch_execz .LBB242_84
; %bb.79:                               ;   in Loop: Header=BB242_13 Depth=1
	v_cmp_ne_u16_sdwa s[6:7], v1, s54 src0_sel:BYTE_0 src1_sel:DWORD
	v_mov_b32_e32 v36, 0x8000
	s_and_saveexec_b64 s[44:45], s[6:7]
	s_cbranch_execz .LBB242_83
; %bb.80:                               ;   in Loop: Header=BB242_13 Depth=1
	v_and_b32_e32 v37, 0x7f, v1
	v_cmp_ne_u32_e64 s[6:7], s55, v37
	v_mov_b32_e32 v36, 0x7c01
	s_and_saveexec_b64 s[46:47], s[6:7]
	s_cbranch_execz .LBB242_82
; %bb.81:                               ;   in Loop: Header=BB242_13 Depth=1
	v_and_b32_e32 v36, 7, v1
	v_ffbh_u32_e32 v38, v36
	v_min_u32_e32 v41, 32, v38
	v_subrev_u32_e32 v38, 28, v41
	v_lshlrev_b64 v[38:39], v38, v[1:2]
	v_lshrrev_b32_e32 v40, 3, v37
	v_sub_u32_e32 v39, 29, v41
	v_cmp_gt_u32_e64 s[6:7], 8, v37
	v_cndmask_b32_e64 v37, v40, v39, s[6:7]
	v_lshl_add_u32 v37, v37, 10, v21
	v_lshlrev_b32_e32 v39, 8, v1
	v_and_b32_e32 v38, 7, v38
	v_and_b32_e32 v37, 0xfc00, v37
	v_cndmask_b32_e64 v36, v36, v38, s[6:7]
	v_and_or_b32 v37, v39, s56, v37
	v_lshl_or_b32 v36, v36, 7, v37
.LBB242_82:                             ;   in Loop: Header=BB242_13 Depth=1
	s_or_b64 exec, exec, s[46:47]
.LBB242_83:                             ;   in Loop: Header=BB242_13 Depth=1
	s_or_b64 exec, exec, s[44:45]
.LBB242_84:                             ;   in Loop: Header=BB242_13 Depth=1
	s_or_b64 exec, exec, s[42:43]
	v_lshrrev_b16_e32 v1, 8, v1
	v_cmp_ne_u16_e64 s[6:7], 0, v1
	s_and_saveexec_b64 s[42:43], s[6:7]
	s_cbranch_execz .LBB242_90
; %bb.85:                               ;   in Loop: Header=BB242_13 Depth=1
	v_cmp_ne_u16_e64 s[6:7], s54, v1
	v_bfrev_b32_e32 v35, 1
	s_and_saveexec_b64 s[44:45], s[6:7]
	s_cbranch_execz .LBB242_89
; %bb.86:                               ;   in Loop: Header=BB242_13 Depth=1
	v_and_b32_e32 v37, 0x7f, v1
	v_cmp_ne_u32_e64 s[6:7], s55, v37
	v_mov_b32_e32 v35, 0x7c010000
	s_and_saveexec_b64 s[46:47], s[6:7]
	s_cbranch_execz .LBB242_88
; %bb.87:                               ;   in Loop: Header=BB242_13 Depth=1
	v_and_b32_e32 v35, 7, v1
	v_ffbh_u32_e32 v38, v35
	v_min_u32_e32 v41, 32, v38
	v_subrev_u32_e32 v38, 28, v41
	v_lshlrev_b64 v[38:39], v38, v[1:2]
	v_lshrrev_b32_e32 v40, 3, v37
	v_sub_u32_e32 v39, 29, v41
	v_cmp_gt_u32_e64 s[6:7], 8, v37
	v_cndmask_b32_e64 v37, v40, v39, s[6:7]
	v_lshlrev_b32_e32 v1, 8, v1
	v_lshl_add_u32 v37, v37, 10, v21
	v_and_b32_e32 v38, 7, v38
	v_and_or_b32 v1, v1, s56, v37
	v_cndmask_b32_e64 v35, v35, v38, s[6:7]
	v_lshlrev_b32_e32 v1, 16, v1
	v_lshl_or_b32 v35, v35, 23, v1
.LBB242_88:                             ;   in Loop: Header=BB242_13 Depth=1
	s_or_b64 exec, exec, s[46:47]
.LBB242_89:                             ;   in Loop: Header=BB242_13 Depth=1
	s_or_b64 exec, exec, s[44:45]
.LBB242_90:                             ;   in Loop: Header=BB242_13 Depth=1
	s_or_b64 exec, exec, s[42:43]
	global_load_ushort v38, v[7:8], off offset:768
	v_mov_b32_e32 v37, 0
	s_waitcnt vmcnt(0)
	v_and_b32_e32 v1, 0xffff, v38
	v_cmp_ne_u16_sdwa s[6:7], v38, v2 src0_sel:BYTE_0 src1_sel:DWORD
	v_mov_b32_e32 v38, 0
	s_and_saveexec_b64 s[42:43], s[6:7]
	s_cbranch_execz .LBB242_96
; %bb.91:                               ;   in Loop: Header=BB242_13 Depth=1
	v_cmp_ne_u16_sdwa s[6:7], v1, s54 src0_sel:BYTE_0 src1_sel:DWORD
	v_mov_b32_e32 v38, 0x8000
	s_and_saveexec_b64 s[44:45], s[6:7]
	s_cbranch_execz .LBB242_95
; %bb.92:                               ;   in Loop: Header=BB242_13 Depth=1
	v_and_b32_e32 v39, 0x7f, v1
	v_cmp_ne_u32_e64 s[6:7], s55, v39
	v_mov_b32_e32 v38, 0x7c01
	s_and_saveexec_b64 s[46:47], s[6:7]
	s_cbranch_execz .LBB242_94
; %bb.93:                               ;   in Loop: Header=BB242_13 Depth=1
	v_and_b32_e32 v38, 7, v1
	v_ffbh_u32_e32 v40, v38
	v_min_u32_e32 v43, 32, v40
	v_subrev_u32_e32 v40, 28, v43
	v_lshlrev_b64 v[40:41], v40, v[1:2]
	v_lshrrev_b32_e32 v42, 3, v39
	v_sub_u32_e32 v41, 29, v43
	v_cmp_gt_u32_e64 s[6:7], 8, v39
	v_cndmask_b32_e64 v39, v42, v41, s[6:7]
	v_lshl_add_u32 v39, v39, 10, v21
	v_lshlrev_b32_e32 v41, 8, v1
	v_and_b32_e32 v40, 7, v40
	v_and_b32_e32 v39, 0xfc00, v39
	v_cndmask_b32_e64 v38, v38, v40, s[6:7]
	v_and_or_b32 v39, v41, s56, v39
	v_lshl_or_b32 v38, v38, 7, v39
.LBB242_94:                             ;   in Loop: Header=BB242_13 Depth=1
	s_or_b64 exec, exec, s[46:47]
.LBB242_95:                             ;   in Loop: Header=BB242_13 Depth=1
	s_or_b64 exec, exec, s[44:45]
.LBB242_96:                             ;   in Loop: Header=BB242_13 Depth=1
	s_or_b64 exec, exec, s[42:43]
	v_lshrrev_b16_e32 v1, 8, v1
	v_cmp_ne_u16_e64 s[6:7], 0, v1
	s_and_saveexec_b64 s[42:43], s[6:7]
	s_cbranch_execz .LBB242_102
; %bb.97:                               ;   in Loop: Header=BB242_13 Depth=1
	v_cmp_ne_u16_e64 s[6:7], s54, v1
	v_bfrev_b32_e32 v37, 1
	s_and_saveexec_b64 s[44:45], s[6:7]
	s_cbranch_execz .LBB242_101
; %bb.98:                               ;   in Loop: Header=BB242_13 Depth=1
	v_and_b32_e32 v39, 0x7f, v1
	v_cmp_ne_u32_e64 s[6:7], s55, v39
	v_mov_b32_e32 v37, 0x7c010000
	s_and_saveexec_b64 s[46:47], s[6:7]
	s_cbranch_execz .LBB242_100
; %bb.99:                               ;   in Loop: Header=BB242_13 Depth=1
	v_and_b32_e32 v37, 7, v1
	v_ffbh_u32_e32 v40, v37
	v_min_u32_e32 v43, 32, v40
	v_subrev_u32_e32 v40, 28, v43
	v_lshlrev_b64 v[40:41], v40, v[1:2]
	v_lshrrev_b32_e32 v42, 3, v39
	v_sub_u32_e32 v41, 29, v43
	v_cmp_gt_u32_e64 s[6:7], 8, v39
	v_cndmask_b32_e64 v39, v42, v41, s[6:7]
	v_lshlrev_b32_e32 v1, 8, v1
	v_lshl_add_u32 v39, v39, 10, v21
	v_and_b32_e32 v40, 7, v40
	v_and_or_b32 v1, v1, s56, v39
	v_cndmask_b32_e64 v37, v37, v40, s[6:7]
	v_lshlrev_b32_e32 v1, 16, v1
	v_lshl_or_b32 v37, v37, 23, v1
.LBB242_100:                            ;   in Loop: Header=BB242_13 Depth=1
	s_or_b64 exec, exec, s[46:47]
.LBB242_101:                            ;   in Loop: Header=BB242_13 Depth=1
	s_or_b64 exec, exec, s[44:45]
.LBB242_102:                            ;   in Loop: Header=BB242_13 Depth=1
	s_or_b64 exec, exec, s[42:43]
	global_load_ushort v40, v[7:8], off offset:776
	v_mov_b32_e32 v39, 0
	s_waitcnt vmcnt(0)
	v_and_b32_e32 v1, 0xffff, v40
	v_cmp_ne_u16_sdwa s[6:7], v40, v2 src0_sel:BYTE_0 src1_sel:DWORD
	v_mov_b32_e32 v40, 0
	s_and_saveexec_b64 s[42:43], s[6:7]
	s_cbranch_execz .LBB242_108
; %bb.103:                              ;   in Loop: Header=BB242_13 Depth=1
	v_cmp_ne_u16_sdwa s[6:7], v1, s54 src0_sel:BYTE_0 src1_sel:DWORD
	v_mov_b32_e32 v40, 0x8000
	s_and_saveexec_b64 s[44:45], s[6:7]
	s_cbranch_execz .LBB242_107
; %bb.104:                              ;   in Loop: Header=BB242_13 Depth=1
	v_and_b32_e32 v41, 0x7f, v1
	v_cmp_ne_u32_e64 s[6:7], s55, v41
	v_mov_b32_e32 v40, 0x7c01
	s_and_saveexec_b64 s[46:47], s[6:7]
	s_cbranch_execz .LBB242_106
; %bb.105:                              ;   in Loop: Header=BB242_13 Depth=1
	v_and_b32_e32 v40, 7, v1
	v_ffbh_u32_e32 v42, v40
	v_min_u32_e32 v45, 32, v42
	v_subrev_u32_e32 v42, 28, v45
	v_lshlrev_b64 v[42:43], v42, v[1:2]
	v_lshrrev_b32_e32 v44, 3, v41
	v_sub_u32_e32 v43, 29, v45
	v_cmp_gt_u32_e64 s[6:7], 8, v41
	v_cndmask_b32_e64 v41, v44, v43, s[6:7]
	v_lshl_add_u32 v41, v41, 10, v21
	v_lshlrev_b32_e32 v43, 8, v1
	v_and_b32_e32 v42, 7, v42
	v_and_b32_e32 v41, 0xfc00, v41
	v_cndmask_b32_e64 v40, v40, v42, s[6:7]
	v_and_or_b32 v41, v43, s56, v41
	v_lshl_or_b32 v40, v40, 7, v41
.LBB242_106:                            ;   in Loop: Header=BB242_13 Depth=1
	s_or_b64 exec, exec, s[46:47]
.LBB242_107:                            ;   in Loop: Header=BB242_13 Depth=1
	s_or_b64 exec, exec, s[44:45]
.LBB242_108:                            ;   in Loop: Header=BB242_13 Depth=1
	s_or_b64 exec, exec, s[42:43]
	v_lshrrev_b16_e32 v1, 8, v1
	v_cmp_ne_u16_e64 s[6:7], 0, v1
	s_and_saveexec_b64 s[42:43], s[6:7]
	s_cbranch_execz .LBB242_114
; %bb.109:                              ;   in Loop: Header=BB242_13 Depth=1
	v_cmp_ne_u16_e64 s[6:7], s54, v1
	v_bfrev_b32_e32 v39, 1
	s_and_saveexec_b64 s[44:45], s[6:7]
	s_cbranch_execz .LBB242_113
; %bb.110:                              ;   in Loop: Header=BB242_13 Depth=1
	v_and_b32_e32 v41, 0x7f, v1
	v_cmp_ne_u32_e64 s[6:7], s55, v41
	v_mov_b32_e32 v39, 0x7c010000
	s_and_saveexec_b64 s[46:47], s[6:7]
	s_cbranch_execz .LBB242_112
; %bb.111:                              ;   in Loop: Header=BB242_13 Depth=1
	v_and_b32_e32 v39, 7, v1
	v_ffbh_u32_e32 v42, v39
	v_min_u32_e32 v45, 32, v42
	v_subrev_u32_e32 v42, 28, v45
	v_lshlrev_b64 v[42:43], v42, v[1:2]
	v_lshrrev_b32_e32 v44, 3, v41
	v_sub_u32_e32 v43, 29, v45
	v_cmp_gt_u32_e64 s[6:7], 8, v41
	v_cndmask_b32_e64 v41, v44, v43, s[6:7]
	v_lshlrev_b32_e32 v1, 8, v1
	v_lshl_add_u32 v41, v41, 10, v21
	v_and_b32_e32 v42, 7, v42
	v_and_or_b32 v1, v1, s56, v41
	v_cndmask_b32_e64 v39, v39, v42, s[6:7]
	v_lshlrev_b32_e32 v1, 16, v1
	v_lshl_or_b32 v39, v39, 23, v1
.LBB242_112:                            ;   in Loop: Header=BB242_13 Depth=1
	s_or_b64 exec, exec, s[46:47]
.LBB242_113:                            ;   in Loop: Header=BB242_13 Depth=1
	s_or_b64 exec, exec, s[44:45]
.LBB242_114:                            ;   in Loop: Header=BB242_13 Depth=1
	s_or_b64 exec, exec, s[42:43]
	global_load_ushort v42, v[7:8], off offset:1024
	v_mov_b32_e32 v41, 0
	s_waitcnt vmcnt(0)
	v_and_b32_e32 v1, 0xffff, v42
	v_cmp_ne_u16_sdwa s[6:7], v42, v2 src0_sel:BYTE_0 src1_sel:DWORD
	v_mov_b32_e32 v42, 0
	s_and_saveexec_b64 s[42:43], s[6:7]
	s_cbranch_execz .LBB242_120
; %bb.115:                              ;   in Loop: Header=BB242_13 Depth=1
	v_cmp_ne_u16_sdwa s[6:7], v1, s54 src0_sel:BYTE_0 src1_sel:DWORD
	v_mov_b32_e32 v42, 0x8000
	s_and_saveexec_b64 s[44:45], s[6:7]
	s_cbranch_execz .LBB242_119
; %bb.116:                              ;   in Loop: Header=BB242_13 Depth=1
	v_and_b32_e32 v43, 0x7f, v1
	v_cmp_ne_u32_e64 s[6:7], s55, v43
	v_mov_b32_e32 v42, 0x7c01
	s_and_saveexec_b64 s[46:47], s[6:7]
	s_cbranch_execz .LBB242_118
; %bb.117:                              ;   in Loop: Header=BB242_13 Depth=1
	v_and_b32_e32 v42, 7, v1
	v_ffbh_u32_e32 v44, v42
	v_min_u32_e32 v47, 32, v44
	v_subrev_u32_e32 v44, 28, v47
	v_lshlrev_b64 v[44:45], v44, v[1:2]
	v_lshrrev_b32_e32 v46, 3, v43
	v_sub_u32_e32 v45, 29, v47
	v_cmp_gt_u32_e64 s[6:7], 8, v43
	v_cndmask_b32_e64 v43, v46, v45, s[6:7]
	v_lshl_add_u32 v43, v43, 10, v21
	v_lshlrev_b32_e32 v45, 8, v1
	v_and_b32_e32 v44, 7, v44
	v_and_b32_e32 v43, 0xfc00, v43
	v_cndmask_b32_e64 v42, v42, v44, s[6:7]
	v_and_or_b32 v43, v45, s56, v43
	v_lshl_or_b32 v42, v42, 7, v43
.LBB242_118:                            ;   in Loop: Header=BB242_13 Depth=1
	s_or_b64 exec, exec, s[46:47]
.LBB242_119:                            ;   in Loop: Header=BB242_13 Depth=1
	s_or_b64 exec, exec, s[44:45]
.LBB242_120:                            ;   in Loop: Header=BB242_13 Depth=1
	s_or_b64 exec, exec, s[42:43]
	v_lshrrev_b16_e32 v1, 8, v1
	v_cmp_ne_u16_e64 s[6:7], 0, v1
	s_and_saveexec_b64 s[42:43], s[6:7]
	s_cbranch_execz .LBB242_126
; %bb.121:                              ;   in Loop: Header=BB242_13 Depth=1
	v_cmp_ne_u16_e64 s[6:7], s54, v1
	v_bfrev_b32_e32 v41, 1
	s_and_saveexec_b64 s[44:45], s[6:7]
	s_cbranch_execz .LBB242_125
; %bb.122:                              ;   in Loop: Header=BB242_13 Depth=1
	v_and_b32_e32 v43, 0x7f, v1
	v_cmp_ne_u32_e64 s[6:7], s55, v43
	v_mov_b32_e32 v41, 0x7c010000
	s_and_saveexec_b64 s[46:47], s[6:7]
	s_cbranch_execz .LBB242_124
; %bb.123:                              ;   in Loop: Header=BB242_13 Depth=1
	v_and_b32_e32 v41, 7, v1
	v_ffbh_u32_e32 v44, v41
	v_min_u32_e32 v47, 32, v44
	v_subrev_u32_e32 v44, 28, v47
	v_lshlrev_b64 v[44:45], v44, v[1:2]
	v_lshrrev_b32_e32 v46, 3, v43
	v_sub_u32_e32 v45, 29, v47
	v_cmp_gt_u32_e64 s[6:7], 8, v43
	v_cndmask_b32_e64 v43, v46, v45, s[6:7]
	v_lshlrev_b32_e32 v1, 8, v1
	v_lshl_add_u32 v43, v43, 10, v21
	v_and_b32_e32 v44, 7, v44
	v_and_or_b32 v1, v1, s56, v43
	v_cndmask_b32_e64 v41, v41, v44, s[6:7]
	v_lshlrev_b32_e32 v1, 16, v1
	v_lshl_or_b32 v41, v41, 23, v1
.LBB242_124:                            ;   in Loop: Header=BB242_13 Depth=1
	s_or_b64 exec, exec, s[46:47]
.LBB242_125:                            ;   in Loop: Header=BB242_13 Depth=1
	s_or_b64 exec, exec, s[44:45]
.LBB242_126:                            ;   in Loop: Header=BB242_13 Depth=1
	s_or_b64 exec, exec, s[42:43]
	global_load_ushort v44, v[7:8], off offset:1032
	v_mov_b32_e32 v43, 0
	s_waitcnt vmcnt(0)
	v_and_b32_e32 v1, 0xffff, v44
	v_cmp_ne_u16_sdwa s[6:7], v44, v2 src0_sel:BYTE_0 src1_sel:DWORD
	v_mov_b32_e32 v44, 0
	s_and_saveexec_b64 s[42:43], s[6:7]
	s_cbranch_execz .LBB242_132
; %bb.127:                              ;   in Loop: Header=BB242_13 Depth=1
	v_cmp_ne_u16_sdwa s[6:7], v1, s54 src0_sel:BYTE_0 src1_sel:DWORD
	v_mov_b32_e32 v44, 0x8000
	s_and_saveexec_b64 s[44:45], s[6:7]
	s_cbranch_execz .LBB242_131
; %bb.128:                              ;   in Loop: Header=BB242_13 Depth=1
	v_and_b32_e32 v45, 0x7f, v1
	v_cmp_ne_u32_e64 s[6:7], s55, v45
	v_mov_b32_e32 v44, 0x7c01
	s_and_saveexec_b64 s[46:47], s[6:7]
	s_cbranch_execz .LBB242_130
; %bb.129:                              ;   in Loop: Header=BB242_13 Depth=1
	v_and_b32_e32 v44, 7, v1
	v_ffbh_u32_e32 v46, v44
	v_min_u32_e32 v49, 32, v46
	v_subrev_u32_e32 v46, 28, v49
	v_lshlrev_b64 v[46:47], v46, v[1:2]
	v_lshrrev_b32_e32 v48, 3, v45
	v_sub_u32_e32 v47, 29, v49
	v_cmp_gt_u32_e64 s[6:7], 8, v45
	v_cndmask_b32_e64 v45, v48, v47, s[6:7]
	v_lshl_add_u32 v45, v45, 10, v21
	v_lshlrev_b32_e32 v47, 8, v1
	v_and_b32_e32 v46, 7, v46
	v_and_b32_e32 v45, 0xfc00, v45
	v_cndmask_b32_e64 v44, v44, v46, s[6:7]
	v_and_or_b32 v45, v47, s56, v45
	v_lshl_or_b32 v44, v44, 7, v45
.LBB242_130:                            ;   in Loop: Header=BB242_13 Depth=1
	s_or_b64 exec, exec, s[46:47]
.LBB242_131:                            ;   in Loop: Header=BB242_13 Depth=1
	s_or_b64 exec, exec, s[44:45]
.LBB242_132:                            ;   in Loop: Header=BB242_13 Depth=1
	s_or_b64 exec, exec, s[42:43]
	v_lshrrev_b16_e32 v1, 8, v1
	v_cmp_ne_u16_e64 s[6:7], 0, v1
	s_and_saveexec_b64 s[42:43], s[6:7]
	s_cbranch_execz .LBB242_138
; %bb.133:                              ;   in Loop: Header=BB242_13 Depth=1
	v_cmp_ne_u16_e64 s[6:7], s54, v1
	v_bfrev_b32_e32 v43, 1
	s_and_saveexec_b64 s[44:45], s[6:7]
	s_cbranch_execz .LBB242_137
; %bb.134:                              ;   in Loop: Header=BB242_13 Depth=1
	v_and_b32_e32 v45, 0x7f, v1
	v_cmp_ne_u32_e64 s[6:7], s55, v45
	v_mov_b32_e32 v43, 0x7c010000
	s_and_saveexec_b64 s[46:47], s[6:7]
	s_cbranch_execz .LBB242_136
; %bb.135:                              ;   in Loop: Header=BB242_13 Depth=1
	v_and_b32_e32 v43, 7, v1
	v_ffbh_u32_e32 v46, v43
	v_min_u32_e32 v49, 32, v46
	v_subrev_u32_e32 v46, 28, v49
	v_lshlrev_b64 v[46:47], v46, v[1:2]
	v_lshrrev_b32_e32 v48, 3, v45
	v_sub_u32_e32 v47, 29, v49
	v_cmp_gt_u32_e64 s[6:7], 8, v45
	v_cndmask_b32_e64 v45, v48, v47, s[6:7]
	v_lshlrev_b32_e32 v1, 8, v1
	v_lshl_add_u32 v45, v45, 10, v21
	v_and_b32_e32 v46, 7, v46
	v_and_or_b32 v1, v1, s56, v45
	v_cndmask_b32_e64 v43, v43, v46, s[6:7]
	v_lshlrev_b32_e32 v1, 16, v1
	v_lshl_or_b32 v43, v43, 23, v1
.LBB242_136:                            ;   in Loop: Header=BB242_13 Depth=1
	s_or_b64 exec, exec, s[46:47]
.LBB242_137:                            ;   in Loop: Header=BB242_13 Depth=1
	s_or_b64 exec, exec, s[44:45]
.LBB242_138:                            ;   in Loop: Header=BB242_13 Depth=1
	s_or_b64 exec, exec, s[42:43]
	global_load_ushort v46, v[7:8], off offset:1280
	v_mov_b32_e32 v45, 0
	s_waitcnt vmcnt(0)
	v_and_b32_e32 v1, 0xffff, v46
	v_cmp_ne_u16_sdwa s[6:7], v46, v2 src0_sel:BYTE_0 src1_sel:DWORD
	v_mov_b32_e32 v46, 0
	s_and_saveexec_b64 s[42:43], s[6:7]
	s_cbranch_execz .LBB242_144
; %bb.139:                              ;   in Loop: Header=BB242_13 Depth=1
	v_cmp_ne_u16_sdwa s[6:7], v1, s54 src0_sel:BYTE_0 src1_sel:DWORD
	v_mov_b32_e32 v46, 0x8000
	s_and_saveexec_b64 s[44:45], s[6:7]
	s_cbranch_execz .LBB242_143
; %bb.140:                              ;   in Loop: Header=BB242_13 Depth=1
	v_and_b32_e32 v47, 0x7f, v1
	v_cmp_ne_u32_e64 s[6:7], s55, v47
	v_mov_b32_e32 v46, 0x7c01
	s_and_saveexec_b64 s[46:47], s[6:7]
	s_cbranch_execz .LBB242_142
; %bb.141:                              ;   in Loop: Header=BB242_13 Depth=1
	v_and_b32_e32 v46, 7, v1
	v_ffbh_u32_e32 v48, v46
	v_min_u32_e32 v51, 32, v48
	v_subrev_u32_e32 v48, 28, v51
	v_lshlrev_b64 v[48:49], v48, v[1:2]
	v_lshrrev_b32_e32 v50, 3, v47
	v_sub_u32_e32 v49, 29, v51
	v_cmp_gt_u32_e64 s[6:7], 8, v47
	v_cndmask_b32_e64 v47, v50, v49, s[6:7]
	v_lshl_add_u32 v47, v47, 10, v21
	v_lshlrev_b32_e32 v49, 8, v1
	v_and_b32_e32 v48, 7, v48
	v_and_b32_e32 v47, 0xfc00, v47
	v_cndmask_b32_e64 v46, v46, v48, s[6:7]
	v_and_or_b32 v47, v49, s56, v47
	v_lshl_or_b32 v46, v46, 7, v47
.LBB242_142:                            ;   in Loop: Header=BB242_13 Depth=1
	s_or_b64 exec, exec, s[46:47]
.LBB242_143:                            ;   in Loop: Header=BB242_13 Depth=1
	s_or_b64 exec, exec, s[44:45]
.LBB242_144:                            ;   in Loop: Header=BB242_13 Depth=1
	s_or_b64 exec, exec, s[42:43]
	v_lshrrev_b16_e32 v1, 8, v1
	v_cmp_ne_u16_e64 s[6:7], 0, v1
	s_and_saveexec_b64 s[42:43], s[6:7]
	s_cbranch_execz .LBB242_150
; %bb.145:                              ;   in Loop: Header=BB242_13 Depth=1
	v_cmp_ne_u16_e64 s[6:7], s54, v1
	v_bfrev_b32_e32 v45, 1
	s_and_saveexec_b64 s[44:45], s[6:7]
	s_cbranch_execz .LBB242_149
; %bb.146:                              ;   in Loop: Header=BB242_13 Depth=1
	v_and_b32_e32 v47, 0x7f, v1
	v_cmp_ne_u32_e64 s[6:7], s55, v47
	v_mov_b32_e32 v45, 0x7c010000
	s_and_saveexec_b64 s[46:47], s[6:7]
	s_cbranch_execz .LBB242_148
; %bb.147:                              ;   in Loop: Header=BB242_13 Depth=1
	v_and_b32_e32 v45, 7, v1
	v_ffbh_u32_e32 v48, v45
	v_min_u32_e32 v51, 32, v48
	v_subrev_u32_e32 v48, 28, v51
	v_lshlrev_b64 v[48:49], v48, v[1:2]
	v_lshrrev_b32_e32 v50, 3, v47
	v_sub_u32_e32 v49, 29, v51
	v_cmp_gt_u32_e64 s[6:7], 8, v47
	v_cndmask_b32_e64 v47, v50, v49, s[6:7]
	v_lshlrev_b32_e32 v1, 8, v1
	v_lshl_add_u32 v47, v47, 10, v21
	v_and_b32_e32 v48, 7, v48
	v_and_or_b32 v1, v1, s56, v47
	v_cndmask_b32_e64 v45, v45, v48, s[6:7]
	v_lshlrev_b32_e32 v1, 16, v1
	v_lshl_or_b32 v45, v45, 23, v1
.LBB242_148:                            ;   in Loop: Header=BB242_13 Depth=1
	s_or_b64 exec, exec, s[46:47]
.LBB242_149:                            ;   in Loop: Header=BB242_13 Depth=1
	s_or_b64 exec, exec, s[44:45]
.LBB242_150:                            ;   in Loop: Header=BB242_13 Depth=1
	s_or_b64 exec, exec, s[42:43]
	global_load_ushort v47, v[7:8], off offset:1288
	v_mov_b32_e32 v49, 0
	v_mov_b32_e32 v50, 0
	s_waitcnt vmcnt(0)
	v_and_b32_e32 v1, 0xffff, v47
	v_cmp_ne_u16_sdwa s[6:7], v47, v2 src0_sel:BYTE_0 src1_sel:DWORD
	s_and_saveexec_b64 s[42:43], s[6:7]
	s_cbranch_execz .LBB242_156
; %bb.151:                              ;   in Loop: Header=BB242_13 Depth=1
	v_cmp_ne_u16_sdwa s[6:7], v1, s54 src0_sel:BYTE_0 src1_sel:DWORD
	v_mov_b32_e32 v50, 0x8000
	s_and_saveexec_b64 s[44:45], s[6:7]
	s_cbranch_execz .LBB242_155
; %bb.152:                              ;   in Loop: Header=BB242_13 Depth=1
	v_and_b32_e32 v47, 0x7f, v1
	v_cmp_ne_u32_e64 s[6:7], s55, v47
	v_mov_b32_e32 v50, 0x7c01
	s_and_saveexec_b64 s[46:47], s[6:7]
	s_cbranch_execz .LBB242_154
; %bb.153:                              ;   in Loop: Header=BB242_13 Depth=1
	v_and_b32_e32 v48, 7, v1
	v_ffbh_u32_e32 v50, v48
	v_min_u32_e32 v53, 32, v50
	v_subrev_u32_e32 v50, 28, v53
	v_lshlrev_b64 v[50:51], v50, v[1:2]
	v_lshrrev_b32_e32 v52, 3, v47
	v_sub_u32_e32 v51, 29, v53
	v_cmp_gt_u32_e64 s[6:7], 8, v47
	v_cndmask_b32_e64 v47, v52, v51, s[6:7]
	v_lshl_add_u32 v47, v47, 10, v21
	v_lshlrev_b32_e32 v51, 8, v1
	v_and_b32_e32 v50, 7, v50
	v_and_b32_e32 v47, 0xfc00, v47
	v_cndmask_b32_e64 v48, v48, v50, s[6:7]
	v_and_or_b32 v47, v51, s56, v47
	v_lshl_or_b32 v50, v48, 7, v47
.LBB242_154:                            ;   in Loop: Header=BB242_13 Depth=1
	s_or_b64 exec, exec, s[46:47]
.LBB242_155:                            ;   in Loop: Header=BB242_13 Depth=1
	s_or_b64 exec, exec, s[44:45]
.LBB242_156:                            ;   in Loop: Header=BB242_13 Depth=1
	s_or_b64 exec, exec, s[42:43]
	v_lshrrev_b16_e32 v1, 8, v1
	v_cmp_ne_u16_e64 s[6:7], 0, v1
	s_and_saveexec_b64 s[42:43], s[6:7]
	s_cbranch_execz .LBB242_162
; %bb.157:                              ;   in Loop: Header=BB242_13 Depth=1
	v_cmp_ne_u16_e64 s[6:7], s54, v1
	v_bfrev_b32_e32 v49, 1
	s_and_saveexec_b64 s[44:45], s[6:7]
	s_cbranch_execz .LBB242_161
; %bb.158:                              ;   in Loop: Header=BB242_13 Depth=1
	v_and_b32_e32 v47, 0x7f, v1
	v_cmp_ne_u32_e64 s[6:7], s55, v47
	v_mov_b32_e32 v49, 0x7c010000
	s_and_saveexec_b64 s[46:47], s[6:7]
	s_cbranch_execz .LBB242_160
; %bb.159:                              ;   in Loop: Header=BB242_13 Depth=1
	v_and_b32_e32 v51, 7, v1
	v_ffbh_u32_e32 v48, v51
	v_min_u32_e32 v53, 32, v48
	v_subrev_u32_e32 v48, 28, v53
	v_lshlrev_b64 v[48:49], v48, v[1:2]
	v_lshrrev_b32_e32 v52, 3, v47
	v_sub_u32_e32 v49, 29, v53
	v_cmp_gt_u32_e64 s[6:7], 8, v47
	v_cndmask_b32_e64 v47, v52, v49, s[6:7]
	v_lshlrev_b32_e32 v1, 8, v1
	v_lshl_add_u32 v47, v47, 10, v21
	v_and_b32_e32 v48, 7, v48
	v_and_or_b32 v1, v1, s56, v47
	v_cndmask_b32_e64 v48, v51, v48, s[6:7]
	v_lshlrev_b32_e32 v1, 16, v1
	v_lshl_or_b32 v49, v48, 23, v1
.LBB242_160:                            ;   in Loop: Header=BB242_13 Depth=1
	s_or_b64 exec, exec, s[46:47]
.LBB242_161:                            ;   in Loop: Header=BB242_13 Depth=1
	s_or_b64 exec, exec, s[44:45]
.LBB242_162:                            ;   in Loop: Header=BB242_13 Depth=1
	s_or_b64 exec, exec, s[42:43]
	global_load_ushort v47, v[7:8], off offset:1536
	v_mov_b32_e32 v51, 0
	v_mov_b32_e32 v52, 0
	s_waitcnt vmcnt(0)
	v_and_b32_e32 v1, 0xffff, v47
	v_cmp_ne_u16_sdwa s[6:7], v47, v2 src0_sel:BYTE_0 src1_sel:DWORD
	s_and_saveexec_b64 s[42:43], s[6:7]
	s_cbranch_execz .LBB242_168
; %bb.163:                              ;   in Loop: Header=BB242_13 Depth=1
	v_cmp_ne_u16_sdwa s[6:7], v1, s54 src0_sel:BYTE_0 src1_sel:DWORD
	v_mov_b32_e32 v52, 0x8000
	s_and_saveexec_b64 s[44:45], s[6:7]
	s_cbranch_execz .LBB242_167
; %bb.164:                              ;   in Loop: Header=BB242_13 Depth=1
	v_and_b32_e32 v47, 0x7f, v1
	v_cmp_ne_u32_e64 s[6:7], s55, v47
	v_mov_b32_e32 v52, 0x7c01
	s_and_saveexec_b64 s[46:47], s[6:7]
	s_cbranch_execz .LBB242_166
; %bb.165:                              ;   in Loop: Header=BB242_13 Depth=1
	v_and_b32_e32 v48, 7, v1
	v_ffbh_u32_e32 v52, v48
	v_min_u32_e32 v55, 32, v52
	v_subrev_u32_e32 v52, 28, v55
	v_lshlrev_b64 v[52:53], v52, v[1:2]
	v_lshrrev_b32_e32 v54, 3, v47
	v_sub_u32_e32 v53, 29, v55
	v_cmp_gt_u32_e64 s[6:7], 8, v47
	v_cndmask_b32_e64 v47, v54, v53, s[6:7]
	v_lshl_add_u32 v47, v47, 10, v21
	v_lshlrev_b32_e32 v53, 8, v1
	v_and_b32_e32 v52, 7, v52
	v_and_b32_e32 v47, 0xfc00, v47
	v_cndmask_b32_e64 v48, v48, v52, s[6:7]
	v_and_or_b32 v47, v53, s56, v47
	v_lshl_or_b32 v52, v48, 7, v47
.LBB242_166:                            ;   in Loop: Header=BB242_13 Depth=1
	s_or_b64 exec, exec, s[46:47]
.LBB242_167:                            ;   in Loop: Header=BB242_13 Depth=1
	s_or_b64 exec, exec, s[44:45]
.LBB242_168:                            ;   in Loop: Header=BB242_13 Depth=1
	s_or_b64 exec, exec, s[42:43]
	v_lshrrev_b16_e32 v1, 8, v1
	v_cmp_ne_u16_e64 s[6:7], 0, v1
	s_and_saveexec_b64 s[42:43], s[6:7]
	s_cbranch_execz .LBB242_174
; %bb.169:                              ;   in Loop: Header=BB242_13 Depth=1
	v_cmp_ne_u16_e64 s[6:7], s54, v1
	v_bfrev_b32_e32 v51, 1
	s_and_saveexec_b64 s[44:45], s[6:7]
	s_cbranch_execz .LBB242_173
; %bb.170:                              ;   in Loop: Header=BB242_13 Depth=1
	v_and_b32_e32 v47, 0x7f, v1
	v_cmp_ne_u32_e64 s[6:7], s55, v47
	v_mov_b32_e32 v51, 0x7c010000
	s_and_saveexec_b64 s[46:47], s[6:7]
	s_cbranch_execz .LBB242_172
; %bb.171:                              ;   in Loop: Header=BB242_13 Depth=1
	v_and_b32_e32 v48, 7, v1
	v_ffbh_u32_e32 v53, v48
	v_min_u32_e32 v55, 32, v53
	v_subrev_u32_e32 v53, 28, v55
	v_lshlrev_b64 v[53:54], v53, v[1:2]
	v_lshrrev_b32_e32 v51, 3, v47
	v_sub_u32_e32 v54, 29, v55
	v_cmp_gt_u32_e64 s[6:7], 8, v47
	v_cndmask_b32_e64 v47, v51, v54, s[6:7]
	v_lshlrev_b32_e32 v1, 8, v1
	v_lshl_add_u32 v47, v47, 10, v21
	v_and_b32_e32 v51, 7, v53
	v_and_or_b32 v1, v1, s56, v47
	v_cndmask_b32_e64 v48, v48, v51, s[6:7]
	v_lshlrev_b32_e32 v1, 16, v1
	v_lshl_or_b32 v51, v48, 23, v1
.LBB242_172:                            ;   in Loop: Header=BB242_13 Depth=1
	s_or_b64 exec, exec, s[46:47]
.LBB242_173:                            ;   in Loop: Header=BB242_13 Depth=1
	s_or_b64 exec, exec, s[44:45]
.LBB242_174:                            ;   in Loop: Header=BB242_13 Depth=1
	s_or_b64 exec, exec, s[42:43]
	global_load_ushort v48, v[7:8], off offset:1544
	v_mov_b32_e32 v47, 0
	s_waitcnt vmcnt(0)
	v_and_b32_e32 v1, 0xffff, v48
	v_cmp_ne_u16_sdwa s[6:7], v48, v2 src0_sel:BYTE_0 src1_sel:DWORD
	v_mov_b32_e32 v48, 0
	s_and_saveexec_b64 s[42:43], s[6:7]
	s_cbranch_execz .LBB242_180
; %bb.175:                              ;   in Loop: Header=BB242_13 Depth=1
	v_cmp_ne_u16_sdwa s[6:7], v1, s54 src0_sel:BYTE_0 src1_sel:DWORD
	v_mov_b32_e32 v48, 0x8000
	s_and_saveexec_b64 s[44:45], s[6:7]
	s_cbranch_execz .LBB242_179
; %bb.176:                              ;   in Loop: Header=BB242_13 Depth=1
	v_and_b32_e32 v53, 0x7f, v1
	v_cmp_ne_u32_e64 s[6:7], s55, v53
	v_mov_b32_e32 v48, 0x7c01
	s_and_saveexec_b64 s[46:47], s[6:7]
	s_cbranch_execz .LBB242_178
; %bb.177:                              ;   in Loop: Header=BB242_13 Depth=1
	v_and_b32_e32 v48, 7, v1
	v_ffbh_u32_e32 v54, v48
	v_min_u32_e32 v57, 32, v54
	v_subrev_u32_e32 v54, 28, v57
	v_lshlrev_b64 v[54:55], v54, v[1:2]
	v_lshrrev_b32_e32 v56, 3, v53
	v_sub_u32_e32 v55, 29, v57
	v_cmp_gt_u32_e64 s[6:7], 8, v53
	v_cndmask_b32_e64 v53, v56, v55, s[6:7]
	v_lshl_add_u32 v53, v53, 10, v21
	v_lshlrev_b32_e32 v55, 8, v1
	v_and_b32_e32 v54, 7, v54
	v_and_b32_e32 v53, 0xfc00, v53
	v_cndmask_b32_e64 v48, v48, v54, s[6:7]
	v_and_or_b32 v53, v55, s56, v53
	v_lshl_or_b32 v48, v48, 7, v53
.LBB242_178:                            ;   in Loop: Header=BB242_13 Depth=1
	s_or_b64 exec, exec, s[46:47]
.LBB242_179:                            ;   in Loop: Header=BB242_13 Depth=1
	s_or_b64 exec, exec, s[44:45]
.LBB242_180:                            ;   in Loop: Header=BB242_13 Depth=1
	s_or_b64 exec, exec, s[42:43]
	v_lshrrev_b16_e32 v1, 8, v1
	v_cmp_ne_u16_e64 s[6:7], 0, v1
	s_and_saveexec_b64 s[42:43], s[6:7]
	s_cbranch_execz .LBB242_186
; %bb.181:                              ;   in Loop: Header=BB242_13 Depth=1
	v_cmp_ne_u16_e64 s[6:7], s54, v1
	v_bfrev_b32_e32 v47, 1
	s_and_saveexec_b64 s[44:45], s[6:7]
	s_cbranch_execz .LBB242_185
; %bb.182:                              ;   in Loop: Header=BB242_13 Depth=1
	v_and_b32_e32 v53, 0x7f, v1
	v_cmp_ne_u32_e64 s[6:7], s55, v53
	v_mov_b32_e32 v47, 0x7c010000
	s_and_saveexec_b64 s[46:47], s[6:7]
	s_cbranch_execz .LBB242_184
; %bb.183:                              ;   in Loop: Header=BB242_13 Depth=1
	v_and_b32_e32 v47, 7, v1
	v_ffbh_u32_e32 v54, v47
	v_min_u32_e32 v57, 32, v54
	v_subrev_u32_e32 v54, 28, v57
	v_lshlrev_b64 v[54:55], v54, v[1:2]
	v_lshrrev_b32_e32 v56, 3, v53
	v_sub_u32_e32 v55, 29, v57
	v_cmp_gt_u32_e64 s[6:7], 8, v53
	v_cndmask_b32_e64 v53, v56, v55, s[6:7]
	v_lshlrev_b32_e32 v1, 8, v1
	v_lshl_add_u32 v53, v53, 10, v21
	v_and_b32_e32 v54, 7, v54
	v_and_or_b32 v1, v1, s56, v53
	v_cndmask_b32_e64 v47, v47, v54, s[6:7]
	v_lshlrev_b32_e32 v1, 16, v1
	v_lshl_or_b32 v47, v47, 23, v1
.LBB242_184:                            ;   in Loop: Header=BB242_13 Depth=1
	s_or_b64 exec, exec, s[46:47]
.LBB242_185:                            ;   in Loop: Header=BB242_13 Depth=1
	s_or_b64 exec, exec, s[44:45]
.LBB242_186:                            ;   in Loop: Header=BB242_13 Depth=1
	s_or_b64 exec, exec, s[42:43]
	global_load_ushort v54, v[7:8], off offset:1792
	v_mov_b32_e32 v53, 0
	s_waitcnt vmcnt(0)
	v_and_b32_e32 v1, 0xffff, v54
	v_cmp_ne_u16_sdwa s[6:7], v54, v2 src0_sel:BYTE_0 src1_sel:DWORD
	v_mov_b32_e32 v54, 0
	s_and_saveexec_b64 s[42:43], s[6:7]
	s_cbranch_execz .LBB242_192
; %bb.187:                              ;   in Loop: Header=BB242_13 Depth=1
	v_cmp_ne_u16_sdwa s[6:7], v1, s54 src0_sel:BYTE_0 src1_sel:DWORD
	v_mov_b32_e32 v54, 0x8000
	s_and_saveexec_b64 s[44:45], s[6:7]
	s_cbranch_execz .LBB242_191
; %bb.188:                              ;   in Loop: Header=BB242_13 Depth=1
	v_and_b32_e32 v55, 0x7f, v1
	v_cmp_ne_u32_e64 s[6:7], s55, v55
	v_mov_b32_e32 v54, 0x7c01
	s_and_saveexec_b64 s[46:47], s[6:7]
	s_cbranch_execz .LBB242_190
; %bb.189:                              ;   in Loop: Header=BB242_13 Depth=1
	v_and_b32_e32 v54, 7, v1
	v_ffbh_u32_e32 v56, v54
	v_min_u32_e32 v59, 32, v56
	v_subrev_u32_e32 v56, 28, v59
	v_lshlrev_b64 v[56:57], v56, v[1:2]
	v_lshrrev_b32_e32 v58, 3, v55
	v_sub_u32_e32 v57, 29, v59
	v_cmp_gt_u32_e64 s[6:7], 8, v55
	v_cndmask_b32_e64 v55, v58, v57, s[6:7]
	v_lshl_add_u32 v55, v55, 10, v21
	v_lshlrev_b32_e32 v57, 8, v1
	v_and_b32_e32 v56, 7, v56
	v_and_b32_e32 v55, 0xfc00, v55
	v_cndmask_b32_e64 v54, v54, v56, s[6:7]
	v_and_or_b32 v55, v57, s56, v55
	v_lshl_or_b32 v54, v54, 7, v55
.LBB242_190:                            ;   in Loop: Header=BB242_13 Depth=1
	s_or_b64 exec, exec, s[46:47]
.LBB242_191:                            ;   in Loop: Header=BB242_13 Depth=1
	s_or_b64 exec, exec, s[44:45]
.LBB242_192:                            ;   in Loop: Header=BB242_13 Depth=1
	s_or_b64 exec, exec, s[42:43]
	v_lshrrev_b16_e32 v1, 8, v1
	v_cmp_ne_u16_e64 s[6:7], 0, v1
	s_and_saveexec_b64 s[42:43], s[6:7]
	s_cbranch_execz .LBB242_198
; %bb.193:                              ;   in Loop: Header=BB242_13 Depth=1
	v_cmp_ne_u16_e64 s[6:7], s54, v1
	v_bfrev_b32_e32 v53, 1
	s_and_saveexec_b64 s[44:45], s[6:7]
	s_cbranch_execz .LBB242_197
; %bb.194:                              ;   in Loop: Header=BB242_13 Depth=1
	v_and_b32_e32 v55, 0x7f, v1
	v_cmp_ne_u32_e64 s[6:7], s55, v55
	v_mov_b32_e32 v53, 0x7c010000
	s_and_saveexec_b64 s[46:47], s[6:7]
	s_cbranch_execz .LBB242_196
; %bb.195:                              ;   in Loop: Header=BB242_13 Depth=1
	v_and_b32_e32 v53, 7, v1
	v_ffbh_u32_e32 v56, v53
	v_min_u32_e32 v59, 32, v56
	v_subrev_u32_e32 v56, 28, v59
	v_lshlrev_b64 v[56:57], v56, v[1:2]
	v_lshrrev_b32_e32 v58, 3, v55
	v_sub_u32_e32 v57, 29, v59
	v_cmp_gt_u32_e64 s[6:7], 8, v55
	v_cndmask_b32_e64 v55, v58, v57, s[6:7]
	v_lshlrev_b32_e32 v1, 8, v1
	v_lshl_add_u32 v55, v55, 10, v21
	v_and_b32_e32 v56, 7, v56
	v_and_or_b32 v1, v1, s56, v55
	v_cndmask_b32_e64 v53, v53, v56, s[6:7]
	v_lshlrev_b32_e32 v1, 16, v1
	v_lshl_or_b32 v53, v53, 23, v1
.LBB242_196:                            ;   in Loop: Header=BB242_13 Depth=1
	s_or_b64 exec, exec, s[46:47]
.LBB242_197:                            ;   in Loop: Header=BB242_13 Depth=1
	s_or_b64 exec, exec, s[44:45]
.LBB242_198:                            ;   in Loop: Header=BB242_13 Depth=1
	s_or_b64 exec, exec, s[42:43]
	global_load_ushort v7, v[7:8], off offset:1800
	v_mov_b32_e32 v8, 0
	v_mov_b32_e32 v55, 0
	s_waitcnt vmcnt(0)
	v_and_b32_e32 v1, 0xffff, v7
	v_cmp_ne_u16_sdwa s[6:7], v7, v2 src0_sel:BYTE_0 src1_sel:DWORD
	s_and_saveexec_b64 s[42:43], s[6:7]
	s_cbranch_execz .LBB242_204
; %bb.199:                              ;   in Loop: Header=BB242_13 Depth=1
	v_cmp_ne_u16_sdwa s[6:7], v1, s54 src0_sel:BYTE_0 src1_sel:DWORD
	v_mov_b32_e32 v55, 0x8000
	s_and_saveexec_b64 s[44:45], s[6:7]
	s_cbranch_execz .LBB242_203
; %bb.200:                              ;   in Loop: Header=BB242_13 Depth=1
	v_and_b32_e32 v7, 0x7f, v1
	v_cmp_ne_u32_e64 s[6:7], s55, v7
	v_mov_b32_e32 v55, 0x7c01
	s_and_saveexec_b64 s[46:47], s[6:7]
	s_cbranch_execz .LBB242_202
; %bb.201:                              ;   in Loop: Header=BB242_13 Depth=1
	v_and_b32_e32 v57, 7, v1
	v_ffbh_u32_e32 v55, v57
	v_min_u32_e32 v59, 32, v55
	v_subrev_u32_e32 v55, 28, v59
	v_lshlrev_b64 v[55:56], v55, v[1:2]
	v_lshrrev_b32_e32 v58, 3, v7
	v_sub_u32_e32 v56, 29, v59
	v_cmp_gt_u32_e64 s[6:7], 8, v7
	v_cndmask_b32_e64 v7, v58, v56, s[6:7]
	v_lshl_add_u32 v7, v7, 10, v21
	v_lshlrev_b32_e32 v56, 8, v1
	v_and_b32_e32 v55, 7, v55
	v_and_b32_e32 v7, 0xfc00, v7
	v_cndmask_b32_e64 v55, v57, v55, s[6:7]
	v_and_or_b32 v7, v56, s56, v7
	v_lshl_or_b32 v55, v55, 7, v7
.LBB242_202:                            ;   in Loop: Header=BB242_13 Depth=1
	s_or_b64 exec, exec, s[46:47]
.LBB242_203:                            ;   in Loop: Header=BB242_13 Depth=1
	s_or_b64 exec, exec, s[44:45]
.LBB242_204:                            ;   in Loop: Header=BB242_13 Depth=1
	s_or_b64 exec, exec, s[42:43]
	v_lshrrev_b16_e32 v1, 8, v1
	v_cmp_ne_u16_e64 s[6:7], 0, v1
	s_and_saveexec_b64 s[42:43], s[6:7]
	s_cbranch_execz .LBB242_210
; %bb.205:                              ;   in Loop: Header=BB242_13 Depth=1
	v_cmp_ne_u16_e64 s[6:7], s54, v1
	v_bfrev_b32_e32 v8, 1
	s_and_saveexec_b64 s[44:45], s[6:7]
	s_cbranch_execz .LBB242_209
; %bb.206:                              ;   in Loop: Header=BB242_13 Depth=1
	v_and_b32_e32 v7, 0x7f, v1
	v_cmp_ne_u32_e64 s[6:7], s55, v7
	v_mov_b32_e32 v8, 0x7c010000
	s_and_saveexec_b64 s[46:47], s[6:7]
	s_cbranch_execz .LBB242_208
; %bb.207:                              ;   in Loop: Header=BB242_13 Depth=1
	v_and_b32_e32 v8, 7, v1
	v_ffbh_u32_e32 v56, v8
	v_min_u32_e32 v59, 32, v56
	v_subrev_u32_e32 v56, 28, v59
	v_lshlrev_b64 v[56:57], v56, v[1:2]
	v_lshrrev_b32_e32 v58, 3, v7
	v_sub_u32_e32 v57, 29, v59
	v_cmp_gt_u32_e64 s[6:7], 8, v7
	v_cndmask_b32_e64 v7, v58, v57, s[6:7]
	v_lshlrev_b32_e32 v1, 8, v1
	v_lshl_add_u32 v7, v7, 10, v21
	v_and_b32_e32 v56, 7, v56
	v_and_or_b32 v1, v1, s56, v7
	v_cndmask_b32_e64 v8, v8, v56, s[6:7]
	v_lshlrev_b32_e32 v1, 16, v1
	v_lshl_or_b32 v8, v8, 23, v1
.LBB242_208:                            ;   in Loop: Header=BB242_13 Depth=1
	s_or_b64 exec, exec, s[46:47]
.LBB242_209:                            ;   in Loop: Header=BB242_13 Depth=1
	s_or_b64 exec, exec, s[44:45]
.LBB242_210:                            ;   in Loop: Header=BB242_13 Depth=1
	s_or_b64 exec, exec, s[42:43]
	v_or_b32_e32 v1, v53, v54
	v_fma_mixlo_f16 v7, v24, v1, 0 op_sel_hi:[0,1,0]
	v_fma_mixlo_f16 v1, v24, v53, 0 op_sel:[0,1,0] op_sel_hi:[0,1,0]
	v_or_b32_e32 v48, v47, v48
	v_or_b32_e32 v52, v51, v52
	;; [unrolled: 1-line block ×14, first 2 shown]
	v_fma_mixlo_f16 v53, v24, v25, 0 op_sel:[0,1,0] op_sel_hi:[0,1,0]
	v_or_b32_e32 v25, v8, v55
	v_fma_mixlo_f16 v48, v24, v48, 0 op_sel_hi:[0,1,0]
	v_fma_mixlo_f16 v47, v24, v47, 0 op_sel:[0,1,0] op_sel_hi:[0,1,0]
	v_fma_mixlo_f16 v52, v24, v52, 0 op_sel_hi:[0,1,0]
	v_fma_mixlo_f16 v51, v24, v51, 0 op_sel:[0,1,0] op_sel_hi:[0,1,0]
	;; [unrolled: 2-line block ×13, first 2 shown]
	v_fma_mixlo_f16 v26, v24, v26, 0 op_sel_hi:[0,1,0]
	v_fma_mixlo_f16 v25, v24, v25, 0 op_sel_hi:[0,1,0]
	v_fma_mixlo_f16 v8, v24, v8, 0 op_sel:[0,1,0] op_sel_hi:[0,1,0]
	ds_read_b32 v24, v14
	v_and_b32_e32 v28, 0xffff, v28
	v_and_b32_e32 v27, 0xffff, v27
	;; [unrolled: 1-line block ×4, first 2 shown]
	s_waitcnt lgkmcnt(0)
	v_lshrrev_b32_e32 v55, 16, v24
	v_and_b32_e32 v24, 0xffff, v24
	;;#ASMSTART
	v_cvt_f32_f16 v54, v24;
	;;#ASMEND
	v_and_b32_e32 v24, 0xffff, v26
	;;#ASMSTART
	v_cvt_f32_f16 v55, v55;
	;;#ASMEND
	;;#ASMSTART
	v_cvt_f32_f16 v26, v24;
	;;#ASMEND
	v_and_b32_e32 v24, 0xffff, v53
	;;#ASMSTART
	v_cvt_f32_f16 v53, v24;
	;;#ASMEND
	ds_read_b32 v24, v14 offset:4
	v_and_b32_e32 v7, 0xffff, v7
	v_and_b32_e32 v1, 0xffff, v1
	;; [unrolled: 1-line block ×4, first 2 shown]
	s_waitcnt lgkmcnt(0)
	v_lshrrev_b32_e32 v56, 16, v24
	v_and_b32_e32 v24, 0xffff, v24
	;;#ASMSTART
	v_cvt_f32_f16 v24, v24;
	;;#ASMEND
	;;#ASMSTART
	v_cvt_f32_f16 v56, v56;
	;;#ASMEND
	;; [unrolled: 3-line block ×4, first 2 shown]
	v_mul_f32_e32 v24, v24, v28
	v_fmac_f32_e32 v24, v54, v26
	v_mul_f32_e32 v26, v56, v27
	ds_read_b32 v27, v14 offset:8
	v_fmac_f32_e32 v26, v55, v53
	s_waitcnt lgkmcnt(0)
	v_lshrrev_b32_e32 v28, 16, v27
	v_and_b32_e32 v27, 0xffff, v27
	;;#ASMSTART
	v_cvt_f32_f16 v27, v27;
	;;#ASMEND
	;;#ASMSTART
	v_cvt_f32_f16 v28, v28;
	;;#ASMEND
	;;#ASMSTART
	v_cvt_f32_f16 v30, v30;
	;;#ASMEND
	;;#ASMSTART
	v_cvt_f32_f16 v29, v29;
	;;#ASMEND
	v_fmac_f32_e32 v24, v27, v30
	ds_read_b32 v27, v14 offset:12
	v_fmac_f32_e32 v26, v28, v29
	v_and_b32_e32 v29, 0xffff, v32
	v_and_b32_e32 v30, 0xffff, v31
	s_waitcnt lgkmcnt(0)
	v_lshrrev_b32_e32 v28, 16, v27
	v_and_b32_e32 v27, 0xffff, v27
	;;#ASMSTART
	v_cvt_f32_f16 v27, v27;
	;;#ASMEND
	;;#ASMSTART
	v_cvt_f32_f16 v28, v28;
	;;#ASMEND
	;;#ASMSTART
	v_cvt_f32_f16 v29, v29;
	;;#ASMEND
	;;#ASMSTART
	v_cvt_f32_f16 v30, v30;
	;;#ASMEND
	v_fmac_f32_e32 v24, v27, v29
	ds_read_b32 v27, v14 offset:16
	v_fmac_f32_e32 v26, v28, v30
	v_and_b32_e32 v29, 0xffff, v34
	v_and_b32_e32 v30, 0xffff, v33
	;; [unrolled: 20-line block ×11, first 2 shown]
	s_waitcnt lgkmcnt(0)
	v_lshrrev_b32_e32 v28, 16, v27
	v_and_b32_e32 v27, 0xffff, v27
	;;#ASMSTART
	v_cvt_f32_f16 v27, v27;
	;;#ASMEND
	;;#ASMSTART
	v_cvt_f32_f16 v28, v28;
	;;#ASMEND
	;;#ASMSTART
	v_cvt_f32_f16 v29, v29;
	;;#ASMEND
	;;#ASMSTART
	v_cvt_f32_f16 v30, v30;
	;;#ASMEND
	v_fmac_f32_e32 v24, v27, v29
	ds_read_b32 v27, v14 offset:56
	v_fmac_f32_e32 v26, v28, v30
	s_waitcnt lgkmcnt(0)
	v_lshrrev_b32_e32 v28, 16, v27
	v_and_b32_e32 v27, 0xffff, v27
	;;#ASMSTART
	v_cvt_f32_f16 v27, v27;
	;;#ASMEND
	;;#ASMSTART
	v_cvt_f32_f16 v28, v28;
	;;#ASMEND
	;;#ASMSTART
	v_cvt_f32_f16 v7, v7;
	;;#ASMEND
	;;#ASMSTART
	v_cvt_f32_f16 v1, v1;
	;;#ASMEND
	v_fmac_f32_e32 v26, v28, v1
	ds_read_b32 v1, v14 offset:60
	v_fmac_f32_e32 v24, v27, v7
	s_waitcnt lgkmcnt(0)
	v_lshrrev_b32_e32 v7, 16, v1
	v_and_b32_e32 v1, 0xffff, v1
	;;#ASMSTART
	v_cvt_f32_f16 v1, v1;
	;;#ASMEND
	;;#ASMSTART
	v_cvt_f32_f16 v7, v7;
	;;#ASMEND
	;; [unrolled: 3-line block ×4, first 2 shown]
	v_fmac_f32_e32 v26, v7, v8
	v_and_b32_e32 v7, 64, v22
	v_add_u32_e32 v7, 64, v7
	v_xor_b32_e32 v8, 2, v22
	v_cmp_lt_i32_e64 s[6:7], v8, v7
	v_fmac_f32_e32 v24, v1, v25
	v_cndmask_b32_e64 v8, v22, v8, s[6:7]
	v_add_f32_e32 v1, v24, v26
	v_lshlrev_b32_e32 v8, 2, v8
	ds_bpermute_b32 v8, v8, v1
	s_waitcnt lgkmcnt(0)
	v_add_f32_e32 v1, v1, v8
	v_xor_b32_e32 v8, 1, v22
	v_cmp_lt_i32_e64 s[6:7], v8, v7
	v_cndmask_b32_e64 v7, v22, v8, s[6:7]
	v_lshlrev_b32_e32 v7, 2, v7
	ds_bpermute_b32 v7, v7, v1
	s_and_saveexec_b64 s[42:43], vcc
	s_cbranch_execz .LBB242_11
; %bb.211:                              ;   in Loop: Header=BB242_13 Depth=1
	v_add_u32_e32 v8, v18, v17
	v_cvt_f32_i32_e32 v8, v8
	s_waitcnt lgkmcnt(0)
	v_add_f32_e32 v1, v1, v7
	v_add_u32_e32 v24, v13, v17
	v_cmp_gt_i32_e64 s[6:7], s25, v24
	v_mul_f32_e32 v7, s50, v8
	v_cndmask_b32_e64 v7, 0, v7, s[4:5]
	v_fmac_f32_e32 v7, s39, v1
	v_cndmask_b32_e64 v1, 0, v7, s[6:7]
	ds_write_b32 v19, v1
	v_max_f32_e32 v1, v16, v16
	v_max_f32_e32 v1, v1, v7
	v_cndmask_b32_e64 v16, v16, v1, s[6:7]
	s_branch .LBB242_11
.LBB242_212:
	s_or_b64 exec, exec, s[40:41]
.LBB242_213:
	s_or_b64 exec, exec, s[18:19]
	v_mbcnt_hi_u32_b32 v1, -1, v10
	v_and_b32_e32 v10, 64, v1
	v_add_u32_e32 v2, 64, v10
	v_xor_b32_e32 v3, 32, v1
	v_cmp_lt_i32_e32 vcc, v3, v2
	v_cndmask_b32_e32 v3, v1, v3, vcc
	v_lshlrev_b32_e32 v3, 2, v3
	ds_bpermute_b32 v4, v3, v16
	v_xor_b32_e32 v6, 16, v1
	v_max_f32_e32 v5, v16, v16
	v_cmp_lt_i32_e32 vcc, v6, v2
	s_waitcnt lgkmcnt(1)
	v_xor_b32_e32 v7, 8, v1
	s_waitcnt lgkmcnt(0)
	v_max_f32_e32 v4, v4, v4
	v_max_f32_e32 v5, v5, v4
	v_cndmask_b32_e32 v4, v1, v6, vcc
	v_lshlrev_b32_e32 v4, 2, v4
	ds_bpermute_b32 v6, v4, v5
	v_cmp_lt_i32_e32 vcc, v7, v2
	v_xor_b32_e32 v8, 4, v1
	v_and_b32_e32 v13, 63, v0
	s_waitcnt lgkmcnt(0)
	v_max_f32_e32 v6, v6, v6
	v_max_f32_e32 v5, v5, v6
	v_cndmask_b32_e32 v6, v1, v7, vcc
	v_lshlrev_b32_e32 v7, 2, v6
	ds_bpermute_b32 v6, v7, v5
	v_cmp_lt_i32_e32 vcc, v8, v2
	s_waitcnt lgkmcnt(0)
	v_max_f32_e32 v6, v6, v6
	v_max_f32_e32 v6, v5, v6
	v_cndmask_b32_e32 v5, v1, v8, vcc
	v_lshlrev_b32_e32 v8, 2, v5
	ds_bpermute_b32 v14, v8, v6
	v_cmp_eq_u32_e32 vcc, 0, v13
	v_lshlrev_b32_e32 v5, 2, v11
	s_and_saveexec_b64 s[4:5], vcc
	s_cbranch_execz .LBB242_215
; %bb.214:
	s_waitcnt lgkmcnt(0)
	v_max_f32_e32 v14, v14, v14
	v_max_f32_e32 v6, v6, v6
	;; [unrolled: 1-line block ×3, first 2 shown]
	ds_write_b32 v5, v6 offset:256
.LBB242_215:
	s_or_b64 exec, exec, s[4:5]
	v_cmp_gt_u32_e64 s[4:5], 2, v13
	v_mov_b32_e32 v15, 0xff7fffff
	v_lshlrev_b32_e32 v6, 2, v13
	s_waitcnt lgkmcnt(0)
	s_barrier
	s_and_saveexec_b64 s[6:7], s[4:5]
; %bb.216:
	ds_read_b32 v15, v6 offset:256
; %bb.217:
	s_or_b64 exec, exec, s[6:7]
	v_xor_b32_e32 v14, 1, v1
	v_cmp_lt_i32_e64 s[6:7], v14, v2
	v_cndmask_b32_e64 v14, v1, v14, s[6:7]
	v_lshlrev_b32_e32 v14, 2, v14
	s_waitcnt lgkmcnt(0)
	ds_bpermute_b32 v16, v14, v15
	v_max_f32_e32 v15, v15, v15
	v_lshlrev_b32_e32 v10, 2, v10
	s_lshl_b32 s6, s49, 4
	s_min_i32 s39, s6, s25
	s_waitcnt lgkmcnt(0)
	v_max_f32_e32 v16, v16, v16
	v_max_f32_e32 v15, v15, v16
	ds_bpermute_b32 v15, v10, v15
	v_cmp_gt_i32_e64 s[6:7], s39, v0
	v_mov_b32_e32 v10, 0
	s_and_saveexec_b64 s[12:13], s[6:7]
	s_cbranch_execz .LBB242_221
; %bb.218:
	v_mov_b32_e32 v10, 0x110
	v_lshl_add_u32 v16, v0, 2, v10
	v_mov_b32_e32 v10, 0
	s_mov_b64 s[18:19], 0
	v_mov_b32_e32 v17, v0
.LBB242_219:                            ; =>This Inner Loop Header: Depth=1
	ds_read_b32 v18, v16
	v_add_u32_e32 v17, 0x80, v17
	v_cmp_le_i32_e64 s[10:11], s39, v17
	s_or_b64 s[18:19], s[10:11], s[18:19]
	s_waitcnt lgkmcnt(0)
	v_sub_f32_e32 v18, v18, v15
	v_mul_f32_e32 v18, 0x3fb8aa3b, v18
	v_exp_f32_e32 v18, v18
	ds_write_b32 v16, v18
	v_add_f32_e32 v10, v10, v18
	v_add_u32_e32 v16, 0x200, v16
	s_andn2_b64 exec, exec, s[18:19]
	s_cbranch_execnz .LBB242_219
; %bb.220:
	s_or_b64 exec, exec, s[18:19]
.LBB242_221:
	s_or_b64 exec, exec, s[12:13]
	ds_bpermute_b32 v3, v3, v10
	s_waitcnt lgkmcnt(0)
	v_add_f32_e32 v3, v10, v3
	ds_bpermute_b32 v4, v4, v3
	s_waitcnt lgkmcnt(0)
	v_add_f32_e32 v3, v3, v4
	ds_bpermute_b32 v4, v7, v3
	v_xor_b32_e32 v7, 2, v1
	v_cmp_lt_i32_e64 s[10:11], v7, v2
	v_cndmask_b32_e64 v2, v1, v7, s[10:11]
	v_lshlrev_b32_e32 v2, 2, v2
	s_waitcnt lgkmcnt(0)
	v_add_f32_e32 v3, v3, v4
	ds_bpermute_b32 v4, v8, v3
	s_waitcnt lgkmcnt(0)
	v_add_f32_e32 v3, v3, v4
	ds_bpermute_b32 v2, v2, v3
	;; [unrolled: 3-line block ×3, first 2 shown]
	s_waitcnt lgkmcnt(0)
	v_add_f32_e32 v2, v2, v3
	s_and_saveexec_b64 s[10:11], vcc
; %bb.222:
	ds_write_b32 v5, v2 offset:264
; %bb.223:
	s_or_b64 exec, exec, s[10:11]
	s_waitcnt lgkmcnt(0)
	s_barrier
	s_and_saveexec_b64 s[10:11], s[4:5]
; %bb.224:
	ds_read_b32 v2, v6 offset:264
; %bb.225:
	s_or_b64 exec, exec, s[10:11]
	s_waitcnt lgkmcnt(0)
	ds_bpermute_b32 v3, v14, v2
	v_lshlrev_b32_e32 v1, 2, v1
	v_and_b32_e32 v1, 0x100, v1
	s_waitcnt lgkmcnt(0)
	v_add_f32_e32 v2, v2, v3
	ds_bpermute_b32 v1, v1, v2
	s_and_saveexec_b64 s[4:5], s[6:7]
	s_cbranch_execz .LBB242_228
; %bb.226:
	s_waitcnt lgkmcnt(0)
	v_add_f32_e32 v2, 0x358637bd, v1
	v_div_scale_f32 v1, s[6:7], v2, v2, 1.0
	v_div_scale_f32 v3, vcc, 1.0, v2, 1.0
	s_mov_b64 s[6:7], 0
	v_rcp_f32_e32 v4, v1
	v_fma_f32 v5, -v1, v4, 1.0
	v_fmac_f32_e32 v4, v5, v4
	v_mul_f32_e32 v5, v3, v4
	v_fma_f32 v6, -v1, v5, v3
	v_fmac_f32_e32 v5, v6, v4
	v_fma_f32 v1, -v1, v5, v3
	v_div_fmas_f32 v3, v1, v4, v5
	v_mov_b32_e32 v1, 0x110
	v_lshl_add_u32 v1, v0, 2, v1
	v_div_fixup_f32 v2, v3, v2, 1.0
	v_mov_b32_e32 v3, v0
.LBB242_227:                            ; =>This Inner Loop Header: Depth=1
	ds_read_b32 v4, v1
	v_add_u32_e32 v3, 0x80, v3
	v_cmp_le_i32_e32 vcc, s39, v3
	s_or_b64 s[6:7], vcc, s[6:7]
	s_waitcnt lgkmcnt(0)
	v_mul_f32_e32 v4, v2, v4
	ds_write_b32 v1, v4
	v_add_u32_e32 v1, 0x200, v1
	s_andn2_b64 exec, exec, s[6:7]
	s_cbranch_execnz .LBB242_227
.LBB242_228:
	s_or_b64 exec, exec, s[4:5]
	v_mov_b32_e32 v19, 0
	v_and_b32_e32 v15, 1, v0
	v_mov_b32_e32 v20, 0
	v_mov_b32_e32 v18, 0
	;; [unrolled: 1-line block ×3, first 2 shown]
	s_waitcnt lgkmcnt(0)
	s_barrier
	s_and_saveexec_b64 s[4:5], s[2:3]
	s_cbranch_execz .LBB242_434
; %bb.229:
	s_sub_i32 s39, s16, s21
	s_ashr_i32 s2, s20, 31
	s_add_u32 s3, s36, s20
	s_addc_u32 s2, s37, s2
	s_abs_i32 s22, s22
	v_cvt_f32_u32_e32 v1, s22
	s_sub_i32 s10, 0, s22
	v_lshlrev_b32_e32 v3, 3, v0
	v_and_b32_e32 v16, 8, v3
	v_rcp_iflag_f32_e32 v1, v1
	v_and_b32_e32 v3, 0x1f8, v3
	s_add_i32 s37, s49, -1
	v_mov_b32_e32 v5, s2
	v_mul_f32_e32 v1, 0x4f7ffffe, v1
	v_cvt_u32_f32_e32 v1, v1
	v_add_co_u32_e32 v3, vcc, s3, v3
	s_lshl_b64 s[2:3], s[34:35], 2
	v_mul_lo_u32 v4, s10, v1
	s_add_u32 s2, s30, s2
	s_addc_u32 s3, s31, s3
	s_mov_b32 s6, -1
	v_mul_hi_u32 v6, v1, v4
	v_addc_co_u32_e32 v4, vcc, 0, v5, vcc
	s_mov_b32 s36, s17
	v_add_u32_e32 v21, v1, v6
	v_and_b32_e32 v1, 60, v9
	v_add_co_u32_e32 v5, vcc, s2, v1
	v_lshlrev_b32_e32 v1, 5, v15
	v_mov_b32_e32 v6, s3
	v_lshl_or_b32 v1, v11, 6, v1
	s_mov_b32 s7, 0xffffff
	v_mov_b32_e32 v2, 0
	v_addc_co_u32_e32 v6, vcc, 0, v6, vcc
	v_add_u32_e32 v22, 0x110, v1
	s_mov_b64 s[10:11], 0
	s_movk_i32 s30, 0x80
	s_movk_i32 s31, 0x7f
	s_mov_b32 s34, 0x8000
	v_mov_b32_e32 v23, 0x2000
	v_mov_b32_e32 v17, 0
	v_mov_b32_e32 v18, 0
	v_mov_b32_e32 v20, 0
	v_mov_b32_e32 v19, 0
	s_branch .LBB242_232
.LBB242_230:                            ;   in Loop: Header=BB242_232 Depth=1
	s_or_b64 exec, exec, s[2:3]
	v_add_f32_e32 v9, v9, v10
	v_add_f32_e32 v18, v18, v9
	;; [unrolled: 1-line block ×5, first 2 shown]
	;;#ASMSTART
	v_pk_mul_f16 v7, v35, v7;

	;;#ASMEND
	;;#ASMSTART
	v_pk_mul_f16 v1, v34, v1;

	;;#ASMEND
	v_add_f32_e32 v19, v19, v9
	;;#ASMSTART
	v_pk_mul_f16 v8, v33, v8;

	;;#ASMEND
	;;#ASMSTART
	v_pk_mul_f16 v9, v32, v40;

	;;#ASMEND
	;;#ASMSTART
	v_pk_add_f16 v1, v7, v1;

	;;#ASMEND
	;;#ASMSTART
	v_pk_add_f16 v1, v1, v8;

	;;#ASMEND
	;;#ASMSTART
	v_pk_add_f16 v1, v1, v9;

	;;#ASMEND
	v_lshrrev_b32_e32 v7, 16, v1
	v_and_b32_e32 v1, 0xffff, v1
	;;#ASMSTART
	v_cvt_f32_f16 v1, v1;
	;;#ASMEND
	;;#ASMSTART
	v_cvt_f32_f16 v7, v7;
	;;#ASMEND
	v_add_f32_e32 v1, v1, v7
	v_add_f32_e32 v17, v17, v1
.LBB242_231:                            ;   in Loop: Header=BB242_232 Depth=1
	s_or_b64 exec, exec, s[12:13]
	v_add_co_u32_e32 v5, vcc, 8, v5
	v_add_u32_e32 v11, 2, v11
	v_addc_co_u32_e32 v6, vcc, 0, v6, vcc
	v_cmp_le_i32_e32 vcc, s49, v11
	v_add_u32_e32 v12, 32, v12
	s_or_b64 s[10:11], vcc, s[10:11]
	v_add_u32_e32 v22, 0x80, v22
	s_andn2_b64 exec, exec, s[10:11]
	s_cbranch_execz .LBB242_433
.LBB242_232:                            ; =>This Inner Loop Header: Depth=1
	v_mul_hi_u32 v1, v12, s33
	v_mul_lo_u32 v7, v1, s27
	v_add_u32_e32 v8, 1, v1
	v_sub_u32_e32 v7, v12, v7
	v_cmp_le_u32_e32 vcc, s27, v7
	v_cndmask_b32_e32 v1, v1, v8, vcc
	v_subrev_u32_e32 v8, s27, v7
	v_cndmask_b32_e32 v7, v7, v8, vcc
	v_add_u32_e32 v8, 1, v1
	v_cmp_le_u32_e32 vcc, s27, v7
	v_cndmask_b32_e32 v1, v1, v8, vcc
	v_xor_b32_e32 v1, s48, v1
	v_subrev_u32_e32 v1, s48, v1
	v_add_u32_e32 v7, s38, v1
	v_sub_u32_e32 v8, 0, v7
	v_max_i32_e32 v8, v7, v8
	v_mul_hi_u32 v9, v8, v21
	v_ashrrev_i32_e32 v7, 31, v7
	v_cmp_lt_i32_e64 s[2:3], s39, v1
	v_mul_lo_u32 v9, v9, s22
	v_sub_u32_e32 v8, v8, v9
	v_subrev_u32_e32 v9, s22, v8
	v_cmp_le_u32_e32 vcc, s22, v8
	v_cndmask_b32_e32 v8, v8, v9, vcc
	v_subrev_u32_e32 v9, s22, v8
	v_cmp_le_u32_e32 vcc, s22, v8
	v_cndmask_b32_e32 v8, v8, v9, vcc
	v_xor_b32_e32 v8, v8, v7
	v_sub_u32_e32 v7, v8, v7
	v_cmp_eq_u32_e32 vcc, 0, v7
	s_or_b64 s[2:3], vcc, s[2:3]
	s_and_saveexec_b64 s[12:13], s[2:3]
	s_cbranch_execz .LBB242_231
; %bb.233:                              ;   in Loop: Header=BB242_232 Depth=1
	global_load_dword v1, v[5:6], off
	ds_read2_b64 v[7:10], v22 offset1:1
	ds_read2_b64 v[24:27], v22 offset0:2 offset1:3
	s_waitcnt lgkmcnt(1)
	;;#ASMSTART
	v_cvt_f16_f32 v32, v7;

	;;#ASMEND
	;;#ASMSTART
	v_cvt_f16_f32 v33, v8;

	;;#ASMEND
	;; [unrolled: 4-line block ×4, first 2 shown]
	s_waitcnt lgkmcnt(0)
	;;#ASMSTART
	v_cvt_f16_f32 v37, v24;

	;;#ASMEND
	;;#ASMSTART
	v_cvt_f16_f32 v38, v25;

	;;#ASMEND
	;; [unrolled: 4-line block ×4, first 2 shown]
	v_mov_b32_e32 v26, 0
	global_load_dword v25, v26, s[14:15]
	v_mov_b32_e32 v27, 0
	s_waitcnt vmcnt(1)
	v_mad_i64_i32 v[7:8], s[2:3], v1, s36, v[3:4]
	global_load_dwordx2 v[9:10], v[7:8], off
	s_waitcnt vmcnt(0)
	v_cmp_ne_u16_sdwa s[16:17], v9, v2 src0_sel:BYTE_0 src1_sel:DWORD
	s_and_saveexec_b64 s[2:3], s[16:17]
	s_cbranch_execz .LBB242_239
; %bb.234:                              ;   in Loop: Header=BB242_232 Depth=1
	v_cmp_ne_u16_sdwa s[18:19], v9, s30 src0_sel:BYTE_0 src1_sel:DWORD
	v_mov_b32_e32 v27, 0x8000
	s_and_saveexec_b64 s[16:17], s[18:19]
	s_cbranch_execz .LBB242_238
; %bb.235:                              ;   in Loop: Header=BB242_232 Depth=1
	v_and_b32_e32 v1, 0x7f, v9
	v_cmp_ne_u32_e32 vcc, s31, v1
	v_mov_b32_e32 v27, 0x7c01
	s_and_saveexec_b64 s[18:19], vcc
	s_cbranch_execz .LBB242_237
; %bb.236:                              ;   in Loop: Header=BB242_232 Depth=1
	v_and_b32_e32 v24, 7, v9
	v_ffbh_u32_e32 v27, v24
	v_min_u32_e32 v30, 32, v27
	v_subrev_u32_e32 v27, 28, v30
	v_lshlrev_b64 v[27:28], v27, v[9:10]
	v_lshrrev_b32_e32 v29, 3, v1
	v_sub_u32_e32 v28, 29, v30
	v_cmp_gt_u32_e32 vcc, 8, v1
	v_cndmask_b32_e32 v1, v29, v28, vcc
	v_lshl_add_u32 v1, v1, 10, v23
	v_lshlrev_b32_e32 v28, 8, v9
	v_and_b32_e32 v27, 7, v27
	v_and_b32_e32 v1, 0xfc00, v1
	v_cndmask_b32_e32 v24, v24, v27, vcc
	v_and_or_b32 v1, v28, s34, v1
	v_lshl_or_b32 v27, v24, 7, v1
.LBB242_237:                            ;   in Loop: Header=BB242_232 Depth=1
	s_or_b64 exec, exec, s[18:19]
.LBB242_238:                            ;   in Loop: Header=BB242_232 Depth=1
	s_or_b64 exec, exec, s[16:17]
.LBB242_239:                            ;   in Loop: Header=BB242_232 Depth=1
	s_or_b64 exec, exec, s[2:3]
	v_lshrrev_b16_e32 v1, 8, v9
	v_cmp_ne_u16_e32 vcc, 0, v1
	s_and_saveexec_b64 s[2:3], vcc
	s_cbranch_execz .LBB242_245
; %bb.240:                              ;   in Loop: Header=BB242_232 Depth=1
	v_cmp_ne_u16_e32 vcc, s30, v1
	v_bfrev_b32_e32 v26, 1
	s_and_saveexec_b64 s[16:17], vcc
	s_cbranch_execz .LBB242_244
; %bb.241:                              ;   in Loop: Header=BB242_232 Depth=1
	v_and_b32_e32 v24, 0x7f, v1
	v_cmp_ne_u32_e32 vcc, s31, v24
	v_mov_b32_e32 v26, 0x7c010000
	s_and_saveexec_b64 s[18:19], vcc
	s_cbranch_execz .LBB242_243
; %bb.242:                              ;   in Loop: Header=BB242_232 Depth=1
	v_and_b32_e32 v26, 7, v1
	v_ffbh_u32_e32 v28, v26
	v_min_u32_e32 v31, 32, v28
	v_subrev_u32_e32 v28, 28, v31
	v_lshlrev_b64 v[28:29], v28, v[1:2]
	v_lshrrev_b32_e32 v30, 3, v24
	v_sub_u32_e32 v29, 29, v31
	v_cmp_gt_u32_e32 vcc, 8, v24
	v_cndmask_b32_e32 v24, v30, v29, vcc
	v_lshlrev_b32_e32 v1, 8, v1
	v_lshl_add_u32 v24, v24, 10, v23
	v_and_b32_e32 v28, 7, v28
	v_and_or_b32 v1, v1, s34, v24
	v_cndmask_b32_e32 v26, v26, v28, vcc
	v_lshlrev_b32_e32 v1, 16, v1
	v_lshl_or_b32 v26, v26, 23, v1
.LBB242_243:                            ;   in Loop: Header=BB242_232 Depth=1
	s_or_b64 exec, exec, s[18:19]
.LBB242_244:                            ;   in Loop: Header=BB242_232 Depth=1
	s_or_b64 exec, exec, s[16:17]
.LBB242_245:                            ;   in Loop: Header=BB242_232 Depth=1
	s_or_b64 exec, exec, s[2:3]
	v_lshrrev_b32_e32 v1, 16, v9
	v_cmp_ne_u16_sdwa s[16:17], v1, v2 src0_sel:BYTE_0 src1_sel:DWORD
	v_mov_b32_e32 v28, 0
	v_mov_b32_e32 v29, 0
	s_and_saveexec_b64 s[2:3], s[16:17]
	s_cbranch_execz .LBB242_251
; %bb.246:                              ;   in Loop: Header=BB242_232 Depth=1
	v_cmp_ne_u16_sdwa s[18:19], v1, s30 src0_sel:BYTE_0 src1_sel:DWORD
	v_mov_b32_e32 v29, 0x8000
	s_and_saveexec_b64 s[16:17], s[18:19]
	s_cbranch_execz .LBB242_250
; %bb.247:                              ;   in Loop: Header=BB242_232 Depth=1
	v_bfe_u32 v24, v9, 16, 7
	v_cmp_ne_u32_e32 vcc, s31, v24
	v_mov_b32_e32 v29, 0x7c01
	s_and_saveexec_b64 s[18:19], vcc
	s_cbranch_execz .LBB242_249
; %bb.248:                              ;   in Loop: Header=BB242_232 Depth=1
	v_and_b32_e32 v31, 7, v1
	v_ffbh_u32_e32 v29, v31
	v_min_u32_e32 v41, 32, v29
	v_subrev_u32_e32 v29, 28, v41
	v_lshlrev_b64 v[29:30], v29, v[1:2]
	v_lshrrev_b32_e32 v35, 3, v24
	v_sub_u32_e32 v30, 29, v41
	v_cmp_gt_u32_e32 vcc, 8, v24
	v_cndmask_b32_e32 v24, v35, v30, vcc
	v_lshl_add_u32 v24, v24, 10, v23
	v_lshlrev_b32_e32 v1, 8, v1
	v_and_b32_e32 v29, 7, v29
	v_and_b32_e32 v24, 0xfc00, v24
	v_cndmask_b32_e32 v29, v31, v29, vcc
	v_and_or_b32 v1, v1, s34, v24
	v_lshl_or_b32 v29, v29, 7, v1
.LBB242_249:                            ;   in Loop: Header=BB242_232 Depth=1
	s_or_b64 exec, exec, s[18:19]
.LBB242_250:                            ;   in Loop: Header=BB242_232 Depth=1
	s_or_b64 exec, exec, s[16:17]
.LBB242_251:                            ;   in Loop: Header=BB242_232 Depth=1
	s_or_b64 exec, exec, s[2:3]
	v_cmp_lt_u32_e32 vcc, s7, v9
	s_and_saveexec_b64 s[2:3], vcc
	s_cbranch_execz .LBB242_257
; %bb.252:                              ;   in Loop: Header=BB242_232 Depth=1
	v_lshrrev_b32_e32 v1, 24, v9
	v_cmp_ne_u32_e32 vcc, s30, v1
	v_bfrev_b32_e32 v28, 1
	s_and_saveexec_b64 s[16:17], vcc
	s_cbranch_execz .LBB242_256
; %bb.253:                              ;   in Loop: Header=BB242_232 Depth=1
	v_and_b32_e32 v24, 0x7f, v1
	v_cmp_ne_u32_e32 vcc, s31, v24
	v_mov_b32_e32 v28, 0x7c010000
	s_and_saveexec_b64 s[18:19], vcc
	s_cbranch_execz .LBB242_255
; %bb.254:                              ;   in Loop: Header=BB242_232 Depth=1
	v_and_b32_e32 v28, 7, v1
	v_ffbh_u32_e32 v30, v28
	v_min_u32_e32 v41, 32, v30
	v_subrev_u32_e32 v30, 28, v41
	v_lshlrev_b64 v[30:31], v30, v[1:2]
	v_lshrrev_b32_e32 v35, 3, v24
	v_sub_u32_e32 v31, 29, v41
	v_cmp_gt_u32_e32 vcc, 8, v24
	v_cndmask_b32_e32 v24, v35, v31, vcc
	v_lshlrev_b32_e32 v1, 8, v1
	v_lshl_add_u32 v24, v24, 10, v23
	v_and_b32_e32 v30, 7, v30
	v_and_or_b32 v1, v1, s34, v24
	v_cndmask_b32_e32 v28, v28, v30, vcc
	v_lshlrev_b32_e32 v1, 16, v1
	v_lshl_or_b32 v28, v28, 23, v1
.LBB242_255:                            ;   in Loop: Header=BB242_232 Depth=1
	s_or_b64 exec, exec, s[18:19]
.LBB242_256:                            ;   in Loop: Header=BB242_232 Depth=1
	s_or_b64 exec, exec, s[16:17]
.LBB242_257:                            ;   in Loop: Header=BB242_232 Depth=1
	s_or_b64 exec, exec, s[2:3]
	v_mov_b32_e32 v1, v10
	v_cmp_ne_u16_sdwa s[16:17], v10, v2 src0_sel:BYTE_0 src1_sel:DWORD
	v_mov_b32_e32 v30, 0
	v_mov_b32_e32 v31, 0
	s_and_saveexec_b64 s[2:3], s[16:17]
	s_cbranch_execz .LBB242_263
; %bb.258:                              ;   in Loop: Header=BB242_232 Depth=1
	v_cmp_ne_u16_sdwa s[18:19], v10, s30 src0_sel:BYTE_0 src1_sel:DWORD
	v_mov_b32_e32 v31, 0x8000
	s_and_saveexec_b64 s[16:17], s[18:19]
	s_cbranch_execz .LBB242_262
; %bb.259:                              ;   in Loop: Header=BB242_232 Depth=1
	v_and_b32_e32 v24, 0x7f, v10
	v_cmp_ne_u32_e32 vcc, s31, v24
	v_mov_b32_e32 v31, 0x7c01
	s_and_saveexec_b64 s[18:19], vcc
	s_cbranch_execz .LBB242_261
; %bb.260:                              ;   in Loop: Header=BB242_232 Depth=1
	v_and_b32_e32 v31, 7, v10
	v_ffbh_u32_e32 v41, v31
	v_min_u32_e32 v43, 32, v41
	v_subrev_u32_e32 v41, 28, v43
	v_lshlrev_b64 v[41:42], v41, v[1:2]
	v_lshrrev_b32_e32 v35, 3, v24
	v_sub_u32_e32 v42, 29, v43
	v_cmp_gt_u32_e32 vcc, 8, v24
	v_cndmask_b32_e32 v24, v35, v42, vcc
	v_lshl_add_u32 v24, v24, 10, v23
	v_lshlrev_b32_e32 v35, 8, v10
	v_and_b32_e32 v41, 7, v41
	v_and_b32_e32 v24, 0xfc00, v24
	v_cndmask_b32_e32 v31, v31, v41, vcc
	v_and_or_b32 v24, v35, s34, v24
	v_lshl_or_b32 v31, v31, 7, v24
.LBB242_261:                            ;   in Loop: Header=BB242_232 Depth=1
	s_or_b64 exec, exec, s[18:19]
.LBB242_262:                            ;   in Loop: Header=BB242_232 Depth=1
	s_or_b64 exec, exec, s[16:17]
.LBB242_263:                            ;   in Loop: Header=BB242_232 Depth=1
	s_or_b64 exec, exec, s[2:3]
	v_lshrrev_b16_e32 v1, 8, v1
	v_cmp_ne_u16_e32 vcc, 0, v1
	v_mov_b32_e32 v35, 0
	s_and_saveexec_b64 s[2:3], vcc
	s_cbranch_execz .LBB242_269
; %bb.264:                              ;   in Loop: Header=BB242_232 Depth=1
	v_cmp_ne_u16_e32 vcc, s30, v1
	v_bfrev_b32_e32 v35, 1
	s_and_saveexec_b64 s[16:17], vcc
	s_cbranch_execz .LBB242_268
; %bb.265:                              ;   in Loop: Header=BB242_232 Depth=1
	v_and_b32_e32 v24, 0x7f, v1
	v_cmp_ne_u32_e32 vcc, s31, v24
	v_mov_b32_e32 v35, 0x7c010000
	s_and_saveexec_b64 s[18:19], vcc
	s_cbranch_execz .LBB242_267
; %bb.266:                              ;   in Loop: Header=BB242_232 Depth=1
	v_and_b32_e32 v35, 7, v1
	v_ffbh_u32_e32 v41, v35
	v_min_u32_e32 v44, 32, v41
	v_subrev_u32_e32 v41, 28, v44
	v_lshlrev_b64 v[41:42], v41, v[1:2]
	v_lshrrev_b32_e32 v43, 3, v24
	v_sub_u32_e32 v42, 29, v44
	v_cmp_gt_u32_e32 vcc, 8, v24
	v_cndmask_b32_e32 v24, v43, v42, vcc
	v_lshlrev_b32_e32 v1, 8, v1
	v_lshl_add_u32 v24, v24, 10, v23
	v_and_b32_e32 v41, 7, v41
	v_and_or_b32 v1, v1, s34, v24
	v_cndmask_b32_e32 v35, v35, v41, vcc
	v_lshlrev_b32_e32 v1, 16, v1
	v_lshl_or_b32 v35, v35, 23, v1
.LBB242_267:                            ;   in Loop: Header=BB242_232 Depth=1
	s_or_b64 exec, exec, s[18:19]
.LBB242_268:                            ;   in Loop: Header=BB242_232 Depth=1
	s_or_b64 exec, exec, s[16:17]
.LBB242_269:                            ;   in Loop: Header=BB242_232 Depth=1
	s_or_b64 exec, exec, s[2:3]
	v_lshrrev_b32_e32 v1, 16, v10
	v_cmp_ne_u16_sdwa s[16:17], v1, v2 src0_sel:BYTE_0 src1_sel:DWORD
	s_and_saveexec_b64 s[2:3], s[16:17]
	s_cbranch_execz .LBB242_275
; %bb.270:                              ;   in Loop: Header=BB242_232 Depth=1
	v_cmp_ne_u16_sdwa s[18:19], v1, s30 src0_sel:BYTE_0 src1_sel:DWORD
	v_mov_b32_e32 v30, 0x8000
	s_and_saveexec_b64 s[16:17], s[18:19]
	s_cbranch_execz .LBB242_274
; %bb.271:                              ;   in Loop: Header=BB242_232 Depth=1
	v_bfe_u32 v24, v10, 16, 7
	v_cmp_ne_u32_e32 vcc, s31, v24
	v_mov_b32_e32 v30, 0x7c01
	s_and_saveexec_b64 s[18:19], vcc
	s_cbranch_execz .LBB242_273
; %bb.272:                              ;   in Loop: Header=BB242_232 Depth=1
	v_and_b32_e32 v30, 7, v1
	v_ffbh_u32_e32 v41, v30
	v_min_u32_e32 v44, 32, v41
	v_subrev_u32_e32 v41, 28, v44
	v_lshlrev_b64 v[41:42], v41, v[1:2]
	v_lshrrev_b32_e32 v43, 3, v24
	v_sub_u32_e32 v42, 29, v44
	v_cmp_gt_u32_e32 vcc, 8, v24
	v_cndmask_b32_e32 v24, v43, v42, vcc
	v_lshl_add_u32 v24, v24, 10, v23
	v_lshlrev_b32_e32 v1, 8, v1
	v_and_b32_e32 v41, 7, v41
	v_and_b32_e32 v24, 0xfc00, v24
	v_cndmask_b32_e32 v30, v30, v41, vcc
	v_and_or_b32 v1, v1, s34, v24
	v_lshl_or_b32 v30, v30, 7, v1
.LBB242_273:                            ;   in Loop: Header=BB242_232 Depth=1
	s_or_b64 exec, exec, s[18:19]
.LBB242_274:                            ;   in Loop: Header=BB242_232 Depth=1
	s_or_b64 exec, exec, s[16:17]
.LBB242_275:                            ;   in Loop: Header=BB242_232 Depth=1
	s_or_b64 exec, exec, s[2:3]
	v_cmp_lt_u64_e32 vcc, s[6:7], v[9:10]
	v_mov_b32_e32 v41, 0
	s_and_saveexec_b64 s[2:3], vcc
	s_cbranch_execz .LBB242_281
; %bb.276:                              ;   in Loop: Header=BB242_232 Depth=1
	v_lshrrev_b32_e32 v1, 24, v10
	v_cmp_ne_u32_e32 vcc, s30, v1
	v_bfrev_b32_e32 v41, 1
	s_and_saveexec_b64 s[16:17], vcc
	s_cbranch_execz .LBB242_280
; %bb.277:                              ;   in Loop: Header=BB242_232 Depth=1
	v_and_b32_e32 v9, 0x7f, v1
	v_cmp_ne_u32_e32 vcc, s31, v9
	v_mov_b32_e32 v41, 0x7c010000
	s_and_saveexec_b64 s[18:19], vcc
	s_cbranch_execz .LBB242_279
; %bb.278:                              ;   in Loop: Header=BB242_232 Depth=1
	v_and_b32_e32 v10, 7, v1
	v_ffbh_u32_e32 v41, v10
	v_min_u32_e32 v43, 32, v41
	v_subrev_u32_e32 v41, 28, v43
	v_lshlrev_b64 v[41:42], v41, v[1:2]
	v_lshrrev_b32_e32 v24, 3, v9
	v_sub_u32_e32 v42, 29, v43
	v_cmp_gt_u32_e32 vcc, 8, v9
	v_cndmask_b32_e32 v9, v24, v42, vcc
	v_lshlrev_b32_e32 v1, 8, v1
	v_lshl_add_u32 v9, v9, 10, v23
	v_and_b32_e32 v24, 7, v41
	v_and_or_b32 v1, v1, s34, v9
	v_cndmask_b32_e32 v10, v10, v24, vcc
	v_lshlrev_b32_e32 v1, 16, v1
	v_lshl_or_b32 v41, v10, 23, v1
.LBB242_279:                            ;   in Loop: Header=BB242_232 Depth=1
	s_or_b64 exec, exec, s[18:19]
.LBB242_280:                            ;   in Loop: Header=BB242_232 Depth=1
	s_or_b64 exec, exec, s[16:17]
.LBB242_281:                            ;   in Loop: Header=BB242_232 Depth=1
	s_or_b64 exec, exec, s[2:3]
	v_fma_mixlo_f16 v9, v25, v28, 0 op_sel:[0,1,0] op_sel_hi:[0,1,0]
	v_lshlrev_b32_e32 v42, 16, v9
	v_or_b32_e32 v9, v26, v27
	v_fma_mixlo_f16 v10, v25, v26, 0 op_sel:[0,1,0] op_sel_hi:[0,1,0]
	v_fma_mixlo_f16 v26, v25, v35, 0 op_sel:[0,1,0] op_sel_hi:[0,1,0]
	v_or_b32_e32 v1, v28, v29
	v_lshlrev_b32_e32 v45, 16, v10
	v_or_b32_e32 v10, v35, v31
	v_lshlrev_b32_e32 v35, 16, v26
	v_or_b32_e32 v26, v41, v30
	v_fma_mixlo_f16 v1, v25, v1, 0 op_sel_hi:[0,1,0]
	v_fma_mixlo_f16 v9, v25, v9, 0 op_sel_hi:[0,1,0]
	;; [unrolled: 1-line block ×4, first 2 shown]
	v_fma_mixlo_f16 v25, v25, v41, 0 op_sel:[0,1,0] op_sel_hi:[0,1,0]
	v_add_u32_e32 v24, v16, v12
	v_and_b32_e32 v43, 0xffff, v1
	v_and_b32_e32 v48, 0xffff, v9
	;; [unrolled: 1-line block ×3, first 2 shown]
	v_lshlrev_b32_e32 v44, 16, v25
	v_and_b32_e32 v47, 0xffff, v26
	v_cmp_eq_u32_e32 vcc, s37, v11
	v_or_b32_e32 v1, v42, v43
	v_or_b32_e32 v9, v45, v48
	;; [unrolled: 1-line block ×4, first 2 shown]
	v_add_u32_e32 v31, 1, v24
	v_add_u32_e32 v30, 2, v24
	v_add_u32_e32 v29, 3, v24
	v_add_u32_e32 v28, 4, v24
	v_add_u32_e32 v27, 5, v24
	v_add_u32_e32 v26, 6, v24
	v_add_u32_e32 v25, 7, v24
	s_and_saveexec_b64 s[16:17], vcc
	s_cbranch_execz .LBB242_283
; %bb.282:                              ;   in Loop: Header=BB242_232 Depth=1
	v_cmp_gt_i32_e64 s[2:3], s25, v24
	v_cndmask_b32_e64 v1, 0, v48, s[2:3]
	v_cmp_gt_i32_e64 s[2:3], s25, v31
	v_cndmask_b32_e64 v9, 0, v45, s[2:3]
	v_cmp_gt_i32_e64 s[2:3], s25, v30
	v_or_b32_e32 v9, v9, v1
	v_cndmask_b32_e64 v1, 0, v43, s[2:3]
	v_cmp_gt_i32_e64 s[2:3], s25, v29
	v_cndmask_b32_e64 v10, 0, v42, s[2:3]
	v_cmp_gt_i32_e64 s[2:3], s25, v28
	v_or_b32_e32 v1, v10, v1
	;; [unrolled: 5-line block ×3, first 2 shown]
	v_cndmask_b32_e64 v35, 0, v47, s[2:3]
	v_cmp_gt_i32_e64 s[2:3], s25, v25
	v_cndmask_b32_e64 v41, 0, v44, s[2:3]
	v_or_b32_e32 v41, v41, v35
.LBB242_283:                            ;   in Loop: Header=BB242_232 Depth=1
	s_or_b64 exec, exec, s[16:17]
	v_and_b32_e32 v32, 0xffff, v32
	v_lshl_or_b32 v35, v33, 16, v32
	v_and_b32_e32 v32, 0xffff, v34
	v_lshl_or_b32 v34, v36, 16, v32
	;; [unrolled: 2-line block ×3, first 2 shown]
	v_and_b32_e32 v32, 0xffff, v39
	;;#ASMSTART
	v_pk_mul_f16 v9, v35, v9;

	;;#ASMEND
	;;#ASMSTART
	v_pk_mul_f16 v1, v34, v1;

	;;#ASMEND
	v_lshl_or_b32 v32, v40, 16, v32
	;;#ASMSTART
	v_pk_mul_f16 v10, v33, v10;

	;;#ASMEND
	;;#ASMSTART
	v_pk_mul_f16 v36, v32, v41;

	;;#ASMEND
	;;#ASMSTART
	v_pk_add_f16 v1, v9, v1;

	;;#ASMEND
	;;#ASMSTART
	v_pk_add_f16 v1, v1, v10;

	;;#ASMEND
	;;#ASMSTART
	v_pk_add_f16 v1, v1, v36;

	;;#ASMEND
	v_lshrrev_b32_e32 v9, 16, v1
	v_and_b32_e32 v1, 0xffff, v1
	;;#ASMSTART
	v_cvt_f32_f16 v36, v1;
	;;#ASMEND
	;;#ASMSTART
	v_cvt_f32_f16 v37, v9;
	;;#ASMEND
	global_load_dwordx2 v[9:10], v[7:8], off offset:512
	v_mov_b32_e32 v39, 0
	global_load_dword v38, v39, s[14:15]
	v_mov_b32_e32 v40, 0
	s_waitcnt vmcnt(1)
	v_cmp_ne_u16_sdwa s[2:3], v9, v2 src0_sel:BYTE_0 src1_sel:DWORD
	s_and_saveexec_b64 s[16:17], s[2:3]
	s_cbranch_execz .LBB242_289
; %bb.284:                              ;   in Loop: Header=BB242_232 Depth=1
	v_cmp_ne_u16_sdwa s[2:3], v9, s30 src0_sel:BYTE_0 src1_sel:DWORD
	v_mov_b32_e32 v40, 0x8000
	s_and_saveexec_b64 s[18:19], s[2:3]
	s_cbranch_execz .LBB242_288
; %bb.285:                              ;   in Loop: Header=BB242_232 Depth=1
	v_and_b32_e32 v1, 0x7f, v9
	v_cmp_ne_u32_e64 s[2:3], s31, v1
	v_mov_b32_e32 v40, 0x7c01
	s_and_saveexec_b64 s[20:21], s[2:3]
	s_cbranch_execz .LBB242_287
; %bb.286:                              ;   in Loop: Header=BB242_232 Depth=1
	v_and_b32_e32 v42, 7, v9
	v_ffbh_u32_e32 v40, v42
	v_min_u32_e32 v44, 32, v40
	v_subrev_u32_e32 v40, 28, v44
	v_lshlrev_b64 v[40:41], v40, v[9:10]
	v_lshrrev_b32_e32 v43, 3, v1
	v_sub_u32_e32 v41, 29, v44
	v_cmp_gt_u32_e64 s[2:3], 8, v1
	v_cndmask_b32_e64 v1, v43, v41, s[2:3]
	v_lshl_add_u32 v1, v1, 10, v23
	v_lshlrev_b32_e32 v41, 8, v9
	v_and_b32_e32 v40, 7, v40
	v_and_b32_e32 v1, 0xfc00, v1
	v_cndmask_b32_e64 v40, v42, v40, s[2:3]
	v_and_or_b32 v1, v41, s34, v1
	v_lshl_or_b32 v40, v40, 7, v1
.LBB242_287:                            ;   in Loop: Header=BB242_232 Depth=1
	s_or_b64 exec, exec, s[20:21]
.LBB242_288:                            ;   in Loop: Header=BB242_232 Depth=1
	s_or_b64 exec, exec, s[18:19]
.LBB242_289:                            ;   in Loop: Header=BB242_232 Depth=1
	s_or_b64 exec, exec, s[16:17]
	v_lshrrev_b16_e32 v1, 8, v9
	v_cmp_ne_u16_e64 s[2:3], 0, v1
	s_and_saveexec_b64 s[16:17], s[2:3]
	s_cbranch_execz .LBB242_295
; %bb.290:                              ;   in Loop: Header=BB242_232 Depth=1
	v_cmp_ne_u16_e64 s[2:3], s30, v1
	v_bfrev_b32_e32 v39, 1
	s_and_saveexec_b64 s[18:19], s[2:3]
	s_cbranch_execz .LBB242_294
; %bb.291:                              ;   in Loop: Header=BB242_232 Depth=1
	v_and_b32_e32 v41, 0x7f, v1
	v_cmp_ne_u32_e64 s[2:3], s31, v41
	v_mov_b32_e32 v39, 0x7c010000
	s_and_saveexec_b64 s[20:21], s[2:3]
	s_cbranch_execz .LBB242_293
; %bb.292:                              ;   in Loop: Header=BB242_232 Depth=1
	v_and_b32_e32 v39, 7, v1
	v_ffbh_u32_e32 v42, v39
	v_min_u32_e32 v45, 32, v42
	v_subrev_u32_e32 v42, 28, v45
	v_lshlrev_b64 v[42:43], v42, v[1:2]
	v_lshrrev_b32_e32 v44, 3, v41
	v_sub_u32_e32 v43, 29, v45
	v_cmp_gt_u32_e64 s[2:3], 8, v41
	v_cndmask_b32_e64 v41, v44, v43, s[2:3]
	v_lshlrev_b32_e32 v1, 8, v1
	v_lshl_add_u32 v41, v41, 10, v23
	v_and_b32_e32 v42, 7, v42
	v_and_or_b32 v1, v1, s34, v41
	v_cndmask_b32_e64 v39, v39, v42, s[2:3]
	v_lshlrev_b32_e32 v1, 16, v1
	v_lshl_or_b32 v39, v39, 23, v1
.LBB242_293:                            ;   in Loop: Header=BB242_232 Depth=1
	s_or_b64 exec, exec, s[20:21]
.LBB242_294:                            ;   in Loop: Header=BB242_232 Depth=1
	s_or_b64 exec, exec, s[18:19]
.LBB242_295:                            ;   in Loop: Header=BB242_232 Depth=1
	s_or_b64 exec, exec, s[16:17]
	v_lshrrev_b32_e32 v1, 16, v9
	v_cmp_ne_u16_sdwa s[2:3], v1, v2 src0_sel:BYTE_0 src1_sel:DWORD
	v_mov_b32_e32 v41, 0
	v_mov_b32_e32 v42, 0
	s_and_saveexec_b64 s[16:17], s[2:3]
	s_cbranch_execz .LBB242_301
; %bb.296:                              ;   in Loop: Header=BB242_232 Depth=1
	v_cmp_ne_u16_sdwa s[2:3], v1, s30 src0_sel:BYTE_0 src1_sel:DWORD
	v_mov_b32_e32 v42, 0x8000
	s_and_saveexec_b64 s[18:19], s[2:3]
	s_cbranch_execz .LBB242_300
; %bb.297:                              ;   in Loop: Header=BB242_232 Depth=1
	v_bfe_u32 v43, v9, 16, 7
	v_cmp_ne_u32_e64 s[2:3], s31, v43
	v_mov_b32_e32 v42, 0x7c01
	s_and_saveexec_b64 s[20:21], s[2:3]
	s_cbranch_execz .LBB242_299
; %bb.298:                              ;   in Loop: Header=BB242_232 Depth=1
	v_and_b32_e32 v42, 7, v1
	v_ffbh_u32_e32 v44, v42
	v_min_u32_e32 v47, 32, v44
	v_subrev_u32_e32 v44, 28, v47
	v_lshlrev_b64 v[44:45], v44, v[1:2]
	v_lshrrev_b32_e32 v46, 3, v43
	v_sub_u32_e32 v45, 29, v47
	v_cmp_gt_u32_e64 s[2:3], 8, v43
	v_cndmask_b32_e64 v43, v46, v45, s[2:3]
	v_lshl_add_u32 v43, v43, 10, v23
	v_lshlrev_b32_e32 v1, 8, v1
	v_and_b32_e32 v44, 7, v44
	v_and_b32_e32 v43, 0xfc00, v43
	v_cndmask_b32_e64 v42, v42, v44, s[2:3]
	v_and_or_b32 v1, v1, s34, v43
	v_lshl_or_b32 v42, v42, 7, v1
.LBB242_299:                            ;   in Loop: Header=BB242_232 Depth=1
	s_or_b64 exec, exec, s[20:21]
.LBB242_300:                            ;   in Loop: Header=BB242_232 Depth=1
	s_or_b64 exec, exec, s[18:19]
.LBB242_301:                            ;   in Loop: Header=BB242_232 Depth=1
	s_or_b64 exec, exec, s[16:17]
	v_cmp_lt_u32_e64 s[2:3], s7, v9
	s_and_saveexec_b64 s[16:17], s[2:3]
	s_cbranch_execz .LBB242_307
; %bb.302:                              ;   in Loop: Header=BB242_232 Depth=1
	v_lshrrev_b32_e32 v1, 24, v9
	v_cmp_ne_u32_e64 s[2:3], s30, v1
	v_bfrev_b32_e32 v41, 1
	s_and_saveexec_b64 s[18:19], s[2:3]
	s_cbranch_execz .LBB242_306
; %bb.303:                              ;   in Loop: Header=BB242_232 Depth=1
	v_and_b32_e32 v43, 0x7f, v1
	v_cmp_ne_u32_e64 s[2:3], s31, v43
	v_mov_b32_e32 v41, 0x7c010000
	s_and_saveexec_b64 s[20:21], s[2:3]
	s_cbranch_execz .LBB242_305
; %bb.304:                              ;   in Loop: Header=BB242_232 Depth=1
	v_and_b32_e32 v41, 7, v1
	v_ffbh_u32_e32 v44, v41
	v_min_u32_e32 v47, 32, v44
	v_subrev_u32_e32 v44, 28, v47
	v_lshlrev_b64 v[44:45], v44, v[1:2]
	v_lshrrev_b32_e32 v46, 3, v43
	v_sub_u32_e32 v45, 29, v47
	v_cmp_gt_u32_e64 s[2:3], 8, v43
	v_cndmask_b32_e64 v43, v46, v45, s[2:3]
	v_lshlrev_b32_e32 v1, 8, v1
	v_lshl_add_u32 v43, v43, 10, v23
	v_and_b32_e32 v44, 7, v44
	v_and_or_b32 v1, v1, s34, v43
	v_cndmask_b32_e64 v41, v41, v44, s[2:3]
	v_lshlrev_b32_e32 v1, 16, v1
	v_lshl_or_b32 v41, v41, 23, v1
.LBB242_305:                            ;   in Loop: Header=BB242_232 Depth=1
	s_or_b64 exec, exec, s[20:21]
.LBB242_306:                            ;   in Loop: Header=BB242_232 Depth=1
	s_or_b64 exec, exec, s[18:19]
.LBB242_307:                            ;   in Loop: Header=BB242_232 Depth=1
	s_or_b64 exec, exec, s[16:17]
	v_mov_b32_e32 v1, v10
	v_cmp_ne_u16_sdwa s[2:3], v10, v2 src0_sel:BYTE_0 src1_sel:DWORD
	v_mov_b32_e32 v43, 0
	v_mov_b32_e32 v44, 0
	s_and_saveexec_b64 s[16:17], s[2:3]
	s_cbranch_execz .LBB242_313
; %bb.308:                              ;   in Loop: Header=BB242_232 Depth=1
	v_cmp_ne_u16_sdwa s[2:3], v10, s30 src0_sel:BYTE_0 src1_sel:DWORD
	v_mov_b32_e32 v44, 0x8000
	s_and_saveexec_b64 s[18:19], s[2:3]
	s_cbranch_execz .LBB242_312
; %bb.309:                              ;   in Loop: Header=BB242_232 Depth=1
	v_and_b32_e32 v45, 0x7f, v10
	v_cmp_ne_u32_e64 s[2:3], s31, v45
	v_mov_b32_e32 v44, 0x7c01
	s_and_saveexec_b64 s[20:21], s[2:3]
	s_cbranch_execz .LBB242_311
; %bb.310:                              ;   in Loop: Header=BB242_232 Depth=1
	v_and_b32_e32 v44, 7, v10
	v_ffbh_u32_e32 v46, v44
	v_min_u32_e32 v49, 32, v46
	v_subrev_u32_e32 v46, 28, v49
	v_lshlrev_b64 v[46:47], v46, v[1:2]
	v_lshrrev_b32_e32 v48, 3, v45
	v_sub_u32_e32 v47, 29, v49
	v_cmp_gt_u32_e64 s[2:3], 8, v45
	v_cndmask_b32_e64 v45, v48, v47, s[2:3]
	v_lshl_add_u32 v45, v45, 10, v23
	v_lshlrev_b32_e32 v47, 8, v10
	v_and_b32_e32 v46, 7, v46
	v_and_b32_e32 v45, 0xfc00, v45
	v_cndmask_b32_e64 v44, v44, v46, s[2:3]
	v_and_or_b32 v45, v47, s34, v45
	v_lshl_or_b32 v44, v44, 7, v45
.LBB242_311:                            ;   in Loop: Header=BB242_232 Depth=1
	s_or_b64 exec, exec, s[20:21]
.LBB242_312:                            ;   in Loop: Header=BB242_232 Depth=1
	s_or_b64 exec, exec, s[18:19]
.LBB242_313:                            ;   in Loop: Header=BB242_232 Depth=1
	s_or_b64 exec, exec, s[16:17]
	v_lshrrev_b16_e32 v1, 8, v1
	v_cmp_ne_u16_e64 s[2:3], 0, v1
	v_mov_b32_e32 v45, 0
	s_and_saveexec_b64 s[16:17], s[2:3]
	s_cbranch_execz .LBB242_319
; %bb.314:                              ;   in Loop: Header=BB242_232 Depth=1
	v_cmp_ne_u16_e64 s[2:3], s30, v1
	v_bfrev_b32_e32 v45, 1
	s_and_saveexec_b64 s[18:19], s[2:3]
	s_cbranch_execz .LBB242_318
; %bb.315:                              ;   in Loop: Header=BB242_232 Depth=1
	v_and_b32_e32 v46, 0x7f, v1
	v_cmp_ne_u32_e64 s[2:3], s31, v46
	v_mov_b32_e32 v45, 0x7c010000
	s_and_saveexec_b64 s[20:21], s[2:3]
	s_cbranch_execz .LBB242_317
; %bb.316:                              ;   in Loop: Header=BB242_232 Depth=1
	v_and_b32_e32 v45, 7, v1
	v_ffbh_u32_e32 v47, v45
	v_min_u32_e32 v50, 32, v47
	v_subrev_u32_e32 v47, 28, v50
	v_lshlrev_b64 v[47:48], v47, v[1:2]
	v_lshrrev_b32_e32 v49, 3, v46
	v_sub_u32_e32 v48, 29, v50
	v_cmp_gt_u32_e64 s[2:3], 8, v46
	v_cndmask_b32_e64 v46, v49, v48, s[2:3]
	v_lshlrev_b32_e32 v1, 8, v1
	v_lshl_add_u32 v46, v46, 10, v23
	v_and_b32_e32 v47, 7, v47
	v_and_or_b32 v1, v1, s34, v46
	v_cndmask_b32_e64 v45, v45, v47, s[2:3]
	v_lshlrev_b32_e32 v1, 16, v1
	v_lshl_or_b32 v45, v45, 23, v1
.LBB242_317:                            ;   in Loop: Header=BB242_232 Depth=1
	s_or_b64 exec, exec, s[20:21]
.LBB242_318:                            ;   in Loop: Header=BB242_232 Depth=1
	s_or_b64 exec, exec, s[18:19]
.LBB242_319:                            ;   in Loop: Header=BB242_232 Depth=1
	s_or_b64 exec, exec, s[16:17]
	v_lshrrev_b32_e32 v1, 16, v10
	v_cmp_ne_u16_sdwa s[2:3], v1, v2 src0_sel:BYTE_0 src1_sel:DWORD
	s_and_saveexec_b64 s[16:17], s[2:3]
	s_cbranch_execz .LBB242_325
; %bb.320:                              ;   in Loop: Header=BB242_232 Depth=1
	v_cmp_ne_u16_sdwa s[2:3], v1, s30 src0_sel:BYTE_0 src1_sel:DWORD
	v_mov_b32_e32 v43, 0x8000
	s_and_saveexec_b64 s[18:19], s[2:3]
	s_cbranch_execz .LBB242_324
; %bb.321:                              ;   in Loop: Header=BB242_232 Depth=1
	v_bfe_u32 v46, v10, 16, 7
	v_cmp_ne_u32_e64 s[2:3], s31, v46
	v_mov_b32_e32 v43, 0x7c01
	s_and_saveexec_b64 s[20:21], s[2:3]
	s_cbranch_execz .LBB242_323
; %bb.322:                              ;   in Loop: Header=BB242_232 Depth=1
	v_and_b32_e32 v43, 7, v1
	v_ffbh_u32_e32 v47, v43
	v_min_u32_e32 v50, 32, v47
	v_subrev_u32_e32 v47, 28, v50
	v_lshlrev_b64 v[47:48], v47, v[1:2]
	v_lshrrev_b32_e32 v49, 3, v46
	v_sub_u32_e32 v48, 29, v50
	v_cmp_gt_u32_e64 s[2:3], 8, v46
	v_cndmask_b32_e64 v46, v49, v48, s[2:3]
	v_lshl_add_u32 v46, v46, 10, v23
	v_lshlrev_b32_e32 v1, 8, v1
	v_and_b32_e32 v47, 7, v47
	v_and_b32_e32 v46, 0xfc00, v46
	v_cndmask_b32_e64 v43, v43, v47, s[2:3]
	v_and_or_b32 v1, v1, s34, v46
	v_lshl_or_b32 v43, v43, 7, v1
.LBB242_323:                            ;   in Loop: Header=BB242_232 Depth=1
	s_or_b64 exec, exec, s[20:21]
.LBB242_324:                            ;   in Loop: Header=BB242_232 Depth=1
	s_or_b64 exec, exec, s[18:19]
.LBB242_325:                            ;   in Loop: Header=BB242_232 Depth=1
	s_or_b64 exec, exec, s[16:17]
	v_cmp_lt_u64_e64 s[2:3], s[6:7], v[9:10]
	v_mov_b32_e32 v9, 0
	s_and_saveexec_b64 s[16:17], s[2:3]
	s_cbranch_execz .LBB242_331
; %bb.326:                              ;   in Loop: Header=BB242_232 Depth=1
	v_lshrrev_b32_e32 v1, 24, v10
	v_cmp_ne_u32_e64 s[2:3], s30, v1
	v_bfrev_b32_e32 v9, 1
	s_and_saveexec_b64 s[18:19], s[2:3]
	s_cbranch_execz .LBB242_330
; %bb.327:                              ;   in Loop: Header=BB242_232 Depth=1
	v_and_b32_e32 v10, 0x7f, v1
	v_cmp_ne_u32_e64 s[2:3], s31, v10
	v_mov_b32_e32 v9, 0x7c010000
	s_and_saveexec_b64 s[20:21], s[2:3]
	s_cbranch_execz .LBB242_329
; %bb.328:                              ;   in Loop: Header=BB242_232 Depth=1
	v_and_b32_e32 v9, 7, v1
	v_ffbh_u32_e32 v46, v9
	v_min_u32_e32 v49, 32, v46
	v_subrev_u32_e32 v46, 28, v49
	v_lshlrev_b64 v[46:47], v46, v[1:2]
	v_lshrrev_b32_e32 v48, 3, v10
	v_sub_u32_e32 v47, 29, v49
	v_cmp_gt_u32_e64 s[2:3], 8, v10
	v_cndmask_b32_e64 v10, v48, v47, s[2:3]
	v_lshlrev_b32_e32 v1, 8, v1
	v_lshl_add_u32 v10, v10, 10, v23
	v_and_b32_e32 v46, 7, v46
	v_and_or_b32 v1, v1, s34, v10
	v_cndmask_b32_e64 v9, v9, v46, s[2:3]
	v_lshlrev_b32_e32 v1, 16, v1
	v_lshl_or_b32 v9, v9, 23, v1
.LBB242_329:                            ;   in Loop: Header=BB242_232 Depth=1
	s_or_b64 exec, exec, s[20:21]
.LBB242_330:                            ;   in Loop: Header=BB242_232 Depth=1
	s_or_b64 exec, exec, s[18:19]
.LBB242_331:                            ;   in Loop: Header=BB242_232 Depth=1
	s_or_b64 exec, exec, s[16:17]
	s_waitcnt vmcnt(0)
	v_fma_mixlo_f16 v10, v38, v41, 0 op_sel:[0,1,0] op_sel_hi:[0,1,0]
	v_or_b32_e32 v1, v41, v42
	v_lshlrev_b32_e32 v41, 16, v10
	v_or_b32_e32 v10, v39, v40
	v_fma_mixlo_f16 v39, v38, v39, 0 op_sel:[0,1,0] op_sel_hi:[0,1,0]
	v_lshlrev_b32_e32 v46, 16, v39
	v_or_b32_e32 v39, v45, v44
	v_or_b32_e32 v43, v9, v43
	v_fma_mixlo_f16 v1, v38, v1, 0 op_sel_hi:[0,1,0]
	v_fma_mixlo_f16 v10, v38, v10, 0 op_sel_hi:[0,1,0]
	v_fma_mixlo_f16 v40, v38, v45, 0 op_sel:[0,1,0] op_sel_hi:[0,1,0]
	v_fma_mixlo_f16 v39, v38, v39, 0 op_sel_hi:[0,1,0]
	v_fma_mixlo_f16 v43, v38, v43, 0 op_sel_hi:[0,1,0]
	v_fma_mixlo_f16 v9, v38, v9, 0 op_sel:[0,1,0] op_sel_hi:[0,1,0]
	v_and_b32_e32 v42, 0xffff, v1
	v_and_b32_e32 v47, 0xffff, v10
	v_lshlrev_b32_e32 v40, 16, v40
	v_and_b32_e32 v44, 0xffff, v39
	v_lshlrev_b32_e32 v9, 16, v9
	v_and_b32_e32 v38, 0xffff, v43
	v_or_b32_e32 v1, v41, v42
	v_or_b32_e32 v10, v46, v47
	;; [unrolled: 1-line block ×4, first 2 shown]
	s_and_saveexec_b64 s[16:17], vcc
	s_cbranch_execz .LBB242_333
; %bb.332:                              ;   in Loop: Header=BB242_232 Depth=1
	v_cmp_gt_i32_e64 s[2:3], s25, v24
	v_cndmask_b32_e64 v1, 0, v47, s[2:3]
	v_cmp_gt_i32_e64 s[2:3], s25, v31
	v_cndmask_b32_e64 v10, 0, v46, s[2:3]
	v_cmp_gt_i32_e64 s[2:3], s25, v30
	v_or_b32_e32 v10, v10, v1
	v_cndmask_b32_e64 v1, 0, v42, s[2:3]
	v_cmp_gt_i32_e64 s[2:3], s25, v29
	v_cndmask_b32_e64 v39, 0, v41, s[2:3]
	v_cmp_gt_i32_e64 s[2:3], s25, v28
	v_or_b32_e32 v1, v39, v1
	v_cndmask_b32_e64 v39, 0, v44, s[2:3]
	v_cmp_gt_i32_e64 s[2:3], s25, v27
	v_cndmask_b32_e64 v40, 0, v40, s[2:3]
	v_cmp_gt_i32_e64 s[2:3], s25, v26
	;; [unrolled: 2-line block ×3, first 2 shown]
	v_cndmask_b32_e64 v9, 0, v9, s[2:3]
	v_or_b32_e32 v39, v40, v39
	v_or_b32_e32 v43, v9, v38
.LBB242_333:                            ;   in Loop: Header=BB242_232 Depth=1
	s_or_b64 exec, exec, s[16:17]
	;;#ASMSTART
	v_pk_mul_f16 v9, v35, v10;

	;;#ASMEND
	;;#ASMSTART
	v_pk_mul_f16 v1, v34, v1;

	;;#ASMEND
	;; [unrolled: 4-line block ×4, first 2 shown]
	;;#ASMSTART
	v_pk_add_f16 v1, v9, v1;

	;;#ASMEND
	;;#ASMSTART
	v_pk_add_f16 v1, v1, v10;

	;;#ASMEND
	;; [unrolled: 4-line block ×3, first 2 shown]
	v_lshrrev_b32_e32 v9, 16, v1
	v_and_b32_e32 v1, 0xffff, v1
	;;#ASMSTART
	v_cvt_f32_f16 v38, v1;
	;;#ASMEND
	;;#ASMSTART
	v_cvt_f32_f16 v39, v9;
	;;#ASMEND
	global_load_dwordx2 v[9:10], v[7:8], off offset:1024
	v_mov_b32_e32 v41, 0
	global_load_dword v40, v41, s[14:15]
	v_mov_b32_e32 v42, 0
	s_waitcnt vmcnt(1)
	v_cmp_ne_u16_sdwa s[2:3], v9, v2 src0_sel:BYTE_0 src1_sel:DWORD
	s_and_saveexec_b64 s[16:17], s[2:3]
	s_cbranch_execz .LBB242_339
; %bb.334:                              ;   in Loop: Header=BB242_232 Depth=1
	v_cmp_ne_u16_sdwa s[2:3], v9, s30 src0_sel:BYTE_0 src1_sel:DWORD
	v_mov_b32_e32 v42, 0x8000
	s_and_saveexec_b64 s[18:19], s[2:3]
	s_cbranch_execz .LBB242_338
; %bb.335:                              ;   in Loop: Header=BB242_232 Depth=1
	v_and_b32_e32 v1, 0x7f, v9
	v_cmp_ne_u32_e64 s[2:3], s31, v1
	v_mov_b32_e32 v42, 0x7c01
	s_and_saveexec_b64 s[20:21], s[2:3]
	s_cbranch_execz .LBB242_337
; %bb.336:                              ;   in Loop: Header=BB242_232 Depth=1
	v_and_b32_e32 v44, 7, v9
	v_ffbh_u32_e32 v42, v44
	v_min_u32_e32 v46, 32, v42
	v_subrev_u32_e32 v42, 28, v46
	v_lshlrev_b64 v[42:43], v42, v[9:10]
	v_lshrrev_b32_e32 v45, 3, v1
	v_sub_u32_e32 v43, 29, v46
	v_cmp_gt_u32_e64 s[2:3], 8, v1
	v_cndmask_b32_e64 v1, v45, v43, s[2:3]
	v_lshl_add_u32 v1, v1, 10, v23
	v_lshlrev_b32_e32 v43, 8, v9
	v_and_b32_e32 v42, 7, v42
	v_and_b32_e32 v1, 0xfc00, v1
	v_cndmask_b32_e64 v42, v44, v42, s[2:3]
	v_and_or_b32 v1, v43, s34, v1
	v_lshl_or_b32 v42, v42, 7, v1
.LBB242_337:                            ;   in Loop: Header=BB242_232 Depth=1
	s_or_b64 exec, exec, s[20:21]
.LBB242_338:                            ;   in Loop: Header=BB242_232 Depth=1
	s_or_b64 exec, exec, s[18:19]
.LBB242_339:                            ;   in Loop: Header=BB242_232 Depth=1
	s_or_b64 exec, exec, s[16:17]
	v_lshrrev_b16_e32 v1, 8, v9
	v_cmp_ne_u16_e64 s[2:3], 0, v1
	s_and_saveexec_b64 s[16:17], s[2:3]
	s_cbranch_execz .LBB242_345
; %bb.340:                              ;   in Loop: Header=BB242_232 Depth=1
	v_cmp_ne_u16_e64 s[2:3], s30, v1
	v_bfrev_b32_e32 v41, 1
	s_and_saveexec_b64 s[18:19], s[2:3]
	s_cbranch_execz .LBB242_344
; %bb.341:                              ;   in Loop: Header=BB242_232 Depth=1
	v_and_b32_e32 v43, 0x7f, v1
	v_cmp_ne_u32_e64 s[2:3], s31, v43
	v_mov_b32_e32 v41, 0x7c010000
	s_and_saveexec_b64 s[20:21], s[2:3]
	s_cbranch_execz .LBB242_343
; %bb.342:                              ;   in Loop: Header=BB242_232 Depth=1
	v_and_b32_e32 v41, 7, v1
	v_ffbh_u32_e32 v44, v41
	v_min_u32_e32 v47, 32, v44
	v_subrev_u32_e32 v44, 28, v47
	v_lshlrev_b64 v[44:45], v44, v[1:2]
	v_lshrrev_b32_e32 v46, 3, v43
	v_sub_u32_e32 v45, 29, v47
	v_cmp_gt_u32_e64 s[2:3], 8, v43
	v_cndmask_b32_e64 v43, v46, v45, s[2:3]
	v_lshlrev_b32_e32 v1, 8, v1
	v_lshl_add_u32 v43, v43, 10, v23
	v_and_b32_e32 v44, 7, v44
	v_and_or_b32 v1, v1, s34, v43
	v_cndmask_b32_e64 v41, v41, v44, s[2:3]
	v_lshlrev_b32_e32 v1, 16, v1
	v_lshl_or_b32 v41, v41, 23, v1
.LBB242_343:                            ;   in Loop: Header=BB242_232 Depth=1
	s_or_b64 exec, exec, s[20:21]
.LBB242_344:                            ;   in Loop: Header=BB242_232 Depth=1
	s_or_b64 exec, exec, s[18:19]
.LBB242_345:                            ;   in Loop: Header=BB242_232 Depth=1
	s_or_b64 exec, exec, s[16:17]
	v_lshrrev_b32_e32 v1, 16, v9
	v_cmp_ne_u16_sdwa s[2:3], v1, v2 src0_sel:BYTE_0 src1_sel:DWORD
	v_mov_b32_e32 v43, 0
	v_mov_b32_e32 v44, 0
	s_and_saveexec_b64 s[16:17], s[2:3]
	s_cbranch_execz .LBB242_351
; %bb.346:                              ;   in Loop: Header=BB242_232 Depth=1
	v_cmp_ne_u16_sdwa s[2:3], v1, s30 src0_sel:BYTE_0 src1_sel:DWORD
	v_mov_b32_e32 v44, 0x8000
	s_and_saveexec_b64 s[18:19], s[2:3]
	s_cbranch_execz .LBB242_350
; %bb.347:                              ;   in Loop: Header=BB242_232 Depth=1
	v_bfe_u32 v45, v9, 16, 7
	v_cmp_ne_u32_e64 s[2:3], s31, v45
	v_mov_b32_e32 v44, 0x7c01
	s_and_saveexec_b64 s[20:21], s[2:3]
	s_cbranch_execz .LBB242_349
; %bb.348:                              ;   in Loop: Header=BB242_232 Depth=1
	v_and_b32_e32 v44, 7, v1
	v_ffbh_u32_e32 v46, v44
	v_min_u32_e32 v49, 32, v46
	v_subrev_u32_e32 v46, 28, v49
	v_lshlrev_b64 v[46:47], v46, v[1:2]
	v_lshrrev_b32_e32 v48, 3, v45
	v_sub_u32_e32 v47, 29, v49
	v_cmp_gt_u32_e64 s[2:3], 8, v45
	v_cndmask_b32_e64 v45, v48, v47, s[2:3]
	v_lshl_add_u32 v45, v45, 10, v23
	v_lshlrev_b32_e32 v1, 8, v1
	v_and_b32_e32 v46, 7, v46
	v_and_b32_e32 v45, 0xfc00, v45
	v_cndmask_b32_e64 v44, v44, v46, s[2:3]
	v_and_or_b32 v1, v1, s34, v45
	v_lshl_or_b32 v44, v44, 7, v1
.LBB242_349:                            ;   in Loop: Header=BB242_232 Depth=1
	s_or_b64 exec, exec, s[20:21]
.LBB242_350:                            ;   in Loop: Header=BB242_232 Depth=1
	s_or_b64 exec, exec, s[18:19]
.LBB242_351:                            ;   in Loop: Header=BB242_232 Depth=1
	s_or_b64 exec, exec, s[16:17]
	v_cmp_lt_u32_e64 s[2:3], s7, v9
	s_and_saveexec_b64 s[16:17], s[2:3]
	s_cbranch_execz .LBB242_357
; %bb.352:                              ;   in Loop: Header=BB242_232 Depth=1
	v_lshrrev_b32_e32 v1, 24, v9
	v_cmp_ne_u32_e64 s[2:3], s30, v1
	v_bfrev_b32_e32 v43, 1
	s_and_saveexec_b64 s[18:19], s[2:3]
	s_cbranch_execz .LBB242_356
; %bb.353:                              ;   in Loop: Header=BB242_232 Depth=1
	v_and_b32_e32 v45, 0x7f, v1
	v_cmp_ne_u32_e64 s[2:3], s31, v45
	v_mov_b32_e32 v43, 0x7c010000
	s_and_saveexec_b64 s[20:21], s[2:3]
	s_cbranch_execz .LBB242_355
; %bb.354:                              ;   in Loop: Header=BB242_232 Depth=1
	v_and_b32_e32 v43, 7, v1
	v_ffbh_u32_e32 v46, v43
	v_min_u32_e32 v49, 32, v46
	v_subrev_u32_e32 v46, 28, v49
	v_lshlrev_b64 v[46:47], v46, v[1:2]
	v_lshrrev_b32_e32 v48, 3, v45
	v_sub_u32_e32 v47, 29, v49
	v_cmp_gt_u32_e64 s[2:3], 8, v45
	v_cndmask_b32_e64 v45, v48, v47, s[2:3]
	v_lshlrev_b32_e32 v1, 8, v1
	v_lshl_add_u32 v45, v45, 10, v23
	v_and_b32_e32 v46, 7, v46
	v_and_or_b32 v1, v1, s34, v45
	v_cndmask_b32_e64 v43, v43, v46, s[2:3]
	v_lshlrev_b32_e32 v1, 16, v1
	v_lshl_or_b32 v43, v43, 23, v1
.LBB242_355:                            ;   in Loop: Header=BB242_232 Depth=1
	s_or_b64 exec, exec, s[20:21]
.LBB242_356:                            ;   in Loop: Header=BB242_232 Depth=1
	s_or_b64 exec, exec, s[18:19]
.LBB242_357:                            ;   in Loop: Header=BB242_232 Depth=1
	s_or_b64 exec, exec, s[16:17]
	v_mov_b32_e32 v1, v10
	v_cmp_ne_u16_sdwa s[2:3], v10, v2 src0_sel:BYTE_0 src1_sel:DWORD
	v_mov_b32_e32 v45, 0
	v_mov_b32_e32 v46, 0
	s_and_saveexec_b64 s[16:17], s[2:3]
	s_cbranch_execz .LBB242_363
; %bb.358:                              ;   in Loop: Header=BB242_232 Depth=1
	v_cmp_ne_u16_sdwa s[2:3], v10, s30 src0_sel:BYTE_0 src1_sel:DWORD
	v_mov_b32_e32 v46, 0x8000
	s_and_saveexec_b64 s[18:19], s[2:3]
	s_cbranch_execz .LBB242_362
; %bb.359:                              ;   in Loop: Header=BB242_232 Depth=1
	v_and_b32_e32 v47, 0x7f, v10
	v_cmp_ne_u32_e64 s[2:3], s31, v47
	v_mov_b32_e32 v46, 0x7c01
	s_and_saveexec_b64 s[20:21], s[2:3]
	s_cbranch_execz .LBB242_361
; %bb.360:                              ;   in Loop: Header=BB242_232 Depth=1
	v_and_b32_e32 v46, 7, v10
	v_ffbh_u32_e32 v48, v46
	v_min_u32_e32 v51, 32, v48
	v_subrev_u32_e32 v48, 28, v51
	v_lshlrev_b64 v[48:49], v48, v[1:2]
	v_lshrrev_b32_e32 v50, 3, v47
	v_sub_u32_e32 v49, 29, v51
	v_cmp_gt_u32_e64 s[2:3], 8, v47
	v_cndmask_b32_e64 v47, v50, v49, s[2:3]
	v_lshl_add_u32 v47, v47, 10, v23
	v_lshlrev_b32_e32 v49, 8, v10
	v_and_b32_e32 v48, 7, v48
	v_and_b32_e32 v47, 0xfc00, v47
	v_cndmask_b32_e64 v46, v46, v48, s[2:3]
	v_and_or_b32 v47, v49, s34, v47
	v_lshl_or_b32 v46, v46, 7, v47
.LBB242_361:                            ;   in Loop: Header=BB242_232 Depth=1
	s_or_b64 exec, exec, s[20:21]
.LBB242_362:                            ;   in Loop: Header=BB242_232 Depth=1
	s_or_b64 exec, exec, s[18:19]
.LBB242_363:                            ;   in Loop: Header=BB242_232 Depth=1
	s_or_b64 exec, exec, s[16:17]
	v_lshrrev_b16_e32 v1, 8, v1
	v_cmp_ne_u16_e64 s[2:3], 0, v1
	v_mov_b32_e32 v47, 0
	s_and_saveexec_b64 s[16:17], s[2:3]
	s_cbranch_execz .LBB242_369
; %bb.364:                              ;   in Loop: Header=BB242_232 Depth=1
	v_cmp_ne_u16_e64 s[2:3], s30, v1
	v_bfrev_b32_e32 v47, 1
	s_and_saveexec_b64 s[18:19], s[2:3]
	s_cbranch_execz .LBB242_368
; %bb.365:                              ;   in Loop: Header=BB242_232 Depth=1
	v_and_b32_e32 v48, 0x7f, v1
	v_cmp_ne_u32_e64 s[2:3], s31, v48
	v_mov_b32_e32 v47, 0x7c010000
	s_and_saveexec_b64 s[20:21], s[2:3]
	s_cbranch_execz .LBB242_367
; %bb.366:                              ;   in Loop: Header=BB242_232 Depth=1
	v_and_b32_e32 v47, 7, v1
	v_ffbh_u32_e32 v49, v47
	v_min_u32_e32 v52, 32, v49
	v_subrev_u32_e32 v49, 28, v52
	v_lshlrev_b64 v[49:50], v49, v[1:2]
	v_lshrrev_b32_e32 v51, 3, v48
	v_sub_u32_e32 v50, 29, v52
	v_cmp_gt_u32_e64 s[2:3], 8, v48
	v_cndmask_b32_e64 v48, v51, v50, s[2:3]
	v_lshlrev_b32_e32 v1, 8, v1
	v_lshl_add_u32 v48, v48, 10, v23
	v_and_b32_e32 v49, 7, v49
	v_and_or_b32 v1, v1, s34, v48
	v_cndmask_b32_e64 v47, v47, v49, s[2:3]
	v_lshlrev_b32_e32 v1, 16, v1
	v_lshl_or_b32 v47, v47, 23, v1
.LBB242_367:                            ;   in Loop: Header=BB242_232 Depth=1
	s_or_b64 exec, exec, s[20:21]
.LBB242_368:                            ;   in Loop: Header=BB242_232 Depth=1
	s_or_b64 exec, exec, s[18:19]
.LBB242_369:                            ;   in Loop: Header=BB242_232 Depth=1
	s_or_b64 exec, exec, s[16:17]
	v_lshrrev_b32_e32 v1, 16, v10
	v_cmp_ne_u16_sdwa s[2:3], v1, v2 src0_sel:BYTE_0 src1_sel:DWORD
	s_and_saveexec_b64 s[16:17], s[2:3]
	s_cbranch_execz .LBB242_375
; %bb.370:                              ;   in Loop: Header=BB242_232 Depth=1
	v_cmp_ne_u16_sdwa s[2:3], v1, s30 src0_sel:BYTE_0 src1_sel:DWORD
	v_mov_b32_e32 v45, 0x8000
	s_and_saveexec_b64 s[18:19], s[2:3]
	s_cbranch_execz .LBB242_374
; %bb.371:                              ;   in Loop: Header=BB242_232 Depth=1
	v_bfe_u32 v48, v10, 16, 7
	v_cmp_ne_u32_e64 s[2:3], s31, v48
	v_mov_b32_e32 v45, 0x7c01
	s_and_saveexec_b64 s[20:21], s[2:3]
	s_cbranch_execz .LBB242_373
; %bb.372:                              ;   in Loop: Header=BB242_232 Depth=1
	v_and_b32_e32 v45, 7, v1
	v_ffbh_u32_e32 v49, v45
	v_min_u32_e32 v52, 32, v49
	v_subrev_u32_e32 v49, 28, v52
	v_lshlrev_b64 v[49:50], v49, v[1:2]
	v_lshrrev_b32_e32 v51, 3, v48
	v_sub_u32_e32 v50, 29, v52
	v_cmp_gt_u32_e64 s[2:3], 8, v48
	v_cndmask_b32_e64 v48, v51, v50, s[2:3]
	v_lshl_add_u32 v48, v48, 10, v23
	v_lshlrev_b32_e32 v1, 8, v1
	v_and_b32_e32 v49, 7, v49
	v_and_b32_e32 v48, 0xfc00, v48
	v_cndmask_b32_e64 v45, v45, v49, s[2:3]
	v_and_or_b32 v1, v1, s34, v48
	v_lshl_or_b32 v45, v45, 7, v1
.LBB242_373:                            ;   in Loop: Header=BB242_232 Depth=1
	s_or_b64 exec, exec, s[20:21]
.LBB242_374:                            ;   in Loop: Header=BB242_232 Depth=1
	s_or_b64 exec, exec, s[18:19]
.LBB242_375:                            ;   in Loop: Header=BB242_232 Depth=1
	s_or_b64 exec, exec, s[16:17]
	v_cmp_lt_u64_e64 s[2:3], s[6:7], v[9:10]
	v_mov_b32_e32 v9, 0
	s_and_saveexec_b64 s[16:17], s[2:3]
	s_cbranch_execz .LBB242_381
; %bb.376:                              ;   in Loop: Header=BB242_232 Depth=1
	v_lshrrev_b32_e32 v1, 24, v10
	v_cmp_ne_u32_e64 s[2:3], s30, v1
	v_bfrev_b32_e32 v9, 1
	s_and_saveexec_b64 s[18:19], s[2:3]
	s_cbranch_execz .LBB242_380
; %bb.377:                              ;   in Loop: Header=BB242_232 Depth=1
	v_and_b32_e32 v10, 0x7f, v1
	v_cmp_ne_u32_e64 s[2:3], s31, v10
	v_mov_b32_e32 v9, 0x7c010000
	s_and_saveexec_b64 s[20:21], s[2:3]
	s_cbranch_execz .LBB242_379
; %bb.378:                              ;   in Loop: Header=BB242_232 Depth=1
	v_and_b32_e32 v9, 7, v1
	v_ffbh_u32_e32 v48, v9
	v_min_u32_e32 v51, 32, v48
	v_subrev_u32_e32 v48, 28, v51
	v_lshlrev_b64 v[48:49], v48, v[1:2]
	v_lshrrev_b32_e32 v50, 3, v10
	v_sub_u32_e32 v49, 29, v51
	v_cmp_gt_u32_e64 s[2:3], 8, v10
	v_cndmask_b32_e64 v10, v50, v49, s[2:3]
	v_lshlrev_b32_e32 v1, 8, v1
	v_lshl_add_u32 v10, v10, 10, v23
	v_and_b32_e32 v48, 7, v48
	v_and_or_b32 v1, v1, s34, v10
	v_cndmask_b32_e64 v9, v9, v48, s[2:3]
	v_lshlrev_b32_e32 v1, 16, v1
	v_lshl_or_b32 v9, v9, 23, v1
.LBB242_379:                            ;   in Loop: Header=BB242_232 Depth=1
	s_or_b64 exec, exec, s[20:21]
.LBB242_380:                            ;   in Loop: Header=BB242_232 Depth=1
	s_or_b64 exec, exec, s[18:19]
.LBB242_381:                            ;   in Loop: Header=BB242_232 Depth=1
	s_or_b64 exec, exec, s[16:17]
	s_waitcnt vmcnt(0)
	v_fma_mixlo_f16 v10, v40, v43, 0 op_sel:[0,1,0] op_sel_hi:[0,1,0]
	v_or_b32_e32 v1, v43, v44
	v_lshlrev_b32_e32 v43, 16, v10
	v_or_b32_e32 v10, v41, v42
	v_fma_mixlo_f16 v41, v40, v41, 0 op_sel:[0,1,0] op_sel_hi:[0,1,0]
	v_lshlrev_b32_e32 v48, 16, v41
	v_or_b32_e32 v41, v47, v46
	v_or_b32_e32 v45, v9, v45
	v_fma_mixlo_f16 v1, v40, v1, 0 op_sel_hi:[0,1,0]
	v_fma_mixlo_f16 v10, v40, v10, 0 op_sel_hi:[0,1,0]
	v_fma_mixlo_f16 v42, v40, v47, 0 op_sel:[0,1,0] op_sel_hi:[0,1,0]
	v_fma_mixlo_f16 v41, v40, v41, 0 op_sel_hi:[0,1,0]
	v_fma_mixlo_f16 v45, v40, v45, 0 op_sel_hi:[0,1,0]
	v_fma_mixlo_f16 v9, v40, v9, 0 op_sel:[0,1,0] op_sel_hi:[0,1,0]
	v_and_b32_e32 v44, 0xffff, v1
	v_and_b32_e32 v49, 0xffff, v10
	v_lshlrev_b32_e32 v42, 16, v42
	v_and_b32_e32 v46, 0xffff, v41
	v_lshlrev_b32_e32 v9, 16, v9
	v_and_b32_e32 v40, 0xffff, v45
	v_or_b32_e32 v1, v43, v44
	v_or_b32_e32 v10, v48, v49
	;; [unrolled: 1-line block ×4, first 2 shown]
	s_and_saveexec_b64 s[16:17], vcc
	s_cbranch_execz .LBB242_383
; %bb.382:                              ;   in Loop: Header=BB242_232 Depth=1
	v_cmp_gt_i32_e64 s[2:3], s25, v24
	v_cndmask_b32_e64 v1, 0, v49, s[2:3]
	v_cmp_gt_i32_e64 s[2:3], s25, v31
	v_cndmask_b32_e64 v10, 0, v48, s[2:3]
	v_cmp_gt_i32_e64 s[2:3], s25, v30
	v_or_b32_e32 v10, v10, v1
	v_cndmask_b32_e64 v1, 0, v44, s[2:3]
	v_cmp_gt_i32_e64 s[2:3], s25, v29
	v_cndmask_b32_e64 v41, 0, v43, s[2:3]
	v_cmp_gt_i32_e64 s[2:3], s25, v28
	v_or_b32_e32 v1, v41, v1
	v_cndmask_b32_e64 v41, 0, v46, s[2:3]
	v_cmp_gt_i32_e64 s[2:3], s25, v27
	v_cndmask_b32_e64 v42, 0, v42, s[2:3]
	v_cmp_gt_i32_e64 s[2:3], s25, v26
	;; [unrolled: 2-line block ×3, first 2 shown]
	v_cndmask_b32_e64 v9, 0, v9, s[2:3]
	v_or_b32_e32 v41, v42, v41
	v_or_b32_e32 v45, v9, v40
.LBB242_383:                            ;   in Loop: Header=BB242_232 Depth=1
	s_or_b64 exec, exec, s[16:17]
	;;#ASMSTART
	v_pk_mul_f16 v9, v35, v10;

	;;#ASMEND
	;;#ASMSTART
	v_pk_mul_f16 v1, v34, v1;

	;;#ASMEND
	;; [unrolled: 4-line block ×4, first 2 shown]
	;;#ASMSTART
	v_pk_add_f16 v1, v9, v1;

	;;#ASMEND
	;;#ASMSTART
	v_pk_add_f16 v1, v1, v10;

	;;#ASMEND
	;;#ASMSTART
	v_pk_add_f16 v1, v1, v40;

	;;#ASMEND
	v_lshrrev_b32_e32 v10, 16, v1
	v_and_b32_e32 v1, 0xffff, v1
	;;#ASMSTART
	v_cvt_f32_f16 v9, v1;
	;;#ASMEND
	;;#ASMSTART
	v_cvt_f32_f16 v10, v10;
	;;#ASMEND
	global_load_dwordx2 v[7:8], v[7:8], off offset:1536
	v_mov_b32_e32 v41, 0
	global_load_dword v40, v41, s[14:15]
	v_mov_b32_e32 v42, 0
	s_waitcnt vmcnt(1)
	v_cmp_ne_u16_sdwa s[2:3], v7, v2 src0_sel:BYTE_0 src1_sel:DWORD
	s_and_saveexec_b64 s[16:17], s[2:3]
	s_cbranch_execz .LBB242_389
; %bb.384:                              ;   in Loop: Header=BB242_232 Depth=1
	v_cmp_ne_u16_sdwa s[2:3], v7, s30 src0_sel:BYTE_0 src1_sel:DWORD
	v_mov_b32_e32 v42, 0x8000
	s_and_saveexec_b64 s[18:19], s[2:3]
	s_cbranch_execz .LBB242_388
; %bb.385:                              ;   in Loop: Header=BB242_232 Depth=1
	v_and_b32_e32 v1, 0x7f, v7
	v_cmp_ne_u32_e64 s[2:3], s31, v1
	v_mov_b32_e32 v42, 0x7c01
	s_and_saveexec_b64 s[20:21], s[2:3]
	s_cbranch_execz .LBB242_387
; %bb.386:                              ;   in Loop: Header=BB242_232 Depth=1
	v_and_b32_e32 v44, 7, v7
	v_ffbh_u32_e32 v42, v44
	v_min_u32_e32 v46, 32, v42
	v_subrev_u32_e32 v42, 28, v46
	v_lshlrev_b64 v[42:43], v42, v[7:8]
	v_lshrrev_b32_e32 v45, 3, v1
	v_sub_u32_e32 v43, 29, v46
	v_cmp_gt_u32_e64 s[2:3], 8, v1
	v_cndmask_b32_e64 v1, v45, v43, s[2:3]
	v_lshl_add_u32 v1, v1, 10, v23
	v_lshlrev_b32_e32 v43, 8, v7
	v_and_b32_e32 v42, 7, v42
	v_and_b32_e32 v1, 0xfc00, v1
	v_cndmask_b32_e64 v42, v44, v42, s[2:3]
	v_and_or_b32 v1, v43, s34, v1
	v_lshl_or_b32 v42, v42, 7, v1
.LBB242_387:                            ;   in Loop: Header=BB242_232 Depth=1
	s_or_b64 exec, exec, s[20:21]
.LBB242_388:                            ;   in Loop: Header=BB242_232 Depth=1
	s_or_b64 exec, exec, s[18:19]
.LBB242_389:                            ;   in Loop: Header=BB242_232 Depth=1
	s_or_b64 exec, exec, s[16:17]
	v_lshrrev_b16_e32 v1, 8, v7
	v_cmp_ne_u16_e64 s[2:3], 0, v1
	s_and_saveexec_b64 s[16:17], s[2:3]
	s_cbranch_execz .LBB242_395
; %bb.390:                              ;   in Loop: Header=BB242_232 Depth=1
	v_cmp_ne_u16_e64 s[2:3], s30, v1
	v_bfrev_b32_e32 v41, 1
	s_and_saveexec_b64 s[18:19], s[2:3]
	s_cbranch_execz .LBB242_394
; %bb.391:                              ;   in Loop: Header=BB242_232 Depth=1
	v_and_b32_e32 v43, 0x7f, v1
	v_cmp_ne_u32_e64 s[2:3], s31, v43
	v_mov_b32_e32 v41, 0x7c010000
	s_and_saveexec_b64 s[20:21], s[2:3]
	s_cbranch_execz .LBB242_393
; %bb.392:                              ;   in Loop: Header=BB242_232 Depth=1
	v_and_b32_e32 v41, 7, v1
	v_ffbh_u32_e32 v44, v41
	v_min_u32_e32 v47, 32, v44
	v_subrev_u32_e32 v44, 28, v47
	v_lshlrev_b64 v[44:45], v44, v[1:2]
	v_lshrrev_b32_e32 v46, 3, v43
	v_sub_u32_e32 v45, 29, v47
	v_cmp_gt_u32_e64 s[2:3], 8, v43
	v_cndmask_b32_e64 v43, v46, v45, s[2:3]
	v_lshlrev_b32_e32 v1, 8, v1
	v_lshl_add_u32 v43, v43, 10, v23
	v_and_b32_e32 v44, 7, v44
	v_and_or_b32 v1, v1, s34, v43
	v_cndmask_b32_e64 v41, v41, v44, s[2:3]
	v_lshlrev_b32_e32 v1, 16, v1
	v_lshl_or_b32 v41, v41, 23, v1
.LBB242_393:                            ;   in Loop: Header=BB242_232 Depth=1
	s_or_b64 exec, exec, s[20:21]
.LBB242_394:                            ;   in Loop: Header=BB242_232 Depth=1
	s_or_b64 exec, exec, s[18:19]
.LBB242_395:                            ;   in Loop: Header=BB242_232 Depth=1
	s_or_b64 exec, exec, s[16:17]
	v_lshrrev_b32_e32 v1, 16, v7
	v_cmp_ne_u16_sdwa s[2:3], v1, v2 src0_sel:BYTE_0 src1_sel:DWORD
	v_mov_b32_e32 v43, 0
	v_mov_b32_e32 v44, 0
	s_and_saveexec_b64 s[16:17], s[2:3]
	s_cbranch_execz .LBB242_401
; %bb.396:                              ;   in Loop: Header=BB242_232 Depth=1
	v_cmp_ne_u16_sdwa s[2:3], v1, s30 src0_sel:BYTE_0 src1_sel:DWORD
	v_mov_b32_e32 v44, 0x8000
	s_and_saveexec_b64 s[18:19], s[2:3]
	s_cbranch_execz .LBB242_400
; %bb.397:                              ;   in Loop: Header=BB242_232 Depth=1
	v_bfe_u32 v45, v7, 16, 7
	v_cmp_ne_u32_e64 s[2:3], s31, v45
	v_mov_b32_e32 v44, 0x7c01
	s_and_saveexec_b64 s[20:21], s[2:3]
	s_cbranch_execz .LBB242_399
; %bb.398:                              ;   in Loop: Header=BB242_232 Depth=1
	v_and_b32_e32 v44, 7, v1
	v_ffbh_u32_e32 v46, v44
	v_min_u32_e32 v49, 32, v46
	v_subrev_u32_e32 v46, 28, v49
	v_lshlrev_b64 v[46:47], v46, v[1:2]
	v_lshrrev_b32_e32 v48, 3, v45
	v_sub_u32_e32 v47, 29, v49
	v_cmp_gt_u32_e64 s[2:3], 8, v45
	v_cndmask_b32_e64 v45, v48, v47, s[2:3]
	v_lshl_add_u32 v45, v45, 10, v23
	v_lshlrev_b32_e32 v1, 8, v1
	v_and_b32_e32 v46, 7, v46
	v_and_b32_e32 v45, 0xfc00, v45
	v_cndmask_b32_e64 v44, v44, v46, s[2:3]
	v_and_or_b32 v1, v1, s34, v45
	v_lshl_or_b32 v44, v44, 7, v1
.LBB242_399:                            ;   in Loop: Header=BB242_232 Depth=1
	s_or_b64 exec, exec, s[20:21]
.LBB242_400:                            ;   in Loop: Header=BB242_232 Depth=1
	s_or_b64 exec, exec, s[18:19]
.LBB242_401:                            ;   in Loop: Header=BB242_232 Depth=1
	s_or_b64 exec, exec, s[16:17]
	v_cmp_lt_u32_e64 s[2:3], s7, v7
	s_and_saveexec_b64 s[16:17], s[2:3]
	s_cbranch_execz .LBB242_407
; %bb.402:                              ;   in Loop: Header=BB242_232 Depth=1
	v_lshrrev_b32_e32 v1, 24, v7
	v_cmp_ne_u32_e64 s[2:3], s30, v1
	v_bfrev_b32_e32 v43, 1
	s_and_saveexec_b64 s[18:19], s[2:3]
	s_cbranch_execz .LBB242_406
; %bb.403:                              ;   in Loop: Header=BB242_232 Depth=1
	v_and_b32_e32 v45, 0x7f, v1
	v_cmp_ne_u32_e64 s[2:3], s31, v45
	v_mov_b32_e32 v43, 0x7c010000
	s_and_saveexec_b64 s[20:21], s[2:3]
	s_cbranch_execz .LBB242_405
; %bb.404:                              ;   in Loop: Header=BB242_232 Depth=1
	v_and_b32_e32 v43, 7, v1
	v_ffbh_u32_e32 v46, v43
	v_min_u32_e32 v49, 32, v46
	v_subrev_u32_e32 v46, 28, v49
	v_lshlrev_b64 v[46:47], v46, v[1:2]
	v_lshrrev_b32_e32 v48, 3, v45
	v_sub_u32_e32 v47, 29, v49
	v_cmp_gt_u32_e64 s[2:3], 8, v45
	v_cndmask_b32_e64 v45, v48, v47, s[2:3]
	v_lshlrev_b32_e32 v1, 8, v1
	v_lshl_add_u32 v45, v45, 10, v23
	v_and_b32_e32 v46, 7, v46
	v_and_or_b32 v1, v1, s34, v45
	v_cndmask_b32_e64 v43, v43, v46, s[2:3]
	v_lshlrev_b32_e32 v1, 16, v1
	v_lshl_or_b32 v43, v43, 23, v1
.LBB242_405:                            ;   in Loop: Header=BB242_232 Depth=1
	s_or_b64 exec, exec, s[20:21]
.LBB242_406:                            ;   in Loop: Header=BB242_232 Depth=1
	s_or_b64 exec, exec, s[18:19]
.LBB242_407:                            ;   in Loop: Header=BB242_232 Depth=1
	s_or_b64 exec, exec, s[16:17]
	v_mov_b32_e32 v1, v8
	v_cmp_ne_u16_sdwa s[2:3], v8, v2 src0_sel:BYTE_0 src1_sel:DWORD
	v_mov_b32_e32 v45, 0
	v_mov_b32_e32 v46, 0
	s_and_saveexec_b64 s[16:17], s[2:3]
	s_cbranch_execz .LBB242_413
; %bb.408:                              ;   in Loop: Header=BB242_232 Depth=1
	v_cmp_ne_u16_sdwa s[2:3], v8, s30 src0_sel:BYTE_0 src1_sel:DWORD
	v_mov_b32_e32 v46, 0x8000
	s_and_saveexec_b64 s[18:19], s[2:3]
	s_cbranch_execz .LBB242_412
; %bb.409:                              ;   in Loop: Header=BB242_232 Depth=1
	v_and_b32_e32 v47, 0x7f, v8
	v_cmp_ne_u32_e64 s[2:3], s31, v47
	v_mov_b32_e32 v46, 0x7c01
	s_and_saveexec_b64 s[20:21], s[2:3]
	s_cbranch_execz .LBB242_411
; %bb.410:                              ;   in Loop: Header=BB242_232 Depth=1
	v_and_b32_e32 v46, 7, v8
	v_ffbh_u32_e32 v48, v46
	v_min_u32_e32 v51, 32, v48
	v_subrev_u32_e32 v48, 28, v51
	v_lshlrev_b64 v[48:49], v48, v[1:2]
	v_lshrrev_b32_e32 v50, 3, v47
	v_sub_u32_e32 v49, 29, v51
	v_cmp_gt_u32_e64 s[2:3], 8, v47
	v_cndmask_b32_e64 v47, v50, v49, s[2:3]
	v_lshl_add_u32 v47, v47, 10, v23
	v_lshlrev_b32_e32 v49, 8, v8
	v_and_b32_e32 v48, 7, v48
	v_and_b32_e32 v47, 0xfc00, v47
	v_cndmask_b32_e64 v46, v46, v48, s[2:3]
	v_and_or_b32 v47, v49, s34, v47
	v_lshl_or_b32 v46, v46, 7, v47
.LBB242_411:                            ;   in Loop: Header=BB242_232 Depth=1
	s_or_b64 exec, exec, s[20:21]
.LBB242_412:                            ;   in Loop: Header=BB242_232 Depth=1
	s_or_b64 exec, exec, s[18:19]
.LBB242_413:                            ;   in Loop: Header=BB242_232 Depth=1
	s_or_b64 exec, exec, s[16:17]
	v_lshrrev_b16_e32 v1, 8, v1
	v_cmp_ne_u16_e64 s[2:3], 0, v1
	v_mov_b32_e32 v47, 0
	s_and_saveexec_b64 s[16:17], s[2:3]
	s_cbranch_execz .LBB242_419
; %bb.414:                              ;   in Loop: Header=BB242_232 Depth=1
	v_cmp_ne_u16_e64 s[2:3], s30, v1
	v_bfrev_b32_e32 v47, 1
	s_and_saveexec_b64 s[18:19], s[2:3]
	s_cbranch_execz .LBB242_418
; %bb.415:                              ;   in Loop: Header=BB242_232 Depth=1
	v_and_b32_e32 v48, 0x7f, v1
	v_cmp_ne_u32_e64 s[2:3], s31, v48
	v_mov_b32_e32 v47, 0x7c010000
	s_and_saveexec_b64 s[20:21], s[2:3]
	s_cbranch_execz .LBB242_417
; %bb.416:                              ;   in Loop: Header=BB242_232 Depth=1
	v_and_b32_e32 v47, 7, v1
	v_ffbh_u32_e32 v49, v47
	v_min_u32_e32 v52, 32, v49
	v_subrev_u32_e32 v49, 28, v52
	v_lshlrev_b64 v[49:50], v49, v[1:2]
	v_lshrrev_b32_e32 v51, 3, v48
	v_sub_u32_e32 v50, 29, v52
	v_cmp_gt_u32_e64 s[2:3], 8, v48
	v_cndmask_b32_e64 v48, v51, v50, s[2:3]
	v_lshlrev_b32_e32 v1, 8, v1
	v_lshl_add_u32 v48, v48, 10, v23
	v_and_b32_e32 v49, 7, v49
	v_and_or_b32 v1, v1, s34, v48
	v_cndmask_b32_e64 v47, v47, v49, s[2:3]
	v_lshlrev_b32_e32 v1, 16, v1
	v_lshl_or_b32 v47, v47, 23, v1
.LBB242_417:                            ;   in Loop: Header=BB242_232 Depth=1
	s_or_b64 exec, exec, s[20:21]
.LBB242_418:                            ;   in Loop: Header=BB242_232 Depth=1
	s_or_b64 exec, exec, s[18:19]
.LBB242_419:                            ;   in Loop: Header=BB242_232 Depth=1
	s_or_b64 exec, exec, s[16:17]
	v_lshrrev_b32_e32 v1, 16, v8
	v_cmp_ne_u16_sdwa s[2:3], v1, v2 src0_sel:BYTE_0 src1_sel:DWORD
	s_and_saveexec_b64 s[16:17], s[2:3]
	s_cbranch_execz .LBB242_425
; %bb.420:                              ;   in Loop: Header=BB242_232 Depth=1
	v_cmp_ne_u16_sdwa s[2:3], v1, s30 src0_sel:BYTE_0 src1_sel:DWORD
	v_mov_b32_e32 v45, 0x8000
	s_and_saveexec_b64 s[18:19], s[2:3]
	s_cbranch_execz .LBB242_424
; %bb.421:                              ;   in Loop: Header=BB242_232 Depth=1
	v_bfe_u32 v48, v8, 16, 7
	v_cmp_ne_u32_e64 s[2:3], s31, v48
	v_mov_b32_e32 v45, 0x7c01
	s_and_saveexec_b64 s[20:21], s[2:3]
	s_cbranch_execz .LBB242_423
; %bb.422:                              ;   in Loop: Header=BB242_232 Depth=1
	v_and_b32_e32 v45, 7, v1
	v_ffbh_u32_e32 v49, v45
	v_min_u32_e32 v52, 32, v49
	v_subrev_u32_e32 v49, 28, v52
	v_lshlrev_b64 v[49:50], v49, v[1:2]
	v_lshrrev_b32_e32 v51, 3, v48
	v_sub_u32_e32 v50, 29, v52
	v_cmp_gt_u32_e64 s[2:3], 8, v48
	v_cndmask_b32_e64 v48, v51, v50, s[2:3]
	v_lshl_add_u32 v48, v48, 10, v23
	v_lshlrev_b32_e32 v1, 8, v1
	v_and_b32_e32 v49, 7, v49
	v_and_b32_e32 v48, 0xfc00, v48
	v_cndmask_b32_e64 v45, v45, v49, s[2:3]
	v_and_or_b32 v1, v1, s34, v48
	v_lshl_or_b32 v45, v45, 7, v1
.LBB242_423:                            ;   in Loop: Header=BB242_232 Depth=1
	s_or_b64 exec, exec, s[20:21]
.LBB242_424:                            ;   in Loop: Header=BB242_232 Depth=1
	s_or_b64 exec, exec, s[18:19]
.LBB242_425:                            ;   in Loop: Header=BB242_232 Depth=1
	s_or_b64 exec, exec, s[16:17]
	v_cmp_lt_u64_e64 s[2:3], s[6:7], v[7:8]
	v_mov_b32_e32 v48, 0
	s_and_saveexec_b64 s[16:17], s[2:3]
	s_cbranch_execz .LBB242_431
; %bb.426:                              ;   in Loop: Header=BB242_232 Depth=1
	v_lshrrev_b32_e32 v1, 24, v8
	v_cmp_ne_u32_e64 s[2:3], s30, v1
	v_bfrev_b32_e32 v48, 1
	s_and_saveexec_b64 s[18:19], s[2:3]
	s_cbranch_execz .LBB242_430
; %bb.427:                              ;   in Loop: Header=BB242_232 Depth=1
	v_and_b32_e32 v7, 0x7f, v1
	v_cmp_ne_u32_e64 s[2:3], s31, v7
	v_mov_b32_e32 v48, 0x7c010000
	s_and_saveexec_b64 s[20:21], s[2:3]
	s_cbranch_execz .LBB242_429
; %bb.428:                              ;   in Loop: Header=BB242_232 Depth=1
	v_and_b32_e32 v8, 7, v1
	v_ffbh_u32_e32 v48, v8
	v_min_u32_e32 v51, 32, v48
	v_subrev_u32_e32 v48, 28, v51
	v_lshlrev_b64 v[48:49], v48, v[1:2]
	v_lshrrev_b32_e32 v50, 3, v7
	v_sub_u32_e32 v49, 29, v51
	v_cmp_gt_u32_e64 s[2:3], 8, v7
	v_cndmask_b32_e64 v7, v50, v49, s[2:3]
	v_lshlrev_b32_e32 v1, 8, v1
	v_lshl_add_u32 v7, v7, 10, v23
	v_and_b32_e32 v48, 7, v48
	v_and_or_b32 v1, v1, s34, v7
	v_cndmask_b32_e64 v8, v8, v48, s[2:3]
	v_lshlrev_b32_e32 v1, 16, v1
	v_lshl_or_b32 v48, v8, 23, v1
.LBB242_429:                            ;   in Loop: Header=BB242_232 Depth=1
	s_or_b64 exec, exec, s[20:21]
.LBB242_430:                            ;   in Loop: Header=BB242_232 Depth=1
	s_or_b64 exec, exec, s[18:19]
.LBB242_431:                            ;   in Loop: Header=BB242_232 Depth=1
	s_or_b64 exec, exec, s[16:17]
	s_waitcnt vmcnt(0)
	v_fma_mixlo_f16 v7, v40, v43, 0 op_sel:[0,1,0] op_sel_hi:[0,1,0]
	v_fma_mixlo_f16 v8, v40, v41, 0 op_sel:[0,1,0] op_sel_hi:[0,1,0]
	v_or_b32_e32 v1, v43, v44
	v_lshlrev_b32_e32 v43, 16, v7
	v_or_b32_e32 v7, v41, v42
	v_lshlrev_b32_e32 v49, 16, v8
	v_or_b32_e32 v8, v47, v46
	v_or_b32_e32 v42, v48, v45
	v_fma_mixlo_f16 v1, v40, v1, 0 op_sel_hi:[0,1,0]
	v_fma_mixlo_f16 v7, v40, v7, 0 op_sel_hi:[0,1,0]
	v_fma_mixlo_f16 v41, v40, v47, 0 op_sel:[0,1,0] op_sel_hi:[0,1,0]
	v_fma_mixlo_f16 v8, v40, v8, 0 op_sel_hi:[0,1,0]
	v_fma_mixlo_f16 v45, v40, v42, 0 op_sel_hi:[0,1,0]
	v_fma_mixlo_f16 v40, v40, v48, 0 op_sel:[0,1,0] op_sel_hi:[0,1,0]
	v_and_b32_e32 v44, 0xffff, v1
	v_and_b32_e32 v50, 0xffff, v7
	v_lshlrev_b32_e32 v41, 16, v41
	v_and_b32_e32 v46, 0xffff, v8
	v_lshlrev_b32_e32 v42, 16, v40
	v_and_b32_e32 v45, 0xffff, v45
	v_or_b32_e32 v1, v43, v44
	v_or_b32_e32 v7, v49, v50
	;; [unrolled: 1-line block ×4, first 2 shown]
	s_and_saveexec_b64 s[2:3], vcc
	s_cbranch_execz .LBB242_230
; %bb.432:                              ;   in Loop: Header=BB242_232 Depth=1
	v_cmp_gt_i32_e32 vcc, s25, v24
	v_cndmask_b32_e32 v1, 0, v50, vcc
	v_cmp_gt_i32_e32 vcc, s25, v31
	v_cndmask_b32_e32 v7, 0, v49, vcc
	v_cmp_gt_i32_e32 vcc, s25, v30
	v_or_b32_e32 v7, v7, v1
	v_cndmask_b32_e32 v1, 0, v44, vcc
	v_cmp_gt_i32_e32 vcc, s25, v29
	v_cndmask_b32_e32 v8, 0, v43, vcc
	v_cmp_gt_i32_e32 vcc, s25, v28
	v_or_b32_e32 v1, v8, v1
	;; [unrolled: 5-line block ×3, first 2 shown]
	v_cndmask_b32_e32 v24, 0, v45, vcc
	v_cmp_gt_i32_e32 vcc, s25, v25
	v_cndmask_b32_e32 v25, 0, v42, vcc
	v_or_b32_e32 v40, v25, v24
	s_branch .LBB242_230
.LBB242_433:
	s_or_b64 exec, exec, s[10:11]
.LBB242_434:
	s_or_b64 exec, exec, s[4:5]
	ds_bpermute_b32 v2, v14, v20
	ds_bpermute_b32 v5, v14, v18
	;; [unrolled: 1-line block ×4, first 2 shown]
	s_waitcnt lgkmcnt(0)
	v_add_f32_e32 v3, v20, v2
	v_add_f32_e32 v2, v18, v5
	v_and_b32_e32 v5, 0x3c1, v0
	v_add_f32_e32 v4, v19, v1
	v_add_f32_e32 v1, v17, v6
	v_cmp_eq_u32_e32 vcc, 64, v5
	s_barrier
	s_and_saveexec_b64 s[2:3], vcc
	s_cbranch_execz .LBB242_436
; %bb.435:
	v_mov_b32_e32 v6, 0x110
	v_lshl_add_u32 v6, v13, 1, v6
	ds_write2_b32 v6, v4, v3 offset1:32
	ds_write2_b32 v6, v2, v1 offset0:64 offset1:96
.LBB242_436:
	s_or_b64 exec, exec, s[2:3]
	v_lshrrev_b32_e32 v0, 1, v0
	s_waitcnt lgkmcnt(0)
	s_barrier
	s_and_saveexec_b64 s[2:3], s[0:1]
	s_cbranch_execz .LBB242_443
; %bb.437:
	v_mov_b32_e32 v6, 0x110
	v_cmp_eq_u32_e32 vcc, 0, v15
	v_lshl_add_u32 v6, v0, 2, v6
	s_and_saveexec_b64 s[0:1], vcc
	s_cbranch_execnz .LBB242_446
; %bb.438:
	s_or_b64 exec, exec, s[0:1]
	s_and_saveexec_b64 s[0:1], vcc
	s_cbranch_execnz .LBB242_447
.LBB242_439:
	s_or_b64 exec, exec, s[0:1]
	s_and_saveexec_b64 s[0:1], vcc
	s_cbranch_execnz .LBB242_448
.LBB242_440:
	s_or_b64 exec, exec, s[0:1]
	s_and_saveexec_b64 s[0:1], vcc
	s_cbranch_execz .LBB242_442
.LBB242_441:
	ds_read_b32 v6, v6 offset:384
	s_waitcnt lgkmcnt(0)
	v_add_f32_e32 v1, v1, v6
.LBB242_442:
	s_or_b64 exec, exec, s[0:1]
.LBB242_443:
	s_or_b64 exec, exec, s[2:3]
	v_cmp_eq_u32_e32 vcc, 0, v5
	s_barrier
	s_and_saveexec_b64 s[0:1], vcc
	s_cbranch_execz .LBB242_445
; %bb.444:
	s_mul_i32 s0, s24, s23
	s_mul_i32 s0, s0, s9
	s_lshl_b32 s0, s0, 7
	s_ashr_i32 s1, s0, 31
	s_lshl_b64 s[0:1], s[0:1], 1
	s_add_u32 s2, s28, s0
	s_mul_i32 s0, s23, s26
	s_addc_u32 s3, s29, s1
	s_ashr_i32 s1, s0, 31
	s_lshl_b64 s[0:1], s[0:1], 1
	s_add_u32 s2, s2, s0
	s_addc_u32 s3, s3, s1
	s_lshl_b32 s0, s8, 7
	s_ashr_i32 s1, s0, 31
	s_lshl_b64 s[0:1], s[0:1], 1
	s_add_u32 s0, s2, s0
	s_addc_u32 s1, s3, s1
	v_lshlrev_b32_e32 v0, 1, v0
	;;#ASMSTART
	v_cvt_f16_f32 v4, v4;

	;;#ASMEND
	global_store_short v0, v4, s[0:1]
	;;#ASMSTART
	v_cvt_f16_f32 v3, v3;

	;;#ASMEND
	global_store_short v0, v3, s[0:1] offset:64
	;;#ASMSTART
	v_cvt_f16_f32 v2, v2;

	;;#ASMEND
	global_store_short v0, v2, s[0:1] offset:128
	;; [unrolled: 5-line block ×3, first 2 shown]
.LBB242_445:
	s_endpgm
.LBB242_446:
	ds_read_b32 v7, v6
	s_waitcnt lgkmcnt(0)
	v_add_f32_e32 v4, v4, v7
	s_or_b64 exec, exec, s[0:1]
	s_and_saveexec_b64 s[0:1], vcc
	s_cbranch_execz .LBB242_439
.LBB242_447:
	ds_read_b32 v7, v6 offset:128
	s_waitcnt lgkmcnt(0)
	v_add_f32_e32 v3, v3, v7
	s_or_b64 exec, exec, s[0:1]
	s_and_saveexec_b64 s[0:1], vcc
	s_cbranch_execz .LBB242_440
.LBB242_448:
	ds_read_b32 v7, v6 offset:256
	s_waitcnt lgkmcnt(0)
	v_add_f32_e32 v2, v2, v7
	s_or_b64 exec, exec, s[0:1]
	s_and_saveexec_b64 s[0:1], vcc
	s_cbranch_execnz .LBB242_441
	s_branch .LBB242_442
	.section	.rodata,"a",@progbits
	.p2align	6, 0x0
	.amdhsa_kernel _ZN4vllm25paged_attention_v1_kernelIthLi128ELi16ELi128ELNS_18Fp8KVCacheDataTypeE1ELb1EEEvPT_PKS2_PKT0_S8_ifPKiSA_iPKfiiiSC_SC_iiiii
		.amdhsa_group_segment_fixed_size 272
		.amdhsa_private_segment_fixed_size 0
		.amdhsa_kernarg_size 384
		.amdhsa_user_sgpr_count 6
		.amdhsa_user_sgpr_private_segment_buffer 1
		.amdhsa_user_sgpr_dispatch_ptr 0
		.amdhsa_user_sgpr_queue_ptr 0
		.amdhsa_user_sgpr_kernarg_segment_ptr 1
		.amdhsa_user_sgpr_dispatch_id 0
		.amdhsa_user_sgpr_flat_scratch_init 0
		.amdhsa_user_sgpr_private_segment_size 0
		.amdhsa_uses_dynamic_stack 0
		.amdhsa_system_sgpr_private_segment_wavefront_offset 0
		.amdhsa_system_sgpr_workgroup_id_x 1
		.amdhsa_system_sgpr_workgroup_id_y 1
		.amdhsa_system_sgpr_workgroup_id_z 1
		.amdhsa_system_sgpr_workgroup_info 0
		.amdhsa_system_vgpr_workitem_id 0
		.amdhsa_next_free_vgpr 60
		.amdhsa_next_free_sgpr 57
		.amdhsa_reserve_vcc 1
		.amdhsa_reserve_flat_scratch 0
		.amdhsa_float_round_mode_32 0
		.amdhsa_float_round_mode_16_64 0
		.amdhsa_float_denorm_mode_32 3
		.amdhsa_float_denorm_mode_16_64 3
		.amdhsa_dx10_clamp 1
		.amdhsa_ieee_mode 1
		.amdhsa_fp16_overflow 0
		.amdhsa_exception_fp_ieee_invalid_op 0
		.amdhsa_exception_fp_denorm_src 0
		.amdhsa_exception_fp_ieee_div_zero 0
		.amdhsa_exception_fp_ieee_overflow 0
		.amdhsa_exception_fp_ieee_underflow 0
		.amdhsa_exception_fp_ieee_inexact 0
		.amdhsa_exception_int_div_zero 0
	.end_amdhsa_kernel
	.section	.text._ZN4vllm25paged_attention_v1_kernelIthLi128ELi16ELi128ELNS_18Fp8KVCacheDataTypeE1ELb1EEEvPT_PKS2_PKT0_S8_ifPKiSA_iPKfiiiSC_SC_iiiii,"axG",@progbits,_ZN4vllm25paged_attention_v1_kernelIthLi128ELi16ELi128ELNS_18Fp8KVCacheDataTypeE1ELb1EEEvPT_PKS2_PKT0_S8_ifPKiSA_iPKfiiiSC_SC_iiiii,comdat
.Lfunc_end242:
	.size	_ZN4vllm25paged_attention_v1_kernelIthLi128ELi16ELi128ELNS_18Fp8KVCacheDataTypeE1ELb1EEEvPT_PKS2_PKT0_S8_ifPKiSA_iPKfiiiSC_SC_iiiii, .Lfunc_end242-_ZN4vllm25paged_attention_v1_kernelIthLi128ELi16ELi128ELNS_18Fp8KVCacheDataTypeE1ELb1EEEvPT_PKS2_PKT0_S8_ifPKiSA_iPKfiiiSC_SC_iiiii
                                        ; -- End function
	.set _ZN4vllm25paged_attention_v1_kernelIthLi128ELi16ELi128ELNS_18Fp8KVCacheDataTypeE1ELb1EEEvPT_PKS2_PKT0_S8_ifPKiSA_iPKfiiiSC_SC_iiiii.num_vgpr, 60
	.set _ZN4vllm25paged_attention_v1_kernelIthLi128ELi16ELi128ELNS_18Fp8KVCacheDataTypeE1ELb1EEEvPT_PKS2_PKT0_S8_ifPKiSA_iPKfiiiSC_SC_iiiii.num_agpr, 0
	.set _ZN4vllm25paged_attention_v1_kernelIthLi128ELi16ELi128ELNS_18Fp8KVCacheDataTypeE1ELb1EEEvPT_PKS2_PKT0_S8_ifPKiSA_iPKfiiiSC_SC_iiiii.numbered_sgpr, 57
	.set _ZN4vllm25paged_attention_v1_kernelIthLi128ELi16ELi128ELNS_18Fp8KVCacheDataTypeE1ELb1EEEvPT_PKS2_PKT0_S8_ifPKiSA_iPKfiiiSC_SC_iiiii.num_named_barrier, 0
	.set _ZN4vllm25paged_attention_v1_kernelIthLi128ELi16ELi128ELNS_18Fp8KVCacheDataTypeE1ELb1EEEvPT_PKS2_PKT0_S8_ifPKiSA_iPKfiiiSC_SC_iiiii.private_seg_size, 0
	.set _ZN4vllm25paged_attention_v1_kernelIthLi128ELi16ELi128ELNS_18Fp8KVCacheDataTypeE1ELb1EEEvPT_PKS2_PKT0_S8_ifPKiSA_iPKfiiiSC_SC_iiiii.uses_vcc, 1
	.set _ZN4vllm25paged_attention_v1_kernelIthLi128ELi16ELi128ELNS_18Fp8KVCacheDataTypeE1ELb1EEEvPT_PKS2_PKT0_S8_ifPKiSA_iPKfiiiSC_SC_iiiii.uses_flat_scratch, 0
	.set _ZN4vllm25paged_attention_v1_kernelIthLi128ELi16ELi128ELNS_18Fp8KVCacheDataTypeE1ELb1EEEvPT_PKS2_PKT0_S8_ifPKiSA_iPKfiiiSC_SC_iiiii.has_dyn_sized_stack, 0
	.set _ZN4vllm25paged_attention_v1_kernelIthLi128ELi16ELi128ELNS_18Fp8KVCacheDataTypeE1ELb1EEEvPT_PKS2_PKT0_S8_ifPKiSA_iPKfiiiSC_SC_iiiii.has_recursion, 0
	.set _ZN4vllm25paged_attention_v1_kernelIthLi128ELi16ELi128ELNS_18Fp8KVCacheDataTypeE1ELb1EEEvPT_PKS2_PKT0_S8_ifPKiSA_iPKfiiiSC_SC_iiiii.has_indirect_call, 0
	.section	.AMDGPU.csdata,"",@progbits
; Kernel info:
; codeLenInByte = 18556
; TotalNumSgprs: 61
; NumVgprs: 60
; ScratchSize: 0
; MemoryBound: 0
; FloatMode: 240
; IeeeMode: 1
; LDSByteSize: 272 bytes/workgroup (compile time only)
; SGPRBlocks: 7
; VGPRBlocks: 14
; NumSGPRsForWavesPerEU: 61
; NumVGPRsForWavesPerEU: 60
; Occupancy: 4
; WaveLimiterHint : 1
; COMPUTE_PGM_RSRC2:SCRATCH_EN: 0
; COMPUTE_PGM_RSRC2:USER_SGPR: 6
; COMPUTE_PGM_RSRC2:TRAP_HANDLER: 0
; COMPUTE_PGM_RSRC2:TGID_X_EN: 1
; COMPUTE_PGM_RSRC2:TGID_Y_EN: 1
; COMPUTE_PGM_RSRC2:TGID_Z_EN: 1
; COMPUTE_PGM_RSRC2:TIDIG_COMP_CNT: 0
	.section	.text._ZN4vllm25paged_attention_v1_kernelIthLi192ELi16ELi128ELNS_18Fp8KVCacheDataTypeE1ELb1EEEvPT_PKS2_PKT0_S8_ifPKiSA_iPKfiiiSC_SC_iiiii,"axG",@progbits,_ZN4vllm25paged_attention_v1_kernelIthLi192ELi16ELi128ELNS_18Fp8KVCacheDataTypeE1ELb1EEEvPT_PKS2_PKT0_S8_ifPKiSA_iPKfiiiSC_SC_iiiii,comdat
	.protected	_ZN4vllm25paged_attention_v1_kernelIthLi192ELi16ELi128ELNS_18Fp8KVCacheDataTypeE1ELb1EEEvPT_PKS2_PKT0_S8_ifPKiSA_iPKfiiiSC_SC_iiiii ; -- Begin function _ZN4vllm25paged_attention_v1_kernelIthLi192ELi16ELi128ELNS_18Fp8KVCacheDataTypeE1ELb1EEEvPT_PKS2_PKT0_S8_ifPKiSA_iPKfiiiSC_SC_iiiii
	.globl	_ZN4vllm25paged_attention_v1_kernelIthLi192ELi16ELi128ELNS_18Fp8KVCacheDataTypeE1ELb1EEEvPT_PKS2_PKT0_S8_ifPKiSA_iPKfiiiSC_SC_iiiii
	.p2align	8
	.type	_ZN4vllm25paged_attention_v1_kernelIthLi192ELi16ELi128ELNS_18Fp8KVCacheDataTypeE1ELb1EEEvPT_PKS2_PKT0_S8_ifPKiSA_iPKfiiiSC_SC_iiiii,@function
_ZN4vllm25paged_attention_v1_kernelIthLi192ELi16ELi128ELNS_18Fp8KVCacheDataTypeE1ELb1EEEvPT_PKS2_PKT0_S8_ifPKiSA_iPKfiiiSC_SC_iiiii: ; @_ZN4vllm25paged_attention_v1_kernelIthLi192ELi16ELi128ELNS_18Fp8KVCacheDataTypeE1ELb1EEEvPT_PKS2_PKT0_S8_ifPKiSA_iPKfiiiSC_SC_iiiii
; %bb.0:
	s_mov_b64 s[58:59], s[2:3]
	s_mov_b64 s[56:57], s[0:1]
	s_add_u32 s56, s56, s9
	s_load_dword s9, s[4:5], 0x80
	s_load_dwordx2 s[0:1], s[4:5], 0x30
	s_load_dwordx2 s[36:37], s[4:5], 0x20
	s_addc_u32 s57, s57, 0
	s_mov_b32 s10, s7
	s_ashr_i32 s11, s7, 31
	s_lshl_b64 s[2:3], s[10:11], 2
	s_waitcnt lgkmcnt(0)
	s_add_u32 s0, s0, s2
	s_addc_u32 s1, s1, s3
	s_abs_i32 s2, s36
	v_mov_b32_e32 v22, v0
	v_cvt_f32_u32_e32 v0, s2
	s_sub_i32 s11, 0, s2
	s_abs_i32 s7, s9
	s_xor_b32 s3, s9, s36
	v_rcp_iflag_f32_e32 v0, v0
	s_ashr_i32 s3, s3, 31
	s_mov_b32 s48, 0
	v_mul_f32_e32 v0, 0x4f7ffffe, v0
	v_cvt_u32_f32_e32 v0, v0
	v_readfirstlane_b32 s12, v0
	s_mul_i32 s11, s11, s12
	s_mul_hi_u32 s11, s12, s11
	s_add_i32 s12, s12, s11
	s_mul_hi_u32 s11, s7, s12
	s_mul_i32 s12, s11, s2
	s_sub_i32 s7, s7, s12
	s_add_i32 s12, s11, 1
	s_sub_i32 s13, s7, s2
	s_cmp_ge_u32 s7, s2
	s_cselect_b32 s11, s12, s11
	s_cselect_b32 s7, s13, s7
	s_add_i32 s12, s11, 1
	s_cmp_ge_u32 s7, s2
	s_cselect_b32 s2, s12, s11
	s_xor_b32 s2, s2, s3
	s_sub_i32 s14, s2, s3
	s_abs_i32 s11, s14
	v_cvt_f32_u32_e32 v0, s11
	s_load_dwordx2 s[2:3], s[4:5], 0x40
	s_sub_i32 s7, 0, s11
	s_abs_i32 s12, s6
	v_rcp_iflag_f32_e32 v0, v0
	v_mul_f32_e32 v0, 0x4f7ffffe, v0
	v_cvt_u32_f32_e32 v0, v0
	v_readfirstlane_b32 s13, v0
	s_mul_i32 s7, s7, s13
	s_mul_hi_u32 s7, s13, s7
	s_add_i32 s13, s13, s7
	s_waitcnt lgkmcnt(0)
	s_cmp_eq_u64 s[2:3], 0
	s_mul_hi_u32 s13, s12, s13
	s_cbranch_scc1 .LBB243_2
; %bb.1:
	s_ashr_i32 s7, s6, 31
	s_lshl_b64 s[16:17], s[6:7], 2
	s_add_u32 s2, s2, s16
	s_addc_u32 s3, s3, s17
	s_load_dword s48, s[2:3], 0x0
.LBB243_2:
	s_load_dword s33, s[0:1], 0x0
	s_load_dwordx4 s[16:19], s[4:5], 0x48
	s_movk_i32 s3, 0x60
	s_ashr_i32 s2, s6, 31
	s_ashr_i32 s7, s14, 31
	v_and_b32_e32 v1, 3, v22
	s_mul_i32 s24, s6, 0xc0
	v_cmp_gt_u32_e32 vcc, s3, v22
	s_and_saveexec_b64 s[0:1], vcc
	s_cbranch_execz .LBB243_4
; %bb.3:
	s_load_dwordx2 s[14:15], s[4:5], 0x8
	s_waitcnt lgkmcnt(0)
	s_mul_i32 s20, s16, s10
	s_ashr_i32 s21, s20, 31
	s_lshl_b64 s[20:21], s[20:21], 1
	v_lshlrev_b32_e32 v0, 2, v22
	s_add_u32 s16, s14, s20
	s_addc_u32 s19, s15, s21
	s_ashr_i32 s25, s24, 31
	s_lshl_b64 s[14:15], s[24:25], 1
	s_add_u32 s14, s16, s14
	s_addc_u32 s15, s19, s15
	global_load_dword v0, v0, s[14:15]
	v_and_b32_e32 v2, 0x3fc, v22
	v_mad_u32_u24 v2, v1, s3, v2
	s_waitcnt vmcnt(0)
	ds_write_b32 v2, v0
.LBB243_4:
	s_or_b64 exec, exec, s[0:1]
	s_mul_i32 s1, s13, s11
	s_sub_i32 s1, s12, s1
	s_xor_b32 s0, s2, s7
	s_add_i32 s2, s13, 1
	s_sub_i32 s7, s1, s11
	s_load_dwordx4 s[20:23], s[4:5], 0x68
	s_load_dword s3, s[4:5], 0x78
	s_cmp_ge_u32 s1, s11
	s_cselect_b32 s2, s2, s13
	s_cselect_b32 s1, s7, s1
	s_add_i32 s7, s2, 1
	s_cmp_ge_u32 s1, s11
	s_cselect_b32 s1, s7, s2
	s_waitcnt lgkmcnt(0)
	s_abs_i32 s25, s23
	v_cvt_f32_u32_e32 v0, s25
	s_xor_b32 s1, s1, s0
	s_sub_i32 s2, s1, s0
	s_sub_i32 s0, 0, s25
	v_rcp_iflag_f32_e32 v0, v0
	s_add_i32 s11, s33, -1
	s_abs_i32 s7, s11
	v_mul_f32_e32 v0, 0x4f7ffffe, v0
	v_cvt_u32_f32_e32 v0, v0
	s_barrier
	v_readfirstlane_b32 s46, v0
	s_mul_i32 s0, s0, s46
	s_mul_hi_u32 s0, s46, s0
	s_add_i32 s46, s46, s0
	s_cmp_lt_i32 s3, 0
	s_mul_hi_u32 s16, s7, s46
	s_cbranch_scc0 .LBB243_6
; %bb.5:
	s_mul_i32 s0, s20, s36
	s_add_i32 s0, s2, s0
	s_mul_i32 s0, s0, s3
	s_sub_i32 s36, 1, s0
	s_mov_b64 s[0:1], 0
	s_branch .LBB243_7
.LBB243_6:
	s_mov_b64 s[0:1], -1
                                        ; implicit-def: $sgpr36
.LBB243_7:
	s_load_dwordx2 s[28:29], s[4:5], 0x28
	s_ashr_i32 s19, s11, 31
	s_andn2_b64 vcc, exec, s[0:1]
	s_ashr_i32 s23, s23, 31
	s_cbranch_vccnz .LBB243_9
; %bb.8:
	s_mul_i32 s0, s9, s20
	s_add_i32 s0, s0, s6
	s_mul_i32 s0, s0, s3
	s_add_i32 s36, s0, 1
.LBB243_9:
	s_load_dword s0, s[4:5], 0x38
	s_load_dwordx2 s[26:27], s[4:5], 0x0
	s_load_dwordx2 s[34:35], s[4:5], 0x18
	s_load_dword s11, s[4:5], 0x88
	s_load_dwordx4 s[12:15], s[4:5], 0x58
	s_mul_i32 s1, s16, s25
	s_waitcnt lgkmcnt(0)
	s_mul_i32 s30, s0, s10
	s_sub_i32 s1, s7, s1
	s_ashr_i32 s31, s30, 31
	s_xor_b32 s0, s19, s23
	s_add_i32 s3, s16, 1
	s_sub_i32 s6, s1, s25
	s_cmp_ge_u32 s1, s25
	s_cselect_b32 s3, s3, s16
	s_cselect_b32 s1, s6, s1
	s_add_i32 s6, s3, 1
	s_cmp_ge_u32 s1, s25
	s_cselect_b32 s1, s6, s3
	s_xor_b32 s1, s1, s0
	s_sub_i32 s16, s1, s0
	s_add_i32 s0, s33, 15
	s_ashr_i32 s1, s0, 31
	s_lshr_b32 s1, s1, 28
	s_add_i32 s0, s0, s1
	s_ashr_i32 s47, s0, 4
	v_lshrrev_b32_e32 v11, 6, v22
	v_cmp_gt_i32_e64 s[0:1], s47, v11
	v_mov_b32_e32 v4, 0xff7fffff
	s_mul_i32 s20, s2, s18
	v_lshrrev_b32_e32 v0, 4, v22
	v_lshlrev_b32_e32 v12, 4, v11
	v_mbcnt_lo_u32_b32 v2, -1, 0
	buffer_store_dword v0, off, s[56:59], 0 offset:28 ; 4-byte Folded Spill
	s_and_saveexec_b64 s[18:19], s[0:1]
	s_cbranch_execz .LBB243_309
; %bb.10:
	s_load_dwordx2 s[2:3], s[4:5], 0x10
	s_sub_i32 s49, s16, s21
	s_ashr_i32 s4, s20, 31
	v_cmp_eq_u32_e32 vcc, 0, v1
	v_lshlrev_b32_e32 v3, 1, v1
	s_waitcnt lgkmcnt(0)
	s_add_u32 s5, s2, s20
	s_addc_u32 s4, s3, s4
	s_abs_i32 s50, s22
	v_cvt_f32_u32_e32 v0, s50
	s_sub_i32 s2, 0, s50
	v_mul_u32_u24_e32 v14, 0x60, v1
	v_bfe_u32 v8, v22, 2, 4
	v_rcp_iflag_f32_e32 v0, v0
	v_lshlrev_b32_e32 v4, 4, v8
	v_mov_b32_e32 v5, s4
	v_add_co_u32_e64 v4, s[4:5], s5, v4
	v_mul_f32_e32 v0, 0x4f7ffffe, v0
	v_cvt_u32_f32_e32 v0, v0
	v_addc_co_u32_e64 v5, s[4:5], 0, v5, s[4:5]
	buffer_store_dword v22, off, s[56:59], 0 offset:32 ; 4-byte Folded Spill
	v_mul_lo_u32 v1, s2, v0
	v_mov_b32_e32 v7, v2
	s_mov_b32 s51, s17
	v_mov_b32_e32 v2, 0
	v_mul_hi_u32 v1, v0, v1
	v_cmp_neq_f32_e64 s[2:3], s48, 0
	v_lshlrev_b32_e32 v17, 4, v11
	s_mov_b64 s[38:39], 0
	v_add_u32_e32 v0, v0, v1
	buffer_store_dword v0, off, s[56:59], 0 ; 4-byte Folded Spill
	v_add_co_u32_e64 v0, s[4:5], v4, v3
	v_addc_co_u32_e64 v1, s[4:5], 0, v5, s[4:5]
	buffer_store_dword v0, off, s[56:59], 0 offset:8 ; 4-byte Folded Spill
	s_nop 0
	buffer_store_dword v1, off, s[56:59], 0 offset:12 ; 4-byte Folded Spill
	buffer_load_dword v0, off, s[56:59], 0 offset:28 ; 4-byte Folded Reload
	s_lshl_b64 s[4:5], s[30:31], 2
	s_add_u32 s4, s28, s4
	s_addc_u32 s5, s29, s5
	v_mov_b32_e32 v3, s5
	s_movk_i32 s52, 0x80
	s_movk_i32 s53, 0x7f
	s_mov_b32 s54, 0x8000
	v_mov_b32_e32 v20, 0x2000
	v_mov_b32_e32 v22, v11
	s_waitcnt vmcnt(0)
	v_and_b32_e32 v1, 60, v0
	v_add_co_u32_e64 v5, s[4:5], s4, v1
	v_subrev_u32_e32 v1, s33, v8
	v_add_u32_e32 v0, 1, v1
	v_lshlrev_b32_e32 v1, 2, v8
	buffer_store_dword v0, off, s[56:59], 0 offset:24 ; 4-byte Folded Spill
	buffer_store_dword v8, off, s[56:59], 0 offset:20 ; 4-byte Folded Spill
	v_lshl_or_b32 v1, v11, 6, v1
	v_mbcnt_hi_u32_b32 v0, -1, v7
	v_addc_co_u32_e64 v6, s[4:5], 0, v3, s[4:5]
	v_add_u32_e32 v19, 0x190, v1
	buffer_store_dword v0, off, s[56:59], 0 offset:16 ; 4-byte Folded Spill
	v_mov_b32_e32 v0, 0xff7fffff
	buffer_store_dword v0, off, s[56:59], 0 offset:4 ; 4-byte Folded Spill
	s_branch .LBB243_13
.LBB243_11:                             ;   in Loop: Header=BB243_13 Depth=1
	s_or_b64 exec, exec, s[40:41]
.LBB243_12:                             ;   in Loop: Header=BB243_13 Depth=1
	s_or_b64 exec, exec, s[6:7]
	v_add_co_u32_e64 v5, s[4:5], 8, v5
	v_add_u32_e32 v22, 2, v22
	v_addc_co_u32_e64 v6, s[4:5], 0, v6, s[4:5]
	v_cmp_le_i32_e64 s[4:5], s47, v22
	v_add_u32_e32 v17, 32, v17
	s_or_b64 s[38:39], s[4:5], s[38:39]
	v_add_u32_e32 v19, 0x80, v19
	s_andn2_b64 exec, exec, s[38:39]
	s_cbranch_execz .LBB243_308
.LBB243_13:                             ; =>This Inner Loop Header: Depth=1
	buffer_load_dword v0, off, s[56:59], 0  ; 4-byte Folded Reload
	v_mul_hi_u32 v1, v17, s46
	s_waitcnt lgkmcnt(0)
	v_mul_lo_u32 v3, v1, s25
	v_add_u32_e32 v4, 1, v1
	v_sub_u32_e32 v3, v17, v3
	v_cmp_le_u32_e64 s[4:5], s25, v3
	v_cndmask_b32_e64 v1, v1, v4, s[4:5]
	v_subrev_u32_e32 v4, s25, v3
	v_cndmask_b32_e64 v3, v3, v4, s[4:5]
	v_add_u32_e32 v4, 1, v1
	v_cmp_le_u32_e64 s[4:5], s25, v3
	v_cndmask_b32_e64 v1, v1, v4, s[4:5]
	v_xor_b32_e32 v1, s23, v1
	v_subrev_u32_e32 v1, s23, v1
	v_add_u32_e32 v3, s36, v1
	v_sub_u32_e32 v4, 0, v3
	v_max_i32_e32 v4, v3, v4
	v_ashrrev_i32_e32 v3, 31, v3
	v_cmp_ge_i32_e64 s[6:7], s49, v1
	s_waitcnt vmcnt(0)
	v_mul_hi_u32 v7, v4, v0
	v_mul_lo_u32 v7, v7, s50
	v_sub_u32_e32 v4, v4, v7
	v_subrev_u32_e32 v7, s50, v4
	v_cmp_le_u32_e64 s[4:5], s50, v4
	v_cndmask_b32_e64 v4, v4, v7, s[4:5]
	v_subrev_u32_e32 v7, s50, v4
	v_cmp_le_u32_e64 s[4:5], s50, v4
	v_cndmask_b32_e64 v4, v4, v7, s[4:5]
	v_xor_b32_e32 v4, v4, v3
	v_sub_u32_e32 v3, v4, v3
	v_cmp_ne_u32_e64 s[4:5], 0, v3
	s_and_b64 s[4:5], s[4:5], s[6:7]
	s_and_saveexec_b64 s[6:7], s[4:5]
	s_xor_b64 s[4:5], exec, s[6:7]
	s_cbranch_execz .LBB243_17
; %bb.14:                               ;   in Loop: Header=BB243_13 Depth=1
	s_and_saveexec_b64 s[6:7], vcc
; %bb.15:                               ;   in Loop: Header=BB243_13 Depth=1
	v_mov_b32_e32 v1, 0xff7fffff
	ds_write_b32 v19, v1
; %bb.16:                               ;   in Loop: Header=BB243_13 Depth=1
	s_or_b64 exec, exec, s[6:7]
.LBB243_17:                             ;   in Loop: Header=BB243_13 Depth=1
	s_andn2_saveexec_b64 s[6:7], s[4:5]
	s_cbranch_execz .LBB243_12
; %bb.18:                               ;   in Loop: Header=BB243_13 Depth=1
	global_load_dword v1, v[5:6], off
	buffer_load_dword v3, off, s[56:59], 0 offset:8 ; 4-byte Folded Reload
	buffer_load_dword v4, off, s[56:59], 0 offset:12 ; 4-byte Folded Reload
	v_mov_b32_e32 v24, 0
	global_load_dword v23, v24, s[12:13]
	v_mov_b32_e32 v25, 0
	s_waitcnt vmcnt(1)
	v_mad_i64_i32 v[7:8], s[4:5], v1, s51, v[3:4]
	global_load_ushort v3, v[7:8], off
	s_waitcnt vmcnt(0)
	v_and_b32_e32 v1, 0xffff, v3
	v_cmp_ne_u16_sdwa s[4:5], v3, v2 src0_sel:BYTE_0 src1_sel:DWORD
	s_and_saveexec_b64 s[40:41], s[4:5]
	s_cbranch_execz .LBB243_24
; %bb.19:                               ;   in Loop: Header=BB243_13 Depth=1
	v_cmp_ne_u16_sdwa s[4:5], v1, s52 src0_sel:BYTE_0 src1_sel:DWORD
	v_mov_b32_e32 v25, 0x8000
	s_and_saveexec_b64 s[42:43], s[4:5]
	s_cbranch_execz .LBB243_23
; %bb.20:                               ;   in Loop: Header=BB243_13 Depth=1
	v_and_b32_e32 v3, 0x7f, v1
	v_cmp_ne_u32_e64 s[4:5], s53, v3
	v_mov_b32_e32 v25, 0x7c01
	s_and_saveexec_b64 s[44:45], s[4:5]
	s_cbranch_execz .LBB243_22
; %bb.21:                               ;   in Loop: Header=BB243_13 Depth=1
	v_and_b32_e32 v4, 7, v1
	v_ffbh_u32_e32 v9, v4
	v_min_u32_e32 v15, 32, v9
	v_subrev_u32_e32 v9, 28, v15
	v_lshlrev_b64 v[9:10], v9, v[1:2]
	v_lshrrev_b32_e32 v13, 3, v3
	v_sub_u32_e32 v10, 29, v15
	v_cmp_gt_u32_e64 s[4:5], 8, v3
	v_cndmask_b32_e64 v3, v13, v10, s[4:5]
	v_lshl_add_u32 v3, v3, 10, v20
	v_lshlrev_b32_e32 v10, 8, v1
	v_and_b32_e32 v9, 7, v9
	v_and_b32_e32 v3, 0xfc00, v3
	v_cndmask_b32_e64 v4, v4, v9, s[4:5]
	v_and_or_b32 v3, v10, s54, v3
	v_lshl_or_b32 v25, v4, 7, v3
.LBB243_22:                             ;   in Loop: Header=BB243_13 Depth=1
	s_or_b64 exec, exec, s[44:45]
.LBB243_23:                             ;   in Loop: Header=BB243_13 Depth=1
	s_or_b64 exec, exec, s[42:43]
.LBB243_24:                             ;   in Loop: Header=BB243_13 Depth=1
	s_or_b64 exec, exec, s[40:41]
	v_lshrrev_b16_e32 v1, 8, v1
	v_cmp_ne_u16_e64 s[4:5], 0, v1
	s_and_saveexec_b64 s[40:41], s[4:5]
	s_cbranch_execz .LBB243_30
; %bb.25:                               ;   in Loop: Header=BB243_13 Depth=1
	v_cmp_ne_u16_e64 s[4:5], s52, v1
	v_bfrev_b32_e32 v24, 1
	s_and_saveexec_b64 s[42:43], s[4:5]
	s_cbranch_execz .LBB243_29
; %bb.26:                               ;   in Loop: Header=BB243_13 Depth=1
	v_and_b32_e32 v3, 0x7f, v1
	v_cmp_ne_u32_e64 s[4:5], s53, v3
	v_mov_b32_e32 v24, 0x7c010000
	s_and_saveexec_b64 s[44:45], s[4:5]
	s_cbranch_execz .LBB243_28
; %bb.27:                               ;   in Loop: Header=BB243_13 Depth=1
	v_and_b32_e32 v4, 7, v1
	v_ffbh_u32_e32 v9, v4
	v_min_u32_e32 v15, 32, v9
	v_subrev_u32_e32 v9, 28, v15
	v_lshlrev_b64 v[9:10], v9, v[1:2]
	v_lshrrev_b32_e32 v13, 3, v3
	v_sub_u32_e32 v10, 29, v15
	v_cmp_gt_u32_e64 s[4:5], 8, v3
	v_cndmask_b32_e64 v3, v13, v10, s[4:5]
	v_lshlrev_b32_e32 v1, 8, v1
	v_lshl_add_u32 v3, v3, 10, v20
	v_and_b32_e32 v9, 7, v9
	v_and_or_b32 v1, v1, s54, v3
	v_cndmask_b32_e64 v4, v4, v9, s[4:5]
	v_lshlrev_b32_e32 v1, 16, v1
	v_lshl_or_b32 v24, v4, 23, v1
.LBB243_28:                             ;   in Loop: Header=BB243_13 Depth=1
	s_or_b64 exec, exec, s[44:45]
.LBB243_29:                             ;   in Loop: Header=BB243_13 Depth=1
	s_or_b64 exec, exec, s[42:43]
.LBB243_30:                             ;   in Loop: Header=BB243_13 Depth=1
	s_or_b64 exec, exec, s[40:41]
	global_load_ushort v3, v[7:8], off offset:8
	v_mov_b32_e32 v26, 0
	v_mov_b32_e32 v27, 0
	s_waitcnt vmcnt(0)
	v_and_b32_e32 v1, 0xffff, v3
	v_cmp_ne_u16_sdwa s[4:5], v3, v2 src0_sel:BYTE_0 src1_sel:DWORD
	s_and_saveexec_b64 s[40:41], s[4:5]
	s_cbranch_execz .LBB243_36
; %bb.31:                               ;   in Loop: Header=BB243_13 Depth=1
	v_cmp_ne_u16_sdwa s[4:5], v1, s52 src0_sel:BYTE_0 src1_sel:DWORD
	v_mov_b32_e32 v27, 0x8000
	s_and_saveexec_b64 s[42:43], s[4:5]
	s_cbranch_execz .LBB243_35
; %bb.32:                               ;   in Loop: Header=BB243_13 Depth=1
	v_and_b32_e32 v3, 0x7f, v1
	v_cmp_ne_u32_e64 s[4:5], s53, v3
	v_mov_b32_e32 v27, 0x7c01
	s_and_saveexec_b64 s[44:45], s[4:5]
	s_cbranch_execz .LBB243_34
; %bb.33:                               ;   in Loop: Header=BB243_13 Depth=1
	v_and_b32_e32 v4, 7, v1
	v_ffbh_u32_e32 v9, v4
	v_min_u32_e32 v15, 32, v9
	v_subrev_u32_e32 v9, 28, v15
	v_lshlrev_b64 v[9:10], v9, v[1:2]
	v_lshrrev_b32_e32 v13, 3, v3
	v_sub_u32_e32 v10, 29, v15
	v_cmp_gt_u32_e64 s[4:5], 8, v3
	v_cndmask_b32_e64 v3, v13, v10, s[4:5]
	v_lshl_add_u32 v3, v3, 10, v20
	v_lshlrev_b32_e32 v10, 8, v1
	v_and_b32_e32 v9, 7, v9
	v_and_b32_e32 v3, 0xfc00, v3
	v_cndmask_b32_e64 v4, v4, v9, s[4:5]
	v_and_or_b32 v3, v10, s54, v3
	v_lshl_or_b32 v27, v4, 7, v3
.LBB243_34:                             ;   in Loop: Header=BB243_13 Depth=1
	s_or_b64 exec, exec, s[44:45]
.LBB243_35:                             ;   in Loop: Header=BB243_13 Depth=1
	s_or_b64 exec, exec, s[42:43]
.LBB243_36:                             ;   in Loop: Header=BB243_13 Depth=1
	s_or_b64 exec, exec, s[40:41]
	v_lshrrev_b16_e32 v1, 8, v1
	v_cmp_ne_u16_e64 s[4:5], 0, v1
	s_and_saveexec_b64 s[40:41], s[4:5]
	s_cbranch_execz .LBB243_42
; %bb.37:                               ;   in Loop: Header=BB243_13 Depth=1
	v_cmp_ne_u16_e64 s[4:5], s52, v1
	v_bfrev_b32_e32 v26, 1
	s_and_saveexec_b64 s[42:43], s[4:5]
	s_cbranch_execz .LBB243_41
; %bb.38:                               ;   in Loop: Header=BB243_13 Depth=1
	v_and_b32_e32 v3, 0x7f, v1
	v_cmp_ne_u32_e64 s[4:5], s53, v3
	v_mov_b32_e32 v26, 0x7c010000
	s_and_saveexec_b64 s[44:45], s[4:5]
	s_cbranch_execz .LBB243_40
; %bb.39:                               ;   in Loop: Header=BB243_13 Depth=1
	v_and_b32_e32 v4, 7, v1
	v_ffbh_u32_e32 v9, v4
	v_min_u32_e32 v15, 32, v9
	v_subrev_u32_e32 v9, 28, v15
	v_lshlrev_b64 v[9:10], v9, v[1:2]
	v_lshrrev_b32_e32 v13, 3, v3
	v_sub_u32_e32 v10, 29, v15
	v_cmp_gt_u32_e64 s[4:5], 8, v3
	v_cndmask_b32_e64 v3, v13, v10, s[4:5]
	v_lshlrev_b32_e32 v1, 8, v1
	v_lshl_add_u32 v3, v3, 10, v20
	v_and_b32_e32 v9, 7, v9
	v_and_or_b32 v1, v1, s54, v3
	v_cndmask_b32_e64 v4, v4, v9, s[4:5]
	v_lshlrev_b32_e32 v1, 16, v1
	v_lshl_or_b32 v26, v4, 23, v1
.LBB243_40:                             ;   in Loop: Header=BB243_13 Depth=1
	s_or_b64 exec, exec, s[44:45]
.LBB243_41:                             ;   in Loop: Header=BB243_13 Depth=1
	s_or_b64 exec, exec, s[42:43]
.LBB243_42:                             ;   in Loop: Header=BB243_13 Depth=1
	s_or_b64 exec, exec, s[40:41]
	global_load_ushort v3, v[7:8], off offset:256
	v_mov_b32_e32 v28, 0
	v_mov_b32_e32 v29, 0
	s_waitcnt vmcnt(0)
	v_and_b32_e32 v1, 0xffff, v3
	v_cmp_ne_u16_sdwa s[4:5], v3, v2 src0_sel:BYTE_0 src1_sel:DWORD
	s_and_saveexec_b64 s[40:41], s[4:5]
	s_cbranch_execz .LBB243_48
; %bb.43:                               ;   in Loop: Header=BB243_13 Depth=1
	v_cmp_ne_u16_sdwa s[4:5], v1, s52 src0_sel:BYTE_0 src1_sel:DWORD
	v_mov_b32_e32 v29, 0x8000
	s_and_saveexec_b64 s[42:43], s[4:5]
	s_cbranch_execz .LBB243_47
; %bb.44:                               ;   in Loop: Header=BB243_13 Depth=1
	v_and_b32_e32 v3, 0x7f, v1
	v_cmp_ne_u32_e64 s[4:5], s53, v3
	v_mov_b32_e32 v29, 0x7c01
	s_and_saveexec_b64 s[44:45], s[4:5]
	s_cbranch_execz .LBB243_46
; %bb.45:                               ;   in Loop: Header=BB243_13 Depth=1
	v_and_b32_e32 v4, 7, v1
	v_ffbh_u32_e32 v9, v4
	v_min_u32_e32 v15, 32, v9
	v_subrev_u32_e32 v9, 28, v15
	v_lshlrev_b64 v[9:10], v9, v[1:2]
	v_lshrrev_b32_e32 v13, 3, v3
	v_sub_u32_e32 v10, 29, v15
	v_cmp_gt_u32_e64 s[4:5], 8, v3
	v_cndmask_b32_e64 v3, v13, v10, s[4:5]
	v_lshl_add_u32 v3, v3, 10, v20
	v_lshlrev_b32_e32 v10, 8, v1
	v_and_b32_e32 v9, 7, v9
	v_and_b32_e32 v3, 0xfc00, v3
	v_cndmask_b32_e64 v4, v4, v9, s[4:5]
	v_and_or_b32 v3, v10, s54, v3
	v_lshl_or_b32 v29, v4, 7, v3
.LBB243_46:                             ;   in Loop: Header=BB243_13 Depth=1
	s_or_b64 exec, exec, s[44:45]
.LBB243_47:                             ;   in Loop: Header=BB243_13 Depth=1
	s_or_b64 exec, exec, s[42:43]
.LBB243_48:                             ;   in Loop: Header=BB243_13 Depth=1
	s_or_b64 exec, exec, s[40:41]
	v_lshrrev_b16_e32 v1, 8, v1
	v_cmp_ne_u16_e64 s[4:5], 0, v1
	s_and_saveexec_b64 s[40:41], s[4:5]
	s_cbranch_execz .LBB243_54
; %bb.49:                               ;   in Loop: Header=BB243_13 Depth=1
	v_cmp_ne_u16_e64 s[4:5], s52, v1
	v_bfrev_b32_e32 v28, 1
	s_and_saveexec_b64 s[42:43], s[4:5]
	s_cbranch_execz .LBB243_53
; %bb.50:                               ;   in Loop: Header=BB243_13 Depth=1
	v_and_b32_e32 v3, 0x7f, v1
	v_cmp_ne_u32_e64 s[4:5], s53, v3
	v_mov_b32_e32 v28, 0x7c010000
	s_and_saveexec_b64 s[44:45], s[4:5]
	s_cbranch_execz .LBB243_52
; %bb.51:                               ;   in Loop: Header=BB243_13 Depth=1
	v_and_b32_e32 v4, 7, v1
	v_ffbh_u32_e32 v9, v4
	v_min_u32_e32 v15, 32, v9
	v_subrev_u32_e32 v9, 28, v15
	v_lshlrev_b64 v[9:10], v9, v[1:2]
	v_lshrrev_b32_e32 v13, 3, v3
	v_sub_u32_e32 v10, 29, v15
	v_cmp_gt_u32_e64 s[4:5], 8, v3
	v_cndmask_b32_e64 v3, v13, v10, s[4:5]
	v_lshlrev_b32_e32 v1, 8, v1
	v_lshl_add_u32 v3, v3, 10, v20
	v_and_b32_e32 v9, 7, v9
	v_and_or_b32 v1, v1, s54, v3
	v_cndmask_b32_e64 v4, v4, v9, s[4:5]
	v_lshlrev_b32_e32 v1, 16, v1
	v_lshl_or_b32 v28, v4, 23, v1
.LBB243_52:                             ;   in Loop: Header=BB243_13 Depth=1
	s_or_b64 exec, exec, s[44:45]
.LBB243_53:                             ;   in Loop: Header=BB243_13 Depth=1
	s_or_b64 exec, exec, s[42:43]
.LBB243_54:                             ;   in Loop: Header=BB243_13 Depth=1
	s_or_b64 exec, exec, s[40:41]
	global_load_ushort v3, v[7:8], off offset:264
	v_mov_b32_e32 v30, 0
	v_mov_b32_e32 v31, 0
	s_waitcnt vmcnt(0)
	v_and_b32_e32 v1, 0xffff, v3
	v_cmp_ne_u16_sdwa s[4:5], v3, v2 src0_sel:BYTE_0 src1_sel:DWORD
	s_and_saveexec_b64 s[40:41], s[4:5]
	s_cbranch_execz .LBB243_60
; %bb.55:                               ;   in Loop: Header=BB243_13 Depth=1
	v_cmp_ne_u16_sdwa s[4:5], v1, s52 src0_sel:BYTE_0 src1_sel:DWORD
	v_mov_b32_e32 v31, 0x8000
	s_and_saveexec_b64 s[42:43], s[4:5]
	s_cbranch_execz .LBB243_59
; %bb.56:                               ;   in Loop: Header=BB243_13 Depth=1
	v_and_b32_e32 v3, 0x7f, v1
	v_cmp_ne_u32_e64 s[4:5], s53, v3
	v_mov_b32_e32 v31, 0x7c01
	s_and_saveexec_b64 s[44:45], s[4:5]
	s_cbranch_execz .LBB243_58
; %bb.57:                               ;   in Loop: Header=BB243_13 Depth=1
	v_and_b32_e32 v4, 7, v1
	v_ffbh_u32_e32 v9, v4
	v_min_u32_e32 v15, 32, v9
	v_subrev_u32_e32 v9, 28, v15
	v_lshlrev_b64 v[9:10], v9, v[1:2]
	v_lshrrev_b32_e32 v13, 3, v3
	v_sub_u32_e32 v10, 29, v15
	v_cmp_gt_u32_e64 s[4:5], 8, v3
	v_cndmask_b32_e64 v3, v13, v10, s[4:5]
	v_lshl_add_u32 v3, v3, 10, v20
	v_lshlrev_b32_e32 v10, 8, v1
	v_and_b32_e32 v9, 7, v9
	v_and_b32_e32 v3, 0xfc00, v3
	v_cndmask_b32_e64 v4, v4, v9, s[4:5]
	v_and_or_b32 v3, v10, s54, v3
	v_lshl_or_b32 v31, v4, 7, v3
.LBB243_58:                             ;   in Loop: Header=BB243_13 Depth=1
	s_or_b64 exec, exec, s[44:45]
.LBB243_59:                             ;   in Loop: Header=BB243_13 Depth=1
	s_or_b64 exec, exec, s[42:43]
.LBB243_60:                             ;   in Loop: Header=BB243_13 Depth=1
	s_or_b64 exec, exec, s[40:41]
	v_lshrrev_b16_e32 v1, 8, v1
	v_cmp_ne_u16_e64 s[4:5], 0, v1
	s_and_saveexec_b64 s[40:41], s[4:5]
	s_cbranch_execz .LBB243_66
; %bb.61:                               ;   in Loop: Header=BB243_13 Depth=1
	v_cmp_ne_u16_e64 s[4:5], s52, v1
	v_bfrev_b32_e32 v30, 1
	s_and_saveexec_b64 s[42:43], s[4:5]
	s_cbranch_execz .LBB243_65
; %bb.62:                               ;   in Loop: Header=BB243_13 Depth=1
	v_and_b32_e32 v3, 0x7f, v1
	v_cmp_ne_u32_e64 s[4:5], s53, v3
	v_mov_b32_e32 v30, 0x7c010000
	s_and_saveexec_b64 s[44:45], s[4:5]
	s_cbranch_execz .LBB243_64
; %bb.63:                               ;   in Loop: Header=BB243_13 Depth=1
	v_and_b32_e32 v4, 7, v1
	v_ffbh_u32_e32 v9, v4
	v_min_u32_e32 v15, 32, v9
	v_subrev_u32_e32 v9, 28, v15
	v_lshlrev_b64 v[9:10], v9, v[1:2]
	v_lshrrev_b32_e32 v13, 3, v3
	v_sub_u32_e32 v10, 29, v15
	v_cmp_gt_u32_e64 s[4:5], 8, v3
	v_cndmask_b32_e64 v3, v13, v10, s[4:5]
	v_lshlrev_b32_e32 v1, 8, v1
	v_lshl_add_u32 v3, v3, 10, v20
	v_and_b32_e32 v9, 7, v9
	v_and_or_b32 v1, v1, s54, v3
	v_cndmask_b32_e64 v4, v4, v9, s[4:5]
	v_lshlrev_b32_e32 v1, 16, v1
	v_lshl_or_b32 v30, v4, 23, v1
.LBB243_64:                             ;   in Loop: Header=BB243_13 Depth=1
	s_or_b64 exec, exec, s[44:45]
.LBB243_65:                             ;   in Loop: Header=BB243_13 Depth=1
	s_or_b64 exec, exec, s[42:43]
.LBB243_66:                             ;   in Loop: Header=BB243_13 Depth=1
	s_or_b64 exec, exec, s[40:41]
	global_load_ushort v3, v[7:8], off offset:512
	v_mov_b32_e32 v32, 0
	v_mov_b32_e32 v33, 0
	s_waitcnt vmcnt(0)
	v_and_b32_e32 v1, 0xffff, v3
	v_cmp_ne_u16_sdwa s[4:5], v3, v2 src0_sel:BYTE_0 src1_sel:DWORD
	s_and_saveexec_b64 s[40:41], s[4:5]
	s_cbranch_execz .LBB243_72
; %bb.67:                               ;   in Loop: Header=BB243_13 Depth=1
	v_cmp_ne_u16_sdwa s[4:5], v1, s52 src0_sel:BYTE_0 src1_sel:DWORD
	v_mov_b32_e32 v33, 0x8000
	s_and_saveexec_b64 s[42:43], s[4:5]
	s_cbranch_execz .LBB243_71
; %bb.68:                               ;   in Loop: Header=BB243_13 Depth=1
	v_and_b32_e32 v3, 0x7f, v1
	v_cmp_ne_u32_e64 s[4:5], s53, v3
	v_mov_b32_e32 v33, 0x7c01
	s_and_saveexec_b64 s[44:45], s[4:5]
	s_cbranch_execz .LBB243_70
; %bb.69:                               ;   in Loop: Header=BB243_13 Depth=1
	v_and_b32_e32 v4, 7, v1
	v_ffbh_u32_e32 v9, v4
	v_min_u32_e32 v15, 32, v9
	v_subrev_u32_e32 v9, 28, v15
	v_lshlrev_b64 v[9:10], v9, v[1:2]
	v_lshrrev_b32_e32 v13, 3, v3
	v_sub_u32_e32 v10, 29, v15
	v_cmp_gt_u32_e64 s[4:5], 8, v3
	v_cndmask_b32_e64 v3, v13, v10, s[4:5]
	v_lshl_add_u32 v3, v3, 10, v20
	v_lshlrev_b32_e32 v10, 8, v1
	v_and_b32_e32 v9, 7, v9
	v_and_b32_e32 v3, 0xfc00, v3
	v_cndmask_b32_e64 v4, v4, v9, s[4:5]
	v_and_or_b32 v3, v10, s54, v3
	v_lshl_or_b32 v33, v4, 7, v3
.LBB243_70:                             ;   in Loop: Header=BB243_13 Depth=1
	s_or_b64 exec, exec, s[44:45]
.LBB243_71:                             ;   in Loop: Header=BB243_13 Depth=1
	s_or_b64 exec, exec, s[42:43]
.LBB243_72:                             ;   in Loop: Header=BB243_13 Depth=1
	s_or_b64 exec, exec, s[40:41]
	v_lshrrev_b16_e32 v1, 8, v1
	v_cmp_ne_u16_e64 s[4:5], 0, v1
	s_and_saveexec_b64 s[40:41], s[4:5]
	s_cbranch_execz .LBB243_78
; %bb.73:                               ;   in Loop: Header=BB243_13 Depth=1
	v_cmp_ne_u16_e64 s[4:5], s52, v1
	v_bfrev_b32_e32 v32, 1
	s_and_saveexec_b64 s[42:43], s[4:5]
	s_cbranch_execz .LBB243_77
; %bb.74:                               ;   in Loop: Header=BB243_13 Depth=1
	v_and_b32_e32 v3, 0x7f, v1
	v_cmp_ne_u32_e64 s[4:5], s53, v3
	v_mov_b32_e32 v32, 0x7c010000
	s_and_saveexec_b64 s[44:45], s[4:5]
	s_cbranch_execz .LBB243_76
; %bb.75:                               ;   in Loop: Header=BB243_13 Depth=1
	v_and_b32_e32 v4, 7, v1
	v_ffbh_u32_e32 v9, v4
	v_min_u32_e32 v15, 32, v9
	v_subrev_u32_e32 v9, 28, v15
	v_lshlrev_b64 v[9:10], v9, v[1:2]
	v_lshrrev_b32_e32 v13, 3, v3
	v_sub_u32_e32 v10, 29, v15
	v_cmp_gt_u32_e64 s[4:5], 8, v3
	v_cndmask_b32_e64 v3, v13, v10, s[4:5]
	v_lshlrev_b32_e32 v1, 8, v1
	v_lshl_add_u32 v3, v3, 10, v20
	v_and_b32_e32 v9, 7, v9
	v_and_or_b32 v1, v1, s54, v3
	v_cndmask_b32_e64 v4, v4, v9, s[4:5]
	v_lshlrev_b32_e32 v1, 16, v1
	v_lshl_or_b32 v32, v4, 23, v1
.LBB243_76:                             ;   in Loop: Header=BB243_13 Depth=1
	s_or_b64 exec, exec, s[44:45]
.LBB243_77:                             ;   in Loop: Header=BB243_13 Depth=1
	s_or_b64 exec, exec, s[42:43]
.LBB243_78:                             ;   in Loop: Header=BB243_13 Depth=1
	s_or_b64 exec, exec, s[40:41]
	global_load_ushort v3, v[7:8], off offset:520
	v_mov_b32_e32 v34, 0
	v_mov_b32_e32 v35, 0
	s_waitcnt vmcnt(0)
	v_and_b32_e32 v1, 0xffff, v3
	v_cmp_ne_u16_sdwa s[4:5], v3, v2 src0_sel:BYTE_0 src1_sel:DWORD
	s_and_saveexec_b64 s[40:41], s[4:5]
	s_cbranch_execz .LBB243_84
; %bb.79:                               ;   in Loop: Header=BB243_13 Depth=1
	v_cmp_ne_u16_sdwa s[4:5], v1, s52 src0_sel:BYTE_0 src1_sel:DWORD
	v_mov_b32_e32 v35, 0x8000
	s_and_saveexec_b64 s[42:43], s[4:5]
	s_cbranch_execz .LBB243_83
; %bb.80:                               ;   in Loop: Header=BB243_13 Depth=1
	v_and_b32_e32 v3, 0x7f, v1
	v_cmp_ne_u32_e64 s[4:5], s53, v3
	v_mov_b32_e32 v35, 0x7c01
	s_and_saveexec_b64 s[44:45], s[4:5]
	s_cbranch_execz .LBB243_82
; %bb.81:                               ;   in Loop: Header=BB243_13 Depth=1
	v_and_b32_e32 v4, 7, v1
	v_ffbh_u32_e32 v9, v4
	v_min_u32_e32 v15, 32, v9
	v_subrev_u32_e32 v9, 28, v15
	v_lshlrev_b64 v[9:10], v9, v[1:2]
	v_lshrrev_b32_e32 v13, 3, v3
	v_sub_u32_e32 v10, 29, v15
	v_cmp_gt_u32_e64 s[4:5], 8, v3
	v_cndmask_b32_e64 v3, v13, v10, s[4:5]
	v_lshl_add_u32 v3, v3, 10, v20
	v_lshlrev_b32_e32 v10, 8, v1
	v_and_b32_e32 v9, 7, v9
	v_and_b32_e32 v3, 0xfc00, v3
	v_cndmask_b32_e64 v4, v4, v9, s[4:5]
	v_and_or_b32 v3, v10, s54, v3
	v_lshl_or_b32 v35, v4, 7, v3
.LBB243_82:                             ;   in Loop: Header=BB243_13 Depth=1
	s_or_b64 exec, exec, s[44:45]
.LBB243_83:                             ;   in Loop: Header=BB243_13 Depth=1
	s_or_b64 exec, exec, s[42:43]
.LBB243_84:                             ;   in Loop: Header=BB243_13 Depth=1
	s_or_b64 exec, exec, s[40:41]
	v_lshrrev_b16_e32 v1, 8, v1
	v_cmp_ne_u16_e64 s[4:5], 0, v1
	s_and_saveexec_b64 s[40:41], s[4:5]
	s_cbranch_execz .LBB243_90
; %bb.85:                               ;   in Loop: Header=BB243_13 Depth=1
	v_cmp_ne_u16_e64 s[4:5], s52, v1
	v_bfrev_b32_e32 v34, 1
	s_and_saveexec_b64 s[42:43], s[4:5]
	s_cbranch_execz .LBB243_89
; %bb.86:                               ;   in Loop: Header=BB243_13 Depth=1
	v_and_b32_e32 v3, 0x7f, v1
	v_cmp_ne_u32_e64 s[4:5], s53, v3
	v_mov_b32_e32 v34, 0x7c010000
	s_and_saveexec_b64 s[44:45], s[4:5]
	s_cbranch_execz .LBB243_88
; %bb.87:                               ;   in Loop: Header=BB243_13 Depth=1
	v_and_b32_e32 v4, 7, v1
	v_ffbh_u32_e32 v9, v4
	v_min_u32_e32 v15, 32, v9
	v_subrev_u32_e32 v9, 28, v15
	v_lshlrev_b64 v[9:10], v9, v[1:2]
	v_lshrrev_b32_e32 v13, 3, v3
	v_sub_u32_e32 v10, 29, v15
	v_cmp_gt_u32_e64 s[4:5], 8, v3
	v_cndmask_b32_e64 v3, v13, v10, s[4:5]
	v_lshlrev_b32_e32 v1, 8, v1
	v_lshl_add_u32 v3, v3, 10, v20
	v_and_b32_e32 v9, 7, v9
	v_and_or_b32 v1, v1, s54, v3
	v_cndmask_b32_e64 v4, v4, v9, s[4:5]
	v_lshlrev_b32_e32 v1, 16, v1
	v_lshl_or_b32 v34, v4, 23, v1
.LBB243_88:                             ;   in Loop: Header=BB243_13 Depth=1
	s_or_b64 exec, exec, s[44:45]
.LBB243_89:                             ;   in Loop: Header=BB243_13 Depth=1
	s_or_b64 exec, exec, s[42:43]
.LBB243_90:                             ;   in Loop: Header=BB243_13 Depth=1
	s_or_b64 exec, exec, s[40:41]
	global_load_ushort v3, v[7:8], off offset:768
	v_mov_b32_e32 v36, 0
	v_mov_b32_e32 v37, 0
	s_waitcnt vmcnt(0)
	v_and_b32_e32 v1, 0xffff, v3
	v_cmp_ne_u16_sdwa s[4:5], v3, v2 src0_sel:BYTE_0 src1_sel:DWORD
	s_and_saveexec_b64 s[40:41], s[4:5]
	s_cbranch_execz .LBB243_96
; %bb.91:                               ;   in Loop: Header=BB243_13 Depth=1
	v_cmp_ne_u16_sdwa s[4:5], v1, s52 src0_sel:BYTE_0 src1_sel:DWORD
	v_mov_b32_e32 v37, 0x8000
	s_and_saveexec_b64 s[42:43], s[4:5]
	s_cbranch_execz .LBB243_95
; %bb.92:                               ;   in Loop: Header=BB243_13 Depth=1
	v_and_b32_e32 v3, 0x7f, v1
	v_cmp_ne_u32_e64 s[4:5], s53, v3
	v_mov_b32_e32 v37, 0x7c01
	s_and_saveexec_b64 s[44:45], s[4:5]
	s_cbranch_execz .LBB243_94
; %bb.93:                               ;   in Loop: Header=BB243_13 Depth=1
	v_and_b32_e32 v4, 7, v1
	v_ffbh_u32_e32 v9, v4
	v_min_u32_e32 v15, 32, v9
	v_subrev_u32_e32 v9, 28, v15
	v_lshlrev_b64 v[9:10], v9, v[1:2]
	v_lshrrev_b32_e32 v13, 3, v3
	v_sub_u32_e32 v10, 29, v15
	v_cmp_gt_u32_e64 s[4:5], 8, v3
	v_cndmask_b32_e64 v3, v13, v10, s[4:5]
	v_lshl_add_u32 v3, v3, 10, v20
	v_lshlrev_b32_e32 v10, 8, v1
	v_and_b32_e32 v9, 7, v9
	v_and_b32_e32 v3, 0xfc00, v3
	v_cndmask_b32_e64 v4, v4, v9, s[4:5]
	v_and_or_b32 v3, v10, s54, v3
	v_lshl_or_b32 v37, v4, 7, v3
.LBB243_94:                             ;   in Loop: Header=BB243_13 Depth=1
	s_or_b64 exec, exec, s[44:45]
.LBB243_95:                             ;   in Loop: Header=BB243_13 Depth=1
	s_or_b64 exec, exec, s[42:43]
.LBB243_96:                             ;   in Loop: Header=BB243_13 Depth=1
	s_or_b64 exec, exec, s[40:41]
	v_lshrrev_b16_e32 v1, 8, v1
	v_cmp_ne_u16_e64 s[4:5], 0, v1
	s_and_saveexec_b64 s[40:41], s[4:5]
	s_cbranch_execz .LBB243_102
; %bb.97:                               ;   in Loop: Header=BB243_13 Depth=1
	v_cmp_ne_u16_e64 s[4:5], s52, v1
	v_bfrev_b32_e32 v36, 1
	s_and_saveexec_b64 s[42:43], s[4:5]
	s_cbranch_execz .LBB243_101
; %bb.98:                               ;   in Loop: Header=BB243_13 Depth=1
	v_and_b32_e32 v3, 0x7f, v1
	v_cmp_ne_u32_e64 s[4:5], s53, v3
	v_mov_b32_e32 v36, 0x7c010000
	s_and_saveexec_b64 s[44:45], s[4:5]
	s_cbranch_execz .LBB243_100
; %bb.99:                               ;   in Loop: Header=BB243_13 Depth=1
	v_and_b32_e32 v4, 7, v1
	v_ffbh_u32_e32 v9, v4
	v_min_u32_e32 v15, 32, v9
	v_subrev_u32_e32 v9, 28, v15
	v_lshlrev_b64 v[9:10], v9, v[1:2]
	v_lshrrev_b32_e32 v13, 3, v3
	v_sub_u32_e32 v10, 29, v15
	v_cmp_gt_u32_e64 s[4:5], 8, v3
	v_cndmask_b32_e64 v3, v13, v10, s[4:5]
	v_lshlrev_b32_e32 v1, 8, v1
	v_lshl_add_u32 v3, v3, 10, v20
	v_and_b32_e32 v9, 7, v9
	v_and_or_b32 v1, v1, s54, v3
	v_cndmask_b32_e64 v4, v4, v9, s[4:5]
	v_lshlrev_b32_e32 v1, 16, v1
	v_lshl_or_b32 v36, v4, 23, v1
.LBB243_100:                            ;   in Loop: Header=BB243_13 Depth=1
	s_or_b64 exec, exec, s[44:45]
.LBB243_101:                            ;   in Loop: Header=BB243_13 Depth=1
	s_or_b64 exec, exec, s[42:43]
.LBB243_102:                            ;   in Loop: Header=BB243_13 Depth=1
	s_or_b64 exec, exec, s[40:41]
	global_load_ushort v3, v[7:8], off offset:776
	v_mov_b32_e32 v38, 0
	v_mov_b32_e32 v39, 0
	s_waitcnt vmcnt(0)
	v_and_b32_e32 v1, 0xffff, v3
	v_cmp_ne_u16_sdwa s[4:5], v3, v2 src0_sel:BYTE_0 src1_sel:DWORD
	s_and_saveexec_b64 s[40:41], s[4:5]
	s_cbranch_execz .LBB243_108
; %bb.103:                              ;   in Loop: Header=BB243_13 Depth=1
	v_cmp_ne_u16_sdwa s[4:5], v1, s52 src0_sel:BYTE_0 src1_sel:DWORD
	v_mov_b32_e32 v39, 0x8000
	s_and_saveexec_b64 s[42:43], s[4:5]
	s_cbranch_execz .LBB243_107
; %bb.104:                              ;   in Loop: Header=BB243_13 Depth=1
	v_and_b32_e32 v3, 0x7f, v1
	v_cmp_ne_u32_e64 s[4:5], s53, v3
	v_mov_b32_e32 v39, 0x7c01
	s_and_saveexec_b64 s[44:45], s[4:5]
	s_cbranch_execz .LBB243_106
; %bb.105:                              ;   in Loop: Header=BB243_13 Depth=1
	v_and_b32_e32 v4, 7, v1
	v_ffbh_u32_e32 v9, v4
	v_min_u32_e32 v15, 32, v9
	v_subrev_u32_e32 v9, 28, v15
	v_lshlrev_b64 v[9:10], v9, v[1:2]
	v_lshrrev_b32_e32 v13, 3, v3
	v_sub_u32_e32 v10, 29, v15
	v_cmp_gt_u32_e64 s[4:5], 8, v3
	v_cndmask_b32_e64 v3, v13, v10, s[4:5]
	v_lshl_add_u32 v3, v3, 10, v20
	v_lshlrev_b32_e32 v10, 8, v1
	v_and_b32_e32 v9, 7, v9
	v_and_b32_e32 v3, 0xfc00, v3
	v_cndmask_b32_e64 v4, v4, v9, s[4:5]
	v_and_or_b32 v3, v10, s54, v3
	v_lshl_or_b32 v39, v4, 7, v3
.LBB243_106:                            ;   in Loop: Header=BB243_13 Depth=1
	s_or_b64 exec, exec, s[44:45]
.LBB243_107:                            ;   in Loop: Header=BB243_13 Depth=1
	s_or_b64 exec, exec, s[42:43]
.LBB243_108:                            ;   in Loop: Header=BB243_13 Depth=1
	s_or_b64 exec, exec, s[40:41]
	v_lshrrev_b16_e32 v1, 8, v1
	v_cmp_ne_u16_e64 s[4:5], 0, v1
	s_and_saveexec_b64 s[40:41], s[4:5]
	s_cbranch_execz .LBB243_114
; %bb.109:                              ;   in Loop: Header=BB243_13 Depth=1
	v_cmp_ne_u16_e64 s[4:5], s52, v1
	v_bfrev_b32_e32 v38, 1
	s_and_saveexec_b64 s[42:43], s[4:5]
	s_cbranch_execz .LBB243_113
; %bb.110:                              ;   in Loop: Header=BB243_13 Depth=1
	v_and_b32_e32 v3, 0x7f, v1
	v_cmp_ne_u32_e64 s[4:5], s53, v3
	v_mov_b32_e32 v38, 0x7c010000
	s_and_saveexec_b64 s[44:45], s[4:5]
	s_cbranch_execz .LBB243_112
; %bb.111:                              ;   in Loop: Header=BB243_13 Depth=1
	v_and_b32_e32 v4, 7, v1
	v_ffbh_u32_e32 v9, v4
	v_min_u32_e32 v15, 32, v9
	v_subrev_u32_e32 v9, 28, v15
	v_lshlrev_b64 v[9:10], v9, v[1:2]
	v_lshrrev_b32_e32 v13, 3, v3
	v_sub_u32_e32 v10, 29, v15
	v_cmp_gt_u32_e64 s[4:5], 8, v3
	v_cndmask_b32_e64 v3, v13, v10, s[4:5]
	v_lshlrev_b32_e32 v1, 8, v1
	v_lshl_add_u32 v3, v3, 10, v20
	v_and_b32_e32 v9, 7, v9
	v_and_or_b32 v1, v1, s54, v3
	v_cndmask_b32_e64 v4, v4, v9, s[4:5]
	v_lshlrev_b32_e32 v1, 16, v1
	v_lshl_or_b32 v38, v4, 23, v1
.LBB243_112:                            ;   in Loop: Header=BB243_13 Depth=1
	s_or_b64 exec, exec, s[44:45]
.LBB243_113:                            ;   in Loop: Header=BB243_13 Depth=1
	s_or_b64 exec, exec, s[42:43]
.LBB243_114:                            ;   in Loop: Header=BB243_13 Depth=1
	s_or_b64 exec, exec, s[40:41]
	global_load_ushort v3, v[7:8], off offset:1024
	v_mov_b32_e32 v40, 0
	v_mov_b32_e32 v41, 0
	s_waitcnt vmcnt(0)
	v_and_b32_e32 v1, 0xffff, v3
	v_cmp_ne_u16_sdwa s[4:5], v3, v2 src0_sel:BYTE_0 src1_sel:DWORD
	s_and_saveexec_b64 s[40:41], s[4:5]
	s_cbranch_execz .LBB243_120
; %bb.115:                              ;   in Loop: Header=BB243_13 Depth=1
	v_cmp_ne_u16_sdwa s[4:5], v1, s52 src0_sel:BYTE_0 src1_sel:DWORD
	v_mov_b32_e32 v41, 0x8000
	s_and_saveexec_b64 s[42:43], s[4:5]
	s_cbranch_execz .LBB243_119
; %bb.116:                              ;   in Loop: Header=BB243_13 Depth=1
	v_and_b32_e32 v3, 0x7f, v1
	v_cmp_ne_u32_e64 s[4:5], s53, v3
	v_mov_b32_e32 v41, 0x7c01
	s_and_saveexec_b64 s[44:45], s[4:5]
	s_cbranch_execz .LBB243_118
; %bb.117:                              ;   in Loop: Header=BB243_13 Depth=1
	v_and_b32_e32 v4, 7, v1
	v_ffbh_u32_e32 v9, v4
	v_min_u32_e32 v15, 32, v9
	v_subrev_u32_e32 v9, 28, v15
	v_lshlrev_b64 v[9:10], v9, v[1:2]
	v_lshrrev_b32_e32 v13, 3, v3
	v_sub_u32_e32 v10, 29, v15
	v_cmp_gt_u32_e64 s[4:5], 8, v3
	v_cndmask_b32_e64 v3, v13, v10, s[4:5]
	v_lshl_add_u32 v3, v3, 10, v20
	v_lshlrev_b32_e32 v10, 8, v1
	v_and_b32_e32 v9, 7, v9
	v_and_b32_e32 v3, 0xfc00, v3
	v_cndmask_b32_e64 v4, v4, v9, s[4:5]
	v_and_or_b32 v3, v10, s54, v3
	v_lshl_or_b32 v41, v4, 7, v3
.LBB243_118:                            ;   in Loop: Header=BB243_13 Depth=1
	s_or_b64 exec, exec, s[44:45]
.LBB243_119:                            ;   in Loop: Header=BB243_13 Depth=1
	s_or_b64 exec, exec, s[42:43]
.LBB243_120:                            ;   in Loop: Header=BB243_13 Depth=1
	s_or_b64 exec, exec, s[40:41]
	v_lshrrev_b16_e32 v1, 8, v1
	v_cmp_ne_u16_e64 s[4:5], 0, v1
	s_and_saveexec_b64 s[40:41], s[4:5]
	s_cbranch_execz .LBB243_126
; %bb.121:                              ;   in Loop: Header=BB243_13 Depth=1
	v_cmp_ne_u16_e64 s[4:5], s52, v1
	v_bfrev_b32_e32 v40, 1
	s_and_saveexec_b64 s[42:43], s[4:5]
	s_cbranch_execz .LBB243_125
; %bb.122:                              ;   in Loop: Header=BB243_13 Depth=1
	v_and_b32_e32 v3, 0x7f, v1
	v_cmp_ne_u32_e64 s[4:5], s53, v3
	v_mov_b32_e32 v40, 0x7c010000
	s_and_saveexec_b64 s[44:45], s[4:5]
	s_cbranch_execz .LBB243_124
; %bb.123:                              ;   in Loop: Header=BB243_13 Depth=1
	v_and_b32_e32 v4, 7, v1
	v_ffbh_u32_e32 v9, v4
	v_min_u32_e32 v15, 32, v9
	v_subrev_u32_e32 v9, 28, v15
	v_lshlrev_b64 v[9:10], v9, v[1:2]
	v_lshrrev_b32_e32 v13, 3, v3
	v_sub_u32_e32 v10, 29, v15
	v_cmp_gt_u32_e64 s[4:5], 8, v3
	v_cndmask_b32_e64 v3, v13, v10, s[4:5]
	v_lshlrev_b32_e32 v1, 8, v1
	v_lshl_add_u32 v3, v3, 10, v20
	v_and_b32_e32 v9, 7, v9
	v_and_or_b32 v1, v1, s54, v3
	v_cndmask_b32_e64 v4, v4, v9, s[4:5]
	v_lshlrev_b32_e32 v1, 16, v1
	v_lshl_or_b32 v40, v4, 23, v1
.LBB243_124:                            ;   in Loop: Header=BB243_13 Depth=1
	s_or_b64 exec, exec, s[44:45]
.LBB243_125:                            ;   in Loop: Header=BB243_13 Depth=1
	s_or_b64 exec, exec, s[42:43]
.LBB243_126:                            ;   in Loop: Header=BB243_13 Depth=1
	s_or_b64 exec, exec, s[40:41]
	global_load_ushort v3, v[7:8], off offset:1032
	v_mov_b32_e32 v42, 0
	v_mov_b32_e32 v43, 0
	s_waitcnt vmcnt(0)
	v_and_b32_e32 v1, 0xffff, v3
	v_cmp_ne_u16_sdwa s[4:5], v3, v2 src0_sel:BYTE_0 src1_sel:DWORD
	s_and_saveexec_b64 s[40:41], s[4:5]
	s_cbranch_execz .LBB243_132
; %bb.127:                              ;   in Loop: Header=BB243_13 Depth=1
	v_cmp_ne_u16_sdwa s[4:5], v1, s52 src0_sel:BYTE_0 src1_sel:DWORD
	v_mov_b32_e32 v43, 0x8000
	s_and_saveexec_b64 s[42:43], s[4:5]
	s_cbranch_execz .LBB243_131
; %bb.128:                              ;   in Loop: Header=BB243_13 Depth=1
	v_and_b32_e32 v3, 0x7f, v1
	v_cmp_ne_u32_e64 s[4:5], s53, v3
	v_mov_b32_e32 v43, 0x7c01
	s_and_saveexec_b64 s[44:45], s[4:5]
	s_cbranch_execz .LBB243_130
; %bb.129:                              ;   in Loop: Header=BB243_13 Depth=1
	v_and_b32_e32 v4, 7, v1
	v_ffbh_u32_e32 v9, v4
	v_min_u32_e32 v15, 32, v9
	v_subrev_u32_e32 v9, 28, v15
	v_lshlrev_b64 v[9:10], v9, v[1:2]
	v_lshrrev_b32_e32 v13, 3, v3
	v_sub_u32_e32 v10, 29, v15
	v_cmp_gt_u32_e64 s[4:5], 8, v3
	v_cndmask_b32_e64 v3, v13, v10, s[4:5]
	v_lshl_add_u32 v3, v3, 10, v20
	v_lshlrev_b32_e32 v10, 8, v1
	v_and_b32_e32 v9, 7, v9
	v_and_b32_e32 v3, 0xfc00, v3
	v_cndmask_b32_e64 v4, v4, v9, s[4:5]
	v_and_or_b32 v3, v10, s54, v3
	v_lshl_or_b32 v43, v4, 7, v3
.LBB243_130:                            ;   in Loop: Header=BB243_13 Depth=1
	s_or_b64 exec, exec, s[44:45]
.LBB243_131:                            ;   in Loop: Header=BB243_13 Depth=1
	s_or_b64 exec, exec, s[42:43]
.LBB243_132:                            ;   in Loop: Header=BB243_13 Depth=1
	s_or_b64 exec, exec, s[40:41]
	v_lshrrev_b16_e32 v1, 8, v1
	v_cmp_ne_u16_e64 s[4:5], 0, v1
	s_and_saveexec_b64 s[40:41], s[4:5]
	s_cbranch_execz .LBB243_138
; %bb.133:                              ;   in Loop: Header=BB243_13 Depth=1
	v_cmp_ne_u16_e64 s[4:5], s52, v1
	v_bfrev_b32_e32 v42, 1
	s_and_saveexec_b64 s[42:43], s[4:5]
	s_cbranch_execz .LBB243_137
; %bb.134:                              ;   in Loop: Header=BB243_13 Depth=1
	v_and_b32_e32 v3, 0x7f, v1
	v_cmp_ne_u32_e64 s[4:5], s53, v3
	v_mov_b32_e32 v42, 0x7c010000
	s_and_saveexec_b64 s[44:45], s[4:5]
	s_cbranch_execz .LBB243_136
; %bb.135:                              ;   in Loop: Header=BB243_13 Depth=1
	v_and_b32_e32 v4, 7, v1
	v_ffbh_u32_e32 v9, v4
	v_min_u32_e32 v15, 32, v9
	v_subrev_u32_e32 v9, 28, v15
	v_lshlrev_b64 v[9:10], v9, v[1:2]
	v_lshrrev_b32_e32 v13, 3, v3
	v_sub_u32_e32 v10, 29, v15
	v_cmp_gt_u32_e64 s[4:5], 8, v3
	v_cndmask_b32_e64 v3, v13, v10, s[4:5]
	v_lshlrev_b32_e32 v1, 8, v1
	v_lshl_add_u32 v3, v3, 10, v20
	v_and_b32_e32 v9, 7, v9
	v_and_or_b32 v1, v1, s54, v3
	v_cndmask_b32_e64 v4, v4, v9, s[4:5]
	v_lshlrev_b32_e32 v1, 16, v1
	v_lshl_or_b32 v42, v4, 23, v1
.LBB243_136:                            ;   in Loop: Header=BB243_13 Depth=1
	s_or_b64 exec, exec, s[44:45]
.LBB243_137:                            ;   in Loop: Header=BB243_13 Depth=1
	s_or_b64 exec, exec, s[42:43]
.LBB243_138:                            ;   in Loop: Header=BB243_13 Depth=1
	s_or_b64 exec, exec, s[40:41]
	global_load_ushort v3, v[7:8], off offset:1280
	v_mov_b32_e32 v44, 0
	v_mov_b32_e32 v45, 0
	s_waitcnt vmcnt(0)
	v_and_b32_e32 v1, 0xffff, v3
	v_cmp_ne_u16_sdwa s[4:5], v3, v2 src0_sel:BYTE_0 src1_sel:DWORD
	s_and_saveexec_b64 s[40:41], s[4:5]
	s_cbranch_execz .LBB243_144
; %bb.139:                              ;   in Loop: Header=BB243_13 Depth=1
	v_cmp_ne_u16_sdwa s[4:5], v1, s52 src0_sel:BYTE_0 src1_sel:DWORD
	v_mov_b32_e32 v45, 0x8000
	s_and_saveexec_b64 s[42:43], s[4:5]
	s_cbranch_execz .LBB243_143
; %bb.140:                              ;   in Loop: Header=BB243_13 Depth=1
	v_and_b32_e32 v3, 0x7f, v1
	v_cmp_ne_u32_e64 s[4:5], s53, v3
	v_mov_b32_e32 v45, 0x7c01
	s_and_saveexec_b64 s[44:45], s[4:5]
	s_cbranch_execz .LBB243_142
; %bb.141:                              ;   in Loop: Header=BB243_13 Depth=1
	v_and_b32_e32 v4, 7, v1
	v_ffbh_u32_e32 v9, v4
	v_min_u32_e32 v15, 32, v9
	v_subrev_u32_e32 v9, 28, v15
	v_lshlrev_b64 v[9:10], v9, v[1:2]
	v_lshrrev_b32_e32 v13, 3, v3
	v_sub_u32_e32 v10, 29, v15
	v_cmp_gt_u32_e64 s[4:5], 8, v3
	v_cndmask_b32_e64 v3, v13, v10, s[4:5]
	v_lshl_add_u32 v3, v3, 10, v20
	v_lshlrev_b32_e32 v10, 8, v1
	v_and_b32_e32 v9, 7, v9
	v_and_b32_e32 v3, 0xfc00, v3
	v_cndmask_b32_e64 v4, v4, v9, s[4:5]
	v_and_or_b32 v3, v10, s54, v3
	v_lshl_or_b32 v45, v4, 7, v3
.LBB243_142:                            ;   in Loop: Header=BB243_13 Depth=1
	s_or_b64 exec, exec, s[44:45]
.LBB243_143:                            ;   in Loop: Header=BB243_13 Depth=1
	s_or_b64 exec, exec, s[42:43]
.LBB243_144:                            ;   in Loop: Header=BB243_13 Depth=1
	s_or_b64 exec, exec, s[40:41]
	v_lshrrev_b16_e32 v1, 8, v1
	v_cmp_ne_u16_e64 s[4:5], 0, v1
	s_and_saveexec_b64 s[40:41], s[4:5]
	s_cbranch_execz .LBB243_150
; %bb.145:                              ;   in Loop: Header=BB243_13 Depth=1
	v_cmp_ne_u16_e64 s[4:5], s52, v1
	v_bfrev_b32_e32 v44, 1
	s_and_saveexec_b64 s[42:43], s[4:5]
	s_cbranch_execz .LBB243_149
; %bb.146:                              ;   in Loop: Header=BB243_13 Depth=1
	v_and_b32_e32 v3, 0x7f, v1
	v_cmp_ne_u32_e64 s[4:5], s53, v3
	v_mov_b32_e32 v44, 0x7c010000
	s_and_saveexec_b64 s[44:45], s[4:5]
	s_cbranch_execz .LBB243_148
; %bb.147:                              ;   in Loop: Header=BB243_13 Depth=1
	v_and_b32_e32 v4, 7, v1
	v_ffbh_u32_e32 v9, v4
	v_min_u32_e32 v15, 32, v9
	v_subrev_u32_e32 v9, 28, v15
	v_lshlrev_b64 v[9:10], v9, v[1:2]
	v_lshrrev_b32_e32 v13, 3, v3
	v_sub_u32_e32 v10, 29, v15
	v_cmp_gt_u32_e64 s[4:5], 8, v3
	v_cndmask_b32_e64 v3, v13, v10, s[4:5]
	v_lshlrev_b32_e32 v1, 8, v1
	v_lshl_add_u32 v3, v3, 10, v20
	v_and_b32_e32 v9, 7, v9
	v_and_or_b32 v1, v1, s54, v3
	v_cndmask_b32_e64 v4, v4, v9, s[4:5]
	v_lshlrev_b32_e32 v1, 16, v1
	v_lshl_or_b32 v44, v4, 23, v1
.LBB243_148:                            ;   in Loop: Header=BB243_13 Depth=1
	s_or_b64 exec, exec, s[44:45]
.LBB243_149:                            ;   in Loop: Header=BB243_13 Depth=1
	s_or_b64 exec, exec, s[42:43]
.LBB243_150:                            ;   in Loop: Header=BB243_13 Depth=1
	s_or_b64 exec, exec, s[40:41]
	global_load_ushort v3, v[7:8], off offset:1288
	v_mov_b32_e32 v46, 0
	v_mov_b32_e32 v47, 0
	s_waitcnt vmcnt(0)
	v_and_b32_e32 v1, 0xffff, v3
	v_cmp_ne_u16_sdwa s[4:5], v3, v2 src0_sel:BYTE_0 src1_sel:DWORD
	s_and_saveexec_b64 s[40:41], s[4:5]
	s_cbranch_execz .LBB243_156
; %bb.151:                              ;   in Loop: Header=BB243_13 Depth=1
	v_cmp_ne_u16_sdwa s[4:5], v1, s52 src0_sel:BYTE_0 src1_sel:DWORD
	v_mov_b32_e32 v47, 0x8000
	s_and_saveexec_b64 s[42:43], s[4:5]
	s_cbranch_execz .LBB243_155
; %bb.152:                              ;   in Loop: Header=BB243_13 Depth=1
	v_and_b32_e32 v3, 0x7f, v1
	v_cmp_ne_u32_e64 s[4:5], s53, v3
	v_mov_b32_e32 v47, 0x7c01
	s_and_saveexec_b64 s[44:45], s[4:5]
	s_cbranch_execz .LBB243_154
; %bb.153:                              ;   in Loop: Header=BB243_13 Depth=1
	v_and_b32_e32 v4, 7, v1
	v_ffbh_u32_e32 v9, v4
	v_min_u32_e32 v15, 32, v9
	v_subrev_u32_e32 v9, 28, v15
	v_lshlrev_b64 v[9:10], v9, v[1:2]
	v_lshrrev_b32_e32 v13, 3, v3
	v_sub_u32_e32 v10, 29, v15
	v_cmp_gt_u32_e64 s[4:5], 8, v3
	v_cndmask_b32_e64 v3, v13, v10, s[4:5]
	v_lshl_add_u32 v3, v3, 10, v20
	v_lshlrev_b32_e32 v10, 8, v1
	v_and_b32_e32 v9, 7, v9
	v_and_b32_e32 v3, 0xfc00, v3
	v_cndmask_b32_e64 v4, v4, v9, s[4:5]
	v_and_or_b32 v3, v10, s54, v3
	v_lshl_or_b32 v47, v4, 7, v3
.LBB243_154:                            ;   in Loop: Header=BB243_13 Depth=1
	s_or_b64 exec, exec, s[44:45]
.LBB243_155:                            ;   in Loop: Header=BB243_13 Depth=1
	s_or_b64 exec, exec, s[42:43]
.LBB243_156:                            ;   in Loop: Header=BB243_13 Depth=1
	s_or_b64 exec, exec, s[40:41]
	v_lshrrev_b16_e32 v1, 8, v1
	v_cmp_ne_u16_e64 s[4:5], 0, v1
	s_and_saveexec_b64 s[40:41], s[4:5]
	s_cbranch_execz .LBB243_162
; %bb.157:                              ;   in Loop: Header=BB243_13 Depth=1
	v_cmp_ne_u16_e64 s[4:5], s52, v1
	v_bfrev_b32_e32 v46, 1
	s_and_saveexec_b64 s[42:43], s[4:5]
	s_cbranch_execz .LBB243_161
; %bb.158:                              ;   in Loop: Header=BB243_13 Depth=1
	v_and_b32_e32 v3, 0x7f, v1
	v_cmp_ne_u32_e64 s[4:5], s53, v3
	v_mov_b32_e32 v46, 0x7c010000
	s_and_saveexec_b64 s[44:45], s[4:5]
	s_cbranch_execz .LBB243_160
; %bb.159:                              ;   in Loop: Header=BB243_13 Depth=1
	v_and_b32_e32 v4, 7, v1
	v_ffbh_u32_e32 v9, v4
	v_min_u32_e32 v15, 32, v9
	v_subrev_u32_e32 v9, 28, v15
	v_lshlrev_b64 v[9:10], v9, v[1:2]
	v_lshrrev_b32_e32 v13, 3, v3
	v_sub_u32_e32 v10, 29, v15
	v_cmp_gt_u32_e64 s[4:5], 8, v3
	v_cndmask_b32_e64 v3, v13, v10, s[4:5]
	v_lshlrev_b32_e32 v1, 8, v1
	v_lshl_add_u32 v3, v3, 10, v20
	v_and_b32_e32 v9, 7, v9
	v_and_or_b32 v1, v1, s54, v3
	v_cndmask_b32_e64 v4, v4, v9, s[4:5]
	v_lshlrev_b32_e32 v1, 16, v1
	v_lshl_or_b32 v46, v4, 23, v1
.LBB243_160:                            ;   in Loop: Header=BB243_13 Depth=1
	s_or_b64 exec, exec, s[44:45]
.LBB243_161:                            ;   in Loop: Header=BB243_13 Depth=1
	s_or_b64 exec, exec, s[42:43]
.LBB243_162:                            ;   in Loop: Header=BB243_13 Depth=1
	s_or_b64 exec, exec, s[40:41]
	global_load_ushort v3, v[7:8], off offset:1536
	v_mov_b32_e32 v48, 0
	v_mov_b32_e32 v49, 0
	s_waitcnt vmcnt(0)
	v_and_b32_e32 v1, 0xffff, v3
	v_cmp_ne_u16_sdwa s[4:5], v3, v2 src0_sel:BYTE_0 src1_sel:DWORD
	s_and_saveexec_b64 s[40:41], s[4:5]
	s_cbranch_execz .LBB243_168
; %bb.163:                              ;   in Loop: Header=BB243_13 Depth=1
	v_cmp_ne_u16_sdwa s[4:5], v1, s52 src0_sel:BYTE_0 src1_sel:DWORD
	v_mov_b32_e32 v49, 0x8000
	s_and_saveexec_b64 s[42:43], s[4:5]
	s_cbranch_execz .LBB243_167
; %bb.164:                              ;   in Loop: Header=BB243_13 Depth=1
	v_and_b32_e32 v3, 0x7f, v1
	v_cmp_ne_u32_e64 s[4:5], s53, v3
	v_mov_b32_e32 v49, 0x7c01
	s_and_saveexec_b64 s[44:45], s[4:5]
	s_cbranch_execz .LBB243_166
; %bb.165:                              ;   in Loop: Header=BB243_13 Depth=1
	v_and_b32_e32 v4, 7, v1
	v_ffbh_u32_e32 v9, v4
	v_min_u32_e32 v15, 32, v9
	v_subrev_u32_e32 v9, 28, v15
	v_lshlrev_b64 v[9:10], v9, v[1:2]
	v_lshrrev_b32_e32 v13, 3, v3
	v_sub_u32_e32 v10, 29, v15
	v_cmp_gt_u32_e64 s[4:5], 8, v3
	v_cndmask_b32_e64 v3, v13, v10, s[4:5]
	v_lshl_add_u32 v3, v3, 10, v20
	v_lshlrev_b32_e32 v10, 8, v1
	v_and_b32_e32 v9, 7, v9
	v_and_b32_e32 v3, 0xfc00, v3
	v_cndmask_b32_e64 v4, v4, v9, s[4:5]
	v_and_or_b32 v3, v10, s54, v3
	v_lshl_or_b32 v49, v4, 7, v3
.LBB243_166:                            ;   in Loop: Header=BB243_13 Depth=1
	s_or_b64 exec, exec, s[44:45]
.LBB243_167:                            ;   in Loop: Header=BB243_13 Depth=1
	s_or_b64 exec, exec, s[42:43]
.LBB243_168:                            ;   in Loop: Header=BB243_13 Depth=1
	s_or_b64 exec, exec, s[40:41]
	v_lshrrev_b16_e32 v1, 8, v1
	v_cmp_ne_u16_e64 s[4:5], 0, v1
	s_and_saveexec_b64 s[40:41], s[4:5]
	s_cbranch_execz .LBB243_174
; %bb.169:                              ;   in Loop: Header=BB243_13 Depth=1
	v_cmp_ne_u16_e64 s[4:5], s52, v1
	v_bfrev_b32_e32 v48, 1
	s_and_saveexec_b64 s[42:43], s[4:5]
	s_cbranch_execz .LBB243_173
; %bb.170:                              ;   in Loop: Header=BB243_13 Depth=1
	v_and_b32_e32 v3, 0x7f, v1
	v_cmp_ne_u32_e64 s[4:5], s53, v3
	v_mov_b32_e32 v48, 0x7c010000
	s_and_saveexec_b64 s[44:45], s[4:5]
	s_cbranch_execz .LBB243_172
; %bb.171:                              ;   in Loop: Header=BB243_13 Depth=1
	v_and_b32_e32 v4, 7, v1
	v_ffbh_u32_e32 v9, v4
	v_min_u32_e32 v15, 32, v9
	v_subrev_u32_e32 v9, 28, v15
	v_lshlrev_b64 v[9:10], v9, v[1:2]
	v_lshrrev_b32_e32 v13, 3, v3
	v_sub_u32_e32 v10, 29, v15
	v_cmp_gt_u32_e64 s[4:5], 8, v3
	v_cndmask_b32_e64 v3, v13, v10, s[4:5]
	v_lshlrev_b32_e32 v1, 8, v1
	v_lshl_add_u32 v3, v3, 10, v20
	v_and_b32_e32 v9, 7, v9
	v_and_or_b32 v1, v1, s54, v3
	v_cndmask_b32_e64 v4, v4, v9, s[4:5]
	v_lshlrev_b32_e32 v1, 16, v1
	v_lshl_or_b32 v48, v4, 23, v1
.LBB243_172:                            ;   in Loop: Header=BB243_13 Depth=1
	s_or_b64 exec, exec, s[44:45]
.LBB243_173:                            ;   in Loop: Header=BB243_13 Depth=1
	s_or_b64 exec, exec, s[42:43]
.LBB243_174:                            ;   in Loop: Header=BB243_13 Depth=1
	s_or_b64 exec, exec, s[40:41]
	global_load_ushort v3, v[7:8], off offset:1544
	v_mov_b32_e32 v50, 0
	v_mov_b32_e32 v51, 0
	s_waitcnt vmcnt(0)
	v_and_b32_e32 v1, 0xffff, v3
	v_cmp_ne_u16_sdwa s[4:5], v3, v2 src0_sel:BYTE_0 src1_sel:DWORD
	s_and_saveexec_b64 s[40:41], s[4:5]
	s_cbranch_execz .LBB243_180
; %bb.175:                              ;   in Loop: Header=BB243_13 Depth=1
	v_cmp_ne_u16_sdwa s[4:5], v1, s52 src0_sel:BYTE_0 src1_sel:DWORD
	v_mov_b32_e32 v51, 0x8000
	s_and_saveexec_b64 s[42:43], s[4:5]
	s_cbranch_execz .LBB243_179
; %bb.176:                              ;   in Loop: Header=BB243_13 Depth=1
	v_and_b32_e32 v3, 0x7f, v1
	v_cmp_ne_u32_e64 s[4:5], s53, v3
	v_mov_b32_e32 v51, 0x7c01
	s_and_saveexec_b64 s[44:45], s[4:5]
	s_cbranch_execz .LBB243_178
; %bb.177:                              ;   in Loop: Header=BB243_13 Depth=1
	v_and_b32_e32 v4, 7, v1
	v_ffbh_u32_e32 v9, v4
	v_min_u32_e32 v15, 32, v9
	v_subrev_u32_e32 v9, 28, v15
	v_lshlrev_b64 v[9:10], v9, v[1:2]
	v_lshrrev_b32_e32 v13, 3, v3
	v_sub_u32_e32 v10, 29, v15
	v_cmp_gt_u32_e64 s[4:5], 8, v3
	v_cndmask_b32_e64 v3, v13, v10, s[4:5]
	v_lshl_add_u32 v3, v3, 10, v20
	v_lshlrev_b32_e32 v10, 8, v1
	v_and_b32_e32 v9, 7, v9
	v_and_b32_e32 v3, 0xfc00, v3
	v_cndmask_b32_e64 v4, v4, v9, s[4:5]
	v_and_or_b32 v3, v10, s54, v3
	v_lshl_or_b32 v51, v4, 7, v3
.LBB243_178:                            ;   in Loop: Header=BB243_13 Depth=1
	s_or_b64 exec, exec, s[44:45]
.LBB243_179:                            ;   in Loop: Header=BB243_13 Depth=1
	s_or_b64 exec, exec, s[42:43]
.LBB243_180:                            ;   in Loop: Header=BB243_13 Depth=1
	s_or_b64 exec, exec, s[40:41]
	v_lshrrev_b16_e32 v1, 8, v1
	v_cmp_ne_u16_e64 s[4:5], 0, v1
	s_and_saveexec_b64 s[40:41], s[4:5]
	s_cbranch_execz .LBB243_186
; %bb.181:                              ;   in Loop: Header=BB243_13 Depth=1
	v_cmp_ne_u16_e64 s[4:5], s52, v1
	v_bfrev_b32_e32 v50, 1
	s_and_saveexec_b64 s[42:43], s[4:5]
	s_cbranch_execz .LBB243_185
; %bb.182:                              ;   in Loop: Header=BB243_13 Depth=1
	v_and_b32_e32 v3, 0x7f, v1
	v_cmp_ne_u32_e64 s[4:5], s53, v3
	v_mov_b32_e32 v50, 0x7c010000
	s_and_saveexec_b64 s[44:45], s[4:5]
	s_cbranch_execz .LBB243_184
; %bb.183:                              ;   in Loop: Header=BB243_13 Depth=1
	v_and_b32_e32 v4, 7, v1
	v_ffbh_u32_e32 v9, v4
	v_min_u32_e32 v15, 32, v9
	v_subrev_u32_e32 v9, 28, v15
	v_lshlrev_b64 v[9:10], v9, v[1:2]
	v_lshrrev_b32_e32 v13, 3, v3
	v_sub_u32_e32 v10, 29, v15
	v_cmp_gt_u32_e64 s[4:5], 8, v3
	v_cndmask_b32_e64 v3, v13, v10, s[4:5]
	v_lshlrev_b32_e32 v1, 8, v1
	v_lshl_add_u32 v3, v3, 10, v20
	v_and_b32_e32 v9, 7, v9
	v_and_or_b32 v1, v1, s54, v3
	v_cndmask_b32_e64 v4, v4, v9, s[4:5]
	v_lshlrev_b32_e32 v1, 16, v1
	v_lshl_or_b32 v50, v4, 23, v1
.LBB243_184:                            ;   in Loop: Header=BB243_13 Depth=1
	s_or_b64 exec, exec, s[44:45]
.LBB243_185:                            ;   in Loop: Header=BB243_13 Depth=1
	s_or_b64 exec, exec, s[42:43]
.LBB243_186:                            ;   in Loop: Header=BB243_13 Depth=1
	s_or_b64 exec, exec, s[40:41]
	global_load_ushort v3, v[7:8], off offset:1792
	v_mov_b32_e32 v52, 0
	v_mov_b32_e32 v53, 0
	s_waitcnt vmcnt(0)
	v_and_b32_e32 v1, 0xffff, v3
	v_cmp_ne_u16_sdwa s[4:5], v3, v2 src0_sel:BYTE_0 src1_sel:DWORD
	s_and_saveexec_b64 s[40:41], s[4:5]
	s_cbranch_execz .LBB243_192
; %bb.187:                              ;   in Loop: Header=BB243_13 Depth=1
	v_cmp_ne_u16_sdwa s[4:5], v1, s52 src0_sel:BYTE_0 src1_sel:DWORD
	v_mov_b32_e32 v53, 0x8000
	s_and_saveexec_b64 s[42:43], s[4:5]
	s_cbranch_execz .LBB243_191
; %bb.188:                              ;   in Loop: Header=BB243_13 Depth=1
	v_and_b32_e32 v3, 0x7f, v1
	v_cmp_ne_u32_e64 s[4:5], s53, v3
	v_mov_b32_e32 v53, 0x7c01
	s_and_saveexec_b64 s[44:45], s[4:5]
	s_cbranch_execz .LBB243_190
; %bb.189:                              ;   in Loop: Header=BB243_13 Depth=1
	v_and_b32_e32 v4, 7, v1
	v_ffbh_u32_e32 v9, v4
	v_min_u32_e32 v15, 32, v9
	v_subrev_u32_e32 v9, 28, v15
	v_lshlrev_b64 v[9:10], v9, v[1:2]
	v_lshrrev_b32_e32 v13, 3, v3
	v_sub_u32_e32 v10, 29, v15
	v_cmp_gt_u32_e64 s[4:5], 8, v3
	v_cndmask_b32_e64 v3, v13, v10, s[4:5]
	v_lshl_add_u32 v3, v3, 10, v20
	v_lshlrev_b32_e32 v10, 8, v1
	v_and_b32_e32 v9, 7, v9
	v_and_b32_e32 v3, 0xfc00, v3
	v_cndmask_b32_e64 v4, v4, v9, s[4:5]
	v_and_or_b32 v3, v10, s54, v3
	v_lshl_or_b32 v53, v4, 7, v3
.LBB243_190:                            ;   in Loop: Header=BB243_13 Depth=1
	s_or_b64 exec, exec, s[44:45]
.LBB243_191:                            ;   in Loop: Header=BB243_13 Depth=1
	s_or_b64 exec, exec, s[42:43]
.LBB243_192:                            ;   in Loop: Header=BB243_13 Depth=1
	s_or_b64 exec, exec, s[40:41]
	v_lshrrev_b16_e32 v1, 8, v1
	v_cmp_ne_u16_e64 s[4:5], 0, v1
	s_and_saveexec_b64 s[40:41], s[4:5]
	s_cbranch_execz .LBB243_198
; %bb.193:                              ;   in Loop: Header=BB243_13 Depth=1
	v_cmp_ne_u16_e64 s[4:5], s52, v1
	v_bfrev_b32_e32 v52, 1
	s_and_saveexec_b64 s[42:43], s[4:5]
	s_cbranch_execz .LBB243_197
; %bb.194:                              ;   in Loop: Header=BB243_13 Depth=1
	v_and_b32_e32 v3, 0x7f, v1
	v_cmp_ne_u32_e64 s[4:5], s53, v3
	v_mov_b32_e32 v52, 0x7c010000
	s_and_saveexec_b64 s[44:45], s[4:5]
	s_cbranch_execz .LBB243_196
; %bb.195:                              ;   in Loop: Header=BB243_13 Depth=1
	v_and_b32_e32 v4, 7, v1
	v_ffbh_u32_e32 v9, v4
	v_min_u32_e32 v15, 32, v9
	v_subrev_u32_e32 v9, 28, v15
	v_lshlrev_b64 v[9:10], v9, v[1:2]
	v_lshrrev_b32_e32 v13, 3, v3
	v_sub_u32_e32 v10, 29, v15
	v_cmp_gt_u32_e64 s[4:5], 8, v3
	v_cndmask_b32_e64 v3, v13, v10, s[4:5]
	v_lshlrev_b32_e32 v1, 8, v1
	v_lshl_add_u32 v3, v3, 10, v20
	v_and_b32_e32 v9, 7, v9
	v_and_or_b32 v1, v1, s54, v3
	v_cndmask_b32_e64 v4, v4, v9, s[4:5]
	v_lshlrev_b32_e32 v1, 16, v1
	v_lshl_or_b32 v52, v4, 23, v1
.LBB243_196:                            ;   in Loop: Header=BB243_13 Depth=1
	s_or_b64 exec, exec, s[44:45]
.LBB243_197:                            ;   in Loop: Header=BB243_13 Depth=1
	s_or_b64 exec, exec, s[42:43]
.LBB243_198:                            ;   in Loop: Header=BB243_13 Depth=1
	s_or_b64 exec, exec, s[40:41]
	global_load_ushort v3, v[7:8], off offset:1800
	v_mov_b32_e32 v56, 0
	v_mov_b32_e32 v57, 0
	s_waitcnt vmcnt(0)
	v_and_b32_e32 v1, 0xffff, v3
	v_cmp_ne_u16_sdwa s[4:5], v3, v2 src0_sel:BYTE_0 src1_sel:DWORD
	s_and_saveexec_b64 s[40:41], s[4:5]
	s_cbranch_execz .LBB243_204
; %bb.199:                              ;   in Loop: Header=BB243_13 Depth=1
	v_cmp_ne_u16_sdwa s[4:5], v1, s52 src0_sel:BYTE_0 src1_sel:DWORD
	v_mov_b32_e32 v57, 0x8000
	s_and_saveexec_b64 s[42:43], s[4:5]
	s_cbranch_execz .LBB243_203
; %bb.200:                              ;   in Loop: Header=BB243_13 Depth=1
	v_and_b32_e32 v3, 0x7f, v1
	v_cmp_ne_u32_e64 s[4:5], s53, v3
	v_mov_b32_e32 v57, 0x7c01
	s_and_saveexec_b64 s[44:45], s[4:5]
	s_cbranch_execz .LBB243_202
; %bb.201:                              ;   in Loop: Header=BB243_13 Depth=1
	v_and_b32_e32 v4, 7, v1
	v_ffbh_u32_e32 v9, v4
	v_min_u32_e32 v15, 32, v9
	v_subrev_u32_e32 v9, 28, v15
	v_lshlrev_b64 v[9:10], v9, v[1:2]
	v_lshrrev_b32_e32 v13, 3, v3
	v_sub_u32_e32 v10, 29, v15
	v_cmp_gt_u32_e64 s[4:5], 8, v3
	v_cndmask_b32_e64 v3, v13, v10, s[4:5]
	v_lshl_add_u32 v3, v3, 10, v20
	v_lshlrev_b32_e32 v10, 8, v1
	v_and_b32_e32 v9, 7, v9
	v_and_b32_e32 v3, 0xfc00, v3
	v_cndmask_b32_e64 v4, v4, v9, s[4:5]
	v_and_or_b32 v3, v10, s54, v3
	v_lshl_or_b32 v57, v4, 7, v3
.LBB243_202:                            ;   in Loop: Header=BB243_13 Depth=1
	s_or_b64 exec, exec, s[44:45]
.LBB243_203:                            ;   in Loop: Header=BB243_13 Depth=1
	s_or_b64 exec, exec, s[42:43]
.LBB243_204:                            ;   in Loop: Header=BB243_13 Depth=1
	s_or_b64 exec, exec, s[40:41]
	v_lshrrev_b16_e32 v1, 8, v1
	v_cmp_ne_u16_e64 s[4:5], 0, v1
	s_and_saveexec_b64 s[40:41], s[4:5]
	s_cbranch_execz .LBB243_210
; %bb.205:                              ;   in Loop: Header=BB243_13 Depth=1
	v_cmp_ne_u16_e64 s[4:5], s52, v1
	v_bfrev_b32_e32 v56, 1
	s_and_saveexec_b64 s[42:43], s[4:5]
	s_cbranch_execz .LBB243_209
; %bb.206:                              ;   in Loop: Header=BB243_13 Depth=1
	v_and_b32_e32 v3, 0x7f, v1
	v_cmp_ne_u32_e64 s[4:5], s53, v3
	v_mov_b32_e32 v56, 0x7c010000
	s_and_saveexec_b64 s[44:45], s[4:5]
	s_cbranch_execz .LBB243_208
; %bb.207:                              ;   in Loop: Header=BB243_13 Depth=1
	v_and_b32_e32 v4, 7, v1
	v_ffbh_u32_e32 v9, v4
	v_min_u32_e32 v15, 32, v9
	v_subrev_u32_e32 v9, 28, v15
	v_lshlrev_b64 v[9:10], v9, v[1:2]
	v_lshrrev_b32_e32 v13, 3, v3
	v_sub_u32_e32 v10, 29, v15
	v_cmp_gt_u32_e64 s[4:5], 8, v3
	v_cndmask_b32_e64 v3, v13, v10, s[4:5]
	v_lshlrev_b32_e32 v1, 8, v1
	v_lshl_add_u32 v3, v3, 10, v20
	v_and_b32_e32 v9, 7, v9
	v_and_or_b32 v1, v1, s54, v3
	v_cndmask_b32_e64 v4, v4, v9, s[4:5]
	v_lshlrev_b32_e32 v1, 16, v1
	v_lshl_or_b32 v56, v4, 23, v1
.LBB243_208:                            ;   in Loop: Header=BB243_13 Depth=1
	s_or_b64 exec, exec, s[44:45]
.LBB243_209:                            ;   in Loop: Header=BB243_13 Depth=1
	s_or_b64 exec, exec, s[42:43]
.LBB243_210:                            ;   in Loop: Header=BB243_13 Depth=1
	s_or_b64 exec, exec, s[40:41]
	global_load_ushort v3, v[7:8], off offset:2048
	v_mov_b32_e32 v9, 0
	v_mov_b32_e32 v10, 0
	s_waitcnt vmcnt(0)
	v_and_b32_e32 v1, 0xffff, v3
	v_cmp_ne_u16_sdwa s[4:5], v3, v2 src0_sel:BYTE_0 src1_sel:DWORD
	s_and_saveexec_b64 s[40:41], s[4:5]
	s_cbranch_execz .LBB243_216
; %bb.211:                              ;   in Loop: Header=BB243_13 Depth=1
	v_cmp_ne_u16_sdwa s[4:5], v1, s52 src0_sel:BYTE_0 src1_sel:DWORD
	v_mov_b32_e32 v10, 0x8000
	s_and_saveexec_b64 s[42:43], s[4:5]
	s_cbranch_execz .LBB243_215
; %bb.212:                              ;   in Loop: Header=BB243_13 Depth=1
	v_and_b32_e32 v3, 0x7f, v1
	v_cmp_ne_u32_e64 s[4:5], s53, v3
	v_mov_b32_e32 v10, 0x7c01
	s_and_saveexec_b64 s[44:45], s[4:5]
	s_cbranch_execz .LBB243_214
; %bb.213:                              ;   in Loop: Header=BB243_13 Depth=1
	v_and_b32_e32 v10, 7, v1
	v_lshrrev_b32_e32 v13, 3, v3
	v_cmp_gt_u32_e64 s[4:5], 8, v3
	v_ffbh_u32_e32 v3, v10
	v_min_u32_e32 v15, 32, v3
	v_subrev_u32_e32 v3, 28, v15
	v_lshlrev_b64 v[3:4], v3, v[1:2]
	v_sub_u32_e32 v4, 29, v15
	v_cndmask_b32_e64 v4, v13, v4, s[4:5]
	v_lshl_add_u32 v4, v4, 10, v20
	v_lshlrev_b32_e32 v13, 8, v1
	v_and_b32_e32 v3, 7, v3
	v_and_b32_e32 v4, 0xfc00, v4
	v_cndmask_b32_e64 v3, v10, v3, s[4:5]
	v_and_or_b32 v4, v13, s54, v4
	v_lshl_or_b32 v10, v3, 7, v4
.LBB243_214:                            ;   in Loop: Header=BB243_13 Depth=1
	s_or_b64 exec, exec, s[44:45]
.LBB243_215:                            ;   in Loop: Header=BB243_13 Depth=1
	s_or_b64 exec, exec, s[42:43]
.LBB243_216:                            ;   in Loop: Header=BB243_13 Depth=1
	s_or_b64 exec, exec, s[40:41]
	v_lshrrev_b16_e32 v1, 8, v1
	v_cmp_ne_u16_e64 s[4:5], 0, v1
	s_and_saveexec_b64 s[40:41], s[4:5]
	s_cbranch_execz .LBB243_222
; %bb.217:                              ;   in Loop: Header=BB243_13 Depth=1
	v_cmp_ne_u16_e64 s[4:5], s52, v1
	v_bfrev_b32_e32 v9, 1
	s_and_saveexec_b64 s[42:43], s[4:5]
	s_cbranch_execz .LBB243_221
; %bb.218:                              ;   in Loop: Header=BB243_13 Depth=1
	v_and_b32_e32 v3, 0x7f, v1
	v_cmp_ne_u32_e64 s[4:5], s53, v3
	v_mov_b32_e32 v9, 0x7c010000
	s_and_saveexec_b64 s[44:45], s[4:5]
	s_cbranch_execz .LBB243_220
; %bb.219:                              ;   in Loop: Header=BB243_13 Depth=1
	v_and_b32_e32 v9, 7, v1
	v_lshrrev_b32_e32 v13, 3, v3
	v_cmp_gt_u32_e64 s[4:5], 8, v3
	v_ffbh_u32_e32 v3, v9
	v_min_u32_e32 v15, 32, v3
	v_subrev_u32_e32 v3, 28, v15
	v_lshlrev_b64 v[3:4], v3, v[1:2]
	v_sub_u32_e32 v4, 29, v15
	v_cndmask_b32_e64 v4, v13, v4, s[4:5]
	v_lshlrev_b32_e32 v1, 8, v1
	v_lshl_add_u32 v4, v4, 10, v20
	v_and_b32_e32 v3, 7, v3
	v_and_or_b32 v1, v1, s54, v4
	v_cndmask_b32_e64 v3, v9, v3, s[4:5]
	v_lshlrev_b32_e32 v1, 16, v1
	v_lshl_or_b32 v9, v3, 23, v1
.LBB243_220:                            ;   in Loop: Header=BB243_13 Depth=1
	s_or_b64 exec, exec, s[44:45]
.LBB243_221:                            ;   in Loop: Header=BB243_13 Depth=1
	s_or_b64 exec, exec, s[42:43]
.LBB243_222:                            ;   in Loop: Header=BB243_13 Depth=1
	s_or_b64 exec, exec, s[40:41]
	global_load_ushort v3, v[7:8], off offset:2056
	v_mov_b32_e32 v13, 0
	v_mov_b32_e32 v18, 0
	s_waitcnt vmcnt(0)
	v_and_b32_e32 v1, 0xffff, v3
	v_cmp_ne_u16_sdwa s[4:5], v3, v2 src0_sel:BYTE_0 src1_sel:DWORD
	s_and_saveexec_b64 s[40:41], s[4:5]
	s_cbranch_execz .LBB243_228
; %bb.223:                              ;   in Loop: Header=BB243_13 Depth=1
	v_cmp_ne_u16_sdwa s[4:5], v1, s52 src0_sel:BYTE_0 src1_sel:DWORD
	v_mov_b32_e32 v18, 0x8000
	s_and_saveexec_b64 s[42:43], s[4:5]
	s_cbranch_execz .LBB243_227
; %bb.224:                              ;   in Loop: Header=BB243_13 Depth=1
	v_and_b32_e32 v3, 0x7f, v1
	v_cmp_ne_u32_e64 s[4:5], s53, v3
	v_mov_b32_e32 v18, 0x7c01
	s_and_saveexec_b64 s[44:45], s[4:5]
	s_cbranch_execz .LBB243_226
; %bb.225:                              ;   in Loop: Header=BB243_13 Depth=1
	v_and_b32_e32 v15, 7, v1
	v_lshrrev_b32_e32 v16, 3, v3
	v_cmp_gt_u32_e64 s[4:5], 8, v3
	v_ffbh_u32_e32 v3, v15
	v_min_u32_e32 v18, 32, v3
	v_subrev_u32_e32 v3, 28, v18
	v_lshlrev_b64 v[3:4], v3, v[1:2]
	v_sub_u32_e32 v4, 29, v18
	v_cndmask_b32_e64 v4, v16, v4, s[4:5]
	v_lshl_add_u32 v4, v4, 10, v20
	v_lshlrev_b32_e32 v16, 8, v1
	v_and_b32_e32 v3, 7, v3
	v_and_b32_e32 v4, 0xfc00, v4
	v_cndmask_b32_e64 v3, v15, v3, s[4:5]
	v_and_or_b32 v4, v16, s54, v4
	v_lshl_or_b32 v18, v3, 7, v4
.LBB243_226:                            ;   in Loop: Header=BB243_13 Depth=1
	s_or_b64 exec, exec, s[44:45]
.LBB243_227:                            ;   in Loop: Header=BB243_13 Depth=1
	s_or_b64 exec, exec, s[42:43]
.LBB243_228:                            ;   in Loop: Header=BB243_13 Depth=1
	s_or_b64 exec, exec, s[40:41]
	v_lshrrev_b16_e32 v1, 8, v1
	v_cmp_ne_u16_e64 s[4:5], 0, v1
	s_and_saveexec_b64 s[40:41], s[4:5]
	s_cbranch_execz .LBB243_234
; %bb.229:                              ;   in Loop: Header=BB243_13 Depth=1
	v_cmp_ne_u16_e64 s[4:5], s52, v1
	v_bfrev_b32_e32 v13, 1
	s_and_saveexec_b64 s[42:43], s[4:5]
	s_cbranch_execz .LBB243_233
; %bb.230:                              ;   in Loop: Header=BB243_13 Depth=1
	v_and_b32_e32 v3, 0x7f, v1
	v_cmp_ne_u32_e64 s[4:5], s53, v3
	v_mov_b32_e32 v13, 0x7c010000
	s_and_saveexec_b64 s[44:45], s[4:5]
	s_cbranch_execz .LBB243_232
; %bb.231:                              ;   in Loop: Header=BB243_13 Depth=1
	v_and_b32_e32 v13, 7, v1
	v_lshrrev_b32_e32 v15, 3, v3
	v_cmp_gt_u32_e64 s[4:5], 8, v3
	v_ffbh_u32_e32 v3, v13
	v_min_u32_e32 v16, 32, v3
	v_subrev_u32_e32 v3, 28, v16
	v_lshlrev_b64 v[3:4], v3, v[1:2]
	v_sub_u32_e32 v4, 29, v16
	v_cndmask_b32_e64 v4, v15, v4, s[4:5]
	v_lshlrev_b32_e32 v1, 8, v1
	v_lshl_add_u32 v4, v4, 10, v20
	v_and_b32_e32 v3, 7, v3
	v_and_or_b32 v1, v1, s54, v4
	v_cndmask_b32_e64 v3, v13, v3, s[4:5]
	v_lshlrev_b32_e32 v1, 16, v1
	v_lshl_or_b32 v13, v3, 23, v1
.LBB243_232:                            ;   in Loop: Header=BB243_13 Depth=1
	s_or_b64 exec, exec, s[44:45]
.LBB243_233:                            ;   in Loop: Header=BB243_13 Depth=1
	s_or_b64 exec, exec, s[42:43]
.LBB243_234:                            ;   in Loop: Header=BB243_13 Depth=1
	s_or_b64 exec, exec, s[40:41]
	global_load_ushort v3, v[7:8], off offset:2304
	v_mov_b32_e32 v62, 0
	v_mov_b32_e32 v63, 0
	s_waitcnt vmcnt(0)
	v_and_b32_e32 v1, 0xffff, v3
	v_cmp_ne_u16_sdwa s[4:5], v3, v2 src0_sel:BYTE_0 src1_sel:DWORD
	s_and_saveexec_b64 s[40:41], s[4:5]
	s_cbranch_execz .LBB243_240
; %bb.235:                              ;   in Loop: Header=BB243_13 Depth=1
	v_cmp_ne_u16_sdwa s[4:5], v1, s52 src0_sel:BYTE_0 src1_sel:DWORD
	v_mov_b32_e32 v63, 0x8000
	s_and_saveexec_b64 s[42:43], s[4:5]
	s_cbranch_execz .LBB243_239
; %bb.236:                              ;   in Loop: Header=BB243_13 Depth=1
	v_and_b32_e32 v3, 0x7f, v1
	v_cmp_ne_u32_e64 s[4:5], s53, v3
	v_mov_b32_e32 v63, 0x7c01
	s_and_saveexec_b64 s[44:45], s[4:5]
	s_cbranch_execz .LBB243_238
; %bb.237:                              ;   in Loop: Header=BB243_13 Depth=1
	v_and_b32_e32 v15, 7, v1
	v_lshrrev_b32_e32 v16, 3, v3
	v_cmp_gt_u32_e64 s[4:5], 8, v3
	v_ffbh_u32_e32 v3, v15
	v_min_u32_e32 v54, 32, v3
	v_subrev_u32_e32 v3, 28, v54
	v_lshlrev_b64 v[3:4], v3, v[1:2]
	v_sub_u32_e32 v4, 29, v54
	v_cndmask_b32_e64 v4, v16, v4, s[4:5]
	v_lshl_add_u32 v4, v4, 10, v20
	v_lshlrev_b32_e32 v16, 8, v1
	v_and_b32_e32 v3, 7, v3
	v_and_b32_e32 v4, 0xfc00, v4
	v_cndmask_b32_e64 v3, v15, v3, s[4:5]
	v_and_or_b32 v4, v16, s54, v4
	v_lshl_or_b32 v63, v3, 7, v4
.LBB243_238:                            ;   in Loop: Header=BB243_13 Depth=1
	s_or_b64 exec, exec, s[44:45]
.LBB243_239:                            ;   in Loop: Header=BB243_13 Depth=1
	s_or_b64 exec, exec, s[42:43]
.LBB243_240:                            ;   in Loop: Header=BB243_13 Depth=1
	s_or_b64 exec, exec, s[40:41]
	v_lshrrev_b16_e32 v1, 8, v1
	v_cmp_ne_u16_e64 s[4:5], 0, v1
	s_and_saveexec_b64 s[40:41], s[4:5]
	s_cbranch_execz .LBB243_246
; %bb.241:                              ;   in Loop: Header=BB243_13 Depth=1
	v_cmp_ne_u16_e64 s[4:5], s52, v1
	v_bfrev_b32_e32 v62, 1
	s_and_saveexec_b64 s[42:43], s[4:5]
	s_cbranch_execz .LBB243_245
; %bb.242:                              ;   in Loop: Header=BB243_13 Depth=1
	v_and_b32_e32 v3, 0x7f, v1
	v_cmp_ne_u32_e64 s[4:5], s53, v3
	v_mov_b32_e32 v62, 0x7c010000
	s_and_saveexec_b64 s[44:45], s[4:5]
	s_cbranch_execz .LBB243_244
; %bb.243:                              ;   in Loop: Header=BB243_13 Depth=1
	v_and_b32_e32 v15, 7, v1
	v_lshrrev_b32_e32 v16, 3, v3
	v_cmp_gt_u32_e64 s[4:5], 8, v3
	v_ffbh_u32_e32 v3, v15
	v_min_u32_e32 v54, 32, v3
	v_subrev_u32_e32 v3, 28, v54
	v_lshlrev_b64 v[3:4], v3, v[1:2]
	v_sub_u32_e32 v4, 29, v54
	v_cndmask_b32_e64 v4, v16, v4, s[4:5]
	v_lshlrev_b32_e32 v1, 8, v1
	v_lshl_add_u32 v4, v4, 10, v20
	v_and_b32_e32 v3, 7, v3
	v_and_or_b32 v1, v1, s54, v4
	v_cndmask_b32_e64 v3, v15, v3, s[4:5]
	v_lshlrev_b32_e32 v1, 16, v1
	v_lshl_or_b32 v62, v3, 23, v1
.LBB243_244:                            ;   in Loop: Header=BB243_13 Depth=1
	s_or_b64 exec, exec, s[44:45]
.LBB243_245:                            ;   in Loop: Header=BB243_13 Depth=1
	s_or_b64 exec, exec, s[42:43]
.LBB243_246:                            ;   in Loop: Header=BB243_13 Depth=1
	s_or_b64 exec, exec, s[40:41]
	global_load_ushort v3, v[7:8], off offset:2312
	v_mov_b32_e32 v60, 0
	v_mov_b32_e32 v61, 0
	s_waitcnt vmcnt(0)
	v_and_b32_e32 v1, 0xffff, v3
	v_cmp_ne_u16_sdwa s[4:5], v3, v2 src0_sel:BYTE_0 src1_sel:DWORD
	s_and_saveexec_b64 s[40:41], s[4:5]
	s_cbranch_execz .LBB243_252
; %bb.247:                              ;   in Loop: Header=BB243_13 Depth=1
	v_cmp_ne_u16_sdwa s[4:5], v1, s52 src0_sel:BYTE_0 src1_sel:DWORD
	v_mov_b32_e32 v61, 0x8000
	s_and_saveexec_b64 s[42:43], s[4:5]
	s_cbranch_execz .LBB243_251
; %bb.248:                              ;   in Loop: Header=BB243_13 Depth=1
	v_and_b32_e32 v3, 0x7f, v1
	v_cmp_ne_u32_e64 s[4:5], s53, v3
	v_mov_b32_e32 v61, 0x7c01
	s_and_saveexec_b64 s[44:45], s[4:5]
	s_cbranch_execz .LBB243_250
; %bb.249:                              ;   in Loop: Header=BB243_13 Depth=1
	v_and_b32_e32 v15, 7, v1
	v_lshrrev_b32_e32 v16, 3, v3
	v_cmp_gt_u32_e64 s[4:5], 8, v3
	v_ffbh_u32_e32 v3, v15
	v_min_u32_e32 v54, 32, v3
	v_subrev_u32_e32 v3, 28, v54
	v_lshlrev_b64 v[3:4], v3, v[1:2]
	v_sub_u32_e32 v4, 29, v54
	v_cndmask_b32_e64 v4, v16, v4, s[4:5]
	v_lshl_add_u32 v4, v4, 10, v20
	v_lshlrev_b32_e32 v16, 8, v1
	v_and_b32_e32 v3, 7, v3
	v_and_b32_e32 v4, 0xfc00, v4
	v_cndmask_b32_e64 v3, v15, v3, s[4:5]
	v_and_or_b32 v4, v16, s54, v4
	v_lshl_or_b32 v61, v3, 7, v4
.LBB243_250:                            ;   in Loop: Header=BB243_13 Depth=1
	s_or_b64 exec, exec, s[44:45]
.LBB243_251:                            ;   in Loop: Header=BB243_13 Depth=1
	s_or_b64 exec, exec, s[42:43]
.LBB243_252:                            ;   in Loop: Header=BB243_13 Depth=1
	s_or_b64 exec, exec, s[40:41]
	v_lshrrev_b16_e32 v1, 8, v1
	v_cmp_ne_u16_e64 s[4:5], 0, v1
	s_and_saveexec_b64 s[40:41], s[4:5]
	s_cbranch_execz .LBB243_258
; %bb.253:                              ;   in Loop: Header=BB243_13 Depth=1
	v_cmp_ne_u16_e64 s[4:5], s52, v1
	v_bfrev_b32_e32 v60, 1
	s_and_saveexec_b64 s[42:43], s[4:5]
	s_cbranch_execz .LBB243_257
; %bb.254:                              ;   in Loop: Header=BB243_13 Depth=1
	v_and_b32_e32 v3, 0x7f, v1
	v_cmp_ne_u32_e64 s[4:5], s53, v3
	v_mov_b32_e32 v60, 0x7c010000
	s_and_saveexec_b64 s[44:45], s[4:5]
	s_cbranch_execz .LBB243_256
; %bb.255:                              ;   in Loop: Header=BB243_13 Depth=1
	v_and_b32_e32 v15, 7, v1
	v_lshrrev_b32_e32 v16, 3, v3
	v_cmp_gt_u32_e64 s[4:5], 8, v3
	v_ffbh_u32_e32 v3, v15
	v_min_u32_e32 v54, 32, v3
	v_subrev_u32_e32 v3, 28, v54
	v_lshlrev_b64 v[3:4], v3, v[1:2]
	v_sub_u32_e32 v4, 29, v54
	v_cndmask_b32_e64 v4, v16, v4, s[4:5]
	v_lshlrev_b32_e32 v1, 8, v1
	v_lshl_add_u32 v4, v4, 10, v20
	v_and_b32_e32 v3, 7, v3
	v_and_or_b32 v1, v1, s54, v4
	v_cndmask_b32_e64 v3, v15, v3, s[4:5]
	v_lshlrev_b32_e32 v1, 16, v1
	v_lshl_or_b32 v60, v3, 23, v1
.LBB243_256:                            ;   in Loop: Header=BB243_13 Depth=1
	s_or_b64 exec, exec, s[44:45]
.LBB243_257:                            ;   in Loop: Header=BB243_13 Depth=1
	s_or_b64 exec, exec, s[42:43]
.LBB243_258:                            ;   in Loop: Header=BB243_13 Depth=1
	s_or_b64 exec, exec, s[40:41]
	global_load_ushort v3, v[7:8], off offset:2560
	v_mov_b32_e32 v58, 0
	v_mov_b32_e32 v59, 0
	s_waitcnt vmcnt(0)
	v_and_b32_e32 v1, 0xffff, v3
	v_cmp_ne_u16_sdwa s[4:5], v3, v2 src0_sel:BYTE_0 src1_sel:DWORD
	s_and_saveexec_b64 s[40:41], s[4:5]
	s_cbranch_execz .LBB243_264
; %bb.259:                              ;   in Loop: Header=BB243_13 Depth=1
	v_cmp_ne_u16_sdwa s[4:5], v1, s52 src0_sel:BYTE_0 src1_sel:DWORD
	v_mov_b32_e32 v59, 0x8000
	s_and_saveexec_b64 s[42:43], s[4:5]
	s_cbranch_execz .LBB243_263
; %bb.260:                              ;   in Loop: Header=BB243_13 Depth=1
	v_and_b32_e32 v3, 0x7f, v1
	v_cmp_ne_u32_e64 s[4:5], s53, v3
	v_mov_b32_e32 v59, 0x7c01
	s_and_saveexec_b64 s[44:45], s[4:5]
	s_cbranch_execz .LBB243_262
; %bb.261:                              ;   in Loop: Header=BB243_13 Depth=1
	v_and_b32_e32 v15, 7, v1
	v_lshrrev_b32_e32 v16, 3, v3
	v_cmp_gt_u32_e64 s[4:5], 8, v3
	v_ffbh_u32_e32 v3, v15
	v_min_u32_e32 v54, 32, v3
	v_subrev_u32_e32 v3, 28, v54
	v_lshlrev_b64 v[3:4], v3, v[1:2]
	v_sub_u32_e32 v4, 29, v54
	v_cndmask_b32_e64 v4, v16, v4, s[4:5]
	v_lshl_add_u32 v4, v4, 10, v20
	v_lshlrev_b32_e32 v16, 8, v1
	v_and_b32_e32 v3, 7, v3
	v_and_b32_e32 v4, 0xfc00, v4
	v_cndmask_b32_e64 v3, v15, v3, s[4:5]
	v_and_or_b32 v4, v16, s54, v4
	v_lshl_or_b32 v59, v3, 7, v4
.LBB243_262:                            ;   in Loop: Header=BB243_13 Depth=1
	s_or_b64 exec, exec, s[44:45]
.LBB243_263:                            ;   in Loop: Header=BB243_13 Depth=1
	s_or_b64 exec, exec, s[42:43]
.LBB243_264:                            ;   in Loop: Header=BB243_13 Depth=1
	s_or_b64 exec, exec, s[40:41]
	v_lshrrev_b16_e32 v1, 8, v1
	v_cmp_ne_u16_e64 s[4:5], 0, v1
	s_and_saveexec_b64 s[40:41], s[4:5]
	s_cbranch_execz .LBB243_270
; %bb.265:                              ;   in Loop: Header=BB243_13 Depth=1
	v_cmp_ne_u16_e64 s[4:5], s52, v1
	v_bfrev_b32_e32 v58, 1
	s_and_saveexec_b64 s[42:43], s[4:5]
	s_cbranch_execz .LBB243_269
; %bb.266:                              ;   in Loop: Header=BB243_13 Depth=1
	v_and_b32_e32 v3, 0x7f, v1
	v_cmp_ne_u32_e64 s[4:5], s53, v3
	v_mov_b32_e32 v58, 0x7c010000
	s_and_saveexec_b64 s[44:45], s[4:5]
	s_cbranch_execz .LBB243_268
; %bb.267:                              ;   in Loop: Header=BB243_13 Depth=1
	v_and_b32_e32 v15, 7, v1
	v_lshrrev_b32_e32 v16, 3, v3
	v_cmp_gt_u32_e64 s[4:5], 8, v3
	v_ffbh_u32_e32 v3, v15
	v_min_u32_e32 v54, 32, v3
	v_subrev_u32_e32 v3, 28, v54
	v_lshlrev_b64 v[3:4], v3, v[1:2]
	v_sub_u32_e32 v4, 29, v54
	v_cndmask_b32_e64 v4, v16, v4, s[4:5]
	v_lshlrev_b32_e32 v1, 8, v1
	v_lshl_add_u32 v4, v4, 10, v20
	v_and_b32_e32 v3, 7, v3
	v_and_or_b32 v1, v1, s54, v4
	v_cndmask_b32_e64 v3, v15, v3, s[4:5]
	v_lshlrev_b32_e32 v1, 16, v1
	v_lshl_or_b32 v58, v3, 23, v1
.LBB243_268:                            ;   in Loop: Header=BB243_13 Depth=1
	s_or_b64 exec, exec, s[44:45]
.LBB243_269:                            ;   in Loop: Header=BB243_13 Depth=1
	s_or_b64 exec, exec, s[42:43]
.LBB243_270:                            ;   in Loop: Header=BB243_13 Depth=1
	s_or_b64 exec, exec, s[40:41]
	global_load_ushort v3, v[7:8], off offset:2568
	v_mov_b32_e32 v54, 0
	v_mov_b32_e32 v55, 0
	s_waitcnt vmcnt(0)
	v_and_b32_e32 v1, 0xffff, v3
	v_cmp_ne_u16_sdwa s[4:5], v3, v2 src0_sel:BYTE_0 src1_sel:DWORD
	s_and_saveexec_b64 s[40:41], s[4:5]
	s_cbranch_execz .LBB243_276
; %bb.271:                              ;   in Loop: Header=BB243_13 Depth=1
	v_cmp_ne_u16_sdwa s[4:5], v1, s52 src0_sel:BYTE_0 src1_sel:DWORD
	v_mov_b32_e32 v55, 0x8000
	s_and_saveexec_b64 s[42:43], s[4:5]
	s_cbranch_execz .LBB243_275
; %bb.272:                              ;   in Loop: Header=BB243_13 Depth=1
	v_and_b32_e32 v3, 0x7f, v1
	v_cmp_ne_u32_e64 s[4:5], s53, v3
	v_mov_b32_e32 v55, 0x7c01
	s_and_saveexec_b64 s[44:45], s[4:5]
	s_cbranch_execz .LBB243_274
; %bb.273:                              ;   in Loop: Header=BB243_13 Depth=1
	v_and_b32_e32 v15, 7, v1
	v_lshrrev_b32_e32 v16, 3, v3
	v_cmp_gt_u32_e64 s[4:5], 8, v3
	v_ffbh_u32_e32 v3, v15
	v_min_u32_e32 v55, 32, v3
	v_subrev_u32_e32 v3, 28, v55
	v_lshlrev_b64 v[3:4], v3, v[1:2]
	v_sub_u32_e32 v4, 29, v55
	v_cndmask_b32_e64 v4, v16, v4, s[4:5]
	v_lshl_add_u32 v4, v4, 10, v20
	v_lshlrev_b32_e32 v16, 8, v1
	v_and_b32_e32 v3, 7, v3
	v_and_b32_e32 v4, 0xfc00, v4
	v_cndmask_b32_e64 v3, v15, v3, s[4:5]
	v_and_or_b32 v4, v16, s54, v4
	v_lshl_or_b32 v55, v3, 7, v4
.LBB243_274:                            ;   in Loop: Header=BB243_13 Depth=1
	s_or_b64 exec, exec, s[44:45]
.LBB243_275:                            ;   in Loop: Header=BB243_13 Depth=1
	s_or_b64 exec, exec, s[42:43]
.LBB243_276:                            ;   in Loop: Header=BB243_13 Depth=1
	s_or_b64 exec, exec, s[40:41]
	v_lshrrev_b16_e32 v1, 8, v1
	v_cmp_ne_u16_e64 s[4:5], 0, v1
	s_and_saveexec_b64 s[40:41], s[4:5]
	s_cbranch_execz .LBB243_282
; %bb.277:                              ;   in Loop: Header=BB243_13 Depth=1
	v_cmp_ne_u16_e64 s[4:5], s52, v1
	v_bfrev_b32_e32 v54, 1
	s_and_saveexec_b64 s[42:43], s[4:5]
	s_cbranch_execz .LBB243_281
; %bb.278:                              ;   in Loop: Header=BB243_13 Depth=1
	v_and_b32_e32 v3, 0x7f, v1
	v_cmp_ne_u32_e64 s[4:5], s53, v3
	v_mov_b32_e32 v54, 0x7c010000
	s_and_saveexec_b64 s[44:45], s[4:5]
	s_cbranch_execz .LBB243_280
; %bb.279:                              ;   in Loop: Header=BB243_13 Depth=1
	v_and_b32_e32 v15, 7, v1
	v_lshrrev_b32_e32 v16, 3, v3
	v_cmp_gt_u32_e64 s[4:5], 8, v3
	v_ffbh_u32_e32 v3, v15
	v_min_u32_e32 v54, 32, v3
	v_subrev_u32_e32 v3, 28, v54
	v_lshlrev_b64 v[3:4], v3, v[1:2]
	v_sub_u32_e32 v4, 29, v54
	v_cndmask_b32_e64 v4, v16, v4, s[4:5]
	v_lshlrev_b32_e32 v1, 8, v1
	v_lshl_add_u32 v4, v4, 10, v20
	v_and_b32_e32 v3, 7, v3
	v_and_or_b32 v1, v1, s54, v4
	v_cndmask_b32_e64 v3, v15, v3, s[4:5]
	v_lshlrev_b32_e32 v1, 16, v1
	v_lshl_or_b32 v54, v3, 23, v1
.LBB243_280:                            ;   in Loop: Header=BB243_13 Depth=1
	s_or_b64 exec, exec, s[44:45]
.LBB243_281:                            ;   in Loop: Header=BB243_13 Depth=1
	s_or_b64 exec, exec, s[42:43]
.LBB243_282:                            ;   in Loop: Header=BB243_13 Depth=1
	s_or_b64 exec, exec, s[40:41]
	global_load_ushort v4, v[7:8], off offset:2816
	v_mov_b32_e32 v3, 0
	s_waitcnt vmcnt(0)
	v_and_b32_e32 v1, 0xffff, v4
	v_cmp_ne_u16_sdwa s[4:5], v4, v2 src0_sel:BYTE_0 src1_sel:DWORD
	v_mov_b32_e32 v4, 0
	s_and_saveexec_b64 s[40:41], s[4:5]
	s_cbranch_execz .LBB243_288
; %bb.283:                              ;   in Loop: Header=BB243_13 Depth=1
	v_cmp_ne_u16_sdwa s[4:5], v1, s52 src0_sel:BYTE_0 src1_sel:DWORD
	v_mov_b32_e32 v4, 0x8000
	s_and_saveexec_b64 s[42:43], s[4:5]
	s_cbranch_execz .LBB243_287
; %bb.284:                              ;   in Loop: Header=BB243_13 Depth=1
	v_and_b32_e32 v16, 0x7f, v1
	v_cmp_ne_u32_e64 s[4:5], s53, v16
	v_mov_b32_e32 v4, 0x7c01
	s_and_saveexec_b64 s[44:45], s[4:5]
	s_cbranch_execz .LBB243_286
; %bb.285:                              ;   in Loop: Header=BB243_13 Depth=1
	v_and_b32_e32 v4, 7, v1
	v_ffbh_u32_e32 v15, v4
	v_min_u32_e32 v21, 32, v15
	v_subrev_u32_e32 v15, 28, v21
	v_lshrrev_b32_e32 v0, 3, v16
	v_cmp_gt_u32_e64 s[4:5], 8, v16
	v_lshlrev_b64 v[15:16], v15, v[1:2]
	v_sub_u32_e32 v16, 29, v21
	v_cndmask_b32_e64 v0, v0, v16, s[4:5]
	v_lshl_add_u32 v0, v0, 10, v20
	v_lshlrev_b32_e32 v16, 8, v1
	v_and_b32_e32 v15, 7, v15
	v_and_b32_e32 v0, 0xfc00, v0
	v_cndmask_b32_e64 v4, v4, v15, s[4:5]
	v_and_or_b32 v0, v16, s54, v0
	v_lshl_or_b32 v4, v4, 7, v0
.LBB243_286:                            ;   in Loop: Header=BB243_13 Depth=1
	s_or_b64 exec, exec, s[44:45]
.LBB243_287:                            ;   in Loop: Header=BB243_13 Depth=1
	s_or_b64 exec, exec, s[42:43]
.LBB243_288:                            ;   in Loop: Header=BB243_13 Depth=1
	s_or_b64 exec, exec, s[40:41]
	v_lshrrev_b16_e32 v1, 8, v1
	v_cmp_ne_u16_e64 s[4:5], 0, v1
	s_and_saveexec_b64 s[40:41], s[4:5]
	s_cbranch_execz .LBB243_294
; %bb.289:                              ;   in Loop: Header=BB243_13 Depth=1
	v_cmp_ne_u16_e64 s[4:5], s52, v1
	v_bfrev_b32_e32 v3, 1
	s_and_saveexec_b64 s[42:43], s[4:5]
	s_cbranch_execz .LBB243_293
; %bb.290:                              ;   in Loop: Header=BB243_13 Depth=1
	v_and_b32_e32 v16, 0x7f, v1
	v_cmp_ne_u32_e64 s[4:5], s53, v16
	v_mov_b32_e32 v3, 0x7c010000
	s_and_saveexec_b64 s[44:45], s[4:5]
	s_cbranch_execz .LBB243_292
; %bb.291:                              ;   in Loop: Header=BB243_13 Depth=1
	v_and_b32_e32 v0, 7, v1
	v_ffbh_u32_e32 v15, v0
	v_min_u32_e32 v21, 32, v15
	v_subrev_u32_e32 v15, 28, v21
	v_lshrrev_b32_e32 v3, 3, v16
	v_cmp_gt_u32_e64 s[4:5], 8, v16
	v_lshlrev_b64 v[15:16], v15, v[1:2]
	v_sub_u32_e32 v16, 29, v21
	v_cndmask_b32_e64 v3, v3, v16, s[4:5]
	v_lshlrev_b32_e32 v1, 8, v1
	v_lshl_add_u32 v3, v3, 10, v20
	v_and_b32_e32 v15, 7, v15
	v_and_or_b32 v1, v1, s54, v3
	v_cndmask_b32_e64 v0, v0, v15, s[4:5]
	v_lshlrev_b32_e32 v1, 16, v1
	v_lshl_or_b32 v3, v0, 23, v1
.LBB243_292:                            ;   in Loop: Header=BB243_13 Depth=1
	s_or_b64 exec, exec, s[44:45]
.LBB243_293:                            ;   in Loop: Header=BB243_13 Depth=1
	s_or_b64 exec, exec, s[42:43]
.LBB243_294:                            ;   in Loop: Header=BB243_13 Depth=1
	s_or_b64 exec, exec, s[40:41]
	global_load_ushort v0, v[7:8], off offset:2824
	v_mov_b32_e32 v8, 0
	v_mov_b32_e32 v16, 0
	s_waitcnt vmcnt(0)
	v_and_b32_e32 v1, 0xffff, v0
	v_cmp_ne_u16_sdwa s[4:5], v0, v2 src0_sel:BYTE_0 src1_sel:DWORD
	s_and_saveexec_b64 s[40:41], s[4:5]
	s_cbranch_execz .LBB243_300
; %bb.295:                              ;   in Loop: Header=BB243_13 Depth=1
	v_cmp_ne_u16_sdwa s[4:5], v1, s52 src0_sel:BYTE_0 src1_sel:DWORD
	v_mov_b32_e32 v16, 0x8000
	s_and_saveexec_b64 s[42:43], s[4:5]
	s_cbranch_execz .LBB243_299
; %bb.296:                              ;   in Loop: Header=BB243_13 Depth=1
	v_and_b32_e32 v7, 0x7f, v1
	v_cmp_ne_u32_e64 s[4:5], s53, v7
	v_mov_b32_e32 v16, 0x7c01
	s_and_saveexec_b64 s[44:45], s[4:5]
	s_cbranch_execz .LBB243_298
; %bb.297:                              ;   in Loop: Header=BB243_13 Depth=1
	v_and_b32_e32 v0, 7, v1
	v_lshrrev_b32_e32 v21, 3, v7
	v_cmp_gt_u32_e64 s[4:5], 8, v7
	v_ffbh_u32_e32 v7, v0
	v_min_u32_e32 v7, 32, v7
	v_subrev_u32_e32 v15, 28, v7
	v_sub_u32_e32 v7, 29, v7
	v_lshlrev_b64 v[15:16], v15, v[1:2]
	v_cndmask_b32_e64 v7, v21, v7, s[4:5]
	v_lshl_add_u32 v7, v7, 10, v20
	v_lshlrev_b32_e32 v16, 8, v1
	v_and_b32_e32 v15, 7, v15
	v_and_b32_e32 v7, 0xfc00, v7
	v_cndmask_b32_e64 v0, v0, v15, s[4:5]
	v_and_or_b32 v7, v16, s54, v7
	v_lshl_or_b32 v16, v0, 7, v7
.LBB243_298:                            ;   in Loop: Header=BB243_13 Depth=1
	s_or_b64 exec, exec, s[44:45]
.LBB243_299:                            ;   in Loop: Header=BB243_13 Depth=1
	s_or_b64 exec, exec, s[42:43]
.LBB243_300:                            ;   in Loop: Header=BB243_13 Depth=1
	s_or_b64 exec, exec, s[40:41]
	v_lshrrev_b16_e32 v1, 8, v1
	v_cmp_ne_u16_e64 s[4:5], 0, v1
	s_and_saveexec_b64 s[40:41], s[4:5]
	s_cbranch_execz .LBB243_306
; %bb.301:                              ;   in Loop: Header=BB243_13 Depth=1
	v_cmp_ne_u16_e64 s[4:5], s52, v1
	v_bfrev_b32_e32 v8, 1
	s_and_saveexec_b64 s[42:43], s[4:5]
	s_cbranch_execz .LBB243_305
; %bb.302:                              ;   in Loop: Header=BB243_13 Depth=1
	v_and_b32_e32 v7, 0x7f, v1
	v_cmp_ne_u32_e64 s[4:5], s53, v7
	v_mov_b32_e32 v8, 0x7c010000
	s_and_saveexec_b64 s[44:45], s[4:5]
	s_cbranch_execz .LBB243_304
; %bb.303:                              ;   in Loop: Header=BB243_13 Depth=1
	v_and_b32_e32 v0, 7, v1
	v_lshrrev_b32_e32 v15, 3, v7
	v_cmp_gt_u32_e64 s[4:5], 8, v7
	v_ffbh_u32_e32 v7, v0
	v_min_u32_e32 v21, 32, v7
	v_subrev_u32_e32 v7, 28, v21
	v_lshlrev_b64 v[7:8], v7, v[1:2]
	v_sub_u32_e32 v8, 29, v21
	v_cndmask_b32_e64 v8, v15, v8, s[4:5]
	v_lshlrev_b32_e32 v1, 8, v1
	v_lshl_add_u32 v8, v8, 10, v20
	v_and_b32_e32 v7, 7, v7
	v_and_or_b32 v1, v1, s54, v8
	v_cndmask_b32_e64 v0, v0, v7, s[4:5]
	v_lshlrev_b32_e32 v1, 16, v1
	v_lshl_or_b32 v8, v0, 23, v1
.LBB243_304:                            ;   in Loop: Header=BB243_13 Depth=1
	s_or_b64 exec, exec, s[44:45]
.LBB243_305:                            ;   in Loop: Header=BB243_13 Depth=1
	s_or_b64 exec, exec, s[42:43]
.LBB243_306:                            ;   in Loop: Header=BB243_13 Depth=1
	s_or_b64 exec, exec, s[40:41]
	v_or_b32_e32 v0, v3, v4
	v_fma_mixlo_f16 v7, v23, v0, 0 op_sel_hi:[0,1,0]
	v_or_b32_e32 v0, v54, v55
	v_fma_mixlo_f16 v55, v23, v0, 0 op_sel_hi:[0,1,0]
	;; [unrolled: 2-line block ×22, first 2 shown]
	v_or_b32_e32 v0, v24, v25
	v_fma_mixlo_f16 v1, v23, v3, 0 op_sel:[0,1,0] op_sel_hi:[0,1,0]
	v_fma_mixlo_f16 v3, v23, v0, 0 op_sel_hi:[0,1,0]
	v_or_b32_e32 v0, v8, v16
	v_fma_mixlo_f16 v25, v23, v24, 0 op_sel:[0,1,0] op_sel_hi:[0,1,0]
	v_fma_mixlo_f16 v24, v23, v0, 0 op_sel_hi:[0,1,0]
	ds_read_b32 v0, v14
	v_and_b32_e32 v3, 0xffff, v3
	v_and_b32_e32 v15, 0xffff, v25
	v_fma_mixlo_f16 v54, v23, v54, 0 op_sel:[0,1,0] op_sel_hi:[0,1,0]
	v_fma_mixlo_f16 v58, v23, v58, 0 op_sel:[0,1,0] op_sel_hi:[0,1,0]
	s_waitcnt lgkmcnt(0)
	v_lshrrev_b32_e32 v4, 16, v0
	v_and_b32_e32 v0, 0xffff, v0
	;;#ASMSTART
	v_cvt_f32_f16 v0, v0;
	;;#ASMEND
	;;#ASMSTART
	v_cvt_f32_f16 v4, v4;
	;;#ASMEND
	;; [unrolled: 3-line block ×4, first 2 shown]
	ds_read_b32 v16, v14 offset:4
	v_fma_mixlo_f16 v60, v23, v60, 0 op_sel:[0,1,0] op_sel_hi:[0,1,0]
	v_fma_mixlo_f16 v62, v23, v62, 0 op_sel:[0,1,0] op_sel_hi:[0,1,0]
	;; [unrolled: 1-line block ×20, first 2 shown]
	s_waitcnt lgkmcnt(0)
	v_lshrrev_b32_e32 v21, 16, v16
	v_and_b32_e32 v16, 0xffff, v16
	v_and_b32_e32 v23, 0xffff, v27
	;;#ASMSTART
	v_cvt_f32_f16 v16, v16;
	;;#ASMEND
	;;#ASMSTART
	v_cvt_f32_f16 v21, v21;
	;;#ASMEND
	;; [unrolled: 3-line block ×3, first 2 shown]
	v_and_b32_e32 v25, 0xffff, v26
	v_mul_f32_e32 v23, v16, v23
	;;#ASMSTART
	v_cvt_f32_f16 v25, v25;
	;;#ASMEND
	v_fmac_f32_e32 v23, v0, v3
	ds_read_b32 v0, v14 offset:8
	v_mul_f32_e32 v25, v21, v25
	v_fmac_f32_e32 v25, v4, v15
	v_and_b32_e32 v4, 0xffff, v29
	v_and_b32_e32 v15, 0xffff, v28
	s_waitcnt lgkmcnt(0)
	v_lshrrev_b32_e32 v3, 16, v0
	v_and_b32_e32 v0, 0xffff, v0
	;;#ASMSTART
	v_cvt_f32_f16 v0, v0;
	;;#ASMEND
	;;#ASMSTART
	v_cvt_f32_f16 v3, v3;
	;;#ASMEND
	;;#ASMSTART
	v_cvt_f32_f16 v4, v4;
	;;#ASMEND
	;;#ASMSTART
	v_cvt_f32_f16 v15, v15;
	;;#ASMEND
	v_fmac_f32_e32 v23, v0, v4
	ds_read_b32 v0, v14 offset:12
	v_fmac_f32_e32 v25, v3, v15
	v_and_b32_e32 v4, 0xffff, v31
	v_and_b32_e32 v15, 0xffff, v30
	v_and_b32_e32 v9, 0xffff, v9
	s_waitcnt lgkmcnt(0)
	v_lshrrev_b32_e32 v3, 16, v0
	v_and_b32_e32 v0, 0xffff, v0
	;;#ASMSTART
	v_cvt_f32_f16 v0, v0;
	;;#ASMEND
	;;#ASMSTART
	v_cvt_f32_f16 v3, v3;
	;;#ASMEND
	;;#ASMSTART
	v_cvt_f32_f16 v4, v4;
	;;#ASMEND
	;;#ASMSTART
	v_cvt_f32_f16 v15, v15;
	;;#ASMEND
	v_fmac_f32_e32 v23, v0, v4
	ds_read_b32 v0, v14 offset:16
	v_fmac_f32_e32 v25, v3, v15
	v_and_b32_e32 v4, 0xffff, v33
	;; [unrolled: 21-line block ×3, first 2 shown]
	v_and_b32_e32 v15, 0xffff, v34
	s_waitcnt lgkmcnt(0)
	v_lshrrev_b32_e32 v3, 16, v0
	v_and_b32_e32 v0, 0xffff, v0
	;;#ASMSTART
	v_cvt_f32_f16 v0, v0;
	;;#ASMEND
	;;#ASMSTART
	v_cvt_f32_f16 v3, v3;
	;;#ASMEND
	;;#ASMSTART
	v_cvt_f32_f16 v4, v4;
	;;#ASMEND
	;;#ASMSTART
	v_cvt_f32_f16 v15, v15;
	;;#ASMEND
	v_fmac_f32_e32 v23, v0, v4
	ds_read_b32 v0, v14 offset:24
	v_fmac_f32_e32 v25, v3, v15
	v_and_b32_e32 v4, 0xffff, v37
	v_and_b32_e32 v15, 0xffff, v36
	s_waitcnt lgkmcnt(0)
	v_lshrrev_b32_e32 v3, 16, v0
	v_and_b32_e32 v0, 0xffff, v0
	;;#ASMSTART
	v_cvt_f32_f16 v0, v0;
	;;#ASMEND
	;;#ASMSTART
	v_cvt_f32_f16 v3, v3;
	;;#ASMEND
	;;#ASMSTART
	v_cvt_f32_f16 v4, v4;
	;;#ASMEND
	;;#ASMSTART
	v_cvt_f32_f16 v15, v15;
	;;#ASMEND
	v_fmac_f32_e32 v23, v0, v4
	ds_read_b32 v0, v14 offset:28
	v_fmac_f32_e32 v25, v3, v15
	v_and_b32_e32 v4, 0xffff, v39
	;; [unrolled: 20-line block ×11, first 2 shown]
	s_waitcnt lgkmcnt(0)
	v_lshrrev_b32_e32 v3, 16, v0
	v_and_b32_e32 v0, 0xffff, v0
	;;#ASMSTART
	v_cvt_f32_f16 v0, v0;
	;;#ASMEND
	;;#ASMSTART
	v_cvt_f32_f16 v3, v3;
	;;#ASMEND
	;;#ASMSTART
	v_cvt_f32_f16 v4, v4;
	;;#ASMEND
	;;#ASMSTART
	v_cvt_f32_f16 v9, v9;
	;;#ASMEND
	v_fmac_f32_e32 v23, v0, v4
	ds_read_b32 v0, v14 offset:68
	v_fmac_f32_e32 v25, v3, v9
	v_and_b32_e32 v4, 0xffff, v18
	v_and_b32_e32 v9, 0xffff, v13
	s_waitcnt lgkmcnt(0)
	v_lshrrev_b32_e32 v3, 16, v0
	v_and_b32_e32 v0, 0xffff, v0
	;;#ASMSTART
	v_cvt_f32_f16 v0, v0;
	;;#ASMEND
	;;#ASMSTART
	v_cvt_f32_f16 v3, v3;
	;;#ASMEND
	;;#ASMSTART
	v_cvt_f32_f16 v4, v4;
	;;#ASMEND
	;;#ASMSTART
	v_cvt_f32_f16 v9, v9;
	;;#ASMEND
	v_fmac_f32_e32 v23, v0, v4
	ds_read_b32 v0, v14 offset:72
	v_fmac_f32_e32 v25, v3, v9
	v_and_b32_e32 v4, 0xffff, v63
	v_and_b32_e32 v9, 0xffff, v62
	;; [unrolled: 20-line block ×5, first 2 shown]
	s_waitcnt lgkmcnt(0)
	v_lshrrev_b32_e32 v3, 16, v0
	v_and_b32_e32 v0, 0xffff, v0
	;;#ASMSTART
	v_cvt_f32_f16 v0, v0;
	;;#ASMEND
	;;#ASMSTART
	v_cvt_f32_f16 v3, v3;
	;;#ASMEND
	;; [unrolled: 3-line block ×4, first 2 shown]
	v_fmac_f32_e32 v23, v0, v4
	ds_read_b32 v0, v14 offset:88
	v_fmac_f32_e32 v25, v3, v9
	v_and_b32_e32 v4, 0xffff, v7
	s_waitcnt lgkmcnt(0)
	v_lshrrev_b32_e32 v3, 16, v0
	v_and_b32_e32 v0, 0xffff, v0
	;;#ASMSTART
	v_cvt_f32_f16 v0, v0;
	;;#ASMEND
	;;#ASMSTART
	v_cvt_f32_f16 v3, v3;
	;;#ASMEND
	;; [unrolled: 3-line block ×4, first 2 shown]
	v_fmac_f32_e32 v23, v0, v4
	ds_read_b32 v0, v14 offset:92
	v_fmac_f32_e32 v25, v3, v1
	v_and_b32_e32 v3, 0xffff, v24
	v_and_b32_e32 v4, 0xffff, v8
	s_waitcnt lgkmcnt(0)
	v_lshrrev_b32_e32 v1, 16, v0
	v_and_b32_e32 v0, 0xffff, v0
	;;#ASMSTART
	v_cvt_f32_f16 v0, v0;
	;;#ASMEND
	;;#ASMSTART
	v_cvt_f32_f16 v1, v1;
	;;#ASMEND
	;; [unrolled: 3-line block ×4, first 2 shown]
	v_fmac_f32_e32 v25, v1, v4
	buffer_load_dword v4, off, s[56:59], 0 offset:16 ; 4-byte Folded Reload
	v_fmac_f32_e32 v23, v0, v3
	v_add_f32_e32 v0, v23, v25
	s_waitcnt vmcnt(0)
	v_and_b32_e32 v1, 64, v4
	v_add_u32_e32 v3, 64, v1
	v_xor_b32_e32 v1, 2, v4
	v_cmp_lt_i32_e64 s[4:5], v1, v3
	v_cndmask_b32_e64 v1, v4, v1, s[4:5]
	v_lshlrev_b32_e32 v1, 2, v1
	ds_bpermute_b32 v1, v1, v0
	s_waitcnt lgkmcnt(0)
	v_add_f32_e32 v1, v0, v1
	v_xor_b32_e32 v0, 1, v4
	v_cmp_lt_i32_e64 s[4:5], v0, v3
	v_cndmask_b32_e64 v0, v4, v0, s[4:5]
	v_lshlrev_b32_e32 v0, 2, v0
	ds_bpermute_b32 v3, v0, v1
	s_and_saveexec_b64 s[40:41], vcc
	s_cbranch_execz .LBB243_11
; %bb.307:                              ;   in Loop: Header=BB243_13 Depth=1
	buffer_load_dword v0, off, s[56:59], 0 offset:24 ; 4-byte Folded Reload
	buffer_load_dword v4, off, s[56:59], 0 offset:20 ; 4-byte Folded Reload
	s_waitcnt lgkmcnt(0)
	v_add_f32_e32 v1, v1, v3
	buffer_load_dword v3, off, s[56:59], 0 offset:4 ; 4-byte Folded Reload
	s_waitcnt vmcnt(2)
	v_add_u32_e32 v0, v0, v17
	v_cvt_f32_i32_e32 v0, v0
	s_waitcnt vmcnt(1)
	v_add_u32_e32 v4, v4, v17
	v_cmp_gt_i32_e64 s[4:5], s33, v4
	v_mul_f32_e32 v0, s48, v0
	v_cndmask_b32_e64 v0, 0, v0, s[2:3]
	v_fmac_f32_e32 v0, s37, v1
	v_cndmask_b32_e64 v1, 0, v0, s[4:5]
	ds_write_b32 v19, v1
	s_waitcnt vmcnt(0)
	v_max_f32_e32 v1, v3, v3
	v_max_f32_e32 v0, v1, v0
	v_cndmask_b32_e64 v3, v3, v0, s[4:5]
	buffer_store_dword v3, off, s[56:59], 0 offset:4 ; 4-byte Folded Spill
	s_branch .LBB243_11
.LBB243_308:
	s_or_b64 exec, exec, s[38:39]
	buffer_load_dword v22, off, s[56:59], 0 offset:32 ; 4-byte Folded Reload
	buffer_load_dword v4, off, s[56:59], 0 offset:4 ; 4-byte Folded Reload
	v_mbcnt_lo_u32_b32 v2, -1, 0
.LBB243_309:
	s_or_b64 exec, exec, s[18:19]
	v_mbcnt_hi_u32_b32 v1, -1, v2
	v_and_b32_e32 v8, 64, v1
	v_add_u32_e32 v2, 64, v8
	v_xor_b32_e32 v0, 32, v1
	v_cmp_lt_i32_e32 vcc, v0, v2
	v_cndmask_b32_e32 v0, v1, v0, vcc
	s_waitcnt lgkmcnt(0)
	v_lshlrev_b32_e32 v3, 2, v0
	s_waitcnt vmcnt(0)
	ds_bpermute_b32 v0, v3, v4
	v_xor_b32_e32 v5, 16, v1
	v_max_f32_e32 v4, v4, v4
	v_cmp_lt_i32_e32 vcc, v5, v2
	v_xor_b32_e32 v6, 8, v1
	s_waitcnt lgkmcnt(0)
	v_max_f32_e32 v0, v0, v0
	v_max_f32_e32 v4, v4, v0
	v_cndmask_b32_e32 v0, v1, v5, vcc
	v_lshlrev_b32_e32 v0, 2, v0
	ds_bpermute_b32 v5, v0, v4
	v_cmp_lt_i32_e32 vcc, v6, v2
	v_xor_b32_e32 v7, 4, v1
	v_and_b32_e32 v13, 63, v22
	s_waitcnt lgkmcnt(0)
	v_max_f32_e32 v5, v5, v5
	v_max_f32_e32 v4, v4, v5
	v_cndmask_b32_e32 v5, v1, v6, vcc
	v_lshlrev_b32_e32 v6, 2, v5
	ds_bpermute_b32 v5, v6, v4
	v_cmp_lt_i32_e32 vcc, v7, v2
	s_waitcnt lgkmcnt(0)
	v_max_f32_e32 v5, v5, v5
	v_max_f32_e32 v5, v4, v5
	v_cndmask_b32_e32 v4, v1, v7, vcc
	v_lshlrev_b32_e32 v7, 2, v4
	ds_bpermute_b32 v9, v7, v5
	v_cmp_eq_u32_e32 vcc, 0, v13
	v_lshlrev_b32_e32 v4, 2, v11
	s_and_saveexec_b64 s[2:3], vcc
	s_cbranch_execz .LBB243_311
; %bb.310:
	s_waitcnt lgkmcnt(0)
	v_max_f32_e32 v9, v9, v9
	v_max_f32_e32 v5, v5, v5
	;; [unrolled: 1-line block ×3, first 2 shown]
	ds_write_b32 v4, v5 offset:384
.LBB243_311:
	s_or_b64 exec, exec, s[2:3]
	v_cmp_gt_u32_e64 s[2:3], 2, v13
	s_waitcnt lgkmcnt(0)
	v_mov_b32_e32 v9, 0xff7fffff
	v_lshlrev_b32_e32 v5, 2, v13
	s_barrier
	s_and_saveexec_b64 s[4:5], s[2:3]
; %bb.312:
	ds_read_b32 v9, v5 offset:384
; %bb.313:
	s_or_b64 exec, exec, s[4:5]
	v_xor_b32_e32 v10, 1, v1
	v_cmp_lt_i32_e64 s[4:5], v10, v2
	v_cndmask_b32_e64 v10, v1, v10, s[4:5]
	v_lshlrev_b32_e32 v14, 2, v10
	s_waitcnt lgkmcnt(0)
	ds_bpermute_b32 v10, v14, v9
	v_max_f32_e32 v9, v9, v9
	v_lshlrev_b32_e32 v8, 2, v8
	s_lshl_b32 s4, s47, 4
	s_min_i32 s37, s4, s33
	s_waitcnt lgkmcnt(0)
	v_max_f32_e32 v10, v10, v10
	v_max_f32_e32 v9, v9, v10
	ds_bpermute_b32 v9, v8, v9
	v_cmp_gt_i32_e64 s[4:5], s37, v22
	v_mov_b32_e32 v8, 0
	s_and_saveexec_b64 s[12:13], s[4:5]
	s_cbranch_execz .LBB243_317
; %bb.314:
	v_mov_b32_e32 v8, 0x190
	v_lshl_add_u32 v10, v22, 2, v8
	v_mov_b32_e32 v8, 0
	s_mov_b64 s[18:19], 0
	v_mov_b32_e32 v15, v22
.LBB243_315:                            ; =>This Inner Loop Header: Depth=1
	ds_read_b32 v16, v10
	v_add_u32_e32 v15, 0x80, v15
	v_cmp_le_i32_e64 s[6:7], s37, v15
	s_or_b64 s[18:19], s[6:7], s[18:19]
	s_waitcnt lgkmcnt(0)
	v_sub_f32_e32 v16, v16, v9
	v_mul_f32_e32 v16, 0x3fb8aa3b, v16
	v_exp_f32_e32 v16, v16
	ds_write_b32 v10, v16
	v_add_f32_e32 v8, v8, v16
	v_add_u32_e32 v10, 0x200, v10
	s_andn2_b64 exec, exec, s[18:19]
	s_cbranch_execnz .LBB243_315
; %bb.316:
	s_or_b64 exec, exec, s[18:19]
.LBB243_317:
	s_or_b64 exec, exec, s[12:13]
	ds_bpermute_b32 v3, v3, v8
	s_waitcnt lgkmcnt(0)
	v_add_f32_e32 v3, v8, v3
	ds_bpermute_b32 v0, v0, v3
	s_waitcnt lgkmcnt(0)
	v_add_f32_e32 v0, v3, v0
	ds_bpermute_b32 v3, v6, v0
	v_xor_b32_e32 v6, 2, v1
	v_cmp_lt_i32_e64 s[6:7], v6, v2
	v_cndmask_b32_e64 v2, v1, v6, s[6:7]
	v_lshlrev_b32_e32 v2, 2, v2
	s_waitcnt lgkmcnt(0)
	v_add_f32_e32 v0, v0, v3
	ds_bpermute_b32 v3, v7, v0
	s_waitcnt lgkmcnt(0)
	v_add_f32_e32 v0, v0, v3
	ds_bpermute_b32 v2, v2, v0
	;; [unrolled: 3-line block ×3, first 2 shown]
	s_waitcnt lgkmcnt(0)
	v_add_f32_e32 v0, v0, v2
	s_and_saveexec_b64 s[6:7], vcc
; %bb.318:
	ds_write_b32 v4, v0 offset:392
; %bb.319:
	s_or_b64 exec, exec, s[6:7]
	s_waitcnt lgkmcnt(0)
	s_barrier
	s_and_saveexec_b64 s[6:7], s[2:3]
; %bb.320:
	ds_read_b32 v0, v5 offset:392
; %bb.321:
	s_or_b64 exec, exec, s[6:7]
	s_waitcnt lgkmcnt(0)
	ds_bpermute_b32 v2, v14, v0
	v_lshlrev_b32_e32 v1, 2, v1
	v_and_b32_e32 v1, 0x100, v1
	s_waitcnt lgkmcnt(0)
	v_add_f32_e32 v0, v0, v2
	ds_bpermute_b32 v0, v1, v0
	s_and_saveexec_b64 s[2:3], s[4:5]
	s_cbranch_execz .LBB243_324
; %bb.322:
	s_waitcnt lgkmcnt(0)
	v_add_f32_e32 v1, 0x358637bd, v0
	v_div_scale_f32 v0, s[4:5], v1, v1, 1.0
	v_div_scale_f32 v2, vcc, 1.0, v1, 1.0
	s_mov_b64 s[4:5], 0
	v_rcp_f32_e32 v3, v0
	v_fma_f32 v4, -v0, v3, 1.0
	v_fmac_f32_e32 v3, v4, v3
	v_mul_f32_e32 v4, v2, v3
	v_fma_f32 v5, -v0, v4, v2
	v_fmac_f32_e32 v4, v5, v3
	v_fma_f32 v0, -v0, v4, v2
	v_div_fmas_f32 v2, v0, v3, v4
	v_mov_b32_e32 v0, 0x190
	v_lshl_add_u32 v0, v22, 2, v0
	v_div_fixup_f32 v1, v2, v1, 1.0
	v_mov_b32_e32 v2, v22
.LBB243_323:                            ; =>This Inner Loop Header: Depth=1
	ds_read_b32 v3, v0
	v_add_u32_e32 v2, 0x80, v2
	v_cmp_le_i32_e32 vcc, s37, v2
	s_or_b64 s[4:5], vcc, s[4:5]
	s_waitcnt lgkmcnt(0)
	v_mul_f32_e32 v3, v1, v3
	ds_write_b32 v0, v3
	v_add_u32_e32 v0, 0x200, v0
	s_andn2_b64 exec, exec, s[4:5]
	s_cbranch_execnz .LBB243_323
.LBB243_324:
	s_or_b64 exec, exec, s[2:3]
	v_mov_b32_e32 v21, 0
	v_and_b32_e32 v15, 1, v22
	v_mov_b32_e32 v20, 0
	v_mov_b32_e32 v19, 0
	;; [unrolled: 1-line block ×5, first 2 shown]
	s_waitcnt lgkmcnt(0)
	s_barrier
	s_and_saveexec_b64 s[2:3], s[0:1]
	s_cbranch_execz .LBB243_630
; %bb.325:
	s_sub_i32 s37, s16, s21
	s_ashr_i32 s0, s20, 31
	s_add_u32 s1, s34, s20
	s_addc_u32 s0, s35, s0
	s_abs_i32 s22, s22
	v_cvt_f32_u32_e32 v0, s22
	s_sub_i32 s6, 0, s22
	v_lshlrev_b32_e32 v1, 3, v22
	v_mov_b32_e32 v58, v22
	v_rcp_iflag_f32_e32 v0, v0
	v_and_b32_e32 v22, 8, v1
	v_and_b32_e32 v1, 0x1f8, v1
	s_add_i32 s35, s47, -1
	v_mul_f32_e32 v0, 0x4f7ffffe, v0
	v_cvt_u32_f32_e32 v0, v0
	v_mov_b32_e32 v4, s0
	s_mov_b32 s4, -1
	s_mov_b32 s34, s17
	v_mul_lo_u32 v3, s6, v0
	s_mov_b32 s5, 0xffffff
	v_mov_b32_e32 v2, 0
	s_mov_b64 s[6:7], 0
	v_mul_hi_u32 v5, v0, v3
	v_add_co_u32_e32 v3, vcc, s1, v1
	s_lshl_b64 s[0:1], s[30:31], 2
	v_add_u32_e32 v23, v0, v5
	buffer_load_dword v0, off, s[56:59], 0 offset:28 ; 4-byte Folded Reload
	v_addc_co_u32_e32 v4, vcc, 0, v4, vcc
	s_add_u32 s0, s28, s0
	s_addc_u32 s1, s29, s1
	v_mov_b32_e32 v1, s1
	s_movk_i32 s28, 0x80
	s_movk_i32 s29, 0x7f
	s_mov_b32 s30, 0x8000
	v_mov_b32_e32 v25, 0x2000
	v_mov_b32_e32 v16, 0
	;; [unrolled: 1-line block ×7, first 2 shown]
	s_waitcnt vmcnt(0)
	v_and_b32_e32 v0, 60, v0
	v_add_co_u32_e32 v5, vcc, s0, v0
	v_lshlrev_b32_e32 v0, 5, v15
	v_lshl_or_b32 v0, v11, 6, v0
	v_addc_co_u32_e32 v6, vcc, 0, v1, vcc
	v_add_u32_e32 v24, 0x190, v0
	s_branch .LBB243_328
.LBB243_326:                            ;   in Loop: Header=BB243_328 Depth=1
	s_or_b64 exec, exec, s[0:1]
	;;#ASMSTART
	v_pk_mul_f16 v7, v37, v7;

	;;#ASMEND
	;;#ASMSTART
	v_pk_mul_f16 v1, v36, v1;

	;;#ASMEND
	;; [unrolled: 4-line block ×3, first 2 shown]
	v_add_f32_e32 v9, v9, v10
	;;#ASMSTART
	v_pk_mul_f16 v8, v34, v8;

	;;#ASMEND
	;;#ASMSTART
	v_pk_add_f16 v1, v7, v1;

	;;#ASMEND
	;;#ASMSTART
	v_pk_add_f16 v0, v1, v0;

	;;#ASMEND
	v_add_f32_e32 v17, v17, v9
	v_add_f32_e32 v9, v44, v45
	;;#ASMSTART
	v_pk_add_f16 v0, v0, v8;

	;;#ASMEND
	v_add_f32_e32 v18, v18, v9
	v_add_f32_e32 v9, v42, v43
	v_lshrrev_b32_e32 v1, 16, v0
	v_and_b32_e32 v0, 0xffff, v0
	v_add_f32_e32 v19, v19, v9
	v_add_f32_e32 v9, v40, v41
	;;#ASMSTART
	v_cvt_f32_f16 v0, v0;
	;;#ASMEND
	v_add_f32_e32 v20, v20, v9
	v_add_f32_e32 v9, v38, v39
	;;#ASMSTART
	v_cvt_f32_f16 v1, v1;
	;;#ASMEND
	v_add_f32_e32 v0, v0, v1
	v_add_f32_e32 v21, v21, v9
	;; [unrolled: 1-line block ×3, first 2 shown]
.LBB243_327:                            ;   in Loop: Header=BB243_328 Depth=1
	s_or_b64 exec, exec, s[12:13]
	v_add_co_u32_e32 v5, vcc, 8, v5
	v_add_u32_e32 v11, 2, v11
	v_addc_co_u32_e32 v6, vcc, 0, v6, vcc
	v_cmp_le_i32_e32 vcc, s47, v11
	v_add_u32_e32 v12, 32, v12
	s_or_b64 s[6:7], vcc, s[6:7]
	v_add_u32_e32 v24, 0x80, v24
	s_andn2_b64 exec, exec, s[6:7]
	s_cbranch_execz .LBB243_629
.LBB243_328:                            ; =>This Inner Loop Header: Depth=1
	v_mul_hi_u32 v0, v12, s46
	v_mul_lo_u32 v1, v0, s25
	v_add_u32_e32 v7, 1, v0
	v_sub_u32_e32 v1, v12, v1
	v_cmp_le_u32_e32 vcc, s25, v1
	v_cndmask_b32_e32 v0, v0, v7, vcc
	v_subrev_u32_e32 v7, s25, v1
	v_cndmask_b32_e32 v1, v1, v7, vcc
	v_add_u32_e32 v7, 1, v0
	v_cmp_le_u32_e32 vcc, s25, v1
	v_cndmask_b32_e32 v0, v0, v7, vcc
	v_xor_b32_e32 v0, s23, v0
	v_subrev_u32_e32 v0, s23, v0
	v_add_u32_e32 v1, s36, v0
	v_sub_u32_e32 v7, 0, v1
	v_max_i32_e32 v7, v1, v7
	v_mul_hi_u32 v8, v7, v23
	v_ashrrev_i32_e32 v1, 31, v1
	v_cmp_lt_i32_e64 s[0:1], s37, v0
	v_mul_lo_u32 v8, v8, s22
	v_sub_u32_e32 v7, v7, v8
	v_subrev_u32_e32 v8, s22, v7
	v_cmp_le_u32_e32 vcc, s22, v7
	v_cndmask_b32_e32 v7, v7, v8, vcc
	v_subrev_u32_e32 v8, s22, v7
	v_cmp_le_u32_e32 vcc, s22, v7
	v_cndmask_b32_e32 v7, v7, v8, vcc
	v_xor_b32_e32 v7, v7, v1
	v_sub_u32_e32 v1, v7, v1
	v_cmp_eq_u32_e32 vcc, 0, v1
	s_or_b64 s[0:1], vcc, s[0:1]
	s_and_saveexec_b64 s[12:13], s[0:1]
	s_cbranch_execz .LBB243_327
; %bb.329:                              ;   in Loop: Header=BB243_328 Depth=1
	global_load_dword v0, v[5:6], off
	ds_read2_b64 v[7:10], v24 offset1:1
	ds_read2_b64 v[26:29], v24 offset0:2 offset1:3
	s_waitcnt lgkmcnt(1)
	;;#ASMSTART
	v_cvt_f16_f32 v34, v7;

	;;#ASMEND
	;;#ASMSTART
	v_cvt_f16_f32 v35, v8;

	;;#ASMEND
	;; [unrolled: 4-line block ×4, first 2 shown]
	s_waitcnt lgkmcnt(0)
	;;#ASMSTART
	v_cvt_f16_f32 v39, v26;

	;;#ASMEND
	;;#ASMSTART
	v_cvt_f16_f32 v40, v27;

	;;#ASMEND
	;; [unrolled: 4-line block ×4, first 2 shown]
	v_mov_b32_e32 v28, 0
	global_load_dword v27, v28, s[14:15]
	v_mov_b32_e32 v29, 0
	s_waitcnt vmcnt(1)
	v_mad_i64_i32 v[7:8], s[0:1], v0, s34, v[3:4]
	global_load_dwordx2 v[9:10], v[7:8], off
	s_waitcnt vmcnt(0)
	v_cmp_ne_u16_sdwa s[16:17], v9, v2 src0_sel:BYTE_0 src1_sel:DWORD
	s_and_saveexec_b64 s[0:1], s[16:17]
	s_cbranch_execz .LBB243_335
; %bb.330:                              ;   in Loop: Header=BB243_328 Depth=1
	v_cmp_ne_u16_sdwa s[18:19], v9, s28 src0_sel:BYTE_0 src1_sel:DWORD
	v_mov_b32_e32 v29, 0x8000
	s_and_saveexec_b64 s[16:17], s[18:19]
	s_cbranch_execz .LBB243_334
; %bb.331:                              ;   in Loop: Header=BB243_328 Depth=1
	v_and_b32_e32 v0, 0x7f, v9
	v_cmp_ne_u32_e32 vcc, s29, v0
	v_mov_b32_e32 v29, 0x7c01
	s_and_saveexec_b64 s[18:19], vcc
	s_cbranch_execz .LBB243_333
; %bb.332:                              ;   in Loop: Header=BB243_328 Depth=1
	v_and_b32_e32 v1, 7, v9
	v_ffbh_u32_e32 v29, v1
	v_min_u32_e32 v31, 32, v29
	v_subrev_u32_e32 v29, 28, v31
	v_lshlrev_b64 v[29:30], v29, v[9:10]
	v_lshrrev_b32_e32 v26, 3, v0
	v_sub_u32_e32 v30, 29, v31
	v_cmp_gt_u32_e32 vcc, 8, v0
	v_cndmask_b32_e32 v0, v26, v30, vcc
	v_lshl_add_u32 v0, v0, 10, v25
	v_lshlrev_b32_e32 v26, 8, v9
	v_and_b32_e32 v29, 7, v29
	v_and_b32_e32 v0, 0xfc00, v0
	v_cndmask_b32_e32 v1, v1, v29, vcc
	v_and_or_b32 v0, v26, s30, v0
	v_lshl_or_b32 v29, v1, 7, v0
.LBB243_333:                            ;   in Loop: Header=BB243_328 Depth=1
	s_or_b64 exec, exec, s[18:19]
.LBB243_334:                            ;   in Loop: Header=BB243_328 Depth=1
	s_or_b64 exec, exec, s[16:17]
.LBB243_335:                            ;   in Loop: Header=BB243_328 Depth=1
	s_or_b64 exec, exec, s[0:1]
	v_lshrrev_b16_e32 v1, 8, v9
	v_cmp_ne_u16_e32 vcc, 0, v1
	s_and_saveexec_b64 s[0:1], vcc
	s_cbranch_execz .LBB243_341
; %bb.336:                              ;   in Loop: Header=BB243_328 Depth=1
	v_cmp_ne_u16_e32 vcc, s28, v1
	v_bfrev_b32_e32 v28, 1
	s_and_saveexec_b64 s[16:17], vcc
	s_cbranch_execz .LBB243_340
; %bb.337:                              ;   in Loop: Header=BB243_328 Depth=1
	v_and_b32_e32 v0, 0x7f, v1
	v_cmp_ne_u32_e32 vcc, s29, v0
	v_mov_b32_e32 v28, 0x7c010000
	s_and_saveexec_b64 s[18:19], vcc
	s_cbranch_execz .LBB243_339
; %bb.338:                              ;   in Loop: Header=BB243_328 Depth=1
	v_and_b32_e32 v26, 7, v1
	v_ffbh_u32_e32 v30, v26
	v_min_u32_e32 v32, 32, v30
	v_subrev_u32_e32 v30, 28, v32
	v_lshlrev_b64 v[30:31], v30, v[1:2]
	v_lshrrev_b32_e32 v28, 3, v0
	v_sub_u32_e32 v31, 29, v32
	v_cmp_gt_u32_e32 vcc, 8, v0
	v_cndmask_b32_e32 v0, v28, v31, vcc
	v_lshlrev_b32_e32 v1, 8, v1
	v_lshl_add_u32 v0, v0, 10, v25
	v_and_b32_e32 v28, 7, v30
	v_and_or_b32 v0, v1, s30, v0
	v_cndmask_b32_e32 v26, v26, v28, vcc
	v_lshlrev_b32_e32 v0, 16, v0
	v_lshl_or_b32 v28, v26, 23, v0
.LBB243_339:                            ;   in Loop: Header=BB243_328 Depth=1
	s_or_b64 exec, exec, s[18:19]
.LBB243_340:                            ;   in Loop: Header=BB243_328 Depth=1
	s_or_b64 exec, exec, s[16:17]
.LBB243_341:                            ;   in Loop: Header=BB243_328 Depth=1
	s_or_b64 exec, exec, s[0:1]
	v_lshrrev_b32_e32 v1, 16, v9
	v_cmp_ne_u16_sdwa s[16:17], v1, v2 src0_sel:BYTE_0 src1_sel:DWORD
	v_mov_b32_e32 v30, 0
	v_mov_b32_e32 v31, 0
	s_and_saveexec_b64 s[0:1], s[16:17]
	s_cbranch_execz .LBB243_347
; %bb.342:                              ;   in Loop: Header=BB243_328 Depth=1
	v_cmp_ne_u16_sdwa s[18:19], v1, s28 src0_sel:BYTE_0 src1_sel:DWORD
	v_mov_b32_e32 v31, 0x8000
	s_and_saveexec_b64 s[16:17], s[18:19]
	s_cbranch_execz .LBB243_346
; %bb.343:                              ;   in Loop: Header=BB243_328 Depth=1
	v_bfe_u32 v0, v9, 16, 7
	v_cmp_ne_u32_e32 vcc, s29, v0
	v_mov_b32_e32 v31, 0x7c01
	s_and_saveexec_b64 s[18:19], vcc
	s_cbranch_execz .LBB243_345
; %bb.344:                              ;   in Loop: Header=BB243_328 Depth=1
	v_and_b32_e32 v26, 7, v1
	v_ffbh_u32_e32 v31, v26
	v_min_u32_e32 v37, 32, v31
	v_subrev_u32_e32 v31, 28, v37
	v_lshlrev_b64 v[31:32], v31, v[1:2]
	v_lshrrev_b32_e32 v33, 3, v0
	v_sub_u32_e32 v32, 29, v37
	v_cmp_gt_u32_e32 vcc, 8, v0
	v_cndmask_b32_e32 v0, v33, v32, vcc
	v_lshl_add_u32 v0, v0, 10, v25
	v_lshlrev_b32_e32 v1, 8, v1
	v_and_b32_e32 v31, 7, v31
	v_and_b32_e32 v0, 0xfc00, v0
	v_cndmask_b32_e32 v26, v26, v31, vcc
	v_and_or_b32 v0, v1, s30, v0
	v_lshl_or_b32 v31, v26, 7, v0
.LBB243_345:                            ;   in Loop: Header=BB243_328 Depth=1
	s_or_b64 exec, exec, s[18:19]
.LBB243_346:                            ;   in Loop: Header=BB243_328 Depth=1
	s_or_b64 exec, exec, s[16:17]
.LBB243_347:                            ;   in Loop: Header=BB243_328 Depth=1
	s_or_b64 exec, exec, s[0:1]
	v_cmp_lt_u32_e32 vcc, s5, v9
	s_and_saveexec_b64 s[0:1], vcc
	s_cbranch_execz .LBB243_353
; %bb.348:                              ;   in Loop: Header=BB243_328 Depth=1
	v_lshrrev_b32_e32 v1, 24, v9
	v_cmp_ne_u32_e32 vcc, s28, v1
	v_bfrev_b32_e32 v30, 1
	s_and_saveexec_b64 s[16:17], vcc
	s_cbranch_execz .LBB243_352
; %bb.349:                              ;   in Loop: Header=BB243_328 Depth=1
	v_and_b32_e32 v0, 0x7f, v1
	v_cmp_ne_u32_e32 vcc, s29, v0
	v_mov_b32_e32 v30, 0x7c010000
	s_and_saveexec_b64 s[18:19], vcc
	s_cbranch_execz .LBB243_351
; %bb.350:                              ;   in Loop: Header=BB243_328 Depth=1
	v_and_b32_e32 v26, 7, v1
	v_ffbh_u32_e32 v32, v26
	v_min_u32_e32 v37, 32, v32
	v_subrev_u32_e32 v32, 28, v37
	v_lshlrev_b64 v[32:33], v32, v[1:2]
	v_lshrrev_b32_e32 v30, 3, v0
	v_sub_u32_e32 v33, 29, v37
	v_cmp_gt_u32_e32 vcc, 8, v0
	v_cndmask_b32_e32 v0, v30, v33, vcc
	v_lshlrev_b32_e32 v1, 8, v1
	v_lshl_add_u32 v0, v0, 10, v25
	v_and_b32_e32 v30, 7, v32
	v_and_or_b32 v0, v1, s30, v0
	v_cndmask_b32_e32 v26, v26, v30, vcc
	v_lshlrev_b32_e32 v0, 16, v0
	v_lshl_or_b32 v30, v26, 23, v0
.LBB243_351:                            ;   in Loop: Header=BB243_328 Depth=1
	s_or_b64 exec, exec, s[18:19]
.LBB243_352:                            ;   in Loop: Header=BB243_328 Depth=1
	s_or_b64 exec, exec, s[16:17]
.LBB243_353:                            ;   in Loop: Header=BB243_328 Depth=1
	s_or_b64 exec, exec, s[0:1]
	v_mov_b32_e32 v1, v10
	v_cmp_ne_u16_sdwa s[16:17], v10, v2 src0_sel:BYTE_0 src1_sel:DWORD
	v_mov_b32_e32 v32, 0
	v_mov_b32_e32 v33, 0
	s_and_saveexec_b64 s[0:1], s[16:17]
	s_cbranch_execz .LBB243_359
; %bb.354:                              ;   in Loop: Header=BB243_328 Depth=1
	v_cmp_ne_u16_sdwa s[18:19], v10, s28 src0_sel:BYTE_0 src1_sel:DWORD
	v_mov_b32_e32 v33, 0x8000
	s_and_saveexec_b64 s[16:17], s[18:19]
	s_cbranch_execz .LBB243_358
; %bb.355:                              ;   in Loop: Header=BB243_328 Depth=1
	v_and_b32_e32 v0, 0x7f, v10
	v_cmp_ne_u32_e32 vcc, s29, v0
	v_mov_b32_e32 v33, 0x7c01
	s_and_saveexec_b64 s[18:19], vcc
	s_cbranch_execz .LBB243_357
; %bb.356:                              ;   in Loop: Header=BB243_328 Depth=1
	v_and_b32_e32 v26, 7, v10
	v_ffbh_u32_e32 v37, v26
	v_min_u32_e32 v37, 32, v37
	v_lshrrev_b32_e32 v33, 3, v0
	v_subrev_u32_e32 v43, 28, v37
	v_sub_u32_e32 v37, 29, v37
	v_cmp_gt_u32_e32 vcc, 8, v0
	v_lshlrev_b64 v[43:44], v43, v[1:2]
	v_cndmask_b32_e32 v0, v33, v37, vcc
	v_lshl_add_u32 v0, v0, 10, v25
	v_lshlrev_b32_e32 v33, 8, v10
	v_and_b32_e32 v37, 7, v43
	v_and_b32_e32 v0, 0xfc00, v0
	v_cndmask_b32_e32 v26, v26, v37, vcc
	v_and_or_b32 v0, v33, s30, v0
	v_lshl_or_b32 v33, v26, 7, v0
.LBB243_357:                            ;   in Loop: Header=BB243_328 Depth=1
	s_or_b64 exec, exec, s[18:19]
.LBB243_358:                            ;   in Loop: Header=BB243_328 Depth=1
	s_or_b64 exec, exec, s[16:17]
.LBB243_359:                            ;   in Loop: Header=BB243_328 Depth=1
	s_or_b64 exec, exec, s[0:1]
	v_lshrrev_b16_e32 v1, 8, v1
	v_cmp_ne_u16_e32 vcc, 0, v1
	v_mov_b32_e32 v37, 0
	s_and_saveexec_b64 s[0:1], vcc
	s_cbranch_execz .LBB243_365
; %bb.360:                              ;   in Loop: Header=BB243_328 Depth=1
	v_cmp_ne_u16_e32 vcc, s28, v1
	v_bfrev_b32_e32 v37, 1
	s_and_saveexec_b64 s[16:17], vcc
	s_cbranch_execz .LBB243_364
; %bb.361:                              ;   in Loop: Header=BB243_328 Depth=1
	v_and_b32_e32 v0, 0x7f, v1
	v_cmp_ne_u32_e32 vcc, s29, v0
	v_mov_b32_e32 v37, 0x7c010000
	s_and_saveexec_b64 s[18:19], vcc
	s_cbranch_execz .LBB243_363
; %bb.362:                              ;   in Loop: Header=BB243_328 Depth=1
	v_and_b32_e32 v26, 7, v1
	v_ffbh_u32_e32 v43, v26
	v_min_u32_e32 v45, 32, v43
	v_subrev_u32_e32 v43, 28, v45
	v_lshlrev_b64 v[43:44], v43, v[1:2]
	v_lshrrev_b32_e32 v37, 3, v0
	v_sub_u32_e32 v44, 29, v45
	v_cmp_gt_u32_e32 vcc, 8, v0
	v_cndmask_b32_e32 v0, v37, v44, vcc
	v_lshlrev_b32_e32 v1, 8, v1
	v_lshl_add_u32 v0, v0, 10, v25
	v_and_b32_e32 v37, 7, v43
	v_and_or_b32 v0, v1, s30, v0
	v_cndmask_b32_e32 v26, v26, v37, vcc
	v_lshlrev_b32_e32 v0, 16, v0
	v_lshl_or_b32 v37, v26, 23, v0
.LBB243_363:                            ;   in Loop: Header=BB243_328 Depth=1
	s_or_b64 exec, exec, s[18:19]
.LBB243_364:                            ;   in Loop: Header=BB243_328 Depth=1
	s_or_b64 exec, exec, s[16:17]
.LBB243_365:                            ;   in Loop: Header=BB243_328 Depth=1
	s_or_b64 exec, exec, s[0:1]
	v_lshrrev_b32_e32 v1, 16, v10
	v_cmp_ne_u16_sdwa s[16:17], v1, v2 src0_sel:BYTE_0 src1_sel:DWORD
	s_and_saveexec_b64 s[0:1], s[16:17]
	s_cbranch_execz .LBB243_371
; %bb.366:                              ;   in Loop: Header=BB243_328 Depth=1
	v_cmp_ne_u16_sdwa s[18:19], v1, s28 src0_sel:BYTE_0 src1_sel:DWORD
	v_mov_b32_e32 v32, 0x8000
	s_and_saveexec_b64 s[16:17], s[18:19]
	s_cbranch_execz .LBB243_370
; %bb.367:                              ;   in Loop: Header=BB243_328 Depth=1
	v_bfe_u32 v0, v10, 16, 7
	v_cmp_ne_u32_e32 vcc, s29, v0
	v_mov_b32_e32 v32, 0x7c01
	s_and_saveexec_b64 s[18:19], vcc
	s_cbranch_execz .LBB243_369
; %bb.368:                              ;   in Loop: Header=BB243_328 Depth=1
	v_and_b32_e32 v26, 7, v1
	v_ffbh_u32_e32 v43, v26
	v_min_u32_e32 v45, 32, v43
	v_subrev_u32_e32 v43, 28, v45
	v_lshlrev_b64 v[43:44], v43, v[1:2]
	v_lshrrev_b32_e32 v32, 3, v0
	v_sub_u32_e32 v44, 29, v45
	v_cmp_gt_u32_e32 vcc, 8, v0
	v_cndmask_b32_e32 v0, v32, v44, vcc
	v_lshl_add_u32 v0, v0, 10, v25
	v_lshlrev_b32_e32 v1, 8, v1
	v_and_b32_e32 v32, 7, v43
	v_and_b32_e32 v0, 0xfc00, v0
	v_cndmask_b32_e32 v26, v26, v32, vcc
	v_and_or_b32 v0, v1, s30, v0
	v_lshl_or_b32 v32, v26, 7, v0
.LBB243_369:                            ;   in Loop: Header=BB243_328 Depth=1
	s_or_b64 exec, exec, s[18:19]
.LBB243_370:                            ;   in Loop: Header=BB243_328 Depth=1
	s_or_b64 exec, exec, s[16:17]
.LBB243_371:                            ;   in Loop: Header=BB243_328 Depth=1
	s_or_b64 exec, exec, s[0:1]
	v_cmp_lt_u64_e32 vcc, s[4:5], v[9:10]
	v_mov_b32_e32 v9, 0
	s_and_saveexec_b64 s[0:1], vcc
	s_cbranch_execz .LBB243_377
; %bb.372:                              ;   in Loop: Header=BB243_328 Depth=1
	v_lshrrev_b32_e32 v1, 24, v10
	v_cmp_ne_u32_e32 vcc, s28, v1
	v_bfrev_b32_e32 v9, 1
	s_and_saveexec_b64 s[16:17], vcc
	s_cbranch_execz .LBB243_376
; %bb.373:                              ;   in Loop: Header=BB243_328 Depth=1
	v_and_b32_e32 v0, 0x7f, v1
	v_cmp_ne_u32_e32 vcc, s29, v0
	v_mov_b32_e32 v9, 0x7c010000
	s_and_saveexec_b64 s[18:19], vcc
	s_cbranch_execz .LBB243_375
; %bb.374:                              ;   in Loop: Header=BB243_328 Depth=1
	v_and_b32_e32 v26, 7, v1
	v_ffbh_u32_e32 v9, v26
	v_min_u32_e32 v44, 32, v9
	v_subrev_u32_e32 v9, 28, v44
	v_lshlrev_b64 v[9:10], v9, v[1:2]
	v_lshrrev_b32_e32 v43, 3, v0
	v_sub_u32_e32 v10, 29, v44
	v_cmp_gt_u32_e32 vcc, 8, v0
	v_cndmask_b32_e32 v0, v43, v10, vcc
	v_lshlrev_b32_e32 v1, 8, v1
	v_lshl_add_u32 v0, v0, 10, v25
	v_and_b32_e32 v9, 7, v9
	v_and_or_b32 v0, v1, s30, v0
	v_cndmask_b32_e32 v9, v26, v9, vcc
	v_lshlrev_b32_e32 v0, 16, v0
	v_lshl_or_b32 v9, v9, 23, v0
.LBB243_375:                            ;   in Loop: Header=BB243_328 Depth=1
	s_or_b64 exec, exec, s[18:19]
.LBB243_376:                            ;   in Loop: Header=BB243_328 Depth=1
	s_or_b64 exec, exec, s[16:17]
.LBB243_377:                            ;   in Loop: Header=BB243_328 Depth=1
	s_or_b64 exec, exec, s[0:1]
	v_fma_mixlo_f16 v1, v27, v30, 0 op_sel:[0,1,0] op_sel_hi:[0,1,0]
	v_lshlrev_b32_e32 v43, 16, v1
	v_or_b32_e32 v1, v28, v29
	v_fma_mixlo_f16 v10, v27, v28, 0 op_sel:[0,1,0] op_sel_hi:[0,1,0]
	v_fma_mixlo_f16 v28, v27, v37, 0 op_sel:[0,1,0] op_sel_hi:[0,1,0]
	v_or_b32_e32 v0, v30, v31
	v_lshlrev_b32_e32 v46, 16, v10
	v_or_b32_e32 v10, v37, v33
	v_lshlrev_b32_e32 v37, 16, v28
	v_or_b32_e32 v28, v9, v32
	v_fma_mixlo_f16 v0, v27, v0, 0 op_sel_hi:[0,1,0]
	v_fma_mixlo_f16 v1, v27, v1, 0 op_sel_hi:[0,1,0]
	v_fma_mixlo_f16 v10, v27, v10, 0 op_sel_hi:[0,1,0]
	v_fma_mixlo_f16 v28, v27, v28, 0 op_sel_hi:[0,1,0]
	v_fma_mixlo_f16 v9, v27, v9, 0 op_sel:[0,1,0] op_sel_hi:[0,1,0]
	v_add_u32_e32 v26, v22, v12
	v_and_b32_e32 v44, 0xffff, v0
	v_and_b32_e32 v49, 0xffff, v1
	;; [unrolled: 1-line block ×3, first 2 shown]
	v_lshlrev_b32_e32 v45, 16, v9
	v_and_b32_e32 v48, 0xffff, v28
	v_cmp_eq_u32_e32 vcc, s35, v11
	v_or_b32_e32 v0, v43, v44
	v_or_b32_e32 v1, v46, v49
	v_or_b32_e32 v10, v37, v47
	v_or_b32_e32 v9, v45, v48
	v_add_u32_e32 v33, 1, v26
	v_add_u32_e32 v32, 2, v26
	;; [unrolled: 1-line block ×7, first 2 shown]
	s_and_saveexec_b64 s[16:17], vcc
	s_cbranch_execz .LBB243_379
; %bb.378:                              ;   in Loop: Header=BB243_328 Depth=1
	v_cmp_gt_i32_e64 s[0:1], s33, v26
	v_cndmask_b32_e64 v0, 0, v49, s[0:1]
	v_cmp_gt_i32_e64 s[0:1], s33, v33
	v_cndmask_b32_e64 v1, 0, v46, s[0:1]
	v_cmp_gt_i32_e64 s[0:1], s33, v32
	v_or_b32_e32 v1, v1, v0
	v_cndmask_b32_e64 v0, 0, v44, s[0:1]
	v_cmp_gt_i32_e64 s[0:1], s33, v31
	v_cndmask_b32_e64 v9, 0, v43, s[0:1]
	v_cmp_gt_i32_e64 s[0:1], s33, v30
	v_or_b32_e32 v0, v9, v0
	;; [unrolled: 5-line block ×3, first 2 shown]
	v_cndmask_b32_e64 v9, 0, v48, s[0:1]
	v_cmp_gt_i32_e64 s[0:1], s33, v27
	v_cndmask_b32_e64 v37, 0, v45, s[0:1]
	v_or_b32_e32 v9, v37, v9
.LBB243_379:                            ;   in Loop: Header=BB243_328 Depth=1
	s_or_b64 exec, exec, s[16:17]
	v_and_b32_e32 v34, 0xffff, v34
	v_lshl_or_b32 v37, v35, 16, v34
	v_and_b32_e32 v34, 0xffff, v36
	v_lshl_or_b32 v36, v38, 16, v34
	;; [unrolled: 2-line block ×3, first 2 shown]
	v_and_b32_e32 v34, 0xffff, v41
	;;#ASMSTART
	v_pk_mul_f16 v1, v37, v1;

	;;#ASMEND
	;;#ASMSTART
	v_pk_mul_f16 v0, v36, v0;

	;;#ASMEND
	v_lshl_or_b32 v34, v42, 16, v34
	;;#ASMSTART
	v_pk_mul_f16 v10, v35, v10;

	;;#ASMEND
	;;#ASMSTART
	v_pk_mul_f16 v9, v34, v9;

	;;#ASMEND
	;;#ASMSTART
	v_pk_add_f16 v0, v1, v0;

	;;#ASMEND
	;;#ASMSTART
	v_pk_add_f16 v0, v0, v10;
	;; [unrolled: 4-line block ×3, first 2 shown]

	;;#ASMEND
	v_lshrrev_b32_e32 v1, 16, v0
	v_and_b32_e32 v0, 0xffff, v0
	;;#ASMSTART
	v_cvt_f32_f16 v38, v0;
	;;#ASMEND
	;;#ASMSTART
	v_cvt_f32_f16 v39, v1;
	;;#ASMEND
	global_load_dwordx2 v[9:10], v[7:8], off offset:512
	v_mov_b32_e32 v41, 0
	global_load_dword v40, v41, s[14:15]
	v_mov_b32_e32 v42, 0
	s_waitcnt vmcnt(1)
	v_cmp_ne_u16_sdwa s[0:1], v9, v2 src0_sel:BYTE_0 src1_sel:DWORD
	s_and_saveexec_b64 s[16:17], s[0:1]
	s_cbranch_execz .LBB243_385
; %bb.380:                              ;   in Loop: Header=BB243_328 Depth=1
	v_cmp_ne_u16_sdwa s[0:1], v9, s28 src0_sel:BYTE_0 src1_sel:DWORD
	v_mov_b32_e32 v42, 0x8000
	s_and_saveexec_b64 s[18:19], s[0:1]
	s_cbranch_execz .LBB243_384
; %bb.381:                              ;   in Loop: Header=BB243_328 Depth=1
	v_and_b32_e32 v0, 0x7f, v9
	v_cmp_ne_u32_e64 s[0:1], s29, v0
	v_mov_b32_e32 v42, 0x7c01
	s_and_saveexec_b64 s[20:21], s[0:1]
	s_cbranch_execz .LBB243_383
; %bb.382:                              ;   in Loop: Header=BB243_328 Depth=1
	v_and_b32_e32 v1, 7, v9
	v_ffbh_u32_e32 v42, v1
	v_min_u32_e32 v45, 32, v42
	v_subrev_u32_e32 v42, 28, v45
	v_lshlrev_b64 v[42:43], v42, v[9:10]
	v_lshrrev_b32_e32 v44, 3, v0
	v_sub_u32_e32 v43, 29, v45
	v_cmp_gt_u32_e64 s[0:1], 8, v0
	v_cndmask_b32_e64 v0, v44, v43, s[0:1]
	v_lshl_add_u32 v0, v0, 10, v25
	v_lshlrev_b32_e32 v43, 8, v9
	v_and_b32_e32 v42, 7, v42
	v_and_b32_e32 v0, 0xfc00, v0
	v_cndmask_b32_e64 v1, v1, v42, s[0:1]
	v_and_or_b32 v0, v43, s30, v0
	v_lshl_or_b32 v42, v1, 7, v0
.LBB243_383:                            ;   in Loop: Header=BB243_328 Depth=1
	s_or_b64 exec, exec, s[20:21]
.LBB243_384:                            ;   in Loop: Header=BB243_328 Depth=1
	s_or_b64 exec, exec, s[18:19]
.LBB243_385:                            ;   in Loop: Header=BB243_328 Depth=1
	s_or_b64 exec, exec, s[16:17]
	v_lshrrev_b16_e32 v1, 8, v9
	v_cmp_ne_u16_e64 s[0:1], 0, v1
	s_and_saveexec_b64 s[16:17], s[0:1]
	s_cbranch_execz .LBB243_391
; %bb.386:                              ;   in Loop: Header=BB243_328 Depth=1
	v_cmp_ne_u16_e64 s[0:1], s28, v1
	v_bfrev_b32_e32 v41, 1
	s_and_saveexec_b64 s[18:19], s[0:1]
	s_cbranch_execz .LBB243_390
; %bb.387:                              ;   in Loop: Header=BB243_328 Depth=1
	v_and_b32_e32 v0, 0x7f, v1
	v_cmp_ne_u32_e64 s[0:1], s29, v0
	v_mov_b32_e32 v41, 0x7c010000
	s_and_saveexec_b64 s[20:21], s[0:1]
	s_cbranch_execz .LBB243_389
; %bb.388:                              ;   in Loop: Header=BB243_328 Depth=1
	v_and_b32_e32 v41, 7, v1
	v_ffbh_u32_e32 v43, v41
	v_min_u32_e32 v46, 32, v43
	v_subrev_u32_e32 v43, 28, v46
	v_lshlrev_b64 v[43:44], v43, v[1:2]
	v_lshrrev_b32_e32 v45, 3, v0
	v_sub_u32_e32 v44, 29, v46
	v_cmp_gt_u32_e64 s[0:1], 8, v0
	v_cndmask_b32_e64 v0, v45, v44, s[0:1]
	v_lshlrev_b32_e32 v1, 8, v1
	v_lshl_add_u32 v0, v0, 10, v25
	v_and_b32_e32 v43, 7, v43
	v_and_or_b32 v0, v1, s30, v0
	v_cndmask_b32_e64 v41, v41, v43, s[0:1]
	v_lshlrev_b32_e32 v0, 16, v0
	v_lshl_or_b32 v41, v41, 23, v0
.LBB243_389:                            ;   in Loop: Header=BB243_328 Depth=1
	s_or_b64 exec, exec, s[20:21]
.LBB243_390:                            ;   in Loop: Header=BB243_328 Depth=1
	s_or_b64 exec, exec, s[18:19]
.LBB243_391:                            ;   in Loop: Header=BB243_328 Depth=1
	s_or_b64 exec, exec, s[16:17]
	v_lshrrev_b32_e32 v1, 16, v9
	v_cmp_ne_u16_sdwa s[0:1], v1, v2 src0_sel:BYTE_0 src1_sel:DWORD
	v_mov_b32_e32 v43, 0
	v_mov_b32_e32 v44, 0
	s_and_saveexec_b64 s[16:17], s[0:1]
	s_cbranch_execz .LBB243_397
; %bb.392:                              ;   in Loop: Header=BB243_328 Depth=1
	v_cmp_ne_u16_sdwa s[0:1], v1, s28 src0_sel:BYTE_0 src1_sel:DWORD
	v_mov_b32_e32 v44, 0x8000
	s_and_saveexec_b64 s[18:19], s[0:1]
	s_cbranch_execz .LBB243_396
; %bb.393:                              ;   in Loop: Header=BB243_328 Depth=1
	v_bfe_u32 v0, v9, 16, 7
	v_cmp_ne_u32_e64 s[0:1], s29, v0
	v_mov_b32_e32 v44, 0x7c01
	s_and_saveexec_b64 s[20:21], s[0:1]
	s_cbranch_execz .LBB243_395
; %bb.394:                              ;   in Loop: Header=BB243_328 Depth=1
	v_and_b32_e32 v46, 7, v1
	v_ffbh_u32_e32 v44, v46
	v_min_u32_e32 v48, 32, v44
	v_subrev_u32_e32 v44, 28, v48
	v_lshlrev_b64 v[44:45], v44, v[1:2]
	v_lshrrev_b32_e32 v47, 3, v0
	v_sub_u32_e32 v45, 29, v48
	v_cmp_gt_u32_e64 s[0:1], 8, v0
	v_cndmask_b32_e64 v0, v47, v45, s[0:1]
	v_lshl_add_u32 v0, v0, 10, v25
	v_lshlrev_b32_e32 v1, 8, v1
	v_and_b32_e32 v44, 7, v44
	v_and_b32_e32 v0, 0xfc00, v0
	v_cndmask_b32_e64 v44, v46, v44, s[0:1]
	v_and_or_b32 v0, v1, s30, v0
	v_lshl_or_b32 v44, v44, 7, v0
.LBB243_395:                            ;   in Loop: Header=BB243_328 Depth=1
	s_or_b64 exec, exec, s[20:21]
.LBB243_396:                            ;   in Loop: Header=BB243_328 Depth=1
	s_or_b64 exec, exec, s[18:19]
.LBB243_397:                            ;   in Loop: Header=BB243_328 Depth=1
	s_or_b64 exec, exec, s[16:17]
	v_cmp_lt_u32_e64 s[0:1], s5, v9
	s_and_saveexec_b64 s[16:17], s[0:1]
	s_cbranch_execz .LBB243_403
; %bb.398:                              ;   in Loop: Header=BB243_328 Depth=1
	v_lshrrev_b32_e32 v1, 24, v9
	v_cmp_ne_u32_e64 s[0:1], s28, v1
	v_bfrev_b32_e32 v43, 1
	s_and_saveexec_b64 s[18:19], s[0:1]
	s_cbranch_execz .LBB243_402
; %bb.399:                              ;   in Loop: Header=BB243_328 Depth=1
	v_and_b32_e32 v0, 0x7f, v1
	v_cmp_ne_u32_e64 s[0:1], s29, v0
	v_mov_b32_e32 v43, 0x7c010000
	s_and_saveexec_b64 s[20:21], s[0:1]
	s_cbranch_execz .LBB243_401
; %bb.400:                              ;   in Loop: Header=BB243_328 Depth=1
	v_and_b32_e32 v43, 7, v1
	v_ffbh_u32_e32 v45, v43
	v_min_u32_e32 v48, 32, v45
	v_subrev_u32_e32 v45, 28, v48
	v_lshlrev_b64 v[45:46], v45, v[1:2]
	v_lshrrev_b32_e32 v47, 3, v0
	v_sub_u32_e32 v46, 29, v48
	v_cmp_gt_u32_e64 s[0:1], 8, v0
	v_cndmask_b32_e64 v0, v47, v46, s[0:1]
	v_lshlrev_b32_e32 v1, 8, v1
	v_lshl_add_u32 v0, v0, 10, v25
	v_and_b32_e32 v45, 7, v45
	v_and_or_b32 v0, v1, s30, v0
	v_cndmask_b32_e64 v43, v43, v45, s[0:1]
	v_lshlrev_b32_e32 v0, 16, v0
	v_lshl_or_b32 v43, v43, 23, v0
.LBB243_401:                            ;   in Loop: Header=BB243_328 Depth=1
	s_or_b64 exec, exec, s[20:21]
.LBB243_402:                            ;   in Loop: Header=BB243_328 Depth=1
	s_or_b64 exec, exec, s[18:19]
.LBB243_403:                            ;   in Loop: Header=BB243_328 Depth=1
	s_or_b64 exec, exec, s[16:17]
	v_mov_b32_e32 v1, v10
	v_cmp_ne_u16_sdwa s[0:1], v10, v2 src0_sel:BYTE_0 src1_sel:DWORD
	v_mov_b32_e32 v45, 0
	v_mov_b32_e32 v46, 0
	s_and_saveexec_b64 s[16:17], s[0:1]
	s_cbranch_execz .LBB243_409
; %bb.404:                              ;   in Loop: Header=BB243_328 Depth=1
	v_cmp_ne_u16_sdwa s[0:1], v10, s28 src0_sel:BYTE_0 src1_sel:DWORD
	v_mov_b32_e32 v46, 0x8000
	s_and_saveexec_b64 s[18:19], s[0:1]
	s_cbranch_execz .LBB243_408
; %bb.405:                              ;   in Loop: Header=BB243_328 Depth=1
	v_and_b32_e32 v0, 0x7f, v10
	v_cmp_ne_u32_e64 s[0:1], s29, v0
	v_mov_b32_e32 v46, 0x7c01
	s_and_saveexec_b64 s[20:21], s[0:1]
	s_cbranch_execz .LBB243_407
; %bb.406:                              ;   in Loop: Header=BB243_328 Depth=1
	v_and_b32_e32 v48, 7, v10
	v_ffbh_u32_e32 v46, v48
	v_min_u32_e32 v50, 32, v46
	v_subrev_u32_e32 v46, 28, v50
	v_lshlrev_b64 v[46:47], v46, v[1:2]
	v_lshrrev_b32_e32 v49, 3, v0
	v_sub_u32_e32 v47, 29, v50
	v_cmp_gt_u32_e64 s[0:1], 8, v0
	v_cndmask_b32_e64 v0, v49, v47, s[0:1]
	v_lshl_add_u32 v0, v0, 10, v25
	v_lshlrev_b32_e32 v47, 8, v10
	v_and_b32_e32 v46, 7, v46
	v_and_b32_e32 v0, 0xfc00, v0
	v_cndmask_b32_e64 v46, v48, v46, s[0:1]
	v_and_or_b32 v0, v47, s30, v0
	v_lshl_or_b32 v46, v46, 7, v0
.LBB243_407:                            ;   in Loop: Header=BB243_328 Depth=1
	s_or_b64 exec, exec, s[20:21]
.LBB243_408:                            ;   in Loop: Header=BB243_328 Depth=1
	s_or_b64 exec, exec, s[18:19]
.LBB243_409:                            ;   in Loop: Header=BB243_328 Depth=1
	s_or_b64 exec, exec, s[16:17]
	v_lshrrev_b16_e32 v1, 8, v1
	v_cmp_ne_u16_e64 s[0:1], 0, v1
	v_mov_b32_e32 v0, 0
	s_and_saveexec_b64 s[16:17], s[0:1]
	s_cbranch_execz .LBB243_415
; %bb.410:                              ;   in Loop: Header=BB243_328 Depth=1
	v_cmp_ne_u16_e64 s[0:1], s28, v1
	v_bfrev_b32_e32 v0, 1
	s_and_saveexec_b64 s[18:19], s[0:1]
	s_cbranch_execz .LBB243_414
; %bb.411:                              ;   in Loop: Header=BB243_328 Depth=1
	v_and_b32_e32 v47, 0x7f, v1
	v_cmp_ne_u32_e64 s[0:1], s29, v47
	v_mov_b32_e32 v0, 0x7c010000
	s_and_saveexec_b64 s[20:21], s[0:1]
	s_cbranch_execz .LBB243_413
; %bb.412:                              ;   in Loop: Header=BB243_328 Depth=1
	v_and_b32_e32 v0, 7, v1
	v_ffbh_u32_e32 v48, v0
	v_min_u32_e32 v51, 32, v48
	v_subrev_u32_e32 v48, 28, v51
	v_lshlrev_b64 v[48:49], v48, v[1:2]
	v_lshrrev_b32_e32 v50, 3, v47
	v_sub_u32_e32 v49, 29, v51
	v_cmp_gt_u32_e64 s[0:1], 8, v47
	v_cndmask_b32_e64 v47, v50, v49, s[0:1]
	v_lshlrev_b32_e32 v1, 8, v1
	v_lshl_add_u32 v47, v47, 10, v25
	v_and_b32_e32 v48, 7, v48
	v_and_or_b32 v1, v1, s30, v47
	v_cndmask_b32_e64 v0, v0, v48, s[0:1]
	v_lshlrev_b32_e32 v1, 16, v1
	v_lshl_or_b32 v0, v0, 23, v1
.LBB243_413:                            ;   in Loop: Header=BB243_328 Depth=1
	s_or_b64 exec, exec, s[20:21]
.LBB243_414:                            ;   in Loop: Header=BB243_328 Depth=1
	s_or_b64 exec, exec, s[18:19]
.LBB243_415:                            ;   in Loop: Header=BB243_328 Depth=1
	s_or_b64 exec, exec, s[16:17]
	v_lshrrev_b32_e32 v1, 16, v10
	v_cmp_ne_u16_sdwa s[0:1], v1, v2 src0_sel:BYTE_0 src1_sel:DWORD
	s_and_saveexec_b64 s[16:17], s[0:1]
	s_cbranch_execz .LBB243_421
; %bb.416:                              ;   in Loop: Header=BB243_328 Depth=1
	v_cmp_ne_u16_sdwa s[0:1], v1, s28 src0_sel:BYTE_0 src1_sel:DWORD
	v_mov_b32_e32 v45, 0x8000
	s_and_saveexec_b64 s[18:19], s[0:1]
	s_cbranch_execz .LBB243_420
; %bb.417:                              ;   in Loop: Header=BB243_328 Depth=1
	v_bfe_u32 v47, v10, 16, 7
	v_cmp_ne_u32_e64 s[0:1], s29, v47
	v_mov_b32_e32 v45, 0x7c01
	s_and_saveexec_b64 s[20:21], s[0:1]
	s_cbranch_execz .LBB243_419
; %bb.418:                              ;   in Loop: Header=BB243_328 Depth=1
	v_and_b32_e32 v45, 7, v1
	v_ffbh_u32_e32 v48, v45
	v_min_u32_e32 v51, 32, v48
	v_subrev_u32_e32 v48, 28, v51
	v_lshlrev_b64 v[48:49], v48, v[1:2]
	v_lshrrev_b32_e32 v50, 3, v47
	v_sub_u32_e32 v49, 29, v51
	v_cmp_gt_u32_e64 s[0:1], 8, v47
	v_cndmask_b32_e64 v47, v50, v49, s[0:1]
	v_lshl_add_u32 v47, v47, 10, v25
	v_lshlrev_b32_e32 v1, 8, v1
	v_and_b32_e32 v48, 7, v48
	v_and_b32_e32 v47, 0xfc00, v47
	v_cndmask_b32_e64 v45, v45, v48, s[0:1]
	v_and_or_b32 v1, v1, s30, v47
	v_lshl_or_b32 v45, v45, 7, v1
.LBB243_419:                            ;   in Loop: Header=BB243_328 Depth=1
	s_or_b64 exec, exec, s[20:21]
.LBB243_420:                            ;   in Loop: Header=BB243_328 Depth=1
	s_or_b64 exec, exec, s[18:19]
.LBB243_421:                            ;   in Loop: Header=BB243_328 Depth=1
	s_or_b64 exec, exec, s[16:17]
	v_cmp_lt_u64_e64 s[0:1], s[4:5], v[9:10]
	v_mov_b32_e32 v9, 0
	s_and_saveexec_b64 s[16:17], s[0:1]
	s_cbranch_execz .LBB243_427
; %bb.422:                              ;   in Loop: Header=BB243_328 Depth=1
	v_lshrrev_b32_e32 v1, 24, v10
	v_cmp_ne_u32_e64 s[0:1], s28, v1
	v_bfrev_b32_e32 v9, 1
	s_and_saveexec_b64 s[18:19], s[0:1]
	s_cbranch_execz .LBB243_426
; %bb.423:                              ;   in Loop: Header=BB243_328 Depth=1
	v_and_b32_e32 v10, 0x7f, v1
	v_cmp_ne_u32_e64 s[0:1], s29, v10
	v_mov_b32_e32 v9, 0x7c010000
	s_and_saveexec_b64 s[20:21], s[0:1]
	s_cbranch_execz .LBB243_425
; %bb.424:                              ;   in Loop: Header=BB243_328 Depth=1
	v_and_b32_e32 v9, 7, v1
	v_ffbh_u32_e32 v47, v9
	v_min_u32_e32 v50, 32, v47
	v_subrev_u32_e32 v47, 28, v50
	v_lshlrev_b64 v[47:48], v47, v[1:2]
	v_lshrrev_b32_e32 v49, 3, v10
	v_sub_u32_e32 v48, 29, v50
	v_cmp_gt_u32_e64 s[0:1], 8, v10
	v_cndmask_b32_e64 v10, v49, v48, s[0:1]
	v_lshlrev_b32_e32 v1, 8, v1
	v_lshl_add_u32 v10, v10, 10, v25
	v_and_b32_e32 v47, 7, v47
	v_and_or_b32 v1, v1, s30, v10
	v_cndmask_b32_e64 v9, v9, v47, s[0:1]
	v_lshlrev_b32_e32 v1, 16, v1
	v_lshl_or_b32 v9, v9, 23, v1
.LBB243_425:                            ;   in Loop: Header=BB243_328 Depth=1
	s_or_b64 exec, exec, s[20:21]
.LBB243_426:                            ;   in Loop: Header=BB243_328 Depth=1
	s_or_b64 exec, exec, s[18:19]
.LBB243_427:                            ;   in Loop: Header=BB243_328 Depth=1
	s_or_b64 exec, exec, s[16:17]
	s_waitcnt vmcnt(0)
	v_fma_mixlo_f16 v10, v40, v43, 0 op_sel:[0,1,0] op_sel_hi:[0,1,0]
	v_or_b32_e32 v1, v43, v44
	v_lshlrev_b32_e32 v43, 16, v10
	v_or_b32_e32 v10, v41, v42
	v_fma_mixlo_f16 v41, v40, v41, 0 op_sel:[0,1,0] op_sel_hi:[0,1,0]
	v_or_b32_e32 v46, v0, v46
	v_fma_mixlo_f16 v0, v40, v0, 0 op_sel:[0,1,0] op_sel_hi:[0,1,0]
	v_or_b32_e32 v45, v9, v45
	v_fma_mixlo_f16 v1, v40, v1, 0 op_sel_hi:[0,1,0]
	v_lshlrev_b32_e32 v42, 16, v41
	v_fma_mixlo_f16 v10, v40, v10, 0 op_sel_hi:[0,1,0]
	v_lshlrev_b32_e32 v41, 16, v0
	v_fma_mixlo_f16 v0, v40, v46, 0 op_sel_hi:[0,1,0]
	v_fma_mixlo_f16 v45, v40, v45, 0 op_sel_hi:[0,1,0]
	v_fma_mixlo_f16 v9, v40, v9, 0 op_sel:[0,1,0] op_sel_hi:[0,1,0]
	v_and_b32_e32 v44, 0xffff, v1
	v_and_b32_e32 v47, 0xffff, v10
	;; [unrolled: 1-line block ×3, first 2 shown]
	v_lshlrev_b32_e32 v9, 16, v9
	v_and_b32_e32 v40, 0xffff, v45
	v_or_b32_e32 v1, v43, v44
	v_or_b32_e32 v10, v42, v47
	;; [unrolled: 1-line block ×4, first 2 shown]
	s_and_saveexec_b64 s[16:17], vcc
	s_cbranch_execz .LBB243_429
; %bb.428:                              ;   in Loop: Header=BB243_328 Depth=1
	v_cmp_gt_i32_e64 s[0:1], s33, v26
	v_cndmask_b32_e64 v0, 0, v47, s[0:1]
	v_cmp_gt_i32_e64 s[0:1], s33, v33
	v_cndmask_b32_e64 v1, 0, v42, s[0:1]
	v_cmp_gt_i32_e64 s[0:1], s33, v32
	v_or_b32_e32 v10, v1, v0
	v_cndmask_b32_e64 v0, 0, v44, s[0:1]
	v_cmp_gt_i32_e64 s[0:1], s33, v31
	v_cndmask_b32_e64 v1, 0, v43, s[0:1]
	v_cmp_gt_i32_e64 s[0:1], s33, v30
	v_or_b32_e32 v1, v1, v0
	v_cndmask_b32_e64 v0, 0, v46, s[0:1]
	v_cmp_gt_i32_e64 s[0:1], s33, v29
	v_cndmask_b32_e64 v41, 0, v41, s[0:1]
	v_cmp_gt_i32_e64 s[0:1], s33, v28
	;; [unrolled: 2-line block ×3, first 2 shown]
	v_cndmask_b32_e64 v9, 0, v9, s[0:1]
	v_or_b32_e32 v0, v41, v0
	v_or_b32_e32 v45, v9, v40
.LBB243_429:                            ;   in Loop: Header=BB243_328 Depth=1
	s_or_b64 exec, exec, s[16:17]
	;;#ASMSTART
	v_pk_mul_f16 v9, v37, v10;

	;;#ASMEND
	;;#ASMSTART
	v_pk_mul_f16 v1, v36, v1;

	;;#ASMEND
	;; [unrolled: 4-line block ×4, first 2 shown]
	;;#ASMSTART
	v_pk_add_f16 v1, v9, v1;

	;;#ASMEND
	;;#ASMSTART
	v_pk_add_f16 v0, v1, v0;

	;;#ASMEND
	;; [unrolled: 4-line block ×3, first 2 shown]
	v_lshrrev_b32_e32 v1, 16, v0
	v_and_b32_e32 v0, 0xffff, v0
	;;#ASMSTART
	v_cvt_f32_f16 v40, v0;
	;;#ASMEND
	;;#ASMSTART
	v_cvt_f32_f16 v41, v1;
	;;#ASMEND
	global_load_dwordx2 v[9:10], v[7:8], off offset:1024
	v_mov_b32_e32 v43, 0
	global_load_dword v42, v43, s[14:15]
	v_mov_b32_e32 v44, 0
	s_waitcnt vmcnt(1)
	v_cmp_ne_u16_sdwa s[0:1], v9, v2 src0_sel:BYTE_0 src1_sel:DWORD
	s_and_saveexec_b64 s[16:17], s[0:1]
	s_cbranch_execz .LBB243_435
; %bb.430:                              ;   in Loop: Header=BB243_328 Depth=1
	v_cmp_ne_u16_sdwa s[0:1], v9, s28 src0_sel:BYTE_0 src1_sel:DWORD
	v_mov_b32_e32 v44, 0x8000
	s_and_saveexec_b64 s[18:19], s[0:1]
	s_cbranch_execz .LBB243_434
; %bb.431:                              ;   in Loop: Header=BB243_328 Depth=1
	v_and_b32_e32 v0, 0x7f, v9
	v_cmp_ne_u32_e64 s[0:1], s29, v0
	v_mov_b32_e32 v44, 0x7c01
	s_and_saveexec_b64 s[20:21], s[0:1]
	s_cbranch_execz .LBB243_433
; %bb.432:                              ;   in Loop: Header=BB243_328 Depth=1
	v_and_b32_e32 v1, 7, v9
	v_ffbh_u32_e32 v44, v1
	v_min_u32_e32 v47, 32, v44
	v_subrev_u32_e32 v44, 28, v47
	v_lshlrev_b64 v[44:45], v44, v[9:10]
	v_lshrrev_b32_e32 v46, 3, v0
	v_sub_u32_e32 v45, 29, v47
	v_cmp_gt_u32_e64 s[0:1], 8, v0
	v_cndmask_b32_e64 v0, v46, v45, s[0:1]
	v_lshl_add_u32 v0, v0, 10, v25
	v_lshlrev_b32_e32 v45, 8, v9
	v_and_b32_e32 v44, 7, v44
	v_and_b32_e32 v0, 0xfc00, v0
	v_cndmask_b32_e64 v1, v1, v44, s[0:1]
	v_and_or_b32 v0, v45, s30, v0
	v_lshl_or_b32 v44, v1, 7, v0
.LBB243_433:                            ;   in Loop: Header=BB243_328 Depth=1
	s_or_b64 exec, exec, s[20:21]
.LBB243_434:                            ;   in Loop: Header=BB243_328 Depth=1
	s_or_b64 exec, exec, s[18:19]
.LBB243_435:                            ;   in Loop: Header=BB243_328 Depth=1
	s_or_b64 exec, exec, s[16:17]
	v_lshrrev_b16_e32 v1, 8, v9
	v_cmp_ne_u16_e64 s[0:1], 0, v1
	s_and_saveexec_b64 s[16:17], s[0:1]
	s_cbranch_execz .LBB243_441
; %bb.436:                              ;   in Loop: Header=BB243_328 Depth=1
	v_cmp_ne_u16_e64 s[0:1], s28, v1
	v_bfrev_b32_e32 v43, 1
	s_and_saveexec_b64 s[18:19], s[0:1]
	s_cbranch_execz .LBB243_440
; %bb.437:                              ;   in Loop: Header=BB243_328 Depth=1
	v_and_b32_e32 v0, 0x7f, v1
	v_cmp_ne_u32_e64 s[0:1], s29, v0
	v_mov_b32_e32 v43, 0x7c010000
	s_and_saveexec_b64 s[20:21], s[0:1]
	s_cbranch_execz .LBB243_439
; %bb.438:                              ;   in Loop: Header=BB243_328 Depth=1
	v_and_b32_e32 v43, 7, v1
	v_ffbh_u32_e32 v45, v43
	v_min_u32_e32 v48, 32, v45
	v_subrev_u32_e32 v45, 28, v48
	v_lshlrev_b64 v[45:46], v45, v[1:2]
	v_lshrrev_b32_e32 v47, 3, v0
	v_sub_u32_e32 v46, 29, v48
	v_cmp_gt_u32_e64 s[0:1], 8, v0
	v_cndmask_b32_e64 v0, v47, v46, s[0:1]
	v_lshlrev_b32_e32 v1, 8, v1
	v_lshl_add_u32 v0, v0, 10, v25
	v_and_b32_e32 v45, 7, v45
	v_and_or_b32 v0, v1, s30, v0
	v_cndmask_b32_e64 v43, v43, v45, s[0:1]
	v_lshlrev_b32_e32 v0, 16, v0
	v_lshl_or_b32 v43, v43, 23, v0
.LBB243_439:                            ;   in Loop: Header=BB243_328 Depth=1
	s_or_b64 exec, exec, s[20:21]
.LBB243_440:                            ;   in Loop: Header=BB243_328 Depth=1
	s_or_b64 exec, exec, s[18:19]
.LBB243_441:                            ;   in Loop: Header=BB243_328 Depth=1
	s_or_b64 exec, exec, s[16:17]
	v_lshrrev_b32_e32 v1, 16, v9
	v_cmp_ne_u16_sdwa s[0:1], v1, v2 src0_sel:BYTE_0 src1_sel:DWORD
	v_mov_b32_e32 v45, 0
	v_mov_b32_e32 v46, 0
	s_and_saveexec_b64 s[16:17], s[0:1]
	s_cbranch_execz .LBB243_447
; %bb.442:                              ;   in Loop: Header=BB243_328 Depth=1
	v_cmp_ne_u16_sdwa s[0:1], v1, s28 src0_sel:BYTE_0 src1_sel:DWORD
	v_mov_b32_e32 v46, 0x8000
	s_and_saveexec_b64 s[18:19], s[0:1]
	s_cbranch_execz .LBB243_446
; %bb.443:                              ;   in Loop: Header=BB243_328 Depth=1
	v_bfe_u32 v0, v9, 16, 7
	v_cmp_ne_u32_e64 s[0:1], s29, v0
	v_mov_b32_e32 v46, 0x7c01
	s_and_saveexec_b64 s[20:21], s[0:1]
	s_cbranch_execz .LBB243_445
; %bb.444:                              ;   in Loop: Header=BB243_328 Depth=1
	v_and_b32_e32 v48, 7, v1
	v_ffbh_u32_e32 v46, v48
	v_min_u32_e32 v50, 32, v46
	v_subrev_u32_e32 v46, 28, v50
	v_lshlrev_b64 v[46:47], v46, v[1:2]
	v_lshrrev_b32_e32 v49, 3, v0
	v_sub_u32_e32 v47, 29, v50
	v_cmp_gt_u32_e64 s[0:1], 8, v0
	v_cndmask_b32_e64 v0, v49, v47, s[0:1]
	v_lshl_add_u32 v0, v0, 10, v25
	v_lshlrev_b32_e32 v1, 8, v1
	v_and_b32_e32 v46, 7, v46
	v_and_b32_e32 v0, 0xfc00, v0
	v_cndmask_b32_e64 v46, v48, v46, s[0:1]
	v_and_or_b32 v0, v1, s30, v0
	v_lshl_or_b32 v46, v46, 7, v0
.LBB243_445:                            ;   in Loop: Header=BB243_328 Depth=1
	s_or_b64 exec, exec, s[20:21]
.LBB243_446:                            ;   in Loop: Header=BB243_328 Depth=1
	s_or_b64 exec, exec, s[18:19]
.LBB243_447:                            ;   in Loop: Header=BB243_328 Depth=1
	s_or_b64 exec, exec, s[16:17]
	v_cmp_lt_u32_e64 s[0:1], s5, v9
	s_and_saveexec_b64 s[16:17], s[0:1]
	s_cbranch_execz .LBB243_453
; %bb.448:                              ;   in Loop: Header=BB243_328 Depth=1
	v_lshrrev_b32_e32 v1, 24, v9
	v_cmp_ne_u32_e64 s[0:1], s28, v1
	v_bfrev_b32_e32 v45, 1
	s_and_saveexec_b64 s[18:19], s[0:1]
	s_cbranch_execz .LBB243_452
; %bb.449:                              ;   in Loop: Header=BB243_328 Depth=1
	v_and_b32_e32 v0, 0x7f, v1
	v_cmp_ne_u32_e64 s[0:1], s29, v0
	v_mov_b32_e32 v45, 0x7c010000
	s_and_saveexec_b64 s[20:21], s[0:1]
	s_cbranch_execz .LBB243_451
; %bb.450:                              ;   in Loop: Header=BB243_328 Depth=1
	v_and_b32_e32 v45, 7, v1
	v_ffbh_u32_e32 v47, v45
	v_min_u32_e32 v50, 32, v47
	v_subrev_u32_e32 v47, 28, v50
	v_lshlrev_b64 v[47:48], v47, v[1:2]
	v_lshrrev_b32_e32 v49, 3, v0
	v_sub_u32_e32 v48, 29, v50
	v_cmp_gt_u32_e64 s[0:1], 8, v0
	v_cndmask_b32_e64 v0, v49, v48, s[0:1]
	v_lshlrev_b32_e32 v1, 8, v1
	v_lshl_add_u32 v0, v0, 10, v25
	v_and_b32_e32 v47, 7, v47
	v_and_or_b32 v0, v1, s30, v0
	v_cndmask_b32_e64 v45, v45, v47, s[0:1]
	v_lshlrev_b32_e32 v0, 16, v0
	v_lshl_or_b32 v45, v45, 23, v0
.LBB243_451:                            ;   in Loop: Header=BB243_328 Depth=1
	s_or_b64 exec, exec, s[20:21]
.LBB243_452:                            ;   in Loop: Header=BB243_328 Depth=1
	s_or_b64 exec, exec, s[18:19]
.LBB243_453:                            ;   in Loop: Header=BB243_328 Depth=1
	s_or_b64 exec, exec, s[16:17]
	v_mov_b32_e32 v1, v10
	v_cmp_ne_u16_sdwa s[0:1], v10, v2 src0_sel:BYTE_0 src1_sel:DWORD
	v_mov_b32_e32 v47, 0
	v_mov_b32_e32 v48, 0
	s_and_saveexec_b64 s[16:17], s[0:1]
	s_cbranch_execz .LBB243_459
; %bb.454:                              ;   in Loop: Header=BB243_328 Depth=1
	v_cmp_ne_u16_sdwa s[0:1], v10, s28 src0_sel:BYTE_0 src1_sel:DWORD
	v_mov_b32_e32 v48, 0x8000
	s_and_saveexec_b64 s[18:19], s[0:1]
	s_cbranch_execz .LBB243_458
; %bb.455:                              ;   in Loop: Header=BB243_328 Depth=1
	v_and_b32_e32 v0, 0x7f, v10
	v_cmp_ne_u32_e64 s[0:1], s29, v0
	v_mov_b32_e32 v48, 0x7c01
	s_and_saveexec_b64 s[20:21], s[0:1]
	s_cbranch_execz .LBB243_457
; %bb.456:                              ;   in Loop: Header=BB243_328 Depth=1
	v_and_b32_e32 v50, 7, v10
	v_ffbh_u32_e32 v48, v50
	v_min_u32_e32 v52, 32, v48
	v_subrev_u32_e32 v48, 28, v52
	v_lshlrev_b64 v[48:49], v48, v[1:2]
	v_lshrrev_b32_e32 v51, 3, v0
	v_sub_u32_e32 v49, 29, v52
	v_cmp_gt_u32_e64 s[0:1], 8, v0
	v_cndmask_b32_e64 v0, v51, v49, s[0:1]
	v_lshl_add_u32 v0, v0, 10, v25
	v_lshlrev_b32_e32 v49, 8, v10
	v_and_b32_e32 v48, 7, v48
	v_and_b32_e32 v0, 0xfc00, v0
	v_cndmask_b32_e64 v48, v50, v48, s[0:1]
	v_and_or_b32 v0, v49, s30, v0
	v_lshl_or_b32 v48, v48, 7, v0
.LBB243_457:                            ;   in Loop: Header=BB243_328 Depth=1
	s_or_b64 exec, exec, s[20:21]
.LBB243_458:                            ;   in Loop: Header=BB243_328 Depth=1
	s_or_b64 exec, exec, s[18:19]
.LBB243_459:                            ;   in Loop: Header=BB243_328 Depth=1
	s_or_b64 exec, exec, s[16:17]
	v_lshrrev_b16_e32 v1, 8, v1
	v_cmp_ne_u16_e64 s[0:1], 0, v1
	v_mov_b32_e32 v0, 0
	s_and_saveexec_b64 s[16:17], s[0:1]
	s_cbranch_execz .LBB243_465
; %bb.460:                              ;   in Loop: Header=BB243_328 Depth=1
	v_cmp_ne_u16_e64 s[0:1], s28, v1
	v_bfrev_b32_e32 v0, 1
	s_and_saveexec_b64 s[18:19], s[0:1]
	s_cbranch_execz .LBB243_464
; %bb.461:                              ;   in Loop: Header=BB243_328 Depth=1
	v_and_b32_e32 v49, 0x7f, v1
	v_cmp_ne_u32_e64 s[0:1], s29, v49
	v_mov_b32_e32 v0, 0x7c010000
	s_and_saveexec_b64 s[20:21], s[0:1]
	s_cbranch_execz .LBB243_463
; %bb.462:                              ;   in Loop: Header=BB243_328 Depth=1
	v_and_b32_e32 v0, 7, v1
	v_ffbh_u32_e32 v50, v0
	v_min_u32_e32 v53, 32, v50
	v_subrev_u32_e32 v50, 28, v53
	v_lshlrev_b64 v[50:51], v50, v[1:2]
	v_lshrrev_b32_e32 v52, 3, v49
	v_sub_u32_e32 v51, 29, v53
	v_cmp_gt_u32_e64 s[0:1], 8, v49
	v_cndmask_b32_e64 v49, v52, v51, s[0:1]
	v_lshlrev_b32_e32 v1, 8, v1
	v_lshl_add_u32 v49, v49, 10, v25
	v_and_b32_e32 v50, 7, v50
	v_and_or_b32 v1, v1, s30, v49
	v_cndmask_b32_e64 v0, v0, v50, s[0:1]
	v_lshlrev_b32_e32 v1, 16, v1
	v_lshl_or_b32 v0, v0, 23, v1
.LBB243_463:                            ;   in Loop: Header=BB243_328 Depth=1
	s_or_b64 exec, exec, s[20:21]
.LBB243_464:                            ;   in Loop: Header=BB243_328 Depth=1
	s_or_b64 exec, exec, s[18:19]
.LBB243_465:                            ;   in Loop: Header=BB243_328 Depth=1
	s_or_b64 exec, exec, s[16:17]
	v_lshrrev_b32_e32 v1, 16, v10
	v_cmp_ne_u16_sdwa s[0:1], v1, v2 src0_sel:BYTE_0 src1_sel:DWORD
	s_and_saveexec_b64 s[16:17], s[0:1]
	s_cbranch_execz .LBB243_471
; %bb.466:                              ;   in Loop: Header=BB243_328 Depth=1
	v_cmp_ne_u16_sdwa s[0:1], v1, s28 src0_sel:BYTE_0 src1_sel:DWORD
	v_mov_b32_e32 v47, 0x8000
	s_and_saveexec_b64 s[18:19], s[0:1]
	s_cbranch_execz .LBB243_470
; %bb.467:                              ;   in Loop: Header=BB243_328 Depth=1
	v_bfe_u32 v49, v10, 16, 7
	v_cmp_ne_u32_e64 s[0:1], s29, v49
	v_mov_b32_e32 v47, 0x7c01
	s_and_saveexec_b64 s[20:21], s[0:1]
	s_cbranch_execz .LBB243_469
; %bb.468:                              ;   in Loop: Header=BB243_328 Depth=1
	v_and_b32_e32 v47, 7, v1
	v_ffbh_u32_e32 v50, v47
	v_min_u32_e32 v53, 32, v50
	v_subrev_u32_e32 v50, 28, v53
	v_lshlrev_b64 v[50:51], v50, v[1:2]
	v_lshrrev_b32_e32 v52, 3, v49
	v_sub_u32_e32 v51, 29, v53
	v_cmp_gt_u32_e64 s[0:1], 8, v49
	v_cndmask_b32_e64 v49, v52, v51, s[0:1]
	v_lshl_add_u32 v49, v49, 10, v25
	v_lshlrev_b32_e32 v1, 8, v1
	v_and_b32_e32 v50, 7, v50
	v_and_b32_e32 v49, 0xfc00, v49
	v_cndmask_b32_e64 v47, v47, v50, s[0:1]
	v_and_or_b32 v1, v1, s30, v49
	v_lshl_or_b32 v47, v47, 7, v1
.LBB243_469:                            ;   in Loop: Header=BB243_328 Depth=1
	s_or_b64 exec, exec, s[20:21]
.LBB243_470:                            ;   in Loop: Header=BB243_328 Depth=1
	s_or_b64 exec, exec, s[18:19]
.LBB243_471:                            ;   in Loop: Header=BB243_328 Depth=1
	s_or_b64 exec, exec, s[16:17]
	v_cmp_lt_u64_e64 s[0:1], s[4:5], v[9:10]
	v_mov_b32_e32 v9, 0
	s_and_saveexec_b64 s[16:17], s[0:1]
	s_cbranch_execz .LBB243_477
; %bb.472:                              ;   in Loop: Header=BB243_328 Depth=1
	v_lshrrev_b32_e32 v1, 24, v10
	v_cmp_ne_u32_e64 s[0:1], s28, v1
	v_bfrev_b32_e32 v9, 1
	s_and_saveexec_b64 s[18:19], s[0:1]
	s_cbranch_execz .LBB243_476
; %bb.473:                              ;   in Loop: Header=BB243_328 Depth=1
	v_and_b32_e32 v10, 0x7f, v1
	v_cmp_ne_u32_e64 s[0:1], s29, v10
	v_mov_b32_e32 v9, 0x7c010000
	s_and_saveexec_b64 s[20:21], s[0:1]
	s_cbranch_execz .LBB243_475
; %bb.474:                              ;   in Loop: Header=BB243_328 Depth=1
	v_and_b32_e32 v9, 7, v1
	v_ffbh_u32_e32 v49, v9
	v_min_u32_e32 v52, 32, v49
	v_subrev_u32_e32 v49, 28, v52
	v_lshlrev_b64 v[49:50], v49, v[1:2]
	v_lshrrev_b32_e32 v51, 3, v10
	v_sub_u32_e32 v50, 29, v52
	v_cmp_gt_u32_e64 s[0:1], 8, v10
	v_cndmask_b32_e64 v10, v51, v50, s[0:1]
	v_lshlrev_b32_e32 v1, 8, v1
	v_lshl_add_u32 v10, v10, 10, v25
	v_and_b32_e32 v49, 7, v49
	v_and_or_b32 v1, v1, s30, v10
	v_cndmask_b32_e64 v9, v9, v49, s[0:1]
	v_lshlrev_b32_e32 v1, 16, v1
	v_lshl_or_b32 v9, v9, 23, v1
.LBB243_475:                            ;   in Loop: Header=BB243_328 Depth=1
	s_or_b64 exec, exec, s[20:21]
.LBB243_476:                            ;   in Loop: Header=BB243_328 Depth=1
	s_or_b64 exec, exec, s[18:19]
.LBB243_477:                            ;   in Loop: Header=BB243_328 Depth=1
	s_or_b64 exec, exec, s[16:17]
	s_waitcnt vmcnt(0)
	v_fma_mixlo_f16 v10, v42, v45, 0 op_sel:[0,1,0] op_sel_hi:[0,1,0]
	v_or_b32_e32 v1, v45, v46
	v_lshlrev_b32_e32 v45, 16, v10
	v_or_b32_e32 v10, v43, v44
	v_fma_mixlo_f16 v43, v42, v43, 0 op_sel:[0,1,0] op_sel_hi:[0,1,0]
	v_or_b32_e32 v48, v0, v48
	v_fma_mixlo_f16 v0, v42, v0, 0 op_sel:[0,1,0] op_sel_hi:[0,1,0]
	v_or_b32_e32 v47, v9, v47
	v_fma_mixlo_f16 v1, v42, v1, 0 op_sel_hi:[0,1,0]
	v_lshlrev_b32_e32 v44, 16, v43
	v_fma_mixlo_f16 v10, v42, v10, 0 op_sel_hi:[0,1,0]
	v_lshlrev_b32_e32 v43, 16, v0
	v_fma_mixlo_f16 v0, v42, v48, 0 op_sel_hi:[0,1,0]
	v_fma_mixlo_f16 v47, v42, v47, 0 op_sel_hi:[0,1,0]
	v_fma_mixlo_f16 v9, v42, v9, 0 op_sel:[0,1,0] op_sel_hi:[0,1,0]
	v_and_b32_e32 v46, 0xffff, v1
	v_and_b32_e32 v49, 0xffff, v10
	;; [unrolled: 1-line block ×3, first 2 shown]
	v_lshlrev_b32_e32 v9, 16, v9
	v_and_b32_e32 v42, 0xffff, v47
	v_or_b32_e32 v1, v45, v46
	v_or_b32_e32 v10, v44, v49
	;; [unrolled: 1-line block ×4, first 2 shown]
	s_and_saveexec_b64 s[16:17], vcc
	s_cbranch_execz .LBB243_479
; %bb.478:                              ;   in Loop: Header=BB243_328 Depth=1
	v_cmp_gt_i32_e64 s[0:1], s33, v26
	v_cndmask_b32_e64 v0, 0, v49, s[0:1]
	v_cmp_gt_i32_e64 s[0:1], s33, v33
	v_cndmask_b32_e64 v1, 0, v44, s[0:1]
	v_cmp_gt_i32_e64 s[0:1], s33, v32
	v_or_b32_e32 v10, v1, v0
	v_cndmask_b32_e64 v0, 0, v46, s[0:1]
	v_cmp_gt_i32_e64 s[0:1], s33, v31
	v_cndmask_b32_e64 v1, 0, v45, s[0:1]
	v_cmp_gt_i32_e64 s[0:1], s33, v30
	v_or_b32_e32 v1, v1, v0
	v_cndmask_b32_e64 v0, 0, v48, s[0:1]
	v_cmp_gt_i32_e64 s[0:1], s33, v29
	v_cndmask_b32_e64 v43, 0, v43, s[0:1]
	v_cmp_gt_i32_e64 s[0:1], s33, v28
	;; [unrolled: 2-line block ×3, first 2 shown]
	v_cndmask_b32_e64 v9, 0, v9, s[0:1]
	v_or_b32_e32 v0, v43, v0
	v_or_b32_e32 v47, v9, v42
.LBB243_479:                            ;   in Loop: Header=BB243_328 Depth=1
	s_or_b64 exec, exec, s[16:17]
	;;#ASMSTART
	v_pk_mul_f16 v9, v37, v10;

	;;#ASMEND
	;;#ASMSTART
	v_pk_mul_f16 v1, v36, v1;

	;;#ASMEND
	;;#ASMSTART
	v_pk_mul_f16 v0, v35, v0;

	;;#ASMEND
	;;#ASMSTART
	v_pk_mul_f16 v10, v34, v47;

	;;#ASMEND
	;;#ASMSTART
	v_pk_add_f16 v1, v9, v1;

	;;#ASMEND
	;;#ASMSTART
	v_pk_add_f16 v0, v1, v0;

	;;#ASMEND
	;; [unrolled: 4-line block ×3, first 2 shown]
	v_lshrrev_b32_e32 v1, 16, v0
	v_and_b32_e32 v0, 0xffff, v0
	;;#ASMSTART
	v_cvt_f32_f16 v42, v0;
	;;#ASMEND
	;;#ASMSTART
	v_cvt_f32_f16 v43, v1;
	;;#ASMEND
	global_load_dwordx2 v[9:10], v[7:8], off offset:1536
	v_mov_b32_e32 v45, 0
	global_load_dword v44, v45, s[14:15]
	v_mov_b32_e32 v46, 0
	s_waitcnt vmcnt(1)
	v_cmp_ne_u16_sdwa s[0:1], v9, v2 src0_sel:BYTE_0 src1_sel:DWORD
	s_and_saveexec_b64 s[16:17], s[0:1]
	s_cbranch_execz .LBB243_485
; %bb.480:                              ;   in Loop: Header=BB243_328 Depth=1
	v_cmp_ne_u16_sdwa s[0:1], v9, s28 src0_sel:BYTE_0 src1_sel:DWORD
	v_mov_b32_e32 v46, 0x8000
	s_and_saveexec_b64 s[18:19], s[0:1]
	s_cbranch_execz .LBB243_484
; %bb.481:                              ;   in Loop: Header=BB243_328 Depth=1
	v_and_b32_e32 v0, 0x7f, v9
	v_cmp_ne_u32_e64 s[0:1], s29, v0
	v_mov_b32_e32 v46, 0x7c01
	s_and_saveexec_b64 s[20:21], s[0:1]
	s_cbranch_execz .LBB243_483
; %bb.482:                              ;   in Loop: Header=BB243_328 Depth=1
	v_and_b32_e32 v1, 7, v9
	v_ffbh_u32_e32 v46, v1
	v_min_u32_e32 v49, 32, v46
	v_subrev_u32_e32 v46, 28, v49
	v_lshlrev_b64 v[46:47], v46, v[9:10]
	v_lshrrev_b32_e32 v48, 3, v0
	v_sub_u32_e32 v47, 29, v49
	v_cmp_gt_u32_e64 s[0:1], 8, v0
	v_cndmask_b32_e64 v0, v48, v47, s[0:1]
	v_lshl_add_u32 v0, v0, 10, v25
	v_lshlrev_b32_e32 v47, 8, v9
	v_and_b32_e32 v46, 7, v46
	v_and_b32_e32 v0, 0xfc00, v0
	v_cndmask_b32_e64 v1, v1, v46, s[0:1]
	v_and_or_b32 v0, v47, s30, v0
	v_lshl_or_b32 v46, v1, 7, v0
.LBB243_483:                            ;   in Loop: Header=BB243_328 Depth=1
	s_or_b64 exec, exec, s[20:21]
.LBB243_484:                            ;   in Loop: Header=BB243_328 Depth=1
	s_or_b64 exec, exec, s[18:19]
.LBB243_485:                            ;   in Loop: Header=BB243_328 Depth=1
	s_or_b64 exec, exec, s[16:17]
	v_lshrrev_b16_e32 v1, 8, v9
	v_cmp_ne_u16_e64 s[0:1], 0, v1
	s_and_saveexec_b64 s[16:17], s[0:1]
	s_cbranch_execz .LBB243_491
; %bb.486:                              ;   in Loop: Header=BB243_328 Depth=1
	v_cmp_ne_u16_e64 s[0:1], s28, v1
	v_bfrev_b32_e32 v45, 1
	s_and_saveexec_b64 s[18:19], s[0:1]
	s_cbranch_execz .LBB243_490
; %bb.487:                              ;   in Loop: Header=BB243_328 Depth=1
	v_and_b32_e32 v0, 0x7f, v1
	v_cmp_ne_u32_e64 s[0:1], s29, v0
	v_mov_b32_e32 v45, 0x7c010000
	s_and_saveexec_b64 s[20:21], s[0:1]
	s_cbranch_execz .LBB243_489
; %bb.488:                              ;   in Loop: Header=BB243_328 Depth=1
	v_and_b32_e32 v45, 7, v1
	v_ffbh_u32_e32 v47, v45
	v_min_u32_e32 v50, 32, v47
	v_subrev_u32_e32 v47, 28, v50
	v_lshlrev_b64 v[47:48], v47, v[1:2]
	v_lshrrev_b32_e32 v49, 3, v0
	v_sub_u32_e32 v48, 29, v50
	v_cmp_gt_u32_e64 s[0:1], 8, v0
	v_cndmask_b32_e64 v0, v49, v48, s[0:1]
	v_lshlrev_b32_e32 v1, 8, v1
	v_lshl_add_u32 v0, v0, 10, v25
	v_and_b32_e32 v47, 7, v47
	v_and_or_b32 v0, v1, s30, v0
	v_cndmask_b32_e64 v45, v45, v47, s[0:1]
	v_lshlrev_b32_e32 v0, 16, v0
	v_lshl_or_b32 v45, v45, 23, v0
.LBB243_489:                            ;   in Loop: Header=BB243_328 Depth=1
	s_or_b64 exec, exec, s[20:21]
.LBB243_490:                            ;   in Loop: Header=BB243_328 Depth=1
	s_or_b64 exec, exec, s[18:19]
.LBB243_491:                            ;   in Loop: Header=BB243_328 Depth=1
	s_or_b64 exec, exec, s[16:17]
	v_lshrrev_b32_e32 v1, 16, v9
	v_cmp_ne_u16_sdwa s[0:1], v1, v2 src0_sel:BYTE_0 src1_sel:DWORD
	v_mov_b32_e32 v47, 0
	v_mov_b32_e32 v48, 0
	s_and_saveexec_b64 s[16:17], s[0:1]
	s_cbranch_execz .LBB243_497
; %bb.492:                              ;   in Loop: Header=BB243_328 Depth=1
	v_cmp_ne_u16_sdwa s[0:1], v1, s28 src0_sel:BYTE_0 src1_sel:DWORD
	v_mov_b32_e32 v48, 0x8000
	s_and_saveexec_b64 s[18:19], s[0:1]
	s_cbranch_execz .LBB243_496
; %bb.493:                              ;   in Loop: Header=BB243_328 Depth=1
	v_bfe_u32 v0, v9, 16, 7
	v_cmp_ne_u32_e64 s[0:1], s29, v0
	v_mov_b32_e32 v48, 0x7c01
	s_and_saveexec_b64 s[20:21], s[0:1]
	s_cbranch_execz .LBB243_495
; %bb.494:                              ;   in Loop: Header=BB243_328 Depth=1
	v_and_b32_e32 v50, 7, v1
	v_ffbh_u32_e32 v48, v50
	v_min_u32_e32 v52, 32, v48
	v_subrev_u32_e32 v48, 28, v52
	v_lshlrev_b64 v[48:49], v48, v[1:2]
	v_lshrrev_b32_e32 v51, 3, v0
	v_sub_u32_e32 v49, 29, v52
	v_cmp_gt_u32_e64 s[0:1], 8, v0
	v_cndmask_b32_e64 v0, v51, v49, s[0:1]
	v_lshl_add_u32 v0, v0, 10, v25
	v_lshlrev_b32_e32 v1, 8, v1
	v_and_b32_e32 v48, 7, v48
	v_and_b32_e32 v0, 0xfc00, v0
	v_cndmask_b32_e64 v48, v50, v48, s[0:1]
	v_and_or_b32 v0, v1, s30, v0
	v_lshl_or_b32 v48, v48, 7, v0
.LBB243_495:                            ;   in Loop: Header=BB243_328 Depth=1
	s_or_b64 exec, exec, s[20:21]
.LBB243_496:                            ;   in Loop: Header=BB243_328 Depth=1
	s_or_b64 exec, exec, s[18:19]
.LBB243_497:                            ;   in Loop: Header=BB243_328 Depth=1
	s_or_b64 exec, exec, s[16:17]
	v_cmp_lt_u32_e64 s[0:1], s5, v9
	s_and_saveexec_b64 s[16:17], s[0:1]
	s_cbranch_execz .LBB243_503
; %bb.498:                              ;   in Loop: Header=BB243_328 Depth=1
	v_lshrrev_b32_e32 v1, 24, v9
	v_cmp_ne_u32_e64 s[0:1], s28, v1
	v_bfrev_b32_e32 v47, 1
	s_and_saveexec_b64 s[18:19], s[0:1]
	s_cbranch_execz .LBB243_502
; %bb.499:                              ;   in Loop: Header=BB243_328 Depth=1
	v_and_b32_e32 v0, 0x7f, v1
	v_cmp_ne_u32_e64 s[0:1], s29, v0
	v_mov_b32_e32 v47, 0x7c010000
	s_and_saveexec_b64 s[20:21], s[0:1]
	s_cbranch_execz .LBB243_501
; %bb.500:                              ;   in Loop: Header=BB243_328 Depth=1
	v_and_b32_e32 v47, 7, v1
	v_ffbh_u32_e32 v49, v47
	v_min_u32_e32 v52, 32, v49
	v_subrev_u32_e32 v49, 28, v52
	v_lshlrev_b64 v[49:50], v49, v[1:2]
	v_lshrrev_b32_e32 v51, 3, v0
	v_sub_u32_e32 v50, 29, v52
	v_cmp_gt_u32_e64 s[0:1], 8, v0
	v_cndmask_b32_e64 v0, v51, v50, s[0:1]
	v_lshlrev_b32_e32 v1, 8, v1
	v_lshl_add_u32 v0, v0, 10, v25
	v_and_b32_e32 v49, 7, v49
	v_and_or_b32 v0, v1, s30, v0
	v_cndmask_b32_e64 v47, v47, v49, s[0:1]
	v_lshlrev_b32_e32 v0, 16, v0
	v_lshl_or_b32 v47, v47, 23, v0
.LBB243_501:                            ;   in Loop: Header=BB243_328 Depth=1
	s_or_b64 exec, exec, s[20:21]
.LBB243_502:                            ;   in Loop: Header=BB243_328 Depth=1
	s_or_b64 exec, exec, s[18:19]
.LBB243_503:                            ;   in Loop: Header=BB243_328 Depth=1
	s_or_b64 exec, exec, s[16:17]
	v_mov_b32_e32 v1, v10
	v_cmp_ne_u16_sdwa s[0:1], v10, v2 src0_sel:BYTE_0 src1_sel:DWORD
	v_mov_b32_e32 v49, 0
	v_mov_b32_e32 v50, 0
	s_and_saveexec_b64 s[16:17], s[0:1]
	s_cbranch_execz .LBB243_509
; %bb.504:                              ;   in Loop: Header=BB243_328 Depth=1
	v_cmp_ne_u16_sdwa s[0:1], v10, s28 src0_sel:BYTE_0 src1_sel:DWORD
	v_mov_b32_e32 v50, 0x8000
	s_and_saveexec_b64 s[18:19], s[0:1]
	s_cbranch_execz .LBB243_508
; %bb.505:                              ;   in Loop: Header=BB243_328 Depth=1
	v_and_b32_e32 v0, 0x7f, v10
	v_cmp_ne_u32_e64 s[0:1], s29, v0
	v_mov_b32_e32 v50, 0x7c01
	s_and_saveexec_b64 s[20:21], s[0:1]
	s_cbranch_execz .LBB243_507
; %bb.506:                              ;   in Loop: Header=BB243_328 Depth=1
	v_and_b32_e32 v52, 7, v10
	v_ffbh_u32_e32 v50, v52
	v_min_u32_e32 v54, 32, v50
	v_subrev_u32_e32 v50, 28, v54
	v_lshlrev_b64 v[50:51], v50, v[1:2]
	v_lshrrev_b32_e32 v53, 3, v0
	v_sub_u32_e32 v51, 29, v54
	v_cmp_gt_u32_e64 s[0:1], 8, v0
	v_cndmask_b32_e64 v0, v53, v51, s[0:1]
	v_lshl_add_u32 v0, v0, 10, v25
	v_lshlrev_b32_e32 v51, 8, v10
	v_and_b32_e32 v50, 7, v50
	v_and_b32_e32 v0, 0xfc00, v0
	v_cndmask_b32_e64 v50, v52, v50, s[0:1]
	v_and_or_b32 v0, v51, s30, v0
	v_lshl_or_b32 v50, v50, 7, v0
.LBB243_507:                            ;   in Loop: Header=BB243_328 Depth=1
	s_or_b64 exec, exec, s[20:21]
.LBB243_508:                            ;   in Loop: Header=BB243_328 Depth=1
	s_or_b64 exec, exec, s[18:19]
.LBB243_509:                            ;   in Loop: Header=BB243_328 Depth=1
	s_or_b64 exec, exec, s[16:17]
	v_lshrrev_b16_e32 v1, 8, v1
	v_cmp_ne_u16_e64 s[0:1], 0, v1
	v_mov_b32_e32 v0, 0
	s_and_saveexec_b64 s[16:17], s[0:1]
	s_cbranch_execz .LBB243_515
; %bb.510:                              ;   in Loop: Header=BB243_328 Depth=1
	v_cmp_ne_u16_e64 s[0:1], s28, v1
	v_bfrev_b32_e32 v0, 1
	s_and_saveexec_b64 s[18:19], s[0:1]
	s_cbranch_execz .LBB243_514
; %bb.511:                              ;   in Loop: Header=BB243_328 Depth=1
	v_and_b32_e32 v51, 0x7f, v1
	v_cmp_ne_u32_e64 s[0:1], s29, v51
	v_mov_b32_e32 v0, 0x7c010000
	s_and_saveexec_b64 s[20:21], s[0:1]
	s_cbranch_execz .LBB243_513
; %bb.512:                              ;   in Loop: Header=BB243_328 Depth=1
	v_and_b32_e32 v0, 7, v1
	v_ffbh_u32_e32 v52, v0
	v_min_u32_e32 v55, 32, v52
	v_subrev_u32_e32 v52, 28, v55
	v_lshlrev_b64 v[52:53], v52, v[1:2]
	v_lshrrev_b32_e32 v54, 3, v51
	v_sub_u32_e32 v53, 29, v55
	v_cmp_gt_u32_e64 s[0:1], 8, v51
	v_cndmask_b32_e64 v51, v54, v53, s[0:1]
	v_lshlrev_b32_e32 v1, 8, v1
	v_lshl_add_u32 v51, v51, 10, v25
	v_and_b32_e32 v52, 7, v52
	v_and_or_b32 v1, v1, s30, v51
	v_cndmask_b32_e64 v0, v0, v52, s[0:1]
	v_lshlrev_b32_e32 v1, 16, v1
	v_lshl_or_b32 v0, v0, 23, v1
.LBB243_513:                            ;   in Loop: Header=BB243_328 Depth=1
	s_or_b64 exec, exec, s[20:21]
.LBB243_514:                            ;   in Loop: Header=BB243_328 Depth=1
	s_or_b64 exec, exec, s[18:19]
.LBB243_515:                            ;   in Loop: Header=BB243_328 Depth=1
	s_or_b64 exec, exec, s[16:17]
	v_lshrrev_b32_e32 v1, 16, v10
	v_cmp_ne_u16_sdwa s[0:1], v1, v2 src0_sel:BYTE_0 src1_sel:DWORD
	s_and_saveexec_b64 s[16:17], s[0:1]
	s_cbranch_execz .LBB243_521
; %bb.516:                              ;   in Loop: Header=BB243_328 Depth=1
	v_cmp_ne_u16_sdwa s[0:1], v1, s28 src0_sel:BYTE_0 src1_sel:DWORD
	v_mov_b32_e32 v49, 0x8000
	s_and_saveexec_b64 s[18:19], s[0:1]
	s_cbranch_execz .LBB243_520
; %bb.517:                              ;   in Loop: Header=BB243_328 Depth=1
	v_bfe_u32 v51, v10, 16, 7
	v_cmp_ne_u32_e64 s[0:1], s29, v51
	v_mov_b32_e32 v49, 0x7c01
	s_and_saveexec_b64 s[20:21], s[0:1]
	s_cbranch_execz .LBB243_519
; %bb.518:                              ;   in Loop: Header=BB243_328 Depth=1
	v_and_b32_e32 v49, 7, v1
	v_ffbh_u32_e32 v52, v49
	v_min_u32_e32 v55, 32, v52
	v_subrev_u32_e32 v52, 28, v55
	v_lshlrev_b64 v[52:53], v52, v[1:2]
	v_lshrrev_b32_e32 v54, 3, v51
	v_sub_u32_e32 v53, 29, v55
	v_cmp_gt_u32_e64 s[0:1], 8, v51
	v_cndmask_b32_e64 v51, v54, v53, s[0:1]
	v_lshl_add_u32 v51, v51, 10, v25
	v_lshlrev_b32_e32 v1, 8, v1
	v_and_b32_e32 v52, 7, v52
	v_and_b32_e32 v51, 0xfc00, v51
	v_cndmask_b32_e64 v49, v49, v52, s[0:1]
	v_and_or_b32 v1, v1, s30, v51
	v_lshl_or_b32 v49, v49, 7, v1
.LBB243_519:                            ;   in Loop: Header=BB243_328 Depth=1
	s_or_b64 exec, exec, s[20:21]
.LBB243_520:                            ;   in Loop: Header=BB243_328 Depth=1
	s_or_b64 exec, exec, s[18:19]
.LBB243_521:                            ;   in Loop: Header=BB243_328 Depth=1
	s_or_b64 exec, exec, s[16:17]
	v_cmp_lt_u64_e64 s[0:1], s[4:5], v[9:10]
	v_mov_b32_e32 v9, 0
	s_and_saveexec_b64 s[16:17], s[0:1]
	s_cbranch_execz .LBB243_527
; %bb.522:                              ;   in Loop: Header=BB243_328 Depth=1
	v_lshrrev_b32_e32 v1, 24, v10
	v_cmp_ne_u32_e64 s[0:1], s28, v1
	v_bfrev_b32_e32 v9, 1
	s_and_saveexec_b64 s[18:19], s[0:1]
	s_cbranch_execz .LBB243_526
; %bb.523:                              ;   in Loop: Header=BB243_328 Depth=1
	v_and_b32_e32 v10, 0x7f, v1
	v_cmp_ne_u32_e64 s[0:1], s29, v10
	v_mov_b32_e32 v9, 0x7c010000
	s_and_saveexec_b64 s[20:21], s[0:1]
	s_cbranch_execz .LBB243_525
; %bb.524:                              ;   in Loop: Header=BB243_328 Depth=1
	v_and_b32_e32 v9, 7, v1
	v_ffbh_u32_e32 v51, v9
	v_min_u32_e32 v54, 32, v51
	v_subrev_u32_e32 v51, 28, v54
	v_lshlrev_b64 v[51:52], v51, v[1:2]
	v_lshrrev_b32_e32 v53, 3, v10
	v_sub_u32_e32 v52, 29, v54
	v_cmp_gt_u32_e64 s[0:1], 8, v10
	v_cndmask_b32_e64 v10, v53, v52, s[0:1]
	v_lshlrev_b32_e32 v1, 8, v1
	v_lshl_add_u32 v10, v10, 10, v25
	v_and_b32_e32 v51, 7, v51
	v_and_or_b32 v1, v1, s30, v10
	v_cndmask_b32_e64 v9, v9, v51, s[0:1]
	v_lshlrev_b32_e32 v1, 16, v1
	v_lshl_or_b32 v9, v9, 23, v1
.LBB243_525:                            ;   in Loop: Header=BB243_328 Depth=1
	s_or_b64 exec, exec, s[20:21]
.LBB243_526:                            ;   in Loop: Header=BB243_328 Depth=1
	s_or_b64 exec, exec, s[18:19]
.LBB243_527:                            ;   in Loop: Header=BB243_328 Depth=1
	s_or_b64 exec, exec, s[16:17]
	s_waitcnt vmcnt(0)
	v_fma_mixlo_f16 v10, v44, v47, 0 op_sel:[0,1,0] op_sel_hi:[0,1,0]
	v_or_b32_e32 v1, v47, v48
	v_lshlrev_b32_e32 v47, 16, v10
	v_or_b32_e32 v10, v45, v46
	v_fma_mixlo_f16 v45, v44, v45, 0 op_sel:[0,1,0] op_sel_hi:[0,1,0]
	v_or_b32_e32 v50, v0, v50
	v_fma_mixlo_f16 v0, v44, v0, 0 op_sel:[0,1,0] op_sel_hi:[0,1,0]
	v_or_b32_e32 v49, v9, v49
	v_fma_mixlo_f16 v1, v44, v1, 0 op_sel_hi:[0,1,0]
	v_lshlrev_b32_e32 v46, 16, v45
	v_fma_mixlo_f16 v10, v44, v10, 0 op_sel_hi:[0,1,0]
	v_lshlrev_b32_e32 v45, 16, v0
	v_fma_mixlo_f16 v0, v44, v50, 0 op_sel_hi:[0,1,0]
	v_fma_mixlo_f16 v49, v44, v49, 0 op_sel_hi:[0,1,0]
	v_fma_mixlo_f16 v9, v44, v9, 0 op_sel:[0,1,0] op_sel_hi:[0,1,0]
	v_and_b32_e32 v48, 0xffff, v1
	v_and_b32_e32 v51, 0xffff, v10
	;; [unrolled: 1-line block ×3, first 2 shown]
	v_lshlrev_b32_e32 v9, 16, v9
	v_and_b32_e32 v44, 0xffff, v49
	v_or_b32_e32 v1, v47, v48
	v_or_b32_e32 v10, v46, v51
	;; [unrolled: 1-line block ×4, first 2 shown]
	s_and_saveexec_b64 s[16:17], vcc
	s_cbranch_execz .LBB243_529
; %bb.528:                              ;   in Loop: Header=BB243_328 Depth=1
	v_cmp_gt_i32_e64 s[0:1], s33, v26
	v_cndmask_b32_e64 v0, 0, v51, s[0:1]
	v_cmp_gt_i32_e64 s[0:1], s33, v33
	v_cndmask_b32_e64 v1, 0, v46, s[0:1]
	v_cmp_gt_i32_e64 s[0:1], s33, v32
	v_or_b32_e32 v10, v1, v0
	v_cndmask_b32_e64 v0, 0, v48, s[0:1]
	v_cmp_gt_i32_e64 s[0:1], s33, v31
	v_cndmask_b32_e64 v1, 0, v47, s[0:1]
	v_cmp_gt_i32_e64 s[0:1], s33, v30
	v_or_b32_e32 v1, v1, v0
	v_cndmask_b32_e64 v0, 0, v50, s[0:1]
	v_cmp_gt_i32_e64 s[0:1], s33, v29
	v_cndmask_b32_e64 v45, 0, v45, s[0:1]
	v_cmp_gt_i32_e64 s[0:1], s33, v28
	;; [unrolled: 2-line block ×3, first 2 shown]
	v_cndmask_b32_e64 v9, 0, v9, s[0:1]
	v_or_b32_e32 v0, v45, v0
	v_or_b32_e32 v49, v9, v44
.LBB243_529:                            ;   in Loop: Header=BB243_328 Depth=1
	s_or_b64 exec, exec, s[16:17]
	;;#ASMSTART
	v_pk_mul_f16 v9, v37, v10;

	;;#ASMEND
	;;#ASMSTART
	v_pk_mul_f16 v1, v36, v1;

	;;#ASMEND
	;; [unrolled: 4-line block ×4, first 2 shown]
	;;#ASMSTART
	v_pk_add_f16 v1, v9, v1;

	;;#ASMEND
	;;#ASMSTART
	v_pk_add_f16 v0, v1, v0;

	;;#ASMEND
	;; [unrolled: 4-line block ×3, first 2 shown]
	v_lshrrev_b32_e32 v1, 16, v0
	v_and_b32_e32 v0, 0xffff, v0
	;;#ASMSTART
	v_cvt_f32_f16 v44, v0;
	;;#ASMEND
	;;#ASMSTART
	v_cvt_f32_f16 v45, v1;
	;;#ASMEND
	global_load_dwordx2 v[9:10], v[7:8], off offset:2048
	v_mov_b32_e32 v47, 0
	global_load_dword v46, v47, s[14:15]
	v_mov_b32_e32 v48, 0
	s_waitcnt vmcnt(1)
	v_cmp_ne_u16_sdwa s[0:1], v9, v2 src0_sel:BYTE_0 src1_sel:DWORD
	s_and_saveexec_b64 s[16:17], s[0:1]
	s_cbranch_execz .LBB243_535
; %bb.530:                              ;   in Loop: Header=BB243_328 Depth=1
	v_cmp_ne_u16_sdwa s[0:1], v9, s28 src0_sel:BYTE_0 src1_sel:DWORD
	v_mov_b32_e32 v48, 0x8000
	s_and_saveexec_b64 s[18:19], s[0:1]
	s_cbranch_execz .LBB243_534
; %bb.531:                              ;   in Loop: Header=BB243_328 Depth=1
	v_and_b32_e32 v0, 0x7f, v9
	v_cmp_ne_u32_e64 s[0:1], s29, v0
	v_mov_b32_e32 v48, 0x7c01
	s_and_saveexec_b64 s[20:21], s[0:1]
	s_cbranch_execz .LBB243_533
; %bb.532:                              ;   in Loop: Header=BB243_328 Depth=1
	v_and_b32_e32 v1, 7, v9
	v_ffbh_u32_e32 v48, v1
	v_min_u32_e32 v51, 32, v48
	v_subrev_u32_e32 v48, 28, v51
	v_lshlrev_b64 v[48:49], v48, v[9:10]
	v_lshrrev_b32_e32 v50, 3, v0
	v_sub_u32_e32 v49, 29, v51
	v_cmp_gt_u32_e64 s[0:1], 8, v0
	v_cndmask_b32_e64 v0, v50, v49, s[0:1]
	v_lshl_add_u32 v0, v0, 10, v25
	v_lshlrev_b32_e32 v49, 8, v9
	v_and_b32_e32 v48, 7, v48
	v_and_b32_e32 v0, 0xfc00, v0
	v_cndmask_b32_e64 v1, v1, v48, s[0:1]
	v_and_or_b32 v0, v49, s30, v0
	v_lshl_or_b32 v48, v1, 7, v0
.LBB243_533:                            ;   in Loop: Header=BB243_328 Depth=1
	s_or_b64 exec, exec, s[20:21]
.LBB243_534:                            ;   in Loop: Header=BB243_328 Depth=1
	s_or_b64 exec, exec, s[18:19]
.LBB243_535:                            ;   in Loop: Header=BB243_328 Depth=1
	s_or_b64 exec, exec, s[16:17]
	v_lshrrev_b16_e32 v1, 8, v9
	v_cmp_ne_u16_e64 s[0:1], 0, v1
	s_and_saveexec_b64 s[16:17], s[0:1]
	s_cbranch_execz .LBB243_541
; %bb.536:                              ;   in Loop: Header=BB243_328 Depth=1
	v_cmp_ne_u16_e64 s[0:1], s28, v1
	v_bfrev_b32_e32 v47, 1
	s_and_saveexec_b64 s[18:19], s[0:1]
	s_cbranch_execz .LBB243_540
; %bb.537:                              ;   in Loop: Header=BB243_328 Depth=1
	v_and_b32_e32 v0, 0x7f, v1
	v_cmp_ne_u32_e64 s[0:1], s29, v0
	v_mov_b32_e32 v47, 0x7c010000
	s_and_saveexec_b64 s[20:21], s[0:1]
	s_cbranch_execz .LBB243_539
; %bb.538:                              ;   in Loop: Header=BB243_328 Depth=1
	v_and_b32_e32 v47, 7, v1
	v_ffbh_u32_e32 v49, v47
	v_min_u32_e32 v52, 32, v49
	v_subrev_u32_e32 v49, 28, v52
	v_lshlrev_b64 v[49:50], v49, v[1:2]
	v_lshrrev_b32_e32 v51, 3, v0
	v_sub_u32_e32 v50, 29, v52
	v_cmp_gt_u32_e64 s[0:1], 8, v0
	v_cndmask_b32_e64 v0, v51, v50, s[0:1]
	v_lshlrev_b32_e32 v1, 8, v1
	v_lshl_add_u32 v0, v0, 10, v25
	v_and_b32_e32 v49, 7, v49
	v_and_or_b32 v0, v1, s30, v0
	v_cndmask_b32_e64 v47, v47, v49, s[0:1]
	v_lshlrev_b32_e32 v0, 16, v0
	v_lshl_or_b32 v47, v47, 23, v0
.LBB243_539:                            ;   in Loop: Header=BB243_328 Depth=1
	s_or_b64 exec, exec, s[20:21]
.LBB243_540:                            ;   in Loop: Header=BB243_328 Depth=1
	s_or_b64 exec, exec, s[18:19]
.LBB243_541:                            ;   in Loop: Header=BB243_328 Depth=1
	s_or_b64 exec, exec, s[16:17]
	v_lshrrev_b32_e32 v1, 16, v9
	v_cmp_ne_u16_sdwa s[0:1], v1, v2 src0_sel:BYTE_0 src1_sel:DWORD
	v_mov_b32_e32 v49, 0
	v_mov_b32_e32 v50, 0
	s_and_saveexec_b64 s[16:17], s[0:1]
	s_cbranch_execz .LBB243_547
; %bb.542:                              ;   in Loop: Header=BB243_328 Depth=1
	v_cmp_ne_u16_sdwa s[0:1], v1, s28 src0_sel:BYTE_0 src1_sel:DWORD
	v_mov_b32_e32 v50, 0x8000
	s_and_saveexec_b64 s[18:19], s[0:1]
	s_cbranch_execz .LBB243_546
; %bb.543:                              ;   in Loop: Header=BB243_328 Depth=1
	v_bfe_u32 v0, v9, 16, 7
	v_cmp_ne_u32_e64 s[0:1], s29, v0
	v_mov_b32_e32 v50, 0x7c01
	s_and_saveexec_b64 s[20:21], s[0:1]
	s_cbranch_execz .LBB243_545
; %bb.544:                              ;   in Loop: Header=BB243_328 Depth=1
	v_and_b32_e32 v52, 7, v1
	v_ffbh_u32_e32 v50, v52
	v_min_u32_e32 v54, 32, v50
	v_subrev_u32_e32 v50, 28, v54
	v_lshlrev_b64 v[50:51], v50, v[1:2]
	v_lshrrev_b32_e32 v53, 3, v0
	v_sub_u32_e32 v51, 29, v54
	v_cmp_gt_u32_e64 s[0:1], 8, v0
	v_cndmask_b32_e64 v0, v53, v51, s[0:1]
	v_lshl_add_u32 v0, v0, 10, v25
	v_lshlrev_b32_e32 v1, 8, v1
	v_and_b32_e32 v50, 7, v50
	v_and_b32_e32 v0, 0xfc00, v0
	v_cndmask_b32_e64 v50, v52, v50, s[0:1]
	v_and_or_b32 v0, v1, s30, v0
	v_lshl_or_b32 v50, v50, 7, v0
.LBB243_545:                            ;   in Loop: Header=BB243_328 Depth=1
	s_or_b64 exec, exec, s[20:21]
.LBB243_546:                            ;   in Loop: Header=BB243_328 Depth=1
	s_or_b64 exec, exec, s[18:19]
.LBB243_547:                            ;   in Loop: Header=BB243_328 Depth=1
	s_or_b64 exec, exec, s[16:17]
	v_cmp_lt_u32_e64 s[0:1], s5, v9
	s_and_saveexec_b64 s[16:17], s[0:1]
	s_cbranch_execz .LBB243_553
; %bb.548:                              ;   in Loop: Header=BB243_328 Depth=1
	v_lshrrev_b32_e32 v1, 24, v9
	v_cmp_ne_u32_e64 s[0:1], s28, v1
	v_bfrev_b32_e32 v49, 1
	s_and_saveexec_b64 s[18:19], s[0:1]
	s_cbranch_execz .LBB243_552
; %bb.549:                              ;   in Loop: Header=BB243_328 Depth=1
	v_and_b32_e32 v0, 0x7f, v1
	v_cmp_ne_u32_e64 s[0:1], s29, v0
	v_mov_b32_e32 v49, 0x7c010000
	s_and_saveexec_b64 s[20:21], s[0:1]
	s_cbranch_execz .LBB243_551
; %bb.550:                              ;   in Loop: Header=BB243_328 Depth=1
	v_and_b32_e32 v49, 7, v1
	v_ffbh_u32_e32 v51, v49
	v_min_u32_e32 v54, 32, v51
	v_subrev_u32_e32 v51, 28, v54
	v_lshlrev_b64 v[51:52], v51, v[1:2]
	v_lshrrev_b32_e32 v53, 3, v0
	v_sub_u32_e32 v52, 29, v54
	v_cmp_gt_u32_e64 s[0:1], 8, v0
	v_cndmask_b32_e64 v0, v53, v52, s[0:1]
	v_lshlrev_b32_e32 v1, 8, v1
	v_lshl_add_u32 v0, v0, 10, v25
	v_and_b32_e32 v51, 7, v51
	v_and_or_b32 v0, v1, s30, v0
	v_cndmask_b32_e64 v49, v49, v51, s[0:1]
	v_lshlrev_b32_e32 v0, 16, v0
	v_lshl_or_b32 v49, v49, 23, v0
.LBB243_551:                            ;   in Loop: Header=BB243_328 Depth=1
	s_or_b64 exec, exec, s[20:21]
.LBB243_552:                            ;   in Loop: Header=BB243_328 Depth=1
	s_or_b64 exec, exec, s[18:19]
.LBB243_553:                            ;   in Loop: Header=BB243_328 Depth=1
	s_or_b64 exec, exec, s[16:17]
	v_mov_b32_e32 v1, v10
	v_cmp_ne_u16_sdwa s[0:1], v10, v2 src0_sel:BYTE_0 src1_sel:DWORD
	v_mov_b32_e32 v51, 0
	v_mov_b32_e32 v52, 0
	s_and_saveexec_b64 s[16:17], s[0:1]
	s_cbranch_execz .LBB243_559
; %bb.554:                              ;   in Loop: Header=BB243_328 Depth=1
	v_cmp_ne_u16_sdwa s[0:1], v10, s28 src0_sel:BYTE_0 src1_sel:DWORD
	v_mov_b32_e32 v52, 0x8000
	s_and_saveexec_b64 s[18:19], s[0:1]
	s_cbranch_execz .LBB243_558
; %bb.555:                              ;   in Loop: Header=BB243_328 Depth=1
	v_and_b32_e32 v0, 0x7f, v10
	v_cmp_ne_u32_e64 s[0:1], s29, v0
	v_mov_b32_e32 v52, 0x7c01
	s_and_saveexec_b64 s[20:21], s[0:1]
	s_cbranch_execz .LBB243_557
; %bb.556:                              ;   in Loop: Header=BB243_328 Depth=1
	v_and_b32_e32 v54, 7, v10
	v_ffbh_u32_e32 v52, v54
	v_min_u32_e32 v56, 32, v52
	v_subrev_u32_e32 v52, 28, v56
	v_lshlrev_b64 v[52:53], v52, v[1:2]
	v_lshrrev_b32_e32 v55, 3, v0
	v_sub_u32_e32 v53, 29, v56
	v_cmp_gt_u32_e64 s[0:1], 8, v0
	v_cndmask_b32_e64 v0, v55, v53, s[0:1]
	v_lshl_add_u32 v0, v0, 10, v25
	v_lshlrev_b32_e32 v53, 8, v10
	v_and_b32_e32 v52, 7, v52
	v_and_b32_e32 v0, 0xfc00, v0
	v_cndmask_b32_e64 v52, v54, v52, s[0:1]
	v_and_or_b32 v0, v53, s30, v0
	v_lshl_or_b32 v52, v52, 7, v0
.LBB243_557:                            ;   in Loop: Header=BB243_328 Depth=1
	s_or_b64 exec, exec, s[20:21]
.LBB243_558:                            ;   in Loop: Header=BB243_328 Depth=1
	s_or_b64 exec, exec, s[18:19]
.LBB243_559:                            ;   in Loop: Header=BB243_328 Depth=1
	s_or_b64 exec, exec, s[16:17]
	v_lshrrev_b16_e32 v1, 8, v1
	v_cmp_ne_u16_e64 s[0:1], 0, v1
	v_mov_b32_e32 v0, 0
	s_and_saveexec_b64 s[16:17], s[0:1]
	s_cbranch_execz .LBB243_565
; %bb.560:                              ;   in Loop: Header=BB243_328 Depth=1
	v_cmp_ne_u16_e64 s[0:1], s28, v1
	v_bfrev_b32_e32 v0, 1
	s_and_saveexec_b64 s[18:19], s[0:1]
	s_cbranch_execz .LBB243_564
; %bb.561:                              ;   in Loop: Header=BB243_328 Depth=1
	v_and_b32_e32 v53, 0x7f, v1
	v_cmp_ne_u32_e64 s[0:1], s29, v53
	v_mov_b32_e32 v0, 0x7c010000
	s_and_saveexec_b64 s[20:21], s[0:1]
	s_cbranch_execz .LBB243_563
; %bb.562:                              ;   in Loop: Header=BB243_328 Depth=1
	v_and_b32_e32 v0, 7, v1
	v_ffbh_u32_e32 v54, v0
	v_min_u32_e32 v57, 32, v54
	v_subrev_u32_e32 v54, 28, v57
	v_lshlrev_b64 v[54:55], v54, v[1:2]
	v_lshrrev_b32_e32 v56, 3, v53
	v_sub_u32_e32 v55, 29, v57
	v_cmp_gt_u32_e64 s[0:1], 8, v53
	v_cndmask_b32_e64 v53, v56, v55, s[0:1]
	v_lshlrev_b32_e32 v1, 8, v1
	v_lshl_add_u32 v53, v53, 10, v25
	v_and_b32_e32 v54, 7, v54
	v_and_or_b32 v1, v1, s30, v53
	v_cndmask_b32_e64 v0, v0, v54, s[0:1]
	v_lshlrev_b32_e32 v1, 16, v1
	v_lshl_or_b32 v0, v0, 23, v1
.LBB243_563:                            ;   in Loop: Header=BB243_328 Depth=1
	s_or_b64 exec, exec, s[20:21]
.LBB243_564:                            ;   in Loop: Header=BB243_328 Depth=1
	s_or_b64 exec, exec, s[18:19]
.LBB243_565:                            ;   in Loop: Header=BB243_328 Depth=1
	s_or_b64 exec, exec, s[16:17]
	v_lshrrev_b32_e32 v1, 16, v10
	v_cmp_ne_u16_sdwa s[0:1], v1, v2 src0_sel:BYTE_0 src1_sel:DWORD
	s_and_saveexec_b64 s[16:17], s[0:1]
	s_cbranch_execz .LBB243_571
; %bb.566:                              ;   in Loop: Header=BB243_328 Depth=1
	v_cmp_ne_u16_sdwa s[0:1], v1, s28 src0_sel:BYTE_0 src1_sel:DWORD
	v_mov_b32_e32 v51, 0x8000
	s_and_saveexec_b64 s[18:19], s[0:1]
	s_cbranch_execz .LBB243_570
; %bb.567:                              ;   in Loop: Header=BB243_328 Depth=1
	v_bfe_u32 v53, v10, 16, 7
	v_cmp_ne_u32_e64 s[0:1], s29, v53
	v_mov_b32_e32 v51, 0x7c01
	s_and_saveexec_b64 s[20:21], s[0:1]
	s_cbranch_execz .LBB243_569
; %bb.568:                              ;   in Loop: Header=BB243_328 Depth=1
	v_and_b32_e32 v51, 7, v1
	v_ffbh_u32_e32 v54, v51
	v_min_u32_e32 v57, 32, v54
	v_subrev_u32_e32 v54, 28, v57
	v_lshlrev_b64 v[54:55], v54, v[1:2]
	v_lshrrev_b32_e32 v56, 3, v53
	v_sub_u32_e32 v55, 29, v57
	v_cmp_gt_u32_e64 s[0:1], 8, v53
	v_cndmask_b32_e64 v53, v56, v55, s[0:1]
	v_lshl_add_u32 v53, v53, 10, v25
	v_lshlrev_b32_e32 v1, 8, v1
	v_and_b32_e32 v54, 7, v54
	v_and_b32_e32 v53, 0xfc00, v53
	v_cndmask_b32_e64 v51, v51, v54, s[0:1]
	v_and_or_b32 v1, v1, s30, v53
	v_lshl_or_b32 v51, v51, 7, v1
.LBB243_569:                            ;   in Loop: Header=BB243_328 Depth=1
	s_or_b64 exec, exec, s[20:21]
.LBB243_570:                            ;   in Loop: Header=BB243_328 Depth=1
	s_or_b64 exec, exec, s[18:19]
.LBB243_571:                            ;   in Loop: Header=BB243_328 Depth=1
	s_or_b64 exec, exec, s[16:17]
	v_cmp_lt_u64_e64 s[0:1], s[4:5], v[9:10]
	v_mov_b32_e32 v9, 0
	s_and_saveexec_b64 s[16:17], s[0:1]
	s_cbranch_execz .LBB243_577
; %bb.572:                              ;   in Loop: Header=BB243_328 Depth=1
	v_lshrrev_b32_e32 v1, 24, v10
	v_cmp_ne_u32_e64 s[0:1], s28, v1
	v_bfrev_b32_e32 v9, 1
	s_and_saveexec_b64 s[18:19], s[0:1]
	s_cbranch_execz .LBB243_576
; %bb.573:                              ;   in Loop: Header=BB243_328 Depth=1
	v_and_b32_e32 v10, 0x7f, v1
	v_cmp_ne_u32_e64 s[0:1], s29, v10
	v_mov_b32_e32 v9, 0x7c010000
	s_and_saveexec_b64 s[20:21], s[0:1]
	s_cbranch_execz .LBB243_575
; %bb.574:                              ;   in Loop: Header=BB243_328 Depth=1
	v_and_b32_e32 v9, 7, v1
	v_ffbh_u32_e32 v53, v9
	v_min_u32_e32 v56, 32, v53
	v_subrev_u32_e32 v53, 28, v56
	v_lshlrev_b64 v[53:54], v53, v[1:2]
	v_lshrrev_b32_e32 v55, 3, v10
	v_sub_u32_e32 v54, 29, v56
	v_cmp_gt_u32_e64 s[0:1], 8, v10
	v_cndmask_b32_e64 v10, v55, v54, s[0:1]
	v_lshlrev_b32_e32 v1, 8, v1
	v_lshl_add_u32 v10, v10, 10, v25
	v_and_b32_e32 v53, 7, v53
	v_and_or_b32 v1, v1, s30, v10
	v_cndmask_b32_e64 v9, v9, v53, s[0:1]
	v_lshlrev_b32_e32 v1, 16, v1
	v_lshl_or_b32 v9, v9, 23, v1
.LBB243_575:                            ;   in Loop: Header=BB243_328 Depth=1
	s_or_b64 exec, exec, s[20:21]
.LBB243_576:                            ;   in Loop: Header=BB243_328 Depth=1
	s_or_b64 exec, exec, s[18:19]
.LBB243_577:                            ;   in Loop: Header=BB243_328 Depth=1
	s_or_b64 exec, exec, s[16:17]
	s_waitcnt vmcnt(0)
	v_fma_mixlo_f16 v10, v46, v49, 0 op_sel:[0,1,0] op_sel_hi:[0,1,0]
	v_or_b32_e32 v1, v49, v50
	v_lshlrev_b32_e32 v49, 16, v10
	v_or_b32_e32 v10, v47, v48
	v_fma_mixlo_f16 v47, v46, v47, 0 op_sel:[0,1,0] op_sel_hi:[0,1,0]
	v_or_b32_e32 v52, v0, v52
	v_fma_mixlo_f16 v0, v46, v0, 0 op_sel:[0,1,0] op_sel_hi:[0,1,0]
	v_or_b32_e32 v51, v9, v51
	v_fma_mixlo_f16 v1, v46, v1, 0 op_sel_hi:[0,1,0]
	v_lshlrev_b32_e32 v48, 16, v47
	v_fma_mixlo_f16 v10, v46, v10, 0 op_sel_hi:[0,1,0]
	v_lshlrev_b32_e32 v47, 16, v0
	v_fma_mixlo_f16 v0, v46, v52, 0 op_sel_hi:[0,1,0]
	v_fma_mixlo_f16 v51, v46, v51, 0 op_sel_hi:[0,1,0]
	v_fma_mixlo_f16 v9, v46, v9, 0 op_sel:[0,1,0] op_sel_hi:[0,1,0]
	v_and_b32_e32 v50, 0xffff, v1
	v_and_b32_e32 v53, 0xffff, v10
	;; [unrolled: 1-line block ×3, first 2 shown]
	v_lshlrev_b32_e32 v9, 16, v9
	v_and_b32_e32 v46, 0xffff, v51
	v_or_b32_e32 v1, v49, v50
	v_or_b32_e32 v10, v48, v53
	;; [unrolled: 1-line block ×4, first 2 shown]
	s_and_saveexec_b64 s[16:17], vcc
	s_cbranch_execz .LBB243_579
; %bb.578:                              ;   in Loop: Header=BB243_328 Depth=1
	v_cmp_gt_i32_e64 s[0:1], s33, v26
	v_cndmask_b32_e64 v0, 0, v53, s[0:1]
	v_cmp_gt_i32_e64 s[0:1], s33, v33
	v_cndmask_b32_e64 v1, 0, v48, s[0:1]
	v_cmp_gt_i32_e64 s[0:1], s33, v32
	v_or_b32_e32 v10, v1, v0
	v_cndmask_b32_e64 v0, 0, v50, s[0:1]
	v_cmp_gt_i32_e64 s[0:1], s33, v31
	v_cndmask_b32_e64 v1, 0, v49, s[0:1]
	v_cmp_gt_i32_e64 s[0:1], s33, v30
	v_or_b32_e32 v1, v1, v0
	v_cndmask_b32_e64 v0, 0, v52, s[0:1]
	v_cmp_gt_i32_e64 s[0:1], s33, v29
	v_cndmask_b32_e64 v47, 0, v47, s[0:1]
	v_cmp_gt_i32_e64 s[0:1], s33, v28
	;; [unrolled: 2-line block ×3, first 2 shown]
	v_cndmask_b32_e64 v9, 0, v9, s[0:1]
	v_or_b32_e32 v0, v47, v0
	v_or_b32_e32 v51, v9, v46
.LBB243_579:                            ;   in Loop: Header=BB243_328 Depth=1
	s_or_b64 exec, exec, s[16:17]
	;;#ASMSTART
	v_pk_mul_f16 v9, v37, v10;

	;;#ASMEND
	;;#ASMSTART
	v_pk_mul_f16 v1, v36, v1;

	;;#ASMEND
	;; [unrolled: 4-line block ×4, first 2 shown]
	;;#ASMSTART
	v_pk_add_f16 v1, v9, v1;

	;;#ASMEND
	;;#ASMSTART
	v_pk_add_f16 v0, v1, v0;

	;;#ASMEND
	;; [unrolled: 4-line block ×3, first 2 shown]
	v_lshrrev_b32_e32 v1, 16, v0
	v_and_b32_e32 v0, 0xffff, v0
	;;#ASMSTART
	v_cvt_f32_f16 v9, v0;
	;;#ASMEND
	;;#ASMSTART
	v_cvt_f32_f16 v10, v1;
	;;#ASMEND
	global_load_dwordx2 v[7:8], v[7:8], off offset:2560
	v_mov_b32_e32 v47, 0
	global_load_dword v46, v47, s[14:15]
	v_mov_b32_e32 v48, 0
	s_waitcnt vmcnt(1)
	v_cmp_ne_u16_sdwa s[0:1], v7, v2 src0_sel:BYTE_0 src1_sel:DWORD
	s_and_saveexec_b64 s[16:17], s[0:1]
	s_cbranch_execz .LBB243_585
; %bb.580:                              ;   in Loop: Header=BB243_328 Depth=1
	v_cmp_ne_u16_sdwa s[0:1], v7, s28 src0_sel:BYTE_0 src1_sel:DWORD
	v_mov_b32_e32 v48, 0x8000
	s_and_saveexec_b64 s[18:19], s[0:1]
	s_cbranch_execz .LBB243_584
; %bb.581:                              ;   in Loop: Header=BB243_328 Depth=1
	v_and_b32_e32 v0, 0x7f, v7
	v_cmp_ne_u32_e64 s[0:1], s29, v0
	v_mov_b32_e32 v48, 0x7c01
	s_and_saveexec_b64 s[20:21], s[0:1]
	s_cbranch_execz .LBB243_583
; %bb.582:                              ;   in Loop: Header=BB243_328 Depth=1
	v_and_b32_e32 v1, 7, v7
	v_ffbh_u32_e32 v48, v1
	v_min_u32_e32 v51, 32, v48
	v_subrev_u32_e32 v48, 28, v51
	v_lshlrev_b64 v[48:49], v48, v[7:8]
	v_lshrrev_b32_e32 v50, 3, v0
	v_sub_u32_e32 v49, 29, v51
	v_cmp_gt_u32_e64 s[0:1], 8, v0
	v_cndmask_b32_e64 v0, v50, v49, s[0:1]
	v_lshl_add_u32 v0, v0, 10, v25
	v_lshlrev_b32_e32 v49, 8, v7
	v_and_b32_e32 v48, 7, v48
	v_and_b32_e32 v0, 0xfc00, v0
	v_cndmask_b32_e64 v1, v1, v48, s[0:1]
	v_and_or_b32 v0, v49, s30, v0
	v_lshl_or_b32 v48, v1, 7, v0
.LBB243_583:                            ;   in Loop: Header=BB243_328 Depth=1
	s_or_b64 exec, exec, s[20:21]
.LBB243_584:                            ;   in Loop: Header=BB243_328 Depth=1
	s_or_b64 exec, exec, s[18:19]
.LBB243_585:                            ;   in Loop: Header=BB243_328 Depth=1
	s_or_b64 exec, exec, s[16:17]
	v_lshrrev_b16_e32 v1, 8, v7
	v_cmp_ne_u16_e64 s[0:1], 0, v1
	s_and_saveexec_b64 s[16:17], s[0:1]
	s_cbranch_execz .LBB243_591
; %bb.586:                              ;   in Loop: Header=BB243_328 Depth=1
	v_cmp_ne_u16_e64 s[0:1], s28, v1
	v_bfrev_b32_e32 v47, 1
	s_and_saveexec_b64 s[18:19], s[0:1]
	s_cbranch_execz .LBB243_590
; %bb.587:                              ;   in Loop: Header=BB243_328 Depth=1
	v_and_b32_e32 v0, 0x7f, v1
	v_cmp_ne_u32_e64 s[0:1], s29, v0
	v_mov_b32_e32 v47, 0x7c010000
	s_and_saveexec_b64 s[20:21], s[0:1]
	s_cbranch_execz .LBB243_589
; %bb.588:                              ;   in Loop: Header=BB243_328 Depth=1
	v_and_b32_e32 v47, 7, v1
	v_ffbh_u32_e32 v49, v47
	v_min_u32_e32 v52, 32, v49
	v_subrev_u32_e32 v49, 28, v52
	v_lshlrev_b64 v[49:50], v49, v[1:2]
	v_lshrrev_b32_e32 v51, 3, v0
	v_sub_u32_e32 v50, 29, v52
	v_cmp_gt_u32_e64 s[0:1], 8, v0
	v_cndmask_b32_e64 v0, v51, v50, s[0:1]
	v_lshlrev_b32_e32 v1, 8, v1
	v_lshl_add_u32 v0, v0, 10, v25
	v_and_b32_e32 v49, 7, v49
	v_and_or_b32 v0, v1, s30, v0
	v_cndmask_b32_e64 v47, v47, v49, s[0:1]
	v_lshlrev_b32_e32 v0, 16, v0
	v_lshl_or_b32 v47, v47, 23, v0
.LBB243_589:                            ;   in Loop: Header=BB243_328 Depth=1
	s_or_b64 exec, exec, s[20:21]
.LBB243_590:                            ;   in Loop: Header=BB243_328 Depth=1
	s_or_b64 exec, exec, s[18:19]
.LBB243_591:                            ;   in Loop: Header=BB243_328 Depth=1
	s_or_b64 exec, exec, s[16:17]
	v_lshrrev_b32_e32 v1, 16, v7
	v_cmp_ne_u16_sdwa s[0:1], v1, v2 src0_sel:BYTE_0 src1_sel:DWORD
	v_mov_b32_e32 v49, 0
	v_mov_b32_e32 v50, 0
	s_and_saveexec_b64 s[16:17], s[0:1]
	s_cbranch_execz .LBB243_597
; %bb.592:                              ;   in Loop: Header=BB243_328 Depth=1
	v_cmp_ne_u16_sdwa s[0:1], v1, s28 src0_sel:BYTE_0 src1_sel:DWORD
	v_mov_b32_e32 v50, 0x8000
	s_and_saveexec_b64 s[18:19], s[0:1]
	s_cbranch_execz .LBB243_596
; %bb.593:                              ;   in Loop: Header=BB243_328 Depth=1
	v_bfe_u32 v0, v7, 16, 7
	v_cmp_ne_u32_e64 s[0:1], s29, v0
	v_mov_b32_e32 v50, 0x7c01
	s_and_saveexec_b64 s[20:21], s[0:1]
	s_cbranch_execz .LBB243_595
; %bb.594:                              ;   in Loop: Header=BB243_328 Depth=1
	v_and_b32_e32 v52, 7, v1
	v_ffbh_u32_e32 v50, v52
	v_min_u32_e32 v54, 32, v50
	v_subrev_u32_e32 v50, 28, v54
	v_lshlrev_b64 v[50:51], v50, v[1:2]
	v_lshrrev_b32_e32 v53, 3, v0
	v_sub_u32_e32 v51, 29, v54
	v_cmp_gt_u32_e64 s[0:1], 8, v0
	v_cndmask_b32_e64 v0, v53, v51, s[0:1]
	v_lshl_add_u32 v0, v0, 10, v25
	v_lshlrev_b32_e32 v1, 8, v1
	v_and_b32_e32 v50, 7, v50
	v_and_b32_e32 v0, 0xfc00, v0
	v_cndmask_b32_e64 v50, v52, v50, s[0:1]
	v_and_or_b32 v0, v1, s30, v0
	v_lshl_or_b32 v50, v50, 7, v0
.LBB243_595:                            ;   in Loop: Header=BB243_328 Depth=1
	s_or_b64 exec, exec, s[20:21]
.LBB243_596:                            ;   in Loop: Header=BB243_328 Depth=1
	s_or_b64 exec, exec, s[18:19]
.LBB243_597:                            ;   in Loop: Header=BB243_328 Depth=1
	s_or_b64 exec, exec, s[16:17]
	v_cmp_lt_u32_e64 s[0:1], s5, v7
	s_and_saveexec_b64 s[16:17], s[0:1]
	s_cbranch_execz .LBB243_603
; %bb.598:                              ;   in Loop: Header=BB243_328 Depth=1
	v_lshrrev_b32_e32 v1, 24, v7
	v_cmp_ne_u32_e64 s[0:1], s28, v1
	v_bfrev_b32_e32 v49, 1
	s_and_saveexec_b64 s[18:19], s[0:1]
	s_cbranch_execz .LBB243_602
; %bb.599:                              ;   in Loop: Header=BB243_328 Depth=1
	v_and_b32_e32 v0, 0x7f, v1
	v_cmp_ne_u32_e64 s[0:1], s29, v0
	v_mov_b32_e32 v49, 0x7c010000
	s_and_saveexec_b64 s[20:21], s[0:1]
	s_cbranch_execz .LBB243_601
; %bb.600:                              ;   in Loop: Header=BB243_328 Depth=1
	v_and_b32_e32 v49, 7, v1
	v_ffbh_u32_e32 v51, v49
	v_min_u32_e32 v54, 32, v51
	v_subrev_u32_e32 v51, 28, v54
	v_lshlrev_b64 v[51:52], v51, v[1:2]
	v_lshrrev_b32_e32 v53, 3, v0
	v_sub_u32_e32 v52, 29, v54
	v_cmp_gt_u32_e64 s[0:1], 8, v0
	v_cndmask_b32_e64 v0, v53, v52, s[0:1]
	v_lshlrev_b32_e32 v1, 8, v1
	v_lshl_add_u32 v0, v0, 10, v25
	v_and_b32_e32 v51, 7, v51
	v_and_or_b32 v0, v1, s30, v0
	v_cndmask_b32_e64 v49, v49, v51, s[0:1]
	v_lshlrev_b32_e32 v0, 16, v0
	v_lshl_or_b32 v49, v49, 23, v0
.LBB243_601:                            ;   in Loop: Header=BB243_328 Depth=1
	s_or_b64 exec, exec, s[20:21]
.LBB243_602:                            ;   in Loop: Header=BB243_328 Depth=1
	s_or_b64 exec, exec, s[18:19]
.LBB243_603:                            ;   in Loop: Header=BB243_328 Depth=1
	s_or_b64 exec, exec, s[16:17]
	v_mov_b32_e32 v1, v8
	v_cmp_ne_u16_sdwa s[0:1], v8, v2 src0_sel:BYTE_0 src1_sel:DWORD
	v_mov_b32_e32 v51, 0
	v_mov_b32_e32 v52, 0
	s_and_saveexec_b64 s[16:17], s[0:1]
	s_cbranch_execz .LBB243_609
; %bb.604:                              ;   in Loop: Header=BB243_328 Depth=1
	v_cmp_ne_u16_sdwa s[0:1], v8, s28 src0_sel:BYTE_0 src1_sel:DWORD
	v_mov_b32_e32 v52, 0x8000
	s_and_saveexec_b64 s[18:19], s[0:1]
	s_cbranch_execz .LBB243_608
; %bb.605:                              ;   in Loop: Header=BB243_328 Depth=1
	v_and_b32_e32 v0, 0x7f, v8
	v_cmp_ne_u32_e64 s[0:1], s29, v0
	v_mov_b32_e32 v52, 0x7c01
	s_and_saveexec_b64 s[20:21], s[0:1]
	s_cbranch_execz .LBB243_607
; %bb.606:                              ;   in Loop: Header=BB243_328 Depth=1
	v_and_b32_e32 v54, 7, v8
	v_ffbh_u32_e32 v52, v54
	v_min_u32_e32 v56, 32, v52
	v_subrev_u32_e32 v52, 28, v56
	v_lshlrev_b64 v[52:53], v52, v[1:2]
	v_lshrrev_b32_e32 v55, 3, v0
	v_sub_u32_e32 v53, 29, v56
	v_cmp_gt_u32_e64 s[0:1], 8, v0
	v_cndmask_b32_e64 v0, v55, v53, s[0:1]
	v_lshl_add_u32 v0, v0, 10, v25
	v_lshlrev_b32_e32 v53, 8, v8
	v_and_b32_e32 v52, 7, v52
	v_and_b32_e32 v0, 0xfc00, v0
	v_cndmask_b32_e64 v52, v54, v52, s[0:1]
	v_and_or_b32 v0, v53, s30, v0
	v_lshl_or_b32 v52, v52, 7, v0
.LBB243_607:                            ;   in Loop: Header=BB243_328 Depth=1
	s_or_b64 exec, exec, s[20:21]
.LBB243_608:                            ;   in Loop: Header=BB243_328 Depth=1
	s_or_b64 exec, exec, s[18:19]
.LBB243_609:                            ;   in Loop: Header=BB243_328 Depth=1
	s_or_b64 exec, exec, s[16:17]
	v_lshrrev_b16_e32 v1, 8, v1
	v_cmp_ne_u16_e64 s[0:1], 0, v1
	v_mov_b32_e32 v0, 0
	s_and_saveexec_b64 s[16:17], s[0:1]
	s_cbranch_execz .LBB243_615
; %bb.610:                              ;   in Loop: Header=BB243_328 Depth=1
	v_cmp_ne_u16_e64 s[0:1], s28, v1
	v_bfrev_b32_e32 v0, 1
	s_and_saveexec_b64 s[18:19], s[0:1]
	s_cbranch_execz .LBB243_614
; %bb.611:                              ;   in Loop: Header=BB243_328 Depth=1
	v_and_b32_e32 v53, 0x7f, v1
	v_cmp_ne_u32_e64 s[0:1], s29, v53
	v_mov_b32_e32 v0, 0x7c010000
	s_and_saveexec_b64 s[20:21], s[0:1]
	s_cbranch_execz .LBB243_613
; %bb.612:                              ;   in Loop: Header=BB243_328 Depth=1
	v_and_b32_e32 v0, 7, v1
	v_ffbh_u32_e32 v54, v0
	v_min_u32_e32 v57, 32, v54
	v_subrev_u32_e32 v54, 28, v57
	v_lshlrev_b64 v[54:55], v54, v[1:2]
	v_lshrrev_b32_e32 v56, 3, v53
	v_sub_u32_e32 v55, 29, v57
	v_cmp_gt_u32_e64 s[0:1], 8, v53
	v_cndmask_b32_e64 v53, v56, v55, s[0:1]
	v_lshlrev_b32_e32 v1, 8, v1
	v_lshl_add_u32 v53, v53, 10, v25
	v_and_b32_e32 v54, 7, v54
	v_and_or_b32 v1, v1, s30, v53
	v_cndmask_b32_e64 v0, v0, v54, s[0:1]
	v_lshlrev_b32_e32 v1, 16, v1
	v_lshl_or_b32 v0, v0, 23, v1
.LBB243_613:                            ;   in Loop: Header=BB243_328 Depth=1
	s_or_b64 exec, exec, s[20:21]
.LBB243_614:                            ;   in Loop: Header=BB243_328 Depth=1
	s_or_b64 exec, exec, s[18:19]
.LBB243_615:                            ;   in Loop: Header=BB243_328 Depth=1
	s_or_b64 exec, exec, s[16:17]
	v_lshrrev_b32_e32 v1, 16, v8
	v_cmp_ne_u16_sdwa s[0:1], v1, v2 src0_sel:BYTE_0 src1_sel:DWORD
	s_and_saveexec_b64 s[16:17], s[0:1]
	s_cbranch_execz .LBB243_621
; %bb.616:                              ;   in Loop: Header=BB243_328 Depth=1
	v_cmp_ne_u16_sdwa s[0:1], v1, s28 src0_sel:BYTE_0 src1_sel:DWORD
	v_mov_b32_e32 v51, 0x8000
	s_and_saveexec_b64 s[18:19], s[0:1]
	s_cbranch_execz .LBB243_620
; %bb.617:                              ;   in Loop: Header=BB243_328 Depth=1
	v_bfe_u32 v53, v8, 16, 7
	v_cmp_ne_u32_e64 s[0:1], s29, v53
	v_mov_b32_e32 v51, 0x7c01
	s_and_saveexec_b64 s[20:21], s[0:1]
	s_cbranch_execz .LBB243_619
; %bb.618:                              ;   in Loop: Header=BB243_328 Depth=1
	v_and_b32_e32 v51, 7, v1
	v_ffbh_u32_e32 v54, v51
	v_min_u32_e32 v57, 32, v54
	v_subrev_u32_e32 v54, 28, v57
	v_lshlrev_b64 v[54:55], v54, v[1:2]
	v_lshrrev_b32_e32 v56, 3, v53
	v_sub_u32_e32 v55, 29, v57
	v_cmp_gt_u32_e64 s[0:1], 8, v53
	v_cndmask_b32_e64 v53, v56, v55, s[0:1]
	v_lshl_add_u32 v53, v53, 10, v25
	v_lshlrev_b32_e32 v1, 8, v1
	v_and_b32_e32 v54, 7, v54
	v_and_b32_e32 v53, 0xfc00, v53
	v_cndmask_b32_e64 v51, v51, v54, s[0:1]
	v_and_or_b32 v1, v1, s30, v53
	v_lshl_or_b32 v51, v51, 7, v1
.LBB243_619:                            ;   in Loop: Header=BB243_328 Depth=1
	s_or_b64 exec, exec, s[20:21]
.LBB243_620:                            ;   in Loop: Header=BB243_328 Depth=1
	s_or_b64 exec, exec, s[18:19]
.LBB243_621:                            ;   in Loop: Header=BB243_328 Depth=1
	s_or_b64 exec, exec, s[16:17]
	v_cmp_lt_u64_e64 s[0:1], s[4:5], v[7:8]
	v_mov_b32_e32 v53, 0
	s_and_saveexec_b64 s[16:17], s[0:1]
	s_cbranch_execz .LBB243_627
; %bb.622:                              ;   in Loop: Header=BB243_328 Depth=1
	v_lshrrev_b32_e32 v1, 24, v8
	v_cmp_ne_u32_e64 s[0:1], s28, v1
	v_bfrev_b32_e32 v53, 1
	s_and_saveexec_b64 s[18:19], s[0:1]
	s_cbranch_execz .LBB243_626
; %bb.623:                              ;   in Loop: Header=BB243_328 Depth=1
	v_and_b32_e32 v7, 0x7f, v1
	v_cmp_ne_u32_e64 s[0:1], s29, v7
	v_mov_b32_e32 v53, 0x7c010000
	s_and_saveexec_b64 s[20:21], s[0:1]
	s_cbranch_execz .LBB243_625
; %bb.624:                              ;   in Loop: Header=BB243_328 Depth=1
	v_and_b32_e32 v8, 7, v1
	v_ffbh_u32_e32 v53, v8
	v_min_u32_e32 v56, 32, v53
	v_subrev_u32_e32 v53, 28, v56
	v_lshlrev_b64 v[53:54], v53, v[1:2]
	v_lshrrev_b32_e32 v55, 3, v7
	v_sub_u32_e32 v54, 29, v56
	v_cmp_gt_u32_e64 s[0:1], 8, v7
	v_cndmask_b32_e64 v7, v55, v54, s[0:1]
	v_lshlrev_b32_e32 v1, 8, v1
	v_lshl_add_u32 v7, v7, 10, v25
	v_and_b32_e32 v53, 7, v53
	v_and_or_b32 v1, v1, s30, v7
	v_cndmask_b32_e64 v8, v8, v53, s[0:1]
	v_lshlrev_b32_e32 v1, 16, v1
	v_lshl_or_b32 v53, v8, 23, v1
.LBB243_625:                            ;   in Loop: Header=BB243_328 Depth=1
	s_or_b64 exec, exec, s[20:21]
.LBB243_626:                            ;   in Loop: Header=BB243_328 Depth=1
	s_or_b64 exec, exec, s[18:19]
.LBB243_627:                            ;   in Loop: Header=BB243_328 Depth=1
	s_or_b64 exec, exec, s[16:17]
	s_waitcnt vmcnt(0)
	v_fma_mixlo_f16 v7, v46, v49, 0 op_sel:[0,1,0] op_sel_hi:[0,1,0]
	v_fma_mixlo_f16 v8, v46, v47, 0 op_sel:[0,1,0] op_sel_hi:[0,1,0]
	v_or_b32_e32 v1, v49, v50
	v_lshlrev_b32_e32 v49, 16, v7
	v_or_b32_e32 v7, v47, v48
	v_lshlrev_b32_e32 v48, 16, v8
	v_or_b32_e32 v8, v0, v52
	v_fma_mixlo_f16 v0, v46, v0, 0 op_sel:[0,1,0] op_sel_hi:[0,1,0]
	v_lshlrev_b32_e32 v47, 16, v0
	v_fma_mixlo_f16 v0, v46, v8, 0 op_sel_hi:[0,1,0]
	v_or_b32_e32 v8, v53, v51
	v_fma_mixlo_f16 v1, v46, v1, 0 op_sel_hi:[0,1,0]
	v_fma_mixlo_f16 v7, v46, v7, 0 op_sel_hi:[0,1,0]
	;; [unrolled: 1-line block ×3, first 2 shown]
	v_fma_mixlo_f16 v46, v46, v53, 0 op_sel:[0,1,0] op_sel_hi:[0,1,0]
	v_and_b32_e32 v50, 0xffff, v1
	v_and_b32_e32 v54, 0xffff, v7
	;; [unrolled: 1-line block ×3, first 2 shown]
	v_lshlrev_b32_e32 v46, 16, v46
	v_and_b32_e32 v51, 0xffff, v8
	v_or_b32_e32 v1, v49, v50
	v_or_b32_e32 v7, v48, v54
	;; [unrolled: 1-line block ×4, first 2 shown]
	s_and_saveexec_b64 s[0:1], vcc
	s_cbranch_execz .LBB243_326
; %bb.628:                              ;   in Loop: Header=BB243_328 Depth=1
	v_cmp_gt_i32_e32 vcc, s33, v26
	v_cndmask_b32_e32 v0, 0, v54, vcc
	v_cmp_gt_i32_e32 vcc, s33, v33
	v_cndmask_b32_e32 v1, 0, v48, vcc
	v_cmp_gt_i32_e32 vcc, s33, v32
	v_or_b32_e32 v7, v1, v0
	v_cndmask_b32_e32 v0, 0, v50, vcc
	v_cmp_gt_i32_e32 vcc, s33, v31
	v_cndmask_b32_e32 v1, 0, v49, vcc
	v_cmp_gt_i32_e32 vcc, s33, v30
	v_or_b32_e32 v1, v1, v0
	;; [unrolled: 5-line block ×3, first 2 shown]
	v_cndmask_b32_e32 v8, 0, v51, vcc
	v_cmp_gt_i32_e32 vcc, s33, v27
	v_cndmask_b32_e32 v26, 0, v46, vcc
	v_or_b32_e32 v8, v26, v8
	s_branch .LBB243_326
.LBB243_629:
	s_or_b64 exec, exec, s[6:7]
	v_mov_b32_e32 v22, v58
.LBB243_630:
	s_or_b64 exec, exec, s[2:3]
	ds_bpermute_b32 v0, v14, v21
	ds_bpermute_b32 v2, v14, v19
	;; [unrolled: 1-line block ×5, first 2 shown]
	s_waitcnt lgkmcnt(4)
	v_add_f32_e32 v5, v21, v0
	ds_bpermute_b32 v0, v14, v16
	s_waitcnt lgkmcnt(4)
	v_add_f32_e32 v4, v19, v2
	s_waitcnt lgkmcnt(3)
	v_add_f32_e32 v2, v17, v7
	v_and_b32_e32 v7, 0x3c1, v22
	s_waitcnt lgkmcnt(2)
	v_add_f32_e32 v6, v20, v1
	s_waitcnt lgkmcnt(1)
	v_add_f32_e32 v3, v18, v3
	;; [unrolled: 2-line block ×3, first 2 shown]
	v_cmp_eq_u32_e32 vcc, 64, v7
	s_barrier
	s_and_saveexec_b64 s[0:1], vcc
	s_cbranch_execz .LBB243_632
; %bb.631:
	v_mov_b32_e32 v0, 0x190
	v_lshl_add_u32 v0, v13, 1, v0
	ds_write2_b32 v0, v5, v6 offset1:32
	ds_write2_b32 v0, v4, v3 offset0:64 offset1:96
	ds_write2_b32 v0, v2, v1 offset0:128 offset1:160
.LBB243_632:
	s_or_b64 exec, exec, s[0:1]
	v_cmp_gt_u32_e32 vcc, 64, v22
	v_lshrrev_b32_e32 v0, 1, v22
	s_waitcnt lgkmcnt(0)
	s_barrier
	s_and_saveexec_b64 s[0:1], vcc
	s_cbranch_execz .LBB243_641
; %bb.633:
	v_mov_b32_e32 v8, 0x190
	v_cmp_eq_u32_e32 vcc, 0, v15
	v_lshl_add_u32 v8, v0, 2, v8
	s_and_saveexec_b64 s[2:3], vcc
	s_cbranch_execnz .LBB243_644
; %bb.634:
	s_or_b64 exec, exec, s[2:3]
	s_and_saveexec_b64 s[2:3], vcc
	s_cbranch_execnz .LBB243_645
.LBB243_635:
	s_or_b64 exec, exec, s[2:3]
	s_and_saveexec_b64 s[2:3], vcc
	s_cbranch_execnz .LBB243_646
.LBB243_636:
	s_or_b64 exec, exec, s[2:3]
	s_and_saveexec_b64 s[2:3], vcc
	s_cbranch_execnz .LBB243_647
.LBB243_637:
	s_or_b64 exec, exec, s[2:3]
	s_and_saveexec_b64 s[2:3], vcc
	s_cbranch_execnz .LBB243_648
.LBB243_638:
	s_or_b64 exec, exec, s[2:3]
	s_and_saveexec_b64 s[2:3], vcc
	s_cbranch_execz .LBB243_640
.LBB243_639:
	ds_read_b32 v8, v8 offset:640
	s_waitcnt lgkmcnt(0)
	v_add_f32_e32 v1, v1, v8
.LBB243_640:
	s_or_b64 exec, exec, s[2:3]
.LBB243_641:
	s_or_b64 exec, exec, s[0:1]
	v_cmp_eq_u32_e32 vcc, 0, v7
	s_barrier
	s_and_saveexec_b64 s[0:1], vcc
	s_cbranch_execz .LBB243_643
; %bb.642:
	s_mul_i32 s0, s10, s11
	s_mul_i32 s0, s0, s9
	s_mulk_i32 s0, 0xc0
	s_ashr_i32 s1, s0, 31
	s_lshl_b64 s[0:1], s[0:1], 1
	s_add_u32 s2, s26, s0
	s_mul_i32 s0, s11, s24
	s_addc_u32 s3, s27, s1
	s_ashr_i32 s1, s0, 31
	s_lshl_b64 s[0:1], s[0:1], 1
	s_add_u32 s2, s2, s0
	s_mul_i32 s0, s8, 0xc0
	s_addc_u32 s3, s3, s1
	s_ashr_i32 s1, s0, 31
	s_lshl_b64 s[0:1], s[0:1], 1
	s_add_u32 s0, s2, s0
	s_addc_u32 s1, s3, s1
	v_lshlrev_b32_e32 v0, 1, v0
	;;#ASMSTART
	v_cvt_f16_f32 v5, v5;

	;;#ASMEND
	global_store_short v0, v5, s[0:1]
	;;#ASMSTART
	v_cvt_f16_f32 v5, v6;

	;;#ASMEND
	global_store_short v0, v5, s[0:1] offset:64
	;;#ASMSTART
	v_cvt_f16_f32 v4, v4;

	;;#ASMEND
	global_store_short v0, v4, s[0:1] offset:128
	;; [unrolled: 5-line block ×5, first 2 shown]
.LBB243_643:
	s_endpgm
.LBB243_644:
	ds_read_b32 v9, v8
	s_waitcnt lgkmcnt(0)
	v_add_f32_e32 v5, v5, v9
	s_or_b64 exec, exec, s[2:3]
	s_and_saveexec_b64 s[2:3], vcc
	s_cbranch_execz .LBB243_635
.LBB243_645:
	ds_read_b32 v9, v8 offset:128
	s_waitcnt lgkmcnt(0)
	v_add_f32_e32 v6, v6, v9
	s_or_b64 exec, exec, s[2:3]
	s_and_saveexec_b64 s[2:3], vcc
	s_cbranch_execz .LBB243_636
.LBB243_646:
	ds_read_b32 v9, v8 offset:256
	s_waitcnt lgkmcnt(0)
	v_add_f32_e32 v4, v4, v9
	s_or_b64 exec, exec, s[2:3]
	s_and_saveexec_b64 s[2:3], vcc
	s_cbranch_execz .LBB243_637
.LBB243_647:
	ds_read_b32 v9, v8 offset:384
	s_waitcnt lgkmcnt(0)
	v_add_f32_e32 v3, v3, v9
	s_or_b64 exec, exec, s[2:3]
	s_and_saveexec_b64 s[2:3], vcc
	s_cbranch_execz .LBB243_638
.LBB243_648:
	ds_read_b32 v9, v8 offset:512
	s_waitcnt lgkmcnt(0)
	v_add_f32_e32 v2, v2, v9
	s_or_b64 exec, exec, s[2:3]
	s_and_saveexec_b64 s[2:3], vcc
	s_cbranch_execnz .LBB243_639
	s_branch .LBB243_640
	.section	.rodata,"a",@progbits
	.p2align	6, 0x0
	.amdhsa_kernel _ZN4vllm25paged_attention_v1_kernelIthLi192ELi16ELi128ELNS_18Fp8KVCacheDataTypeE1ELb1EEEvPT_PKS2_PKT0_S8_ifPKiSA_iPKfiiiSC_SC_iiiii
		.amdhsa_group_segment_fixed_size 400
		.amdhsa_private_segment_fixed_size 40
		.amdhsa_kernarg_size 384
		.amdhsa_user_sgpr_count 6
		.amdhsa_user_sgpr_private_segment_buffer 1
		.amdhsa_user_sgpr_dispatch_ptr 0
		.amdhsa_user_sgpr_queue_ptr 0
		.amdhsa_user_sgpr_kernarg_segment_ptr 1
		.amdhsa_user_sgpr_dispatch_id 0
		.amdhsa_user_sgpr_flat_scratch_init 0
		.amdhsa_user_sgpr_private_segment_size 0
		.amdhsa_uses_dynamic_stack 0
		.amdhsa_system_sgpr_private_segment_wavefront_offset 1
		.amdhsa_system_sgpr_workgroup_id_x 1
		.amdhsa_system_sgpr_workgroup_id_y 1
		.amdhsa_system_sgpr_workgroup_id_z 1
		.amdhsa_system_sgpr_workgroup_info 0
		.amdhsa_system_vgpr_workitem_id 0
		.amdhsa_next_free_vgpr 64
		.amdhsa_next_free_sgpr 60
		.amdhsa_reserve_vcc 1
		.amdhsa_reserve_flat_scratch 0
		.amdhsa_float_round_mode_32 0
		.amdhsa_float_round_mode_16_64 0
		.amdhsa_float_denorm_mode_32 3
		.amdhsa_float_denorm_mode_16_64 3
		.amdhsa_dx10_clamp 1
		.amdhsa_ieee_mode 1
		.amdhsa_fp16_overflow 0
		.amdhsa_exception_fp_ieee_invalid_op 0
		.amdhsa_exception_fp_denorm_src 0
		.amdhsa_exception_fp_ieee_div_zero 0
		.amdhsa_exception_fp_ieee_overflow 0
		.amdhsa_exception_fp_ieee_underflow 0
		.amdhsa_exception_fp_ieee_inexact 0
		.amdhsa_exception_int_div_zero 0
	.end_amdhsa_kernel
	.section	.text._ZN4vllm25paged_attention_v1_kernelIthLi192ELi16ELi128ELNS_18Fp8KVCacheDataTypeE1ELb1EEEvPT_PKS2_PKT0_S8_ifPKiSA_iPKfiiiSC_SC_iiiii,"axG",@progbits,_ZN4vllm25paged_attention_v1_kernelIthLi192ELi16ELi128ELNS_18Fp8KVCacheDataTypeE1ELb1EEEvPT_PKS2_PKT0_S8_ifPKiSA_iPKfiiiSC_SC_iiiii,comdat
.Lfunc_end243:
	.size	_ZN4vllm25paged_attention_v1_kernelIthLi192ELi16ELi128ELNS_18Fp8KVCacheDataTypeE1ELb1EEEvPT_PKS2_PKT0_S8_ifPKiSA_iPKfiiiSC_SC_iiiii, .Lfunc_end243-_ZN4vllm25paged_attention_v1_kernelIthLi192ELi16ELi128ELNS_18Fp8KVCacheDataTypeE1ELb1EEEvPT_PKS2_PKT0_S8_ifPKiSA_iPKfiiiSC_SC_iiiii
                                        ; -- End function
	.set _ZN4vllm25paged_attention_v1_kernelIthLi192ELi16ELi128ELNS_18Fp8KVCacheDataTypeE1ELb1EEEvPT_PKS2_PKT0_S8_ifPKiSA_iPKfiiiSC_SC_iiiii.num_vgpr, 64
	.set _ZN4vllm25paged_attention_v1_kernelIthLi192ELi16ELi128ELNS_18Fp8KVCacheDataTypeE1ELb1EEEvPT_PKS2_PKT0_S8_ifPKiSA_iPKfiiiSC_SC_iiiii.num_agpr, 0
	.set _ZN4vllm25paged_attention_v1_kernelIthLi192ELi16ELi128ELNS_18Fp8KVCacheDataTypeE1ELb1EEEvPT_PKS2_PKT0_S8_ifPKiSA_iPKfiiiSC_SC_iiiii.numbered_sgpr, 60
	.set _ZN4vllm25paged_attention_v1_kernelIthLi192ELi16ELi128ELNS_18Fp8KVCacheDataTypeE1ELb1EEEvPT_PKS2_PKT0_S8_ifPKiSA_iPKfiiiSC_SC_iiiii.num_named_barrier, 0
	.set _ZN4vllm25paged_attention_v1_kernelIthLi192ELi16ELi128ELNS_18Fp8KVCacheDataTypeE1ELb1EEEvPT_PKS2_PKT0_S8_ifPKiSA_iPKfiiiSC_SC_iiiii.private_seg_size, 40
	.set _ZN4vllm25paged_attention_v1_kernelIthLi192ELi16ELi128ELNS_18Fp8KVCacheDataTypeE1ELb1EEEvPT_PKS2_PKT0_S8_ifPKiSA_iPKfiiiSC_SC_iiiii.uses_vcc, 1
	.set _ZN4vllm25paged_attention_v1_kernelIthLi192ELi16ELi128ELNS_18Fp8KVCacheDataTypeE1ELb1EEEvPT_PKS2_PKT0_S8_ifPKiSA_iPKfiiiSC_SC_iiiii.uses_flat_scratch, 0
	.set _ZN4vllm25paged_attention_v1_kernelIthLi192ELi16ELi128ELNS_18Fp8KVCacheDataTypeE1ELb1EEEvPT_PKS2_PKT0_S8_ifPKiSA_iPKfiiiSC_SC_iiiii.has_dyn_sized_stack, 0
	.set _ZN4vllm25paged_attention_v1_kernelIthLi192ELi16ELi128ELNS_18Fp8KVCacheDataTypeE1ELb1EEEvPT_PKS2_PKT0_S8_ifPKiSA_iPKfiiiSC_SC_iiiii.has_recursion, 0
	.set _ZN4vllm25paged_attention_v1_kernelIthLi192ELi16ELi128ELNS_18Fp8KVCacheDataTypeE1ELb1EEEvPT_PKS2_PKT0_S8_ifPKiSA_iPKfiiiSC_SC_iiiii.has_indirect_call, 0
	.section	.AMDGPU.csdata,"",@progbits
; Kernel info:
; codeLenInByte = 26636
; TotalNumSgprs: 64
; NumVgprs: 64
; ScratchSize: 40
; MemoryBound: 0
; FloatMode: 240
; IeeeMode: 1
; LDSByteSize: 400 bytes/workgroup (compile time only)
; SGPRBlocks: 7
; VGPRBlocks: 15
; NumSGPRsForWavesPerEU: 64
; NumVGPRsForWavesPerEU: 64
; Occupancy: 4
; WaveLimiterHint : 1
; COMPUTE_PGM_RSRC2:SCRATCH_EN: 1
; COMPUTE_PGM_RSRC2:USER_SGPR: 6
; COMPUTE_PGM_RSRC2:TRAP_HANDLER: 0
; COMPUTE_PGM_RSRC2:TGID_X_EN: 1
; COMPUTE_PGM_RSRC2:TGID_Y_EN: 1
; COMPUTE_PGM_RSRC2:TGID_Z_EN: 1
; COMPUTE_PGM_RSRC2:TIDIG_COMP_CNT: 0
	.section	.text._ZN4vllm25paged_attention_v1_kernelIthLi256ELi16ELi128ELNS_18Fp8KVCacheDataTypeE1ELb1EEEvPT_PKS2_PKT0_S8_ifPKiSA_iPKfiiiSC_SC_iiiii,"axG",@progbits,_ZN4vllm25paged_attention_v1_kernelIthLi256ELi16ELi128ELNS_18Fp8KVCacheDataTypeE1ELb1EEEvPT_PKS2_PKT0_S8_ifPKiSA_iPKfiiiSC_SC_iiiii,comdat
	.protected	_ZN4vllm25paged_attention_v1_kernelIthLi256ELi16ELi128ELNS_18Fp8KVCacheDataTypeE1ELb1EEEvPT_PKS2_PKT0_S8_ifPKiSA_iPKfiiiSC_SC_iiiii ; -- Begin function _ZN4vllm25paged_attention_v1_kernelIthLi256ELi16ELi128ELNS_18Fp8KVCacheDataTypeE1ELb1EEEvPT_PKS2_PKT0_S8_ifPKiSA_iPKfiiiSC_SC_iiiii
	.globl	_ZN4vllm25paged_attention_v1_kernelIthLi256ELi16ELi128ELNS_18Fp8KVCacheDataTypeE1ELb1EEEvPT_PKS2_PKT0_S8_ifPKiSA_iPKfiiiSC_SC_iiiii
	.p2align	8
	.type	_ZN4vllm25paged_attention_v1_kernelIthLi256ELi16ELi128ELNS_18Fp8KVCacheDataTypeE1ELb1EEEvPT_PKS2_PKT0_S8_ifPKiSA_iPKfiiiSC_SC_iiiii,@function
_ZN4vllm25paged_attention_v1_kernelIthLi256ELi16ELi128ELNS_18Fp8KVCacheDataTypeE1ELb1EEEvPT_PKS2_PKT0_S8_ifPKiSA_iPKfiiiSC_SC_iiiii: ; @_ZN4vllm25paged_attention_v1_kernelIthLi256ELi16ELi128ELNS_18Fp8KVCacheDataTypeE1ELb1EEEvPT_PKS2_PKT0_S8_ifPKiSA_iPKfiiiSC_SC_iiiii
; %bb.0:
	s_mov_b64 s[58:59], s[2:3]
	s_mov_b64 s[56:57], s[0:1]
	s_add_u32 s56, s56, s9
	s_load_dword s9, s[4:5], 0x80
	s_load_dwordx2 s[0:1], s[4:5], 0x30
	s_load_dwordx2 s[36:37], s[4:5], 0x20
	s_addc_u32 s57, s57, 0
	s_mov_b32 s10, s7
	s_ashr_i32 s11, s7, 31
	s_lshl_b64 s[2:3], s[10:11], 2
	s_waitcnt lgkmcnt(0)
	s_add_u32 s0, s0, s2
	s_addc_u32 s1, s1, s3
	s_abs_i32 s2, s36
	v_mov_b32_e32 v15, v0
	v_cvt_f32_u32_e32 v0, s2
	s_sub_i32 s11, 0, s2
	s_abs_i32 s7, s9
	s_xor_b32 s3, s9, s36
	v_rcp_iflag_f32_e32 v0, v0
	s_ashr_i32 s3, s3, 31
	s_mov_b32 s48, 0
	v_mul_f32_e32 v0, 0x4f7ffffe, v0
	v_cvt_u32_f32_e32 v0, v0
	v_readfirstlane_b32 s12, v0
	s_mul_i32 s11, s11, s12
	s_mul_hi_u32 s11, s12, s11
	s_add_i32 s12, s12, s11
	s_mul_hi_u32 s11, s7, s12
	s_mul_i32 s12, s11, s2
	s_sub_i32 s7, s7, s12
	s_add_i32 s12, s11, 1
	s_sub_i32 s13, s7, s2
	s_cmp_ge_u32 s7, s2
	s_cselect_b32 s11, s12, s11
	s_cselect_b32 s7, s13, s7
	s_add_i32 s12, s11, 1
	s_cmp_ge_u32 s7, s2
	s_cselect_b32 s2, s12, s11
	s_xor_b32 s2, s2, s3
	s_sub_i32 s14, s2, s3
	s_abs_i32 s11, s14
	v_cvt_f32_u32_e32 v0, s11
	s_load_dwordx2 s[2:3], s[4:5], 0x40
	s_sub_i32 s7, 0, s11
	s_abs_i32 s12, s6
	v_rcp_iflag_f32_e32 v0, v0
	v_mul_f32_e32 v0, 0x4f7ffffe, v0
	v_cvt_u32_f32_e32 v0, v0
	v_readfirstlane_b32 s13, v0
	s_mul_i32 s7, s7, s13
	s_mul_hi_u32 s7, s13, s7
	s_add_i32 s13, s13, s7
	s_waitcnt lgkmcnt(0)
	s_cmp_eq_u64 s[2:3], 0
	s_mul_hi_u32 s13, s12, s13
	s_cbranch_scc1 .LBB244_2
; %bb.1:
	s_ashr_i32 s7, s6, 31
	s_lshl_b64 s[16:17], s[6:7], 2
	s_add_u32 s2, s2, s16
	s_addc_u32 s3, s3, s17
	s_load_dword s48, s[2:3], 0x0
.LBB244_2:
	s_load_dword s33, s[0:1], 0x0
	s_load_dwordx4 s[16:19], s[4:5], 0x48
	s_movk_i32 s0, 0x80
	s_ashr_i32 s2, s6, 31
	s_ashr_i32 s7, s14, 31
	v_and_b32_e32 v0, 3, v15
	s_lshl_b32 s24, s6, 8
	v_cmp_gt_u32_e32 vcc, s0, v15
	s_and_saveexec_b64 s[0:1], vcc
	s_cbranch_execz .LBB244_4
; %bb.3:
	s_load_dwordx2 s[14:15], s[4:5], 0x8
	s_waitcnt lgkmcnt(0)
	s_mul_i32 s20, s16, s10
	s_ashr_i32 s21, s20, 31
	s_lshl_b64 s[20:21], s[20:21], 1
	v_lshlrev_b32_e32 v1, 2, v15
	s_add_u32 s3, s14, s20
	s_addc_u32 s16, s15, s21
	s_ashr_i32 s25, s24, 31
	s_lshl_b64 s[14:15], s[24:25], 1
	s_add_u32 s14, s3, s14
	s_addc_u32 s15, s16, s15
	global_load_dword v1, v1, s[14:15]
	v_and_b32_e32 v2, 0x3fc, v15
	v_lshl_add_u32 v2, v0, 7, v2
	s_waitcnt vmcnt(0)
	ds_write_b32 v2, v1
.LBB244_4:
	s_or_b64 exec, exec, s[0:1]
	s_mul_i32 s1, s13, s11
	s_sub_i32 s1, s12, s1
	s_xor_b32 s0, s2, s7
	s_add_i32 s2, s13, 1
	s_sub_i32 s7, s1, s11
	s_load_dwordx4 s[20:23], s[4:5], 0x68
	s_load_dword s3, s[4:5], 0x78
	s_cmp_ge_u32 s1, s11
	s_cselect_b32 s2, s2, s13
	s_cselect_b32 s1, s7, s1
	s_add_i32 s7, s2, 1
	s_cmp_ge_u32 s1, s11
	s_cselect_b32 s1, s7, s2
	s_waitcnt lgkmcnt(0)
	s_abs_i32 s25, s23
	v_cvt_f32_u32_e32 v1, s25
	s_xor_b32 s1, s1, s0
	s_sub_i32 s2, s1, s0
	s_sub_i32 s0, 0, s25
	v_rcp_iflag_f32_e32 v1, v1
	s_add_i32 s11, s33, -1
	s_abs_i32 s7, s11
	v_mul_f32_e32 v1, 0x4f7ffffe, v1
	v_cvt_u32_f32_e32 v1, v1
	s_barrier
	v_readfirstlane_b32 s46, v1
	s_mul_i32 s0, s0, s46
	s_mul_hi_u32 s0, s46, s0
	s_add_i32 s46, s46, s0
	s_cmp_lt_i32 s3, 0
	s_mul_hi_u32 s16, s7, s46
	s_cbranch_scc0 .LBB244_6
; %bb.5:
	s_mul_i32 s0, s20, s36
	s_add_i32 s0, s2, s0
	s_mul_i32 s0, s0, s3
	s_sub_i32 s36, 1, s0
	s_mov_b64 s[0:1], 0
	s_branch .LBB244_7
.LBB244_6:
	s_mov_b64 s[0:1], -1
                                        ; implicit-def: $sgpr36
.LBB244_7:
	s_load_dwordx2 s[28:29], s[4:5], 0x28
	s_ashr_i32 s19, s11, 31
	s_andn2_b64 vcc, exec, s[0:1]
	s_ashr_i32 s23, s23, 31
	s_cbranch_vccnz .LBB244_9
; %bb.8:
	s_mul_i32 s0, s9, s20
	s_add_i32 s0, s0, s6
	s_mul_i32 s0, s0, s3
	s_add_i32 s36, s0, 1
.LBB244_9:
	s_load_dword s0, s[4:5], 0x38
	s_load_dwordx2 s[26:27], s[4:5], 0x0
	s_load_dwordx2 s[34:35], s[4:5], 0x18
	s_load_dword s11, s[4:5], 0x88
	s_load_dwordx4 s[12:15], s[4:5], 0x58
	s_mul_i32 s1, s16, s25
	s_waitcnt lgkmcnt(0)
	s_mul_i32 s30, s0, s10
	s_sub_i32 s1, s7, s1
	s_ashr_i32 s31, s30, 31
	s_xor_b32 s0, s19, s23
	s_add_i32 s3, s16, 1
	s_sub_i32 s6, s1, s25
	s_cmp_ge_u32 s1, s25
	s_cselect_b32 s3, s3, s16
	s_cselect_b32 s1, s6, s1
	s_add_i32 s6, s3, 1
	s_cmp_ge_u32 s1, s25
	s_cselect_b32 s1, s6, s3
	s_xor_b32 s1, s1, s0
	s_sub_i32 s16, s1, s0
	s_add_i32 s0, s33, 15
	s_ashr_i32 s1, s0, 31
	s_lshr_b32 s1, s1, 28
	s_add_i32 s0, s0, s1
	s_ashr_i32 s47, s0, 4
	v_lshrrev_b32_e32 v1, 6, v15
	v_cmp_gt_i32_e64 s[0:1], s47, v1
	v_mov_b32_e32 v4, 0xff7fffff
	s_mul_i32 s20, s2, s18
	v_lshrrev_b32_e32 v26, 4, v15
	buffer_store_dword v1, off, s[56:59], 0 ; 4-byte Folded Spill
	v_lshlrev_b32_e32 v1, 4, v1
	v_mbcnt_lo_u32_b32 v2, -1, 0
	buffer_store_dword v1, off, s[56:59], 0 offset:140 ; 4-byte Folded Spill
	s_mov_b64 s[18:19], exec
	s_and_b64 s[2:3], s[18:19], s[0:1]
	buffer_store_dword v15, off, s[56:59], 0 offset:136 ; 4-byte Folded Spill
	s_mov_b64 exec, s[2:3]
	s_cbranch_execz .LBB244_405
; %bb.10:
	s_load_dwordx2 s[2:3], s[4:5], 0x10
	s_sub_i32 s49, s16, s21
	s_ashr_i32 s4, s20, 31
	v_cmp_eq_u32_e32 vcc, 0, v0
	v_lshlrev_b32_e32 v3, 1, v0
	s_waitcnt lgkmcnt(0)
	s_add_u32 s5, s2, s20
	s_addc_u32 s4, s3, s4
	s_abs_i32 s50, s22
	v_cvt_f32_u32_e32 v1, s50
	s_sub_i32 s2, 0, s50
	v_lshlrev_b32_e32 v14, 7, v0
	v_bfe_u32 v8, v15, 2, 4
	v_rcp_iflag_f32_e32 v1, v1
	v_lshlrev_b32_e32 v4, 4, v8
	v_mov_b32_e32 v5, s4
	v_add_co_u32_e64 v4, s[4:5], s5, v4
	v_mul_f32_e32 v1, 0x4f7ffffe, v1
	v_cvt_u32_f32_e32 v1, v1
	v_addc_co_u32_e64 v5, s[4:5], 0, v5, s[4:5]
	v_mov_b32_e32 v7, v2
	v_mul_lo_u32 v0, s2, v1
	s_mov_b32 s51, s17
	v_mov_b32_e32 v2, 0
	v_cmp_neq_f32_e64 s[2:3], s48, 0
	v_mul_hi_u32 v0, v1, v0
	s_mov_b64 s[38:39], 0
	s_movk_i32 s52, 0x80
	s_movk_i32 s53, 0x7f
	v_add_u32_e32 v0, v1, v0
	buffer_store_dword v0, off, s[56:59], 0 offset:64 ; 4-byte Folded Spill
	v_add_co_u32_e64 v0, s[4:5], v4, v3
	v_addc_co_u32_e64 v1, s[4:5], 0, v5, s[4:5]
	buffer_store_dword v0, off, s[56:59], 0 offset:116 ; 4-byte Folded Spill
	s_nop 0
	buffer_store_dword v1, off, s[56:59], 0 offset:120 ; 4-byte Folded Spill
	buffer_store_dword v26, off, s[56:59], 0 offset:144 ; 4-byte Folded Spill
	buffer_load_dword v22, off, s[56:59], 0 ; 4-byte Folded Reload
	s_lshl_b64 s[4:5], s[30:31], 2
	s_add_u32 s4, s28, s4
	v_and_b32_e32 v0, 60, v26
	s_addc_u32 s5, s29, s5
	v_mov_b32_e32 v1, s5
	v_add_co_u32_e64 v5, s[4:5], s4, v0
	v_subrev_u32_e32 v0, s33, v8
	v_add_u32_e32 v0, 1, v0
	buffer_store_dword v0, off, s[56:59], 0 offset:132 ; 4-byte Folded Spill
	buffer_store_dword v8, off, s[56:59], 0 offset:128 ; 4-byte Folded Spill
	v_lshlrev_b32_e32 v0, 2, v8
	v_addc_co_u32_e64 v6, s[4:5], 0, v1, s[4:5]
	s_mov_b32 s54, 0x8000
	s_waitcnt vmcnt(2)
	v_lshl_or_b32 v0, v22, 6, v0
	v_add_u32_e32 v52, 0x210, v0
	v_mbcnt_hi_u32_b32 v0, -1, v7
	v_lshlrev_b32_e32 v17, 4, v22
	buffer_store_dword v0, off, s[56:59], 0 offset:124 ; 4-byte Folded Spill
	v_mov_b32_e32 v0, 0xff7fffff
	buffer_store_dword v0, off, s[56:59], 0 offset:112 ; 4-byte Folded Spill
	s_branch .LBB244_13
.LBB244_11:                             ;   in Loop: Header=BB244_13 Depth=1
	s_or_b64 exec, exec, s[40:41]
.LBB244_12:                             ;   in Loop: Header=BB244_13 Depth=1
	s_or_b64 exec, exec, s[6:7]
	v_add_co_u32_e64 v5, s[4:5], 8, v5
	v_add_u32_e32 v22, 2, v22
	v_addc_co_u32_e64 v6, s[4:5], 0, v6, s[4:5]
	v_cmp_le_i32_e64 s[4:5], s47, v22
	v_add_u32_e32 v17, 32, v17
	s_or_b64 s[38:39], s[4:5], s[38:39]
	v_add_u32_e32 v52, 0x80, v52
	s_andn2_b64 exec, exec, s[38:39]
	s_cbranch_execz .LBB244_404
.LBB244_13:                             ; =>This Inner Loop Header: Depth=1
	buffer_load_dword v4, off, s[56:59], 0 offset:64 ; 4-byte Folded Reload
	v_mul_hi_u32 v0, v17, s46
	s_waitcnt lgkmcnt(0)
	v_mul_lo_u32 v1, v0, s25
	v_add_u32_e32 v3, 1, v0
	v_sub_u32_e32 v1, v17, v1
	v_cmp_le_u32_e64 s[4:5], s25, v1
	v_cndmask_b32_e64 v0, v0, v3, s[4:5]
	v_subrev_u32_e32 v3, s25, v1
	v_cndmask_b32_e64 v1, v1, v3, s[4:5]
	v_add_u32_e32 v3, 1, v0
	v_cmp_le_u32_e64 s[4:5], s25, v1
	v_cndmask_b32_e64 v0, v0, v3, s[4:5]
	v_xor_b32_e32 v0, s23, v0
	v_subrev_u32_e32 v0, s23, v0
	v_add_u32_e32 v1, s36, v0
	v_sub_u32_e32 v3, 0, v1
	v_max_i32_e32 v3, v1, v3
	v_ashrrev_i32_e32 v1, 31, v1
	v_cmp_ge_i32_e64 s[6:7], s49, v0
	s_waitcnt vmcnt(0)
	v_mul_hi_u32 v4, v3, v4
	v_mul_lo_u32 v4, v4, s50
	v_sub_u32_e32 v3, v3, v4
	v_subrev_u32_e32 v4, s50, v3
	v_cmp_le_u32_e64 s[4:5], s50, v3
	v_cndmask_b32_e64 v3, v3, v4, s[4:5]
	v_subrev_u32_e32 v4, s50, v3
	v_cmp_le_u32_e64 s[4:5], s50, v3
	v_cndmask_b32_e64 v3, v3, v4, s[4:5]
	v_xor_b32_e32 v3, v3, v1
	v_sub_u32_e32 v1, v3, v1
	v_cmp_ne_u32_e64 s[4:5], 0, v1
	s_and_b64 s[4:5], s[4:5], s[6:7]
	s_and_saveexec_b64 s[6:7], s[4:5]
	s_xor_b64 s[4:5], exec, s[6:7]
	s_cbranch_execz .LBB244_17
; %bb.14:                               ;   in Loop: Header=BB244_13 Depth=1
	s_and_saveexec_b64 s[6:7], vcc
; %bb.15:                               ;   in Loop: Header=BB244_13 Depth=1
	v_mov_b32_e32 v0, 0xff7fffff
	ds_write_b32 v52, v0
; %bb.16:                               ;   in Loop: Header=BB244_13 Depth=1
	s_or_b64 exec, exec, s[6:7]
.LBB244_17:                             ;   in Loop: Header=BB244_13 Depth=1
	s_andn2_saveexec_b64 s[6:7], s[4:5]
	s_cbranch_execz .LBB244_12
; %bb.18:                               ;   in Loop: Header=BB244_13 Depth=1
	global_load_dword v0, v[5:6], off
	buffer_load_dword v3, off, s[56:59], 0 offset:116 ; 4-byte Folded Reload
	buffer_load_dword v4, off, s[56:59], 0 offset:120 ; 4-byte Folded Reload
	v_mov_b32_e32 v35, 0
	global_load_dword v23, v35, s[12:13]
	v_mov_b32_e32 v59, 0
	s_waitcnt vmcnt(1)
	v_mad_i64_i32 v[7:8], s[4:5], v0, s51, v[3:4]
	global_load_ushort v0, v[7:8], off
	s_waitcnt vmcnt(0)
	v_and_b32_e32 v1, 0xffff, v0
	v_cmp_ne_u16_sdwa s[4:5], v0, v2 src0_sel:BYTE_0 src1_sel:DWORD
	s_and_saveexec_b64 s[40:41], s[4:5]
	s_cbranch_execz .LBB244_24
; %bb.19:                               ;   in Loop: Header=BB244_13 Depth=1
	v_cmp_ne_u16_sdwa s[4:5], v1, s52 src0_sel:BYTE_0 src1_sel:DWORD
	v_mov_b32_e32 v59, 0x8000
	s_and_saveexec_b64 s[42:43], s[4:5]
	s_cbranch_execz .LBB244_23
; %bb.20:                               ;   in Loop: Header=BB244_13 Depth=1
	v_and_b32_e32 v0, 0x7f, v1
	v_cmp_ne_u32_e64 s[4:5], s53, v0
	v_mov_b32_e32 v59, 0x7c01
	s_and_saveexec_b64 s[44:45], s[4:5]
	s_cbranch_execz .LBB244_22
; %bb.21:                               ;   in Loop: Header=BB244_13 Depth=1
	v_and_b32_e32 v9, 7, v1
	v_ffbh_u32_e32 v3, v9
	v_min_u32_e32 v11, 32, v3
	v_subrev_u32_e32 v3, 28, v11
	v_lshlrev_b64 v[3:4], v3, v[1:2]
	v_lshrrev_b32_e32 v10, 3, v0
	v_sub_u32_e32 v4, 29, v11
	v_cmp_gt_u32_e64 s[4:5], 8, v0
	v_cndmask_b32_e64 v0, v10, v4, s[4:5]
	v_mov_b32_e32 v10, 0x2000
	v_lshl_add_u32 v0, v0, 10, v10
	v_lshlrev_b32_e32 v4, 8, v1
	v_and_b32_e32 v3, 7, v3
	v_and_b32_e32 v0, 0xfc00, v0
	v_cndmask_b32_e64 v3, v9, v3, s[4:5]
	v_and_or_b32 v0, v4, s54, v0
	v_lshl_or_b32 v59, v3, 7, v0
.LBB244_22:                             ;   in Loop: Header=BB244_13 Depth=1
	s_or_b64 exec, exec, s[44:45]
.LBB244_23:                             ;   in Loop: Header=BB244_13 Depth=1
	s_or_b64 exec, exec, s[42:43]
.LBB244_24:                             ;   in Loop: Header=BB244_13 Depth=1
	s_or_b64 exec, exec, s[40:41]
	v_lshrrev_b16_e32 v1, 8, v1
	v_cmp_ne_u16_e64 s[4:5], 0, v1
	s_and_saveexec_b64 s[40:41], s[4:5]
	s_cbranch_execz .LBB244_30
; %bb.25:                               ;   in Loop: Header=BB244_13 Depth=1
	v_cmp_ne_u16_e64 s[4:5], s52, v1
	v_bfrev_b32_e32 v35, 1
	s_and_saveexec_b64 s[42:43], s[4:5]
	s_cbranch_execz .LBB244_29
; %bb.26:                               ;   in Loop: Header=BB244_13 Depth=1
	v_and_b32_e32 v0, 0x7f, v1
	v_cmp_ne_u32_e64 s[4:5], s53, v0
	v_mov_b32_e32 v35, 0x7c010000
	s_and_saveexec_b64 s[44:45], s[4:5]
	s_cbranch_execz .LBB244_28
; %bb.27:                               ;   in Loop: Header=BB244_13 Depth=1
	v_and_b32_e32 v9, 7, v1
	v_ffbh_u32_e32 v3, v9
	v_min_u32_e32 v11, 32, v3
	v_subrev_u32_e32 v3, 28, v11
	v_lshlrev_b64 v[3:4], v3, v[1:2]
	v_lshrrev_b32_e32 v10, 3, v0
	v_sub_u32_e32 v4, 29, v11
	v_cmp_gt_u32_e64 s[4:5], 8, v0
	v_cndmask_b32_e64 v0, v10, v4, s[4:5]
	v_mov_b32_e32 v4, 0x2000
	v_lshlrev_b32_e32 v1, 8, v1
	v_lshl_add_u32 v0, v0, 10, v4
	v_and_b32_e32 v3, 7, v3
	v_and_or_b32 v0, v1, s54, v0
	v_cndmask_b32_e64 v3, v9, v3, s[4:5]
	v_lshlrev_b32_e32 v0, 16, v0
	v_lshl_or_b32 v35, v3, 23, v0
.LBB244_28:                             ;   in Loop: Header=BB244_13 Depth=1
	s_or_b64 exec, exec, s[44:45]
.LBB244_29:                             ;   in Loop: Header=BB244_13 Depth=1
	s_or_b64 exec, exec, s[42:43]
.LBB244_30:                             ;   in Loop: Header=BB244_13 Depth=1
	s_or_b64 exec, exec, s[40:41]
	global_load_ushort v0, v[7:8], off offset:8
	v_mov_b32_e32 v1, 0
	buffer_store_dword v1, off, s[56:59], 0 offset:4 ; 4-byte Folded Spill
	s_waitcnt vmcnt(1)
	v_and_b32_e32 v1, 0xffff, v0
	v_cmp_ne_u16_sdwa s[4:5], v0, v2 src0_sel:BYTE_0 src1_sel:DWORD
	v_mov_b32_e32 v0, 0
	buffer_store_dword v0, off, s[56:59], 0 offset:8 ; 4-byte Folded Spill
	s_and_saveexec_b64 s[40:41], s[4:5]
	s_cbranch_execz .LBB244_36
; %bb.31:                               ;   in Loop: Header=BB244_13 Depth=1
	v_cmp_ne_u16_sdwa s[4:5], v1, s52 src0_sel:BYTE_0 src1_sel:DWORD
	v_mov_b32_e32 v0, 0x8000
	buffer_store_dword v0, off, s[56:59], 0 offset:8 ; 4-byte Folded Spill
	s_and_saveexec_b64 s[42:43], s[4:5]
	s_cbranch_execz .LBB244_35
; %bb.32:                               ;   in Loop: Header=BB244_13 Depth=1
	v_and_b32_e32 v0, 0x7f, v1
	v_cmp_ne_u32_e64 s[4:5], s53, v0
	v_mov_b32_e32 v3, 0x7c01
	buffer_store_dword v3, off, s[56:59], 0 offset:8 ; 4-byte Folded Spill
	s_and_saveexec_b64 s[44:45], s[4:5]
	s_cbranch_execz .LBB244_34
; %bb.33:                               ;   in Loop: Header=BB244_13 Depth=1
	v_and_b32_e32 v9, 7, v1
	v_ffbh_u32_e32 v3, v9
	v_min_u32_e32 v11, 32, v3
	v_subrev_u32_e32 v3, 28, v11
	v_lshlrev_b64 v[3:4], v3, v[1:2]
	v_lshrrev_b32_e32 v10, 3, v0
	v_sub_u32_e32 v4, 29, v11
	v_cmp_gt_u32_e64 s[4:5], 8, v0
	v_cndmask_b32_e64 v0, v10, v4, s[4:5]
	v_mov_b32_e32 v10, 0x2000
	v_lshl_add_u32 v0, v0, 10, v10
	v_lshlrev_b32_e32 v4, 8, v1
	v_and_b32_e32 v3, 7, v3
	v_and_b32_e32 v0, 0xfc00, v0
	v_cndmask_b32_e64 v3, v9, v3, s[4:5]
	v_and_or_b32 v0, v4, s54, v0
	v_lshl_or_b32 v0, v3, 7, v0
	buffer_store_dword v0, off, s[56:59], 0 offset:8 ; 4-byte Folded Spill
.LBB244_34:                             ;   in Loop: Header=BB244_13 Depth=1
	s_or_b64 exec, exec, s[44:45]
.LBB244_35:                             ;   in Loop: Header=BB244_13 Depth=1
	s_or_b64 exec, exec, s[42:43]
.LBB244_36:                             ;   in Loop: Header=BB244_13 Depth=1
	s_or_b64 exec, exec, s[40:41]
	v_lshrrev_b16_e32 v1, 8, v1
	v_cmp_ne_u16_e64 s[4:5], 0, v1
	s_and_saveexec_b64 s[40:41], s[4:5]
	s_cbranch_execz .LBB244_42
; %bb.37:                               ;   in Loop: Header=BB244_13 Depth=1
	v_cmp_ne_u16_e64 s[4:5], s52, v1
	v_bfrev_b32_e32 v0, 1
	buffer_store_dword v0, off, s[56:59], 0 offset:4 ; 4-byte Folded Spill
	s_and_saveexec_b64 s[42:43], s[4:5]
	s_cbranch_execz .LBB244_41
; %bb.38:                               ;   in Loop: Header=BB244_13 Depth=1
	v_and_b32_e32 v0, 0x7f, v1
	v_cmp_ne_u32_e64 s[4:5], s53, v0
	v_mov_b32_e32 v3, 0x7c010000
	buffer_store_dword v3, off, s[56:59], 0 offset:4 ; 4-byte Folded Spill
	s_and_saveexec_b64 s[44:45], s[4:5]
	s_cbranch_execz .LBB244_40
; %bb.39:                               ;   in Loop: Header=BB244_13 Depth=1
	v_and_b32_e32 v9, 7, v1
	v_ffbh_u32_e32 v3, v9
	v_min_u32_e32 v11, 32, v3
	v_subrev_u32_e32 v3, 28, v11
	v_lshlrev_b64 v[3:4], v3, v[1:2]
	v_lshrrev_b32_e32 v10, 3, v0
	v_sub_u32_e32 v4, 29, v11
	v_cmp_gt_u32_e64 s[4:5], 8, v0
	v_cndmask_b32_e64 v0, v10, v4, s[4:5]
	v_mov_b32_e32 v4, 0x2000
	v_lshlrev_b32_e32 v1, 8, v1
	v_lshl_add_u32 v0, v0, 10, v4
	v_and_b32_e32 v3, 7, v3
	v_and_or_b32 v0, v1, s54, v0
	v_cndmask_b32_e64 v3, v9, v3, s[4:5]
	v_lshlrev_b32_e32 v0, 16, v0
	v_lshl_or_b32 v0, v3, 23, v0
	buffer_store_dword v0, off, s[56:59], 0 offset:4 ; 4-byte Folded Spill
.LBB244_40:                             ;   in Loop: Header=BB244_13 Depth=1
	s_or_b64 exec, exec, s[44:45]
.LBB244_41:                             ;   in Loop: Header=BB244_13 Depth=1
	s_or_b64 exec, exec, s[42:43]
.LBB244_42:                             ;   in Loop: Header=BB244_13 Depth=1
	s_or_b64 exec, exec, s[40:41]
	global_load_ushort v0, v[7:8], off offset:256
	v_mov_b32_e32 v1, 0
	buffer_store_dword v1, off, s[56:59], 0 offset:12 ; 4-byte Folded Spill
	s_waitcnt vmcnt(1)
	v_and_b32_e32 v1, 0xffff, v0
	v_cmp_ne_u16_sdwa s[4:5], v0, v2 src0_sel:BYTE_0 src1_sel:DWORD
	v_mov_b32_e32 v0, 0
	buffer_store_dword v0, off, s[56:59], 0 offset:16 ; 4-byte Folded Spill
	s_and_saveexec_b64 s[40:41], s[4:5]
	s_cbranch_execz .LBB244_48
; %bb.43:                               ;   in Loop: Header=BB244_13 Depth=1
	v_cmp_ne_u16_sdwa s[4:5], v1, s52 src0_sel:BYTE_0 src1_sel:DWORD
	v_mov_b32_e32 v0, 0x8000
	buffer_store_dword v0, off, s[56:59], 0 offset:16 ; 4-byte Folded Spill
	s_and_saveexec_b64 s[42:43], s[4:5]
	s_cbranch_execz .LBB244_47
; %bb.44:                               ;   in Loop: Header=BB244_13 Depth=1
	v_and_b32_e32 v0, 0x7f, v1
	v_cmp_ne_u32_e64 s[4:5], s53, v0
	v_mov_b32_e32 v3, 0x7c01
	buffer_store_dword v3, off, s[56:59], 0 offset:16 ; 4-byte Folded Spill
	s_and_saveexec_b64 s[44:45], s[4:5]
	s_cbranch_execz .LBB244_46
; %bb.45:                               ;   in Loop: Header=BB244_13 Depth=1
	v_and_b32_e32 v9, 7, v1
	v_ffbh_u32_e32 v3, v9
	v_min_u32_e32 v11, 32, v3
	v_subrev_u32_e32 v3, 28, v11
	v_lshlrev_b64 v[3:4], v3, v[1:2]
	v_lshrrev_b32_e32 v10, 3, v0
	v_sub_u32_e32 v4, 29, v11
	v_cmp_gt_u32_e64 s[4:5], 8, v0
	v_cndmask_b32_e64 v0, v10, v4, s[4:5]
	v_mov_b32_e32 v10, 0x2000
	v_lshl_add_u32 v0, v0, 10, v10
	v_lshlrev_b32_e32 v4, 8, v1
	v_and_b32_e32 v3, 7, v3
	v_and_b32_e32 v0, 0xfc00, v0
	v_cndmask_b32_e64 v3, v9, v3, s[4:5]
	v_and_or_b32 v0, v4, s54, v0
	v_lshl_or_b32 v0, v3, 7, v0
	buffer_store_dword v0, off, s[56:59], 0 offset:16 ; 4-byte Folded Spill
.LBB244_46:                             ;   in Loop: Header=BB244_13 Depth=1
	s_or_b64 exec, exec, s[44:45]
.LBB244_47:                             ;   in Loop: Header=BB244_13 Depth=1
	s_or_b64 exec, exec, s[42:43]
.LBB244_48:                             ;   in Loop: Header=BB244_13 Depth=1
	s_or_b64 exec, exec, s[40:41]
	v_lshrrev_b16_e32 v1, 8, v1
	v_cmp_ne_u16_e64 s[4:5], 0, v1
	s_and_saveexec_b64 s[40:41], s[4:5]
	s_cbranch_execz .LBB244_54
; %bb.49:                               ;   in Loop: Header=BB244_13 Depth=1
	v_cmp_ne_u16_e64 s[4:5], s52, v1
	v_bfrev_b32_e32 v0, 1
	buffer_store_dword v0, off, s[56:59], 0 offset:12 ; 4-byte Folded Spill
	s_and_saveexec_b64 s[42:43], s[4:5]
	s_cbranch_execz .LBB244_53
; %bb.50:                               ;   in Loop: Header=BB244_13 Depth=1
	v_and_b32_e32 v0, 0x7f, v1
	v_cmp_ne_u32_e64 s[4:5], s53, v0
	v_mov_b32_e32 v3, 0x7c010000
	buffer_store_dword v3, off, s[56:59], 0 offset:12 ; 4-byte Folded Spill
	s_and_saveexec_b64 s[44:45], s[4:5]
	s_cbranch_execz .LBB244_52
; %bb.51:                               ;   in Loop: Header=BB244_13 Depth=1
	v_and_b32_e32 v9, 7, v1
	v_ffbh_u32_e32 v3, v9
	v_min_u32_e32 v11, 32, v3
	v_subrev_u32_e32 v3, 28, v11
	v_lshlrev_b64 v[3:4], v3, v[1:2]
	v_lshrrev_b32_e32 v10, 3, v0
	v_sub_u32_e32 v4, 29, v11
	v_cmp_gt_u32_e64 s[4:5], 8, v0
	v_cndmask_b32_e64 v0, v10, v4, s[4:5]
	v_mov_b32_e32 v4, 0x2000
	v_lshlrev_b32_e32 v1, 8, v1
	v_lshl_add_u32 v0, v0, 10, v4
	v_and_b32_e32 v3, 7, v3
	v_and_or_b32 v0, v1, s54, v0
	v_cndmask_b32_e64 v3, v9, v3, s[4:5]
	v_lshlrev_b32_e32 v0, 16, v0
	v_lshl_or_b32 v0, v3, 23, v0
	buffer_store_dword v0, off, s[56:59], 0 offset:12 ; 4-byte Folded Spill
.LBB244_52:                             ;   in Loop: Header=BB244_13 Depth=1
	s_or_b64 exec, exec, s[44:45]
.LBB244_53:                             ;   in Loop: Header=BB244_13 Depth=1
	s_or_b64 exec, exec, s[42:43]
.LBB244_54:                             ;   in Loop: Header=BB244_13 Depth=1
	s_or_b64 exec, exec, s[40:41]
	global_load_ushort v0, v[7:8], off offset:264
	v_mov_b32_e32 v62, 0
	v_mov_b32_e32 v63, 0
	s_waitcnt vmcnt(0)
	v_and_b32_e32 v1, 0xffff, v0
	v_cmp_ne_u16_sdwa s[4:5], v0, v2 src0_sel:BYTE_0 src1_sel:DWORD
	s_and_saveexec_b64 s[40:41], s[4:5]
	s_cbranch_execz .LBB244_60
; %bb.55:                               ;   in Loop: Header=BB244_13 Depth=1
	v_cmp_ne_u16_sdwa s[4:5], v1, s52 src0_sel:BYTE_0 src1_sel:DWORD
	v_mov_b32_e32 v63, 0x8000
	s_and_saveexec_b64 s[42:43], s[4:5]
	s_cbranch_execz .LBB244_59
; %bb.56:                               ;   in Loop: Header=BB244_13 Depth=1
	v_and_b32_e32 v0, 0x7f, v1
	v_cmp_ne_u32_e64 s[4:5], s53, v0
	v_mov_b32_e32 v63, 0x7c01
	s_and_saveexec_b64 s[44:45], s[4:5]
	s_cbranch_execz .LBB244_58
; %bb.57:                               ;   in Loop: Header=BB244_13 Depth=1
	v_and_b32_e32 v9, 7, v1
	v_ffbh_u32_e32 v3, v9
	v_min_u32_e32 v11, 32, v3
	v_subrev_u32_e32 v3, 28, v11
	v_lshlrev_b64 v[3:4], v3, v[1:2]
	v_lshrrev_b32_e32 v10, 3, v0
	v_sub_u32_e32 v4, 29, v11
	v_cmp_gt_u32_e64 s[4:5], 8, v0
	v_cndmask_b32_e64 v0, v10, v4, s[4:5]
	v_mov_b32_e32 v10, 0x2000
	v_lshl_add_u32 v0, v0, 10, v10
	v_lshlrev_b32_e32 v4, 8, v1
	v_and_b32_e32 v3, 7, v3
	v_and_b32_e32 v0, 0xfc00, v0
	v_cndmask_b32_e64 v3, v9, v3, s[4:5]
	v_and_or_b32 v0, v4, s54, v0
	v_lshl_or_b32 v63, v3, 7, v0
.LBB244_58:                             ;   in Loop: Header=BB244_13 Depth=1
	s_or_b64 exec, exec, s[44:45]
.LBB244_59:                             ;   in Loop: Header=BB244_13 Depth=1
	s_or_b64 exec, exec, s[42:43]
.LBB244_60:                             ;   in Loop: Header=BB244_13 Depth=1
	s_or_b64 exec, exec, s[40:41]
	v_lshrrev_b16_e32 v1, 8, v1
	v_cmp_ne_u16_e64 s[4:5], 0, v1
	s_and_saveexec_b64 s[40:41], s[4:5]
	s_cbranch_execz .LBB244_66
; %bb.61:                               ;   in Loop: Header=BB244_13 Depth=1
	v_cmp_ne_u16_e64 s[4:5], s52, v1
	v_bfrev_b32_e32 v62, 1
	s_and_saveexec_b64 s[42:43], s[4:5]
	s_cbranch_execz .LBB244_65
; %bb.62:                               ;   in Loop: Header=BB244_13 Depth=1
	v_and_b32_e32 v0, 0x7f, v1
	v_cmp_ne_u32_e64 s[4:5], s53, v0
	v_mov_b32_e32 v62, 0x7c010000
	s_and_saveexec_b64 s[44:45], s[4:5]
	s_cbranch_execz .LBB244_64
; %bb.63:                               ;   in Loop: Header=BB244_13 Depth=1
	v_and_b32_e32 v9, 7, v1
	v_ffbh_u32_e32 v3, v9
	v_min_u32_e32 v11, 32, v3
	v_subrev_u32_e32 v3, 28, v11
	v_lshlrev_b64 v[3:4], v3, v[1:2]
	v_lshrrev_b32_e32 v10, 3, v0
	v_sub_u32_e32 v4, 29, v11
	v_cmp_gt_u32_e64 s[4:5], 8, v0
	v_cndmask_b32_e64 v0, v10, v4, s[4:5]
	v_mov_b32_e32 v4, 0x2000
	v_lshlrev_b32_e32 v1, 8, v1
	v_lshl_add_u32 v0, v0, 10, v4
	v_and_b32_e32 v3, 7, v3
	v_and_or_b32 v0, v1, s54, v0
	v_cndmask_b32_e64 v3, v9, v3, s[4:5]
	v_lshlrev_b32_e32 v0, 16, v0
	v_lshl_or_b32 v62, v3, 23, v0
.LBB244_64:                             ;   in Loop: Header=BB244_13 Depth=1
	s_or_b64 exec, exec, s[44:45]
.LBB244_65:                             ;   in Loop: Header=BB244_13 Depth=1
	s_or_b64 exec, exec, s[42:43]
.LBB244_66:                             ;   in Loop: Header=BB244_13 Depth=1
	s_or_b64 exec, exec, s[40:41]
	global_load_ushort v0, v[7:8], off offset:512
	v_mov_b32_e32 v61, 0
	v_mov_b32_e32 v43, 0
	s_waitcnt vmcnt(0)
	v_and_b32_e32 v1, 0xffff, v0
	v_cmp_ne_u16_sdwa s[4:5], v0, v2 src0_sel:BYTE_0 src1_sel:DWORD
	s_and_saveexec_b64 s[40:41], s[4:5]
	s_cbranch_execz .LBB244_72
; %bb.67:                               ;   in Loop: Header=BB244_13 Depth=1
	v_cmp_ne_u16_sdwa s[4:5], v1, s52 src0_sel:BYTE_0 src1_sel:DWORD
	v_mov_b32_e32 v43, 0x8000
	s_and_saveexec_b64 s[42:43], s[4:5]
	s_cbranch_execz .LBB244_71
; %bb.68:                               ;   in Loop: Header=BB244_13 Depth=1
	v_and_b32_e32 v0, 0x7f, v1
	v_cmp_ne_u32_e64 s[4:5], s53, v0
	v_mov_b32_e32 v43, 0x7c01
	s_and_saveexec_b64 s[44:45], s[4:5]
	s_cbranch_execz .LBB244_70
; %bb.69:                               ;   in Loop: Header=BB244_13 Depth=1
	v_and_b32_e32 v9, 7, v1
	v_ffbh_u32_e32 v3, v9
	v_min_u32_e32 v11, 32, v3
	v_subrev_u32_e32 v3, 28, v11
	v_lshlrev_b64 v[3:4], v3, v[1:2]
	v_lshrrev_b32_e32 v10, 3, v0
	v_sub_u32_e32 v4, 29, v11
	v_cmp_gt_u32_e64 s[4:5], 8, v0
	v_cndmask_b32_e64 v0, v10, v4, s[4:5]
	v_mov_b32_e32 v10, 0x2000
	v_lshl_add_u32 v0, v0, 10, v10
	v_lshlrev_b32_e32 v4, 8, v1
	v_and_b32_e32 v3, 7, v3
	v_and_b32_e32 v0, 0xfc00, v0
	v_cndmask_b32_e64 v3, v9, v3, s[4:5]
	v_and_or_b32 v0, v4, s54, v0
	v_lshl_or_b32 v43, v3, 7, v0
.LBB244_70:                             ;   in Loop: Header=BB244_13 Depth=1
	s_or_b64 exec, exec, s[44:45]
.LBB244_71:                             ;   in Loop: Header=BB244_13 Depth=1
	s_or_b64 exec, exec, s[42:43]
.LBB244_72:                             ;   in Loop: Header=BB244_13 Depth=1
	s_or_b64 exec, exec, s[40:41]
	v_lshrrev_b16_e32 v1, 8, v1
	v_cmp_ne_u16_e64 s[4:5], 0, v1
	s_and_saveexec_b64 s[40:41], s[4:5]
	s_cbranch_execz .LBB244_78
; %bb.73:                               ;   in Loop: Header=BB244_13 Depth=1
	v_cmp_ne_u16_e64 s[4:5], s52, v1
	v_bfrev_b32_e32 v61, 1
	s_and_saveexec_b64 s[42:43], s[4:5]
	s_cbranch_execz .LBB244_77
; %bb.74:                               ;   in Loop: Header=BB244_13 Depth=1
	v_and_b32_e32 v0, 0x7f, v1
	v_cmp_ne_u32_e64 s[4:5], s53, v0
	v_mov_b32_e32 v61, 0x7c010000
	s_and_saveexec_b64 s[44:45], s[4:5]
	s_cbranch_execz .LBB244_76
; %bb.75:                               ;   in Loop: Header=BB244_13 Depth=1
	v_and_b32_e32 v9, 7, v1
	v_ffbh_u32_e32 v3, v9
	v_min_u32_e32 v11, 32, v3
	v_subrev_u32_e32 v3, 28, v11
	v_lshlrev_b64 v[3:4], v3, v[1:2]
	v_lshrrev_b32_e32 v10, 3, v0
	v_sub_u32_e32 v4, 29, v11
	v_cmp_gt_u32_e64 s[4:5], 8, v0
	v_cndmask_b32_e64 v0, v10, v4, s[4:5]
	v_mov_b32_e32 v4, 0x2000
	v_lshlrev_b32_e32 v1, 8, v1
	v_lshl_add_u32 v0, v0, 10, v4
	v_and_b32_e32 v3, 7, v3
	v_and_or_b32 v0, v1, s54, v0
	v_cndmask_b32_e64 v3, v9, v3, s[4:5]
	v_lshlrev_b32_e32 v0, 16, v0
	v_lshl_or_b32 v61, v3, 23, v0
.LBB244_76:                             ;   in Loop: Header=BB244_13 Depth=1
	s_or_b64 exec, exec, s[44:45]
.LBB244_77:                             ;   in Loop: Header=BB244_13 Depth=1
	s_or_b64 exec, exec, s[42:43]
.LBB244_78:                             ;   in Loop: Header=BB244_13 Depth=1
	s_or_b64 exec, exec, s[40:41]
	global_load_ushort v0, v[7:8], off offset:520
	v_mov_b32_e32 v1, 0
	buffer_store_dword v1, off, s[56:59], 0 offset:20 ; 4-byte Folded Spill
	s_waitcnt vmcnt(1)
	v_and_b32_e32 v1, 0xffff, v0
	v_cmp_ne_u16_sdwa s[4:5], v0, v2 src0_sel:BYTE_0 src1_sel:DWORD
	v_mov_b32_e32 v0, 0
	buffer_store_dword v0, off, s[56:59], 0 offset:24 ; 4-byte Folded Spill
	s_and_saveexec_b64 s[40:41], s[4:5]
	s_cbranch_execz .LBB244_84
; %bb.79:                               ;   in Loop: Header=BB244_13 Depth=1
	v_cmp_ne_u16_sdwa s[4:5], v1, s52 src0_sel:BYTE_0 src1_sel:DWORD
	v_mov_b32_e32 v0, 0x8000
	buffer_store_dword v0, off, s[56:59], 0 offset:24 ; 4-byte Folded Spill
	s_and_saveexec_b64 s[42:43], s[4:5]
	s_cbranch_execz .LBB244_83
; %bb.80:                               ;   in Loop: Header=BB244_13 Depth=1
	v_and_b32_e32 v0, 0x7f, v1
	v_cmp_ne_u32_e64 s[4:5], s53, v0
	v_mov_b32_e32 v3, 0x7c01
	buffer_store_dword v3, off, s[56:59], 0 offset:24 ; 4-byte Folded Spill
	s_and_saveexec_b64 s[44:45], s[4:5]
	s_cbranch_execz .LBB244_82
; %bb.81:                               ;   in Loop: Header=BB244_13 Depth=1
	v_and_b32_e32 v9, 7, v1
	v_ffbh_u32_e32 v3, v9
	v_min_u32_e32 v11, 32, v3
	v_subrev_u32_e32 v3, 28, v11
	v_lshlrev_b64 v[3:4], v3, v[1:2]
	v_lshrrev_b32_e32 v10, 3, v0
	v_sub_u32_e32 v4, 29, v11
	v_cmp_gt_u32_e64 s[4:5], 8, v0
	v_cndmask_b32_e64 v0, v10, v4, s[4:5]
	v_mov_b32_e32 v10, 0x2000
	v_lshl_add_u32 v0, v0, 10, v10
	v_lshlrev_b32_e32 v4, 8, v1
	v_and_b32_e32 v3, 7, v3
	v_and_b32_e32 v0, 0xfc00, v0
	v_cndmask_b32_e64 v3, v9, v3, s[4:5]
	v_and_or_b32 v0, v4, s54, v0
	v_lshl_or_b32 v0, v3, 7, v0
	buffer_store_dword v0, off, s[56:59], 0 offset:24 ; 4-byte Folded Spill
.LBB244_82:                             ;   in Loop: Header=BB244_13 Depth=1
	s_or_b64 exec, exec, s[44:45]
.LBB244_83:                             ;   in Loop: Header=BB244_13 Depth=1
	s_or_b64 exec, exec, s[42:43]
.LBB244_84:                             ;   in Loop: Header=BB244_13 Depth=1
	s_or_b64 exec, exec, s[40:41]
	v_lshrrev_b16_e32 v1, 8, v1
	v_cmp_ne_u16_e64 s[4:5], 0, v1
	s_and_saveexec_b64 s[40:41], s[4:5]
	s_cbranch_execz .LBB244_90
; %bb.85:                               ;   in Loop: Header=BB244_13 Depth=1
	v_cmp_ne_u16_e64 s[4:5], s52, v1
	v_bfrev_b32_e32 v0, 1
	buffer_store_dword v0, off, s[56:59], 0 offset:20 ; 4-byte Folded Spill
	s_and_saveexec_b64 s[42:43], s[4:5]
	s_cbranch_execz .LBB244_89
; %bb.86:                               ;   in Loop: Header=BB244_13 Depth=1
	v_and_b32_e32 v0, 0x7f, v1
	v_cmp_ne_u32_e64 s[4:5], s53, v0
	v_mov_b32_e32 v3, 0x7c010000
	buffer_store_dword v3, off, s[56:59], 0 offset:20 ; 4-byte Folded Spill
	s_and_saveexec_b64 s[44:45], s[4:5]
	s_cbranch_execz .LBB244_88
; %bb.87:                               ;   in Loop: Header=BB244_13 Depth=1
	v_and_b32_e32 v9, 7, v1
	v_ffbh_u32_e32 v3, v9
	v_min_u32_e32 v11, 32, v3
	v_subrev_u32_e32 v3, 28, v11
	v_lshlrev_b64 v[3:4], v3, v[1:2]
	v_lshrrev_b32_e32 v10, 3, v0
	v_sub_u32_e32 v4, 29, v11
	v_cmp_gt_u32_e64 s[4:5], 8, v0
	v_cndmask_b32_e64 v0, v10, v4, s[4:5]
	v_mov_b32_e32 v4, 0x2000
	v_lshlrev_b32_e32 v1, 8, v1
	v_lshl_add_u32 v0, v0, 10, v4
	v_and_b32_e32 v3, 7, v3
	v_and_or_b32 v0, v1, s54, v0
	v_cndmask_b32_e64 v3, v9, v3, s[4:5]
	v_lshlrev_b32_e32 v0, 16, v0
	v_lshl_or_b32 v0, v3, 23, v0
	buffer_store_dword v0, off, s[56:59], 0 offset:20 ; 4-byte Folded Spill
.LBB244_88:                             ;   in Loop: Header=BB244_13 Depth=1
	s_or_b64 exec, exec, s[44:45]
.LBB244_89:                             ;   in Loop: Header=BB244_13 Depth=1
	s_or_b64 exec, exec, s[42:43]
.LBB244_90:                             ;   in Loop: Header=BB244_13 Depth=1
	s_or_b64 exec, exec, s[40:41]
	global_load_ushort v0, v[7:8], off offset:768
	v_mov_b32_e32 v1, 0
	buffer_store_dword v1, off, s[56:59], 0 offset:28 ; 4-byte Folded Spill
	s_waitcnt vmcnt(1)
	v_and_b32_e32 v1, 0xffff, v0
	v_cmp_ne_u16_sdwa s[4:5], v0, v2 src0_sel:BYTE_0 src1_sel:DWORD
	v_mov_b32_e32 v0, 0
	buffer_store_dword v0, off, s[56:59], 0 offset:32 ; 4-byte Folded Spill
	s_and_saveexec_b64 s[40:41], s[4:5]
	s_cbranch_execz .LBB244_96
; %bb.91:                               ;   in Loop: Header=BB244_13 Depth=1
	v_cmp_ne_u16_sdwa s[4:5], v1, s52 src0_sel:BYTE_0 src1_sel:DWORD
	v_mov_b32_e32 v0, 0x8000
	buffer_store_dword v0, off, s[56:59], 0 offset:32 ; 4-byte Folded Spill
	s_and_saveexec_b64 s[42:43], s[4:5]
	s_cbranch_execz .LBB244_95
; %bb.92:                               ;   in Loop: Header=BB244_13 Depth=1
	v_and_b32_e32 v0, 0x7f, v1
	v_cmp_ne_u32_e64 s[4:5], s53, v0
	v_mov_b32_e32 v3, 0x7c01
	buffer_store_dword v3, off, s[56:59], 0 offset:32 ; 4-byte Folded Spill
	s_and_saveexec_b64 s[44:45], s[4:5]
	s_cbranch_execz .LBB244_94
; %bb.93:                               ;   in Loop: Header=BB244_13 Depth=1
	v_and_b32_e32 v9, 7, v1
	v_ffbh_u32_e32 v3, v9
	v_min_u32_e32 v11, 32, v3
	v_subrev_u32_e32 v3, 28, v11
	v_lshlrev_b64 v[3:4], v3, v[1:2]
	v_lshrrev_b32_e32 v10, 3, v0
	v_sub_u32_e32 v4, 29, v11
	v_cmp_gt_u32_e64 s[4:5], 8, v0
	v_cndmask_b32_e64 v0, v10, v4, s[4:5]
	v_mov_b32_e32 v10, 0x2000
	v_lshl_add_u32 v0, v0, 10, v10
	v_lshlrev_b32_e32 v4, 8, v1
	v_and_b32_e32 v3, 7, v3
	v_and_b32_e32 v0, 0xfc00, v0
	v_cndmask_b32_e64 v3, v9, v3, s[4:5]
	v_and_or_b32 v0, v4, s54, v0
	v_lshl_or_b32 v0, v3, 7, v0
	buffer_store_dword v0, off, s[56:59], 0 offset:32 ; 4-byte Folded Spill
.LBB244_94:                             ;   in Loop: Header=BB244_13 Depth=1
	s_or_b64 exec, exec, s[44:45]
.LBB244_95:                             ;   in Loop: Header=BB244_13 Depth=1
	s_or_b64 exec, exec, s[42:43]
.LBB244_96:                             ;   in Loop: Header=BB244_13 Depth=1
	s_or_b64 exec, exec, s[40:41]
	v_lshrrev_b16_e32 v1, 8, v1
	v_cmp_ne_u16_e64 s[4:5], 0, v1
	s_and_saveexec_b64 s[40:41], s[4:5]
	s_cbranch_execz .LBB244_102
; %bb.97:                               ;   in Loop: Header=BB244_13 Depth=1
	v_cmp_ne_u16_e64 s[4:5], s52, v1
	v_bfrev_b32_e32 v0, 1
	buffer_store_dword v0, off, s[56:59], 0 offset:28 ; 4-byte Folded Spill
	s_and_saveexec_b64 s[42:43], s[4:5]
	s_cbranch_execz .LBB244_101
; %bb.98:                               ;   in Loop: Header=BB244_13 Depth=1
	v_and_b32_e32 v0, 0x7f, v1
	v_cmp_ne_u32_e64 s[4:5], s53, v0
	v_mov_b32_e32 v3, 0x7c010000
	buffer_store_dword v3, off, s[56:59], 0 offset:28 ; 4-byte Folded Spill
	s_and_saveexec_b64 s[44:45], s[4:5]
	s_cbranch_execz .LBB244_100
; %bb.99:                               ;   in Loop: Header=BB244_13 Depth=1
	v_and_b32_e32 v9, 7, v1
	v_ffbh_u32_e32 v3, v9
	v_min_u32_e32 v11, 32, v3
	v_subrev_u32_e32 v3, 28, v11
	v_lshlrev_b64 v[3:4], v3, v[1:2]
	v_lshrrev_b32_e32 v10, 3, v0
	v_sub_u32_e32 v4, 29, v11
	v_cmp_gt_u32_e64 s[4:5], 8, v0
	v_cndmask_b32_e64 v0, v10, v4, s[4:5]
	v_mov_b32_e32 v4, 0x2000
	v_lshlrev_b32_e32 v1, 8, v1
	v_lshl_add_u32 v0, v0, 10, v4
	v_and_b32_e32 v3, 7, v3
	v_and_or_b32 v0, v1, s54, v0
	v_cndmask_b32_e64 v3, v9, v3, s[4:5]
	v_lshlrev_b32_e32 v0, 16, v0
	v_lshl_or_b32 v0, v3, 23, v0
	buffer_store_dword v0, off, s[56:59], 0 offset:28 ; 4-byte Folded Spill
.LBB244_100:                            ;   in Loop: Header=BB244_13 Depth=1
	s_or_b64 exec, exec, s[44:45]
.LBB244_101:                            ;   in Loop: Header=BB244_13 Depth=1
	s_or_b64 exec, exec, s[42:43]
.LBB244_102:                            ;   in Loop: Header=BB244_13 Depth=1
	s_or_b64 exec, exec, s[40:41]
	global_load_ushort v0, v[7:8], off offset:776
	v_mov_b32_e32 v38, 0
	s_waitcnt vmcnt(0)
	v_and_b32_e32 v1, 0xffff, v0
	v_cmp_ne_u16_sdwa s[4:5], v0, v2 src0_sel:BYTE_0 src1_sel:DWORD
	v_mov_b32_e32 v0, 0
	buffer_store_dword v0, off, s[56:59], 0 offset:36 ; 4-byte Folded Spill
	s_and_saveexec_b64 s[40:41], s[4:5]
	s_cbranch_execz .LBB244_108
; %bb.103:                              ;   in Loop: Header=BB244_13 Depth=1
	v_cmp_ne_u16_sdwa s[4:5], v1, s52 src0_sel:BYTE_0 src1_sel:DWORD
	v_mov_b32_e32 v0, 0x8000
	buffer_store_dword v0, off, s[56:59], 0 offset:36 ; 4-byte Folded Spill
	s_and_saveexec_b64 s[42:43], s[4:5]
	s_cbranch_execz .LBB244_107
; %bb.104:                              ;   in Loop: Header=BB244_13 Depth=1
	v_and_b32_e32 v0, 0x7f, v1
	v_cmp_ne_u32_e64 s[4:5], s53, v0
	v_mov_b32_e32 v3, 0x7c01
	buffer_store_dword v3, off, s[56:59], 0 offset:36 ; 4-byte Folded Spill
	s_and_saveexec_b64 s[44:45], s[4:5]
	s_cbranch_execz .LBB244_106
; %bb.105:                              ;   in Loop: Header=BB244_13 Depth=1
	v_and_b32_e32 v9, 7, v1
	v_ffbh_u32_e32 v3, v9
	v_min_u32_e32 v11, 32, v3
	v_subrev_u32_e32 v3, 28, v11
	v_lshlrev_b64 v[3:4], v3, v[1:2]
	v_lshrrev_b32_e32 v10, 3, v0
	v_sub_u32_e32 v4, 29, v11
	v_cmp_gt_u32_e64 s[4:5], 8, v0
	v_cndmask_b32_e64 v0, v10, v4, s[4:5]
	v_mov_b32_e32 v10, 0x2000
	v_lshl_add_u32 v0, v0, 10, v10
	v_lshlrev_b32_e32 v4, 8, v1
	v_and_b32_e32 v3, 7, v3
	v_and_b32_e32 v0, 0xfc00, v0
	v_cndmask_b32_e64 v3, v9, v3, s[4:5]
	v_and_or_b32 v0, v4, s54, v0
	v_lshl_or_b32 v0, v3, 7, v0
	buffer_store_dword v0, off, s[56:59], 0 offset:36 ; 4-byte Folded Spill
.LBB244_106:                            ;   in Loop: Header=BB244_13 Depth=1
	s_or_b64 exec, exec, s[44:45]
.LBB244_107:                            ;   in Loop: Header=BB244_13 Depth=1
	s_or_b64 exec, exec, s[42:43]
.LBB244_108:                            ;   in Loop: Header=BB244_13 Depth=1
	s_or_b64 exec, exec, s[40:41]
	v_lshrrev_b16_e32 v1, 8, v1
	v_cmp_ne_u16_e64 s[4:5], 0, v1
	s_and_saveexec_b64 s[40:41], s[4:5]
	s_cbranch_execz .LBB244_114
; %bb.109:                              ;   in Loop: Header=BB244_13 Depth=1
	v_cmp_ne_u16_e64 s[4:5], s52, v1
	v_bfrev_b32_e32 v38, 1
	s_and_saveexec_b64 s[42:43], s[4:5]
	s_cbranch_execz .LBB244_113
; %bb.110:                              ;   in Loop: Header=BB244_13 Depth=1
	v_and_b32_e32 v0, 0x7f, v1
	v_cmp_ne_u32_e64 s[4:5], s53, v0
	v_mov_b32_e32 v38, 0x7c010000
	s_and_saveexec_b64 s[44:45], s[4:5]
	s_cbranch_execz .LBB244_112
; %bb.111:                              ;   in Loop: Header=BB244_13 Depth=1
	v_and_b32_e32 v9, 7, v1
	v_ffbh_u32_e32 v3, v9
	v_min_u32_e32 v11, 32, v3
	v_subrev_u32_e32 v3, 28, v11
	v_lshlrev_b64 v[3:4], v3, v[1:2]
	v_lshrrev_b32_e32 v10, 3, v0
	v_sub_u32_e32 v4, 29, v11
	v_cmp_gt_u32_e64 s[4:5], 8, v0
	v_cndmask_b32_e64 v0, v10, v4, s[4:5]
	v_mov_b32_e32 v4, 0x2000
	v_lshlrev_b32_e32 v1, 8, v1
	v_lshl_add_u32 v0, v0, 10, v4
	v_and_b32_e32 v3, 7, v3
	v_and_or_b32 v0, v1, s54, v0
	v_cndmask_b32_e64 v3, v9, v3, s[4:5]
	v_lshlrev_b32_e32 v0, 16, v0
	v_lshl_or_b32 v38, v3, 23, v0
.LBB244_112:                            ;   in Loop: Header=BB244_13 Depth=1
	s_or_b64 exec, exec, s[44:45]
.LBB244_113:                            ;   in Loop: Header=BB244_13 Depth=1
	s_or_b64 exec, exec, s[42:43]
.LBB244_114:                            ;   in Loop: Header=BB244_13 Depth=1
	s_or_b64 exec, exec, s[40:41]
	global_load_ushort v0, v[7:8], off offset:1024
	v_mov_b32_e32 v1, 0
	buffer_store_dword v1, off, s[56:59], 0 offset:52 ; 4-byte Folded Spill
	s_waitcnt vmcnt(1)
	v_and_b32_e32 v1, 0xffff, v0
	v_cmp_ne_u16_sdwa s[4:5], v0, v2 src0_sel:BYTE_0 src1_sel:DWORD
	v_mov_b32_e32 v0, 0
	buffer_store_dword v0, off, s[56:59], 0 offset:40 ; 4-byte Folded Spill
	s_and_saveexec_b64 s[40:41], s[4:5]
	s_cbranch_execz .LBB244_120
; %bb.115:                              ;   in Loop: Header=BB244_13 Depth=1
	v_cmp_ne_u16_sdwa s[4:5], v1, s52 src0_sel:BYTE_0 src1_sel:DWORD
	v_mov_b32_e32 v0, 0x8000
	buffer_store_dword v0, off, s[56:59], 0 offset:40 ; 4-byte Folded Spill
	s_and_saveexec_b64 s[42:43], s[4:5]
	s_cbranch_execz .LBB244_119
; %bb.116:                              ;   in Loop: Header=BB244_13 Depth=1
	v_and_b32_e32 v0, 0x7f, v1
	v_cmp_ne_u32_e64 s[4:5], s53, v0
	v_mov_b32_e32 v3, 0x7c01
	buffer_store_dword v3, off, s[56:59], 0 offset:40 ; 4-byte Folded Spill
	s_and_saveexec_b64 s[44:45], s[4:5]
	s_cbranch_execz .LBB244_118
; %bb.117:                              ;   in Loop: Header=BB244_13 Depth=1
	v_and_b32_e32 v9, 7, v1
	v_ffbh_u32_e32 v3, v9
	v_min_u32_e32 v11, 32, v3
	v_subrev_u32_e32 v3, 28, v11
	v_lshlrev_b64 v[3:4], v3, v[1:2]
	v_lshrrev_b32_e32 v10, 3, v0
	v_sub_u32_e32 v4, 29, v11
	v_cmp_gt_u32_e64 s[4:5], 8, v0
	v_cndmask_b32_e64 v0, v10, v4, s[4:5]
	v_mov_b32_e32 v10, 0x2000
	v_lshl_add_u32 v0, v0, 10, v10
	v_lshlrev_b32_e32 v4, 8, v1
	v_and_b32_e32 v3, 7, v3
	v_and_b32_e32 v0, 0xfc00, v0
	v_cndmask_b32_e64 v3, v9, v3, s[4:5]
	v_and_or_b32 v0, v4, s54, v0
	v_lshl_or_b32 v0, v3, 7, v0
	buffer_store_dword v0, off, s[56:59], 0 offset:40 ; 4-byte Folded Spill
.LBB244_118:                            ;   in Loop: Header=BB244_13 Depth=1
	s_or_b64 exec, exec, s[44:45]
.LBB244_119:                            ;   in Loop: Header=BB244_13 Depth=1
	s_or_b64 exec, exec, s[42:43]
.LBB244_120:                            ;   in Loop: Header=BB244_13 Depth=1
	s_or_b64 exec, exec, s[40:41]
	v_lshrrev_b16_e32 v1, 8, v1
	v_cmp_ne_u16_e64 s[4:5], 0, v1
	s_and_saveexec_b64 s[40:41], s[4:5]
	s_cbranch_execz .LBB244_126
; %bb.121:                              ;   in Loop: Header=BB244_13 Depth=1
	v_cmp_ne_u16_e64 s[4:5], s52, v1
	v_bfrev_b32_e32 v0, 1
	buffer_store_dword v0, off, s[56:59], 0 offset:52 ; 4-byte Folded Spill
	s_and_saveexec_b64 s[42:43], s[4:5]
	s_cbranch_execz .LBB244_125
; %bb.122:                              ;   in Loop: Header=BB244_13 Depth=1
	v_and_b32_e32 v0, 0x7f, v1
	v_cmp_ne_u32_e64 s[4:5], s53, v0
	v_mov_b32_e32 v3, 0x7c010000
	buffer_store_dword v3, off, s[56:59], 0 offset:52 ; 4-byte Folded Spill
	s_and_saveexec_b64 s[44:45], s[4:5]
	s_cbranch_execz .LBB244_124
; %bb.123:                              ;   in Loop: Header=BB244_13 Depth=1
	v_and_b32_e32 v9, 7, v1
	v_ffbh_u32_e32 v3, v9
	v_min_u32_e32 v11, 32, v3
	v_subrev_u32_e32 v3, 28, v11
	v_lshlrev_b64 v[3:4], v3, v[1:2]
	v_lshrrev_b32_e32 v10, 3, v0
	v_sub_u32_e32 v4, 29, v11
	v_cmp_gt_u32_e64 s[4:5], 8, v0
	v_cndmask_b32_e64 v0, v10, v4, s[4:5]
	v_mov_b32_e32 v4, 0x2000
	v_lshlrev_b32_e32 v1, 8, v1
	v_lshl_add_u32 v0, v0, 10, v4
	v_and_b32_e32 v3, 7, v3
	v_and_or_b32 v0, v1, s54, v0
	v_cndmask_b32_e64 v3, v9, v3, s[4:5]
	v_lshlrev_b32_e32 v0, 16, v0
	v_lshl_or_b32 v0, v3, 23, v0
	buffer_store_dword v0, off, s[56:59], 0 offset:52 ; 4-byte Folded Spill
.LBB244_124:                            ;   in Loop: Header=BB244_13 Depth=1
	s_or_b64 exec, exec, s[44:45]
.LBB244_125:                            ;   in Loop: Header=BB244_13 Depth=1
	s_or_b64 exec, exec, s[42:43]
.LBB244_126:                            ;   in Loop: Header=BB244_13 Depth=1
	s_or_b64 exec, exec, s[40:41]
	global_load_ushort v0, v[7:8], off offset:1032
	v_mov_b32_e32 v34, 0
	s_waitcnt vmcnt(0)
	v_and_b32_e32 v1, 0xffff, v0
	v_cmp_ne_u16_sdwa s[4:5], v0, v2 src0_sel:BYTE_0 src1_sel:DWORD
	v_mov_b32_e32 v0, 0
	buffer_store_dword v0, off, s[56:59], 0 offset:44 ; 4-byte Folded Spill
	s_and_saveexec_b64 s[40:41], s[4:5]
	s_cbranch_execz .LBB244_132
; %bb.127:                              ;   in Loop: Header=BB244_13 Depth=1
	v_cmp_ne_u16_sdwa s[4:5], v1, s52 src0_sel:BYTE_0 src1_sel:DWORD
	v_mov_b32_e32 v0, 0x8000
	buffer_store_dword v0, off, s[56:59], 0 offset:44 ; 4-byte Folded Spill
	s_and_saveexec_b64 s[42:43], s[4:5]
	s_cbranch_execz .LBB244_131
; %bb.128:                              ;   in Loop: Header=BB244_13 Depth=1
	v_and_b32_e32 v0, 0x7f, v1
	v_cmp_ne_u32_e64 s[4:5], s53, v0
	v_mov_b32_e32 v3, 0x7c01
	buffer_store_dword v3, off, s[56:59], 0 offset:44 ; 4-byte Folded Spill
	s_and_saveexec_b64 s[44:45], s[4:5]
	s_cbranch_execz .LBB244_130
; %bb.129:                              ;   in Loop: Header=BB244_13 Depth=1
	v_and_b32_e32 v9, 7, v1
	v_ffbh_u32_e32 v3, v9
	v_min_u32_e32 v11, 32, v3
	v_subrev_u32_e32 v3, 28, v11
	v_lshlrev_b64 v[3:4], v3, v[1:2]
	v_lshrrev_b32_e32 v10, 3, v0
	v_sub_u32_e32 v4, 29, v11
	v_cmp_gt_u32_e64 s[4:5], 8, v0
	v_cndmask_b32_e64 v0, v10, v4, s[4:5]
	v_mov_b32_e32 v10, 0x2000
	v_lshl_add_u32 v0, v0, 10, v10
	v_lshlrev_b32_e32 v4, 8, v1
	v_and_b32_e32 v3, 7, v3
	v_and_b32_e32 v0, 0xfc00, v0
	v_cndmask_b32_e64 v3, v9, v3, s[4:5]
	v_and_or_b32 v0, v4, s54, v0
	v_lshl_or_b32 v0, v3, 7, v0
	buffer_store_dword v0, off, s[56:59], 0 offset:44 ; 4-byte Folded Spill
.LBB244_130:                            ;   in Loop: Header=BB244_13 Depth=1
	s_or_b64 exec, exec, s[44:45]
.LBB244_131:                            ;   in Loop: Header=BB244_13 Depth=1
	s_or_b64 exec, exec, s[42:43]
.LBB244_132:                            ;   in Loop: Header=BB244_13 Depth=1
	s_or_b64 exec, exec, s[40:41]
	v_lshrrev_b16_e32 v1, 8, v1
	v_cmp_ne_u16_e64 s[4:5], 0, v1
	s_and_saveexec_b64 s[40:41], s[4:5]
	s_cbranch_execz .LBB244_138
; %bb.133:                              ;   in Loop: Header=BB244_13 Depth=1
	v_cmp_ne_u16_e64 s[4:5], s52, v1
	v_bfrev_b32_e32 v34, 1
	s_and_saveexec_b64 s[42:43], s[4:5]
	s_cbranch_execz .LBB244_137
; %bb.134:                              ;   in Loop: Header=BB244_13 Depth=1
	v_and_b32_e32 v0, 0x7f, v1
	v_cmp_ne_u32_e64 s[4:5], s53, v0
	v_mov_b32_e32 v34, 0x7c010000
	s_and_saveexec_b64 s[44:45], s[4:5]
	s_cbranch_execz .LBB244_136
; %bb.135:                              ;   in Loop: Header=BB244_13 Depth=1
	v_and_b32_e32 v9, 7, v1
	v_ffbh_u32_e32 v3, v9
	v_min_u32_e32 v11, 32, v3
	v_subrev_u32_e32 v3, 28, v11
	v_lshlrev_b64 v[3:4], v3, v[1:2]
	v_lshrrev_b32_e32 v10, 3, v0
	v_sub_u32_e32 v4, 29, v11
	v_cmp_gt_u32_e64 s[4:5], 8, v0
	v_cndmask_b32_e64 v0, v10, v4, s[4:5]
	v_mov_b32_e32 v4, 0x2000
	v_lshlrev_b32_e32 v1, 8, v1
	v_lshl_add_u32 v0, v0, 10, v4
	v_and_b32_e32 v3, 7, v3
	v_and_or_b32 v0, v1, s54, v0
	v_cndmask_b32_e64 v3, v9, v3, s[4:5]
	v_lshlrev_b32_e32 v0, 16, v0
	v_lshl_or_b32 v34, v3, 23, v0
.LBB244_136:                            ;   in Loop: Header=BB244_13 Depth=1
	s_or_b64 exec, exec, s[44:45]
.LBB244_137:                            ;   in Loop: Header=BB244_13 Depth=1
	s_or_b64 exec, exec, s[42:43]
.LBB244_138:                            ;   in Loop: Header=BB244_13 Depth=1
	s_or_b64 exec, exec, s[40:41]
	global_load_ushort v0, v[7:8], off offset:1280
	v_mov_b32_e32 v44, 0
	s_waitcnt vmcnt(0)
	v_and_b32_e32 v1, 0xffff, v0
	v_cmp_ne_u16_sdwa s[4:5], v0, v2 src0_sel:BYTE_0 src1_sel:DWORD
	v_mov_b32_e32 v0, 0
	buffer_store_dword v0, off, s[56:59], 0 offset:48 ; 4-byte Folded Spill
	s_and_saveexec_b64 s[40:41], s[4:5]
	s_cbranch_execz .LBB244_144
; %bb.139:                              ;   in Loop: Header=BB244_13 Depth=1
	v_cmp_ne_u16_sdwa s[4:5], v1, s52 src0_sel:BYTE_0 src1_sel:DWORD
	v_mov_b32_e32 v0, 0x8000
	buffer_store_dword v0, off, s[56:59], 0 offset:48 ; 4-byte Folded Spill
	s_and_saveexec_b64 s[42:43], s[4:5]
	s_cbranch_execz .LBB244_143
; %bb.140:                              ;   in Loop: Header=BB244_13 Depth=1
	v_and_b32_e32 v0, 0x7f, v1
	v_cmp_ne_u32_e64 s[4:5], s53, v0
	v_mov_b32_e32 v3, 0x7c01
	buffer_store_dword v3, off, s[56:59], 0 offset:48 ; 4-byte Folded Spill
	s_and_saveexec_b64 s[44:45], s[4:5]
	s_cbranch_execz .LBB244_142
; %bb.141:                              ;   in Loop: Header=BB244_13 Depth=1
	v_and_b32_e32 v9, 7, v1
	v_ffbh_u32_e32 v3, v9
	v_min_u32_e32 v11, 32, v3
	v_subrev_u32_e32 v3, 28, v11
	v_lshlrev_b64 v[3:4], v3, v[1:2]
	v_lshrrev_b32_e32 v10, 3, v0
	v_sub_u32_e32 v4, 29, v11
	v_cmp_gt_u32_e64 s[4:5], 8, v0
	v_cndmask_b32_e64 v0, v10, v4, s[4:5]
	v_mov_b32_e32 v10, 0x2000
	v_lshl_add_u32 v0, v0, 10, v10
	v_lshlrev_b32_e32 v4, 8, v1
	v_and_b32_e32 v3, 7, v3
	v_and_b32_e32 v0, 0xfc00, v0
	v_cndmask_b32_e64 v3, v9, v3, s[4:5]
	v_and_or_b32 v0, v4, s54, v0
	v_lshl_or_b32 v0, v3, 7, v0
	buffer_store_dword v0, off, s[56:59], 0 offset:48 ; 4-byte Folded Spill
.LBB244_142:                            ;   in Loop: Header=BB244_13 Depth=1
	s_or_b64 exec, exec, s[44:45]
.LBB244_143:                            ;   in Loop: Header=BB244_13 Depth=1
	s_or_b64 exec, exec, s[42:43]
.LBB244_144:                            ;   in Loop: Header=BB244_13 Depth=1
	s_or_b64 exec, exec, s[40:41]
	v_lshrrev_b16_e32 v1, 8, v1
	v_cmp_ne_u16_e64 s[4:5], 0, v1
	s_and_saveexec_b64 s[40:41], s[4:5]
	s_cbranch_execz .LBB244_150
; %bb.145:                              ;   in Loop: Header=BB244_13 Depth=1
	v_cmp_ne_u16_e64 s[4:5], s52, v1
	v_bfrev_b32_e32 v44, 1
	s_and_saveexec_b64 s[42:43], s[4:5]
	s_cbranch_execz .LBB244_149
; %bb.146:                              ;   in Loop: Header=BB244_13 Depth=1
	v_and_b32_e32 v0, 0x7f, v1
	v_cmp_ne_u32_e64 s[4:5], s53, v0
	v_mov_b32_e32 v44, 0x7c010000
	s_and_saveexec_b64 s[44:45], s[4:5]
	s_cbranch_execz .LBB244_148
; %bb.147:                              ;   in Loop: Header=BB244_13 Depth=1
	v_and_b32_e32 v9, 7, v1
	v_ffbh_u32_e32 v3, v9
	v_min_u32_e32 v11, 32, v3
	v_subrev_u32_e32 v3, 28, v11
	v_lshlrev_b64 v[3:4], v3, v[1:2]
	v_lshrrev_b32_e32 v10, 3, v0
	v_sub_u32_e32 v4, 29, v11
	v_cmp_gt_u32_e64 s[4:5], 8, v0
	v_cndmask_b32_e64 v0, v10, v4, s[4:5]
	v_mov_b32_e32 v4, 0x2000
	v_lshlrev_b32_e32 v1, 8, v1
	v_lshl_add_u32 v0, v0, 10, v4
	v_and_b32_e32 v3, 7, v3
	v_and_or_b32 v0, v1, s54, v0
	v_cndmask_b32_e64 v3, v9, v3, s[4:5]
	v_lshlrev_b32_e32 v0, 16, v0
	v_lshl_or_b32 v44, v3, 23, v0
.LBB244_148:                            ;   in Loop: Header=BB244_13 Depth=1
	s_or_b64 exec, exec, s[44:45]
.LBB244_149:                            ;   in Loop: Header=BB244_13 Depth=1
	s_or_b64 exec, exec, s[42:43]
.LBB244_150:                            ;   in Loop: Header=BB244_13 Depth=1
	s_or_b64 exec, exec, s[40:41]
	global_load_ushort v0, v[7:8], off offset:1288
	v_mov_b32_e32 v46, 0
	v_mov_b32_e32 v47, 0
	s_waitcnt vmcnt(0)
	v_and_b32_e32 v1, 0xffff, v0
	v_cmp_ne_u16_sdwa s[4:5], v0, v2 src0_sel:BYTE_0 src1_sel:DWORD
	s_and_saveexec_b64 s[40:41], s[4:5]
	s_cbranch_execz .LBB244_156
; %bb.151:                              ;   in Loop: Header=BB244_13 Depth=1
	v_cmp_ne_u16_sdwa s[4:5], v1, s52 src0_sel:BYTE_0 src1_sel:DWORD
	v_mov_b32_e32 v47, 0x8000
	s_and_saveexec_b64 s[42:43], s[4:5]
	s_cbranch_execz .LBB244_155
; %bb.152:                              ;   in Loop: Header=BB244_13 Depth=1
	v_and_b32_e32 v0, 0x7f, v1
	v_cmp_ne_u32_e64 s[4:5], s53, v0
	v_mov_b32_e32 v47, 0x7c01
	s_and_saveexec_b64 s[44:45], s[4:5]
	s_cbranch_execz .LBB244_154
; %bb.153:                              ;   in Loop: Header=BB244_13 Depth=1
	v_and_b32_e32 v9, 7, v1
	v_ffbh_u32_e32 v3, v9
	v_min_u32_e32 v11, 32, v3
	v_subrev_u32_e32 v3, 28, v11
	v_lshlrev_b64 v[3:4], v3, v[1:2]
	v_lshrrev_b32_e32 v10, 3, v0
	v_sub_u32_e32 v4, 29, v11
	v_cmp_gt_u32_e64 s[4:5], 8, v0
	v_cndmask_b32_e64 v0, v10, v4, s[4:5]
	v_mov_b32_e32 v10, 0x2000
	v_lshl_add_u32 v0, v0, 10, v10
	v_lshlrev_b32_e32 v4, 8, v1
	v_and_b32_e32 v3, 7, v3
	v_and_b32_e32 v0, 0xfc00, v0
	v_cndmask_b32_e64 v3, v9, v3, s[4:5]
	v_and_or_b32 v0, v4, s54, v0
	v_lshl_or_b32 v47, v3, 7, v0
.LBB244_154:                            ;   in Loop: Header=BB244_13 Depth=1
	s_or_b64 exec, exec, s[44:45]
.LBB244_155:                            ;   in Loop: Header=BB244_13 Depth=1
	s_or_b64 exec, exec, s[42:43]
.LBB244_156:                            ;   in Loop: Header=BB244_13 Depth=1
	s_or_b64 exec, exec, s[40:41]
	v_lshrrev_b16_e32 v1, 8, v1
	v_cmp_ne_u16_e64 s[4:5], 0, v1
	s_and_saveexec_b64 s[40:41], s[4:5]
	s_cbranch_execz .LBB244_162
; %bb.157:                              ;   in Loop: Header=BB244_13 Depth=1
	v_cmp_ne_u16_e64 s[4:5], s52, v1
	v_bfrev_b32_e32 v46, 1
	s_and_saveexec_b64 s[42:43], s[4:5]
	s_cbranch_execz .LBB244_161
; %bb.158:                              ;   in Loop: Header=BB244_13 Depth=1
	v_and_b32_e32 v0, 0x7f, v1
	v_cmp_ne_u32_e64 s[4:5], s53, v0
	v_mov_b32_e32 v46, 0x7c010000
	s_and_saveexec_b64 s[44:45], s[4:5]
	s_cbranch_execz .LBB244_160
; %bb.159:                              ;   in Loop: Header=BB244_13 Depth=1
	v_and_b32_e32 v9, 7, v1
	v_ffbh_u32_e32 v3, v9
	v_min_u32_e32 v11, 32, v3
	v_subrev_u32_e32 v3, 28, v11
	v_lshlrev_b64 v[3:4], v3, v[1:2]
	v_lshrrev_b32_e32 v10, 3, v0
	v_sub_u32_e32 v4, 29, v11
	v_cmp_gt_u32_e64 s[4:5], 8, v0
	v_cndmask_b32_e64 v0, v10, v4, s[4:5]
	v_mov_b32_e32 v4, 0x2000
	v_lshlrev_b32_e32 v1, 8, v1
	v_lshl_add_u32 v0, v0, 10, v4
	v_and_b32_e32 v3, 7, v3
	v_and_or_b32 v0, v1, s54, v0
	v_cndmask_b32_e64 v3, v9, v3, s[4:5]
	v_lshlrev_b32_e32 v0, 16, v0
	v_lshl_or_b32 v46, v3, 23, v0
.LBB244_160:                            ;   in Loop: Header=BB244_13 Depth=1
	s_or_b64 exec, exec, s[44:45]
.LBB244_161:                            ;   in Loop: Header=BB244_13 Depth=1
	s_or_b64 exec, exec, s[42:43]
.LBB244_162:                            ;   in Loop: Header=BB244_13 Depth=1
	s_or_b64 exec, exec, s[40:41]
	global_load_ushort v0, v[7:8], off offset:1536
	v_mov_b32_e32 v48, 0
	v_mov_b32_e32 v40, 0
	s_waitcnt vmcnt(0)
	v_and_b32_e32 v1, 0xffff, v0
	v_cmp_ne_u16_sdwa s[4:5], v0, v2 src0_sel:BYTE_0 src1_sel:DWORD
	s_and_saveexec_b64 s[40:41], s[4:5]
	s_cbranch_execz .LBB244_168
; %bb.163:                              ;   in Loop: Header=BB244_13 Depth=1
	v_cmp_ne_u16_sdwa s[4:5], v1, s52 src0_sel:BYTE_0 src1_sel:DWORD
	v_mov_b32_e32 v40, 0x8000
	s_and_saveexec_b64 s[42:43], s[4:5]
	s_cbranch_execz .LBB244_167
; %bb.164:                              ;   in Loop: Header=BB244_13 Depth=1
	v_and_b32_e32 v0, 0x7f, v1
	v_cmp_ne_u32_e64 s[4:5], s53, v0
	v_mov_b32_e32 v40, 0x7c01
	s_and_saveexec_b64 s[44:45], s[4:5]
	s_cbranch_execz .LBB244_166
; %bb.165:                              ;   in Loop: Header=BB244_13 Depth=1
	v_and_b32_e32 v9, 7, v1
	v_ffbh_u32_e32 v3, v9
	v_min_u32_e32 v11, 32, v3
	v_subrev_u32_e32 v3, 28, v11
	v_lshlrev_b64 v[3:4], v3, v[1:2]
	v_lshrrev_b32_e32 v10, 3, v0
	v_sub_u32_e32 v4, 29, v11
	v_cmp_gt_u32_e64 s[4:5], 8, v0
	v_cndmask_b32_e64 v0, v10, v4, s[4:5]
	v_mov_b32_e32 v10, 0x2000
	v_lshl_add_u32 v0, v0, 10, v10
	v_lshlrev_b32_e32 v4, 8, v1
	v_and_b32_e32 v3, 7, v3
	v_and_b32_e32 v0, 0xfc00, v0
	v_cndmask_b32_e64 v3, v9, v3, s[4:5]
	v_and_or_b32 v0, v4, s54, v0
	v_lshl_or_b32 v40, v3, 7, v0
.LBB244_166:                            ;   in Loop: Header=BB244_13 Depth=1
	s_or_b64 exec, exec, s[44:45]
.LBB244_167:                            ;   in Loop: Header=BB244_13 Depth=1
	s_or_b64 exec, exec, s[42:43]
.LBB244_168:                            ;   in Loop: Header=BB244_13 Depth=1
	s_or_b64 exec, exec, s[40:41]
	v_lshrrev_b16_e32 v1, 8, v1
	v_cmp_ne_u16_e64 s[4:5], 0, v1
	s_and_saveexec_b64 s[40:41], s[4:5]
	s_cbranch_execz .LBB244_174
; %bb.169:                              ;   in Loop: Header=BB244_13 Depth=1
	v_cmp_ne_u16_e64 s[4:5], s52, v1
	v_bfrev_b32_e32 v48, 1
	s_and_saveexec_b64 s[42:43], s[4:5]
	s_cbranch_execz .LBB244_173
; %bb.170:                              ;   in Loop: Header=BB244_13 Depth=1
	v_and_b32_e32 v0, 0x7f, v1
	v_cmp_ne_u32_e64 s[4:5], s53, v0
	v_mov_b32_e32 v48, 0x7c010000
	s_and_saveexec_b64 s[44:45], s[4:5]
	s_cbranch_execz .LBB244_172
; %bb.171:                              ;   in Loop: Header=BB244_13 Depth=1
	v_and_b32_e32 v9, 7, v1
	v_ffbh_u32_e32 v3, v9
	v_min_u32_e32 v11, 32, v3
	v_subrev_u32_e32 v3, 28, v11
	v_lshlrev_b64 v[3:4], v3, v[1:2]
	v_lshrrev_b32_e32 v10, 3, v0
	v_sub_u32_e32 v4, 29, v11
	v_cmp_gt_u32_e64 s[4:5], 8, v0
	v_cndmask_b32_e64 v0, v10, v4, s[4:5]
	v_mov_b32_e32 v4, 0x2000
	v_lshlrev_b32_e32 v1, 8, v1
	v_lshl_add_u32 v0, v0, 10, v4
	v_and_b32_e32 v3, 7, v3
	v_and_or_b32 v0, v1, s54, v0
	v_cndmask_b32_e64 v3, v9, v3, s[4:5]
	v_lshlrev_b32_e32 v0, 16, v0
	v_lshl_or_b32 v48, v3, 23, v0
.LBB244_172:                            ;   in Loop: Header=BB244_13 Depth=1
	s_or_b64 exec, exec, s[44:45]
.LBB244_173:                            ;   in Loop: Header=BB244_13 Depth=1
	s_or_b64 exec, exec, s[42:43]
.LBB244_174:                            ;   in Loop: Header=BB244_13 Depth=1
	s_or_b64 exec, exec, s[40:41]
	global_load_ushort v0, v[7:8], off offset:1544
	v_mov_b32_e32 v50, 0
	s_waitcnt vmcnt(0)
	v_and_b32_e32 v1, 0xffff, v0
	v_cmp_ne_u16_sdwa s[4:5], v0, v2 src0_sel:BYTE_0 src1_sel:DWORD
	v_mov_b32_e32 v0, 0
	buffer_store_dword v0, off, s[56:59], 0 offset:56 ; 4-byte Folded Spill
	s_and_saveexec_b64 s[40:41], s[4:5]
	s_cbranch_execz .LBB244_180
; %bb.175:                              ;   in Loop: Header=BB244_13 Depth=1
	v_cmp_ne_u16_sdwa s[4:5], v1, s52 src0_sel:BYTE_0 src1_sel:DWORD
	v_mov_b32_e32 v0, 0x8000
	buffer_store_dword v0, off, s[56:59], 0 offset:56 ; 4-byte Folded Spill
	s_and_saveexec_b64 s[42:43], s[4:5]
	s_cbranch_execz .LBB244_179
; %bb.176:                              ;   in Loop: Header=BB244_13 Depth=1
	v_and_b32_e32 v0, 0x7f, v1
	v_cmp_ne_u32_e64 s[4:5], s53, v0
	v_mov_b32_e32 v3, 0x7c01
	buffer_store_dword v3, off, s[56:59], 0 offset:56 ; 4-byte Folded Spill
	s_and_saveexec_b64 s[44:45], s[4:5]
	s_cbranch_execz .LBB244_178
; %bb.177:                              ;   in Loop: Header=BB244_13 Depth=1
	v_and_b32_e32 v9, 7, v1
	v_ffbh_u32_e32 v3, v9
	v_min_u32_e32 v11, 32, v3
	v_subrev_u32_e32 v3, 28, v11
	v_lshlrev_b64 v[3:4], v3, v[1:2]
	v_lshrrev_b32_e32 v10, 3, v0
	v_sub_u32_e32 v4, 29, v11
	v_cmp_gt_u32_e64 s[4:5], 8, v0
	v_cndmask_b32_e64 v0, v10, v4, s[4:5]
	v_mov_b32_e32 v10, 0x2000
	v_lshl_add_u32 v0, v0, 10, v10
	v_lshlrev_b32_e32 v4, 8, v1
	v_and_b32_e32 v3, 7, v3
	v_and_b32_e32 v0, 0xfc00, v0
	v_cndmask_b32_e64 v3, v9, v3, s[4:5]
	v_and_or_b32 v0, v4, s54, v0
	v_lshl_or_b32 v0, v3, 7, v0
	buffer_store_dword v0, off, s[56:59], 0 offset:56 ; 4-byte Folded Spill
.LBB244_178:                            ;   in Loop: Header=BB244_13 Depth=1
	s_or_b64 exec, exec, s[44:45]
.LBB244_179:                            ;   in Loop: Header=BB244_13 Depth=1
	s_or_b64 exec, exec, s[42:43]
.LBB244_180:                            ;   in Loop: Header=BB244_13 Depth=1
	s_or_b64 exec, exec, s[40:41]
	v_lshrrev_b16_e32 v1, 8, v1
	v_cmp_ne_u16_e64 s[4:5], 0, v1
	s_and_saveexec_b64 s[40:41], s[4:5]
	s_cbranch_execz .LBB244_186
; %bb.181:                              ;   in Loop: Header=BB244_13 Depth=1
	v_cmp_ne_u16_e64 s[4:5], s52, v1
	v_bfrev_b32_e32 v50, 1
	s_and_saveexec_b64 s[42:43], s[4:5]
	s_cbranch_execz .LBB244_185
; %bb.182:                              ;   in Loop: Header=BB244_13 Depth=1
	v_and_b32_e32 v0, 0x7f, v1
	v_cmp_ne_u32_e64 s[4:5], s53, v0
	v_mov_b32_e32 v50, 0x7c010000
	s_and_saveexec_b64 s[44:45], s[4:5]
	s_cbranch_execz .LBB244_184
; %bb.183:                              ;   in Loop: Header=BB244_13 Depth=1
	v_and_b32_e32 v9, 7, v1
	v_ffbh_u32_e32 v3, v9
	v_min_u32_e32 v11, 32, v3
	v_subrev_u32_e32 v3, 28, v11
	v_lshlrev_b64 v[3:4], v3, v[1:2]
	v_lshrrev_b32_e32 v10, 3, v0
	v_sub_u32_e32 v4, 29, v11
	v_cmp_gt_u32_e64 s[4:5], 8, v0
	v_cndmask_b32_e64 v0, v10, v4, s[4:5]
	v_mov_b32_e32 v4, 0x2000
	v_lshlrev_b32_e32 v1, 8, v1
	v_lshl_add_u32 v0, v0, 10, v4
	v_and_b32_e32 v3, 7, v3
	v_and_or_b32 v0, v1, s54, v0
	v_cndmask_b32_e64 v3, v9, v3, s[4:5]
	v_lshlrev_b32_e32 v0, 16, v0
	v_lshl_or_b32 v50, v3, 23, v0
.LBB244_184:                            ;   in Loop: Header=BB244_13 Depth=1
	s_or_b64 exec, exec, s[44:45]
.LBB244_185:                            ;   in Loop: Header=BB244_13 Depth=1
	s_or_b64 exec, exec, s[42:43]
.LBB244_186:                            ;   in Loop: Header=BB244_13 Depth=1
	s_or_b64 exec, exec, s[40:41]
	global_load_ushort v0, v[7:8], off offset:1792
	v_mov_b32_e32 v54, 0
	s_waitcnt vmcnt(0)
	v_and_b32_e32 v1, 0xffff, v0
	v_cmp_ne_u16_sdwa s[4:5], v0, v2 src0_sel:BYTE_0 src1_sel:DWORD
	v_mov_b32_e32 v0, 0
	buffer_store_dword v0, off, s[56:59], 0 offset:60 ; 4-byte Folded Spill
	s_and_saveexec_b64 s[40:41], s[4:5]
	s_cbranch_execz .LBB244_192
; %bb.187:                              ;   in Loop: Header=BB244_13 Depth=1
	v_cmp_ne_u16_sdwa s[4:5], v1, s52 src0_sel:BYTE_0 src1_sel:DWORD
	v_mov_b32_e32 v0, 0x8000
	buffer_store_dword v0, off, s[56:59], 0 offset:60 ; 4-byte Folded Spill
	s_and_saveexec_b64 s[42:43], s[4:5]
	s_cbranch_execz .LBB244_191
; %bb.188:                              ;   in Loop: Header=BB244_13 Depth=1
	v_and_b32_e32 v0, 0x7f, v1
	v_cmp_ne_u32_e64 s[4:5], s53, v0
	v_mov_b32_e32 v3, 0x7c01
	buffer_store_dword v3, off, s[56:59], 0 offset:60 ; 4-byte Folded Spill
	s_and_saveexec_b64 s[44:45], s[4:5]
	s_cbranch_execz .LBB244_190
; %bb.189:                              ;   in Loop: Header=BB244_13 Depth=1
	v_and_b32_e32 v9, 7, v1
	v_ffbh_u32_e32 v3, v9
	v_min_u32_e32 v11, 32, v3
	v_subrev_u32_e32 v3, 28, v11
	v_lshlrev_b64 v[3:4], v3, v[1:2]
	v_lshrrev_b32_e32 v10, 3, v0
	v_sub_u32_e32 v4, 29, v11
	v_cmp_gt_u32_e64 s[4:5], 8, v0
	v_cndmask_b32_e64 v0, v10, v4, s[4:5]
	v_mov_b32_e32 v10, 0x2000
	v_lshl_add_u32 v0, v0, 10, v10
	v_lshlrev_b32_e32 v4, 8, v1
	v_and_b32_e32 v3, 7, v3
	v_and_b32_e32 v0, 0xfc00, v0
	v_cndmask_b32_e64 v3, v9, v3, s[4:5]
	v_and_or_b32 v0, v4, s54, v0
	v_lshl_or_b32 v0, v3, 7, v0
	buffer_store_dword v0, off, s[56:59], 0 offset:60 ; 4-byte Folded Spill
.LBB244_190:                            ;   in Loop: Header=BB244_13 Depth=1
	s_or_b64 exec, exec, s[44:45]
.LBB244_191:                            ;   in Loop: Header=BB244_13 Depth=1
	s_or_b64 exec, exec, s[42:43]
.LBB244_192:                            ;   in Loop: Header=BB244_13 Depth=1
	s_or_b64 exec, exec, s[40:41]
	v_lshrrev_b16_e32 v1, 8, v1
	v_cmp_ne_u16_e64 s[4:5], 0, v1
	s_and_saveexec_b64 s[40:41], s[4:5]
	s_cbranch_execz .LBB244_198
; %bb.193:                              ;   in Loop: Header=BB244_13 Depth=1
	v_cmp_ne_u16_e64 s[4:5], s52, v1
	v_bfrev_b32_e32 v54, 1
	s_and_saveexec_b64 s[42:43], s[4:5]
	s_cbranch_execz .LBB244_197
; %bb.194:                              ;   in Loop: Header=BB244_13 Depth=1
	v_and_b32_e32 v0, 0x7f, v1
	v_cmp_ne_u32_e64 s[4:5], s53, v0
	v_mov_b32_e32 v54, 0x7c010000
	s_and_saveexec_b64 s[44:45], s[4:5]
	s_cbranch_execz .LBB244_196
; %bb.195:                              ;   in Loop: Header=BB244_13 Depth=1
	v_and_b32_e32 v9, 7, v1
	v_ffbh_u32_e32 v3, v9
	v_min_u32_e32 v11, 32, v3
	v_subrev_u32_e32 v3, 28, v11
	v_lshlrev_b64 v[3:4], v3, v[1:2]
	v_lshrrev_b32_e32 v10, 3, v0
	v_sub_u32_e32 v4, 29, v11
	v_cmp_gt_u32_e64 s[4:5], 8, v0
	v_cndmask_b32_e64 v0, v10, v4, s[4:5]
	v_mov_b32_e32 v4, 0x2000
	v_lshlrev_b32_e32 v1, 8, v1
	v_lshl_add_u32 v0, v0, 10, v4
	v_and_b32_e32 v3, 7, v3
	v_and_or_b32 v0, v1, s54, v0
	v_cndmask_b32_e64 v3, v9, v3, s[4:5]
	v_lshlrev_b32_e32 v0, 16, v0
	v_lshl_or_b32 v54, v3, 23, v0
.LBB244_196:                            ;   in Loop: Header=BB244_13 Depth=1
	s_or_b64 exec, exec, s[44:45]
.LBB244_197:                            ;   in Loop: Header=BB244_13 Depth=1
	s_or_b64 exec, exec, s[42:43]
.LBB244_198:                            ;   in Loop: Header=BB244_13 Depth=1
	s_or_b64 exec, exec, s[40:41]
	global_load_ushort v0, v[7:8], off offset:1800
	v_mov_b32_e32 v55, 0
	v_mov_b32_e32 v49, 0
	s_waitcnt vmcnt(0)
	v_and_b32_e32 v1, 0xffff, v0
	v_cmp_ne_u16_sdwa s[4:5], v0, v2 src0_sel:BYTE_0 src1_sel:DWORD
	s_and_saveexec_b64 s[40:41], s[4:5]
	s_cbranch_execz .LBB244_204
; %bb.199:                              ;   in Loop: Header=BB244_13 Depth=1
	v_cmp_ne_u16_sdwa s[4:5], v1, s52 src0_sel:BYTE_0 src1_sel:DWORD
	v_mov_b32_e32 v49, 0x8000
	s_and_saveexec_b64 s[42:43], s[4:5]
	s_cbranch_execz .LBB244_203
; %bb.200:                              ;   in Loop: Header=BB244_13 Depth=1
	v_and_b32_e32 v0, 0x7f, v1
	v_cmp_ne_u32_e64 s[4:5], s53, v0
	v_mov_b32_e32 v49, 0x7c01
	s_and_saveexec_b64 s[44:45], s[4:5]
	s_cbranch_execz .LBB244_202
; %bb.201:                              ;   in Loop: Header=BB244_13 Depth=1
	v_and_b32_e32 v9, 7, v1
	v_ffbh_u32_e32 v3, v9
	v_min_u32_e32 v11, 32, v3
	v_subrev_u32_e32 v3, 28, v11
	v_lshlrev_b64 v[3:4], v3, v[1:2]
	v_lshrrev_b32_e32 v10, 3, v0
	v_sub_u32_e32 v4, 29, v11
	v_cmp_gt_u32_e64 s[4:5], 8, v0
	v_cndmask_b32_e64 v0, v10, v4, s[4:5]
	v_mov_b32_e32 v10, 0x2000
	v_lshl_add_u32 v0, v0, 10, v10
	v_lshlrev_b32_e32 v4, 8, v1
	v_and_b32_e32 v3, 7, v3
	v_and_b32_e32 v0, 0xfc00, v0
	v_cndmask_b32_e64 v3, v9, v3, s[4:5]
	v_and_or_b32 v0, v4, s54, v0
	v_lshl_or_b32 v49, v3, 7, v0
.LBB244_202:                            ;   in Loop: Header=BB244_13 Depth=1
	s_or_b64 exec, exec, s[44:45]
.LBB244_203:                            ;   in Loop: Header=BB244_13 Depth=1
	s_or_b64 exec, exec, s[42:43]
.LBB244_204:                            ;   in Loop: Header=BB244_13 Depth=1
	s_or_b64 exec, exec, s[40:41]
	v_lshrrev_b16_e32 v1, 8, v1
	v_cmp_ne_u16_e64 s[4:5], 0, v1
	s_and_saveexec_b64 s[40:41], s[4:5]
	s_cbranch_execz .LBB244_210
; %bb.205:                              ;   in Loop: Header=BB244_13 Depth=1
	v_cmp_ne_u16_e64 s[4:5], s52, v1
	v_bfrev_b32_e32 v55, 1
	s_and_saveexec_b64 s[42:43], s[4:5]
	s_cbranch_execz .LBB244_209
; %bb.206:                              ;   in Loop: Header=BB244_13 Depth=1
	v_and_b32_e32 v0, 0x7f, v1
	v_cmp_ne_u32_e64 s[4:5], s53, v0
	v_mov_b32_e32 v55, 0x7c010000
	s_and_saveexec_b64 s[44:45], s[4:5]
	s_cbranch_execz .LBB244_208
; %bb.207:                              ;   in Loop: Header=BB244_13 Depth=1
	v_and_b32_e32 v9, 7, v1
	v_ffbh_u32_e32 v3, v9
	v_min_u32_e32 v11, 32, v3
	v_subrev_u32_e32 v3, 28, v11
	v_lshlrev_b64 v[3:4], v3, v[1:2]
	v_lshrrev_b32_e32 v10, 3, v0
	v_sub_u32_e32 v4, 29, v11
	v_cmp_gt_u32_e64 s[4:5], 8, v0
	v_cndmask_b32_e64 v0, v10, v4, s[4:5]
	v_mov_b32_e32 v4, 0x2000
	v_lshlrev_b32_e32 v1, 8, v1
	v_lshl_add_u32 v0, v0, 10, v4
	v_and_b32_e32 v3, 7, v3
	v_and_or_b32 v0, v1, s54, v0
	v_cndmask_b32_e64 v3, v9, v3, s[4:5]
	v_lshlrev_b32_e32 v0, 16, v0
	v_lshl_or_b32 v55, v3, 23, v0
.LBB244_208:                            ;   in Loop: Header=BB244_13 Depth=1
	s_or_b64 exec, exec, s[44:45]
.LBB244_209:                            ;   in Loop: Header=BB244_13 Depth=1
	s_or_b64 exec, exec, s[42:43]
.LBB244_210:                            ;   in Loop: Header=BB244_13 Depth=1
	s_or_b64 exec, exec, s[40:41]
	global_load_ushort v0, v[7:8], off offset:2048
	v_mov_b32_e32 v56, 0
	v_mov_b32_e32 v45, 0
	s_waitcnt vmcnt(0)
	v_and_b32_e32 v1, 0xffff, v0
	v_cmp_ne_u16_sdwa s[4:5], v0, v2 src0_sel:BYTE_0 src1_sel:DWORD
	s_and_saveexec_b64 s[40:41], s[4:5]
	s_cbranch_execz .LBB244_216
; %bb.211:                              ;   in Loop: Header=BB244_13 Depth=1
	v_cmp_ne_u16_sdwa s[4:5], v1, s52 src0_sel:BYTE_0 src1_sel:DWORD
	v_mov_b32_e32 v45, 0x8000
	s_and_saveexec_b64 s[42:43], s[4:5]
	s_cbranch_execz .LBB244_215
; %bb.212:                              ;   in Loop: Header=BB244_13 Depth=1
	v_and_b32_e32 v0, 0x7f, v1
	v_cmp_ne_u32_e64 s[4:5], s53, v0
	v_mov_b32_e32 v45, 0x7c01
	s_and_saveexec_b64 s[44:45], s[4:5]
	s_cbranch_execz .LBB244_214
; %bb.213:                              ;   in Loop: Header=BB244_13 Depth=1
	v_and_b32_e32 v9, 7, v1
	v_lshrrev_b32_e32 v10, 3, v0
	v_cmp_gt_u32_e64 s[4:5], 8, v0
	v_ffbh_u32_e32 v0, v9
	v_min_u32_e32 v0, 32, v0
	v_subrev_u32_e32 v3, 28, v0
	v_sub_u32_e32 v0, 29, v0
	v_lshlrev_b64 v[3:4], v3, v[1:2]
	v_cndmask_b32_e64 v0, v10, v0, s[4:5]
	v_mov_b32_e32 v10, 0x2000
	v_lshl_add_u32 v0, v0, 10, v10
	v_lshlrev_b32_e32 v4, 8, v1
	v_and_b32_e32 v3, 7, v3
	v_and_b32_e32 v0, 0xfc00, v0
	v_cndmask_b32_e64 v3, v9, v3, s[4:5]
	v_and_or_b32 v0, v4, s54, v0
	v_lshl_or_b32 v45, v3, 7, v0
.LBB244_214:                            ;   in Loop: Header=BB244_13 Depth=1
	s_or_b64 exec, exec, s[44:45]
.LBB244_215:                            ;   in Loop: Header=BB244_13 Depth=1
	s_or_b64 exec, exec, s[42:43]
.LBB244_216:                            ;   in Loop: Header=BB244_13 Depth=1
	s_or_b64 exec, exec, s[40:41]
	v_lshrrev_b16_e32 v1, 8, v1
	v_cmp_ne_u16_e64 s[4:5], 0, v1
	s_and_saveexec_b64 s[40:41], s[4:5]
	s_cbranch_execz .LBB244_222
; %bb.217:                              ;   in Loop: Header=BB244_13 Depth=1
	v_cmp_ne_u16_e64 s[4:5], s52, v1
	v_bfrev_b32_e32 v56, 1
	s_and_saveexec_b64 s[42:43], s[4:5]
	s_cbranch_execz .LBB244_221
; %bb.218:                              ;   in Loop: Header=BB244_13 Depth=1
	v_and_b32_e32 v0, 0x7f, v1
	v_cmp_ne_u32_e64 s[4:5], s53, v0
	v_mov_b32_e32 v56, 0x7c010000
	s_and_saveexec_b64 s[44:45], s[4:5]
	s_cbranch_execz .LBB244_220
; %bb.219:                              ;   in Loop: Header=BB244_13 Depth=1
	v_and_b32_e32 v9, 7, v1
	v_lshrrev_b32_e32 v10, 3, v0
	v_cmp_gt_u32_e64 s[4:5], 8, v0
	v_ffbh_u32_e32 v0, v9
	v_min_u32_e32 v0, 32, v0
	v_subrev_u32_e32 v3, 28, v0
	v_lshlrev_b64 v[3:4], v3, v[1:2]
	v_sub_u32_e32 v0, 29, v0
	v_cndmask_b32_e64 v0, v10, v0, s[4:5]
	v_mov_b32_e32 v4, 0x2000
	v_lshlrev_b32_e32 v1, 8, v1
	v_lshl_add_u32 v0, v0, 10, v4
	v_and_b32_e32 v3, 7, v3
	v_and_or_b32 v0, v1, s54, v0
	v_cndmask_b32_e64 v3, v9, v3, s[4:5]
	v_lshlrev_b32_e32 v0, 16, v0
	v_lshl_or_b32 v56, v3, 23, v0
.LBB244_220:                            ;   in Loop: Header=BB244_13 Depth=1
	s_or_b64 exec, exec, s[44:45]
.LBB244_221:                            ;   in Loop: Header=BB244_13 Depth=1
	s_or_b64 exec, exec, s[42:43]
.LBB244_222:                            ;   in Loop: Header=BB244_13 Depth=1
	s_or_b64 exec, exec, s[40:41]
	global_load_ushort v0, v[7:8], off offset:2056
	v_mov_b32_e32 v58, 0
	v_mov_b32_e32 v36, 0
	s_waitcnt vmcnt(0)
	v_and_b32_e32 v1, 0xffff, v0
	v_cmp_ne_u16_sdwa s[4:5], v0, v2 src0_sel:BYTE_0 src1_sel:DWORD
	s_and_saveexec_b64 s[40:41], s[4:5]
	s_cbranch_execz .LBB244_228
; %bb.223:                              ;   in Loop: Header=BB244_13 Depth=1
	v_cmp_ne_u16_sdwa s[4:5], v1, s52 src0_sel:BYTE_0 src1_sel:DWORD
	v_mov_b32_e32 v36, 0x8000
	s_and_saveexec_b64 s[42:43], s[4:5]
	s_cbranch_execz .LBB244_227
; %bb.224:                              ;   in Loop: Header=BB244_13 Depth=1
	v_and_b32_e32 v0, 0x7f, v1
	v_cmp_ne_u32_e64 s[4:5], s53, v0
	v_mov_b32_e32 v36, 0x7c01
	s_and_saveexec_b64 s[44:45], s[4:5]
	s_cbranch_execz .LBB244_226
; %bb.225:                              ;   in Loop: Header=BB244_13 Depth=1
	v_and_b32_e32 v9, 7, v1
	v_lshrrev_b32_e32 v10, 3, v0
	v_cmp_gt_u32_e64 s[4:5], 8, v0
	v_ffbh_u32_e32 v0, v9
	v_min_u32_e32 v0, 32, v0
	v_subrev_u32_e32 v3, 28, v0
	v_sub_u32_e32 v0, 29, v0
	v_lshlrev_b64 v[3:4], v3, v[1:2]
	v_cndmask_b32_e64 v0, v10, v0, s[4:5]
	v_mov_b32_e32 v10, 0x2000
	v_lshl_add_u32 v0, v0, 10, v10
	v_lshlrev_b32_e32 v4, 8, v1
	v_and_b32_e32 v3, 7, v3
	v_and_b32_e32 v0, 0xfc00, v0
	v_cndmask_b32_e64 v3, v9, v3, s[4:5]
	v_and_or_b32 v0, v4, s54, v0
	v_lshl_or_b32 v36, v3, 7, v0
.LBB244_226:                            ;   in Loop: Header=BB244_13 Depth=1
	s_or_b64 exec, exec, s[44:45]
.LBB244_227:                            ;   in Loop: Header=BB244_13 Depth=1
	s_or_b64 exec, exec, s[42:43]
.LBB244_228:                            ;   in Loop: Header=BB244_13 Depth=1
	s_or_b64 exec, exec, s[40:41]
	v_lshrrev_b16_e32 v1, 8, v1
	v_cmp_ne_u16_e64 s[4:5], 0, v1
	s_and_saveexec_b64 s[40:41], s[4:5]
	s_cbranch_execz .LBB244_234
; %bb.229:                              ;   in Loop: Header=BB244_13 Depth=1
	v_cmp_ne_u16_e64 s[4:5], s52, v1
	v_bfrev_b32_e32 v58, 1
	s_and_saveexec_b64 s[42:43], s[4:5]
	s_cbranch_execz .LBB244_233
; %bb.230:                              ;   in Loop: Header=BB244_13 Depth=1
	v_and_b32_e32 v0, 0x7f, v1
	v_cmp_ne_u32_e64 s[4:5], s53, v0
	v_mov_b32_e32 v58, 0x7c010000
	s_and_saveexec_b64 s[44:45], s[4:5]
	s_cbranch_execz .LBB244_232
; %bb.231:                              ;   in Loop: Header=BB244_13 Depth=1
	v_and_b32_e32 v9, 7, v1
	v_lshrrev_b32_e32 v10, 3, v0
	v_cmp_gt_u32_e64 s[4:5], 8, v0
	v_ffbh_u32_e32 v0, v9
	v_min_u32_e32 v0, 32, v0
	v_subrev_u32_e32 v3, 28, v0
	v_lshlrev_b64 v[3:4], v3, v[1:2]
	v_sub_u32_e32 v0, 29, v0
	v_cndmask_b32_e64 v0, v10, v0, s[4:5]
	v_mov_b32_e32 v4, 0x2000
	v_lshlrev_b32_e32 v1, 8, v1
	v_lshl_add_u32 v0, v0, 10, v4
	v_and_b32_e32 v3, 7, v3
	v_and_or_b32 v0, v1, s54, v0
	v_cndmask_b32_e64 v3, v9, v3, s[4:5]
	v_lshlrev_b32_e32 v0, 16, v0
	v_lshl_or_b32 v58, v3, 23, v0
.LBB244_232:                            ;   in Loop: Header=BB244_13 Depth=1
	s_or_b64 exec, exec, s[44:45]
.LBB244_233:                            ;   in Loop: Header=BB244_13 Depth=1
	s_or_b64 exec, exec, s[42:43]
.LBB244_234:                            ;   in Loop: Header=BB244_13 Depth=1
	s_or_b64 exec, exec, s[40:41]
	global_load_ushort v0, v[7:8], off offset:2304
	v_mov_b32_e32 v60, 0
	v_mov_b32_e32 v51, 0
	s_waitcnt vmcnt(0)
	v_and_b32_e32 v1, 0xffff, v0
	v_cmp_ne_u16_sdwa s[4:5], v0, v2 src0_sel:BYTE_0 src1_sel:DWORD
	s_and_saveexec_b64 s[40:41], s[4:5]
	s_cbranch_execz .LBB244_240
; %bb.235:                              ;   in Loop: Header=BB244_13 Depth=1
	v_cmp_ne_u16_sdwa s[4:5], v1, s52 src0_sel:BYTE_0 src1_sel:DWORD
	v_mov_b32_e32 v51, 0x8000
	s_and_saveexec_b64 s[42:43], s[4:5]
	s_cbranch_execz .LBB244_239
; %bb.236:                              ;   in Loop: Header=BB244_13 Depth=1
	v_and_b32_e32 v0, 0x7f, v1
	v_cmp_ne_u32_e64 s[4:5], s53, v0
	v_mov_b32_e32 v51, 0x7c01
	s_and_saveexec_b64 s[44:45], s[4:5]
	s_cbranch_execz .LBB244_238
; %bb.237:                              ;   in Loop: Header=BB244_13 Depth=1
	v_and_b32_e32 v9, 7, v1
	v_lshrrev_b32_e32 v10, 3, v0
	v_cmp_gt_u32_e64 s[4:5], 8, v0
	v_ffbh_u32_e32 v0, v9
	v_min_u32_e32 v0, 32, v0
	v_subrev_u32_e32 v3, 28, v0
	v_sub_u32_e32 v0, 29, v0
	v_lshlrev_b64 v[3:4], v3, v[1:2]
	v_cndmask_b32_e64 v0, v10, v0, s[4:5]
	v_mov_b32_e32 v10, 0x2000
	v_lshl_add_u32 v0, v0, 10, v10
	v_lshlrev_b32_e32 v4, 8, v1
	v_and_b32_e32 v3, 7, v3
	v_and_b32_e32 v0, 0xfc00, v0
	v_cndmask_b32_e64 v3, v9, v3, s[4:5]
	v_and_or_b32 v0, v4, s54, v0
	v_lshl_or_b32 v51, v3, 7, v0
.LBB244_238:                            ;   in Loop: Header=BB244_13 Depth=1
	s_or_b64 exec, exec, s[44:45]
.LBB244_239:                            ;   in Loop: Header=BB244_13 Depth=1
	s_or_b64 exec, exec, s[42:43]
.LBB244_240:                            ;   in Loop: Header=BB244_13 Depth=1
	s_or_b64 exec, exec, s[40:41]
	v_lshrrev_b16_e32 v1, 8, v1
	v_cmp_ne_u16_e64 s[4:5], 0, v1
	s_and_saveexec_b64 s[40:41], s[4:5]
	s_cbranch_execz .LBB244_246
; %bb.241:                              ;   in Loop: Header=BB244_13 Depth=1
	v_cmp_ne_u16_e64 s[4:5], s52, v1
	v_bfrev_b32_e32 v60, 1
	s_and_saveexec_b64 s[42:43], s[4:5]
	s_cbranch_execz .LBB244_245
; %bb.242:                              ;   in Loop: Header=BB244_13 Depth=1
	v_and_b32_e32 v0, 0x7f, v1
	v_cmp_ne_u32_e64 s[4:5], s53, v0
	v_mov_b32_e32 v60, 0x7c010000
	s_and_saveexec_b64 s[44:45], s[4:5]
	s_cbranch_execz .LBB244_244
; %bb.243:                              ;   in Loop: Header=BB244_13 Depth=1
	v_and_b32_e32 v9, 7, v1
	v_lshrrev_b32_e32 v10, 3, v0
	v_cmp_gt_u32_e64 s[4:5], 8, v0
	v_ffbh_u32_e32 v0, v9
	v_min_u32_e32 v0, 32, v0
	v_subrev_u32_e32 v3, 28, v0
	v_lshlrev_b64 v[3:4], v3, v[1:2]
	v_sub_u32_e32 v0, 29, v0
	v_cndmask_b32_e64 v0, v10, v0, s[4:5]
	v_mov_b32_e32 v4, 0x2000
	v_lshlrev_b32_e32 v1, 8, v1
	v_lshl_add_u32 v0, v0, 10, v4
	v_and_b32_e32 v3, 7, v3
	v_and_or_b32 v0, v1, s54, v0
	v_cndmask_b32_e64 v3, v9, v3, s[4:5]
	v_lshlrev_b32_e32 v0, 16, v0
	v_lshl_or_b32 v60, v3, 23, v0
.LBB244_244:                            ;   in Loop: Header=BB244_13 Depth=1
	s_or_b64 exec, exec, s[44:45]
.LBB244_245:                            ;   in Loop: Header=BB244_13 Depth=1
	s_or_b64 exec, exec, s[42:43]
.LBB244_246:                            ;   in Loop: Header=BB244_13 Depth=1
	s_or_b64 exec, exec, s[40:41]
	global_load_ushort v0, v[7:8], off offset:2312
	v_mov_b32_e32 v10, 0
	v_mov_b32_e32 v13, 0
	s_waitcnt vmcnt(0)
	v_and_b32_e32 v1, 0xffff, v0
	v_cmp_ne_u16_sdwa s[4:5], v0, v2 src0_sel:BYTE_0 src1_sel:DWORD
	s_and_saveexec_b64 s[40:41], s[4:5]
	s_cbranch_execz .LBB244_252
; %bb.247:                              ;   in Loop: Header=BB244_13 Depth=1
	v_cmp_ne_u16_sdwa s[4:5], v1, s52 src0_sel:BYTE_0 src1_sel:DWORD
	v_mov_b32_e32 v13, 0x8000
	s_and_saveexec_b64 s[42:43], s[4:5]
	s_cbranch_execz .LBB244_251
; %bb.248:                              ;   in Loop: Header=BB244_13 Depth=1
	v_and_b32_e32 v0, 0x7f, v1
	v_cmp_ne_u32_e64 s[4:5], s53, v0
	v_mov_b32_e32 v13, 0x7c01
	s_and_saveexec_b64 s[44:45], s[4:5]
	s_cbranch_execz .LBB244_250
; %bb.249:                              ;   in Loop: Header=BB244_13 Depth=1
	v_and_b32_e32 v9, 7, v1
	v_lshrrev_b32_e32 v11, 3, v0
	v_cmp_gt_u32_e64 s[4:5], 8, v0
	v_ffbh_u32_e32 v0, v9
	v_min_u32_e32 v0, 32, v0
	v_subrev_u32_e32 v3, 28, v0
	v_sub_u32_e32 v0, 29, v0
	v_lshlrev_b64 v[3:4], v3, v[1:2]
	v_cndmask_b32_e64 v0, v11, v0, s[4:5]
	v_mov_b32_e32 v11, 0x2000
	v_lshl_add_u32 v0, v0, 10, v11
	v_lshlrev_b32_e32 v4, 8, v1
	v_and_b32_e32 v3, 7, v3
	v_and_b32_e32 v0, 0xfc00, v0
	v_cndmask_b32_e64 v3, v9, v3, s[4:5]
	v_and_or_b32 v0, v4, s54, v0
	v_lshl_or_b32 v13, v3, 7, v0
.LBB244_250:                            ;   in Loop: Header=BB244_13 Depth=1
	s_or_b64 exec, exec, s[44:45]
.LBB244_251:                            ;   in Loop: Header=BB244_13 Depth=1
	s_or_b64 exec, exec, s[42:43]
.LBB244_252:                            ;   in Loop: Header=BB244_13 Depth=1
	s_or_b64 exec, exec, s[40:41]
	v_lshrrev_b16_e32 v1, 8, v1
	v_cmp_ne_u16_e64 s[4:5], 0, v1
	s_and_saveexec_b64 s[40:41], s[4:5]
	s_cbranch_execz .LBB244_258
; %bb.253:                              ;   in Loop: Header=BB244_13 Depth=1
	v_cmp_ne_u16_e64 s[4:5], s52, v1
	v_bfrev_b32_e32 v10, 1
	s_and_saveexec_b64 s[42:43], s[4:5]
	s_cbranch_execz .LBB244_257
; %bb.254:                              ;   in Loop: Header=BB244_13 Depth=1
	v_and_b32_e32 v0, 0x7f, v1
	v_cmp_ne_u32_e64 s[4:5], s53, v0
	v_mov_b32_e32 v10, 0x7c010000
	s_and_saveexec_b64 s[44:45], s[4:5]
	s_cbranch_execz .LBB244_256
; %bb.255:                              ;   in Loop: Header=BB244_13 Depth=1
	v_and_b32_e32 v9, 7, v1
	v_lshrrev_b32_e32 v10, 3, v0
	v_cmp_gt_u32_e64 s[4:5], 8, v0
	v_ffbh_u32_e32 v0, v9
	v_min_u32_e32 v0, 32, v0
	v_subrev_u32_e32 v3, 28, v0
	v_lshlrev_b64 v[3:4], v3, v[1:2]
	v_sub_u32_e32 v0, 29, v0
	v_cndmask_b32_e64 v0, v10, v0, s[4:5]
	v_mov_b32_e32 v4, 0x2000
	v_lshlrev_b32_e32 v1, 8, v1
	v_lshl_add_u32 v0, v0, 10, v4
	v_and_b32_e32 v3, 7, v3
	v_and_or_b32 v0, v1, s54, v0
	v_cndmask_b32_e64 v3, v9, v3, s[4:5]
	v_lshlrev_b32_e32 v0, 16, v0
	v_lshl_or_b32 v10, v3, 23, v0
.LBB244_256:                            ;   in Loop: Header=BB244_13 Depth=1
	s_or_b64 exec, exec, s[44:45]
.LBB244_257:                            ;   in Loop: Header=BB244_13 Depth=1
	s_or_b64 exec, exec, s[42:43]
.LBB244_258:                            ;   in Loop: Header=BB244_13 Depth=1
	s_or_b64 exec, exec, s[40:41]
	global_load_ushort v0, v[7:8], off offset:2560
	v_mov_b32_e32 v21, 0
	v_mov_b32_e32 v25, 0
	s_waitcnt vmcnt(0)
	v_and_b32_e32 v1, 0xffff, v0
	v_cmp_ne_u16_sdwa s[4:5], v0, v2 src0_sel:BYTE_0 src1_sel:DWORD
	s_and_saveexec_b64 s[40:41], s[4:5]
	s_cbranch_execz .LBB244_264
; %bb.259:                              ;   in Loop: Header=BB244_13 Depth=1
	v_cmp_ne_u16_sdwa s[4:5], v1, s52 src0_sel:BYTE_0 src1_sel:DWORD
	v_mov_b32_e32 v25, 0x8000
	s_and_saveexec_b64 s[42:43], s[4:5]
	s_cbranch_execz .LBB244_263
; %bb.260:                              ;   in Loop: Header=BB244_13 Depth=1
	v_and_b32_e32 v0, 0x7f, v1
	v_cmp_ne_u32_e64 s[4:5], s53, v0
	v_mov_b32_e32 v25, 0x7c01
	s_and_saveexec_b64 s[44:45], s[4:5]
	s_cbranch_execz .LBB244_262
; %bb.261:                              ;   in Loop: Header=BB244_13 Depth=1
	v_and_b32_e32 v9, 7, v1
	v_lshrrev_b32_e32 v11, 3, v0
	v_cmp_gt_u32_e64 s[4:5], 8, v0
	v_ffbh_u32_e32 v0, v9
	v_min_u32_e32 v0, 32, v0
	v_subrev_u32_e32 v3, 28, v0
	v_sub_u32_e32 v0, 29, v0
	v_lshlrev_b64 v[3:4], v3, v[1:2]
	v_cndmask_b32_e64 v0, v11, v0, s[4:5]
	v_mov_b32_e32 v11, 0x2000
	v_lshl_add_u32 v0, v0, 10, v11
	v_lshlrev_b32_e32 v4, 8, v1
	v_and_b32_e32 v3, 7, v3
	v_and_b32_e32 v0, 0xfc00, v0
	v_cndmask_b32_e64 v3, v9, v3, s[4:5]
	v_and_or_b32 v0, v4, s54, v0
	v_lshl_or_b32 v25, v3, 7, v0
.LBB244_262:                            ;   in Loop: Header=BB244_13 Depth=1
	s_or_b64 exec, exec, s[44:45]
.LBB244_263:                            ;   in Loop: Header=BB244_13 Depth=1
	s_or_b64 exec, exec, s[42:43]
.LBB244_264:                            ;   in Loop: Header=BB244_13 Depth=1
	s_or_b64 exec, exec, s[40:41]
	v_lshrrev_b16_e32 v1, 8, v1
	v_cmp_ne_u16_e64 s[4:5], 0, v1
	s_and_saveexec_b64 s[40:41], s[4:5]
	s_cbranch_execz .LBB244_270
; %bb.265:                              ;   in Loop: Header=BB244_13 Depth=1
	v_cmp_ne_u16_e64 s[4:5], s52, v1
	v_bfrev_b32_e32 v21, 1
	s_and_saveexec_b64 s[42:43], s[4:5]
	s_cbranch_execz .LBB244_269
; %bb.266:                              ;   in Loop: Header=BB244_13 Depth=1
	v_and_b32_e32 v0, 0x7f, v1
	v_cmp_ne_u32_e64 s[4:5], s53, v0
	v_mov_b32_e32 v21, 0x7c010000
	s_and_saveexec_b64 s[44:45], s[4:5]
	s_cbranch_execz .LBB244_268
; %bb.267:                              ;   in Loop: Header=BB244_13 Depth=1
	v_and_b32_e32 v9, 7, v1
	v_lshrrev_b32_e32 v11, 3, v0
	v_cmp_gt_u32_e64 s[4:5], 8, v0
	v_ffbh_u32_e32 v0, v9
	v_min_u32_e32 v0, 32, v0
	v_subrev_u32_e32 v3, 28, v0
	v_lshlrev_b64 v[3:4], v3, v[1:2]
	v_sub_u32_e32 v0, 29, v0
	v_cndmask_b32_e64 v0, v11, v0, s[4:5]
	v_mov_b32_e32 v4, 0x2000
	v_lshlrev_b32_e32 v1, 8, v1
	v_lshl_add_u32 v0, v0, 10, v4
	v_and_b32_e32 v3, 7, v3
	v_and_or_b32 v0, v1, s54, v0
	v_cndmask_b32_e64 v3, v9, v3, s[4:5]
	v_lshlrev_b32_e32 v0, 16, v0
	v_lshl_or_b32 v21, v3, 23, v0
.LBB244_268:                            ;   in Loop: Header=BB244_13 Depth=1
	s_or_b64 exec, exec, s[44:45]
.LBB244_269:                            ;   in Loop: Header=BB244_13 Depth=1
	s_or_b64 exec, exec, s[42:43]
.LBB244_270:                            ;   in Loop: Header=BB244_13 Depth=1
	s_or_b64 exec, exec, s[40:41]
	global_load_ushort v0, v[7:8], off offset:2568
	v_mov_b32_e32 v37, 0
	v_mov_b32_e32 v39, 0
	s_waitcnt vmcnt(0)
	v_and_b32_e32 v1, 0xffff, v0
	v_cmp_ne_u16_sdwa s[4:5], v0, v2 src0_sel:BYTE_0 src1_sel:DWORD
	s_and_saveexec_b64 s[40:41], s[4:5]
	s_cbranch_execz .LBB244_276
; %bb.271:                              ;   in Loop: Header=BB244_13 Depth=1
	v_cmp_ne_u16_sdwa s[4:5], v1, s52 src0_sel:BYTE_0 src1_sel:DWORD
	v_mov_b32_e32 v39, 0x8000
	s_and_saveexec_b64 s[42:43], s[4:5]
	s_cbranch_execz .LBB244_275
; %bb.272:                              ;   in Loop: Header=BB244_13 Depth=1
	v_and_b32_e32 v0, 0x7f, v1
	v_cmp_ne_u32_e64 s[4:5], s53, v0
	v_mov_b32_e32 v39, 0x7c01
	s_and_saveexec_b64 s[44:45], s[4:5]
	s_cbranch_execz .LBB244_274
; %bb.273:                              ;   in Loop: Header=BB244_13 Depth=1
	v_and_b32_e32 v9, 7, v1
	v_lshrrev_b32_e32 v11, 3, v0
	v_cmp_gt_u32_e64 s[4:5], 8, v0
	v_ffbh_u32_e32 v0, v9
	v_min_u32_e32 v0, 32, v0
	v_subrev_u32_e32 v3, 28, v0
	v_sub_u32_e32 v0, 29, v0
	v_lshlrev_b64 v[3:4], v3, v[1:2]
	v_cndmask_b32_e64 v0, v11, v0, s[4:5]
	v_mov_b32_e32 v11, 0x2000
	v_lshl_add_u32 v0, v0, 10, v11
	v_lshlrev_b32_e32 v4, 8, v1
	v_and_b32_e32 v3, 7, v3
	v_and_b32_e32 v0, 0xfc00, v0
	v_cndmask_b32_e64 v3, v9, v3, s[4:5]
	v_and_or_b32 v0, v4, s54, v0
	v_lshl_or_b32 v39, v3, 7, v0
.LBB244_274:                            ;   in Loop: Header=BB244_13 Depth=1
	s_or_b64 exec, exec, s[44:45]
.LBB244_275:                            ;   in Loop: Header=BB244_13 Depth=1
	s_or_b64 exec, exec, s[42:43]
.LBB244_276:                            ;   in Loop: Header=BB244_13 Depth=1
	s_or_b64 exec, exec, s[40:41]
	v_lshrrev_b16_e32 v1, 8, v1
	v_cmp_ne_u16_e64 s[4:5], 0, v1
	s_and_saveexec_b64 s[40:41], s[4:5]
	s_cbranch_execz .LBB244_282
; %bb.277:                              ;   in Loop: Header=BB244_13 Depth=1
	v_cmp_ne_u16_e64 s[4:5], s52, v1
	v_bfrev_b32_e32 v37, 1
	s_and_saveexec_b64 s[42:43], s[4:5]
	s_cbranch_execz .LBB244_281
; %bb.278:                              ;   in Loop: Header=BB244_13 Depth=1
	v_and_b32_e32 v0, 0x7f, v1
	v_cmp_ne_u32_e64 s[4:5], s53, v0
	v_mov_b32_e32 v37, 0x7c010000
	s_and_saveexec_b64 s[44:45], s[4:5]
	s_cbranch_execz .LBB244_280
; %bb.279:                              ;   in Loop: Header=BB244_13 Depth=1
	v_and_b32_e32 v9, 7, v1
	v_lshrrev_b32_e32 v11, 3, v0
	v_cmp_gt_u32_e64 s[4:5], 8, v0
	v_ffbh_u32_e32 v0, v9
	v_min_u32_e32 v0, 32, v0
	v_subrev_u32_e32 v3, 28, v0
	v_lshlrev_b64 v[3:4], v3, v[1:2]
	v_sub_u32_e32 v0, 29, v0
	v_cndmask_b32_e64 v0, v11, v0, s[4:5]
	v_mov_b32_e32 v4, 0x2000
	v_lshlrev_b32_e32 v1, 8, v1
	v_lshl_add_u32 v0, v0, 10, v4
	v_and_b32_e32 v3, 7, v3
	v_and_or_b32 v0, v1, s54, v0
	v_cndmask_b32_e64 v3, v9, v3, s[4:5]
	v_lshlrev_b32_e32 v0, 16, v0
	v_lshl_or_b32 v37, v3, 23, v0
.LBB244_280:                            ;   in Loop: Header=BB244_13 Depth=1
	s_or_b64 exec, exec, s[44:45]
.LBB244_281:                            ;   in Loop: Header=BB244_13 Depth=1
	s_or_b64 exec, exec, s[42:43]
.LBB244_282:                            ;   in Loop: Header=BB244_13 Depth=1
	s_or_b64 exec, exec, s[40:41]
	global_load_ushort v0, v[7:8], off offset:2816
	v_mov_b32_e32 v26, 0
	v_mov_b32_e32 v33, 0
	s_waitcnt vmcnt(0)
	v_and_b32_e32 v1, 0xffff, v0
	v_cmp_ne_u16_sdwa s[4:5], v0, v2 src0_sel:BYTE_0 src1_sel:DWORD
	s_and_saveexec_b64 s[40:41], s[4:5]
	s_cbranch_execz .LBB244_288
; %bb.283:                              ;   in Loop: Header=BB244_13 Depth=1
	v_cmp_ne_u16_sdwa s[4:5], v1, s52 src0_sel:BYTE_0 src1_sel:DWORD
	v_mov_b32_e32 v33, 0x8000
	s_and_saveexec_b64 s[42:43], s[4:5]
	s_cbranch_execz .LBB244_287
; %bb.284:                              ;   in Loop: Header=BB244_13 Depth=1
	v_and_b32_e32 v0, 0x7f, v1
	v_cmp_ne_u32_e64 s[4:5], s53, v0
	v_mov_b32_e32 v33, 0x7c01
	s_and_saveexec_b64 s[44:45], s[4:5]
	s_cbranch_execz .LBB244_286
; %bb.285:                              ;   in Loop: Header=BB244_13 Depth=1
	v_and_b32_e32 v9, 7, v1
	v_lshrrev_b32_e32 v11, 3, v0
	v_cmp_gt_u32_e64 s[4:5], 8, v0
	v_ffbh_u32_e32 v0, v9
	v_min_u32_e32 v0, 32, v0
	v_subrev_u32_e32 v3, 28, v0
	v_sub_u32_e32 v0, 29, v0
	v_lshlrev_b64 v[3:4], v3, v[1:2]
	v_cndmask_b32_e64 v0, v11, v0, s[4:5]
	v_mov_b32_e32 v11, 0x2000
	v_lshl_add_u32 v0, v0, 10, v11
	v_lshlrev_b32_e32 v4, 8, v1
	v_and_b32_e32 v3, 7, v3
	v_and_b32_e32 v0, 0xfc00, v0
	v_cndmask_b32_e64 v3, v9, v3, s[4:5]
	v_and_or_b32 v0, v4, s54, v0
	v_lshl_or_b32 v33, v3, 7, v0
.LBB244_286:                            ;   in Loop: Header=BB244_13 Depth=1
	s_or_b64 exec, exec, s[44:45]
.LBB244_287:                            ;   in Loop: Header=BB244_13 Depth=1
	s_or_b64 exec, exec, s[42:43]
.LBB244_288:                            ;   in Loop: Header=BB244_13 Depth=1
	s_or_b64 exec, exec, s[40:41]
	v_lshrrev_b16_e32 v1, 8, v1
	v_cmp_ne_u16_e64 s[4:5], 0, v1
	s_and_saveexec_b64 s[40:41], s[4:5]
	s_cbranch_execz .LBB244_294
; %bb.289:                              ;   in Loop: Header=BB244_13 Depth=1
	v_cmp_ne_u16_e64 s[4:5], s52, v1
	v_bfrev_b32_e32 v26, 1
	s_and_saveexec_b64 s[42:43], s[4:5]
	s_cbranch_execz .LBB244_293
; %bb.290:                              ;   in Loop: Header=BB244_13 Depth=1
	v_and_b32_e32 v0, 0x7f, v1
	v_cmp_ne_u32_e64 s[4:5], s53, v0
	v_mov_b32_e32 v26, 0x7c010000
	s_and_saveexec_b64 s[44:45], s[4:5]
	s_cbranch_execz .LBB244_292
; %bb.291:                              ;   in Loop: Header=BB244_13 Depth=1
	v_and_b32_e32 v9, 7, v1
	v_lshrrev_b32_e32 v11, 3, v0
	v_cmp_gt_u32_e64 s[4:5], 8, v0
	v_ffbh_u32_e32 v0, v9
	v_min_u32_e32 v0, 32, v0
	v_subrev_u32_e32 v3, 28, v0
	v_lshlrev_b64 v[3:4], v3, v[1:2]
	v_sub_u32_e32 v0, 29, v0
	v_cndmask_b32_e64 v0, v11, v0, s[4:5]
	v_mov_b32_e32 v4, 0x2000
	v_lshlrev_b32_e32 v1, 8, v1
	v_lshl_add_u32 v0, v0, 10, v4
	v_and_b32_e32 v3, 7, v3
	v_and_or_b32 v0, v1, s54, v0
	v_cndmask_b32_e64 v3, v9, v3, s[4:5]
	v_lshlrev_b32_e32 v0, 16, v0
	v_lshl_or_b32 v26, v3, 23, v0
.LBB244_292:                            ;   in Loop: Header=BB244_13 Depth=1
	s_or_b64 exec, exec, s[44:45]
.LBB244_293:                            ;   in Loop: Header=BB244_13 Depth=1
	s_or_b64 exec, exec, s[42:43]
.LBB244_294:                            ;   in Loop: Header=BB244_13 Depth=1
	s_or_b64 exec, exec, s[40:41]
	global_load_ushort v0, v[7:8], off offset:2824
	v_mov_b32_e32 v29, 0
	v_mov_b32_e32 v31, 0
	s_waitcnt vmcnt(0)
	v_and_b32_e32 v1, 0xffff, v0
	v_cmp_ne_u16_sdwa s[4:5], v0, v2 src0_sel:BYTE_0 src1_sel:DWORD
	s_and_saveexec_b64 s[40:41], s[4:5]
	s_cbranch_execz .LBB244_300
; %bb.295:                              ;   in Loop: Header=BB244_13 Depth=1
	v_cmp_ne_u16_sdwa s[4:5], v1, s52 src0_sel:BYTE_0 src1_sel:DWORD
	v_mov_b32_e32 v31, 0x8000
	s_and_saveexec_b64 s[42:43], s[4:5]
	s_cbranch_execz .LBB244_299
; %bb.296:                              ;   in Loop: Header=BB244_13 Depth=1
	v_and_b32_e32 v0, 0x7f, v1
	v_cmp_ne_u32_e64 s[4:5], s53, v0
	v_mov_b32_e32 v31, 0x7c01
	s_and_saveexec_b64 s[44:45], s[4:5]
	s_cbranch_execz .LBB244_298
; %bb.297:                              ;   in Loop: Header=BB244_13 Depth=1
	v_and_b32_e32 v9, 7, v1
	v_lshrrev_b32_e32 v11, 3, v0
	v_cmp_gt_u32_e64 s[4:5], 8, v0
	v_ffbh_u32_e32 v0, v9
	v_min_u32_e32 v0, 32, v0
	v_subrev_u32_e32 v3, 28, v0
	v_sub_u32_e32 v0, 29, v0
	v_lshlrev_b64 v[3:4], v3, v[1:2]
	v_cndmask_b32_e64 v0, v11, v0, s[4:5]
	v_mov_b32_e32 v11, 0x2000
	v_lshl_add_u32 v0, v0, 10, v11
	v_lshlrev_b32_e32 v4, 8, v1
	v_and_b32_e32 v3, 7, v3
	v_and_b32_e32 v0, 0xfc00, v0
	v_cndmask_b32_e64 v3, v9, v3, s[4:5]
	v_and_or_b32 v0, v4, s54, v0
	v_lshl_or_b32 v31, v3, 7, v0
.LBB244_298:                            ;   in Loop: Header=BB244_13 Depth=1
	s_or_b64 exec, exec, s[44:45]
.LBB244_299:                            ;   in Loop: Header=BB244_13 Depth=1
	s_or_b64 exec, exec, s[42:43]
.LBB244_300:                            ;   in Loop: Header=BB244_13 Depth=1
	s_or_b64 exec, exec, s[40:41]
	v_lshrrev_b16_e32 v1, 8, v1
	v_cmp_ne_u16_e64 s[4:5], 0, v1
	s_and_saveexec_b64 s[40:41], s[4:5]
	s_cbranch_execz .LBB244_306
; %bb.301:                              ;   in Loop: Header=BB244_13 Depth=1
	v_cmp_ne_u16_e64 s[4:5], s52, v1
	v_bfrev_b32_e32 v29, 1
	s_and_saveexec_b64 s[42:43], s[4:5]
	s_cbranch_execz .LBB244_305
; %bb.302:                              ;   in Loop: Header=BB244_13 Depth=1
	v_and_b32_e32 v0, 0x7f, v1
	v_cmp_ne_u32_e64 s[4:5], s53, v0
	v_mov_b32_e32 v29, 0x7c010000
	s_and_saveexec_b64 s[44:45], s[4:5]
	s_cbranch_execz .LBB244_304
; %bb.303:                              ;   in Loop: Header=BB244_13 Depth=1
	v_and_b32_e32 v9, 7, v1
	v_lshrrev_b32_e32 v11, 3, v0
	v_cmp_gt_u32_e64 s[4:5], 8, v0
	v_ffbh_u32_e32 v0, v9
	v_min_u32_e32 v0, 32, v0
	v_subrev_u32_e32 v3, 28, v0
	v_lshlrev_b64 v[3:4], v3, v[1:2]
	v_sub_u32_e32 v0, 29, v0
	v_cndmask_b32_e64 v0, v11, v0, s[4:5]
	v_mov_b32_e32 v4, 0x2000
	v_lshlrev_b32_e32 v1, 8, v1
	v_lshl_add_u32 v0, v0, 10, v4
	v_and_b32_e32 v3, 7, v3
	v_and_or_b32 v0, v1, s54, v0
	v_cndmask_b32_e64 v3, v9, v3, s[4:5]
	v_lshlrev_b32_e32 v0, 16, v0
	v_lshl_or_b32 v29, v3, 23, v0
.LBB244_304:                            ;   in Loop: Header=BB244_13 Depth=1
	s_or_b64 exec, exec, s[44:45]
.LBB244_305:                            ;   in Loop: Header=BB244_13 Depth=1
	s_or_b64 exec, exec, s[42:43]
.LBB244_306:                            ;   in Loop: Header=BB244_13 Depth=1
	s_or_b64 exec, exec, s[40:41]
	global_load_ushort v0, v[7:8], off offset:3072
	v_mov_b32_e32 v27, 0
	v_mov_b32_e32 v20, 0
	s_waitcnt vmcnt(0)
	v_and_b32_e32 v1, 0xffff, v0
	v_cmp_ne_u16_sdwa s[4:5], v0, v2 src0_sel:BYTE_0 src1_sel:DWORD
	s_and_saveexec_b64 s[40:41], s[4:5]
	s_cbranch_execz .LBB244_312
; %bb.307:                              ;   in Loop: Header=BB244_13 Depth=1
	v_cmp_ne_u16_sdwa s[4:5], v1, s52 src0_sel:BYTE_0 src1_sel:DWORD
	v_mov_b32_e32 v20, 0x8000
	s_and_saveexec_b64 s[42:43], s[4:5]
	s_cbranch_execz .LBB244_311
; %bb.308:                              ;   in Loop: Header=BB244_13 Depth=1
	v_and_b32_e32 v0, 0x7f, v1
	v_cmp_ne_u32_e64 s[4:5], s53, v0
	v_mov_b32_e32 v20, 0x7c01
	s_and_saveexec_b64 s[44:45], s[4:5]
	s_cbranch_execz .LBB244_310
; %bb.309:                              ;   in Loop: Header=BB244_13 Depth=1
	v_and_b32_e32 v9, 7, v1
	v_lshrrev_b32_e32 v11, 3, v0
	v_cmp_gt_u32_e64 s[4:5], 8, v0
	v_ffbh_u32_e32 v0, v9
	v_min_u32_e32 v0, 32, v0
	v_subrev_u32_e32 v3, 28, v0
	v_sub_u32_e32 v0, 29, v0
	v_lshlrev_b64 v[3:4], v3, v[1:2]
	v_cndmask_b32_e64 v0, v11, v0, s[4:5]
	v_mov_b32_e32 v11, 0x2000
	v_lshl_add_u32 v0, v0, 10, v11
	v_lshlrev_b32_e32 v4, 8, v1
	v_and_b32_e32 v3, 7, v3
	v_and_b32_e32 v0, 0xfc00, v0
	v_cndmask_b32_e64 v3, v9, v3, s[4:5]
	v_and_or_b32 v0, v4, s54, v0
	v_lshl_or_b32 v20, v3, 7, v0
.LBB244_310:                            ;   in Loop: Header=BB244_13 Depth=1
	s_or_b64 exec, exec, s[44:45]
.LBB244_311:                            ;   in Loop: Header=BB244_13 Depth=1
	s_or_b64 exec, exec, s[42:43]
.LBB244_312:                            ;   in Loop: Header=BB244_13 Depth=1
	s_or_b64 exec, exec, s[40:41]
	v_lshrrev_b16_e32 v1, 8, v1
	v_cmp_ne_u16_e64 s[4:5], 0, v1
	s_and_saveexec_b64 s[40:41], s[4:5]
	s_cbranch_execz .LBB244_318
; %bb.313:                              ;   in Loop: Header=BB244_13 Depth=1
	v_cmp_ne_u16_e64 s[4:5], s52, v1
	v_bfrev_b32_e32 v27, 1
	s_and_saveexec_b64 s[42:43], s[4:5]
	s_cbranch_execz .LBB244_317
; %bb.314:                              ;   in Loop: Header=BB244_13 Depth=1
	v_and_b32_e32 v0, 0x7f, v1
	v_cmp_ne_u32_e64 s[4:5], s53, v0
	v_mov_b32_e32 v27, 0x7c010000
	s_and_saveexec_b64 s[44:45], s[4:5]
	s_cbranch_execz .LBB244_316
; %bb.315:                              ;   in Loop: Header=BB244_13 Depth=1
	v_and_b32_e32 v9, 7, v1
	v_lshrrev_b32_e32 v11, 3, v0
	v_cmp_gt_u32_e64 s[4:5], 8, v0
	v_ffbh_u32_e32 v0, v9
	v_min_u32_e32 v0, 32, v0
	v_subrev_u32_e32 v3, 28, v0
	v_lshlrev_b64 v[3:4], v3, v[1:2]
	v_sub_u32_e32 v0, 29, v0
	v_cndmask_b32_e64 v0, v11, v0, s[4:5]
	v_mov_b32_e32 v4, 0x2000
	v_lshlrev_b32_e32 v1, 8, v1
	v_lshl_add_u32 v0, v0, 10, v4
	v_and_b32_e32 v3, 7, v3
	v_and_or_b32 v0, v1, s54, v0
	v_cndmask_b32_e64 v3, v9, v3, s[4:5]
	v_lshlrev_b32_e32 v0, 16, v0
	v_lshl_or_b32 v27, v3, 23, v0
.LBB244_316:                            ;   in Loop: Header=BB244_13 Depth=1
	s_or_b64 exec, exec, s[44:45]
.LBB244_317:                            ;   in Loop: Header=BB244_13 Depth=1
	s_or_b64 exec, exec, s[42:43]
.LBB244_318:                            ;   in Loop: Header=BB244_13 Depth=1
	s_or_b64 exec, exec, s[40:41]
	global_load_ushort v3, v[7:8], off offset:3080
	v_mov_b32_e32 v0, 0
	v_mov_b32_e32 v15, 0
	s_waitcnt vmcnt(0)
	v_and_b32_e32 v1, 0xffff, v3
	v_cmp_ne_u16_sdwa s[4:5], v3, v2 src0_sel:BYTE_0 src1_sel:DWORD
	s_and_saveexec_b64 s[40:41], s[4:5]
	s_cbranch_execz .LBB244_324
; %bb.319:                              ;   in Loop: Header=BB244_13 Depth=1
	v_cmp_ne_u16_sdwa s[4:5], v1, s52 src0_sel:BYTE_0 src1_sel:DWORD
	v_mov_b32_e32 v15, 0x8000
	s_and_saveexec_b64 s[42:43], s[4:5]
	s_cbranch_execz .LBB244_323
; %bb.320:                              ;   in Loop: Header=BB244_13 Depth=1
	v_and_b32_e32 v3, 0x7f, v1
	v_cmp_ne_u32_e64 s[4:5], s53, v3
	v_mov_b32_e32 v15, 0x7c01
	s_and_saveexec_b64 s[44:45], s[4:5]
	s_cbranch_execz .LBB244_322
; %bb.321:                              ;   in Loop: Header=BB244_13 Depth=1
	v_and_b32_e32 v9, 7, v1
	v_lshrrev_b32_e32 v11, 3, v3
	v_cmp_gt_u32_e64 s[4:5], 8, v3
	v_ffbh_u32_e32 v3, v9
	v_min_u32_e32 v12, 32, v3
	v_subrev_u32_e32 v3, 28, v12
	v_lshlrev_b64 v[3:4], v3, v[1:2]
	v_sub_u32_e32 v4, 29, v12
	v_cndmask_b32_e64 v4, v11, v4, s[4:5]
	v_mov_b32_e32 v12, 0x2000
	v_lshl_add_u32 v4, v4, 10, v12
	v_lshlrev_b32_e32 v11, 8, v1
	v_and_b32_e32 v3, 7, v3
	v_and_b32_e32 v4, 0xfc00, v4
	v_cndmask_b32_e64 v3, v9, v3, s[4:5]
	v_and_or_b32 v4, v11, s54, v4
	v_lshl_or_b32 v15, v3, 7, v4
.LBB244_322:                            ;   in Loop: Header=BB244_13 Depth=1
	s_or_b64 exec, exec, s[44:45]
.LBB244_323:                            ;   in Loop: Header=BB244_13 Depth=1
	s_or_b64 exec, exec, s[42:43]
.LBB244_324:                            ;   in Loop: Header=BB244_13 Depth=1
	s_or_b64 exec, exec, s[40:41]
	v_lshrrev_b16_e32 v1, 8, v1
	v_cmp_ne_u16_e64 s[4:5], 0, v1
	s_and_saveexec_b64 s[40:41], s[4:5]
	s_cbranch_execz .LBB244_330
; %bb.325:                              ;   in Loop: Header=BB244_13 Depth=1
	v_cmp_ne_u16_e64 s[4:5], s52, v1
	v_bfrev_b32_e32 v0, 1
	s_and_saveexec_b64 s[42:43], s[4:5]
	s_cbranch_execz .LBB244_329
; %bb.326:                              ;   in Loop: Header=BB244_13 Depth=1
	v_and_b32_e32 v3, 0x7f, v1
	v_cmp_ne_u32_e64 s[4:5], s53, v3
	v_mov_b32_e32 v0, 0x7c010000
	s_and_saveexec_b64 s[44:45], s[4:5]
	s_cbranch_execz .LBB244_328
; %bb.327:                              ;   in Loop: Header=BB244_13 Depth=1
	v_and_b32_e32 v0, 7, v1
	v_lshrrev_b32_e32 v9, 3, v3
	v_cmp_gt_u32_e64 s[4:5], 8, v3
	v_ffbh_u32_e32 v3, v0
	v_min_u32_e32 v11, 32, v3
	v_subrev_u32_e32 v3, 28, v11
	v_lshlrev_b64 v[3:4], v3, v[1:2]
	v_sub_u32_e32 v4, 29, v11
	v_cndmask_b32_e64 v4, v9, v4, s[4:5]
	v_mov_b32_e32 v9, 0x2000
	v_lshlrev_b32_e32 v1, 8, v1
	v_lshl_add_u32 v4, v4, 10, v9
	v_and_b32_e32 v3, 7, v3
	v_and_or_b32 v1, v1, s54, v4
	v_cndmask_b32_e64 v0, v0, v3, s[4:5]
	v_lshlrev_b32_e32 v1, 16, v1
	v_lshl_or_b32 v0, v0, 23, v1
.LBB244_328:                            ;   in Loop: Header=BB244_13 Depth=1
	s_or_b64 exec, exec, s[44:45]
.LBB244_329:                            ;   in Loop: Header=BB244_13 Depth=1
	s_or_b64 exec, exec, s[42:43]
.LBB244_330:                            ;   in Loop: Header=BB244_13 Depth=1
	s_or_b64 exec, exec, s[40:41]
	global_load_ushort v3, v[7:8], off offset:3328
	v_mov_b32_e32 v4, 0
	v_mov_b32_e32 v16, 0
	s_waitcnt vmcnt(0)
	v_and_b32_e32 v1, 0xffff, v3
	v_cmp_ne_u16_sdwa s[4:5], v3, v2 src0_sel:BYTE_0 src1_sel:DWORD
	s_and_saveexec_b64 s[40:41], s[4:5]
	s_cbranch_execz .LBB244_336
; %bb.331:                              ;   in Loop: Header=BB244_13 Depth=1
	v_cmp_ne_u16_sdwa s[4:5], v1, s52 src0_sel:BYTE_0 src1_sel:DWORD
	v_mov_b32_e32 v16, 0x8000
	s_and_saveexec_b64 s[42:43], s[4:5]
	s_cbranch_execz .LBB244_335
; %bb.332:                              ;   in Loop: Header=BB244_13 Depth=1
	v_and_b32_e32 v3, 0x7f, v1
	v_cmp_ne_u32_e64 s[4:5], s53, v3
	v_mov_b32_e32 v16, 0x7c01
	s_and_saveexec_b64 s[44:45], s[4:5]
	s_cbranch_execz .LBB244_334
; %bb.333:                              ;   in Loop: Header=BB244_13 Depth=1
	v_and_b32_e32 v9, 7, v1
	v_lshrrev_b32_e32 v16, 3, v3
	v_cmp_gt_u32_e64 s[4:5], 8, v3
	v_ffbh_u32_e32 v3, v9
	v_min_u32_e32 v3, 32, v3
	v_subrev_u32_e32 v11, 28, v3
	v_sub_u32_e32 v3, 29, v3
	v_lshlrev_b64 v[11:12], v11, v[1:2]
	v_cndmask_b32_e64 v3, v16, v3, s[4:5]
	v_mov_b32_e32 v16, 0x2000
	v_lshl_add_u32 v3, v3, 10, v16
	v_lshlrev_b32_e32 v12, 8, v1
	v_and_b32_e32 v11, 7, v11
	v_and_b32_e32 v3, 0xfc00, v3
	v_cndmask_b32_e64 v9, v9, v11, s[4:5]
	v_and_or_b32 v3, v12, s54, v3
	v_lshl_or_b32 v16, v9, 7, v3
.LBB244_334:                            ;   in Loop: Header=BB244_13 Depth=1
	s_or_b64 exec, exec, s[44:45]
.LBB244_335:                            ;   in Loop: Header=BB244_13 Depth=1
	s_or_b64 exec, exec, s[42:43]
.LBB244_336:                            ;   in Loop: Header=BB244_13 Depth=1
	s_or_b64 exec, exec, s[40:41]
	v_lshrrev_b16_e32 v1, 8, v1
	v_cmp_ne_u16_e64 s[4:5], 0, v1
	s_and_saveexec_b64 s[40:41], s[4:5]
	s_cbranch_execz .LBB244_342
; %bb.337:                              ;   in Loop: Header=BB244_13 Depth=1
	v_cmp_ne_u16_e64 s[4:5], s52, v1
	v_bfrev_b32_e32 v4, 1
	s_and_saveexec_b64 s[42:43], s[4:5]
	s_cbranch_execz .LBB244_341
; %bb.338:                              ;   in Loop: Header=BB244_13 Depth=1
	v_and_b32_e32 v3, 0x7f, v1
	v_cmp_ne_u32_e64 s[4:5], s53, v3
	v_mov_b32_e32 v4, 0x7c010000
	s_and_saveexec_b64 s[44:45], s[4:5]
	s_cbranch_execz .LBB244_340
; %bb.339:                              ;   in Loop: Header=BB244_13 Depth=1
	v_and_b32_e32 v9, 7, v1
	v_lshrrev_b32_e32 v11, 3, v3
	v_cmp_gt_u32_e64 s[4:5], 8, v3
	v_ffbh_u32_e32 v3, v9
	v_min_u32_e32 v12, 32, v3
	v_subrev_u32_e32 v3, 28, v12
	v_lshlrev_b64 v[3:4], v3, v[1:2]
	v_sub_u32_e32 v4, 29, v12
	v_cndmask_b32_e64 v4, v11, v4, s[4:5]
	v_mov_b32_e32 v11, 0x2000
	v_lshlrev_b32_e32 v1, 8, v1
	v_lshl_add_u32 v4, v4, 10, v11
	v_and_b32_e32 v3, 7, v3
	v_and_or_b32 v1, v1, s54, v4
	v_cndmask_b32_e64 v3, v9, v3, s[4:5]
	v_lshlrev_b32_e32 v1, 16, v1
	v_lshl_or_b32 v4, v3, 23, v1
.LBB244_340:                            ;   in Loop: Header=BB244_13 Depth=1
	s_or_b64 exec, exec, s[44:45]
.LBB244_341:                            ;   in Loop: Header=BB244_13 Depth=1
	s_or_b64 exec, exec, s[42:43]
.LBB244_342:                            ;   in Loop: Header=BB244_13 Depth=1
	s_or_b64 exec, exec, s[40:41]
	global_load_ushort v3, v[7:8], off offset:3336
	v_mov_b32_e32 v18, 0
	s_waitcnt vmcnt(0)
	v_and_b32_e32 v1, 0xffff, v3
	v_cmp_ne_u16_sdwa s[4:5], v3, v2 src0_sel:BYTE_0 src1_sel:DWORD
	v_mov_b32_e32 v3, 0
	s_and_saveexec_b64 s[40:41], s[4:5]
	s_cbranch_execz .LBB244_348
; %bb.343:                              ;   in Loop: Header=BB244_13 Depth=1
	v_cmp_ne_u16_sdwa s[4:5], v1, s52 src0_sel:BYTE_0 src1_sel:DWORD
	v_mov_b32_e32 v3, 0x8000
	s_and_saveexec_b64 s[42:43], s[4:5]
	s_cbranch_execz .LBB244_347
; %bb.344:                              ;   in Loop: Header=BB244_13 Depth=1
	v_and_b32_e32 v9, 0x7f, v1
	v_cmp_ne_u32_e64 s[4:5], s53, v9
	v_mov_b32_e32 v3, 0x7c01
	s_and_saveexec_b64 s[44:45], s[4:5]
	s_cbranch_execz .LBB244_346
; %bb.345:                              ;   in Loop: Header=BB244_13 Depth=1
	v_and_b32_e32 v3, 7, v1
	v_lshrrev_b32_e32 v24, 3, v9
	v_cmp_gt_u32_e64 s[4:5], 8, v9
	v_ffbh_u32_e32 v9, v3
	v_min_u32_e32 v9, 32, v9
	v_subrev_u32_e32 v11, 28, v9
	v_sub_u32_e32 v9, 29, v9
	v_lshlrev_b64 v[11:12], v11, v[1:2]
	v_cndmask_b32_e64 v9, v24, v9, s[4:5]
	v_mov_b32_e32 v24, 0x2000
	v_lshl_add_u32 v9, v9, 10, v24
	v_lshlrev_b32_e32 v12, 8, v1
	v_and_b32_e32 v11, 7, v11
	v_and_b32_e32 v9, 0xfc00, v9
	v_cndmask_b32_e64 v3, v3, v11, s[4:5]
	v_and_or_b32 v9, v12, s54, v9
	v_lshl_or_b32 v3, v3, 7, v9
.LBB244_346:                            ;   in Loop: Header=BB244_13 Depth=1
	s_or_b64 exec, exec, s[44:45]
.LBB244_347:                            ;   in Loop: Header=BB244_13 Depth=1
	s_or_b64 exec, exec, s[42:43]
.LBB244_348:                            ;   in Loop: Header=BB244_13 Depth=1
	s_or_b64 exec, exec, s[40:41]
	v_lshrrev_b16_e32 v1, 8, v1
	v_cmp_ne_u16_e64 s[4:5], 0, v1
	s_and_saveexec_b64 s[40:41], s[4:5]
	s_cbranch_execz .LBB244_354
; %bb.349:                              ;   in Loop: Header=BB244_13 Depth=1
	v_cmp_ne_u16_e64 s[4:5], s52, v1
	v_bfrev_b32_e32 v18, 1
	s_and_saveexec_b64 s[42:43], s[4:5]
	s_cbranch_execz .LBB244_353
; %bb.350:                              ;   in Loop: Header=BB244_13 Depth=1
	v_and_b32_e32 v9, 0x7f, v1
	v_cmp_ne_u32_e64 s[4:5], s53, v9
	v_mov_b32_e32 v18, 0x7c010000
	s_and_saveexec_b64 s[44:45], s[4:5]
	s_cbranch_execz .LBB244_352
; %bb.351:                              ;   in Loop: Header=BB244_13 Depth=1
	v_and_b32_e32 v18, 7, v1
	v_lshrrev_b32_e32 v24, 3, v9
	v_cmp_gt_u32_e64 s[4:5], 8, v9
	v_ffbh_u32_e32 v9, v18
	v_min_u32_e32 v9, 32, v9
	v_subrev_u32_e32 v11, 28, v9
	v_lshlrev_b64 v[11:12], v11, v[1:2]
	v_sub_u32_e32 v9, 29, v9
	v_cndmask_b32_e64 v9, v24, v9, s[4:5]
	v_mov_b32_e32 v12, 0x2000
	v_lshlrev_b32_e32 v1, 8, v1
	v_lshl_add_u32 v9, v9, 10, v12
	v_and_b32_e32 v11, 7, v11
	v_and_or_b32 v1, v1, s54, v9
	v_cndmask_b32_e64 v11, v18, v11, s[4:5]
	v_lshlrev_b32_e32 v1, 16, v1
	v_lshl_or_b32 v18, v11, 23, v1
.LBB244_352:                            ;   in Loop: Header=BB244_13 Depth=1
	s_or_b64 exec, exec, s[44:45]
.LBB244_353:                            ;   in Loop: Header=BB244_13 Depth=1
	s_or_b64 exec, exec, s[42:43]
.LBB244_354:                            ;   in Loop: Header=BB244_13 Depth=1
	s_or_b64 exec, exec, s[40:41]
	global_load_ushort v9, v[7:8], off offset:3584
	v_mov_b32_e32 v11, 0
	s_waitcnt vmcnt(0)
	v_and_b32_e32 v1, 0xffff, v9
	v_cmp_ne_u16_sdwa s[4:5], v9, v2 src0_sel:BYTE_0 src1_sel:DWORD
	v_mov_b32_e32 v9, 0
	s_and_saveexec_b64 s[40:41], s[4:5]
	s_cbranch_execz .LBB244_360
; %bb.355:                              ;   in Loop: Header=BB244_13 Depth=1
	v_cmp_ne_u16_sdwa s[4:5], v1, s52 src0_sel:BYTE_0 src1_sel:DWORD
	v_mov_b32_e32 v9, 0x8000
	s_and_saveexec_b64 s[42:43], s[4:5]
	s_cbranch_execz .LBB244_359
; %bb.356:                              ;   in Loop: Header=BB244_13 Depth=1
	v_and_b32_e32 v12, 0x7f, v1
	v_cmp_ne_u32_e64 s[4:5], s53, v12
	v_mov_b32_e32 v9, 0x7c01
	s_and_saveexec_b64 s[44:45], s[4:5]
	s_cbranch_execz .LBB244_358
; %bb.357:                              ;   in Loop: Header=BB244_13 Depth=1
	v_and_b32_e32 v9, 7, v1
	v_lshrrev_b32_e32 v24, 3, v12
	v_cmp_gt_u32_e64 s[4:5], 8, v12
	v_ffbh_u32_e32 v12, v9
	v_min_u32_e32 v12, 32, v12
	v_subrev_u32_e32 v28, 28, v12
	v_sub_u32_e32 v12, 29, v12
	v_mov_b32_e32 v30, v62
	v_mov_b32_e32 v32, v63
	v_lshlrev_b64 v[62:63], v28, v[1:2]
	v_cndmask_b32_e64 v12, v24, v12, s[4:5]
	v_mov_b32_e32 v28, 0x2000
	v_lshl_add_u32 v12, v12, 10, v28
	v_lshlrev_b32_e32 v24, 8, v1
	v_and_b32_e32 v28, 7, v62
	v_and_b32_e32 v12, 0xfc00, v12
	v_cndmask_b32_e64 v9, v9, v28, s[4:5]
	v_and_or_b32 v12, v24, s54, v12
	v_mov_b32_e32 v63, v32
	v_mov_b32_e32 v62, v30
	v_lshl_or_b32 v9, v9, 7, v12
.LBB244_358:                            ;   in Loop: Header=BB244_13 Depth=1
	s_or_b64 exec, exec, s[44:45]
.LBB244_359:                            ;   in Loop: Header=BB244_13 Depth=1
	s_or_b64 exec, exec, s[42:43]
.LBB244_360:                            ;   in Loop: Header=BB244_13 Depth=1
	s_or_b64 exec, exec, s[40:41]
	v_lshrrev_b16_e32 v1, 8, v1
	v_cmp_ne_u16_e64 s[4:5], 0, v1
	s_and_saveexec_b64 s[40:41], s[4:5]
	s_cbranch_execz .LBB244_366
; %bb.361:                              ;   in Loop: Header=BB244_13 Depth=1
	v_cmp_ne_u16_e64 s[4:5], s52, v1
	v_bfrev_b32_e32 v11, 1
	s_and_saveexec_b64 s[42:43], s[4:5]
	s_cbranch_execz .LBB244_365
; %bb.362:                              ;   in Loop: Header=BB244_13 Depth=1
	v_and_b32_e32 v12, 0x7f, v1
	v_cmp_ne_u32_e64 s[4:5], s53, v12
	v_mov_b32_e32 v11, 0x7c010000
	s_and_saveexec_b64 s[44:45], s[4:5]
	s_cbranch_execz .LBB244_364
; %bb.363:                              ;   in Loop: Header=BB244_13 Depth=1
	v_and_b32_e32 v24, 7, v1
	v_ffbh_u32_e32 v11, v24
	v_min_u32_e32 v30, 32, v11
	v_subrev_u32_e32 v11, 28, v30
	v_lshrrev_b32_e32 v28, 3, v12
	v_cmp_gt_u32_e64 s[4:5], 8, v12
	v_lshlrev_b64 v[11:12], v11, v[1:2]
	v_sub_u32_e32 v12, 29, v30
	v_cndmask_b32_e64 v12, v28, v12, s[4:5]
	v_mov_b32_e32 v28, 0x2000
	v_lshlrev_b32_e32 v1, 8, v1
	v_lshl_add_u32 v12, v12, 10, v28
	v_and_b32_e32 v11, 7, v11
	v_and_or_b32 v1, v1, s54, v12
	v_cndmask_b32_e64 v11, v24, v11, s[4:5]
	v_lshlrev_b32_e32 v1, 16, v1
	v_lshl_or_b32 v11, v11, 23, v1
.LBB244_364:                            ;   in Loop: Header=BB244_13 Depth=1
	s_or_b64 exec, exec, s[44:45]
.LBB244_365:                            ;   in Loop: Header=BB244_13 Depth=1
	s_or_b64 exec, exec, s[42:43]
.LBB244_366:                            ;   in Loop: Header=BB244_13 Depth=1
	s_or_b64 exec, exec, s[40:41]
	global_load_ushort v24, v[7:8], off offset:3592
	v_mov_b32_e32 v12, 0
	v_mov_b32_e32 v28, 0
	s_waitcnt vmcnt(0)
	v_and_b32_e32 v1, 0xffff, v24
	v_cmp_ne_u16_sdwa s[4:5], v24, v2 src0_sel:BYTE_0 src1_sel:DWORD
	s_and_saveexec_b64 s[40:41], s[4:5]
	s_cbranch_execz .LBB244_372
; %bb.367:                              ;   in Loop: Header=BB244_13 Depth=1
	v_cmp_ne_u16_sdwa s[4:5], v1, s52 src0_sel:BYTE_0 src1_sel:DWORD
	v_mov_b32_e32 v28, 0x8000
	s_and_saveexec_b64 s[42:43], s[4:5]
	s_cbranch_execz .LBB244_371
; %bb.368:                              ;   in Loop: Header=BB244_13 Depth=1
	v_and_b32_e32 v24, 0x7f, v1
	v_cmp_ne_u32_e64 s[4:5], s53, v24
	v_mov_b32_e32 v28, 0x7c01
	s_and_saveexec_b64 s[44:45], s[4:5]
	s_cbranch_execz .LBB244_370
; %bb.369:                              ;   in Loop: Header=BB244_13 Depth=1
	v_and_b32_e32 v28, 7, v1
	v_lshrrev_b32_e32 v30, 3, v24
	v_cmp_gt_u32_e64 s[4:5], 8, v24
	v_ffbh_u32_e32 v24, v28
	v_min_u32_e32 v24, 32, v24
	v_subrev_u32_e32 v32, 28, v24
	v_sub_u32_e32 v24, 29, v24
	v_mov_b32_e32 v57, v62
	v_mov_b32_e32 v19, v47
	;; [unrolled: 1-line block ×3, first 2 shown]
	v_lshlrev_b64 v[62:63], v32, v[1:2]
	v_cndmask_b32_e64 v24, v30, v24, s[4:5]
	v_mov_b32_e32 v32, 0x2000
	v_lshl_add_u32 v24, v24, 10, v32
	v_lshlrev_b32_e32 v30, 8, v1
	v_and_b32_e32 v32, 7, v62
	v_and_b32_e32 v24, 0xfc00, v24
	v_cndmask_b32_e64 v28, v28, v32, s[4:5]
	v_and_or_b32 v24, v30, s54, v24
	v_mov_b32_e32 v63, v47
	v_mov_b32_e32 v47, v19
	;; [unrolled: 1-line block ×3, first 2 shown]
	v_lshl_or_b32 v28, v28, 7, v24
.LBB244_370:                            ;   in Loop: Header=BB244_13 Depth=1
	s_or_b64 exec, exec, s[44:45]
.LBB244_371:                            ;   in Loop: Header=BB244_13 Depth=1
	s_or_b64 exec, exec, s[42:43]
.LBB244_372:                            ;   in Loop: Header=BB244_13 Depth=1
	s_or_b64 exec, exec, s[40:41]
	v_lshrrev_b16_e32 v1, 8, v1
	v_cmp_ne_u16_e64 s[4:5], 0, v1
	s_and_saveexec_b64 s[40:41], s[4:5]
	s_cbranch_execz .LBB244_378
; %bb.373:                              ;   in Loop: Header=BB244_13 Depth=1
	v_cmp_ne_u16_e64 s[4:5], s52, v1
	v_bfrev_b32_e32 v12, 1
	s_and_saveexec_b64 s[42:43], s[4:5]
	s_cbranch_execz .LBB244_377
; %bb.374:                              ;   in Loop: Header=BB244_13 Depth=1
	v_and_b32_e32 v24, 0x7f, v1
	v_cmp_ne_u32_e64 s[4:5], s53, v24
	v_mov_b32_e32 v12, 0x7c010000
	s_and_saveexec_b64 s[44:45], s[4:5]
	s_cbranch_execz .LBB244_376
; %bb.375:                              ;   in Loop: Header=BB244_13 Depth=1
	v_and_b32_e32 v12, 7, v1
	v_lshrrev_b32_e32 v30, 3, v24
	v_cmp_gt_u32_e64 s[4:5], 8, v24
	v_ffbh_u32_e32 v24, v12
	v_min_u32_e32 v24, 32, v24
	v_subrev_u32_e32 v32, 28, v24
	v_sub_u32_e32 v24, 29, v24
	v_mov_b32_e32 v57, v62
	v_mov_b32_e32 v19, v47
	;; [unrolled: 1-line block ×3, first 2 shown]
	v_lshlrev_b64 v[62:63], v32, v[1:2]
	v_cndmask_b32_e64 v24, v30, v24, s[4:5]
	v_mov_b32_e32 v30, 0x2000
	v_lshlrev_b32_e32 v1, 8, v1
	v_lshl_add_u32 v24, v24, 10, v30
	v_and_b32_e32 v30, 7, v62
	v_and_or_b32 v1, v1, s54, v24
	v_cndmask_b32_e64 v12, v12, v30, s[4:5]
	v_lshlrev_b32_e32 v1, 16, v1
	v_mov_b32_e32 v63, v47
	v_mov_b32_e32 v47, v19
	;; [unrolled: 1-line block ×3, first 2 shown]
	v_lshl_or_b32 v12, v12, 23, v1
.LBB244_376:                            ;   in Loop: Header=BB244_13 Depth=1
	s_or_b64 exec, exec, s[44:45]
.LBB244_377:                            ;   in Loop: Header=BB244_13 Depth=1
	s_or_b64 exec, exec, s[42:43]
.LBB244_378:                            ;   in Loop: Header=BB244_13 Depth=1
	s_or_b64 exec, exec, s[40:41]
	global_load_ushort v24, v[7:8], off offset:3840
	v_mov_b32_e32 v30, 0
	v_mov_b32_e32 v32, 0
	s_waitcnt vmcnt(0)
	v_and_b32_e32 v1, 0xffff, v24
	v_cmp_ne_u16_sdwa s[4:5], v24, v2 src0_sel:BYTE_0 src1_sel:DWORD
	s_mov_b64 s[40:41], exec
	s_and_b64 s[4:5], s[40:41], s[4:5]
	v_mov_b32_e32 v57, v35
	v_mov_b32_e32 v19, v43
	s_mov_b64 exec, s[4:5]
	s_cbranch_execz .LBB244_384
; %bb.379:                              ;   in Loop: Header=BB244_13 Depth=1
	v_cmp_ne_u16_sdwa s[4:5], v1, s52 src0_sel:BYTE_0 src1_sel:DWORD
	v_mov_b32_e32 v32, 0x8000
	s_and_saveexec_b64 s[42:43], s[4:5]
	s_cbranch_execz .LBB244_383
; %bb.380:                              ;   in Loop: Header=BB244_13 Depth=1
	v_and_b32_e32 v24, 0x7f, v1
	v_cmp_ne_u32_e64 s[4:5], s53, v24
	v_mov_b32_e32 v32, 0x7c01
	s_and_saveexec_b64 s[44:45], s[4:5]
	s_cbranch_execz .LBB244_382
; %bb.381:                              ;   in Loop: Header=BB244_13 Depth=1
	v_and_b32_e32 v32, 7, v1
	v_lshrrev_b32_e32 v35, 3, v24
	v_cmp_gt_u32_e64 s[4:5], 8, v24
	v_ffbh_u32_e32 v24, v32
	v_min_u32_e32 v24, 32, v24
	v_subrev_u32_e32 v41, 28, v24
	v_sub_u32_e32 v24, 29, v24
	v_lshlrev_b64 v[42:43], v41, v[1:2]
	v_cndmask_b32_e64 v24, v35, v24, s[4:5]
	v_mov_b32_e32 v41, 0x2000
	v_lshl_add_u32 v24, v24, 10, v41
	v_lshlrev_b32_e32 v35, 8, v1
	v_and_b32_e32 v41, 7, v42
	v_and_b32_e32 v24, 0xfc00, v24
	v_mov_b32_e32 v53, v38
	v_cndmask_b32_e64 v32, v32, v41, s[4:5]
	v_and_or_b32 v24, v35, s54, v24
	v_mov_b32_e32 v38, v53
	v_lshl_or_b32 v32, v32, 7, v24
.LBB244_382:                            ;   in Loop: Header=BB244_13 Depth=1
	s_or_b64 exec, exec, s[44:45]
.LBB244_383:                            ;   in Loop: Header=BB244_13 Depth=1
	s_or_b64 exec, exec, s[42:43]
.LBB244_384:                            ;   in Loop: Header=BB244_13 Depth=1
	s_or_b64 exec, exec, s[40:41]
	v_lshrrev_b16_e32 v1, 8, v1
	v_cmp_ne_u16_e64 s[4:5], 0, v1
	s_and_saveexec_b64 s[40:41], s[4:5]
	s_cbranch_execz .LBB244_390
; %bb.385:                              ;   in Loop: Header=BB244_13 Depth=1
	v_cmp_ne_u16_e64 s[4:5], s52, v1
	v_bfrev_b32_e32 v30, 1
	s_and_saveexec_b64 s[42:43], s[4:5]
	s_cbranch_execz .LBB244_389
; %bb.386:                              ;   in Loop: Header=BB244_13 Depth=1
	v_and_b32_e32 v24, 0x7f, v1
	v_cmp_ne_u32_e64 s[4:5], s53, v24
	v_mov_b32_e32 v30, 0x7c010000
	s_and_saveexec_b64 s[44:45], s[4:5]
	s_cbranch_execz .LBB244_388
; %bb.387:                              ;   in Loop: Header=BB244_13 Depth=1
	v_and_b32_e32 v30, 7, v1
	v_lshrrev_b32_e32 v35, 3, v24
	v_cmp_gt_u32_e64 s[4:5], 8, v24
	v_ffbh_u32_e32 v24, v30
	v_min_u32_e32 v24, 32, v24
	v_subrev_u32_e32 v41, 28, v24
	v_sub_u32_e32 v24, 29, v24
	v_lshlrev_b64 v[41:42], v41, v[1:2]
	v_cndmask_b32_e64 v24, v35, v24, s[4:5]
	v_mov_b32_e32 v35, 0x2000
	v_lshlrev_b32_e32 v1, 8, v1
	v_lshl_add_u32 v24, v24, 10, v35
	v_and_b32_e32 v35, 7, v41
	v_and_or_b32 v1, v1, s54, v24
	v_mov_b32_e32 v43, v38
	v_cndmask_b32_e64 v30, v30, v35, s[4:5]
	v_lshlrev_b32_e32 v1, 16, v1
	v_mov_b32_e32 v38, v43
	v_lshl_or_b32 v30, v30, 23, v1
.LBB244_388:                            ;   in Loop: Header=BB244_13 Depth=1
	s_or_b64 exec, exec, s[44:45]
.LBB244_389:                            ;   in Loop: Header=BB244_13 Depth=1
	s_or_b64 exec, exec, s[42:43]
.LBB244_390:                            ;   in Loop: Header=BB244_13 Depth=1
	s_or_b64 exec, exec, s[40:41]
	global_load_ushort v7, v[7:8], off offset:3848
	v_mov_b32_e32 v24, 0
	s_waitcnt vmcnt(0)
	v_and_b32_e32 v1, 0xffff, v7
	v_cmp_ne_u16_sdwa s[4:5], v7, v2 src0_sel:BYTE_0 src1_sel:DWORD
	v_mov_b32_e32 v7, 0
	s_and_saveexec_b64 s[40:41], s[4:5]
	s_cbranch_execz .LBB244_396
; %bb.391:                              ;   in Loop: Header=BB244_13 Depth=1
	v_cmp_ne_u16_sdwa s[4:5], v1, s52 src0_sel:BYTE_0 src1_sel:DWORD
	v_mov_b32_e32 v7, 0x8000
	s_and_saveexec_b64 s[42:43], s[4:5]
	s_cbranch_execz .LBB244_395
; %bb.392:                              ;   in Loop: Header=BB244_13 Depth=1
	v_and_b32_e32 v8, 0x7f, v1
	v_cmp_ne_u32_e64 s[4:5], s53, v8
	v_mov_b32_e32 v7, 0x7c01
	s_and_saveexec_b64 s[44:45], s[4:5]
	s_cbranch_execz .LBB244_394
; %bb.393:                              ;   in Loop: Header=BB244_13 Depth=1
	v_and_b32_e32 v35, 7, v1
	v_ffbh_u32_e32 v7, v35
	v_mov_b32_e32 v42, v47
	v_mov_b32_e32 v47, v63
	;; [unrolled: 1-line block ×3, first 2 shown]
	v_min_u32_e32 v62, 32, v7
	v_subrev_u32_e32 v7, 28, v62
	v_lshrrev_b32_e32 v41, 3, v8
	v_cmp_gt_u32_e64 s[4:5], 8, v8
	v_lshlrev_b64 v[7:8], v7, v[1:2]
	v_sub_u32_e32 v8, 29, v62
	v_cndmask_b32_e64 v8, v41, v8, s[4:5]
	v_mov_b32_e32 v62, 0x2000
	v_lshl_add_u32 v8, v8, 10, v62
	v_lshlrev_b32_e32 v41, 8, v1
	v_and_b32_e32 v7, 7, v7
	v_and_b32_e32 v8, 0xfc00, v8
	v_cndmask_b32_e64 v7, v35, v7, s[4:5]
	v_and_or_b32 v8, v41, s54, v8
	v_mov_b32_e32 v62, v63
	v_mov_b32_e32 v63, v47
	;; [unrolled: 1-line block ×3, first 2 shown]
	v_lshl_or_b32 v7, v7, 7, v8
.LBB244_394:                            ;   in Loop: Header=BB244_13 Depth=1
	s_or_b64 exec, exec, s[44:45]
.LBB244_395:                            ;   in Loop: Header=BB244_13 Depth=1
	s_or_b64 exec, exec, s[42:43]
.LBB244_396:                            ;   in Loop: Header=BB244_13 Depth=1
	s_or_b64 exec, exec, s[40:41]
	v_lshrrev_b16_e32 v1, 8, v1
	v_cmp_ne_u16_e64 s[4:5], 0, v1
	s_and_saveexec_b64 s[40:41], s[4:5]
	s_cbranch_execz .LBB244_402
; %bb.397:                              ;   in Loop: Header=BB244_13 Depth=1
	v_cmp_ne_u16_e64 s[4:5], s52, v1
	v_bfrev_b32_e32 v24, 1
	s_and_saveexec_b64 s[42:43], s[4:5]
	s_cbranch_execz .LBB244_401
; %bb.398:                              ;   in Loop: Header=BB244_13 Depth=1
	v_and_b32_e32 v8, 0x7f, v1
	v_cmp_ne_u32_e64 s[4:5], s53, v8
	v_mov_b32_e32 v24, 0x7c010000
	s_and_saveexec_b64 s[44:45], s[4:5]
	s_cbranch_execz .LBB244_400
; %bb.399:                              ;   in Loop: Header=BB244_13 Depth=1
	v_and_b32_e32 v24, 7, v1
	v_lshrrev_b32_e32 v35, 3, v8
	v_cmp_gt_u32_e64 s[4:5], 8, v8
	v_ffbh_u32_e32 v8, v24
	v_min_u32_e32 v8, 32, v8
	v_subrev_u32_e32 v41, 28, v8
	v_sub_u32_e32 v8, 29, v8
	v_lshlrev_b64 v[41:42], v41, v[1:2]
	v_cndmask_b32_e64 v8, v35, v8, s[4:5]
	v_mov_b32_e32 v35, 0x2000
	v_lshlrev_b32_e32 v1, 8, v1
	v_lshl_add_u32 v8, v8, 10, v35
	v_and_b32_e32 v35, 7, v41
	v_and_or_b32 v1, v1, s54, v8
	v_mov_b32_e32 v43, v38
	v_cndmask_b32_e64 v24, v24, v35, s[4:5]
	v_lshlrev_b32_e32 v1, 16, v1
	v_mov_b32_e32 v38, v43
	v_lshl_or_b32 v24, v24, 23, v1
.LBB244_400:                            ;   in Loop: Header=BB244_13 Depth=1
	s_or_b64 exec, exec, s[44:45]
.LBB244_401:                            ;   in Loop: Header=BB244_13 Depth=1
	s_or_b64 exec, exec, s[42:43]
.LBB244_402:                            ;   in Loop: Header=BB244_13 Depth=1
	s_or_b64 exec, exec, s[40:41]
	v_or_b32_e32 v1, v30, v32
	v_fma_mixlo_f16 v1, v23, v1, 0 op_sel_hi:[0,1,0]
	buffer_store_dword v1, off, s[56:59], 0 offset:72 ; 4-byte Folded Spill
	v_fma_mixlo_f16 v1, v23, v30, 0 op_sel:[0,1,0] op_sel_hi:[0,1,0]
	buffer_store_dword v1, off, s[56:59], 0 offset:68 ; 4-byte Folded Spill
	v_or_b32_e32 v1, v12, v28
	v_fma_mixlo_f16 v1, v23, v1, 0 op_sel_hi:[0,1,0]
	buffer_store_dword v1, off, s[56:59], 0 offset:80 ; 4-byte Folded Spill
	v_fma_mixlo_f16 v1, v23, v12, 0 op_sel:[0,1,0] op_sel_hi:[0,1,0]
	buffer_store_dword v1, off, s[56:59], 0 offset:76 ; 4-byte Folded Spill
	v_or_b32_e32 v1, v11, v9
	v_fma_mixlo_f16 v1, v23, v1, 0 op_sel_hi:[0,1,0]
	buffer_store_dword v1, off, s[56:59], 0 offset:88 ; 4-byte Folded Spill
	v_fma_mixlo_f16 v1, v23, v11, 0 op_sel:[0,1,0] op_sel_hi:[0,1,0]
	buffer_store_dword v1, off, s[56:59], 0 offset:84 ; 4-byte Folded Spill
	v_or_b32_e32 v1, v18, v3
	v_fma_mixlo_f16 v1, v23, v1, 0 op_sel_hi:[0,1,0]
	buffer_store_dword v1, off, s[56:59], 0 offset:96 ; 4-byte Folded Spill
	v_fma_mixlo_f16 v1, v23, v18, 0 op_sel:[0,1,0] op_sel_hi:[0,1,0]
	buffer_store_dword v1, off, s[56:59], 0 offset:92 ; 4-byte Folded Spill
	v_or_b32_e32 v1, v4, v16
	v_fma_mixlo_f16 v1, v23, v1, 0 op_sel_hi:[0,1,0]
	buffer_store_dword v1, off, s[56:59], 0 offset:104 ; 4-byte Folded Spill
	v_fma_mixlo_f16 v1, v23, v4, 0 op_sel:[0,1,0] op_sel_hi:[0,1,0]
	buffer_store_dword v1, off, s[56:59], 0 offset:100 ; 4-byte Folded Spill
	v_or_b32_e32 v1, v0, v15
	v_fma_mixlo_f16 v0, v23, v0, 0 op_sel:[0,1,0] op_sel_hi:[0,1,0]
	buffer_store_dword v0, off, s[56:59], 0 offset:108 ; 4-byte Folded Spill
	v_or_b32_e32 v0, v27, v20
	v_fma_mixlo_f16 v20, v23, v0, 0 op_sel_hi:[0,1,0]
	v_or_b32_e32 v0, v29, v31
	v_fma_mixlo_f16 v31, v23, v0, 0 op_sel_hi:[0,1,0]
	;; [unrolled: 2-line block ×10, first 2 shown]
	buffer_load_dword v0, off, s[56:59], 0 offset:60 ; 4-byte Folded Reload
	v_fma_mixlo_f16 v33, v23, v26, 0 op_sel:[0,1,0] op_sel_hi:[0,1,0]
	v_fma_mixlo_f16 v26, v23, v10, 0 op_sel:[0,1,0] op_sel_hi:[0,1,0]
	v_or_b32_e32 v12, v62, v63
	v_fma_mixlo_f16 v63, v23, v12, 0 op_sel_hi:[0,1,0]
	v_fma_mixlo_f16 v18, v23, v1, 0 op_sel_hi:[0,1,0]
	v_fma_mixlo_f16 v1, v23, v54, 0 op_sel:[0,1,0] op_sel_hi:[0,1,0]
	v_fma_mixlo_f16 v42, v23, v34, 0 op_sel:[0,1,0] op_sel_hi:[0,1,0]
	v_or_b32_e32 v7, v24, v7
	v_fma_mixlo_f16 v27, v23, v27, 0 op_sel:[0,1,0] op_sel_hi:[0,1,0]
	v_fma_mixlo_f16 v29, v23, v29, 0 op_sel:[0,1,0] op_sel_hi:[0,1,0]
	;; [unrolled: 1-line block ×9, first 2 shown]
	v_and_b32_e32 v1, 0xffff, v1
	v_and_b32_e32 v3, 0xffff, v3
	;; [unrolled: 1-line block ×3, first 2 shown]
	s_waitcnt vmcnt(0)
	v_or_b32_e32 v0, v54, v0
	v_fma_mixlo_f16 v53, v23, v0, 0 op_sel_hi:[0,1,0]
	buffer_load_dword v0, off, s[56:59], 0 offset:56 ; 4-byte Folded Reload
	s_waitcnt vmcnt(0)
	v_or_b32_e32 v0, v50, v0
	v_fma_mixlo_f16 v51, v23, v0, 0 op_sel_hi:[0,1,0]
	v_or_b32_e32 v0, v48, v40
	v_fma_mixlo_f16 v49, v23, v0, 0 op_sel_hi:[0,1,0]
	;; [unrolled: 2-line block ×3, first 2 shown]
	buffer_load_dword v0, off, s[56:59], 0 offset:48 ; 4-byte Folded Reload
	v_fma_mixlo_f16 v50, v23, v50, 0 op_sel:[0,1,0] op_sel_hi:[0,1,0]
	v_fma_mixlo_f16 v48, v23, v48, 0 op_sel:[0,1,0] op_sel_hi:[0,1,0]
	;; [unrolled: 1-line block ×3, first 2 shown]
	s_waitcnt vmcnt(0)
	v_or_b32_e32 v0, v44, v0
	v_fma_mixlo_f16 v45, v23, v0, 0 op_sel_hi:[0,1,0]
	buffer_load_dword v0, off, s[56:59], 0 offset:44 ; 4-byte Folded Reload
	v_fma_mixlo_f16 v44, v23, v44, 0 op_sel:[0,1,0] op_sel_hi:[0,1,0]
	s_waitcnt vmcnt(0)
	v_or_b32_e32 v0, v34, v0
	v_fma_mixlo_f16 v43, v23, v0, 0 op_sel_hi:[0,1,0]
	buffer_load_dword v0, off, s[56:59], 0 offset:40 ; 4-byte Folded Reload
	buffer_load_dword v10, off, s[56:59], 0 offset:52 ; 4-byte Folded Reload
	s_waitcnt vmcnt(0)
	v_or_b32_e32 v0, v10, v0
	v_fma_mixlo_f16 v28, v23, v0, 0 op_sel_hi:[0,1,0]
	buffer_load_dword v0, off, s[56:59], 0 offset:36 ; 4-byte Folded Reload
	v_fma_mixlo_f16 v40, v23, v10, 0 op_sel:[0,1,0] op_sel_hi:[0,1,0]
	s_waitcnt vmcnt(0)
	v_or_b32_e32 v0, v38, v0
	v_fma_mixlo_f16 v30, v23, v0, 0 op_sel_hi:[0,1,0]
	buffer_load_dword v10, off, s[56:59], 0 offset:28 ; 4-byte Folded Reload
	buffer_load_dword v0, off, s[56:59], 0 offset:32 ; 4-byte Folded Reload
	v_fma_mixlo_f16 v38, v23, v38, 0 op_sel:[0,1,0] op_sel_hi:[0,1,0]
	s_waitcnt vmcnt(1)
	v_fma_mixlo_f16 v36, v23, v10, 0 op_sel:[0,1,0] op_sel_hi:[0,1,0]
	s_waitcnt vmcnt(0)
	v_or_b32_e32 v0, v10, v0
	v_fma_mixlo_f16 v32, v23, v0, 0 op_sel_hi:[0,1,0]
	buffer_load_dword v10, off, s[56:59], 0 offset:20 ; 4-byte Folded Reload
	buffer_load_dword v0, off, s[56:59], 0 offset:24 ; 4-byte Folded Reload
	;; [unrolled: 1-line block ×4, first 2 shown]
	s_waitcnt vmcnt(3)
	v_fma_mixlo_f16 v34, v23, v10, 0 op_sel:[0,1,0] op_sel_hi:[0,1,0]
	s_waitcnt vmcnt(1)
	v_fma_mixlo_f16 v35, v23, v13, 0 op_sel:[0,1,0] op_sel_hi:[0,1,0]
	s_waitcnt vmcnt(0)
	v_or_b32_e32 v12, v13, v12
	buffer_load_dword v54, off, s[56:59], 0 offset:4 ; 4-byte Folded Reload
	buffer_load_dword v13, off, s[56:59], 0 offset:8 ; 4-byte Folded Reload
	v_or_b32_e32 v0, v10, v0
	v_or_b32_e32 v10, v61, v19
	v_fma_mixlo_f16 v0, v23, v0, 0 op_sel_hi:[0,1,0]
	v_fma_mixlo_f16 v11, v23, v10, 0 op_sel_hi:[0,1,0]
	v_fma_mixlo_f16 v10, v23, v61, 0 op_sel:[0,1,0] op_sel_hi:[0,1,0]
	v_fma_mixlo_f16 v12, v23, v12, 0 op_sel_hi:[0,1,0]
	v_and_b32_e32 v12, 0xffff, v12
	v_and_b32_e32 v35, 0xffff, v35
	;; [unrolled: 1-line block ×5, first 2 shown]
	s_waitcnt vmcnt(1)
	v_fma_mixlo_f16 v61, v23, v54, 0 op_sel:[0,1,0] op_sel_hi:[0,1,0]
	s_waitcnt vmcnt(0)
	v_or_b32_e32 v13, v54, v13
	v_fma_mixlo_f16 v19, v23, v13, 0 op_sel_hi:[0,1,0]
	v_or_b32_e32 v13, v57, v59
	v_fma_mixlo_f16 v59, v23, v13, 0 op_sel_hi:[0,1,0]
	v_fma_mixlo_f16 v57, v23, v57, 0 op_sel:[0,1,0] op_sel_hi:[0,1,0]
	v_fma_mixlo_f16 v13, v23, v7, 0 op_sel_hi:[0,1,0]
	v_fma_mixlo_f16 v7, v23, v24, 0 op_sel:[0,1,0] op_sel_hi:[0,1,0]
	ds_read_b32 v23, v14
	v_and_b32_e32 v19, 0xffff, v19
	v_and_b32_e32 v61, 0xffff, v61
	s_waitcnt lgkmcnt(0)
	v_lshrrev_b32_e32 v54, 16, v23
	v_and_b32_e32 v23, 0xffff, v23
	;;#ASMSTART
	v_cvt_f32_f16 v24, v23;
	;;#ASMEND
	v_and_b32_e32 v23, 0xffff, v59
	;;#ASMSTART
	v_cvt_f32_f16 v55, v54;
	;;#ASMEND
	;;#ASMSTART
	v_cvt_f32_f16 v59, v23;
	;;#ASMEND
	v_and_b32_e32 v23, 0xffff, v57
	;;#ASMSTART
	v_cvt_f32_f16 v57, v23;
	;;#ASMEND
	ds_read_b32 v23, v14 offset:4
	s_waitcnt lgkmcnt(0)
	v_lshrrev_b32_e32 v54, 16, v23
	v_and_b32_e32 v23, 0xffff, v23
	;;#ASMSTART
	v_cvt_f32_f16 v23, v23;
	;;#ASMEND
	;;#ASMSTART
	v_cvt_f32_f16 v54, v54;
	;;#ASMEND
	;; [unrolled: 3-line block ×4, first 2 shown]
	v_mul_f32_e32 v23, v23, v19
	ds_read_b32 v19, v14 offset:8
	v_fmac_f32_e32 v23, v24, v59
	v_mul_f32_e32 v24, v54, v61
	v_fmac_f32_e32 v24, v55, v57
	s_waitcnt lgkmcnt(0)
	v_lshrrev_b32_e32 v54, 16, v19
	v_and_b32_e32 v19, 0xffff, v19
	;;#ASMSTART
	v_cvt_f32_f16 v19, v19;
	;;#ASMEND
	;;#ASMSTART
	v_cvt_f32_f16 v54, v54;
	;;#ASMEND
	;; [unrolled: 3-line block ×4, first 2 shown]
	v_fmac_f32_e32 v23, v19, v12
	ds_read_b32 v12, v14 offset:12
	v_fmac_f32_e32 v24, v54, v35
	v_and_b32_e32 v35, 0xffff, v63
	v_and_b32_e32 v54, 0xffff, v62
	s_waitcnt lgkmcnt(0)
	v_lshrrev_b32_e32 v19, 16, v12
	v_and_b32_e32 v12, 0xffff, v12
	;;#ASMSTART
	v_cvt_f32_f16 v12, v12;
	;;#ASMEND
	;;#ASMSTART
	v_cvt_f32_f16 v19, v19;
	;;#ASMEND
	;; [unrolled: 3-line block ×4, first 2 shown]
	v_fmac_f32_e32 v23, v12, v35
	ds_read_b32 v12, v14 offset:16
	v_fmac_f32_e32 v24, v19, v54
	s_waitcnt lgkmcnt(0)
	v_lshrrev_b32_e32 v19, 16, v12
	v_and_b32_e32 v12, 0xffff, v12
	;;#ASMSTART
	v_cvt_f32_f16 v12, v12;
	;;#ASMEND
	;;#ASMSTART
	v_cvt_f32_f16 v19, v19;
	;;#ASMEND
	;; [unrolled: 3-line block ×4, first 2 shown]
	v_fmac_f32_e32 v24, v19, v10
	ds_read_b32 v10, v14 offset:20
	v_fmac_f32_e32 v23, v12, v11
	v_and_b32_e32 v12, 0xffff, v34
	s_waitcnt lgkmcnt(0)
	v_lshrrev_b32_e32 v11, 16, v10
	v_and_b32_e32 v10, 0xffff, v10
	;;#ASMSTART
	v_cvt_f32_f16 v10, v10;
	;;#ASMEND
	;;#ASMSTART
	v_cvt_f32_f16 v11, v11;
	;;#ASMEND
	;;#ASMSTART
	v_cvt_f32_f16 v0, v0;
	;;#ASMEND
	;;#ASMSTART
	v_cvt_f32_f16 v12, v12;
	;;#ASMEND
	v_fmac_f32_e32 v23, v10, v0
	ds_read_b32 v0, v14 offset:24
	v_fmac_f32_e32 v24, v11, v12
	v_and_b32_e32 v11, 0xffff, v32
	v_and_b32_e32 v12, 0xffff, v36
	s_waitcnt lgkmcnt(0)
	v_lshrrev_b32_e32 v10, 16, v0
	v_and_b32_e32 v0, 0xffff, v0
	;;#ASMSTART
	v_cvt_f32_f16 v0, v0;
	;;#ASMEND
	;;#ASMSTART
	v_cvt_f32_f16 v10, v10;
	;;#ASMEND
	;;#ASMSTART
	v_cvt_f32_f16 v11, v11;
	;;#ASMEND
	;;#ASMSTART
	v_cvt_f32_f16 v12, v12;
	;;#ASMEND
	v_fmac_f32_e32 v23, v0, v11
	ds_read_b32 v0, v14 offset:28
	v_fmac_f32_e32 v24, v10, v12
	v_and_b32_e32 v11, 0xffff, v30
	;; [unrolled: 20-line block ×9, first 2 shown]
	s_waitcnt lgkmcnt(0)
	v_lshrrev_b32_e32 v10, 16, v0
	v_and_b32_e32 v0, 0xffff, v0
	;;#ASMSTART
	v_cvt_f32_f16 v0, v0;
	;;#ASMEND
	;;#ASMSTART
	v_cvt_f32_f16 v10, v10;
	;;#ASMEND
	;; [unrolled: 3-line block ×4, first 2 shown]
	v_fmac_f32_e32 v23, v0, v11
	ds_read_b32 v0, v14 offset:60
	v_fmac_f32_e32 v24, v10, v1
	s_waitcnt lgkmcnt(0)
	v_lshrrev_b32_e32 v1, 16, v0
	v_and_b32_e32 v0, 0xffff, v0
	;;#ASMSTART
	v_cvt_f32_f16 v0, v0;
	;;#ASMEND
	;;#ASMSTART
	v_cvt_f32_f16 v1, v1;
	;;#ASMEND
	;;#ASMSTART
	v_cvt_f32_f16 v3, v3;
	;;#ASMEND
	;;#ASMSTART
	v_cvt_f32_f16 v4, v4;
	;;#ASMEND
	v_fmac_f32_e32 v23, v0, v3
	ds_read_b32 v0, v14 offset:64
	v_fmac_f32_e32 v24, v1, v4
	v_and_b32_e32 v3, 0xffff, v8
	v_and_b32_e32 v4, 0xffff, v56
	s_waitcnt lgkmcnt(0)
	v_lshrrev_b32_e32 v1, 16, v0
	v_and_b32_e32 v0, 0xffff, v0
	;;#ASMSTART
	v_cvt_f32_f16 v0, v0;
	;;#ASMEND
	;;#ASMSTART
	v_cvt_f32_f16 v1, v1;
	;;#ASMEND
	;;#ASMSTART
	v_cvt_f32_f16 v3, v3;
	;;#ASMEND
	;;#ASMSTART
	v_cvt_f32_f16 v4, v4;
	;;#ASMEND
	v_fmac_f32_e32 v23, v0, v3
	ds_read_b32 v0, v14 offset:68
	v_fmac_f32_e32 v24, v1, v4
	v_and_b32_e32 v3, 0xffff, v9
	v_and_b32_e32 v4, 0xffff, v58
	;; [unrolled: 20-line block ×9, first 2 shown]
	s_waitcnt lgkmcnt(0)
	v_lshrrev_b32_e32 v1, 16, v0
	v_and_b32_e32 v0, 0xffff, v0
	;;#ASMSTART
	v_cvt_f32_f16 v0, v0;
	;;#ASMEND
	;;#ASMSTART
	v_cvt_f32_f16 v1, v1;
	;;#ASMEND
	;; [unrolled: 3-line block ×4, first 2 shown]
	v_fmac_f32_e32 v23, v0, v3
	ds_read_b32 v0, v14 offset:100
	v_fmac_f32_e32 v24, v1, v4
	v_and_b32_e32 v3, 0xffff, v18
	s_waitcnt lgkmcnt(0)
	v_lshrrev_b32_e32 v1, 16, v0
	v_and_b32_e32 v0, 0xffff, v0
	;;#ASMSTART
	v_cvt_f32_f16 v0, v0;
	;;#ASMEND
	;;#ASMSTART
	v_cvt_f32_f16 v1, v1;
	;;#ASMEND
	;; [unrolled: 3-line block ×3, first 2 shown]
	buffer_load_dword v4, off, s[56:59], 0 offset:108 ; 4-byte Folded Reload
	v_fmac_f32_e32 v23, v0, v3
	s_waitcnt vmcnt(0)
	v_and_b32_e32 v4, 0xffff, v4
	;;#ASMSTART
	v_cvt_f32_f16 v4, v4;
	;;#ASMEND
	ds_read_b32 v0, v14 offset:104
	v_fmac_f32_e32 v24, v1, v4
	s_waitcnt lgkmcnt(0)
	v_lshrrev_b32_e32 v1, 16, v0
	v_and_b32_e32 v0, 0xffff, v0
	;;#ASMSTART
	v_cvt_f32_f16 v0, v0;
	;;#ASMEND
	;;#ASMSTART
	v_cvt_f32_f16 v1, v1;
	;;#ASMEND
	buffer_load_dword v3, off, s[56:59], 0 offset:104 ; 4-byte Folded Reload
	s_waitcnt vmcnt(0)
	v_and_b32_e32 v3, 0xffff, v3
	;;#ASMSTART
	v_cvt_f32_f16 v3, v3;
	;;#ASMEND
	buffer_load_dword v4, off, s[56:59], 0 offset:100 ; 4-byte Folded Reload
	v_fmac_f32_e32 v23, v0, v3
	s_waitcnt vmcnt(0)
	v_and_b32_e32 v4, 0xffff, v4
	;;#ASMSTART
	v_cvt_f32_f16 v4, v4;
	;;#ASMEND
	ds_read_b32 v0, v14 offset:108
	v_fmac_f32_e32 v24, v1, v4
	s_waitcnt lgkmcnt(0)
	v_lshrrev_b32_e32 v1, 16, v0
	v_and_b32_e32 v0, 0xffff, v0
	;;#ASMSTART
	v_cvt_f32_f16 v0, v0;
	;;#ASMEND
	;;#ASMSTART
	v_cvt_f32_f16 v1, v1;
	;;#ASMEND
	buffer_load_dword v3, off, s[56:59], 0 offset:96 ; 4-byte Folded Reload
	s_waitcnt vmcnt(0)
	v_and_b32_e32 v3, 0xffff, v3
	;;#ASMSTART
	v_cvt_f32_f16 v3, v3;
	;;#ASMEND
	;; [unrolled: 24-line block ×5, first 2 shown]
	buffer_load_dword v4, off, s[56:59], 0 offset:68 ; 4-byte Folded Reload
	v_fmac_f32_e32 v23, v0, v3
	v_and_b32_e32 v3, 0xffff, v13
	s_waitcnt vmcnt(0)
	v_and_b32_e32 v4, 0xffff, v4
	;;#ASMSTART
	v_cvt_f32_f16 v4, v4;
	;;#ASMEND
	ds_read_b32 v0, v14 offset:124
	v_fmac_f32_e32 v24, v1, v4
	v_and_b32_e32 v4, 0xffff, v7
	s_waitcnt lgkmcnt(0)
	v_lshrrev_b32_e32 v1, 16, v0
	v_and_b32_e32 v0, 0xffff, v0
	;;#ASMSTART
	v_cvt_f32_f16 v0, v0;
	;;#ASMEND
	;;#ASMSTART
	v_cvt_f32_f16 v1, v1;
	;;#ASMEND
	;; [unrolled: 3-line block ×4, first 2 shown]
	v_fmac_f32_e32 v24, v1, v4
	buffer_load_dword v4, off, s[56:59], 0 offset:124 ; 4-byte Folded Reload
	v_fmac_f32_e32 v23, v0, v3
	v_add_f32_e32 v0, v23, v24
	s_waitcnt vmcnt(0)
	v_and_b32_e32 v1, 64, v4
	v_add_u32_e32 v1, 64, v1
	v_xor_b32_e32 v3, 2, v4
	v_cmp_lt_i32_e64 s[4:5], v3, v1
	v_cndmask_b32_e64 v3, v4, v3, s[4:5]
	v_lshlrev_b32_e32 v3, 2, v3
	ds_bpermute_b32 v3, v3, v0
	s_waitcnt lgkmcnt(0)
	v_add_f32_e32 v0, v0, v3
	v_xor_b32_e32 v3, 1, v4
	v_cmp_lt_i32_e64 s[4:5], v3, v1
	v_cndmask_b32_e64 v1, v4, v3, s[4:5]
	v_lshlrev_b32_e32 v1, 2, v1
	ds_bpermute_b32 v1, v1, v0
	s_and_saveexec_b64 s[40:41], vcc
	s_cbranch_execz .LBB244_11
; %bb.403:                              ;   in Loop: Header=BB244_13 Depth=1
	buffer_load_dword v3, off, s[56:59], 0 offset:132 ; 4-byte Folded Reload
	buffer_load_dword v4, off, s[56:59], 0 offset:128 ; 4-byte Folded Reload
	s_waitcnt lgkmcnt(0)
	v_add_f32_e32 v0, v0, v1
	s_waitcnt vmcnt(1)
	v_add_u32_e32 v3, v3, v17
	v_cvt_f32_i32_e32 v3, v3
	v_mul_f32_e32 v1, s48, v3
	buffer_load_dword v3, off, s[56:59], 0 offset:112 ; 4-byte Folded Reload
	s_waitcnt vmcnt(1)
	v_add_u32_e32 v4, v4, v17
	v_cndmask_b32_e64 v1, 0, v1, s[2:3]
	v_fmac_f32_e32 v1, s37, v0
	v_cmp_gt_i32_e64 s[4:5], s33, v4
	v_cndmask_b32_e64 v0, 0, v1, s[4:5]
	ds_write_b32 v52, v0
	s_waitcnt vmcnt(0)
	v_max_f32_e32 v0, v3, v3
	v_max_f32_e32 v0, v0, v1
	v_cndmask_b32_e64 v3, v3, v0, s[4:5]
	buffer_store_dword v3, off, s[56:59], 0 offset:112 ; 4-byte Folded Spill
	s_branch .LBB244_11
.LBB244_404:
	s_or_b64 exec, exec, s[38:39]
	buffer_load_dword v15, off, s[56:59], 0 offset:136 ; 4-byte Folded Reload
	buffer_load_dword v26, off, s[56:59], 0 offset:144 ; 4-byte Folded Reload
	;; [unrolled: 1-line block ×3, first 2 shown]
	v_mbcnt_lo_u32_b32 v2, -1, 0
.LBB244_405:
	s_or_b64 exec, exec, s[18:19]
	v_mbcnt_hi_u32_b32 v0, -1, v2
	v_and_b32_e32 v8, 64, v0
	s_waitcnt lgkmcnt(0)
	v_add_u32_e32 v1, 64, v8
	v_xor_b32_e32 v2, 32, v0
	v_cmp_lt_i32_e32 vcc, v2, v1
	v_cndmask_b32_e32 v2, v0, v2, vcc
	v_lshlrev_b32_e32 v2, 2, v2
	s_waitcnt vmcnt(0)
	ds_bpermute_b32 v3, v2, v4
	v_xor_b32_e32 v5, 16, v0
	v_max_f32_e32 v4, v4, v4
	v_cmp_lt_i32_e32 vcc, v5, v1
	v_xor_b32_e32 v6, 8, v0
	s_waitcnt lgkmcnt(0)
	v_max_f32_e32 v3, v3, v3
	v_max_f32_e32 v4, v4, v3
	v_cndmask_b32_e32 v3, v0, v5, vcc
	v_lshlrev_b32_e32 v3, 2, v3
	ds_bpermute_b32 v5, v3, v4
	v_cmp_lt_i32_e32 vcc, v6, v1
	v_xor_b32_e32 v7, 4, v0
	v_and_b32_e32 v13, 63, v15
	s_waitcnt lgkmcnt(0)
	v_max_f32_e32 v5, v5, v5
	v_max_f32_e32 v4, v4, v5
	v_cndmask_b32_e32 v5, v0, v6, vcc
	v_lshlrev_b32_e32 v6, 2, v5
	ds_bpermute_b32 v5, v6, v4
	v_cmp_lt_i32_e32 vcc, v7, v1
	s_waitcnt lgkmcnt(0)
	v_max_f32_e32 v5, v5, v5
	v_max_f32_e32 v5, v4, v5
	v_cndmask_b32_e32 v4, v0, v7, vcc
	v_lshlrev_b32_e32 v7, 2, v4
	buffer_load_dword v4, off, s[56:59], 0  ; 4-byte Folded Reload
	ds_bpermute_b32 v9, v7, v5
	v_cmp_eq_u32_e32 vcc, 0, v13
	s_waitcnt vmcnt(0)
	v_lshlrev_b32_e32 v4, 2, v4
	s_and_saveexec_b64 s[2:3], vcc
	s_cbranch_execz .LBB244_407
; %bb.406:
	s_waitcnt lgkmcnt(0)
	v_max_f32_e32 v9, v9, v9
	v_max_f32_e32 v5, v5, v5
	;; [unrolled: 1-line block ×3, first 2 shown]
	ds_write_b32 v4, v5 offset:512
.LBB244_407:
	s_or_b64 exec, exec, s[2:3]
	v_cmp_gt_u32_e64 s[2:3], 2, v13
	s_waitcnt lgkmcnt(0)
	v_mov_b32_e32 v9, 0xff7fffff
	v_lshlrev_b32_e32 v5, 2, v13
	s_barrier
	s_and_saveexec_b64 s[4:5], s[2:3]
; %bb.408:
	ds_read_b32 v9, v5 offset:512
; %bb.409:
	s_or_b64 exec, exec, s[4:5]
	v_xor_b32_e32 v10, 1, v0
	v_cmp_lt_i32_e64 s[4:5], v10, v1
	v_cndmask_b32_e64 v10, v0, v10, s[4:5]
	v_lshlrev_b32_e32 v14, 2, v10
	s_waitcnt lgkmcnt(0)
	ds_bpermute_b32 v10, v14, v9
	v_max_f32_e32 v9, v9, v9
	v_lshlrev_b32_e32 v8, 2, v8
	s_lshl_b32 s4, s47, 4
	s_min_i32 s37, s4, s33
	s_waitcnt lgkmcnt(0)
	v_max_f32_e32 v10, v10, v10
	v_max_f32_e32 v9, v9, v10
	ds_bpermute_b32 v9, v8, v9
	v_cmp_gt_i32_e64 s[4:5], s37, v15
	v_mov_b32_e32 v8, 0
	s_and_saveexec_b64 s[12:13], s[4:5]
	s_cbranch_execz .LBB244_413
; %bb.410:
	v_mov_b32_e32 v8, 0x210
	v_lshl_add_u32 v10, v15, 2, v8
	v_mov_b32_e32 v8, 0
	s_mov_b64 s[18:19], 0
	v_mov_b32_e32 v11, v15
.LBB244_411:                            ; =>This Inner Loop Header: Depth=1
	ds_read_b32 v12, v10
	v_add_u32_e32 v11, 0x80, v11
	v_cmp_le_i32_e64 s[6:7], s37, v11
	s_or_b64 s[18:19], s[6:7], s[18:19]
	s_waitcnt lgkmcnt(0)
	v_sub_f32_e32 v12, v12, v9
	v_mul_f32_e32 v12, 0x3fb8aa3b, v12
	v_exp_f32_e32 v12, v12
	ds_write_b32 v10, v12
	v_add_f32_e32 v8, v8, v12
	v_add_u32_e32 v10, 0x200, v10
	s_andn2_b64 exec, exec, s[18:19]
	s_cbranch_execnz .LBB244_411
; %bb.412:
	s_or_b64 exec, exec, s[18:19]
.LBB244_413:
	s_or_b64 exec, exec, s[12:13]
	ds_bpermute_b32 v2, v2, v8
	s_waitcnt lgkmcnt(0)
	v_add_f32_e32 v2, v8, v2
	ds_bpermute_b32 v3, v3, v2
	s_waitcnt lgkmcnt(0)
	v_add_f32_e32 v2, v2, v3
	ds_bpermute_b32 v3, v6, v2
	v_xor_b32_e32 v6, 2, v0
	v_cmp_lt_i32_e64 s[6:7], v6, v1
	v_cndmask_b32_e64 v1, v0, v6, s[6:7]
	v_lshlrev_b32_e32 v1, 2, v1
	s_waitcnt lgkmcnt(0)
	v_add_f32_e32 v2, v2, v3
	ds_bpermute_b32 v3, v7, v2
	s_waitcnt lgkmcnt(0)
	v_add_f32_e32 v2, v2, v3
	ds_bpermute_b32 v1, v1, v2
	;; [unrolled: 3-line block ×3, first 2 shown]
	s_waitcnt lgkmcnt(0)
	v_add_f32_e32 v1, v1, v2
	s_and_saveexec_b64 s[6:7], vcc
; %bb.414:
	ds_write_b32 v4, v1 offset:520
; %bb.415:
	s_or_b64 exec, exec, s[6:7]
	s_waitcnt lgkmcnt(0)
	s_barrier
	s_and_saveexec_b64 s[6:7], s[2:3]
; %bb.416:
	ds_read_b32 v1, v5 offset:520
; %bb.417:
	s_or_b64 exec, exec, s[6:7]
	s_waitcnt lgkmcnt(0)
	ds_bpermute_b32 v2, v14, v1
	v_lshlrev_b32_e32 v0, 2, v0
	v_and_b32_e32 v0, 0x100, v0
	s_waitcnt lgkmcnt(0)
	v_add_f32_e32 v1, v1, v2
	ds_bpermute_b32 v0, v0, v1
	s_and_saveexec_b64 s[2:3], s[4:5]
	s_cbranch_execz .LBB244_420
; %bb.418:
	s_waitcnt lgkmcnt(0)
	v_add_f32_e32 v1, 0x358637bd, v0
	v_div_scale_f32 v0, s[4:5], v1, v1, 1.0
	v_div_scale_f32 v2, vcc, 1.0, v1, 1.0
	s_mov_b64 s[4:5], 0
	v_rcp_f32_e32 v3, v0
	v_fma_f32 v4, -v0, v3, 1.0
	v_fmac_f32_e32 v3, v4, v3
	v_mul_f32_e32 v4, v2, v3
	v_fma_f32 v5, -v0, v4, v2
	v_fmac_f32_e32 v4, v5, v3
	v_fma_f32 v0, -v0, v4, v2
	v_div_fmas_f32 v2, v0, v3, v4
	v_mov_b32_e32 v0, 0x210
	v_lshl_add_u32 v0, v15, 2, v0
	v_div_fixup_f32 v1, v2, v1, 1.0
	v_mov_b32_e32 v2, v15
.LBB244_419:                            ; =>This Inner Loop Header: Depth=1
	ds_read_b32 v3, v0
	v_add_u32_e32 v2, 0x80, v2
	v_cmp_le_i32_e32 vcc, s37, v2
	s_or_b64 s[4:5], vcc, s[4:5]
	s_waitcnt lgkmcnt(0)
	v_mul_f32_e32 v3, v1, v3
	ds_write_b32 v0, v3
	v_add_u32_e32 v0, 0x200, v0
	s_andn2_b64 exec, exec, s[4:5]
	s_cbranch_execnz .LBB244_419
.LBB244_420:
	s_or_b64 exec, exec, s[2:3]
	v_mov_b32_e32 v22, 0
	v_and_b32_e32 v15, 1, v15
	v_mov_b32_e32 v23, 0
	v_mov_b32_e32 v21, 0
	;; [unrolled: 1-line block ×7, first 2 shown]
	s_waitcnt lgkmcnt(0)
	s_barrier
	s_and_saveexec_b64 s[2:3], s[0:1]
	s_cbranch_execz .LBB244_826
; %bb.421:
	buffer_load_dword v1, off, s[56:59], 0 offset:136 ; 4-byte Folded Reload
	s_sub_i32 s37, s16, s21
	s_ashr_i32 s0, s20, 31
	s_add_u32 s1, s34, s20
	s_addc_u32 s0, s35, s0
	s_abs_i32 s22, s22
	v_cvt_f32_u32_e32 v0, s22
	s_sub_i32 s6, 0, s22
	s_add_i32 s35, s47, -1
	v_mov_b32_e32 v4, s0
	v_rcp_iflag_f32_e32 v0, v0
	s_mov_b32 s4, -1
	s_mov_b32 s34, s17
	s_mov_b32 s5, 0xffffff
	v_mul_f32_e32 v0, 0x4f7ffffe, v0
	v_cvt_u32_f32_e32 v0, v0
	v_mov_b32_e32 v2, 0
	v_mov_b32_e32 v27, 0x2000
	;; [unrolled: 1-line block ×3, first 2 shown]
	v_mul_lo_u32 v3, s6, v0
	s_mov_b64 s[6:7], 0
	v_mov_b32_e32 v17, 0
	v_mov_b32_e32 v18, 0
	v_mul_hi_u32 v5, v0, v3
	v_mov_b32_e32 v19, 0
	v_mov_b32_e32 v20, 0
	;; [unrolled: 1-line block ×3, first 2 shown]
	v_add_u32_e32 v25, v0, v5
	v_and_b32_e32 v0, 60, v26
	v_mov_b32_e32 v23, 0
	v_mov_b32_e32 v22, 0
	buffer_load_dword v8, off, s[56:59], 0 offset:140 ; 4-byte Folded Reload
	s_waitcnt vmcnt(1)
	v_lshlrev_b32_e32 v1, 3, v1
	v_and_b32_e32 v24, 8, v1
	v_and_b32_e32 v1, 0x1f8, v1
	v_add_co_u32_e32 v3, vcc, s1, v1
	s_lshl_b64 s[0:1], s[30:31], 2
	s_add_u32 s0, s28, s0
	v_addc_co_u32_e32 v4, vcc, 0, v4, vcc
	s_addc_u32 s1, s29, s1
	v_mov_b32_e32 v1, s1
	v_add_co_u32_e32 v5, vcc, s0, v0
	v_addc_co_u32_e32 v6, vcc, 0, v1, vcc
	buffer_load_dword v1, off, s[56:59], 0  ; 4-byte Folded Reload
	v_lshlrev_b32_e32 v0, 5, v15
	s_movk_i32 s28, 0x80
	s_movk_i32 s29, 0x7f
	s_mov_b32 s30, 0x8000
	s_waitcnt vmcnt(0)
	v_lshl_or_b32 v0, v1, 6, v0
	v_add_u32_e32 v26, 0x210, v0
	s_branch .LBB244_424
.LBB244_422:                            ;   in Loop: Header=BB244_424 Depth=1
	s_or_b64 exec, exec, s[0:1]
	v_add_f32_e32 v0, v0, v50
	v_add_f32_e32 v18, v18, v0
	;; [unrolled: 1-line block ×12, first 2 shown]
	;;#ASMSTART
	v_pk_mul_f16 v0, v39, v7;

	;;#ASMEND
	;;#ASMSTART
	v_pk_mul_f16 v1, v38, v1;

	;;#ASMEND
	;; [unrolled: 4-line block ×4, first 2 shown]
	;;#ASMSTART
	v_pk_add_f16 v0, v0, v1;

	;;#ASMEND
	;;#ASMSTART
	v_pk_add_f16 v0, v0, v7;

	;;#ASMEND
	;; [unrolled: 4-line block ×3, first 2 shown]
	v_lshrrev_b32_e32 v1, 16, v0
	v_and_b32_e32 v0, 0xffff, v0
	;;#ASMSTART
	v_cvt_f32_f16 v0, v0;
	;;#ASMEND
	v_add_f32_e32 v9, v9, v10
	;;#ASMSTART
	v_cvt_f32_f16 v1, v1;
	;;#ASMEND
	v_add_f32_e32 v0, v0, v1
	v_add_f32_e32 v17, v17, v9
	;; [unrolled: 1-line block ×3, first 2 shown]
.LBB244_423:                            ;   in Loop: Header=BB244_424 Depth=1
	s_or_b64 exec, exec, s[12:13]
	buffer_load_dword v0, off, s[56:59], 0  ; 4-byte Folded Reload
	v_add_co_u32_e32 v5, vcc, 8, v5
	v_addc_co_u32_e32 v6, vcc, 0, v6, vcc
	v_mov_b32_e32 v8, v61
	v_add_u32_e32 v8, 32, v8
	v_add_u32_e32 v26, 0x80, v26
	s_waitcnt vmcnt(0)
	v_add_u32_e32 v0, 2, v0
	v_cmp_le_i32_e32 vcc, s47, v0
	s_or_b64 s[6:7], vcc, s[6:7]
	buffer_store_dword v0, off, s[56:59], 0 ; 4-byte Folded Spill
	s_andn2_b64 exec, exec, s[6:7]
	s_cbranch_execz .LBB244_825
.LBB244_424:                            ; =>This Inner Loop Header: Depth=1
	v_mul_hi_u32 v0, v8, s46
	v_mov_b32_e32 v61, v8
	v_mul_lo_u32 v1, v0, s25
	v_add_u32_e32 v7, 1, v0
	v_sub_u32_e32 v1, v8, v1
	v_cmp_le_u32_e32 vcc, s25, v1
	v_cndmask_b32_e32 v0, v0, v7, vcc
	v_subrev_u32_e32 v7, s25, v1
	v_cndmask_b32_e32 v1, v1, v7, vcc
	v_add_u32_e32 v7, 1, v0
	v_cmp_le_u32_e32 vcc, s25, v1
	v_cndmask_b32_e32 v0, v0, v7, vcc
	v_xor_b32_e32 v0, s23, v0
	v_subrev_u32_e32 v0, s23, v0
	v_add_u32_e32 v1, s36, v0
	v_sub_u32_e32 v7, 0, v1
	v_max_i32_e32 v7, v1, v7
	v_mul_hi_u32 v8, v7, v25
	v_ashrrev_i32_e32 v1, 31, v1
	v_cmp_lt_i32_e64 s[0:1], s37, v0
	v_mul_lo_u32 v8, v8, s22
	v_sub_u32_e32 v7, v7, v8
	v_subrev_u32_e32 v8, s22, v7
	v_cmp_le_u32_e32 vcc, s22, v7
	v_cndmask_b32_e32 v7, v7, v8, vcc
	v_subrev_u32_e32 v8, s22, v7
	v_cmp_le_u32_e32 vcc, s22, v7
	v_cndmask_b32_e32 v7, v7, v8, vcc
	v_xor_b32_e32 v7, v7, v1
	v_sub_u32_e32 v1, v7, v1
	v_cmp_eq_u32_e32 vcc, 0, v1
	s_or_b64 s[0:1], vcc, s[0:1]
	s_and_saveexec_b64 s[12:13], s[0:1]
	s_cbranch_execz .LBB244_423
; %bb.425:                              ;   in Loop: Header=BB244_424 Depth=1
	global_load_dword v1, v[5:6], off
	ds_read2_b64 v[7:10], v26 offset1:1
	ds_read2_b64 v[28:31], v26 offset0:2 offset1:3
	s_waitcnt lgkmcnt(1)
	;;#ASMSTART
	v_cvt_f16_f32 v0, v7;

	;;#ASMEND
	;;#ASMSTART
	v_cvt_f16_f32 v36, v8;

	;;#ASMEND
	;; [unrolled: 4-line block ×4, first 2 shown]
	s_waitcnt lgkmcnt(0)
	;;#ASMSTART
	v_cvt_f16_f32 v40, v28;

	;;#ASMEND
	;;#ASMSTART
	v_cvt_f16_f32 v41, v29;

	;;#ASMEND
	;; [unrolled: 4-line block ×4, first 2 shown]
	v_mov_b32_e32 v29, 0
	global_load_dword v11, v29, s[14:15]
	v_mov_b32_e32 v30, 0
	s_waitcnt vmcnt(1)
	v_mad_i64_i32 v[7:8], s[0:1], v1, s34, v[3:4]
	global_load_dwordx2 v[9:10], v[7:8], off
	s_waitcnt vmcnt(0)
	v_cmp_ne_u16_sdwa s[16:17], v9, v2 src0_sel:BYTE_0 src1_sel:DWORD
	s_and_saveexec_b64 s[0:1], s[16:17]
	s_cbranch_execz .LBB244_431
; %bb.426:                              ;   in Loop: Header=BB244_424 Depth=1
	v_cmp_ne_u16_sdwa s[18:19], v9, s28 src0_sel:BYTE_0 src1_sel:DWORD
	v_mov_b32_e32 v30, 0x8000
	s_and_saveexec_b64 s[16:17], s[18:19]
	s_cbranch_execz .LBB244_430
; %bb.427:                              ;   in Loop: Header=BB244_424 Depth=1
	v_and_b32_e32 v1, 0x7f, v9
	v_cmp_ne_u32_e32 vcc, s29, v1
	v_mov_b32_e32 v30, 0x7c01
	s_and_saveexec_b64 s[18:19], vcc
	s_cbranch_execz .LBB244_429
; %bb.428:                              ;   in Loop: Header=BB244_424 Depth=1
	v_and_b32_e32 v12, 7, v9
	v_ffbh_u32_e32 v30, v12
	v_min_u32_e32 v32, 32, v30
	v_subrev_u32_e32 v30, 28, v32
	v_lshlrev_b64 v[30:31], v30, v[9:10]
	v_lshrrev_b32_e32 v28, 3, v1
	v_sub_u32_e32 v31, 29, v32
	v_cmp_gt_u32_e32 vcc, 8, v1
	v_cndmask_b32_e32 v1, v28, v31, vcc
	v_lshl_add_u32 v1, v1, 10, v27
	v_lshlrev_b32_e32 v28, 8, v9
	v_and_b32_e32 v30, 7, v30
	v_and_b32_e32 v1, 0xfc00, v1
	v_cndmask_b32_e32 v12, v12, v30, vcc
	v_and_or_b32 v1, v28, s30, v1
	v_lshl_or_b32 v30, v12, 7, v1
.LBB244_429:                            ;   in Loop: Header=BB244_424 Depth=1
	s_or_b64 exec, exec, s[18:19]
.LBB244_430:                            ;   in Loop: Header=BB244_424 Depth=1
	s_or_b64 exec, exec, s[16:17]
.LBB244_431:                            ;   in Loop: Header=BB244_424 Depth=1
	s_or_b64 exec, exec, s[0:1]
	v_lshrrev_b16_e32 v1, 8, v9
	v_cmp_ne_u16_e32 vcc, 0, v1
	s_and_saveexec_b64 s[0:1], vcc
	s_cbranch_execz .LBB244_437
; %bb.432:                              ;   in Loop: Header=BB244_424 Depth=1
	v_cmp_ne_u16_e32 vcc, s28, v1
	v_bfrev_b32_e32 v29, 1
	s_and_saveexec_b64 s[16:17], vcc
	s_cbranch_execz .LBB244_436
; %bb.433:                              ;   in Loop: Header=BB244_424 Depth=1
	v_and_b32_e32 v12, 0x7f, v1
	v_cmp_ne_u32_e32 vcc, s29, v12
	v_mov_b32_e32 v29, 0x7c010000
	s_and_saveexec_b64 s[18:19], vcc
	s_cbranch_execz .LBB244_435
; %bb.434:                              ;   in Loop: Header=BB244_424 Depth=1
	v_and_b32_e32 v31, 7, v1
	v_ffbh_u32_e32 v28, v31
	v_min_u32_e32 v33, 32, v28
	v_subrev_u32_e32 v28, 28, v33
	v_lshlrev_b64 v[28:29], v28, v[1:2]
	v_lshrrev_b32_e32 v32, 3, v12
	v_sub_u32_e32 v29, 29, v33
	v_cmp_gt_u32_e32 vcc, 8, v12
	v_cndmask_b32_e32 v12, v32, v29, vcc
	v_lshlrev_b32_e32 v1, 8, v1
	v_lshl_add_u32 v12, v12, 10, v27
	v_and_b32_e32 v28, 7, v28
	v_and_or_b32 v1, v1, s30, v12
	v_cndmask_b32_e32 v28, v31, v28, vcc
	v_lshlrev_b32_e32 v1, 16, v1
	v_lshl_or_b32 v29, v28, 23, v1
.LBB244_435:                            ;   in Loop: Header=BB244_424 Depth=1
	s_or_b64 exec, exec, s[18:19]
.LBB244_436:                            ;   in Loop: Header=BB244_424 Depth=1
	s_or_b64 exec, exec, s[16:17]
.LBB244_437:                            ;   in Loop: Header=BB244_424 Depth=1
	s_or_b64 exec, exec, s[0:1]
	v_lshrrev_b32_e32 v1, 16, v9
	v_cmp_ne_u16_sdwa s[16:17], v1, v2 src0_sel:BYTE_0 src1_sel:DWORD
	v_mov_b32_e32 v12, 0
	v_mov_b32_e32 v31, 0
	s_and_saveexec_b64 s[0:1], s[16:17]
	s_cbranch_execz .LBB244_443
; %bb.438:                              ;   in Loop: Header=BB244_424 Depth=1
	v_cmp_ne_u16_sdwa s[18:19], v1, s28 src0_sel:BYTE_0 src1_sel:DWORD
	v_mov_b32_e32 v31, 0x8000
	s_and_saveexec_b64 s[16:17], s[18:19]
	s_cbranch_execz .LBB244_442
; %bb.439:                              ;   in Loop: Header=BB244_424 Depth=1
	v_bfe_u32 v28, v9, 16, 7
	v_cmp_ne_u32_e32 vcc, s29, v28
	v_mov_b32_e32 v31, 0x7c01
	s_and_saveexec_b64 s[18:19], vcc
	s_cbranch_execz .LBB244_441
; %bb.440:                              ;   in Loop: Header=BB244_424 Depth=1
	v_and_b32_e32 v33, 7, v1
	v_ffbh_u32_e32 v31, v33
	v_min_u32_e32 v35, 32, v31
	v_subrev_u32_e32 v31, 28, v35
	v_lshlrev_b64 v[31:32], v31, v[1:2]
	v_lshrrev_b32_e32 v34, 3, v28
	v_sub_u32_e32 v32, 29, v35
	v_cmp_gt_u32_e32 vcc, 8, v28
	v_cndmask_b32_e32 v28, v34, v32, vcc
	v_lshl_add_u32 v28, v28, 10, v27
	v_lshlrev_b32_e32 v1, 8, v1
	v_and_b32_e32 v31, 7, v31
	v_and_b32_e32 v28, 0xfc00, v28
	v_cndmask_b32_e32 v31, v33, v31, vcc
	v_and_or_b32 v1, v1, s30, v28
	v_lshl_or_b32 v31, v31, 7, v1
.LBB244_441:                            ;   in Loop: Header=BB244_424 Depth=1
	s_or_b64 exec, exec, s[18:19]
.LBB244_442:                            ;   in Loop: Header=BB244_424 Depth=1
	s_or_b64 exec, exec, s[16:17]
.LBB244_443:                            ;   in Loop: Header=BB244_424 Depth=1
	s_or_b64 exec, exec, s[0:1]
	v_cmp_lt_u32_e32 vcc, s5, v9
	s_and_saveexec_b64 s[0:1], vcc
	s_cbranch_execz .LBB244_449
; %bb.444:                              ;   in Loop: Header=BB244_424 Depth=1
	v_lshrrev_b32_e32 v1, 24, v9
	v_cmp_ne_u32_e32 vcc, s28, v1
	v_bfrev_b32_e32 v12, 1
	s_and_saveexec_b64 s[16:17], vcc
	s_cbranch_execz .LBB244_448
; %bb.445:                              ;   in Loop: Header=BB244_424 Depth=1
	v_and_b32_e32 v28, 0x7f, v1
	v_cmp_ne_u32_e32 vcc, s29, v28
	v_mov_b32_e32 v12, 0x7c010000
	s_and_saveexec_b64 s[18:19], vcc
	s_cbranch_execz .LBB244_447
; %bb.446:                              ;   in Loop: Header=BB244_424 Depth=1
	v_and_b32_e32 v12, 7, v1
	v_ffbh_u32_e32 v32, v12
	v_min_u32_e32 v35, 32, v32
	v_subrev_u32_e32 v32, 28, v35
	v_lshlrev_b64 v[32:33], v32, v[1:2]
	v_lshrrev_b32_e32 v34, 3, v28
	v_sub_u32_e32 v33, 29, v35
	v_cmp_gt_u32_e32 vcc, 8, v28
	v_cndmask_b32_e32 v28, v34, v33, vcc
	v_lshlrev_b32_e32 v1, 8, v1
	v_lshl_add_u32 v28, v28, 10, v27
	v_and_b32_e32 v32, 7, v32
	v_and_or_b32 v1, v1, s30, v28
	v_cndmask_b32_e32 v12, v12, v32, vcc
	v_lshlrev_b32_e32 v1, 16, v1
	v_lshl_or_b32 v12, v12, 23, v1
.LBB244_447:                            ;   in Loop: Header=BB244_424 Depth=1
	s_or_b64 exec, exec, s[18:19]
.LBB244_448:                            ;   in Loop: Header=BB244_424 Depth=1
	s_or_b64 exec, exec, s[16:17]
.LBB244_449:                            ;   in Loop: Header=BB244_424 Depth=1
	s_or_b64 exec, exec, s[0:1]
	v_mov_b32_e32 v1, v10
	v_cmp_ne_u16_sdwa s[16:17], v10, v2 src0_sel:BYTE_0 src1_sel:DWORD
	v_mov_b32_e32 v32, 0
	v_mov_b32_e32 v33, 0
	s_and_saveexec_b64 s[0:1], s[16:17]
	s_cbranch_execz .LBB244_455
; %bb.450:                              ;   in Loop: Header=BB244_424 Depth=1
	v_cmp_ne_u16_sdwa s[18:19], v10, s28 src0_sel:BYTE_0 src1_sel:DWORD
	v_mov_b32_e32 v33, 0x8000
	s_and_saveexec_b64 s[16:17], s[18:19]
	s_cbranch_execz .LBB244_454
; %bb.451:                              ;   in Loop: Header=BB244_424 Depth=1
	v_and_b32_e32 v28, 0x7f, v10
	v_cmp_ne_u32_e32 vcc, s29, v28
	v_mov_b32_e32 v33, 0x7c01
	s_and_saveexec_b64 s[18:19], vcc
	s_cbranch_execz .LBB244_453
; %bb.452:                              ;   in Loop: Header=BB244_424 Depth=1
	v_and_b32_e32 v35, 7, v10
	v_ffbh_u32_e32 v33, v35
	v_min_u32_e32 v44, 32, v33
	v_subrev_u32_e32 v33, 28, v44
	v_lshlrev_b64 v[33:34], v33, v[1:2]
	v_lshrrev_b32_e32 v39, 3, v28
	v_sub_u32_e32 v34, 29, v44
	v_cmp_gt_u32_e32 vcc, 8, v28
	v_cndmask_b32_e32 v28, v39, v34, vcc
	v_lshl_add_u32 v28, v28, 10, v27
	v_lshlrev_b32_e32 v34, 8, v10
	v_and_b32_e32 v33, 7, v33
	v_and_b32_e32 v28, 0xfc00, v28
	v_cndmask_b32_e32 v33, v35, v33, vcc
	v_and_or_b32 v28, v34, s30, v28
	v_lshl_or_b32 v33, v33, 7, v28
.LBB244_453:                            ;   in Loop: Header=BB244_424 Depth=1
	s_or_b64 exec, exec, s[18:19]
.LBB244_454:                            ;   in Loop: Header=BB244_424 Depth=1
	s_or_b64 exec, exec, s[16:17]
.LBB244_455:                            ;   in Loop: Header=BB244_424 Depth=1
	s_or_b64 exec, exec, s[0:1]
	v_lshrrev_b16_e32 v1, 8, v1
	v_cmp_ne_u16_e32 vcc, 0, v1
	v_mov_b32_e32 v34, 0
	s_and_saveexec_b64 s[0:1], vcc
	s_cbranch_execz .LBB244_461
; %bb.456:                              ;   in Loop: Header=BB244_424 Depth=1
	v_cmp_ne_u16_e32 vcc, s28, v1
	v_bfrev_b32_e32 v34, 1
	s_and_saveexec_b64 s[16:17], vcc
	s_cbranch_execz .LBB244_460
; %bb.457:                              ;   in Loop: Header=BB244_424 Depth=1
	v_and_b32_e32 v28, 0x7f, v1
	v_cmp_ne_u32_e32 vcc, s29, v28
	v_mov_b32_e32 v34, 0x7c010000
	s_and_saveexec_b64 s[18:19], vcc
	s_cbranch_execz .LBB244_459
; %bb.458:                              ;   in Loop: Header=BB244_424 Depth=1
	v_and_b32_e32 v39, 7, v1
	v_ffbh_u32_e32 v34, v39
	v_min_u32_e32 v45, 32, v34
	v_subrev_u32_e32 v34, 28, v45
	v_lshlrev_b64 v[34:35], v34, v[1:2]
	v_lshrrev_b32_e32 v44, 3, v28
	v_sub_u32_e32 v35, 29, v45
	v_cmp_gt_u32_e32 vcc, 8, v28
	v_cndmask_b32_e32 v28, v44, v35, vcc
	v_lshlrev_b32_e32 v1, 8, v1
	v_lshl_add_u32 v28, v28, 10, v27
	v_and_b32_e32 v34, 7, v34
	v_and_or_b32 v1, v1, s30, v28
	v_cndmask_b32_e32 v34, v39, v34, vcc
	v_lshlrev_b32_e32 v1, 16, v1
	v_lshl_or_b32 v34, v34, 23, v1
.LBB244_459:                            ;   in Loop: Header=BB244_424 Depth=1
	s_or_b64 exec, exec, s[18:19]
.LBB244_460:                            ;   in Loop: Header=BB244_424 Depth=1
	s_or_b64 exec, exec, s[16:17]
.LBB244_461:                            ;   in Loop: Header=BB244_424 Depth=1
	s_or_b64 exec, exec, s[0:1]
	v_lshrrev_b32_e32 v1, 16, v10
	v_cmp_ne_u16_sdwa s[16:17], v1, v2 src0_sel:BYTE_0 src1_sel:DWORD
	s_and_saveexec_b64 s[0:1], s[16:17]
	s_cbranch_execz .LBB244_467
; %bb.462:                              ;   in Loop: Header=BB244_424 Depth=1
	v_cmp_ne_u16_sdwa s[18:19], v1, s28 src0_sel:BYTE_0 src1_sel:DWORD
	v_mov_b32_e32 v32, 0x8000
	s_and_saveexec_b64 s[16:17], s[18:19]
	s_cbranch_execz .LBB244_466
; %bb.463:                              ;   in Loop: Header=BB244_424 Depth=1
	v_bfe_u32 v28, v10, 16, 7
	v_cmp_ne_u32_e32 vcc, s29, v28
	v_mov_b32_e32 v32, 0x7c01
	s_and_saveexec_b64 s[18:19], vcc
	s_cbranch_execz .LBB244_465
; %bb.464:                              ;   in Loop: Header=BB244_424 Depth=1
	v_and_b32_e32 v32, 7, v1
	v_ffbh_u32_e32 v39, v32
	v_min_u32_e32 v39, 32, v39
	v_lshrrev_b32_e32 v35, 3, v28
	v_subrev_u32_e32 v44, 28, v39
	v_sub_u32_e32 v39, 29, v39
	v_cmp_gt_u32_e32 vcc, 8, v28
	v_lshlrev_b64 v[44:45], v44, v[1:2]
	v_cndmask_b32_e32 v28, v35, v39, vcc
	v_lshl_add_u32 v28, v28, 10, v27
	v_lshlrev_b32_e32 v1, 8, v1
	v_and_b32_e32 v35, 7, v44
	v_and_b32_e32 v28, 0xfc00, v28
	v_cndmask_b32_e32 v32, v32, v35, vcc
	v_and_or_b32 v1, v1, s30, v28
	v_lshl_or_b32 v32, v32, 7, v1
.LBB244_465:                            ;   in Loop: Header=BB244_424 Depth=1
	s_or_b64 exec, exec, s[18:19]
.LBB244_466:                            ;   in Loop: Header=BB244_424 Depth=1
	s_or_b64 exec, exec, s[16:17]
.LBB244_467:                            ;   in Loop: Header=BB244_424 Depth=1
	s_or_b64 exec, exec, s[0:1]
	v_cmp_lt_u64_e32 vcc, s[4:5], v[9:10]
	v_mov_b32_e32 v35, 0
	s_and_saveexec_b64 s[0:1], vcc
	s_cbranch_execz .LBB244_473
; %bb.468:                              ;   in Loop: Header=BB244_424 Depth=1
	v_lshrrev_b32_e32 v1, 24, v10
	v_cmp_ne_u32_e32 vcc, s28, v1
	v_bfrev_b32_e32 v35, 1
	s_and_saveexec_b64 s[16:17], vcc
	s_cbranch_execz .LBB244_472
; %bb.469:                              ;   in Loop: Header=BB244_424 Depth=1
	v_and_b32_e32 v9, 0x7f, v1
	v_cmp_ne_u32_e32 vcc, s29, v9
	v_mov_b32_e32 v35, 0x7c010000
	s_and_saveexec_b64 s[18:19], vcc
	s_cbranch_execz .LBB244_471
; %bb.470:                              ;   in Loop: Header=BB244_424 Depth=1
	v_and_b32_e32 v10, 7, v1
	v_ffbh_u32_e32 v35, v10
	v_min_u32_e32 v35, 32, v35
	v_lshrrev_b32_e32 v28, 3, v9
	v_subrev_u32_e32 v39, 28, v35
	v_sub_u32_e32 v35, 29, v35
	v_cmp_gt_u32_e32 vcc, 8, v9
	v_lshlrev_b64 v[44:45], v39, v[1:2]
	v_cndmask_b32_e32 v9, v28, v35, vcc
	v_lshlrev_b32_e32 v1, 8, v1
	v_lshl_add_u32 v9, v9, 10, v27
	v_and_b32_e32 v28, 7, v44
	v_and_or_b32 v1, v1, s30, v9
	v_cndmask_b32_e32 v10, v10, v28, vcc
	v_lshlrev_b32_e32 v1, 16, v1
	v_lshl_or_b32 v35, v10, 23, v1
.LBB244_471:                            ;   in Loop: Header=BB244_424 Depth=1
	s_or_b64 exec, exec, s[18:19]
.LBB244_472:                            ;   in Loop: Header=BB244_424 Depth=1
	s_or_b64 exec, exec, s[16:17]
.LBB244_473:                            ;   in Loop: Header=BB244_424 Depth=1
	s_or_b64 exec, exec, s[0:1]
	buffer_load_dword v1, off, s[56:59], 0  ; 4-byte Folded Reload
	v_fma_mixlo_f16 v9, v11, v12, 0 op_sel:[0,1,0] op_sel_hi:[0,1,0]
	v_fma_mixlo_f16 v10, v11, v29, 0 op_sel:[0,1,0] op_sel_hi:[0,1,0]
	v_lshlrev_b32_e32 v45, 16, v10
	v_or_b32_e32 v10, v34, v33
	v_fma_mixlo_f16 v10, v11, v10, 0 op_sel_hi:[0,1,0]
	v_add_u32_e32 v28, v24, v61
	v_and_b32_e32 v46, 0xffff, v10
	v_add_u32_e32 v51, 1, v28
	v_add_u32_e32 v33, 3, v28
	s_waitcnt vmcnt(0)
	v_cmp_eq_u32_e32 vcc, s35, v1
	v_or_b32_e32 v1, v12, v31
	v_lshlrev_b32_e32 v12, 16, v9
	v_or_b32_e32 v9, v29, v30
	v_fma_mixlo_f16 v29, v11, v34, 0 op_sel:[0,1,0] op_sel_hi:[0,1,0]
	v_lshlrev_b32_e32 v44, 16, v29
	v_or_b32_e32 v29, v35, v32
	v_fma_mixlo_f16 v1, v11, v1, 0 op_sel_hi:[0,1,0]
	v_fma_mixlo_f16 v9, v11, v9, 0 op_sel_hi:[0,1,0]
	;; [unrolled: 1-line block ×3, first 2 shown]
	v_fma_mixlo_f16 v11, v11, v35, 0 op_sel:[0,1,0] op_sel_hi:[0,1,0]
	v_and_b32_e32 v39, 0xffff, v1
	v_and_b32_e32 v48, 0xffff, v9
	v_lshlrev_b32_e32 v35, 16, v11
	v_and_b32_e32 v47, 0xffff, v29
	v_or_b32_e32 v1, v12, v39
	v_or_b32_e32 v9, v45, v48
	;; [unrolled: 1-line block ×4, first 2 shown]
	v_add_u32_e32 v34, 2, v28
	v_add_u32_e32 v32, 4, v28
	;; [unrolled: 1-line block ×5, first 2 shown]
	s_and_saveexec_b64 s[16:17], vcc
	s_cbranch_execz .LBB244_475
; %bb.474:                              ;   in Loop: Header=BB244_424 Depth=1
	v_cmp_gt_i32_e64 s[0:1], s33, v28
	v_cndmask_b32_e64 v1, 0, v48, s[0:1]
	v_cmp_gt_i32_e64 s[0:1], s33, v51
	v_cndmask_b32_e64 v9, 0, v45, s[0:1]
	v_cmp_gt_i32_e64 s[0:1], s33, v34
	v_or_b32_e32 v9, v9, v1
	v_cndmask_b32_e64 v1, 0, v39, s[0:1]
	v_cmp_gt_i32_e64 s[0:1], s33, v33
	v_cndmask_b32_e64 v10, 0, v12, s[0:1]
	v_cmp_gt_i32_e64 s[0:1], s33, v32
	v_or_b32_e32 v1, v10, v1
	;; [unrolled: 5-line block ×3, first 2 shown]
	v_cndmask_b32_e64 v11, 0, v47, s[0:1]
	v_cmp_gt_i32_e64 s[0:1], s33, v29
	v_cndmask_b32_e64 v12, 0, v35, s[0:1]
	v_or_b32_e32 v11, v12, v11
.LBB244_475:                            ;   in Loop: Header=BB244_424 Depth=1
	s_or_b64 exec, exec, s[16:17]
	v_and_b32_e32 v0, 0xffff, v0
	v_lshl_or_b32 v39, v36, 16, v0
	v_and_b32_e32 v0, 0xffff, v37
	v_lshl_or_b32 v38, v38, 16, v0
	;; [unrolled: 2-line block ×4, first 2 shown]
	;;#ASMSTART
	v_pk_mul_f16 v0, v39, v9;

	;;#ASMEND
	;;#ASMSTART
	v_pk_mul_f16 v1, v38, v1;

	;;#ASMEND
	;; [unrolled: 4-line block ×4, first 2 shown]
	;;#ASMSTART
	v_pk_add_f16 v0, v0, v1;

	;;#ASMEND
	;;#ASMSTART
	v_pk_add_f16 v0, v0, v9;

	;;#ASMEND
	;; [unrolled: 4-line block ×3, first 2 shown]
	v_lshrrev_b32_e32 v1, 16, v0
	v_and_b32_e32 v0, 0xffff, v0
	;;#ASMSTART
	v_cvt_f32_f16 v40, v0;
	;;#ASMEND
	;;#ASMSTART
	v_cvt_f32_f16 v41, v1;
	;;#ASMEND
	global_load_dwordx2 v[9:10], v[7:8], off offset:512
	v_mov_b32_e32 v11, 0
	global_load_dword v0, v11, s[14:15]
	v_mov_b32_e32 v42, 0
	s_waitcnt vmcnt(1)
	v_cmp_ne_u16_sdwa s[0:1], v9, v2 src0_sel:BYTE_0 src1_sel:DWORD
	s_and_saveexec_b64 s[16:17], s[0:1]
	s_cbranch_execz .LBB244_481
; %bb.476:                              ;   in Loop: Header=BB244_424 Depth=1
	v_cmp_ne_u16_sdwa s[0:1], v9, s28 src0_sel:BYTE_0 src1_sel:DWORD
	v_mov_b32_e32 v42, 0x8000
	s_and_saveexec_b64 s[18:19], s[0:1]
	s_cbranch_execz .LBB244_480
; %bb.477:                              ;   in Loop: Header=BB244_424 Depth=1
	v_and_b32_e32 v1, 0x7f, v9
	v_cmp_ne_u32_e64 s[0:1], s29, v1
	v_mov_b32_e32 v42, 0x7c01
	s_and_saveexec_b64 s[20:21], s[0:1]
	s_cbranch_execz .LBB244_479
; %bb.478:                              ;   in Loop: Header=BB244_424 Depth=1
	v_and_b32_e32 v12, 7, v9
	v_ffbh_u32_e32 v42, v12
	v_min_u32_e32 v44, 32, v42
	v_subrev_u32_e32 v42, 28, v44
	v_lshlrev_b64 v[42:43], v42, v[9:10]
	v_lshrrev_b32_e32 v35, 3, v1
	v_sub_u32_e32 v43, 29, v44
	v_cmp_gt_u32_e64 s[0:1], 8, v1
	v_cndmask_b32_e64 v1, v35, v43, s[0:1]
	v_lshl_add_u32 v1, v1, 10, v27
	v_lshlrev_b32_e32 v35, 8, v9
	v_and_b32_e32 v42, 7, v42
	v_and_b32_e32 v1, 0xfc00, v1
	v_cndmask_b32_e64 v12, v12, v42, s[0:1]
	v_and_or_b32 v1, v35, s30, v1
	v_lshl_or_b32 v42, v12, 7, v1
.LBB244_479:                            ;   in Loop: Header=BB244_424 Depth=1
	s_or_b64 exec, exec, s[20:21]
.LBB244_480:                            ;   in Loop: Header=BB244_424 Depth=1
	s_or_b64 exec, exec, s[18:19]
.LBB244_481:                            ;   in Loop: Header=BB244_424 Depth=1
	s_or_b64 exec, exec, s[16:17]
	v_lshrrev_b16_e32 v1, 8, v9
	v_cmp_ne_u16_e64 s[0:1], 0, v1
	s_and_saveexec_b64 s[16:17], s[0:1]
	s_cbranch_execz .LBB244_487
; %bb.482:                              ;   in Loop: Header=BB244_424 Depth=1
	v_cmp_ne_u16_e64 s[0:1], s28, v1
	v_bfrev_b32_e32 v11, 1
	s_and_saveexec_b64 s[18:19], s[0:1]
	s_cbranch_execz .LBB244_486
; %bb.483:                              ;   in Loop: Header=BB244_424 Depth=1
	v_and_b32_e32 v12, 0x7f, v1
	v_cmp_ne_u32_e64 s[0:1], s29, v12
	v_mov_b32_e32 v11, 0x7c010000
	s_and_saveexec_b64 s[20:21], s[0:1]
	s_cbranch_execz .LBB244_485
; %bb.484:                              ;   in Loop: Header=BB244_424 Depth=1
	v_and_b32_e32 v11, 7, v1
	v_ffbh_u32_e32 v43, v11
	v_min_u32_e32 v45, 32, v43
	v_subrev_u32_e32 v43, 28, v45
	v_lshlrev_b64 v[43:44], v43, v[1:2]
	v_lshrrev_b32_e32 v35, 3, v12
	v_sub_u32_e32 v44, 29, v45
	v_cmp_gt_u32_e64 s[0:1], 8, v12
	v_cndmask_b32_e64 v12, v35, v44, s[0:1]
	v_lshlrev_b32_e32 v1, 8, v1
	v_lshl_add_u32 v12, v12, 10, v27
	v_and_b32_e32 v35, 7, v43
	v_and_or_b32 v1, v1, s30, v12
	v_cndmask_b32_e64 v11, v11, v35, s[0:1]
	v_lshlrev_b32_e32 v1, 16, v1
	v_lshl_or_b32 v11, v11, 23, v1
.LBB244_485:                            ;   in Loop: Header=BB244_424 Depth=1
	s_or_b64 exec, exec, s[20:21]
.LBB244_486:                            ;   in Loop: Header=BB244_424 Depth=1
	s_or_b64 exec, exec, s[18:19]
.LBB244_487:                            ;   in Loop: Header=BB244_424 Depth=1
	s_or_b64 exec, exec, s[16:17]
	v_lshrrev_b32_e32 v1, 16, v9
	v_cmp_ne_u16_sdwa s[0:1], v1, v2 src0_sel:BYTE_0 src1_sel:DWORD
	v_mov_b32_e32 v12, 0
	v_mov_b32_e32 v35, 0
	s_and_saveexec_b64 s[16:17], s[0:1]
	s_cbranch_execz .LBB244_493
; %bb.488:                              ;   in Loop: Header=BB244_424 Depth=1
	v_cmp_ne_u16_sdwa s[0:1], v1, s28 src0_sel:BYTE_0 src1_sel:DWORD
	v_mov_b32_e32 v35, 0x8000
	s_and_saveexec_b64 s[18:19], s[0:1]
	s_cbranch_execz .LBB244_492
; %bb.489:                              ;   in Loop: Header=BB244_424 Depth=1
	v_bfe_u32 v43, v9, 16, 7
	v_cmp_ne_u32_e64 s[0:1], s29, v43
	v_mov_b32_e32 v35, 0x7c01
	s_and_saveexec_b64 s[20:21], s[0:1]
	s_cbranch_execz .LBB244_491
; %bb.490:                              ;   in Loop: Header=BB244_424 Depth=1
	v_and_b32_e32 v35, 7, v1
	v_ffbh_u32_e32 v44, v35
	v_min_u32_e32 v47, 32, v44
	v_subrev_u32_e32 v44, 28, v47
	v_lshlrev_b64 v[44:45], v44, v[1:2]
	v_lshrrev_b32_e32 v46, 3, v43
	v_sub_u32_e32 v45, 29, v47
	v_cmp_gt_u32_e64 s[0:1], 8, v43
	v_cndmask_b32_e64 v43, v46, v45, s[0:1]
	v_lshl_add_u32 v43, v43, 10, v27
	v_lshlrev_b32_e32 v1, 8, v1
	v_and_b32_e32 v44, 7, v44
	v_and_b32_e32 v43, 0xfc00, v43
	v_cndmask_b32_e64 v35, v35, v44, s[0:1]
	v_and_or_b32 v1, v1, s30, v43
	v_lshl_or_b32 v35, v35, 7, v1
.LBB244_491:                            ;   in Loop: Header=BB244_424 Depth=1
	s_or_b64 exec, exec, s[20:21]
.LBB244_492:                            ;   in Loop: Header=BB244_424 Depth=1
	s_or_b64 exec, exec, s[18:19]
.LBB244_493:                            ;   in Loop: Header=BB244_424 Depth=1
	s_or_b64 exec, exec, s[16:17]
	v_cmp_lt_u32_e64 s[0:1], s5, v9
	s_and_saveexec_b64 s[16:17], s[0:1]
	s_cbranch_execz .LBB244_499
; %bb.494:                              ;   in Loop: Header=BB244_424 Depth=1
	v_lshrrev_b32_e32 v1, 24, v9
	v_cmp_ne_u32_e64 s[0:1], s28, v1
	v_bfrev_b32_e32 v12, 1
	s_and_saveexec_b64 s[18:19], s[0:1]
	s_cbranch_execz .LBB244_498
; %bb.495:                              ;   in Loop: Header=BB244_424 Depth=1
	v_and_b32_e32 v43, 0x7f, v1
	v_cmp_ne_u32_e64 s[0:1], s29, v43
	v_mov_b32_e32 v12, 0x7c010000
	s_and_saveexec_b64 s[20:21], s[0:1]
	s_cbranch_execz .LBB244_497
; %bb.496:                              ;   in Loop: Header=BB244_424 Depth=1
	v_and_b32_e32 v12, 7, v1
	v_ffbh_u32_e32 v44, v12
	v_min_u32_e32 v47, 32, v44
	v_subrev_u32_e32 v44, 28, v47
	v_lshlrev_b64 v[44:45], v44, v[1:2]
	v_lshrrev_b32_e32 v46, 3, v43
	v_sub_u32_e32 v45, 29, v47
	v_cmp_gt_u32_e64 s[0:1], 8, v43
	v_cndmask_b32_e64 v43, v46, v45, s[0:1]
	v_lshlrev_b32_e32 v1, 8, v1
	v_lshl_add_u32 v43, v43, 10, v27
	v_and_b32_e32 v44, 7, v44
	v_and_or_b32 v1, v1, s30, v43
	v_cndmask_b32_e64 v12, v12, v44, s[0:1]
	v_lshlrev_b32_e32 v1, 16, v1
	v_lshl_or_b32 v12, v12, 23, v1
.LBB244_497:                            ;   in Loop: Header=BB244_424 Depth=1
	s_or_b64 exec, exec, s[20:21]
.LBB244_498:                            ;   in Loop: Header=BB244_424 Depth=1
	s_or_b64 exec, exec, s[18:19]
.LBB244_499:                            ;   in Loop: Header=BB244_424 Depth=1
	s_or_b64 exec, exec, s[16:17]
	v_mov_b32_e32 v1, v10
	v_cmp_ne_u16_sdwa s[0:1], v10, v2 src0_sel:BYTE_0 src1_sel:DWORD
	v_mov_b32_e32 v43, 0
	v_mov_b32_e32 v44, 0
	s_and_saveexec_b64 s[16:17], s[0:1]
	s_cbranch_execz .LBB244_505
; %bb.500:                              ;   in Loop: Header=BB244_424 Depth=1
	v_cmp_ne_u16_sdwa s[0:1], v10, s28 src0_sel:BYTE_0 src1_sel:DWORD
	v_mov_b32_e32 v44, 0x8000
	s_and_saveexec_b64 s[18:19], s[0:1]
	s_cbranch_execz .LBB244_504
; %bb.501:                              ;   in Loop: Header=BB244_424 Depth=1
	v_and_b32_e32 v45, 0x7f, v10
	v_cmp_ne_u32_e64 s[0:1], s29, v45
	v_mov_b32_e32 v44, 0x7c01
	s_and_saveexec_b64 s[20:21], s[0:1]
	s_cbranch_execz .LBB244_503
; %bb.502:                              ;   in Loop: Header=BB244_424 Depth=1
	v_and_b32_e32 v44, 7, v10
	v_ffbh_u32_e32 v46, v44
	v_min_u32_e32 v49, 32, v46
	v_subrev_u32_e32 v46, 28, v49
	v_lshlrev_b64 v[46:47], v46, v[1:2]
	v_lshrrev_b32_e32 v48, 3, v45
	v_sub_u32_e32 v47, 29, v49
	v_cmp_gt_u32_e64 s[0:1], 8, v45
	v_cndmask_b32_e64 v45, v48, v47, s[0:1]
	v_lshl_add_u32 v45, v45, 10, v27
	v_lshlrev_b32_e32 v47, 8, v10
	v_and_b32_e32 v46, 7, v46
	v_and_b32_e32 v45, 0xfc00, v45
	v_cndmask_b32_e64 v44, v44, v46, s[0:1]
	v_and_or_b32 v45, v47, s30, v45
	v_lshl_or_b32 v44, v44, 7, v45
.LBB244_503:                            ;   in Loop: Header=BB244_424 Depth=1
	s_or_b64 exec, exec, s[20:21]
.LBB244_504:                            ;   in Loop: Header=BB244_424 Depth=1
	s_or_b64 exec, exec, s[18:19]
.LBB244_505:                            ;   in Loop: Header=BB244_424 Depth=1
	s_or_b64 exec, exec, s[16:17]
	v_lshrrev_b16_e32 v1, 8, v1
	v_cmp_ne_u16_e64 s[0:1], 0, v1
	v_mov_b32_e32 v45, 0
	s_and_saveexec_b64 s[16:17], s[0:1]
	s_cbranch_execz .LBB244_511
; %bb.506:                              ;   in Loop: Header=BB244_424 Depth=1
	v_cmp_ne_u16_e64 s[0:1], s28, v1
	v_bfrev_b32_e32 v45, 1
	s_and_saveexec_b64 s[18:19], s[0:1]
	s_cbranch_execz .LBB244_510
; %bb.507:                              ;   in Loop: Header=BB244_424 Depth=1
	v_and_b32_e32 v46, 0x7f, v1
	v_cmp_ne_u32_e64 s[0:1], s29, v46
	v_mov_b32_e32 v45, 0x7c010000
	s_and_saveexec_b64 s[20:21], s[0:1]
	s_cbranch_execz .LBB244_509
; %bb.508:                              ;   in Loop: Header=BB244_424 Depth=1
	v_and_b32_e32 v45, 7, v1
	v_ffbh_u32_e32 v47, v45
	v_min_u32_e32 v50, 32, v47
	v_subrev_u32_e32 v47, 28, v50
	v_lshlrev_b64 v[47:48], v47, v[1:2]
	v_lshrrev_b32_e32 v49, 3, v46
	v_sub_u32_e32 v48, 29, v50
	v_cmp_gt_u32_e64 s[0:1], 8, v46
	v_cndmask_b32_e64 v46, v49, v48, s[0:1]
	v_lshlrev_b32_e32 v1, 8, v1
	v_lshl_add_u32 v46, v46, 10, v27
	v_and_b32_e32 v47, 7, v47
	v_and_or_b32 v1, v1, s30, v46
	v_cndmask_b32_e64 v45, v45, v47, s[0:1]
	v_lshlrev_b32_e32 v1, 16, v1
	v_lshl_or_b32 v45, v45, 23, v1
.LBB244_509:                            ;   in Loop: Header=BB244_424 Depth=1
	s_or_b64 exec, exec, s[20:21]
.LBB244_510:                            ;   in Loop: Header=BB244_424 Depth=1
	s_or_b64 exec, exec, s[18:19]
.LBB244_511:                            ;   in Loop: Header=BB244_424 Depth=1
	s_or_b64 exec, exec, s[16:17]
	v_lshrrev_b32_e32 v1, 16, v10
	v_cmp_ne_u16_sdwa s[0:1], v1, v2 src0_sel:BYTE_0 src1_sel:DWORD
	s_and_saveexec_b64 s[16:17], s[0:1]
	s_cbranch_execz .LBB244_517
; %bb.512:                              ;   in Loop: Header=BB244_424 Depth=1
	v_cmp_ne_u16_sdwa s[0:1], v1, s28 src0_sel:BYTE_0 src1_sel:DWORD
	v_mov_b32_e32 v43, 0x8000
	s_and_saveexec_b64 s[18:19], s[0:1]
	s_cbranch_execz .LBB244_516
; %bb.513:                              ;   in Loop: Header=BB244_424 Depth=1
	v_bfe_u32 v46, v10, 16, 7
	v_cmp_ne_u32_e64 s[0:1], s29, v46
	v_mov_b32_e32 v43, 0x7c01
	s_and_saveexec_b64 s[20:21], s[0:1]
	s_cbranch_execz .LBB244_515
; %bb.514:                              ;   in Loop: Header=BB244_424 Depth=1
	v_and_b32_e32 v43, 7, v1
	v_ffbh_u32_e32 v47, v43
	v_min_u32_e32 v50, 32, v47
	v_subrev_u32_e32 v47, 28, v50
	v_lshlrev_b64 v[47:48], v47, v[1:2]
	v_lshrrev_b32_e32 v49, 3, v46
	v_sub_u32_e32 v48, 29, v50
	v_cmp_gt_u32_e64 s[0:1], 8, v46
	v_cndmask_b32_e64 v46, v49, v48, s[0:1]
	v_lshl_add_u32 v46, v46, 10, v27
	v_lshlrev_b32_e32 v1, 8, v1
	v_and_b32_e32 v47, 7, v47
	v_and_b32_e32 v46, 0xfc00, v46
	v_cndmask_b32_e64 v43, v43, v47, s[0:1]
	v_and_or_b32 v1, v1, s30, v46
	v_lshl_or_b32 v43, v43, 7, v1
.LBB244_515:                            ;   in Loop: Header=BB244_424 Depth=1
	s_or_b64 exec, exec, s[20:21]
.LBB244_516:                            ;   in Loop: Header=BB244_424 Depth=1
	s_or_b64 exec, exec, s[18:19]
.LBB244_517:                            ;   in Loop: Header=BB244_424 Depth=1
	s_or_b64 exec, exec, s[16:17]
	v_cmp_lt_u64_e64 s[0:1], s[4:5], v[9:10]
	v_mov_b32_e32 v9, 0
	s_and_saveexec_b64 s[16:17], s[0:1]
	s_cbranch_execz .LBB244_523
; %bb.518:                              ;   in Loop: Header=BB244_424 Depth=1
	v_lshrrev_b32_e32 v1, 24, v10
	v_cmp_ne_u32_e64 s[0:1], s28, v1
	v_bfrev_b32_e32 v9, 1
	s_and_saveexec_b64 s[18:19], s[0:1]
	s_cbranch_execz .LBB244_522
; %bb.519:                              ;   in Loop: Header=BB244_424 Depth=1
	v_and_b32_e32 v10, 0x7f, v1
	v_cmp_ne_u32_e64 s[0:1], s29, v10
	v_mov_b32_e32 v9, 0x7c010000
	s_and_saveexec_b64 s[20:21], s[0:1]
	s_cbranch_execz .LBB244_521
; %bb.520:                              ;   in Loop: Header=BB244_424 Depth=1
	v_and_b32_e32 v9, 7, v1
	v_ffbh_u32_e32 v46, v9
	v_min_u32_e32 v49, 32, v46
	v_subrev_u32_e32 v46, 28, v49
	v_lshlrev_b64 v[46:47], v46, v[1:2]
	v_lshrrev_b32_e32 v48, 3, v10
	v_sub_u32_e32 v47, 29, v49
	v_cmp_gt_u32_e64 s[0:1], 8, v10
	v_cndmask_b32_e64 v10, v48, v47, s[0:1]
	v_lshlrev_b32_e32 v1, 8, v1
	v_lshl_add_u32 v10, v10, 10, v27
	v_and_b32_e32 v46, 7, v46
	v_and_or_b32 v1, v1, s30, v10
	v_cndmask_b32_e64 v9, v9, v46, s[0:1]
	v_lshlrev_b32_e32 v1, 16, v1
	v_lshl_or_b32 v9, v9, 23, v1
.LBB244_521:                            ;   in Loop: Header=BB244_424 Depth=1
	s_or_b64 exec, exec, s[20:21]
.LBB244_522:                            ;   in Loop: Header=BB244_424 Depth=1
	s_or_b64 exec, exec, s[18:19]
.LBB244_523:                            ;   in Loop: Header=BB244_424 Depth=1
	s_or_b64 exec, exec, s[16:17]
	s_waitcnt vmcnt(0)
	v_fma_mixlo_f16 v10, v0, v12, 0 op_sel:[0,1,0] op_sel_hi:[0,1,0]
	v_or_b32_e32 v1, v12, v35
	v_lshlrev_b32_e32 v12, 16, v10
	v_or_b32_e32 v10, v11, v42
	v_fma_mixlo_f16 v11, v0, v11, 0 op_sel:[0,1,0] op_sel_hi:[0,1,0]
	v_lshlrev_b32_e32 v46, 16, v11
	v_or_b32_e32 v11, v45, v44
	v_or_b32_e32 v43, v9, v43
	v_fma_mixlo_f16 v1, v0, v1, 0 op_sel_hi:[0,1,0]
	v_fma_mixlo_f16 v10, v0, v10, 0 op_sel_hi:[0,1,0]
	v_fma_mixlo_f16 v42, v0, v45, 0 op_sel:[0,1,0] op_sel_hi:[0,1,0]
	v_fma_mixlo_f16 v11, v0, v11, 0 op_sel_hi:[0,1,0]
	v_fma_mixlo_f16 v43, v0, v43, 0 op_sel_hi:[0,1,0]
	v_fma_mixlo_f16 v0, v0, v9, 0 op_sel:[0,1,0] op_sel_hi:[0,1,0]
	v_and_b32_e32 v35, 0xffff, v1
	v_and_b32_e32 v47, 0xffff, v10
	v_lshlrev_b32_e32 v42, 16, v42
	v_and_b32_e32 v44, 0xffff, v11
	v_lshlrev_b32_e32 v0, 16, v0
	v_and_b32_e32 v9, 0xffff, v43
	v_or_b32_e32 v1, v12, v35
	v_or_b32_e32 v10, v46, v47
	;; [unrolled: 1-line block ×4, first 2 shown]
	s_and_saveexec_b64 s[16:17], vcc
	s_cbranch_execz .LBB244_525
; %bb.524:                              ;   in Loop: Header=BB244_424 Depth=1
	v_cmp_gt_i32_e64 s[0:1], s33, v28
	v_cndmask_b32_e64 v1, 0, v47, s[0:1]
	v_cmp_gt_i32_e64 s[0:1], s33, v51
	v_cndmask_b32_e64 v10, 0, v46, s[0:1]
	v_cmp_gt_i32_e64 s[0:1], s33, v34
	v_or_b32_e32 v10, v10, v1
	v_cndmask_b32_e64 v1, 0, v35, s[0:1]
	v_cmp_gt_i32_e64 s[0:1], s33, v33
	v_cndmask_b32_e64 v11, 0, v12, s[0:1]
	v_cmp_gt_i32_e64 s[0:1], s33, v32
	v_or_b32_e32 v1, v11, v1
	v_cndmask_b32_e64 v11, 0, v44, s[0:1]
	v_cmp_gt_i32_e64 s[0:1], s33, v31
	v_cndmask_b32_e64 v12, 0, v42, s[0:1]
	v_cmp_gt_i32_e64 s[0:1], s33, v30
	;; [unrolled: 2-line block ×3, first 2 shown]
	v_cndmask_b32_e64 v0, 0, v0, s[0:1]
	v_or_b32_e32 v11, v12, v11
	v_or_b32_e32 v43, v0, v9
.LBB244_525:                            ;   in Loop: Header=BB244_424 Depth=1
	s_or_b64 exec, exec, s[16:17]
	;;#ASMSTART
	v_pk_mul_f16 v0, v39, v10;

	;;#ASMEND
	;;#ASMSTART
	v_pk_mul_f16 v1, v38, v1;

	;;#ASMEND
	;; [unrolled: 4-line block ×4, first 2 shown]
	;;#ASMSTART
	v_pk_add_f16 v0, v0, v1;

	;;#ASMEND
	;;#ASMSTART
	v_pk_add_f16 v0, v0, v9;

	;;#ASMEND
	;; [unrolled: 4-line block ×3, first 2 shown]
	v_lshrrev_b32_e32 v1, 16, v0
	v_and_b32_e32 v0, 0xffff, v0
	;;#ASMSTART
	v_cvt_f32_f16 v42, v0;
	;;#ASMEND
	;;#ASMSTART
	v_cvt_f32_f16 v43, v1;
	;;#ASMEND
	global_load_dwordx2 v[9:10], v[7:8], off offset:1024
	v_mov_b32_e32 v11, 0
	global_load_dword v0, v11, s[14:15]
	v_mov_b32_e32 v44, 0
	s_waitcnt vmcnt(1)
	v_cmp_ne_u16_sdwa s[0:1], v9, v2 src0_sel:BYTE_0 src1_sel:DWORD
	s_and_saveexec_b64 s[16:17], s[0:1]
	s_cbranch_execz .LBB244_531
; %bb.526:                              ;   in Loop: Header=BB244_424 Depth=1
	v_cmp_ne_u16_sdwa s[0:1], v9, s28 src0_sel:BYTE_0 src1_sel:DWORD
	v_mov_b32_e32 v44, 0x8000
	s_and_saveexec_b64 s[18:19], s[0:1]
	s_cbranch_execz .LBB244_530
; %bb.527:                              ;   in Loop: Header=BB244_424 Depth=1
	v_and_b32_e32 v1, 0x7f, v9
	v_cmp_ne_u32_e64 s[0:1], s29, v1
	v_mov_b32_e32 v44, 0x7c01
	s_and_saveexec_b64 s[20:21], s[0:1]
	s_cbranch_execz .LBB244_529
; %bb.528:                              ;   in Loop: Header=BB244_424 Depth=1
	v_and_b32_e32 v12, 7, v9
	v_ffbh_u32_e32 v44, v12
	v_min_u32_e32 v46, 32, v44
	v_subrev_u32_e32 v44, 28, v46
	v_lshlrev_b64 v[44:45], v44, v[9:10]
	v_lshrrev_b32_e32 v35, 3, v1
	v_sub_u32_e32 v45, 29, v46
	v_cmp_gt_u32_e64 s[0:1], 8, v1
	v_cndmask_b32_e64 v1, v35, v45, s[0:1]
	v_lshl_add_u32 v1, v1, 10, v27
	v_lshlrev_b32_e32 v35, 8, v9
	v_and_b32_e32 v44, 7, v44
	v_and_b32_e32 v1, 0xfc00, v1
	v_cndmask_b32_e64 v12, v12, v44, s[0:1]
	v_and_or_b32 v1, v35, s30, v1
	v_lshl_or_b32 v44, v12, 7, v1
.LBB244_529:                            ;   in Loop: Header=BB244_424 Depth=1
	s_or_b64 exec, exec, s[20:21]
.LBB244_530:                            ;   in Loop: Header=BB244_424 Depth=1
	s_or_b64 exec, exec, s[18:19]
.LBB244_531:                            ;   in Loop: Header=BB244_424 Depth=1
	s_or_b64 exec, exec, s[16:17]
	v_lshrrev_b16_e32 v1, 8, v9
	v_cmp_ne_u16_e64 s[0:1], 0, v1
	s_and_saveexec_b64 s[16:17], s[0:1]
	s_cbranch_execz .LBB244_537
; %bb.532:                              ;   in Loop: Header=BB244_424 Depth=1
	v_cmp_ne_u16_e64 s[0:1], s28, v1
	v_bfrev_b32_e32 v11, 1
	s_and_saveexec_b64 s[18:19], s[0:1]
	s_cbranch_execz .LBB244_536
; %bb.533:                              ;   in Loop: Header=BB244_424 Depth=1
	v_and_b32_e32 v12, 0x7f, v1
	v_cmp_ne_u32_e64 s[0:1], s29, v12
	v_mov_b32_e32 v11, 0x7c010000
	s_and_saveexec_b64 s[20:21], s[0:1]
	s_cbranch_execz .LBB244_535
; %bb.534:                              ;   in Loop: Header=BB244_424 Depth=1
	v_and_b32_e32 v11, 7, v1
	v_ffbh_u32_e32 v45, v11
	v_min_u32_e32 v47, 32, v45
	v_subrev_u32_e32 v45, 28, v47
	v_lshlrev_b64 v[45:46], v45, v[1:2]
	v_lshrrev_b32_e32 v35, 3, v12
	v_sub_u32_e32 v46, 29, v47
	v_cmp_gt_u32_e64 s[0:1], 8, v12
	v_cndmask_b32_e64 v12, v35, v46, s[0:1]
	v_lshlrev_b32_e32 v1, 8, v1
	v_lshl_add_u32 v12, v12, 10, v27
	v_and_b32_e32 v35, 7, v45
	v_and_or_b32 v1, v1, s30, v12
	v_cndmask_b32_e64 v11, v11, v35, s[0:1]
	v_lshlrev_b32_e32 v1, 16, v1
	v_lshl_or_b32 v11, v11, 23, v1
.LBB244_535:                            ;   in Loop: Header=BB244_424 Depth=1
	s_or_b64 exec, exec, s[20:21]
.LBB244_536:                            ;   in Loop: Header=BB244_424 Depth=1
	s_or_b64 exec, exec, s[18:19]
.LBB244_537:                            ;   in Loop: Header=BB244_424 Depth=1
	s_or_b64 exec, exec, s[16:17]
	v_lshrrev_b32_e32 v1, 16, v9
	v_cmp_ne_u16_sdwa s[0:1], v1, v2 src0_sel:BYTE_0 src1_sel:DWORD
	v_mov_b32_e32 v12, 0
	v_mov_b32_e32 v35, 0
	s_and_saveexec_b64 s[16:17], s[0:1]
	s_cbranch_execz .LBB244_543
; %bb.538:                              ;   in Loop: Header=BB244_424 Depth=1
	v_cmp_ne_u16_sdwa s[0:1], v1, s28 src0_sel:BYTE_0 src1_sel:DWORD
	v_mov_b32_e32 v35, 0x8000
	s_and_saveexec_b64 s[18:19], s[0:1]
	s_cbranch_execz .LBB244_542
; %bb.539:                              ;   in Loop: Header=BB244_424 Depth=1
	v_bfe_u32 v45, v9, 16, 7
	v_cmp_ne_u32_e64 s[0:1], s29, v45
	v_mov_b32_e32 v35, 0x7c01
	s_and_saveexec_b64 s[20:21], s[0:1]
	s_cbranch_execz .LBB244_541
; %bb.540:                              ;   in Loop: Header=BB244_424 Depth=1
	v_and_b32_e32 v35, 7, v1
	v_ffbh_u32_e32 v46, v35
	v_min_u32_e32 v49, 32, v46
	v_subrev_u32_e32 v46, 28, v49
	v_lshlrev_b64 v[46:47], v46, v[1:2]
	v_lshrrev_b32_e32 v48, 3, v45
	v_sub_u32_e32 v47, 29, v49
	v_cmp_gt_u32_e64 s[0:1], 8, v45
	v_cndmask_b32_e64 v45, v48, v47, s[0:1]
	v_lshl_add_u32 v45, v45, 10, v27
	v_lshlrev_b32_e32 v1, 8, v1
	v_and_b32_e32 v46, 7, v46
	v_and_b32_e32 v45, 0xfc00, v45
	v_cndmask_b32_e64 v35, v35, v46, s[0:1]
	v_and_or_b32 v1, v1, s30, v45
	v_lshl_or_b32 v35, v35, 7, v1
.LBB244_541:                            ;   in Loop: Header=BB244_424 Depth=1
	s_or_b64 exec, exec, s[20:21]
.LBB244_542:                            ;   in Loop: Header=BB244_424 Depth=1
	s_or_b64 exec, exec, s[18:19]
.LBB244_543:                            ;   in Loop: Header=BB244_424 Depth=1
	s_or_b64 exec, exec, s[16:17]
	v_cmp_lt_u32_e64 s[0:1], s5, v9
	s_and_saveexec_b64 s[16:17], s[0:1]
	s_cbranch_execz .LBB244_549
; %bb.544:                              ;   in Loop: Header=BB244_424 Depth=1
	v_lshrrev_b32_e32 v1, 24, v9
	v_cmp_ne_u32_e64 s[0:1], s28, v1
	v_bfrev_b32_e32 v12, 1
	s_and_saveexec_b64 s[18:19], s[0:1]
	s_cbranch_execz .LBB244_548
; %bb.545:                              ;   in Loop: Header=BB244_424 Depth=1
	v_and_b32_e32 v45, 0x7f, v1
	v_cmp_ne_u32_e64 s[0:1], s29, v45
	v_mov_b32_e32 v12, 0x7c010000
	s_and_saveexec_b64 s[20:21], s[0:1]
	s_cbranch_execz .LBB244_547
; %bb.546:                              ;   in Loop: Header=BB244_424 Depth=1
	v_and_b32_e32 v12, 7, v1
	v_ffbh_u32_e32 v46, v12
	v_min_u32_e32 v49, 32, v46
	v_subrev_u32_e32 v46, 28, v49
	v_lshlrev_b64 v[46:47], v46, v[1:2]
	v_lshrrev_b32_e32 v48, 3, v45
	v_sub_u32_e32 v47, 29, v49
	v_cmp_gt_u32_e64 s[0:1], 8, v45
	v_cndmask_b32_e64 v45, v48, v47, s[0:1]
	v_lshlrev_b32_e32 v1, 8, v1
	v_lshl_add_u32 v45, v45, 10, v27
	v_and_b32_e32 v46, 7, v46
	v_and_or_b32 v1, v1, s30, v45
	v_cndmask_b32_e64 v12, v12, v46, s[0:1]
	v_lshlrev_b32_e32 v1, 16, v1
	v_lshl_or_b32 v12, v12, 23, v1
.LBB244_547:                            ;   in Loop: Header=BB244_424 Depth=1
	s_or_b64 exec, exec, s[20:21]
.LBB244_548:                            ;   in Loop: Header=BB244_424 Depth=1
	s_or_b64 exec, exec, s[18:19]
.LBB244_549:                            ;   in Loop: Header=BB244_424 Depth=1
	s_or_b64 exec, exec, s[16:17]
	v_mov_b32_e32 v1, v10
	v_cmp_ne_u16_sdwa s[0:1], v10, v2 src0_sel:BYTE_0 src1_sel:DWORD
	v_mov_b32_e32 v45, 0
	v_mov_b32_e32 v46, 0
	s_and_saveexec_b64 s[16:17], s[0:1]
	s_cbranch_execz .LBB244_555
; %bb.550:                              ;   in Loop: Header=BB244_424 Depth=1
	v_cmp_ne_u16_sdwa s[0:1], v10, s28 src0_sel:BYTE_0 src1_sel:DWORD
	v_mov_b32_e32 v46, 0x8000
	s_and_saveexec_b64 s[18:19], s[0:1]
	s_cbranch_execz .LBB244_554
; %bb.551:                              ;   in Loop: Header=BB244_424 Depth=1
	v_and_b32_e32 v47, 0x7f, v10
	v_cmp_ne_u32_e64 s[0:1], s29, v47
	v_mov_b32_e32 v46, 0x7c01
	s_and_saveexec_b64 s[20:21], s[0:1]
	s_cbranch_execz .LBB244_553
; %bb.552:                              ;   in Loop: Header=BB244_424 Depth=1
	v_and_b32_e32 v46, 7, v10
	v_ffbh_u32_e32 v48, v46
	v_min_u32_e32 v52, 32, v48
	v_subrev_u32_e32 v48, 28, v52
	v_lshlrev_b64 v[48:49], v48, v[1:2]
	v_lshrrev_b32_e32 v50, 3, v47
	v_sub_u32_e32 v49, 29, v52
	v_cmp_gt_u32_e64 s[0:1], 8, v47
	v_cndmask_b32_e64 v47, v50, v49, s[0:1]
	v_lshl_add_u32 v47, v47, 10, v27
	v_lshlrev_b32_e32 v49, 8, v10
	v_and_b32_e32 v48, 7, v48
	v_and_b32_e32 v47, 0xfc00, v47
	v_cndmask_b32_e64 v46, v46, v48, s[0:1]
	v_and_or_b32 v47, v49, s30, v47
	v_lshl_or_b32 v46, v46, 7, v47
.LBB244_553:                            ;   in Loop: Header=BB244_424 Depth=1
	s_or_b64 exec, exec, s[20:21]
.LBB244_554:                            ;   in Loop: Header=BB244_424 Depth=1
	s_or_b64 exec, exec, s[18:19]
.LBB244_555:                            ;   in Loop: Header=BB244_424 Depth=1
	s_or_b64 exec, exec, s[16:17]
	v_lshrrev_b16_e32 v1, 8, v1
	v_cmp_ne_u16_e64 s[0:1], 0, v1
	v_mov_b32_e32 v47, 0
	s_and_saveexec_b64 s[16:17], s[0:1]
	s_cbranch_execz .LBB244_561
; %bb.556:                              ;   in Loop: Header=BB244_424 Depth=1
	v_cmp_ne_u16_e64 s[0:1], s28, v1
	v_bfrev_b32_e32 v47, 1
	s_and_saveexec_b64 s[18:19], s[0:1]
	s_cbranch_execz .LBB244_560
; %bb.557:                              ;   in Loop: Header=BB244_424 Depth=1
	v_and_b32_e32 v48, 0x7f, v1
	v_cmp_ne_u32_e64 s[0:1], s29, v48
	v_mov_b32_e32 v47, 0x7c010000
	s_and_saveexec_b64 s[20:21], s[0:1]
	s_cbranch_execz .LBB244_559
; %bb.558:                              ;   in Loop: Header=BB244_424 Depth=1
	v_and_b32_e32 v47, 7, v1
	v_ffbh_u32_e32 v49, v47
	v_min_u32_e32 v53, 32, v49
	v_subrev_u32_e32 v49, 28, v53
	v_lshlrev_b64 v[49:50], v49, v[1:2]
	v_lshrrev_b32_e32 v52, 3, v48
	v_sub_u32_e32 v50, 29, v53
	v_cmp_gt_u32_e64 s[0:1], 8, v48
	v_cndmask_b32_e64 v48, v52, v50, s[0:1]
	v_lshlrev_b32_e32 v1, 8, v1
	v_lshl_add_u32 v48, v48, 10, v27
	v_and_b32_e32 v49, 7, v49
	v_and_or_b32 v1, v1, s30, v48
	v_cndmask_b32_e64 v47, v47, v49, s[0:1]
	v_lshlrev_b32_e32 v1, 16, v1
	v_lshl_or_b32 v47, v47, 23, v1
.LBB244_559:                            ;   in Loop: Header=BB244_424 Depth=1
	s_or_b64 exec, exec, s[20:21]
.LBB244_560:                            ;   in Loop: Header=BB244_424 Depth=1
	s_or_b64 exec, exec, s[18:19]
.LBB244_561:                            ;   in Loop: Header=BB244_424 Depth=1
	s_or_b64 exec, exec, s[16:17]
	v_lshrrev_b32_e32 v1, 16, v10
	v_cmp_ne_u16_sdwa s[0:1], v1, v2 src0_sel:BYTE_0 src1_sel:DWORD
	s_and_saveexec_b64 s[16:17], s[0:1]
	s_cbranch_execz .LBB244_567
; %bb.562:                              ;   in Loop: Header=BB244_424 Depth=1
	v_cmp_ne_u16_sdwa s[0:1], v1, s28 src0_sel:BYTE_0 src1_sel:DWORD
	v_mov_b32_e32 v45, 0x8000
	s_and_saveexec_b64 s[18:19], s[0:1]
	s_cbranch_execz .LBB244_566
; %bb.563:                              ;   in Loop: Header=BB244_424 Depth=1
	v_bfe_u32 v48, v10, 16, 7
	v_cmp_ne_u32_e64 s[0:1], s29, v48
	v_mov_b32_e32 v45, 0x7c01
	s_and_saveexec_b64 s[20:21], s[0:1]
	s_cbranch_execz .LBB244_565
; %bb.564:                              ;   in Loop: Header=BB244_424 Depth=1
	v_and_b32_e32 v45, 7, v1
	v_ffbh_u32_e32 v49, v45
	v_min_u32_e32 v53, 32, v49
	v_subrev_u32_e32 v49, 28, v53
	v_lshlrev_b64 v[49:50], v49, v[1:2]
	v_lshrrev_b32_e32 v52, 3, v48
	v_sub_u32_e32 v50, 29, v53
	v_cmp_gt_u32_e64 s[0:1], 8, v48
	v_cndmask_b32_e64 v48, v52, v50, s[0:1]
	v_lshl_add_u32 v48, v48, 10, v27
	v_lshlrev_b32_e32 v1, 8, v1
	v_and_b32_e32 v49, 7, v49
	v_and_b32_e32 v48, 0xfc00, v48
	v_cndmask_b32_e64 v45, v45, v49, s[0:1]
	v_and_or_b32 v1, v1, s30, v48
	v_lshl_or_b32 v45, v45, 7, v1
.LBB244_565:                            ;   in Loop: Header=BB244_424 Depth=1
	s_or_b64 exec, exec, s[20:21]
.LBB244_566:                            ;   in Loop: Header=BB244_424 Depth=1
	s_or_b64 exec, exec, s[18:19]
.LBB244_567:                            ;   in Loop: Header=BB244_424 Depth=1
	s_or_b64 exec, exec, s[16:17]
	v_cmp_lt_u64_e64 s[0:1], s[4:5], v[9:10]
	v_mov_b32_e32 v9, 0
	s_and_saveexec_b64 s[16:17], s[0:1]
	s_cbranch_execz .LBB244_573
; %bb.568:                              ;   in Loop: Header=BB244_424 Depth=1
	v_lshrrev_b32_e32 v1, 24, v10
	v_cmp_ne_u32_e64 s[0:1], s28, v1
	v_bfrev_b32_e32 v9, 1
	s_and_saveexec_b64 s[18:19], s[0:1]
	s_cbranch_execz .LBB244_572
; %bb.569:                              ;   in Loop: Header=BB244_424 Depth=1
	v_and_b32_e32 v10, 0x7f, v1
	v_cmp_ne_u32_e64 s[0:1], s29, v10
	v_mov_b32_e32 v9, 0x7c010000
	s_and_saveexec_b64 s[20:21], s[0:1]
	s_cbranch_execz .LBB244_571
; %bb.570:                              ;   in Loop: Header=BB244_424 Depth=1
	v_and_b32_e32 v9, 7, v1
	v_ffbh_u32_e32 v48, v9
	v_min_u32_e32 v52, 32, v48
	v_subrev_u32_e32 v48, 28, v52
	v_lshlrev_b64 v[48:49], v48, v[1:2]
	v_lshrrev_b32_e32 v50, 3, v10
	v_sub_u32_e32 v49, 29, v52
	v_cmp_gt_u32_e64 s[0:1], 8, v10
	v_cndmask_b32_e64 v10, v50, v49, s[0:1]
	v_lshlrev_b32_e32 v1, 8, v1
	v_lshl_add_u32 v10, v10, 10, v27
	v_and_b32_e32 v48, 7, v48
	v_and_or_b32 v1, v1, s30, v10
	v_cndmask_b32_e64 v9, v9, v48, s[0:1]
	v_lshlrev_b32_e32 v1, 16, v1
	v_lshl_or_b32 v9, v9, 23, v1
.LBB244_571:                            ;   in Loop: Header=BB244_424 Depth=1
	s_or_b64 exec, exec, s[20:21]
.LBB244_572:                            ;   in Loop: Header=BB244_424 Depth=1
	s_or_b64 exec, exec, s[18:19]
.LBB244_573:                            ;   in Loop: Header=BB244_424 Depth=1
	s_or_b64 exec, exec, s[16:17]
	s_waitcnt vmcnt(0)
	v_fma_mixlo_f16 v10, v0, v12, 0 op_sel:[0,1,0] op_sel_hi:[0,1,0]
	v_or_b32_e32 v1, v12, v35
	v_lshlrev_b32_e32 v12, 16, v10
	v_or_b32_e32 v10, v11, v44
	v_fma_mixlo_f16 v11, v0, v11, 0 op_sel:[0,1,0] op_sel_hi:[0,1,0]
	v_lshlrev_b32_e32 v48, 16, v11
	v_or_b32_e32 v11, v47, v46
	v_or_b32_e32 v45, v9, v45
	v_fma_mixlo_f16 v1, v0, v1, 0 op_sel_hi:[0,1,0]
	v_fma_mixlo_f16 v10, v0, v10, 0 op_sel_hi:[0,1,0]
	v_fma_mixlo_f16 v44, v0, v47, 0 op_sel:[0,1,0] op_sel_hi:[0,1,0]
	v_fma_mixlo_f16 v11, v0, v11, 0 op_sel_hi:[0,1,0]
	v_fma_mixlo_f16 v45, v0, v45, 0 op_sel_hi:[0,1,0]
	v_fma_mixlo_f16 v0, v0, v9, 0 op_sel:[0,1,0] op_sel_hi:[0,1,0]
	v_and_b32_e32 v35, 0xffff, v1
	v_and_b32_e32 v49, 0xffff, v10
	v_lshlrev_b32_e32 v44, 16, v44
	v_and_b32_e32 v46, 0xffff, v11
	v_lshlrev_b32_e32 v0, 16, v0
	v_and_b32_e32 v9, 0xffff, v45
	v_or_b32_e32 v1, v12, v35
	v_or_b32_e32 v10, v48, v49
	;; [unrolled: 1-line block ×4, first 2 shown]
	s_and_saveexec_b64 s[16:17], vcc
	s_cbranch_execz .LBB244_575
; %bb.574:                              ;   in Loop: Header=BB244_424 Depth=1
	v_cmp_gt_i32_e64 s[0:1], s33, v28
	v_cndmask_b32_e64 v1, 0, v49, s[0:1]
	v_cmp_gt_i32_e64 s[0:1], s33, v51
	v_cndmask_b32_e64 v10, 0, v48, s[0:1]
	v_cmp_gt_i32_e64 s[0:1], s33, v34
	v_or_b32_e32 v10, v10, v1
	v_cndmask_b32_e64 v1, 0, v35, s[0:1]
	v_cmp_gt_i32_e64 s[0:1], s33, v33
	v_cndmask_b32_e64 v11, 0, v12, s[0:1]
	v_cmp_gt_i32_e64 s[0:1], s33, v32
	v_or_b32_e32 v1, v11, v1
	v_cndmask_b32_e64 v11, 0, v46, s[0:1]
	v_cmp_gt_i32_e64 s[0:1], s33, v31
	v_cndmask_b32_e64 v12, 0, v44, s[0:1]
	v_cmp_gt_i32_e64 s[0:1], s33, v30
	;; [unrolled: 2-line block ×3, first 2 shown]
	v_cndmask_b32_e64 v0, 0, v0, s[0:1]
	v_or_b32_e32 v11, v12, v11
	v_or_b32_e32 v45, v0, v9
.LBB244_575:                            ;   in Loop: Header=BB244_424 Depth=1
	s_or_b64 exec, exec, s[16:17]
	;;#ASMSTART
	v_pk_mul_f16 v0, v39, v10;

	;;#ASMEND
	;;#ASMSTART
	v_pk_mul_f16 v1, v38, v1;

	;;#ASMEND
	;; [unrolled: 4-line block ×4, first 2 shown]
	;;#ASMSTART
	v_pk_add_f16 v0, v0, v1;

	;;#ASMEND
	;;#ASMSTART
	v_pk_add_f16 v0, v0, v9;

	;;#ASMEND
	;; [unrolled: 4-line block ×3, first 2 shown]
	v_lshrrev_b32_e32 v1, 16, v0
	v_and_b32_e32 v0, 0xffff, v0
	;;#ASMSTART
	v_cvt_f32_f16 v44, v0;
	;;#ASMEND
	;;#ASMSTART
	v_cvt_f32_f16 v45, v1;
	;;#ASMEND
	global_load_dwordx2 v[9:10], v[7:8], off offset:1536
	v_mov_b32_e32 v11, 0
	global_load_dword v0, v11, s[14:15]
	v_mov_b32_e32 v46, 0
	s_waitcnt vmcnt(1)
	v_cmp_ne_u16_sdwa s[0:1], v9, v2 src0_sel:BYTE_0 src1_sel:DWORD
	s_and_saveexec_b64 s[16:17], s[0:1]
	s_cbranch_execz .LBB244_581
; %bb.576:                              ;   in Loop: Header=BB244_424 Depth=1
	v_cmp_ne_u16_sdwa s[0:1], v9, s28 src0_sel:BYTE_0 src1_sel:DWORD
	v_mov_b32_e32 v46, 0x8000
	s_and_saveexec_b64 s[18:19], s[0:1]
	s_cbranch_execz .LBB244_580
; %bb.577:                              ;   in Loop: Header=BB244_424 Depth=1
	v_and_b32_e32 v1, 0x7f, v9
	v_cmp_ne_u32_e64 s[0:1], s29, v1
	v_mov_b32_e32 v46, 0x7c01
	s_and_saveexec_b64 s[20:21], s[0:1]
	s_cbranch_execz .LBB244_579
; %bb.578:                              ;   in Loop: Header=BB244_424 Depth=1
	v_and_b32_e32 v12, 7, v9
	v_ffbh_u32_e32 v46, v12
	v_min_u32_e32 v48, 32, v46
	v_subrev_u32_e32 v46, 28, v48
	v_lshlrev_b64 v[46:47], v46, v[9:10]
	v_lshrrev_b32_e32 v35, 3, v1
	v_sub_u32_e32 v47, 29, v48
	v_cmp_gt_u32_e64 s[0:1], 8, v1
	v_cndmask_b32_e64 v1, v35, v47, s[0:1]
	v_lshl_add_u32 v1, v1, 10, v27
	v_lshlrev_b32_e32 v35, 8, v9
	v_and_b32_e32 v46, 7, v46
	v_and_b32_e32 v1, 0xfc00, v1
	v_cndmask_b32_e64 v12, v12, v46, s[0:1]
	v_and_or_b32 v1, v35, s30, v1
	v_lshl_or_b32 v46, v12, 7, v1
.LBB244_579:                            ;   in Loop: Header=BB244_424 Depth=1
	s_or_b64 exec, exec, s[20:21]
.LBB244_580:                            ;   in Loop: Header=BB244_424 Depth=1
	s_or_b64 exec, exec, s[18:19]
.LBB244_581:                            ;   in Loop: Header=BB244_424 Depth=1
	s_or_b64 exec, exec, s[16:17]
	v_lshrrev_b16_e32 v1, 8, v9
	v_cmp_ne_u16_e64 s[0:1], 0, v1
	s_and_saveexec_b64 s[16:17], s[0:1]
	s_cbranch_execz .LBB244_587
; %bb.582:                              ;   in Loop: Header=BB244_424 Depth=1
	v_cmp_ne_u16_e64 s[0:1], s28, v1
	v_bfrev_b32_e32 v11, 1
	s_and_saveexec_b64 s[18:19], s[0:1]
	s_cbranch_execz .LBB244_586
; %bb.583:                              ;   in Loop: Header=BB244_424 Depth=1
	v_and_b32_e32 v12, 0x7f, v1
	v_cmp_ne_u32_e64 s[0:1], s29, v12
	v_mov_b32_e32 v11, 0x7c010000
	s_and_saveexec_b64 s[20:21], s[0:1]
	s_cbranch_execz .LBB244_585
; %bb.584:                              ;   in Loop: Header=BB244_424 Depth=1
	v_and_b32_e32 v11, 7, v1
	v_ffbh_u32_e32 v47, v11
	v_min_u32_e32 v49, 32, v47
	v_subrev_u32_e32 v47, 28, v49
	v_lshlrev_b64 v[47:48], v47, v[1:2]
	v_lshrrev_b32_e32 v35, 3, v12
	v_sub_u32_e32 v48, 29, v49
	v_cmp_gt_u32_e64 s[0:1], 8, v12
	v_cndmask_b32_e64 v12, v35, v48, s[0:1]
	v_lshlrev_b32_e32 v1, 8, v1
	v_lshl_add_u32 v12, v12, 10, v27
	v_and_b32_e32 v35, 7, v47
	v_and_or_b32 v1, v1, s30, v12
	v_cndmask_b32_e64 v11, v11, v35, s[0:1]
	v_lshlrev_b32_e32 v1, 16, v1
	v_lshl_or_b32 v11, v11, 23, v1
.LBB244_585:                            ;   in Loop: Header=BB244_424 Depth=1
	s_or_b64 exec, exec, s[20:21]
.LBB244_586:                            ;   in Loop: Header=BB244_424 Depth=1
	s_or_b64 exec, exec, s[18:19]
.LBB244_587:                            ;   in Loop: Header=BB244_424 Depth=1
	s_or_b64 exec, exec, s[16:17]
	v_lshrrev_b32_e32 v1, 16, v9
	v_cmp_ne_u16_sdwa s[0:1], v1, v2 src0_sel:BYTE_0 src1_sel:DWORD
	v_mov_b32_e32 v12, 0
	v_mov_b32_e32 v35, 0
	s_and_saveexec_b64 s[16:17], s[0:1]
	s_cbranch_execz .LBB244_593
; %bb.588:                              ;   in Loop: Header=BB244_424 Depth=1
	v_cmp_ne_u16_sdwa s[0:1], v1, s28 src0_sel:BYTE_0 src1_sel:DWORD
	v_mov_b32_e32 v35, 0x8000
	s_and_saveexec_b64 s[18:19], s[0:1]
	s_cbranch_execz .LBB244_592
; %bb.589:                              ;   in Loop: Header=BB244_424 Depth=1
	v_bfe_u32 v47, v9, 16, 7
	v_cmp_ne_u32_e64 s[0:1], s29, v47
	v_mov_b32_e32 v35, 0x7c01
	s_and_saveexec_b64 s[20:21], s[0:1]
	s_cbranch_execz .LBB244_591
; %bb.590:                              ;   in Loop: Header=BB244_424 Depth=1
	v_and_b32_e32 v35, 7, v1
	v_ffbh_u32_e32 v48, v35
	v_min_u32_e32 v52, 32, v48
	v_subrev_u32_e32 v48, 28, v52
	v_lshlrev_b64 v[48:49], v48, v[1:2]
	v_lshrrev_b32_e32 v50, 3, v47
	v_sub_u32_e32 v49, 29, v52
	v_cmp_gt_u32_e64 s[0:1], 8, v47
	v_cndmask_b32_e64 v47, v50, v49, s[0:1]
	v_lshl_add_u32 v47, v47, 10, v27
	v_lshlrev_b32_e32 v1, 8, v1
	v_and_b32_e32 v48, 7, v48
	v_and_b32_e32 v47, 0xfc00, v47
	v_cndmask_b32_e64 v35, v35, v48, s[0:1]
	v_and_or_b32 v1, v1, s30, v47
	v_lshl_or_b32 v35, v35, 7, v1
.LBB244_591:                            ;   in Loop: Header=BB244_424 Depth=1
	s_or_b64 exec, exec, s[20:21]
.LBB244_592:                            ;   in Loop: Header=BB244_424 Depth=1
	s_or_b64 exec, exec, s[18:19]
.LBB244_593:                            ;   in Loop: Header=BB244_424 Depth=1
	s_or_b64 exec, exec, s[16:17]
	v_cmp_lt_u32_e64 s[0:1], s5, v9
	s_and_saveexec_b64 s[16:17], s[0:1]
	s_cbranch_execz .LBB244_599
; %bb.594:                              ;   in Loop: Header=BB244_424 Depth=1
	v_lshrrev_b32_e32 v1, 24, v9
	v_cmp_ne_u32_e64 s[0:1], s28, v1
	v_bfrev_b32_e32 v12, 1
	s_and_saveexec_b64 s[18:19], s[0:1]
	s_cbranch_execz .LBB244_598
; %bb.595:                              ;   in Loop: Header=BB244_424 Depth=1
	v_and_b32_e32 v47, 0x7f, v1
	v_cmp_ne_u32_e64 s[0:1], s29, v47
	v_mov_b32_e32 v12, 0x7c010000
	s_and_saveexec_b64 s[20:21], s[0:1]
	s_cbranch_execz .LBB244_597
; %bb.596:                              ;   in Loop: Header=BB244_424 Depth=1
	v_and_b32_e32 v12, 7, v1
	v_ffbh_u32_e32 v48, v12
	v_min_u32_e32 v52, 32, v48
	v_subrev_u32_e32 v48, 28, v52
	v_lshlrev_b64 v[48:49], v48, v[1:2]
	v_lshrrev_b32_e32 v50, 3, v47
	v_sub_u32_e32 v49, 29, v52
	v_cmp_gt_u32_e64 s[0:1], 8, v47
	v_cndmask_b32_e64 v47, v50, v49, s[0:1]
	v_lshlrev_b32_e32 v1, 8, v1
	v_lshl_add_u32 v47, v47, 10, v27
	v_and_b32_e32 v48, 7, v48
	v_and_or_b32 v1, v1, s30, v47
	v_cndmask_b32_e64 v12, v12, v48, s[0:1]
	v_lshlrev_b32_e32 v1, 16, v1
	v_lshl_or_b32 v12, v12, 23, v1
.LBB244_597:                            ;   in Loop: Header=BB244_424 Depth=1
	s_or_b64 exec, exec, s[20:21]
.LBB244_598:                            ;   in Loop: Header=BB244_424 Depth=1
	s_or_b64 exec, exec, s[18:19]
.LBB244_599:                            ;   in Loop: Header=BB244_424 Depth=1
	s_or_b64 exec, exec, s[16:17]
	v_mov_b32_e32 v1, v10
	v_cmp_ne_u16_sdwa s[0:1], v10, v2 src0_sel:BYTE_0 src1_sel:DWORD
	v_mov_b32_e32 v47, 0
	v_mov_b32_e32 v48, 0
	s_and_saveexec_b64 s[16:17], s[0:1]
	s_cbranch_execz .LBB244_605
; %bb.600:                              ;   in Loop: Header=BB244_424 Depth=1
	v_cmp_ne_u16_sdwa s[0:1], v10, s28 src0_sel:BYTE_0 src1_sel:DWORD
	v_mov_b32_e32 v48, 0x8000
	s_and_saveexec_b64 s[18:19], s[0:1]
	s_cbranch_execz .LBB244_604
; %bb.601:                              ;   in Loop: Header=BB244_424 Depth=1
	v_and_b32_e32 v49, 0x7f, v10
	v_cmp_ne_u32_e64 s[0:1], s29, v49
	v_mov_b32_e32 v48, 0x7c01
	s_and_saveexec_b64 s[20:21], s[0:1]
	s_cbranch_execz .LBB244_603
; %bb.602:                              ;   in Loop: Header=BB244_424 Depth=1
	v_and_b32_e32 v48, 7, v10
	v_ffbh_u32_e32 v52, v48
	v_min_u32_e32 v54, 32, v52
	v_subrev_u32_e32 v52, 28, v54
	v_lshlrev_b64 v[52:53], v52, v[1:2]
	v_lshrrev_b32_e32 v50, 3, v49
	v_sub_u32_e32 v53, 29, v54
	v_cmp_gt_u32_e64 s[0:1], 8, v49
	v_cndmask_b32_e64 v49, v50, v53, s[0:1]
	v_lshl_add_u32 v49, v49, 10, v27
	v_lshlrev_b32_e32 v50, 8, v10
	v_and_b32_e32 v52, 7, v52
	v_and_b32_e32 v49, 0xfc00, v49
	v_cndmask_b32_e64 v48, v48, v52, s[0:1]
	v_and_or_b32 v49, v50, s30, v49
	v_lshl_or_b32 v48, v48, 7, v49
.LBB244_603:                            ;   in Loop: Header=BB244_424 Depth=1
	s_or_b64 exec, exec, s[20:21]
.LBB244_604:                            ;   in Loop: Header=BB244_424 Depth=1
	s_or_b64 exec, exec, s[18:19]
.LBB244_605:                            ;   in Loop: Header=BB244_424 Depth=1
	s_or_b64 exec, exec, s[16:17]
	v_lshrrev_b16_e32 v1, 8, v1
	v_cmp_ne_u16_e64 s[0:1], 0, v1
	v_mov_b32_e32 v49, 0
	s_and_saveexec_b64 s[16:17], s[0:1]
	s_cbranch_execz .LBB244_611
; %bb.606:                              ;   in Loop: Header=BB244_424 Depth=1
	v_cmp_ne_u16_e64 s[0:1], s28, v1
	v_bfrev_b32_e32 v49, 1
	s_and_saveexec_b64 s[18:19], s[0:1]
	s_cbranch_execz .LBB244_610
; %bb.607:                              ;   in Loop: Header=BB244_424 Depth=1
	v_and_b32_e32 v50, 0x7f, v1
	v_cmp_ne_u32_e64 s[0:1], s29, v50
	v_mov_b32_e32 v49, 0x7c010000
	s_and_saveexec_b64 s[20:21], s[0:1]
	s_cbranch_execz .LBB244_609
; %bb.608:                              ;   in Loop: Header=BB244_424 Depth=1
	v_and_b32_e32 v49, 7, v1
	v_ffbh_u32_e32 v52, v49
	v_min_u32_e32 v55, 32, v52
	v_subrev_u32_e32 v52, 28, v55
	v_lshlrev_b64 v[52:53], v52, v[1:2]
	v_lshrrev_b32_e32 v54, 3, v50
	v_sub_u32_e32 v53, 29, v55
	v_cmp_gt_u32_e64 s[0:1], 8, v50
	v_cndmask_b32_e64 v50, v54, v53, s[0:1]
	v_lshlrev_b32_e32 v1, 8, v1
	v_lshl_add_u32 v50, v50, 10, v27
	v_and_b32_e32 v52, 7, v52
	v_and_or_b32 v1, v1, s30, v50
	v_cndmask_b32_e64 v49, v49, v52, s[0:1]
	v_lshlrev_b32_e32 v1, 16, v1
	v_lshl_or_b32 v49, v49, 23, v1
.LBB244_609:                            ;   in Loop: Header=BB244_424 Depth=1
	s_or_b64 exec, exec, s[20:21]
.LBB244_610:                            ;   in Loop: Header=BB244_424 Depth=1
	s_or_b64 exec, exec, s[18:19]
.LBB244_611:                            ;   in Loop: Header=BB244_424 Depth=1
	s_or_b64 exec, exec, s[16:17]
	v_lshrrev_b32_e32 v1, 16, v10
	v_cmp_ne_u16_sdwa s[0:1], v1, v2 src0_sel:BYTE_0 src1_sel:DWORD
	s_and_saveexec_b64 s[16:17], s[0:1]
	s_cbranch_execz .LBB244_617
; %bb.612:                              ;   in Loop: Header=BB244_424 Depth=1
	v_cmp_ne_u16_sdwa s[0:1], v1, s28 src0_sel:BYTE_0 src1_sel:DWORD
	v_mov_b32_e32 v47, 0x8000
	s_and_saveexec_b64 s[18:19], s[0:1]
	s_cbranch_execz .LBB244_616
; %bb.613:                              ;   in Loop: Header=BB244_424 Depth=1
	v_bfe_u32 v50, v10, 16, 7
	v_cmp_ne_u32_e64 s[0:1], s29, v50
	v_mov_b32_e32 v47, 0x7c01
	s_and_saveexec_b64 s[20:21], s[0:1]
	s_cbranch_execz .LBB244_615
; %bb.614:                              ;   in Loop: Header=BB244_424 Depth=1
	v_and_b32_e32 v47, 7, v1
	v_ffbh_u32_e32 v52, v47
	v_min_u32_e32 v55, 32, v52
	v_subrev_u32_e32 v52, 28, v55
	v_lshlrev_b64 v[52:53], v52, v[1:2]
	v_lshrrev_b32_e32 v54, 3, v50
	v_sub_u32_e32 v53, 29, v55
	v_cmp_gt_u32_e64 s[0:1], 8, v50
	v_cndmask_b32_e64 v50, v54, v53, s[0:1]
	v_lshl_add_u32 v50, v50, 10, v27
	v_lshlrev_b32_e32 v1, 8, v1
	v_and_b32_e32 v52, 7, v52
	v_and_b32_e32 v50, 0xfc00, v50
	v_cndmask_b32_e64 v47, v47, v52, s[0:1]
	v_and_or_b32 v1, v1, s30, v50
	v_lshl_or_b32 v47, v47, 7, v1
.LBB244_615:                            ;   in Loop: Header=BB244_424 Depth=1
	s_or_b64 exec, exec, s[20:21]
.LBB244_616:                            ;   in Loop: Header=BB244_424 Depth=1
	s_or_b64 exec, exec, s[18:19]
.LBB244_617:                            ;   in Loop: Header=BB244_424 Depth=1
	s_or_b64 exec, exec, s[16:17]
	v_cmp_lt_u64_e64 s[0:1], s[4:5], v[9:10]
	v_mov_b32_e32 v9, 0
	s_and_saveexec_b64 s[16:17], s[0:1]
	s_cbranch_execz .LBB244_623
; %bb.618:                              ;   in Loop: Header=BB244_424 Depth=1
	v_lshrrev_b32_e32 v1, 24, v10
	v_cmp_ne_u32_e64 s[0:1], s28, v1
	v_bfrev_b32_e32 v9, 1
	s_and_saveexec_b64 s[18:19], s[0:1]
	s_cbranch_execz .LBB244_622
; %bb.619:                              ;   in Loop: Header=BB244_424 Depth=1
	v_and_b32_e32 v10, 0x7f, v1
	v_cmp_ne_u32_e64 s[0:1], s29, v10
	v_mov_b32_e32 v9, 0x7c010000
	s_and_saveexec_b64 s[20:21], s[0:1]
	s_cbranch_execz .LBB244_621
; %bb.620:                              ;   in Loop: Header=BB244_424 Depth=1
	v_and_b32_e32 v9, 7, v1
	v_ffbh_u32_e32 v52, v9
	v_min_u32_e32 v54, 32, v52
	v_subrev_u32_e32 v52, 28, v54
	v_lshlrev_b64 v[52:53], v52, v[1:2]
	v_lshrrev_b32_e32 v50, 3, v10
	v_sub_u32_e32 v53, 29, v54
	v_cmp_gt_u32_e64 s[0:1], 8, v10
	v_cndmask_b32_e64 v10, v50, v53, s[0:1]
	v_lshlrev_b32_e32 v1, 8, v1
	v_lshl_add_u32 v10, v10, 10, v27
	v_and_b32_e32 v50, 7, v52
	v_and_or_b32 v1, v1, s30, v10
	v_cndmask_b32_e64 v9, v9, v50, s[0:1]
	v_lshlrev_b32_e32 v1, 16, v1
	v_lshl_or_b32 v9, v9, 23, v1
.LBB244_621:                            ;   in Loop: Header=BB244_424 Depth=1
	s_or_b64 exec, exec, s[20:21]
.LBB244_622:                            ;   in Loop: Header=BB244_424 Depth=1
	s_or_b64 exec, exec, s[18:19]
.LBB244_623:                            ;   in Loop: Header=BB244_424 Depth=1
	s_or_b64 exec, exec, s[16:17]
	s_waitcnt vmcnt(0)
	v_fma_mixlo_f16 v10, v0, v12, 0 op_sel:[0,1,0] op_sel_hi:[0,1,0]
	v_or_b32_e32 v1, v12, v35
	v_lshlrev_b32_e32 v12, 16, v10
	v_or_b32_e32 v10, v11, v46
	v_fma_mixlo_f16 v11, v0, v11, 0 op_sel:[0,1,0] op_sel_hi:[0,1,0]
	v_lshlrev_b32_e32 v50, 16, v11
	v_or_b32_e32 v11, v49, v48
	v_or_b32_e32 v47, v9, v47
	v_fma_mixlo_f16 v1, v0, v1, 0 op_sel_hi:[0,1,0]
	v_fma_mixlo_f16 v10, v0, v10, 0 op_sel_hi:[0,1,0]
	v_fma_mixlo_f16 v46, v0, v49, 0 op_sel:[0,1,0] op_sel_hi:[0,1,0]
	v_fma_mixlo_f16 v11, v0, v11, 0 op_sel_hi:[0,1,0]
	v_fma_mixlo_f16 v47, v0, v47, 0 op_sel_hi:[0,1,0]
	v_fma_mixlo_f16 v0, v0, v9, 0 op_sel:[0,1,0] op_sel_hi:[0,1,0]
	v_and_b32_e32 v35, 0xffff, v1
	v_and_b32_e32 v52, 0xffff, v10
	v_lshlrev_b32_e32 v46, 16, v46
	v_and_b32_e32 v48, 0xffff, v11
	v_lshlrev_b32_e32 v0, 16, v0
	v_and_b32_e32 v9, 0xffff, v47
	v_or_b32_e32 v1, v12, v35
	v_or_b32_e32 v10, v50, v52
	;; [unrolled: 1-line block ×4, first 2 shown]
	s_and_saveexec_b64 s[16:17], vcc
	s_cbranch_execz .LBB244_625
; %bb.624:                              ;   in Loop: Header=BB244_424 Depth=1
	v_cmp_gt_i32_e64 s[0:1], s33, v28
	v_cndmask_b32_e64 v1, 0, v52, s[0:1]
	v_cmp_gt_i32_e64 s[0:1], s33, v51
	v_cndmask_b32_e64 v10, 0, v50, s[0:1]
	v_cmp_gt_i32_e64 s[0:1], s33, v34
	v_or_b32_e32 v10, v10, v1
	v_cndmask_b32_e64 v1, 0, v35, s[0:1]
	v_cmp_gt_i32_e64 s[0:1], s33, v33
	v_cndmask_b32_e64 v11, 0, v12, s[0:1]
	v_cmp_gt_i32_e64 s[0:1], s33, v32
	v_or_b32_e32 v1, v11, v1
	v_cndmask_b32_e64 v11, 0, v48, s[0:1]
	v_cmp_gt_i32_e64 s[0:1], s33, v31
	v_cndmask_b32_e64 v12, 0, v46, s[0:1]
	v_cmp_gt_i32_e64 s[0:1], s33, v30
	;; [unrolled: 2-line block ×3, first 2 shown]
	v_cndmask_b32_e64 v0, 0, v0, s[0:1]
	v_or_b32_e32 v11, v12, v11
	v_or_b32_e32 v47, v0, v9
.LBB244_625:                            ;   in Loop: Header=BB244_424 Depth=1
	s_or_b64 exec, exec, s[16:17]
	;;#ASMSTART
	v_pk_mul_f16 v0, v39, v10;

	;;#ASMEND
	;;#ASMSTART
	v_pk_mul_f16 v1, v38, v1;

	;;#ASMEND
	;; [unrolled: 4-line block ×4, first 2 shown]
	;;#ASMSTART
	v_pk_add_f16 v0, v0, v1;

	;;#ASMEND
	;;#ASMSTART
	v_pk_add_f16 v0, v0, v9;

	;;#ASMEND
	;; [unrolled: 4-line block ×3, first 2 shown]
	v_lshrrev_b32_e32 v1, 16, v0
	v_and_b32_e32 v0, 0xffff, v0
	;;#ASMSTART
	v_cvt_f32_f16 v46, v0;
	;;#ASMEND
	;;#ASMSTART
	v_cvt_f32_f16 v47, v1;
	;;#ASMEND
	global_load_dwordx2 v[9:10], v[7:8], off offset:2048
	v_mov_b32_e32 v11, 0
	global_load_dword v0, v11, s[14:15]
	v_mov_b32_e32 v48, 0
	s_waitcnt vmcnt(1)
	v_cmp_ne_u16_sdwa s[0:1], v9, v2 src0_sel:BYTE_0 src1_sel:DWORD
	s_and_saveexec_b64 s[16:17], s[0:1]
	s_cbranch_execz .LBB244_631
; %bb.626:                              ;   in Loop: Header=BB244_424 Depth=1
	v_cmp_ne_u16_sdwa s[0:1], v9, s28 src0_sel:BYTE_0 src1_sel:DWORD
	v_mov_b32_e32 v48, 0x8000
	s_and_saveexec_b64 s[18:19], s[0:1]
	s_cbranch_execz .LBB244_630
; %bb.627:                              ;   in Loop: Header=BB244_424 Depth=1
	v_and_b32_e32 v1, 0x7f, v9
	v_cmp_ne_u32_e64 s[0:1], s29, v1
	v_mov_b32_e32 v48, 0x7c01
	s_and_saveexec_b64 s[20:21], s[0:1]
	s_cbranch_execz .LBB244_629
; %bb.628:                              ;   in Loop: Header=BB244_424 Depth=1
	v_and_b32_e32 v12, 7, v9
	v_ffbh_u32_e32 v48, v12
	v_min_u32_e32 v50, 32, v48
	v_subrev_u32_e32 v48, 28, v50
	v_lshlrev_b64 v[48:49], v48, v[9:10]
	v_lshrrev_b32_e32 v35, 3, v1
	v_sub_u32_e32 v49, 29, v50
	v_cmp_gt_u32_e64 s[0:1], 8, v1
	v_cndmask_b32_e64 v1, v35, v49, s[0:1]
	v_lshl_add_u32 v1, v1, 10, v27
	v_lshlrev_b32_e32 v35, 8, v9
	v_and_b32_e32 v48, 7, v48
	v_and_b32_e32 v1, 0xfc00, v1
	v_cndmask_b32_e64 v12, v12, v48, s[0:1]
	v_and_or_b32 v1, v35, s30, v1
	v_lshl_or_b32 v48, v12, 7, v1
.LBB244_629:                            ;   in Loop: Header=BB244_424 Depth=1
	s_or_b64 exec, exec, s[20:21]
.LBB244_630:                            ;   in Loop: Header=BB244_424 Depth=1
	s_or_b64 exec, exec, s[18:19]
.LBB244_631:                            ;   in Loop: Header=BB244_424 Depth=1
	s_or_b64 exec, exec, s[16:17]
	v_lshrrev_b16_e32 v1, 8, v9
	v_cmp_ne_u16_e64 s[0:1], 0, v1
	s_and_saveexec_b64 s[16:17], s[0:1]
	s_cbranch_execz .LBB244_637
; %bb.632:                              ;   in Loop: Header=BB244_424 Depth=1
	v_cmp_ne_u16_e64 s[0:1], s28, v1
	v_bfrev_b32_e32 v11, 1
	s_and_saveexec_b64 s[18:19], s[0:1]
	s_cbranch_execz .LBB244_636
; %bb.633:                              ;   in Loop: Header=BB244_424 Depth=1
	v_and_b32_e32 v12, 0x7f, v1
	v_cmp_ne_u32_e64 s[0:1], s29, v12
	v_mov_b32_e32 v11, 0x7c010000
	s_and_saveexec_b64 s[20:21], s[0:1]
	s_cbranch_execz .LBB244_635
; %bb.634:                              ;   in Loop: Header=BB244_424 Depth=1
	v_and_b32_e32 v11, 7, v1
	v_ffbh_u32_e32 v49, v11
	v_min_u32_e32 v52, 32, v49
	v_subrev_u32_e32 v49, 28, v52
	v_lshlrev_b64 v[49:50], v49, v[1:2]
	v_lshrrev_b32_e32 v35, 3, v12
	v_sub_u32_e32 v50, 29, v52
	v_cmp_gt_u32_e64 s[0:1], 8, v12
	v_cndmask_b32_e64 v12, v35, v50, s[0:1]
	v_lshlrev_b32_e32 v1, 8, v1
	v_lshl_add_u32 v12, v12, 10, v27
	v_and_b32_e32 v35, 7, v49
	v_and_or_b32 v1, v1, s30, v12
	v_cndmask_b32_e64 v11, v11, v35, s[0:1]
	v_lshlrev_b32_e32 v1, 16, v1
	v_lshl_or_b32 v11, v11, 23, v1
.LBB244_635:                            ;   in Loop: Header=BB244_424 Depth=1
	s_or_b64 exec, exec, s[20:21]
.LBB244_636:                            ;   in Loop: Header=BB244_424 Depth=1
	s_or_b64 exec, exec, s[18:19]
.LBB244_637:                            ;   in Loop: Header=BB244_424 Depth=1
	s_or_b64 exec, exec, s[16:17]
	v_lshrrev_b32_e32 v1, 16, v9
	v_cmp_ne_u16_sdwa s[0:1], v1, v2 src0_sel:BYTE_0 src1_sel:DWORD
	v_mov_b32_e32 v12, 0
	v_mov_b32_e32 v35, 0
	s_and_saveexec_b64 s[16:17], s[0:1]
	s_cbranch_execz .LBB244_643
; %bb.638:                              ;   in Loop: Header=BB244_424 Depth=1
	v_cmp_ne_u16_sdwa s[0:1], v1, s28 src0_sel:BYTE_0 src1_sel:DWORD
	v_mov_b32_e32 v35, 0x8000
	s_and_saveexec_b64 s[18:19], s[0:1]
	s_cbranch_execz .LBB244_642
; %bb.639:                              ;   in Loop: Header=BB244_424 Depth=1
	v_bfe_u32 v49, v9, 16, 7
	v_cmp_ne_u32_e64 s[0:1], s29, v49
	v_mov_b32_e32 v35, 0x7c01
	s_and_saveexec_b64 s[20:21], s[0:1]
	s_cbranch_execz .LBB244_641
; %bb.640:                              ;   in Loop: Header=BB244_424 Depth=1
	v_and_b32_e32 v35, 7, v1
	v_ffbh_u32_e32 v52, v35
	v_min_u32_e32 v54, 32, v52
	v_subrev_u32_e32 v52, 28, v54
	v_lshlrev_b64 v[52:53], v52, v[1:2]
	v_lshrrev_b32_e32 v50, 3, v49
	v_sub_u32_e32 v53, 29, v54
	v_cmp_gt_u32_e64 s[0:1], 8, v49
	v_cndmask_b32_e64 v49, v50, v53, s[0:1]
	v_lshl_add_u32 v49, v49, 10, v27
	v_lshlrev_b32_e32 v1, 8, v1
	v_and_b32_e32 v50, 7, v52
	v_and_b32_e32 v49, 0xfc00, v49
	v_cndmask_b32_e64 v35, v35, v50, s[0:1]
	v_and_or_b32 v1, v1, s30, v49
	v_lshl_or_b32 v35, v35, 7, v1
.LBB244_641:                            ;   in Loop: Header=BB244_424 Depth=1
	s_or_b64 exec, exec, s[20:21]
.LBB244_642:                            ;   in Loop: Header=BB244_424 Depth=1
	s_or_b64 exec, exec, s[18:19]
.LBB244_643:                            ;   in Loop: Header=BB244_424 Depth=1
	s_or_b64 exec, exec, s[16:17]
	v_cmp_lt_u32_e64 s[0:1], s5, v9
	s_and_saveexec_b64 s[16:17], s[0:1]
	s_cbranch_execz .LBB244_649
; %bb.644:                              ;   in Loop: Header=BB244_424 Depth=1
	v_lshrrev_b32_e32 v1, 24, v9
	v_cmp_ne_u32_e64 s[0:1], s28, v1
	v_bfrev_b32_e32 v12, 1
	s_and_saveexec_b64 s[18:19], s[0:1]
	s_cbranch_execz .LBB244_648
; %bb.645:                              ;   in Loop: Header=BB244_424 Depth=1
	v_and_b32_e32 v49, 0x7f, v1
	v_cmp_ne_u32_e64 s[0:1], s29, v49
	v_mov_b32_e32 v12, 0x7c010000
	s_and_saveexec_b64 s[20:21], s[0:1]
	s_cbranch_execz .LBB244_647
; %bb.646:                              ;   in Loop: Header=BB244_424 Depth=1
	v_and_b32_e32 v12, 7, v1
	v_ffbh_u32_e32 v52, v12
	v_min_u32_e32 v54, 32, v52
	v_subrev_u32_e32 v52, 28, v54
	v_lshlrev_b64 v[52:53], v52, v[1:2]
	v_lshrrev_b32_e32 v50, 3, v49
	v_sub_u32_e32 v53, 29, v54
	v_cmp_gt_u32_e64 s[0:1], 8, v49
	v_cndmask_b32_e64 v49, v50, v53, s[0:1]
	v_lshlrev_b32_e32 v1, 8, v1
	v_lshl_add_u32 v49, v49, 10, v27
	v_and_b32_e32 v50, 7, v52
	v_and_or_b32 v1, v1, s30, v49
	v_cndmask_b32_e64 v12, v12, v50, s[0:1]
	v_lshlrev_b32_e32 v1, 16, v1
	v_lshl_or_b32 v12, v12, 23, v1
.LBB244_647:                            ;   in Loop: Header=BB244_424 Depth=1
	s_or_b64 exec, exec, s[20:21]
.LBB244_648:                            ;   in Loop: Header=BB244_424 Depth=1
	s_or_b64 exec, exec, s[18:19]
.LBB244_649:                            ;   in Loop: Header=BB244_424 Depth=1
	s_or_b64 exec, exec, s[16:17]
	v_mov_b32_e32 v1, v10
	v_cmp_ne_u16_sdwa s[0:1], v10, v2 src0_sel:BYTE_0 src1_sel:DWORD
	v_mov_b32_e32 v49, 0
	v_mov_b32_e32 v50, 0
	s_and_saveexec_b64 s[16:17], s[0:1]
	s_cbranch_execz .LBB244_655
; %bb.650:                              ;   in Loop: Header=BB244_424 Depth=1
	v_cmp_ne_u16_sdwa s[0:1], v10, s28 src0_sel:BYTE_0 src1_sel:DWORD
	v_mov_b32_e32 v50, 0x8000
	s_and_saveexec_b64 s[18:19], s[0:1]
	s_cbranch_execz .LBB244_654
; %bb.651:                              ;   in Loop: Header=BB244_424 Depth=1
	v_and_b32_e32 v52, 0x7f, v10
	v_cmp_ne_u32_e64 s[0:1], s29, v52
	v_mov_b32_e32 v50, 0x7c01
	s_and_saveexec_b64 s[20:21], s[0:1]
	s_cbranch_execz .LBB244_653
; %bb.652:                              ;   in Loop: Header=BB244_424 Depth=1
	v_and_b32_e32 v50, 7, v10
	v_ffbh_u32_e32 v53, v50
	v_min_u32_e32 v56, 32, v53
	v_subrev_u32_e32 v53, 28, v56
	v_lshlrev_b64 v[53:54], v53, v[1:2]
	v_lshrrev_b32_e32 v55, 3, v52
	v_sub_u32_e32 v54, 29, v56
	v_cmp_gt_u32_e64 s[0:1], 8, v52
	v_cndmask_b32_e64 v52, v55, v54, s[0:1]
	v_lshl_add_u32 v52, v52, 10, v27
	v_lshlrev_b32_e32 v54, 8, v10
	v_and_b32_e32 v53, 7, v53
	v_and_b32_e32 v52, 0xfc00, v52
	v_cndmask_b32_e64 v50, v50, v53, s[0:1]
	v_and_or_b32 v52, v54, s30, v52
	v_lshl_or_b32 v50, v50, 7, v52
.LBB244_653:                            ;   in Loop: Header=BB244_424 Depth=1
	s_or_b64 exec, exec, s[20:21]
.LBB244_654:                            ;   in Loop: Header=BB244_424 Depth=1
	s_or_b64 exec, exec, s[18:19]
.LBB244_655:                            ;   in Loop: Header=BB244_424 Depth=1
	s_or_b64 exec, exec, s[16:17]
	v_lshrrev_b16_e32 v1, 8, v1
	v_cmp_ne_u16_e64 s[0:1], 0, v1
	v_mov_b32_e32 v52, 0
	s_and_saveexec_b64 s[16:17], s[0:1]
	s_cbranch_execz .LBB244_661
; %bb.656:                              ;   in Loop: Header=BB244_424 Depth=1
	v_cmp_ne_u16_e64 s[0:1], s28, v1
	v_bfrev_b32_e32 v52, 1
	s_and_saveexec_b64 s[18:19], s[0:1]
	s_cbranch_execz .LBB244_660
; %bb.657:                              ;   in Loop: Header=BB244_424 Depth=1
	v_and_b32_e32 v53, 0x7f, v1
	v_cmp_ne_u32_e64 s[0:1], s29, v53
	v_mov_b32_e32 v52, 0x7c010000
	s_and_saveexec_b64 s[20:21], s[0:1]
	s_cbranch_execz .LBB244_659
; %bb.658:                              ;   in Loop: Header=BB244_424 Depth=1
	v_and_b32_e32 v52, 7, v1
	v_ffbh_u32_e32 v54, v52
	v_min_u32_e32 v57, 32, v54
	v_subrev_u32_e32 v54, 28, v57
	v_lshlrev_b64 v[54:55], v54, v[1:2]
	v_lshrrev_b32_e32 v56, 3, v53
	v_sub_u32_e32 v55, 29, v57
	v_cmp_gt_u32_e64 s[0:1], 8, v53
	v_cndmask_b32_e64 v53, v56, v55, s[0:1]
	v_lshlrev_b32_e32 v1, 8, v1
	v_lshl_add_u32 v53, v53, 10, v27
	v_and_b32_e32 v54, 7, v54
	v_and_or_b32 v1, v1, s30, v53
	v_cndmask_b32_e64 v52, v52, v54, s[0:1]
	v_lshlrev_b32_e32 v1, 16, v1
	v_lshl_or_b32 v52, v52, 23, v1
.LBB244_659:                            ;   in Loop: Header=BB244_424 Depth=1
	s_or_b64 exec, exec, s[20:21]
.LBB244_660:                            ;   in Loop: Header=BB244_424 Depth=1
	s_or_b64 exec, exec, s[18:19]
.LBB244_661:                            ;   in Loop: Header=BB244_424 Depth=1
	s_or_b64 exec, exec, s[16:17]
	v_lshrrev_b32_e32 v1, 16, v10
	v_cmp_ne_u16_sdwa s[0:1], v1, v2 src0_sel:BYTE_0 src1_sel:DWORD
	s_and_saveexec_b64 s[16:17], s[0:1]
	s_cbranch_execz .LBB244_667
; %bb.662:                              ;   in Loop: Header=BB244_424 Depth=1
	v_cmp_ne_u16_sdwa s[0:1], v1, s28 src0_sel:BYTE_0 src1_sel:DWORD
	v_mov_b32_e32 v49, 0x8000
	s_and_saveexec_b64 s[18:19], s[0:1]
	s_cbranch_execz .LBB244_666
; %bb.663:                              ;   in Loop: Header=BB244_424 Depth=1
	v_bfe_u32 v53, v10, 16, 7
	v_cmp_ne_u32_e64 s[0:1], s29, v53
	v_mov_b32_e32 v49, 0x7c01
	s_and_saveexec_b64 s[20:21], s[0:1]
	s_cbranch_execz .LBB244_665
; %bb.664:                              ;   in Loop: Header=BB244_424 Depth=1
	v_and_b32_e32 v49, 7, v1
	v_ffbh_u32_e32 v54, v49
	v_min_u32_e32 v57, 32, v54
	v_subrev_u32_e32 v54, 28, v57
	v_lshlrev_b64 v[54:55], v54, v[1:2]
	v_lshrrev_b32_e32 v56, 3, v53
	v_sub_u32_e32 v55, 29, v57
	v_cmp_gt_u32_e64 s[0:1], 8, v53
	v_cndmask_b32_e64 v53, v56, v55, s[0:1]
	v_lshl_add_u32 v53, v53, 10, v27
	v_lshlrev_b32_e32 v1, 8, v1
	v_and_b32_e32 v54, 7, v54
	v_and_b32_e32 v53, 0xfc00, v53
	v_cndmask_b32_e64 v49, v49, v54, s[0:1]
	v_and_or_b32 v1, v1, s30, v53
	v_lshl_or_b32 v49, v49, 7, v1
.LBB244_665:                            ;   in Loop: Header=BB244_424 Depth=1
	s_or_b64 exec, exec, s[20:21]
.LBB244_666:                            ;   in Loop: Header=BB244_424 Depth=1
	s_or_b64 exec, exec, s[18:19]
.LBB244_667:                            ;   in Loop: Header=BB244_424 Depth=1
	s_or_b64 exec, exec, s[16:17]
	v_cmp_lt_u64_e64 s[0:1], s[4:5], v[9:10]
	v_mov_b32_e32 v9, 0
	s_and_saveexec_b64 s[16:17], s[0:1]
	s_cbranch_execz .LBB244_673
; %bb.668:                              ;   in Loop: Header=BB244_424 Depth=1
	v_lshrrev_b32_e32 v1, 24, v10
	v_cmp_ne_u32_e64 s[0:1], s28, v1
	v_bfrev_b32_e32 v9, 1
	s_and_saveexec_b64 s[18:19], s[0:1]
	s_cbranch_execz .LBB244_672
; %bb.669:                              ;   in Loop: Header=BB244_424 Depth=1
	v_and_b32_e32 v10, 0x7f, v1
	v_cmp_ne_u32_e64 s[0:1], s29, v10
	v_mov_b32_e32 v9, 0x7c010000
	s_and_saveexec_b64 s[20:21], s[0:1]
	s_cbranch_execz .LBB244_671
; %bb.670:                              ;   in Loop: Header=BB244_424 Depth=1
	v_and_b32_e32 v9, 7, v1
	v_ffbh_u32_e32 v53, v9
	v_min_u32_e32 v56, 32, v53
	v_subrev_u32_e32 v53, 28, v56
	v_lshlrev_b64 v[53:54], v53, v[1:2]
	v_lshrrev_b32_e32 v55, 3, v10
	v_sub_u32_e32 v54, 29, v56
	v_cmp_gt_u32_e64 s[0:1], 8, v10
	v_cndmask_b32_e64 v10, v55, v54, s[0:1]
	v_lshlrev_b32_e32 v1, 8, v1
	v_lshl_add_u32 v10, v10, 10, v27
	v_and_b32_e32 v53, 7, v53
	v_and_or_b32 v1, v1, s30, v10
	v_cndmask_b32_e64 v9, v9, v53, s[0:1]
	v_lshlrev_b32_e32 v1, 16, v1
	v_lshl_or_b32 v9, v9, 23, v1
.LBB244_671:                            ;   in Loop: Header=BB244_424 Depth=1
	s_or_b64 exec, exec, s[20:21]
.LBB244_672:                            ;   in Loop: Header=BB244_424 Depth=1
	s_or_b64 exec, exec, s[18:19]
.LBB244_673:                            ;   in Loop: Header=BB244_424 Depth=1
	s_or_b64 exec, exec, s[16:17]
	s_waitcnt vmcnt(0)
	v_fma_mixlo_f16 v10, v0, v12, 0 op_sel:[0,1,0] op_sel_hi:[0,1,0]
	v_or_b32_e32 v1, v12, v35
	v_lshlrev_b32_e32 v12, 16, v10
	v_or_b32_e32 v10, v11, v48
	v_fma_mixlo_f16 v11, v0, v11, 0 op_sel:[0,1,0] op_sel_hi:[0,1,0]
	v_lshlrev_b32_e32 v53, 16, v11
	v_or_b32_e32 v11, v52, v50
	v_or_b32_e32 v49, v9, v49
	v_fma_mixlo_f16 v1, v0, v1, 0 op_sel_hi:[0,1,0]
	v_fma_mixlo_f16 v10, v0, v10, 0 op_sel_hi:[0,1,0]
	v_fma_mixlo_f16 v48, v0, v52, 0 op_sel:[0,1,0] op_sel_hi:[0,1,0]
	v_fma_mixlo_f16 v11, v0, v11, 0 op_sel_hi:[0,1,0]
	v_fma_mixlo_f16 v49, v0, v49, 0 op_sel_hi:[0,1,0]
	v_fma_mixlo_f16 v0, v0, v9, 0 op_sel:[0,1,0] op_sel_hi:[0,1,0]
	v_and_b32_e32 v35, 0xffff, v1
	v_and_b32_e32 v54, 0xffff, v10
	v_lshlrev_b32_e32 v48, 16, v48
	v_and_b32_e32 v50, 0xffff, v11
	v_lshlrev_b32_e32 v0, 16, v0
	v_and_b32_e32 v9, 0xffff, v49
	v_or_b32_e32 v1, v12, v35
	v_or_b32_e32 v10, v53, v54
	;; [unrolled: 1-line block ×4, first 2 shown]
	s_and_saveexec_b64 s[16:17], vcc
	s_cbranch_execz .LBB244_675
; %bb.674:                              ;   in Loop: Header=BB244_424 Depth=1
	v_cmp_gt_i32_e64 s[0:1], s33, v28
	v_cndmask_b32_e64 v1, 0, v54, s[0:1]
	v_cmp_gt_i32_e64 s[0:1], s33, v51
	v_cndmask_b32_e64 v10, 0, v53, s[0:1]
	v_cmp_gt_i32_e64 s[0:1], s33, v34
	v_or_b32_e32 v10, v10, v1
	v_cndmask_b32_e64 v1, 0, v35, s[0:1]
	v_cmp_gt_i32_e64 s[0:1], s33, v33
	v_cndmask_b32_e64 v11, 0, v12, s[0:1]
	v_cmp_gt_i32_e64 s[0:1], s33, v32
	v_or_b32_e32 v1, v11, v1
	v_cndmask_b32_e64 v11, 0, v50, s[0:1]
	v_cmp_gt_i32_e64 s[0:1], s33, v31
	v_cndmask_b32_e64 v12, 0, v48, s[0:1]
	v_cmp_gt_i32_e64 s[0:1], s33, v30
	;; [unrolled: 2-line block ×3, first 2 shown]
	v_cndmask_b32_e64 v0, 0, v0, s[0:1]
	v_or_b32_e32 v11, v12, v11
	v_or_b32_e32 v49, v0, v9
.LBB244_675:                            ;   in Loop: Header=BB244_424 Depth=1
	s_or_b64 exec, exec, s[16:17]
	;;#ASMSTART
	v_pk_mul_f16 v0, v39, v10;

	;;#ASMEND
	;;#ASMSTART
	v_pk_mul_f16 v1, v38, v1;

	;;#ASMEND
	;; [unrolled: 4-line block ×4, first 2 shown]
	;;#ASMSTART
	v_pk_add_f16 v0, v0, v1;

	;;#ASMEND
	;;#ASMSTART
	v_pk_add_f16 v0, v0, v9;

	;;#ASMEND
	;; [unrolled: 4-line block ×3, first 2 shown]
	v_lshrrev_b32_e32 v1, 16, v0
	v_and_b32_e32 v0, 0xffff, v0
	;;#ASMSTART
	v_cvt_f32_f16 v48, v0;
	;;#ASMEND
	;;#ASMSTART
	v_cvt_f32_f16 v49, v1;
	;;#ASMEND
	global_load_dwordx2 v[9:10], v[7:8], off offset:2560
	v_mov_b32_e32 v11, 0
	global_load_dword v0, v11, s[14:15]
	v_mov_b32_e32 v50, 0
	s_waitcnt vmcnt(1)
	v_cmp_ne_u16_sdwa s[0:1], v9, v2 src0_sel:BYTE_0 src1_sel:DWORD
	s_and_saveexec_b64 s[16:17], s[0:1]
	s_cbranch_execz .LBB244_681
; %bb.676:                              ;   in Loop: Header=BB244_424 Depth=1
	v_cmp_ne_u16_sdwa s[0:1], v9, s28 src0_sel:BYTE_0 src1_sel:DWORD
	v_mov_b32_e32 v50, 0x8000
	s_and_saveexec_b64 s[18:19], s[0:1]
	s_cbranch_execz .LBB244_680
; %bb.677:                              ;   in Loop: Header=BB244_424 Depth=1
	v_and_b32_e32 v1, 0x7f, v9
	v_cmp_ne_u32_e64 s[0:1], s29, v1
	v_mov_b32_e32 v50, 0x7c01
	s_and_saveexec_b64 s[20:21], s[0:1]
	s_cbranch_execz .LBB244_679
; %bb.678:                              ;   in Loop: Header=BB244_424 Depth=1
	v_and_b32_e32 v12, 7, v9
	v_ffbh_u32_e32 v50, v12
	v_min_u32_e32 v50, 32, v50
	v_lshrrev_b32_e32 v35, 3, v1
	v_subrev_u32_e32 v52, 28, v50
	v_sub_u32_e32 v50, 29, v50
	v_cmp_gt_u32_e64 s[0:1], 8, v1
	v_lshlrev_b64 v[52:53], v52, v[9:10]
	v_cndmask_b32_e64 v1, v35, v50, s[0:1]
	v_lshl_add_u32 v1, v1, 10, v27
	v_lshlrev_b32_e32 v35, 8, v9
	v_and_b32_e32 v50, 7, v52
	v_and_b32_e32 v1, 0xfc00, v1
	v_cndmask_b32_e64 v12, v12, v50, s[0:1]
	v_and_or_b32 v1, v35, s30, v1
	v_lshl_or_b32 v50, v12, 7, v1
.LBB244_679:                            ;   in Loop: Header=BB244_424 Depth=1
	s_or_b64 exec, exec, s[20:21]
.LBB244_680:                            ;   in Loop: Header=BB244_424 Depth=1
	s_or_b64 exec, exec, s[18:19]
.LBB244_681:                            ;   in Loop: Header=BB244_424 Depth=1
	s_or_b64 exec, exec, s[16:17]
	v_lshrrev_b16_e32 v1, 8, v9
	v_cmp_ne_u16_e64 s[0:1], 0, v1
	s_and_saveexec_b64 s[16:17], s[0:1]
	s_cbranch_execz .LBB244_687
; %bb.682:                              ;   in Loop: Header=BB244_424 Depth=1
	v_cmp_ne_u16_e64 s[0:1], s28, v1
	v_bfrev_b32_e32 v11, 1
	s_and_saveexec_b64 s[18:19], s[0:1]
	s_cbranch_execz .LBB244_686
; %bb.683:                              ;   in Loop: Header=BB244_424 Depth=1
	v_and_b32_e32 v12, 0x7f, v1
	v_cmp_ne_u32_e64 s[0:1], s29, v12
	v_mov_b32_e32 v11, 0x7c010000
	s_and_saveexec_b64 s[20:21], s[0:1]
	s_cbranch_execz .LBB244_685
; %bb.684:                              ;   in Loop: Header=BB244_424 Depth=1
	v_and_b32_e32 v11, 7, v1
	v_ffbh_u32_e32 v52, v11
	v_min_u32_e32 v54, 32, v52
	v_subrev_u32_e32 v52, 28, v54
	v_lshlrev_b64 v[52:53], v52, v[1:2]
	v_lshrrev_b32_e32 v35, 3, v12
	v_sub_u32_e32 v53, 29, v54
	v_cmp_gt_u32_e64 s[0:1], 8, v12
	v_cndmask_b32_e64 v12, v35, v53, s[0:1]
	v_lshlrev_b32_e32 v1, 8, v1
	v_lshl_add_u32 v12, v12, 10, v27
	v_and_b32_e32 v35, 7, v52
	v_and_or_b32 v1, v1, s30, v12
	v_cndmask_b32_e64 v11, v11, v35, s[0:1]
	v_lshlrev_b32_e32 v1, 16, v1
	v_lshl_or_b32 v11, v11, 23, v1
.LBB244_685:                            ;   in Loop: Header=BB244_424 Depth=1
	s_or_b64 exec, exec, s[20:21]
.LBB244_686:                            ;   in Loop: Header=BB244_424 Depth=1
	s_or_b64 exec, exec, s[18:19]
.LBB244_687:                            ;   in Loop: Header=BB244_424 Depth=1
	s_or_b64 exec, exec, s[16:17]
	v_lshrrev_b32_e32 v1, 16, v9
	v_cmp_ne_u16_sdwa s[0:1], v1, v2 src0_sel:BYTE_0 src1_sel:DWORD
	v_mov_b32_e32 v12, 0
	v_mov_b32_e32 v35, 0
	s_and_saveexec_b64 s[16:17], s[0:1]
	s_cbranch_execz .LBB244_693
; %bb.688:                              ;   in Loop: Header=BB244_424 Depth=1
	v_cmp_ne_u16_sdwa s[0:1], v1, s28 src0_sel:BYTE_0 src1_sel:DWORD
	v_mov_b32_e32 v35, 0x8000
	s_and_saveexec_b64 s[18:19], s[0:1]
	s_cbranch_execz .LBB244_692
; %bb.689:                              ;   in Loop: Header=BB244_424 Depth=1
	v_bfe_u32 v52, v9, 16, 7
	v_cmp_ne_u32_e64 s[0:1], s29, v52
	v_mov_b32_e32 v35, 0x7c01
	s_and_saveexec_b64 s[20:21], s[0:1]
	s_cbranch_execz .LBB244_691
; %bb.690:                              ;   in Loop: Header=BB244_424 Depth=1
	v_and_b32_e32 v35, 7, v1
	v_ffbh_u32_e32 v53, v35
	v_min_u32_e32 v56, 32, v53
	v_subrev_u32_e32 v53, 28, v56
	v_lshlrev_b64 v[53:54], v53, v[1:2]
	v_lshrrev_b32_e32 v55, 3, v52
	v_sub_u32_e32 v54, 29, v56
	v_cmp_gt_u32_e64 s[0:1], 8, v52
	v_cndmask_b32_e64 v52, v55, v54, s[0:1]
	v_lshl_add_u32 v52, v52, 10, v27
	v_lshlrev_b32_e32 v1, 8, v1
	v_and_b32_e32 v53, 7, v53
	v_and_b32_e32 v52, 0xfc00, v52
	v_cndmask_b32_e64 v35, v35, v53, s[0:1]
	v_and_or_b32 v1, v1, s30, v52
	v_lshl_or_b32 v35, v35, 7, v1
.LBB244_691:                            ;   in Loop: Header=BB244_424 Depth=1
	s_or_b64 exec, exec, s[20:21]
.LBB244_692:                            ;   in Loop: Header=BB244_424 Depth=1
	s_or_b64 exec, exec, s[18:19]
.LBB244_693:                            ;   in Loop: Header=BB244_424 Depth=1
	s_or_b64 exec, exec, s[16:17]
	v_cmp_lt_u32_e64 s[0:1], s5, v9
	s_and_saveexec_b64 s[16:17], s[0:1]
	s_cbranch_execz .LBB244_699
; %bb.694:                              ;   in Loop: Header=BB244_424 Depth=1
	v_lshrrev_b32_e32 v1, 24, v9
	v_cmp_ne_u32_e64 s[0:1], s28, v1
	v_bfrev_b32_e32 v12, 1
	s_and_saveexec_b64 s[18:19], s[0:1]
	s_cbranch_execz .LBB244_698
; %bb.695:                              ;   in Loop: Header=BB244_424 Depth=1
	v_and_b32_e32 v52, 0x7f, v1
	v_cmp_ne_u32_e64 s[0:1], s29, v52
	v_mov_b32_e32 v12, 0x7c010000
	s_and_saveexec_b64 s[20:21], s[0:1]
	s_cbranch_execz .LBB244_697
; %bb.696:                              ;   in Loop: Header=BB244_424 Depth=1
	v_and_b32_e32 v12, 7, v1
	v_ffbh_u32_e32 v53, v12
	v_min_u32_e32 v56, 32, v53
	v_subrev_u32_e32 v53, 28, v56
	v_lshlrev_b64 v[53:54], v53, v[1:2]
	v_lshrrev_b32_e32 v55, 3, v52
	v_sub_u32_e32 v54, 29, v56
	v_cmp_gt_u32_e64 s[0:1], 8, v52
	v_cndmask_b32_e64 v52, v55, v54, s[0:1]
	v_lshlrev_b32_e32 v1, 8, v1
	v_lshl_add_u32 v52, v52, 10, v27
	v_and_b32_e32 v53, 7, v53
	v_and_or_b32 v1, v1, s30, v52
	v_cndmask_b32_e64 v12, v12, v53, s[0:1]
	v_lshlrev_b32_e32 v1, 16, v1
	v_lshl_or_b32 v12, v12, 23, v1
.LBB244_697:                            ;   in Loop: Header=BB244_424 Depth=1
	s_or_b64 exec, exec, s[20:21]
.LBB244_698:                            ;   in Loop: Header=BB244_424 Depth=1
	s_or_b64 exec, exec, s[18:19]
.LBB244_699:                            ;   in Loop: Header=BB244_424 Depth=1
	s_or_b64 exec, exec, s[16:17]
	v_mov_b32_e32 v1, v10
	v_cmp_ne_u16_sdwa s[0:1], v10, v2 src0_sel:BYTE_0 src1_sel:DWORD
	v_mov_b32_e32 v52, 0
	v_mov_b32_e32 v53, 0
	s_and_saveexec_b64 s[16:17], s[0:1]
	s_cbranch_execz .LBB244_705
; %bb.700:                              ;   in Loop: Header=BB244_424 Depth=1
	v_cmp_ne_u16_sdwa s[0:1], v10, s28 src0_sel:BYTE_0 src1_sel:DWORD
	v_mov_b32_e32 v53, 0x8000
	s_and_saveexec_b64 s[18:19], s[0:1]
	s_cbranch_execz .LBB244_704
; %bb.701:                              ;   in Loop: Header=BB244_424 Depth=1
	v_and_b32_e32 v54, 0x7f, v10
	v_cmp_ne_u32_e64 s[0:1], s29, v54
	v_mov_b32_e32 v53, 0x7c01
	s_and_saveexec_b64 s[20:21], s[0:1]
	s_cbranch_execz .LBB244_703
; %bb.702:                              ;   in Loop: Header=BB244_424 Depth=1
	v_and_b32_e32 v53, 7, v10
	v_ffbh_u32_e32 v55, v53
	v_min_u32_e32 v58, 32, v55
	v_subrev_u32_e32 v55, 28, v58
	v_lshlrev_b64 v[55:56], v55, v[1:2]
	v_lshrrev_b32_e32 v57, 3, v54
	v_sub_u32_e32 v56, 29, v58
	v_cmp_gt_u32_e64 s[0:1], 8, v54
	v_cndmask_b32_e64 v54, v57, v56, s[0:1]
	v_lshl_add_u32 v54, v54, 10, v27
	v_lshlrev_b32_e32 v56, 8, v10
	v_and_b32_e32 v55, 7, v55
	v_and_b32_e32 v54, 0xfc00, v54
	v_cndmask_b32_e64 v53, v53, v55, s[0:1]
	v_and_or_b32 v54, v56, s30, v54
	v_lshl_or_b32 v53, v53, 7, v54
.LBB244_703:                            ;   in Loop: Header=BB244_424 Depth=1
	s_or_b64 exec, exec, s[20:21]
.LBB244_704:                            ;   in Loop: Header=BB244_424 Depth=1
	s_or_b64 exec, exec, s[18:19]
.LBB244_705:                            ;   in Loop: Header=BB244_424 Depth=1
	s_or_b64 exec, exec, s[16:17]
	v_lshrrev_b16_e32 v1, 8, v1
	v_cmp_ne_u16_e64 s[0:1], 0, v1
	v_mov_b32_e32 v54, 0
	s_and_saveexec_b64 s[16:17], s[0:1]
	s_cbranch_execz .LBB244_711
; %bb.706:                              ;   in Loop: Header=BB244_424 Depth=1
	v_cmp_ne_u16_e64 s[0:1], s28, v1
	v_bfrev_b32_e32 v54, 1
	s_and_saveexec_b64 s[18:19], s[0:1]
	s_cbranch_execz .LBB244_710
; %bb.707:                              ;   in Loop: Header=BB244_424 Depth=1
	v_and_b32_e32 v55, 0x7f, v1
	v_cmp_ne_u32_e64 s[0:1], s29, v55
	v_mov_b32_e32 v54, 0x7c010000
	s_and_saveexec_b64 s[20:21], s[0:1]
	s_cbranch_execz .LBB244_709
; %bb.708:                              ;   in Loop: Header=BB244_424 Depth=1
	v_and_b32_e32 v54, 7, v1
	v_ffbh_u32_e32 v56, v54
	v_min_u32_e32 v59, 32, v56
	v_subrev_u32_e32 v56, 28, v59
	v_lshlrev_b64 v[56:57], v56, v[1:2]
	v_lshrrev_b32_e32 v58, 3, v55
	v_sub_u32_e32 v57, 29, v59
	v_cmp_gt_u32_e64 s[0:1], 8, v55
	v_cndmask_b32_e64 v55, v58, v57, s[0:1]
	v_lshlrev_b32_e32 v1, 8, v1
	v_lshl_add_u32 v55, v55, 10, v27
	v_and_b32_e32 v56, 7, v56
	v_and_or_b32 v1, v1, s30, v55
	v_cndmask_b32_e64 v54, v54, v56, s[0:1]
	v_lshlrev_b32_e32 v1, 16, v1
	v_lshl_or_b32 v54, v54, 23, v1
.LBB244_709:                            ;   in Loop: Header=BB244_424 Depth=1
	s_or_b64 exec, exec, s[20:21]
.LBB244_710:                            ;   in Loop: Header=BB244_424 Depth=1
	s_or_b64 exec, exec, s[18:19]
.LBB244_711:                            ;   in Loop: Header=BB244_424 Depth=1
	s_or_b64 exec, exec, s[16:17]
	v_lshrrev_b32_e32 v1, 16, v10
	v_cmp_ne_u16_sdwa s[0:1], v1, v2 src0_sel:BYTE_0 src1_sel:DWORD
	s_and_saveexec_b64 s[16:17], s[0:1]
	s_cbranch_execz .LBB244_717
; %bb.712:                              ;   in Loop: Header=BB244_424 Depth=1
	v_cmp_ne_u16_sdwa s[0:1], v1, s28 src0_sel:BYTE_0 src1_sel:DWORD
	v_mov_b32_e32 v52, 0x8000
	s_and_saveexec_b64 s[18:19], s[0:1]
	s_cbranch_execz .LBB244_716
; %bb.713:                              ;   in Loop: Header=BB244_424 Depth=1
	v_bfe_u32 v55, v10, 16, 7
	v_cmp_ne_u32_e64 s[0:1], s29, v55
	v_mov_b32_e32 v52, 0x7c01
	s_and_saveexec_b64 s[20:21], s[0:1]
	s_cbranch_execz .LBB244_715
; %bb.714:                              ;   in Loop: Header=BB244_424 Depth=1
	v_and_b32_e32 v52, 7, v1
	v_ffbh_u32_e32 v56, v52
	v_min_u32_e32 v59, 32, v56
	v_subrev_u32_e32 v56, 28, v59
	v_lshlrev_b64 v[56:57], v56, v[1:2]
	v_lshrrev_b32_e32 v58, 3, v55
	v_sub_u32_e32 v57, 29, v59
	v_cmp_gt_u32_e64 s[0:1], 8, v55
	v_cndmask_b32_e64 v55, v58, v57, s[0:1]
	v_lshl_add_u32 v55, v55, 10, v27
	v_lshlrev_b32_e32 v1, 8, v1
	v_and_b32_e32 v56, 7, v56
	v_and_b32_e32 v55, 0xfc00, v55
	v_cndmask_b32_e64 v52, v52, v56, s[0:1]
	v_and_or_b32 v1, v1, s30, v55
	v_lshl_or_b32 v52, v52, 7, v1
.LBB244_715:                            ;   in Loop: Header=BB244_424 Depth=1
	s_or_b64 exec, exec, s[20:21]
.LBB244_716:                            ;   in Loop: Header=BB244_424 Depth=1
	s_or_b64 exec, exec, s[18:19]
.LBB244_717:                            ;   in Loop: Header=BB244_424 Depth=1
	s_or_b64 exec, exec, s[16:17]
	v_cmp_lt_u64_e64 s[0:1], s[4:5], v[9:10]
	v_mov_b32_e32 v9, 0
	s_and_saveexec_b64 s[16:17], s[0:1]
	s_cbranch_execz .LBB244_723
; %bb.718:                              ;   in Loop: Header=BB244_424 Depth=1
	v_lshrrev_b32_e32 v1, 24, v10
	v_cmp_ne_u32_e64 s[0:1], s28, v1
	v_bfrev_b32_e32 v9, 1
	s_and_saveexec_b64 s[18:19], s[0:1]
	s_cbranch_execz .LBB244_722
; %bb.719:                              ;   in Loop: Header=BB244_424 Depth=1
	v_and_b32_e32 v10, 0x7f, v1
	v_cmp_ne_u32_e64 s[0:1], s29, v10
	v_mov_b32_e32 v9, 0x7c010000
	s_and_saveexec_b64 s[20:21], s[0:1]
	s_cbranch_execz .LBB244_721
; %bb.720:                              ;   in Loop: Header=BB244_424 Depth=1
	v_and_b32_e32 v9, 7, v1
	v_ffbh_u32_e32 v55, v9
	v_min_u32_e32 v58, 32, v55
	v_subrev_u32_e32 v55, 28, v58
	v_lshlrev_b64 v[55:56], v55, v[1:2]
	v_lshrrev_b32_e32 v57, 3, v10
	v_sub_u32_e32 v56, 29, v58
	v_cmp_gt_u32_e64 s[0:1], 8, v10
	v_cndmask_b32_e64 v10, v57, v56, s[0:1]
	v_lshlrev_b32_e32 v1, 8, v1
	v_lshl_add_u32 v10, v10, 10, v27
	v_and_b32_e32 v55, 7, v55
	v_and_or_b32 v1, v1, s30, v10
	v_cndmask_b32_e64 v9, v9, v55, s[0:1]
	v_lshlrev_b32_e32 v1, 16, v1
	v_lshl_or_b32 v9, v9, 23, v1
.LBB244_721:                            ;   in Loop: Header=BB244_424 Depth=1
	s_or_b64 exec, exec, s[20:21]
.LBB244_722:                            ;   in Loop: Header=BB244_424 Depth=1
	s_or_b64 exec, exec, s[18:19]
.LBB244_723:                            ;   in Loop: Header=BB244_424 Depth=1
	s_or_b64 exec, exec, s[16:17]
	s_waitcnt vmcnt(0)
	v_fma_mixlo_f16 v10, v0, v12, 0 op_sel:[0,1,0] op_sel_hi:[0,1,0]
	v_or_b32_e32 v1, v12, v35
	v_lshlrev_b32_e32 v12, 16, v10
	v_or_b32_e32 v10, v11, v50
	v_fma_mixlo_f16 v11, v0, v11, 0 op_sel:[0,1,0] op_sel_hi:[0,1,0]
	v_lshlrev_b32_e32 v55, 16, v11
	v_or_b32_e32 v11, v54, v53
	v_or_b32_e32 v52, v9, v52
	v_fma_mixlo_f16 v1, v0, v1, 0 op_sel_hi:[0,1,0]
	v_fma_mixlo_f16 v10, v0, v10, 0 op_sel_hi:[0,1,0]
	v_fma_mixlo_f16 v50, v0, v54, 0 op_sel:[0,1,0] op_sel_hi:[0,1,0]
	v_fma_mixlo_f16 v11, v0, v11, 0 op_sel_hi:[0,1,0]
	v_fma_mixlo_f16 v52, v0, v52, 0 op_sel_hi:[0,1,0]
	v_fma_mixlo_f16 v0, v0, v9, 0 op_sel:[0,1,0] op_sel_hi:[0,1,0]
	v_and_b32_e32 v35, 0xffff, v1
	v_and_b32_e32 v56, 0xffff, v10
	v_lshlrev_b32_e32 v50, 16, v50
	v_and_b32_e32 v53, 0xffff, v11
	v_lshlrev_b32_e32 v0, 16, v0
	v_and_b32_e32 v9, 0xffff, v52
	v_or_b32_e32 v1, v12, v35
	v_or_b32_e32 v10, v55, v56
	v_or_b32_e32 v11, v50, v53
	v_or_b32_e32 v52, v0, v9
	s_and_saveexec_b64 s[16:17], vcc
	s_cbranch_execz .LBB244_725
; %bb.724:                              ;   in Loop: Header=BB244_424 Depth=1
	v_cmp_gt_i32_e64 s[0:1], s33, v28
	v_cndmask_b32_e64 v1, 0, v56, s[0:1]
	v_cmp_gt_i32_e64 s[0:1], s33, v51
	v_cndmask_b32_e64 v10, 0, v55, s[0:1]
	v_cmp_gt_i32_e64 s[0:1], s33, v34
	v_or_b32_e32 v10, v10, v1
	v_cndmask_b32_e64 v1, 0, v35, s[0:1]
	v_cmp_gt_i32_e64 s[0:1], s33, v33
	v_cndmask_b32_e64 v11, 0, v12, s[0:1]
	v_cmp_gt_i32_e64 s[0:1], s33, v32
	v_or_b32_e32 v1, v11, v1
	v_cndmask_b32_e64 v11, 0, v53, s[0:1]
	v_cmp_gt_i32_e64 s[0:1], s33, v31
	v_cndmask_b32_e64 v12, 0, v50, s[0:1]
	v_cmp_gt_i32_e64 s[0:1], s33, v30
	;; [unrolled: 2-line block ×3, first 2 shown]
	v_cndmask_b32_e64 v0, 0, v0, s[0:1]
	v_or_b32_e32 v11, v12, v11
	v_or_b32_e32 v52, v0, v9
.LBB244_725:                            ;   in Loop: Header=BB244_424 Depth=1
	s_or_b64 exec, exec, s[16:17]
	;;#ASMSTART
	v_pk_mul_f16 v0, v39, v10;

	;;#ASMEND
	;;#ASMSTART
	v_pk_mul_f16 v1, v38, v1;

	;;#ASMEND
	;; [unrolled: 4-line block ×4, first 2 shown]
	;;#ASMSTART
	v_pk_add_f16 v0, v0, v1;

	;;#ASMEND
	;;#ASMSTART
	v_pk_add_f16 v0, v0, v9;

	;;#ASMEND
	;; [unrolled: 4-line block ×3, first 2 shown]
	v_lshrrev_b32_e32 v1, 16, v0
	v_and_b32_e32 v0, 0xffff, v0
	;;#ASMSTART
	v_cvt_f32_f16 v0, v0;
	;;#ASMEND
	;;#ASMSTART
	v_cvt_f32_f16 v50, v1;
	;;#ASMEND
	global_load_dwordx2 v[9:10], v[7:8], off offset:3072
	v_mov_b32_e32 v52, 0
	global_load_dword v11, v52, s[14:15]
	v_mov_b32_e32 v53, 0
	s_waitcnt vmcnt(1)
	v_cmp_ne_u16_sdwa s[0:1], v9, v2 src0_sel:BYTE_0 src1_sel:DWORD
	s_and_saveexec_b64 s[16:17], s[0:1]
	s_cbranch_execz .LBB244_731
; %bb.726:                              ;   in Loop: Header=BB244_424 Depth=1
	v_cmp_ne_u16_sdwa s[0:1], v9, s28 src0_sel:BYTE_0 src1_sel:DWORD
	v_mov_b32_e32 v53, 0x8000
	s_and_saveexec_b64 s[18:19], s[0:1]
	s_cbranch_execz .LBB244_730
; %bb.727:                              ;   in Loop: Header=BB244_424 Depth=1
	v_and_b32_e32 v1, 0x7f, v9
	v_cmp_ne_u32_e64 s[0:1], s29, v1
	v_mov_b32_e32 v53, 0x7c01
	s_and_saveexec_b64 s[20:21], s[0:1]
	s_cbranch_execz .LBB244_729
; %bb.728:                              ;   in Loop: Header=BB244_424 Depth=1
	v_and_b32_e32 v12, 7, v9
	v_ffbh_u32_e32 v53, v12
	v_min_u32_e32 v55, 32, v53
	v_subrev_u32_e32 v53, 28, v55
	v_lshlrev_b64 v[53:54], v53, v[9:10]
	v_lshrrev_b32_e32 v35, 3, v1
	v_sub_u32_e32 v54, 29, v55
	v_cmp_gt_u32_e64 s[0:1], 8, v1
	v_cndmask_b32_e64 v1, v35, v54, s[0:1]
	v_lshl_add_u32 v1, v1, 10, v27
	v_lshlrev_b32_e32 v35, 8, v9
	v_and_b32_e32 v53, 7, v53
	v_and_b32_e32 v1, 0xfc00, v1
	v_cndmask_b32_e64 v12, v12, v53, s[0:1]
	v_and_or_b32 v1, v35, s30, v1
	v_lshl_or_b32 v53, v12, 7, v1
.LBB244_729:                            ;   in Loop: Header=BB244_424 Depth=1
	s_or_b64 exec, exec, s[20:21]
.LBB244_730:                            ;   in Loop: Header=BB244_424 Depth=1
	s_or_b64 exec, exec, s[18:19]
.LBB244_731:                            ;   in Loop: Header=BB244_424 Depth=1
	s_or_b64 exec, exec, s[16:17]
	v_lshrrev_b16_e32 v1, 8, v9
	v_cmp_ne_u16_e64 s[0:1], 0, v1
	s_and_saveexec_b64 s[16:17], s[0:1]
	s_cbranch_execz .LBB244_737
; %bb.732:                              ;   in Loop: Header=BB244_424 Depth=1
	v_cmp_ne_u16_e64 s[0:1], s28, v1
	v_bfrev_b32_e32 v52, 1
	s_and_saveexec_b64 s[18:19], s[0:1]
	s_cbranch_execz .LBB244_736
; %bb.733:                              ;   in Loop: Header=BB244_424 Depth=1
	v_and_b32_e32 v12, 0x7f, v1
	v_cmp_ne_u32_e64 s[0:1], s29, v12
	v_mov_b32_e32 v52, 0x7c010000
	s_and_saveexec_b64 s[20:21], s[0:1]
	s_cbranch_execz .LBB244_735
; %bb.734:                              ;   in Loop: Header=BB244_424 Depth=1
	v_and_b32_e32 v35, 7, v1
	v_ffbh_u32_e32 v54, v35
	v_min_u32_e32 v56, 32, v54
	v_subrev_u32_e32 v54, 28, v56
	v_lshlrev_b64 v[54:55], v54, v[1:2]
	v_lshrrev_b32_e32 v52, 3, v12
	v_sub_u32_e32 v55, 29, v56
	v_cmp_gt_u32_e64 s[0:1], 8, v12
	v_cndmask_b32_e64 v12, v52, v55, s[0:1]
	v_lshlrev_b32_e32 v1, 8, v1
	v_lshl_add_u32 v12, v12, 10, v27
	v_and_b32_e32 v52, 7, v54
	v_and_or_b32 v1, v1, s30, v12
	v_cndmask_b32_e64 v35, v35, v52, s[0:1]
	v_lshlrev_b32_e32 v1, 16, v1
	v_lshl_or_b32 v52, v35, 23, v1
.LBB244_735:                            ;   in Loop: Header=BB244_424 Depth=1
	s_or_b64 exec, exec, s[20:21]
.LBB244_736:                            ;   in Loop: Header=BB244_424 Depth=1
	s_or_b64 exec, exec, s[18:19]
.LBB244_737:                            ;   in Loop: Header=BB244_424 Depth=1
	s_or_b64 exec, exec, s[16:17]
	v_lshrrev_b32_e32 v1, 16, v9
	v_cmp_ne_u16_sdwa s[0:1], v1, v2 src0_sel:BYTE_0 src1_sel:DWORD
	v_mov_b32_e32 v12, 0
	v_mov_b32_e32 v35, 0
	s_and_saveexec_b64 s[16:17], s[0:1]
	s_cbranch_execz .LBB244_743
; %bb.738:                              ;   in Loop: Header=BB244_424 Depth=1
	v_cmp_ne_u16_sdwa s[0:1], v1, s28 src0_sel:BYTE_0 src1_sel:DWORD
	v_mov_b32_e32 v35, 0x8000
	s_and_saveexec_b64 s[18:19], s[0:1]
	s_cbranch_execz .LBB244_742
; %bb.739:                              ;   in Loop: Header=BB244_424 Depth=1
	v_bfe_u32 v54, v9, 16, 7
	v_cmp_ne_u32_e64 s[0:1], s29, v54
	v_mov_b32_e32 v35, 0x7c01
	s_and_saveexec_b64 s[20:21], s[0:1]
	s_cbranch_execz .LBB244_741
; %bb.740:                              ;   in Loop: Header=BB244_424 Depth=1
	v_and_b32_e32 v35, 7, v1
	v_ffbh_u32_e32 v55, v35
	v_min_u32_e32 v58, 32, v55
	v_subrev_u32_e32 v55, 28, v58
	v_lshlrev_b64 v[55:56], v55, v[1:2]
	v_lshrrev_b32_e32 v57, 3, v54
	v_sub_u32_e32 v56, 29, v58
	v_cmp_gt_u32_e64 s[0:1], 8, v54
	v_cndmask_b32_e64 v54, v57, v56, s[0:1]
	v_lshl_add_u32 v54, v54, 10, v27
	v_lshlrev_b32_e32 v1, 8, v1
	v_and_b32_e32 v55, 7, v55
	v_and_b32_e32 v54, 0xfc00, v54
	v_cndmask_b32_e64 v35, v35, v55, s[0:1]
	v_and_or_b32 v1, v1, s30, v54
	v_lshl_or_b32 v35, v35, 7, v1
.LBB244_741:                            ;   in Loop: Header=BB244_424 Depth=1
	s_or_b64 exec, exec, s[20:21]
.LBB244_742:                            ;   in Loop: Header=BB244_424 Depth=1
	s_or_b64 exec, exec, s[18:19]
.LBB244_743:                            ;   in Loop: Header=BB244_424 Depth=1
	s_or_b64 exec, exec, s[16:17]
	v_cmp_lt_u32_e64 s[0:1], s5, v9
	s_and_saveexec_b64 s[16:17], s[0:1]
	s_cbranch_execz .LBB244_749
; %bb.744:                              ;   in Loop: Header=BB244_424 Depth=1
	v_lshrrev_b32_e32 v1, 24, v9
	v_cmp_ne_u32_e64 s[0:1], s28, v1
	v_bfrev_b32_e32 v12, 1
	s_and_saveexec_b64 s[18:19], s[0:1]
	s_cbranch_execz .LBB244_748
; %bb.745:                              ;   in Loop: Header=BB244_424 Depth=1
	v_and_b32_e32 v54, 0x7f, v1
	v_cmp_ne_u32_e64 s[0:1], s29, v54
	v_mov_b32_e32 v12, 0x7c010000
	s_and_saveexec_b64 s[20:21], s[0:1]
	s_cbranch_execz .LBB244_747
; %bb.746:                              ;   in Loop: Header=BB244_424 Depth=1
	v_and_b32_e32 v12, 7, v1
	v_ffbh_u32_e32 v55, v12
	v_min_u32_e32 v58, 32, v55
	v_subrev_u32_e32 v55, 28, v58
	v_lshlrev_b64 v[55:56], v55, v[1:2]
	v_lshrrev_b32_e32 v57, 3, v54
	v_sub_u32_e32 v56, 29, v58
	v_cmp_gt_u32_e64 s[0:1], 8, v54
	v_cndmask_b32_e64 v54, v57, v56, s[0:1]
	v_lshlrev_b32_e32 v1, 8, v1
	v_lshl_add_u32 v54, v54, 10, v27
	v_and_b32_e32 v55, 7, v55
	v_and_or_b32 v1, v1, s30, v54
	v_cndmask_b32_e64 v12, v12, v55, s[0:1]
	v_lshlrev_b32_e32 v1, 16, v1
	v_lshl_or_b32 v12, v12, 23, v1
.LBB244_747:                            ;   in Loop: Header=BB244_424 Depth=1
	s_or_b64 exec, exec, s[20:21]
.LBB244_748:                            ;   in Loop: Header=BB244_424 Depth=1
	s_or_b64 exec, exec, s[18:19]
.LBB244_749:                            ;   in Loop: Header=BB244_424 Depth=1
	s_or_b64 exec, exec, s[16:17]
	v_mov_b32_e32 v1, v10
	v_cmp_ne_u16_sdwa s[0:1], v10, v2 src0_sel:BYTE_0 src1_sel:DWORD
	v_mov_b32_e32 v54, 0
	v_mov_b32_e32 v55, 0
	s_and_saveexec_b64 s[16:17], s[0:1]
	s_cbranch_execz .LBB244_755
; %bb.750:                              ;   in Loop: Header=BB244_424 Depth=1
	v_cmp_ne_u16_sdwa s[0:1], v10, s28 src0_sel:BYTE_0 src1_sel:DWORD
	v_mov_b32_e32 v55, 0x8000
	s_and_saveexec_b64 s[18:19], s[0:1]
	s_cbranch_execz .LBB244_754
; %bb.751:                              ;   in Loop: Header=BB244_424 Depth=1
	v_and_b32_e32 v56, 0x7f, v10
	v_cmp_ne_u32_e64 s[0:1], s29, v56
	v_mov_b32_e32 v55, 0x7c01
	s_and_saveexec_b64 s[20:21], s[0:1]
	s_cbranch_execz .LBB244_753
; %bb.752:                              ;   in Loop: Header=BB244_424 Depth=1
	v_and_b32_e32 v57, 7, v10
	v_ffbh_u32_e32 v55, v57
	v_min_u32_e32 v59, 32, v55
	v_subrev_u32_e32 v55, 28, v59
	v_lshrrev_b32_e32 v58, 3, v56
	v_cmp_gt_u32_e64 s[0:1], 8, v56
	v_lshlrev_b64 v[55:56], v55, v[1:2]
	v_sub_u32_e32 v56, 29, v59
	v_cndmask_b32_e64 v56, v58, v56, s[0:1]
	v_lshl_add_u32 v56, v56, 10, v27
	v_lshlrev_b32_e32 v58, 8, v10
	v_and_b32_e32 v55, 7, v55
	v_and_b32_e32 v56, 0xfc00, v56
	v_cndmask_b32_e64 v55, v57, v55, s[0:1]
	v_and_or_b32 v56, v58, s30, v56
	v_lshl_or_b32 v55, v55, 7, v56
.LBB244_753:                            ;   in Loop: Header=BB244_424 Depth=1
	s_or_b64 exec, exec, s[20:21]
.LBB244_754:                            ;   in Loop: Header=BB244_424 Depth=1
	s_or_b64 exec, exec, s[18:19]
.LBB244_755:                            ;   in Loop: Header=BB244_424 Depth=1
	s_or_b64 exec, exec, s[16:17]
	v_lshrrev_b16_e32 v1, 8, v1
	v_cmp_ne_u16_e64 s[0:1], 0, v1
	v_mov_b32_e32 v56, 0
	s_and_saveexec_b64 s[16:17], s[0:1]
	s_cbranch_execz .LBB244_761
; %bb.756:                              ;   in Loop: Header=BB244_424 Depth=1
	v_cmp_ne_u16_e64 s[0:1], s28, v1
	v_bfrev_b32_e32 v56, 1
	s_and_saveexec_b64 s[18:19], s[0:1]
	s_cbranch_execz .LBB244_760
; %bb.757:                              ;   in Loop: Header=BB244_424 Depth=1
	v_and_b32_e32 v57, 0x7f, v1
	v_cmp_ne_u32_e64 s[0:1], s29, v57
	v_mov_b32_e32 v56, 0x7c010000
	s_and_saveexec_b64 s[20:21], s[0:1]
	s_cbranch_execz .LBB244_759
; %bb.758:                              ;   in Loop: Header=BB244_424 Depth=1
	v_and_b32_e32 v58, 7, v1
	v_ffbh_u32_e32 v56, v58
	v_min_u32_e32 v60, 32, v56
	v_subrev_u32_e32 v56, 28, v60
	v_lshrrev_b32_e32 v59, 3, v57
	v_cmp_gt_u32_e64 s[0:1], 8, v57
	v_lshlrev_b64 v[56:57], v56, v[1:2]
	v_sub_u32_e32 v57, 29, v60
	v_cndmask_b32_e64 v57, v59, v57, s[0:1]
	v_lshlrev_b32_e32 v1, 8, v1
	v_lshl_add_u32 v57, v57, 10, v27
	v_and_b32_e32 v56, 7, v56
	v_and_or_b32 v1, v1, s30, v57
	v_cndmask_b32_e64 v56, v58, v56, s[0:1]
	v_lshlrev_b32_e32 v1, 16, v1
	v_lshl_or_b32 v56, v56, 23, v1
.LBB244_759:                            ;   in Loop: Header=BB244_424 Depth=1
	s_or_b64 exec, exec, s[20:21]
.LBB244_760:                            ;   in Loop: Header=BB244_424 Depth=1
	s_or_b64 exec, exec, s[18:19]
.LBB244_761:                            ;   in Loop: Header=BB244_424 Depth=1
	s_or_b64 exec, exec, s[16:17]
	v_lshrrev_b32_e32 v1, 16, v10
	v_cmp_ne_u16_sdwa s[0:1], v1, v2 src0_sel:BYTE_0 src1_sel:DWORD
	s_and_saveexec_b64 s[16:17], s[0:1]
	s_cbranch_execz .LBB244_767
; %bb.762:                              ;   in Loop: Header=BB244_424 Depth=1
	v_cmp_ne_u16_sdwa s[0:1], v1, s28 src0_sel:BYTE_0 src1_sel:DWORD
	v_mov_b32_e32 v54, 0x8000
	s_and_saveexec_b64 s[18:19], s[0:1]
	s_cbranch_execz .LBB244_766
; %bb.763:                              ;   in Loop: Header=BB244_424 Depth=1
	v_bfe_u32 v57, v10, 16, 7
	v_cmp_ne_u32_e64 s[0:1], s29, v57
	v_mov_b32_e32 v54, 0x7c01
	s_and_saveexec_b64 s[20:21], s[0:1]
	s_cbranch_execz .LBB244_765
; %bb.764:                              ;   in Loop: Header=BB244_424 Depth=1
	v_and_b32_e32 v54, 7, v1
	v_lshrrev_b32_e32 v59, 3, v57
	v_cmp_gt_u32_e64 s[0:1], 8, v57
	v_ffbh_u32_e32 v57, v54
	v_min_u32_e32 v60, 32, v57
	v_subrev_u32_e32 v57, 28, v60
	v_lshlrev_b64 v[57:58], v57, v[1:2]
	v_sub_u32_e32 v58, 29, v60
	v_cndmask_b32_e64 v58, v59, v58, s[0:1]
	v_lshl_add_u32 v58, v58, 10, v27
	v_and_b32_e32 v57, 7, v57
	v_lshlrev_b32_e32 v1, 8, v1
	v_cndmask_b32_e64 v54, v54, v57, s[0:1]
	v_and_b32_e32 v57, 0xfc00, v58
	v_and_or_b32 v1, v1, s30, v57
	v_lshl_or_b32 v54, v54, 7, v1
.LBB244_765:                            ;   in Loop: Header=BB244_424 Depth=1
	s_or_b64 exec, exec, s[20:21]
.LBB244_766:                            ;   in Loop: Header=BB244_424 Depth=1
	s_or_b64 exec, exec, s[18:19]
.LBB244_767:                            ;   in Loop: Header=BB244_424 Depth=1
	s_or_b64 exec, exec, s[16:17]
	v_cmp_lt_u64_e64 s[0:1], s[4:5], v[9:10]
	v_mov_b32_e32 v9, 0
	s_and_saveexec_b64 s[16:17], s[0:1]
	s_cbranch_execz .LBB244_773
; %bb.768:                              ;   in Loop: Header=BB244_424 Depth=1
	v_lshrrev_b32_e32 v1, 24, v10
	v_cmp_ne_u32_e64 s[0:1], s28, v1
	v_bfrev_b32_e32 v9, 1
	s_and_saveexec_b64 s[18:19], s[0:1]
	s_cbranch_execz .LBB244_772
; %bb.769:                              ;   in Loop: Header=BB244_424 Depth=1
	v_and_b32_e32 v10, 0x7f, v1
	v_cmp_ne_u32_e64 s[0:1], s29, v10
	v_mov_b32_e32 v9, 0x7c010000
	s_and_saveexec_b64 s[20:21], s[0:1]
	s_cbranch_execz .LBB244_771
; %bb.770:                              ;   in Loop: Header=BB244_424 Depth=1
	v_and_b32_e32 v57, 7, v1
	v_ffbh_u32_e32 v9, v57
	v_min_u32_e32 v59, 32, v9
	v_subrev_u32_e32 v9, 28, v59
	v_lshrrev_b32_e32 v58, 3, v10
	v_cmp_gt_u32_e64 s[0:1], 8, v10
	v_lshlrev_b64 v[9:10], v9, v[1:2]
	v_sub_u32_e32 v10, 29, v59
	v_cndmask_b32_e64 v10, v58, v10, s[0:1]
	v_lshlrev_b32_e32 v1, 8, v1
	v_lshl_add_u32 v10, v10, 10, v27
	v_and_b32_e32 v9, 7, v9
	v_and_or_b32 v1, v1, s30, v10
	v_cndmask_b32_e64 v9, v57, v9, s[0:1]
	v_lshlrev_b32_e32 v1, 16, v1
	v_lshl_or_b32 v9, v9, 23, v1
.LBB244_771:                            ;   in Loop: Header=BB244_424 Depth=1
	s_or_b64 exec, exec, s[20:21]
.LBB244_772:                            ;   in Loop: Header=BB244_424 Depth=1
	s_or_b64 exec, exec, s[18:19]
.LBB244_773:                            ;   in Loop: Header=BB244_424 Depth=1
	s_or_b64 exec, exec, s[16:17]
	v_or_b32_e32 v1, v12, v35
	s_waitcnt vmcnt(0)
	v_fma_mixlo_f16 v10, v11, v12, 0 op_sel:[0,1,0] op_sel_hi:[0,1,0]
	v_fma_mixlo_f16 v35, v11, v52, 0 op_sel:[0,1,0] op_sel_hi:[0,1,0]
	v_lshlrev_b32_e32 v12, 16, v10
	v_or_b32_e32 v10, v52, v53
	v_lshlrev_b32_e32 v53, 16, v35
	v_or_b32_e32 v35, v56, v55
	v_or_b32_e32 v54, v9, v54
	v_fma_mixlo_f16 v1, v11, v1, 0 op_sel_hi:[0,1,0]
	v_fma_mixlo_f16 v10, v11, v10, 0 op_sel_hi:[0,1,0]
	v_fma_mixlo_f16 v52, v11, v56, 0 op_sel:[0,1,0] op_sel_hi:[0,1,0]
	v_fma_mixlo_f16 v35, v11, v35, 0 op_sel_hi:[0,1,0]
	v_fma_mixlo_f16 v54, v11, v54, 0 op_sel_hi:[0,1,0]
	v_fma_mixlo_f16 v9, v11, v9, 0 op_sel:[0,1,0] op_sel_hi:[0,1,0]
	v_and_b32_e32 v57, 0xffff, v1
	v_and_b32_e32 v58, 0xffff, v10
	v_lshlrev_b32_e32 v52, 16, v52
	v_and_b32_e32 v55, 0xffff, v35
	v_lshlrev_b32_e32 v9, 16, v9
	v_and_b32_e32 v11, 0xffff, v54
	v_or_b32_e32 v1, v12, v57
	v_or_b32_e32 v10, v53, v58
	;; [unrolled: 1-line block ×4, first 2 shown]
	s_and_saveexec_b64 s[16:17], vcc
	s_cbranch_execz .LBB244_775
; %bb.774:                              ;   in Loop: Header=BB244_424 Depth=1
	v_cmp_gt_i32_e64 s[0:1], s33, v28
	v_cndmask_b32_e64 v1, 0, v58, s[0:1]
	v_cmp_gt_i32_e64 s[0:1], s33, v51
	v_cndmask_b32_e64 v10, 0, v53, s[0:1]
	v_cmp_gt_i32_e64 s[0:1], s33, v34
	v_or_b32_e32 v10, v10, v1
	v_cndmask_b32_e64 v1, 0, v57, s[0:1]
	v_cmp_gt_i32_e64 s[0:1], s33, v33
	v_cndmask_b32_e64 v12, 0, v12, s[0:1]
	v_cmp_gt_i32_e64 s[0:1], s33, v32
	v_or_b32_e32 v1, v12, v1
	v_cndmask_b32_e64 v12, 0, v55, s[0:1]
	v_cmp_gt_i32_e64 s[0:1], s33, v31
	v_cndmask_b32_e64 v35, 0, v52, s[0:1]
	v_cmp_gt_i32_e64 s[0:1], s33, v30
	;; [unrolled: 2-line block ×3, first 2 shown]
	v_cndmask_b32_e64 v9, 0, v9, s[0:1]
	v_or_b32_e32 v35, v35, v12
	v_or_b32_e32 v54, v9, v11
.LBB244_775:                            ;   in Loop: Header=BB244_424 Depth=1
	s_or_b64 exec, exec, s[16:17]
	;;#ASMSTART
	v_pk_mul_f16 v9, v39, v10;

	;;#ASMEND
	;;#ASMSTART
	v_pk_mul_f16 v1, v38, v1;

	;;#ASMEND
	;; [unrolled: 4-line block ×4, first 2 shown]
	;;#ASMSTART
	v_pk_add_f16 v1, v9, v1;

	;;#ASMEND
	;;#ASMSTART
	v_pk_add_f16 v1, v1, v10;

	;;#ASMEND
	;; [unrolled: 4-line block ×3, first 2 shown]
	v_lshrrev_b32_e32 v10, 16, v1
	v_and_b32_e32 v1, 0xffff, v1
	;;#ASMSTART
	v_cvt_f32_f16 v9, v1;
	;;#ASMEND
	;;#ASMSTART
	v_cvt_f32_f16 v10, v10;
	;;#ASMEND
	global_load_dwordx2 v[7:8], v[7:8], off offset:3584
	v_mov_b32_e32 v52, 0
	global_load_dword v11, v52, s[14:15]
	v_mov_b32_e32 v53, 0
	s_waitcnt vmcnt(1)
	v_cmp_ne_u16_sdwa s[0:1], v7, v2 src0_sel:BYTE_0 src1_sel:DWORD
	s_and_saveexec_b64 s[16:17], s[0:1]
	s_cbranch_execz .LBB244_781
; %bb.776:                              ;   in Loop: Header=BB244_424 Depth=1
	v_cmp_ne_u16_sdwa s[0:1], v7, s28 src0_sel:BYTE_0 src1_sel:DWORD
	v_mov_b32_e32 v53, 0x8000
	s_and_saveexec_b64 s[18:19], s[0:1]
	s_cbranch_execz .LBB244_780
; %bb.777:                              ;   in Loop: Header=BB244_424 Depth=1
	v_and_b32_e32 v1, 0x7f, v7
	v_cmp_ne_u32_e64 s[0:1], s29, v1
	v_mov_b32_e32 v53, 0x7c01
	s_and_saveexec_b64 s[20:21], s[0:1]
	s_cbranch_execz .LBB244_779
; %bb.778:                              ;   in Loop: Header=BB244_424 Depth=1
	v_and_b32_e32 v12, 7, v7
	v_ffbh_u32_e32 v53, v12
	v_min_u32_e32 v55, 32, v53
	v_subrev_u32_e32 v53, 28, v55
	v_lshlrev_b64 v[53:54], v53, v[7:8]
	v_lshrrev_b32_e32 v35, 3, v1
	v_sub_u32_e32 v54, 29, v55
	v_cmp_gt_u32_e64 s[0:1], 8, v1
	v_cndmask_b32_e64 v1, v35, v54, s[0:1]
	v_lshl_add_u32 v1, v1, 10, v27
	v_lshlrev_b32_e32 v35, 8, v7
	v_and_b32_e32 v53, 7, v53
	v_and_b32_e32 v1, 0xfc00, v1
	v_cndmask_b32_e64 v12, v12, v53, s[0:1]
	v_and_or_b32 v1, v35, s30, v1
	v_lshl_or_b32 v53, v12, 7, v1
.LBB244_779:                            ;   in Loop: Header=BB244_424 Depth=1
	s_or_b64 exec, exec, s[20:21]
.LBB244_780:                            ;   in Loop: Header=BB244_424 Depth=1
	s_or_b64 exec, exec, s[18:19]
.LBB244_781:                            ;   in Loop: Header=BB244_424 Depth=1
	s_or_b64 exec, exec, s[16:17]
	v_lshrrev_b16_e32 v1, 8, v7
	v_cmp_ne_u16_e64 s[0:1], 0, v1
	s_and_saveexec_b64 s[16:17], s[0:1]
	s_cbranch_execz .LBB244_787
; %bb.782:                              ;   in Loop: Header=BB244_424 Depth=1
	v_cmp_ne_u16_e64 s[0:1], s28, v1
	v_bfrev_b32_e32 v52, 1
	s_and_saveexec_b64 s[18:19], s[0:1]
	s_cbranch_execz .LBB244_786
; %bb.783:                              ;   in Loop: Header=BB244_424 Depth=1
	v_and_b32_e32 v12, 0x7f, v1
	v_cmp_ne_u32_e64 s[0:1], s29, v12
	v_mov_b32_e32 v52, 0x7c010000
	s_and_saveexec_b64 s[20:21], s[0:1]
	s_cbranch_execz .LBB244_785
; %bb.784:                              ;   in Loop: Header=BB244_424 Depth=1
	v_and_b32_e32 v35, 7, v1
	v_ffbh_u32_e32 v54, v35
	v_min_u32_e32 v56, 32, v54
	v_subrev_u32_e32 v54, 28, v56
	v_lshlrev_b64 v[54:55], v54, v[1:2]
	v_lshrrev_b32_e32 v52, 3, v12
	v_sub_u32_e32 v55, 29, v56
	v_cmp_gt_u32_e64 s[0:1], 8, v12
	v_cndmask_b32_e64 v12, v52, v55, s[0:1]
	v_lshlrev_b32_e32 v1, 8, v1
	v_lshl_add_u32 v12, v12, 10, v27
	v_and_b32_e32 v52, 7, v54
	v_and_or_b32 v1, v1, s30, v12
	v_cndmask_b32_e64 v35, v35, v52, s[0:1]
	v_lshlrev_b32_e32 v1, 16, v1
	v_lshl_or_b32 v52, v35, 23, v1
.LBB244_785:                            ;   in Loop: Header=BB244_424 Depth=1
	s_or_b64 exec, exec, s[20:21]
.LBB244_786:                            ;   in Loop: Header=BB244_424 Depth=1
	s_or_b64 exec, exec, s[18:19]
.LBB244_787:                            ;   in Loop: Header=BB244_424 Depth=1
	s_or_b64 exec, exec, s[16:17]
	v_lshrrev_b32_e32 v1, 16, v7
	v_cmp_ne_u16_sdwa s[0:1], v1, v2 src0_sel:BYTE_0 src1_sel:DWORD
	v_mov_b32_e32 v12, 0
	v_mov_b32_e32 v35, 0
	s_and_saveexec_b64 s[16:17], s[0:1]
	s_cbranch_execz .LBB244_793
; %bb.788:                              ;   in Loop: Header=BB244_424 Depth=1
	v_cmp_ne_u16_sdwa s[0:1], v1, s28 src0_sel:BYTE_0 src1_sel:DWORD
	v_mov_b32_e32 v35, 0x8000
	s_and_saveexec_b64 s[18:19], s[0:1]
	s_cbranch_execz .LBB244_792
; %bb.789:                              ;   in Loop: Header=BB244_424 Depth=1
	v_bfe_u32 v54, v7, 16, 7
	v_cmp_ne_u32_e64 s[0:1], s29, v54
	v_mov_b32_e32 v35, 0x7c01
	s_and_saveexec_b64 s[20:21], s[0:1]
	s_cbranch_execz .LBB244_791
; %bb.790:                              ;   in Loop: Header=BB244_424 Depth=1
	v_and_b32_e32 v35, 7, v1
	v_ffbh_u32_e32 v55, v35
	v_min_u32_e32 v58, 32, v55
	v_subrev_u32_e32 v55, 28, v58
	v_lshlrev_b64 v[55:56], v55, v[1:2]
	v_lshrrev_b32_e32 v57, 3, v54
	v_sub_u32_e32 v56, 29, v58
	v_cmp_gt_u32_e64 s[0:1], 8, v54
	v_cndmask_b32_e64 v54, v57, v56, s[0:1]
	v_lshl_add_u32 v54, v54, 10, v27
	v_lshlrev_b32_e32 v1, 8, v1
	v_and_b32_e32 v55, 7, v55
	v_and_b32_e32 v54, 0xfc00, v54
	v_cndmask_b32_e64 v35, v35, v55, s[0:1]
	v_and_or_b32 v1, v1, s30, v54
	v_lshl_or_b32 v35, v35, 7, v1
.LBB244_791:                            ;   in Loop: Header=BB244_424 Depth=1
	s_or_b64 exec, exec, s[20:21]
.LBB244_792:                            ;   in Loop: Header=BB244_424 Depth=1
	s_or_b64 exec, exec, s[18:19]
.LBB244_793:                            ;   in Loop: Header=BB244_424 Depth=1
	s_or_b64 exec, exec, s[16:17]
	v_cmp_lt_u32_e64 s[0:1], s5, v7
	s_and_saveexec_b64 s[16:17], s[0:1]
	s_cbranch_execz .LBB244_799
; %bb.794:                              ;   in Loop: Header=BB244_424 Depth=1
	v_lshrrev_b32_e32 v1, 24, v7
	v_cmp_ne_u32_e64 s[0:1], s28, v1
	v_bfrev_b32_e32 v12, 1
	s_and_saveexec_b64 s[18:19], s[0:1]
	s_cbranch_execz .LBB244_798
; %bb.795:                              ;   in Loop: Header=BB244_424 Depth=1
	v_and_b32_e32 v54, 0x7f, v1
	v_cmp_ne_u32_e64 s[0:1], s29, v54
	v_mov_b32_e32 v12, 0x7c010000
	s_and_saveexec_b64 s[20:21], s[0:1]
	s_cbranch_execz .LBB244_797
; %bb.796:                              ;   in Loop: Header=BB244_424 Depth=1
	v_and_b32_e32 v12, 7, v1
	v_ffbh_u32_e32 v55, v12
	v_min_u32_e32 v58, 32, v55
	v_subrev_u32_e32 v55, 28, v58
	v_lshlrev_b64 v[55:56], v55, v[1:2]
	v_lshrrev_b32_e32 v57, 3, v54
	v_sub_u32_e32 v56, 29, v58
	v_cmp_gt_u32_e64 s[0:1], 8, v54
	v_cndmask_b32_e64 v54, v57, v56, s[0:1]
	v_lshlrev_b32_e32 v1, 8, v1
	v_lshl_add_u32 v54, v54, 10, v27
	v_and_b32_e32 v55, 7, v55
	v_and_or_b32 v1, v1, s30, v54
	v_cndmask_b32_e64 v12, v12, v55, s[0:1]
	v_lshlrev_b32_e32 v1, 16, v1
	v_lshl_or_b32 v12, v12, 23, v1
.LBB244_797:                            ;   in Loop: Header=BB244_424 Depth=1
	s_or_b64 exec, exec, s[20:21]
.LBB244_798:                            ;   in Loop: Header=BB244_424 Depth=1
	s_or_b64 exec, exec, s[18:19]
.LBB244_799:                            ;   in Loop: Header=BB244_424 Depth=1
	s_or_b64 exec, exec, s[16:17]
	v_mov_b32_e32 v1, v8
	v_cmp_ne_u16_sdwa s[0:1], v8, v2 src0_sel:BYTE_0 src1_sel:DWORD
	v_mov_b32_e32 v54, 0
	v_mov_b32_e32 v55, 0
	s_and_saveexec_b64 s[16:17], s[0:1]
	s_cbranch_execz .LBB244_805
; %bb.800:                              ;   in Loop: Header=BB244_424 Depth=1
	v_cmp_ne_u16_sdwa s[0:1], v8, s28 src0_sel:BYTE_0 src1_sel:DWORD
	v_mov_b32_e32 v55, 0x8000
	s_and_saveexec_b64 s[18:19], s[0:1]
	s_cbranch_execz .LBB244_804
; %bb.801:                              ;   in Loop: Header=BB244_424 Depth=1
	v_and_b32_e32 v56, 0x7f, v8
	v_cmp_ne_u32_e64 s[0:1], s29, v56
	v_mov_b32_e32 v55, 0x7c01
	s_and_saveexec_b64 s[20:21], s[0:1]
	s_cbranch_execz .LBB244_803
; %bb.802:                              ;   in Loop: Header=BB244_424 Depth=1
	v_and_b32_e32 v57, 7, v8
	v_ffbh_u32_e32 v55, v57
	v_min_u32_e32 v59, 32, v55
	v_subrev_u32_e32 v55, 28, v59
	v_lshrrev_b32_e32 v58, 3, v56
	v_cmp_gt_u32_e64 s[0:1], 8, v56
	v_lshlrev_b64 v[55:56], v55, v[1:2]
	v_sub_u32_e32 v56, 29, v59
	v_cndmask_b32_e64 v56, v58, v56, s[0:1]
	v_lshl_add_u32 v56, v56, 10, v27
	v_lshlrev_b32_e32 v58, 8, v8
	v_and_b32_e32 v55, 7, v55
	v_and_b32_e32 v56, 0xfc00, v56
	v_cndmask_b32_e64 v55, v57, v55, s[0:1]
	v_and_or_b32 v56, v58, s30, v56
	v_lshl_or_b32 v55, v55, 7, v56
.LBB244_803:                            ;   in Loop: Header=BB244_424 Depth=1
	s_or_b64 exec, exec, s[20:21]
.LBB244_804:                            ;   in Loop: Header=BB244_424 Depth=1
	s_or_b64 exec, exec, s[18:19]
.LBB244_805:                            ;   in Loop: Header=BB244_424 Depth=1
	s_or_b64 exec, exec, s[16:17]
	v_lshrrev_b16_e32 v1, 8, v1
	v_cmp_ne_u16_e64 s[0:1], 0, v1
	v_mov_b32_e32 v56, 0
	s_and_saveexec_b64 s[16:17], s[0:1]
	s_cbranch_execz .LBB244_811
; %bb.806:                              ;   in Loop: Header=BB244_424 Depth=1
	v_cmp_ne_u16_e64 s[0:1], s28, v1
	v_bfrev_b32_e32 v56, 1
	s_and_saveexec_b64 s[18:19], s[0:1]
	s_cbranch_execz .LBB244_810
; %bb.807:                              ;   in Loop: Header=BB244_424 Depth=1
	v_and_b32_e32 v57, 0x7f, v1
	v_cmp_ne_u32_e64 s[0:1], s29, v57
	v_mov_b32_e32 v56, 0x7c010000
	s_and_saveexec_b64 s[20:21], s[0:1]
	s_cbranch_execz .LBB244_809
; %bb.808:                              ;   in Loop: Header=BB244_424 Depth=1
	v_and_b32_e32 v58, 7, v1
	v_ffbh_u32_e32 v56, v58
	v_min_u32_e32 v60, 32, v56
	v_subrev_u32_e32 v56, 28, v60
	v_lshrrev_b32_e32 v59, 3, v57
	v_cmp_gt_u32_e64 s[0:1], 8, v57
	v_lshlrev_b64 v[56:57], v56, v[1:2]
	v_sub_u32_e32 v57, 29, v60
	v_cndmask_b32_e64 v57, v59, v57, s[0:1]
	v_lshlrev_b32_e32 v1, 8, v1
	v_lshl_add_u32 v57, v57, 10, v27
	v_and_b32_e32 v56, 7, v56
	v_and_or_b32 v1, v1, s30, v57
	v_cndmask_b32_e64 v56, v58, v56, s[0:1]
	v_lshlrev_b32_e32 v1, 16, v1
	v_lshl_or_b32 v56, v56, 23, v1
.LBB244_809:                            ;   in Loop: Header=BB244_424 Depth=1
	s_or_b64 exec, exec, s[20:21]
.LBB244_810:                            ;   in Loop: Header=BB244_424 Depth=1
	s_or_b64 exec, exec, s[18:19]
.LBB244_811:                            ;   in Loop: Header=BB244_424 Depth=1
	s_or_b64 exec, exec, s[16:17]
	v_lshrrev_b32_e32 v1, 16, v8
	v_cmp_ne_u16_sdwa s[0:1], v1, v2 src0_sel:BYTE_0 src1_sel:DWORD
	s_and_saveexec_b64 s[16:17], s[0:1]
	s_cbranch_execz .LBB244_817
; %bb.812:                              ;   in Loop: Header=BB244_424 Depth=1
	v_cmp_ne_u16_sdwa s[0:1], v1, s28 src0_sel:BYTE_0 src1_sel:DWORD
	v_mov_b32_e32 v54, 0x8000
	s_and_saveexec_b64 s[18:19], s[0:1]
	s_cbranch_execz .LBB244_816
; %bb.813:                              ;   in Loop: Header=BB244_424 Depth=1
	v_bfe_u32 v57, v8, 16, 7
	v_cmp_ne_u32_e64 s[0:1], s29, v57
	v_mov_b32_e32 v54, 0x7c01
	s_and_saveexec_b64 s[20:21], s[0:1]
	s_cbranch_execz .LBB244_815
; %bb.814:                              ;   in Loop: Header=BB244_424 Depth=1
	v_and_b32_e32 v54, 7, v1
	v_lshrrev_b32_e32 v59, 3, v57
	v_cmp_gt_u32_e64 s[0:1], 8, v57
	v_ffbh_u32_e32 v57, v54
	v_min_u32_e32 v60, 32, v57
	v_subrev_u32_e32 v57, 28, v60
	v_lshlrev_b64 v[57:58], v57, v[1:2]
	v_sub_u32_e32 v58, 29, v60
	v_cndmask_b32_e64 v58, v59, v58, s[0:1]
	v_lshl_add_u32 v58, v58, 10, v27
	v_and_b32_e32 v57, 7, v57
	v_lshlrev_b32_e32 v1, 8, v1
	v_cndmask_b32_e64 v54, v54, v57, s[0:1]
	v_and_b32_e32 v57, 0xfc00, v58
	v_and_or_b32 v1, v1, s30, v57
	v_lshl_or_b32 v54, v54, 7, v1
.LBB244_815:                            ;   in Loop: Header=BB244_424 Depth=1
	s_or_b64 exec, exec, s[20:21]
.LBB244_816:                            ;   in Loop: Header=BB244_424 Depth=1
	s_or_b64 exec, exec, s[18:19]
.LBB244_817:                            ;   in Loop: Header=BB244_424 Depth=1
	s_or_b64 exec, exec, s[16:17]
	v_cmp_lt_u64_e64 s[0:1], s[4:5], v[7:8]
	v_mov_b32_e32 v57, 0
	s_and_saveexec_b64 s[16:17], s[0:1]
	s_cbranch_execz .LBB244_823
; %bb.818:                              ;   in Loop: Header=BB244_424 Depth=1
	v_lshrrev_b32_e32 v1, 24, v8
	v_cmp_ne_u32_e64 s[0:1], s28, v1
	v_bfrev_b32_e32 v57, 1
	s_and_saveexec_b64 s[18:19], s[0:1]
	s_cbranch_execz .LBB244_822
; %bb.819:                              ;   in Loop: Header=BB244_424 Depth=1
	v_and_b32_e32 v7, 0x7f, v1
	v_cmp_ne_u32_e64 s[0:1], s29, v7
	v_mov_b32_e32 v57, 0x7c010000
	s_and_saveexec_b64 s[20:21], s[0:1]
	s_cbranch_execz .LBB244_821
; %bb.820:                              ;   in Loop: Header=BB244_424 Depth=1
	v_and_b32_e32 v57, 7, v1
	v_lshrrev_b32_e32 v58, 3, v7
	v_cmp_gt_u32_e64 s[0:1], 8, v7
	v_ffbh_u32_e32 v7, v57
	v_min_u32_e32 v59, 32, v7
	v_subrev_u32_e32 v7, 28, v59
	v_lshlrev_b64 v[7:8], v7, v[1:2]
	v_sub_u32_e32 v8, 29, v59
	v_cndmask_b32_e64 v8, v58, v8, s[0:1]
	v_lshlrev_b32_e32 v1, 8, v1
	v_lshl_add_u32 v8, v8, 10, v27
	v_and_b32_e32 v7, 7, v7
	v_and_or_b32 v1, v1, s30, v8
	v_cndmask_b32_e64 v7, v57, v7, s[0:1]
	v_lshlrev_b32_e32 v1, 16, v1
	v_lshl_or_b32 v57, v7, 23, v1
.LBB244_821:                            ;   in Loop: Header=BB244_424 Depth=1
	s_or_b64 exec, exec, s[20:21]
.LBB244_822:                            ;   in Loop: Header=BB244_424 Depth=1
	s_or_b64 exec, exec, s[18:19]
.LBB244_823:                            ;   in Loop: Header=BB244_424 Depth=1
	s_or_b64 exec, exec, s[16:17]
	s_waitcnt vmcnt(0)
	v_fma_mixlo_f16 v7, v11, v12, 0 op_sel:[0,1,0] op_sel_hi:[0,1,0]
	v_fma_mixlo_f16 v8, v11, v52, 0 op_sel:[0,1,0] op_sel_hi:[0,1,0]
	v_or_b32_e32 v1, v12, v35
	v_lshlrev_b32_e32 v12, 16, v7
	v_or_b32_e32 v7, v52, v53
	v_lshlrev_b32_e32 v58, 16, v8
	v_or_b32_e32 v8, v56, v55
	v_or_b32_e32 v53, v57, v54
	v_fma_mixlo_f16 v1, v11, v1, 0 op_sel_hi:[0,1,0]
	v_fma_mixlo_f16 v7, v11, v7, 0 op_sel_hi:[0,1,0]
	v_fma_mixlo_f16 v52, v11, v56, 0 op_sel:[0,1,0] op_sel_hi:[0,1,0]
	v_fma_mixlo_f16 v8, v11, v8, 0 op_sel_hi:[0,1,0]
	v_fma_mixlo_f16 v54, v11, v53, 0 op_sel_hi:[0,1,0]
	v_fma_mixlo_f16 v11, v11, v57, 0 op_sel:[0,1,0] op_sel_hi:[0,1,0]
	v_and_b32_e32 v35, 0xffff, v1
	v_and_b32_e32 v59, 0xffff, v7
	v_lshlrev_b32_e32 v52, 16, v52
	v_and_b32_e32 v55, 0xffff, v8
	v_lshlrev_b32_e32 v53, 16, v11
	v_and_b32_e32 v54, 0xffff, v54
	v_or_b32_e32 v1, v12, v35
	v_or_b32_e32 v7, v58, v59
	;; [unrolled: 1-line block ×4, first 2 shown]
	s_and_saveexec_b64 s[0:1], vcc
	s_cbranch_execz .LBB244_422
; %bb.824:                              ;   in Loop: Header=BB244_424 Depth=1
	v_cmp_gt_i32_e32 vcc, s33, v28
	v_cndmask_b32_e32 v1, 0, v59, vcc
	v_cmp_gt_i32_e32 vcc, s33, v51
	v_cndmask_b32_e32 v7, 0, v58, vcc
	v_cmp_gt_i32_e32 vcc, s33, v34
	v_or_b32_e32 v7, v7, v1
	v_cndmask_b32_e32 v1, 0, v35, vcc
	v_cmp_gt_i32_e32 vcc, s33, v33
	v_cndmask_b32_e32 v8, 0, v12, vcc
	v_cmp_gt_i32_e32 vcc, s33, v32
	v_or_b32_e32 v1, v8, v1
	;; [unrolled: 5-line block ×3, first 2 shown]
	v_cndmask_b32_e32 v11, 0, v54, vcc
	v_cmp_gt_i32_e32 vcc, s33, v29
	v_cndmask_b32_e32 v12, 0, v53, vcc
	v_or_b32_e32 v11, v12, v11
	s_branch .LBB244_422
.LBB244_825:
	s_or_b64 exec, exec, s[6:7]
.LBB244_826:
	s_or_b64 exec, exec, s[2:3]
	s_waitcnt vmcnt(0)
	s_barrier
	buffer_load_dword v10, off, s[56:59], 0 offset:136 ; 4-byte Folded Reload
	ds_bpermute_b32 v0, v14, v22
	ds_bpermute_b32 v1, v14, v23
	;; [unrolled: 1-line block ×5, first 2 shown]
	s_waitcnt lgkmcnt(4)
	v_add_f32_e32 v5, v22, v0
	ds_bpermute_b32 v0, v14, v20
	s_waitcnt lgkmcnt(4)
	v_add_f32_e32 v3, v23, v1
	s_waitcnt lgkmcnt(3)
	v_add_f32_e32 v1, v21, v2
	ds_bpermute_b32 v2, v14, v19
	ds_bpermute_b32 v8, v14, v17
	s_waitcnt lgkmcnt(2)
	v_add_f32_e32 v7, v20, v0
	v_add_f32_e32 v0, v16, v9
	;; [unrolled: 1-line block ×3, first 2 shown]
	s_waitcnt lgkmcnt(1)
	v_add_f32_e32 v6, v19, v2
	s_waitcnt lgkmcnt(0)
	v_add_f32_e32 v2, v17, v8
	s_waitcnt vmcnt(0)
	v_and_b32_e32 v9, 0x3c1, v10
	v_cmp_eq_u32_e32 vcc, 64, v9
	s_and_saveexec_b64 s[0:1], vcc
	s_cbranch_execz .LBB244_828
; %bb.827:
	v_mov_b32_e32 v8, 0x210
	v_lshl_add_u32 v8, v13, 1, v8
	ds_write2_b32 v8, v5, v3 offset1:32
	ds_write2_b32 v8, v1, v7 offset0:64 offset1:96
	ds_write2_b32 v8, v6, v4 offset0:128 offset1:160
	;; [unrolled: 1-line block ×3, first 2 shown]
.LBB244_828:
	s_or_b64 exec, exec, s[0:1]
	v_cmp_gt_u32_e32 vcc, 64, v10
	v_lshrrev_b32_e32 v8, 1, v10
	s_waitcnt lgkmcnt(0)
	s_barrier
	s_and_saveexec_b64 s[0:1], vcc
	s_cbranch_execz .LBB244_839
; %bb.829:
	v_mov_b32_e32 v10, 0x210
	v_cmp_eq_u32_e32 vcc, 0, v15
	v_lshl_add_u32 v10, v8, 2, v10
	s_and_saveexec_b64 s[2:3], vcc
	s_cbranch_execnz .LBB244_842
; %bb.830:
	s_or_b64 exec, exec, s[2:3]
	s_and_saveexec_b64 s[2:3], vcc
	s_cbranch_execnz .LBB244_843
.LBB244_831:
	s_or_b64 exec, exec, s[2:3]
	s_and_saveexec_b64 s[2:3], vcc
	s_cbranch_execnz .LBB244_844
.LBB244_832:
	s_or_b64 exec, exec, s[2:3]
	s_and_saveexec_b64 s[2:3], vcc
	s_cbranch_execnz .LBB244_845
.LBB244_833:
	s_or_b64 exec, exec, s[2:3]
	s_and_saveexec_b64 s[2:3], vcc
	s_cbranch_execnz .LBB244_846
.LBB244_834:
	s_or_b64 exec, exec, s[2:3]
	s_and_saveexec_b64 s[2:3], vcc
	s_cbranch_execnz .LBB244_847
.LBB244_835:
	s_or_b64 exec, exec, s[2:3]
	s_and_saveexec_b64 s[2:3], vcc
	s_cbranch_execnz .LBB244_848
.LBB244_836:
	s_or_b64 exec, exec, s[2:3]
	s_and_saveexec_b64 s[2:3], vcc
	s_cbranch_execz .LBB244_838
.LBB244_837:
	ds_read_b32 v10, v10 offset:896
	s_waitcnt lgkmcnt(0)
	v_add_f32_e32 v0, v0, v10
.LBB244_838:
	s_or_b64 exec, exec, s[2:3]
.LBB244_839:
	s_or_b64 exec, exec, s[0:1]
	v_cmp_eq_u32_e32 vcc, 0, v9
	s_barrier
	s_and_saveexec_b64 s[0:1], vcc
	s_cbranch_execz .LBB244_841
; %bb.840:
	s_mul_i32 s0, s10, s11
	s_mul_i32 s0, s0, s9
	s_lshl_b32 s0, s0, 8
	s_ashr_i32 s1, s0, 31
	s_lshl_b64 s[0:1], s[0:1], 1
	s_add_u32 s2, s26, s0
	s_mul_i32 s0, s11, s24
	s_addc_u32 s3, s27, s1
	s_ashr_i32 s1, s0, 31
	s_lshl_b64 s[0:1], s[0:1], 1
	s_add_u32 s2, s2, s0
	s_addc_u32 s3, s3, s1
	s_lshl_b32 s0, s8, 8
	s_ashr_i32 s1, s0, 31
	s_lshl_b64 s[0:1], s[0:1], 1
	s_add_u32 s0, s2, s0
	s_addc_u32 s1, s3, s1
	v_lshlrev_b32_e32 v8, 1, v8
	;;#ASMSTART
	v_cvt_f16_f32 v5, v5;

	;;#ASMEND
	global_store_short v8, v5, s[0:1]
	;;#ASMSTART
	v_cvt_f16_f32 v3, v3;

	;;#ASMEND
	global_store_short v8, v3, s[0:1] offset:64
	;;#ASMSTART
	v_cvt_f16_f32 v1, v1;

	;;#ASMEND
	global_store_short v8, v1, s[0:1] offset:128
	;;#ASMSTART
	v_cvt_f16_f32 v1, v7;

	;;#ASMEND
	global_store_short v8, v1, s[0:1] offset:192
	;;#ASMSTART
	v_cvt_f16_f32 v1, v6;

	;;#ASMEND
	global_store_short v8, v1, s[0:1] offset:256
	;;#ASMSTART
	v_cvt_f16_f32 v1, v4;

	;;#ASMEND
	global_store_short v8, v1, s[0:1] offset:320
	;;#ASMSTART
	v_cvt_f16_f32 v1, v2;

	;;#ASMEND
	global_store_short v8, v1, s[0:1] offset:384
	;;#ASMSTART
	v_cvt_f16_f32 v0, v0;

	;;#ASMEND
	global_store_short v8, v0, s[0:1] offset:448
.LBB244_841:
	s_endpgm
.LBB244_842:
	ds_read_b32 v11, v10
	s_waitcnt lgkmcnt(0)
	v_add_f32_e32 v5, v5, v11
	s_or_b64 exec, exec, s[2:3]
	s_and_saveexec_b64 s[2:3], vcc
	s_cbranch_execz .LBB244_831
.LBB244_843:
	ds_read_b32 v11, v10 offset:128
	s_waitcnt lgkmcnt(0)
	v_add_f32_e32 v3, v3, v11
	s_or_b64 exec, exec, s[2:3]
	s_and_saveexec_b64 s[2:3], vcc
	s_cbranch_execz .LBB244_832
.LBB244_844:
	ds_read_b32 v11, v10 offset:256
	s_waitcnt lgkmcnt(0)
	v_add_f32_e32 v1, v1, v11
	s_or_b64 exec, exec, s[2:3]
	s_and_saveexec_b64 s[2:3], vcc
	s_cbranch_execz .LBB244_833
.LBB244_845:
	ds_read_b32 v11, v10 offset:384
	s_waitcnt lgkmcnt(0)
	v_add_f32_e32 v7, v7, v11
	s_or_b64 exec, exec, s[2:3]
	s_and_saveexec_b64 s[2:3], vcc
	s_cbranch_execz .LBB244_834
.LBB244_846:
	ds_read_b32 v11, v10 offset:512
	s_waitcnt lgkmcnt(0)
	v_add_f32_e32 v6, v6, v11
	s_or_b64 exec, exec, s[2:3]
	s_and_saveexec_b64 s[2:3], vcc
	s_cbranch_execz .LBB244_835
.LBB244_847:
	ds_read_b32 v11, v10 offset:640
	s_waitcnt lgkmcnt(0)
	v_add_f32_e32 v4, v4, v11
	s_or_b64 exec, exec, s[2:3]
	s_and_saveexec_b64 s[2:3], vcc
	s_cbranch_execz .LBB244_836
.LBB244_848:
	ds_read_b32 v11, v10 offset:768
	s_waitcnt lgkmcnt(0)
	v_add_f32_e32 v2, v2, v11
	s_or_b64 exec, exec, s[2:3]
	s_and_saveexec_b64 s[2:3], vcc
	s_cbranch_execnz .LBB244_837
	s_branch .LBB244_838
	.section	.rodata,"a",@progbits
	.p2align	6, 0x0
	.amdhsa_kernel _ZN4vllm25paged_attention_v1_kernelIthLi256ELi16ELi128ELNS_18Fp8KVCacheDataTypeE1ELb1EEEvPT_PKS2_PKT0_S8_ifPKiSA_iPKfiiiSC_SC_iiiii
		.amdhsa_group_segment_fixed_size 528
		.amdhsa_private_segment_fixed_size 152
		.amdhsa_kernarg_size 384
		.amdhsa_user_sgpr_count 6
		.amdhsa_user_sgpr_private_segment_buffer 1
		.amdhsa_user_sgpr_dispatch_ptr 0
		.amdhsa_user_sgpr_queue_ptr 0
		.amdhsa_user_sgpr_kernarg_segment_ptr 1
		.amdhsa_user_sgpr_dispatch_id 0
		.amdhsa_user_sgpr_flat_scratch_init 0
		.amdhsa_user_sgpr_private_segment_size 0
		.amdhsa_uses_dynamic_stack 0
		.amdhsa_system_sgpr_private_segment_wavefront_offset 1
		.amdhsa_system_sgpr_workgroup_id_x 1
		.amdhsa_system_sgpr_workgroup_id_y 1
		.amdhsa_system_sgpr_workgroup_id_z 1
		.amdhsa_system_sgpr_workgroup_info 0
		.amdhsa_system_vgpr_workitem_id 0
		.amdhsa_next_free_vgpr 64
		.amdhsa_next_free_sgpr 60
		.amdhsa_reserve_vcc 1
		.amdhsa_reserve_flat_scratch 0
		.amdhsa_float_round_mode_32 0
		.amdhsa_float_round_mode_16_64 0
		.amdhsa_float_denorm_mode_32 3
		.amdhsa_float_denorm_mode_16_64 3
		.amdhsa_dx10_clamp 1
		.amdhsa_ieee_mode 1
		.amdhsa_fp16_overflow 0
		.amdhsa_exception_fp_ieee_invalid_op 0
		.amdhsa_exception_fp_denorm_src 0
		.amdhsa_exception_fp_ieee_div_zero 0
		.amdhsa_exception_fp_ieee_overflow 0
		.amdhsa_exception_fp_ieee_underflow 0
		.amdhsa_exception_fp_ieee_inexact 0
		.amdhsa_exception_int_div_zero 0
	.end_amdhsa_kernel
	.section	.text._ZN4vllm25paged_attention_v1_kernelIthLi256ELi16ELi128ELNS_18Fp8KVCacheDataTypeE1ELb1EEEvPT_PKS2_PKT0_S8_ifPKiSA_iPKfiiiSC_SC_iiiii,"axG",@progbits,_ZN4vllm25paged_attention_v1_kernelIthLi256ELi16ELi128ELNS_18Fp8KVCacheDataTypeE1ELb1EEEvPT_PKS2_PKT0_S8_ifPKiSA_iPKfiiiSC_SC_iiiii,comdat
.Lfunc_end244:
	.size	_ZN4vllm25paged_attention_v1_kernelIthLi256ELi16ELi128ELNS_18Fp8KVCacheDataTypeE1ELb1EEEvPT_PKS2_PKT0_S8_ifPKiSA_iPKfiiiSC_SC_iiiii, .Lfunc_end244-_ZN4vllm25paged_attention_v1_kernelIthLi256ELi16ELi128ELNS_18Fp8KVCacheDataTypeE1ELb1EEEvPT_PKS2_PKT0_S8_ifPKiSA_iPKfiiiSC_SC_iiiii
                                        ; -- End function
	.set _ZN4vllm25paged_attention_v1_kernelIthLi256ELi16ELi128ELNS_18Fp8KVCacheDataTypeE1ELb1EEEvPT_PKS2_PKT0_S8_ifPKiSA_iPKfiiiSC_SC_iiiii.num_vgpr, 64
	.set _ZN4vllm25paged_attention_v1_kernelIthLi256ELi16ELi128ELNS_18Fp8KVCacheDataTypeE1ELb1EEEvPT_PKS2_PKT0_S8_ifPKiSA_iPKfiiiSC_SC_iiiii.num_agpr, 0
	.set _ZN4vllm25paged_attention_v1_kernelIthLi256ELi16ELi128ELNS_18Fp8KVCacheDataTypeE1ELb1EEEvPT_PKS2_PKT0_S8_ifPKiSA_iPKfiiiSC_SC_iiiii.numbered_sgpr, 60
	.set _ZN4vllm25paged_attention_v1_kernelIthLi256ELi16ELi128ELNS_18Fp8KVCacheDataTypeE1ELb1EEEvPT_PKS2_PKT0_S8_ifPKiSA_iPKfiiiSC_SC_iiiii.num_named_barrier, 0
	.set _ZN4vllm25paged_attention_v1_kernelIthLi256ELi16ELi128ELNS_18Fp8KVCacheDataTypeE1ELb1EEEvPT_PKS2_PKT0_S8_ifPKiSA_iPKfiiiSC_SC_iiiii.private_seg_size, 152
	.set _ZN4vllm25paged_attention_v1_kernelIthLi256ELi16ELi128ELNS_18Fp8KVCacheDataTypeE1ELb1EEEvPT_PKS2_PKT0_S8_ifPKiSA_iPKfiiiSC_SC_iiiii.uses_vcc, 1
	.set _ZN4vllm25paged_attention_v1_kernelIthLi256ELi16ELi128ELNS_18Fp8KVCacheDataTypeE1ELb1EEEvPT_PKS2_PKT0_S8_ifPKiSA_iPKfiiiSC_SC_iiiii.uses_flat_scratch, 0
	.set _ZN4vllm25paged_attention_v1_kernelIthLi256ELi16ELi128ELNS_18Fp8KVCacheDataTypeE1ELb1EEEvPT_PKS2_PKT0_S8_ifPKiSA_iPKfiiiSC_SC_iiiii.has_dyn_sized_stack, 0
	.set _ZN4vllm25paged_attention_v1_kernelIthLi256ELi16ELi128ELNS_18Fp8KVCacheDataTypeE1ELb1EEEvPT_PKS2_PKT0_S8_ifPKiSA_iPKfiiiSC_SC_iiiii.has_recursion, 0
	.set _ZN4vllm25paged_attention_v1_kernelIthLi256ELi16ELi128ELNS_18Fp8KVCacheDataTypeE1ELb1EEEvPT_PKS2_PKT0_S8_ifPKiSA_iPKfiiiSC_SC_iiiii.has_indirect_call, 0
	.section	.AMDGPU.csdata,"",@progbits
; Kernel info:
; codeLenInByte = 36036
; TotalNumSgprs: 64
; NumVgprs: 64
; ScratchSize: 152
; MemoryBound: 0
; FloatMode: 240
; IeeeMode: 1
; LDSByteSize: 528 bytes/workgroup (compile time only)
; SGPRBlocks: 7
; VGPRBlocks: 15
; NumSGPRsForWavesPerEU: 64
; NumVGPRsForWavesPerEU: 64
; Occupancy: 4
; WaveLimiterHint : 1
; COMPUTE_PGM_RSRC2:SCRATCH_EN: 1
; COMPUTE_PGM_RSRC2:USER_SGPR: 6
; COMPUTE_PGM_RSRC2:TRAP_HANDLER: 0
; COMPUTE_PGM_RSRC2:TGID_X_EN: 1
; COMPUTE_PGM_RSRC2:TGID_Y_EN: 1
; COMPUTE_PGM_RSRC2:TGID_Z_EN: 1
; COMPUTE_PGM_RSRC2:TIDIG_COMP_CNT: 0
	.section	.text._ZN4vllm25paged_attention_v1_kernelIthLi32ELi16ELi128ELNS_18Fp8KVCacheDataTypeE1ELb0EEEvPT_PKS2_PKT0_S8_ifPKiSA_iPKfiiiSC_SC_iiiii,"axG",@progbits,_ZN4vllm25paged_attention_v1_kernelIthLi32ELi16ELi128ELNS_18Fp8KVCacheDataTypeE1ELb0EEEvPT_PKS2_PKT0_S8_ifPKiSA_iPKfiiiSC_SC_iiiii,comdat
	.protected	_ZN4vllm25paged_attention_v1_kernelIthLi32ELi16ELi128ELNS_18Fp8KVCacheDataTypeE1ELb0EEEvPT_PKS2_PKT0_S8_ifPKiSA_iPKfiiiSC_SC_iiiii ; -- Begin function _ZN4vllm25paged_attention_v1_kernelIthLi32ELi16ELi128ELNS_18Fp8KVCacheDataTypeE1ELb0EEEvPT_PKS2_PKT0_S8_ifPKiSA_iPKfiiiSC_SC_iiiii
	.globl	_ZN4vllm25paged_attention_v1_kernelIthLi32ELi16ELi128ELNS_18Fp8KVCacheDataTypeE1ELb0EEEvPT_PKS2_PKT0_S8_ifPKiSA_iPKfiiiSC_SC_iiiii
	.p2align	8
	.type	_ZN4vllm25paged_attention_v1_kernelIthLi32ELi16ELi128ELNS_18Fp8KVCacheDataTypeE1ELb0EEEvPT_PKS2_PKT0_S8_ifPKiSA_iPKfiiiSC_SC_iiiii,@function
_ZN4vllm25paged_attention_v1_kernelIthLi32ELi16ELi128ELNS_18Fp8KVCacheDataTypeE1ELb0EEEvPT_PKS2_PKT0_S8_ifPKiSA_iPKfiiiSC_SC_iiiii: ; @_ZN4vllm25paged_attention_v1_kernelIthLi32ELi16ELi128ELNS_18Fp8KVCacheDataTypeE1ELb0EEEvPT_PKS2_PKT0_S8_ifPKiSA_iPKfiiiSC_SC_iiiii
; %bb.0:
	s_load_dword s9, s[4:5], 0x80
	s_load_dwordx2 s[0:1], s[4:5], 0x30
	s_load_dwordx2 s[30:31], s[4:5], 0x20
	s_mov_b32 s10, s7
	s_ashr_i32 s11, s7, 31
	s_lshl_b64 s[2:3], s[10:11], 2
	s_waitcnt lgkmcnt(0)
	s_add_u32 s0, s0, s2
	s_addc_u32 s1, s1, s3
	s_abs_i32 s2, s30
	v_cvt_f32_u32_e32 v1, s2
	s_sub_i32 s11, 0, s2
	s_abs_i32 s7, s9
	s_xor_b32 s3, s9, s30
	v_rcp_iflag_f32_e32 v1, v1
	s_ashr_i32 s3, s3, 31
	s_mov_b32 s33, 0
	v_mul_f32_e32 v1, 0x4f7ffffe, v1
	v_cvt_u32_f32_e32 v1, v1
	v_readfirstlane_b32 s12, v1
	s_mul_i32 s11, s11, s12
	s_mul_hi_u32 s11, s12, s11
	s_add_i32 s12, s12, s11
	s_mul_hi_u32 s11, s7, s12
	s_mul_i32 s12, s11, s2
	s_sub_i32 s7, s7, s12
	s_add_i32 s12, s11, 1
	s_sub_i32 s13, s7, s2
	s_cmp_ge_u32 s7, s2
	s_cselect_b32 s11, s12, s11
	s_cselect_b32 s7, s13, s7
	s_add_i32 s12, s11, 1
	s_cmp_ge_u32 s7, s2
	s_cselect_b32 s2, s12, s11
	s_xor_b32 s2, s2, s3
	s_sub_i32 s15, s2, s3
	s_abs_i32 s12, s15
	v_cvt_f32_u32_e32 v1, s12
	s_load_dwordx2 s[2:3], s[4:5], 0x40
	s_sub_i32 s7, 0, s12
	s_abs_i32 s13, s6
	v_rcp_iflag_f32_e32 v1, v1
	v_mul_f32_e32 v1, 0x4f7ffffe, v1
	v_cvt_u32_f32_e32 v1, v1
	v_readfirstlane_b32 s11, v1
	s_mul_i32 s7, s7, s11
	s_mul_hi_u32 s7, s11, s7
	s_add_i32 s11, s11, s7
	s_waitcnt lgkmcnt(0)
	s_cmp_eq_u64 s[2:3], 0
	s_mul_hi_u32 s14, s13, s11
	s_cbranch_scc1 .LBB245_2
; %bb.1:
	s_ashr_i32 s7, s6, 31
	s_lshl_b64 s[16:17], s[6:7], 2
	s_add_u32 s2, s2, s16
	s_addc_u32 s3, s3, s17
	s_load_dword s33, s[2:3], 0x0
.LBB245_2:
	s_load_dword s11, s[0:1], 0x0
	s_load_dwordx4 s[16:19], s[4:5], 0x48
	s_ashr_i32 s2, s6, 31
	s_ashr_i32 s3, s15, 31
	v_and_b32_e32 v3, 3, v0
	s_lshl_b32 s20, s6, 5
	v_cmp_gt_u32_e32 vcc, 16, v0
	s_and_saveexec_b64 s[0:1], vcc
	s_cbranch_execz .LBB245_4
; %bb.3:
	s_load_dwordx2 s[6:7], s[4:5], 0x8
	s_waitcnt lgkmcnt(0)
	s_mul_i32 s22, s16, s10
	s_ashr_i32 s23, s22, 31
	s_lshl_b64 s[22:23], s[22:23], 1
	v_lshlrev_b32_e32 v1, 2, v0
	s_add_u32 s15, s6, s22
	s_addc_u32 s16, s7, s23
	s_ashr_i32 s21, s20, 31
	s_lshl_b64 s[6:7], s[20:21], 1
	s_add_u32 s6, s15, s6
	s_addc_u32 s7, s16, s7
	global_load_dword v1, v1, s[6:7]
	v_and_b32_e32 v2, 0x3fc, v0
	v_lshl_add_u32 v2, v3, 4, v2
	s_waitcnt vmcnt(0)
	ds_write_b32 v2, v1
.LBB245_4:
	s_or_b64 exec, exec, s[0:1]
	s_waitcnt lgkmcnt(0)
	s_add_i32 s1, s11, 15
	s_ashr_i32 s6, s1, 31
	s_lshr_b32 s6, s6, 28
	s_add_i32 s1, s1, s6
	s_ashr_i32 s30, s1, 4
	s_xor_b32 s1, s2, s3
	s_mul_i32 s2, s14, s12
	s_sub_i32 s2, s13, s2
	s_add_i32 s3, s14, 1
	s_sub_i32 s6, s2, s12
	s_load_dwordx2 s[24:25], s[4:5], 0x28
	s_load_dword s0, s[4:5], 0x38
	s_cmp_ge_u32 s2, s12
	s_cselect_b32 s3, s3, s14
	s_cselect_b32 s2, s6, s2
	s_add_i32 s6, s3, 1
	s_cmp_ge_u32 s2, s12
	s_cselect_b32 s2, s6, s3
	v_lshrrev_b32_e32 v10, 6, v0
	s_xor_b32 s2, s2, s1
	s_waitcnt lgkmcnt(0)
	s_mul_i32 s26, s0, s10
	s_sub_i32 s16, s2, s1
	s_ashr_i32 s27, s26, 31
	v_cmp_gt_i32_e64 s[0:1], s30, v10
	v_cmp_le_i32_e32 vcc, s30, v10
	v_mbcnt_lo_u32_b32 v8, -1, 0
	s_barrier
                                        ; implicit-def: $vgpr13
                                        ; implicit-def: $vgpr7
                                        ; implicit-def: $vgpr1
	s_and_saveexec_b64 s[2:3], vcc
	s_xor_b64 s[2:3], exec, s[2:3]
; %bb.5:
	v_mbcnt_hi_u32_b32 v13, -1, v8
	v_and_b32_e32 v7, 64, v13
	v_add_u32_e32 v1, 64, v7
                                        ; implicit-def: $vgpr3
                                        ; implicit-def: $vgpr8
; %bb.6:
	s_or_saveexec_b64 s[6:7], s[2:3]
	s_load_dwordx2 s[22:23], s[4:5], 0x0
	s_load_dwordx2 s[28:29], s[4:5], 0x18
	s_load_dword s21, s[4:5], 0x88
	s_load_dwordx4 s[12:15], s[4:5], 0x58
	v_mov_b32_e32 v11, 0xff7fffff
	s_mul_i32 s16, s16, s18
	v_lshrrev_b32_e32 v9, 4, v0
	s_xor_b64 exec, exec, s[6:7]
	s_cbranch_execz .LBB245_60
; %bb.7:
	s_load_dwordx2 s[2:3], s[4:5], 0x10
	s_ashr_i32 s4, s16, 31
	v_bfe_u32 v1, v0, 2, 4
	v_lshlrev_b32_e32 v4, 4, v1
	v_lshlrev_b32_e32 v6, 1, v3
	s_waitcnt lgkmcnt(0)
	s_add_u32 s2, s2, s16
	s_addc_u32 s3, s3, s4
	v_mov_b32_e32 v5, s3
	v_add_co_u32_e32 v4, vcc, s2, v4
	v_addc_co_u32_e32 v5, vcc, 0, v5, vcc
	v_lshlrev_b32_e32 v12, 4, v3
	v_cmp_eq_u32_e32 vcc, 0, v3
	v_add_co_u32_e64 v3, s[4:5], v4, v6
	v_addc_co_u32_e64 v4, s[4:5], 0, v5, s[4:5]
	s_sub_i32 s41, 1, s11
	v_lshl_or_b32 v14, v10, 4, v1
	v_lshlrev_b32_e32 v1, 2, v1
	s_lshl_b64 s[4:5], s[26:27], 2
	v_lshl_or_b32 v1, v10, 6, v1
	s_add_u32 s4, s24, s4
	v_add_u32_e32 v15, 0x50, v1
	v_and_b32_e32 v1, 60, v9
	s_addc_u32 s5, s25, s5
	v_mov_b32_e32 v6, s5
	v_add_co_u32_e64 v5, s[4:5], s4, v1
	s_mov_b32 s40, s17
	v_mov_b32_e32 v2, 0
	v_cmp_neq_f32_e64 s[2:3], s33, 0
	v_addc_co_u32_e64 v6, s[4:5], 0, v6, s[4:5]
	v_mov_b32_e32 v11, 0xff7fffff
	s_mov_b64 s[18:19], 0
	s_movk_i32 s42, 0x80
	s_movk_i32 s43, 0x7f
	s_mov_b32 s44, 0x8000
	v_mbcnt_hi_u32_b32 v13, -1, v8
	v_mov_b32_e32 v16, 0x2000
	v_mov_b32_e32 v17, v10
	s_branch .LBB245_9
.LBB245_8:                              ;   in Loop: Header=BB245_9 Depth=1
	s_or_b64 exec, exec, s[34:35]
	v_add_u32_e32 v17, 2, v17
	v_cmp_le_i32_e64 s[4:5], s30, v17
	s_or_b64 s[18:19], s[4:5], s[18:19]
	v_add_co_u32_e64 v5, s[4:5], 8, v5
	v_add_u32_e32 v14, 32, v14
	v_add_u32_e32 v15, 0x80, v15
	v_addc_co_u32_e64 v6, s[4:5], 0, v6, s[4:5]
	s_andn2_b64 exec, exec, s[18:19]
	s_cbranch_execz .LBB245_59
.LBB245_9:                              ; =>This Inner Loop Header: Depth=1
	global_load_dword v1, v[5:6], off
	s_waitcnt vmcnt(0)
	v_mad_i64_i32 v[7:8], s[4:5], v1, s40, v[3:4]
	global_load_ushort v19, v[7:8], off
	s_waitcnt lgkmcnt(0)
	global_load_dword v18, v2, s[12:13]
	s_waitcnt vmcnt(1)
	v_and_b32_e32 v1, 0xffff, v19
	v_cmp_ne_u16_sdwa s[4:5], v19, v2 src0_sel:BYTE_0 src1_sel:DWORD
	v_mov_b32_e32 v19, 0
	s_and_saveexec_b64 s[34:35], s[4:5]
	s_cbranch_execz .LBB245_15
; %bb.10:                               ;   in Loop: Header=BB245_9 Depth=1
	v_cmp_ne_u16_sdwa s[4:5], v1, s42 src0_sel:BYTE_0 src1_sel:DWORD
	v_mov_b32_e32 v19, 0x8000
	s_and_saveexec_b64 s[36:37], s[4:5]
	s_cbranch_execz .LBB245_14
; %bb.11:                               ;   in Loop: Header=BB245_9 Depth=1
	v_and_b32_e32 v20, 0x7f, v1
	v_cmp_ne_u32_e64 s[4:5], s43, v20
	v_mov_b32_e32 v19, 0x7c01
	s_and_saveexec_b64 s[38:39], s[4:5]
	s_cbranch_execz .LBB245_13
; %bb.12:                               ;   in Loop: Header=BB245_9 Depth=1
	v_and_b32_e32 v19, 7, v1
	v_ffbh_u32_e32 v21, v19
	v_min_u32_e32 v24, 32, v21
	v_subrev_u32_e32 v21, 28, v24
	v_lshlrev_b64 v[21:22], v21, v[1:2]
	v_lshrrev_b32_e32 v23, 3, v20
	v_sub_u32_e32 v22, 29, v24
	v_cmp_gt_u32_e64 s[4:5], 8, v20
	v_cndmask_b32_e64 v20, v23, v22, s[4:5]
	v_lshl_add_u32 v20, v20, 10, v16
	v_lshlrev_b32_e32 v22, 8, v1
	v_and_b32_e32 v21, 7, v21
	v_and_b32_e32 v20, 0xfc00, v20
	v_cndmask_b32_e64 v19, v19, v21, s[4:5]
	v_and_or_b32 v20, v22, s44, v20
	v_lshl_or_b32 v19, v19, 7, v20
.LBB245_13:                             ;   in Loop: Header=BB245_9 Depth=1
	s_or_b64 exec, exec, s[38:39]
.LBB245_14:                             ;   in Loop: Header=BB245_9 Depth=1
	s_or_b64 exec, exec, s[36:37]
.LBB245_15:                             ;   in Loop: Header=BB245_9 Depth=1
	s_or_b64 exec, exec, s[34:35]
	v_lshrrev_b16_e32 v1, 8, v1
	v_cmp_ne_u16_e64 s[4:5], 0, v1
	v_mov_b32_e32 v20, 0
	v_mov_b32_e32 v21, 0
	s_and_saveexec_b64 s[34:35], s[4:5]
	s_cbranch_execz .LBB245_21
; %bb.16:                               ;   in Loop: Header=BB245_9 Depth=1
	v_cmp_ne_u16_e64 s[4:5], s42, v1
	v_bfrev_b32_e32 v21, 1
	s_and_saveexec_b64 s[36:37], s[4:5]
	s_cbranch_execz .LBB245_20
; %bb.17:                               ;   in Loop: Header=BB245_9 Depth=1
	v_and_b32_e32 v22, 0x7f, v1
	v_cmp_ne_u32_e64 s[4:5], s43, v22
	v_mov_b32_e32 v21, 0x7c010000
	s_and_saveexec_b64 s[38:39], s[4:5]
	s_cbranch_execz .LBB245_19
; %bb.18:                               ;   in Loop: Header=BB245_9 Depth=1
	v_and_b32_e32 v21, 7, v1
	v_ffbh_u32_e32 v23, v21
	v_min_u32_e32 v26, 32, v23
	v_subrev_u32_e32 v23, 28, v26
	v_lshlrev_b64 v[23:24], v23, v[1:2]
	v_lshrrev_b32_e32 v25, 3, v22
	v_sub_u32_e32 v24, 29, v26
	v_cmp_gt_u32_e64 s[4:5], 8, v22
	v_cndmask_b32_e64 v22, v25, v24, s[4:5]
	v_lshlrev_b32_e32 v1, 8, v1
	v_lshl_add_u32 v22, v22, 10, v16
	v_and_b32_e32 v23, 7, v23
	v_and_or_b32 v1, v1, s44, v22
	v_cndmask_b32_e64 v21, v21, v23, s[4:5]
	v_lshlrev_b32_e32 v1, 16, v1
	v_lshl_or_b32 v21, v21, 23, v1
.LBB245_19:                             ;   in Loop: Header=BB245_9 Depth=1
	s_or_b64 exec, exec, s[38:39]
.LBB245_20:                             ;   in Loop: Header=BB245_9 Depth=1
	s_or_b64 exec, exec, s[36:37]
.LBB245_21:                             ;   in Loop: Header=BB245_9 Depth=1
	s_or_b64 exec, exec, s[34:35]
	global_load_ushort v22, v[7:8], off offset:8
	s_waitcnt vmcnt(0)
	v_and_b32_e32 v1, 0xffff, v22
	v_cmp_ne_u16_sdwa s[4:5], v22, v2 src0_sel:BYTE_0 src1_sel:DWORD
	s_and_saveexec_b64 s[34:35], s[4:5]
	s_cbranch_execz .LBB245_27
; %bb.22:                               ;   in Loop: Header=BB245_9 Depth=1
	v_cmp_ne_u16_sdwa s[4:5], v1, s42 src0_sel:BYTE_0 src1_sel:DWORD
	v_mov_b32_e32 v20, 0x8000
	s_and_saveexec_b64 s[36:37], s[4:5]
	s_cbranch_execz .LBB245_26
; %bb.23:                               ;   in Loop: Header=BB245_9 Depth=1
	v_and_b32_e32 v22, 0x7f, v1
	v_cmp_ne_u32_e64 s[4:5], s43, v22
	v_mov_b32_e32 v20, 0x7c01
	s_and_saveexec_b64 s[38:39], s[4:5]
	s_cbranch_execz .LBB245_25
; %bb.24:                               ;   in Loop: Header=BB245_9 Depth=1
	v_and_b32_e32 v20, 7, v1
	v_ffbh_u32_e32 v23, v20
	v_min_u32_e32 v26, 32, v23
	v_subrev_u32_e32 v23, 28, v26
	v_lshlrev_b64 v[23:24], v23, v[1:2]
	v_lshrrev_b32_e32 v25, 3, v22
	v_sub_u32_e32 v24, 29, v26
	v_cmp_gt_u32_e64 s[4:5], 8, v22
	v_cndmask_b32_e64 v22, v25, v24, s[4:5]
	v_lshl_add_u32 v22, v22, 10, v16
	v_lshlrev_b32_e32 v24, 8, v1
	v_and_b32_e32 v23, 7, v23
	v_and_b32_e32 v22, 0xfc00, v22
	v_cndmask_b32_e64 v20, v20, v23, s[4:5]
	v_and_or_b32 v22, v24, s44, v22
	v_lshl_or_b32 v20, v20, 7, v22
.LBB245_25:                             ;   in Loop: Header=BB245_9 Depth=1
	s_or_b64 exec, exec, s[38:39]
.LBB245_26:                             ;   in Loop: Header=BB245_9 Depth=1
	s_or_b64 exec, exec, s[36:37]
.LBB245_27:                             ;   in Loop: Header=BB245_9 Depth=1
	s_or_b64 exec, exec, s[34:35]
	v_lshrrev_b16_e32 v1, 8, v1
	v_cmp_ne_u16_e64 s[4:5], 0, v1
	v_mov_b32_e32 v22, 0
	v_mov_b32_e32 v23, 0
	s_and_saveexec_b64 s[34:35], s[4:5]
	s_cbranch_execz .LBB245_33
; %bb.28:                               ;   in Loop: Header=BB245_9 Depth=1
	v_cmp_ne_u16_e64 s[4:5], s42, v1
	v_bfrev_b32_e32 v23, 1
	s_and_saveexec_b64 s[36:37], s[4:5]
	s_cbranch_execz .LBB245_32
; %bb.29:                               ;   in Loop: Header=BB245_9 Depth=1
	v_and_b32_e32 v24, 0x7f, v1
	v_cmp_ne_u32_e64 s[4:5], s43, v24
	v_mov_b32_e32 v23, 0x7c010000
	s_and_saveexec_b64 s[38:39], s[4:5]
	s_cbranch_execz .LBB245_31
; %bb.30:                               ;   in Loop: Header=BB245_9 Depth=1
	v_and_b32_e32 v23, 7, v1
	v_ffbh_u32_e32 v25, v23
	v_min_u32_e32 v28, 32, v25
	v_subrev_u32_e32 v25, 28, v28
	v_lshlrev_b64 v[25:26], v25, v[1:2]
	v_lshrrev_b32_e32 v27, 3, v24
	v_sub_u32_e32 v26, 29, v28
	v_cmp_gt_u32_e64 s[4:5], 8, v24
	v_cndmask_b32_e64 v24, v27, v26, s[4:5]
	v_lshlrev_b32_e32 v1, 8, v1
	v_lshl_add_u32 v24, v24, 10, v16
	v_and_b32_e32 v25, 7, v25
	v_and_or_b32 v1, v1, s44, v24
	v_cndmask_b32_e64 v23, v23, v25, s[4:5]
	v_lshlrev_b32_e32 v1, 16, v1
	v_lshl_or_b32 v23, v23, 23, v1
.LBB245_31:                             ;   in Loop: Header=BB245_9 Depth=1
	s_or_b64 exec, exec, s[38:39]
.LBB245_32:                             ;   in Loop: Header=BB245_9 Depth=1
	s_or_b64 exec, exec, s[36:37]
.LBB245_33:                             ;   in Loop: Header=BB245_9 Depth=1
	s_or_b64 exec, exec, s[34:35]
	global_load_ushort v24, v[7:8], off offset:256
	s_waitcnt vmcnt(0)
	v_and_b32_e32 v1, 0xffff, v24
	v_cmp_ne_u16_sdwa s[4:5], v24, v2 src0_sel:BYTE_0 src1_sel:DWORD
	s_and_saveexec_b64 s[34:35], s[4:5]
	s_cbranch_execz .LBB245_39
; %bb.34:                               ;   in Loop: Header=BB245_9 Depth=1
	v_cmp_ne_u16_sdwa s[4:5], v1, s42 src0_sel:BYTE_0 src1_sel:DWORD
	v_mov_b32_e32 v22, 0x8000
	s_and_saveexec_b64 s[36:37], s[4:5]
	s_cbranch_execz .LBB245_38
; %bb.35:                               ;   in Loop: Header=BB245_9 Depth=1
	v_and_b32_e32 v24, 0x7f, v1
	v_cmp_ne_u32_e64 s[4:5], s43, v24
	v_mov_b32_e32 v22, 0x7c01
	s_and_saveexec_b64 s[38:39], s[4:5]
	s_cbranch_execz .LBB245_37
; %bb.36:                               ;   in Loop: Header=BB245_9 Depth=1
	v_and_b32_e32 v22, 7, v1
	v_ffbh_u32_e32 v25, v22
	v_min_u32_e32 v28, 32, v25
	v_subrev_u32_e32 v25, 28, v28
	v_lshlrev_b64 v[25:26], v25, v[1:2]
	v_lshrrev_b32_e32 v27, 3, v24
	v_sub_u32_e32 v26, 29, v28
	v_cmp_gt_u32_e64 s[4:5], 8, v24
	v_cndmask_b32_e64 v24, v27, v26, s[4:5]
	v_lshl_add_u32 v24, v24, 10, v16
	v_lshlrev_b32_e32 v26, 8, v1
	v_and_b32_e32 v25, 7, v25
	v_and_b32_e32 v24, 0xfc00, v24
	v_cndmask_b32_e64 v22, v22, v25, s[4:5]
	v_and_or_b32 v24, v26, s44, v24
	v_lshl_or_b32 v22, v22, 7, v24
.LBB245_37:                             ;   in Loop: Header=BB245_9 Depth=1
	s_or_b64 exec, exec, s[38:39]
.LBB245_38:                             ;   in Loop: Header=BB245_9 Depth=1
	s_or_b64 exec, exec, s[36:37]
.LBB245_39:                             ;   in Loop: Header=BB245_9 Depth=1
	s_or_b64 exec, exec, s[34:35]
	v_lshrrev_b16_e32 v1, 8, v1
	v_cmp_ne_u16_e64 s[4:5], 0, v1
	v_mov_b32_e32 v24, 0
	v_mov_b32_e32 v25, 0
	s_and_saveexec_b64 s[34:35], s[4:5]
	s_cbranch_execz .LBB245_45
; %bb.40:                               ;   in Loop: Header=BB245_9 Depth=1
	v_cmp_ne_u16_e64 s[4:5], s42, v1
	v_bfrev_b32_e32 v25, 1
	s_and_saveexec_b64 s[36:37], s[4:5]
	s_cbranch_execz .LBB245_44
; %bb.41:                               ;   in Loop: Header=BB245_9 Depth=1
	v_and_b32_e32 v26, 0x7f, v1
	v_cmp_ne_u32_e64 s[4:5], s43, v26
	v_mov_b32_e32 v25, 0x7c010000
	s_and_saveexec_b64 s[38:39], s[4:5]
	s_cbranch_execz .LBB245_43
; %bb.42:                               ;   in Loop: Header=BB245_9 Depth=1
	v_and_b32_e32 v25, 7, v1
	v_ffbh_u32_e32 v27, v25
	v_min_u32_e32 v30, 32, v27
	v_subrev_u32_e32 v27, 28, v30
	v_lshlrev_b64 v[27:28], v27, v[1:2]
	v_lshrrev_b32_e32 v29, 3, v26
	v_sub_u32_e32 v28, 29, v30
	v_cmp_gt_u32_e64 s[4:5], 8, v26
	v_cndmask_b32_e64 v26, v29, v28, s[4:5]
	v_lshlrev_b32_e32 v1, 8, v1
	v_lshl_add_u32 v26, v26, 10, v16
	v_and_b32_e32 v27, 7, v27
	v_and_or_b32 v1, v1, s44, v26
	v_cndmask_b32_e64 v25, v25, v27, s[4:5]
	v_lshlrev_b32_e32 v1, 16, v1
	v_lshl_or_b32 v25, v25, 23, v1
.LBB245_43:                             ;   in Loop: Header=BB245_9 Depth=1
	s_or_b64 exec, exec, s[38:39]
.LBB245_44:                             ;   in Loop: Header=BB245_9 Depth=1
	s_or_b64 exec, exec, s[36:37]
.LBB245_45:                             ;   in Loop: Header=BB245_9 Depth=1
	s_or_b64 exec, exec, s[34:35]
	global_load_ushort v7, v[7:8], off offset:264
	s_waitcnt vmcnt(0)
	v_and_b32_e32 v1, 0xffff, v7
	v_cmp_ne_u16_sdwa s[4:5], v7, v2 src0_sel:BYTE_0 src1_sel:DWORD
	s_and_saveexec_b64 s[34:35], s[4:5]
	s_cbranch_execz .LBB245_51
; %bb.46:                               ;   in Loop: Header=BB245_9 Depth=1
	v_cmp_ne_u16_sdwa s[4:5], v1, s42 src0_sel:BYTE_0 src1_sel:DWORD
	v_mov_b32_e32 v24, 0x8000
	s_and_saveexec_b64 s[36:37], s[4:5]
	s_cbranch_execz .LBB245_50
; %bb.47:                               ;   in Loop: Header=BB245_9 Depth=1
	v_and_b32_e32 v7, 0x7f, v1
	v_cmp_ne_u32_e64 s[4:5], s43, v7
	v_mov_b32_e32 v24, 0x7c01
	s_and_saveexec_b64 s[38:39], s[4:5]
	s_cbranch_execz .LBB245_49
; %bb.48:                               ;   in Loop: Header=BB245_9 Depth=1
	v_and_b32_e32 v8, 7, v1
	v_ffbh_u32_e32 v26, v8
	v_min_u32_e32 v28, 32, v26
	v_subrev_u32_e32 v26, 28, v28
	v_lshlrev_b64 v[26:27], v26, v[1:2]
	v_lshrrev_b32_e32 v24, 3, v7
	v_sub_u32_e32 v27, 29, v28
	v_cmp_gt_u32_e64 s[4:5], 8, v7
	v_cndmask_b32_e64 v7, v24, v27, s[4:5]
	v_lshl_add_u32 v7, v7, 10, v16
	v_lshlrev_b32_e32 v24, 8, v1
	v_and_b32_e32 v26, 7, v26
	v_and_b32_e32 v7, 0xfc00, v7
	v_cndmask_b32_e64 v8, v8, v26, s[4:5]
	v_and_or_b32 v7, v24, s44, v7
	v_lshl_or_b32 v24, v8, 7, v7
.LBB245_49:                             ;   in Loop: Header=BB245_9 Depth=1
	s_or_b64 exec, exec, s[38:39]
.LBB245_50:                             ;   in Loop: Header=BB245_9 Depth=1
	s_or_b64 exec, exec, s[36:37]
.LBB245_51:                             ;   in Loop: Header=BB245_9 Depth=1
	s_or_b64 exec, exec, s[34:35]
	v_lshrrev_b16_e32 v1, 8, v1
	v_cmp_ne_u16_e64 s[4:5], 0, v1
	v_mov_b32_e32 v7, 0
	s_and_saveexec_b64 s[34:35], s[4:5]
	s_cbranch_execz .LBB245_57
; %bb.52:                               ;   in Loop: Header=BB245_9 Depth=1
	v_cmp_ne_u16_e64 s[4:5], s42, v1
	v_bfrev_b32_e32 v7, 1
	s_and_saveexec_b64 s[36:37], s[4:5]
	s_cbranch_execz .LBB245_56
; %bb.53:                               ;   in Loop: Header=BB245_9 Depth=1
	v_and_b32_e32 v8, 0x7f, v1
	v_cmp_ne_u32_e64 s[4:5], s43, v8
	v_mov_b32_e32 v7, 0x7c010000
	s_and_saveexec_b64 s[38:39], s[4:5]
	s_cbranch_execz .LBB245_55
; %bb.54:                               ;   in Loop: Header=BB245_9 Depth=1
	v_and_b32_e32 v7, 7, v1
	v_ffbh_u32_e32 v26, v7
	v_min_u32_e32 v29, 32, v26
	v_subrev_u32_e32 v26, 28, v29
	v_lshlrev_b64 v[26:27], v26, v[1:2]
	v_lshrrev_b32_e32 v28, 3, v8
	v_sub_u32_e32 v27, 29, v29
	v_cmp_gt_u32_e64 s[4:5], 8, v8
	v_cndmask_b32_e64 v8, v28, v27, s[4:5]
	v_lshlrev_b32_e32 v1, 8, v1
	v_lshl_add_u32 v8, v8, 10, v16
	v_and_b32_e32 v26, 7, v26
	v_and_or_b32 v1, v1, s44, v8
	v_cndmask_b32_e64 v7, v7, v26, s[4:5]
	v_lshlrev_b32_e32 v1, 16, v1
	v_lshl_or_b32 v7, v7, 23, v1
.LBB245_55:                             ;   in Loop: Header=BB245_9 Depth=1
	s_or_b64 exec, exec, s[38:39]
.LBB245_56:                             ;   in Loop: Header=BB245_9 Depth=1
	s_or_b64 exec, exec, s[36:37]
.LBB245_57:                             ;   in Loop: Header=BB245_9 Depth=1
	s_or_b64 exec, exec, s[34:35]
	v_or_b32_e32 v1, v21, v19
	v_or_b32_e32 v19, v23, v20
	ds_read_b32 v20, v12
	v_fma_mixlo_f16 v1, v18, v1, 0 op_sel_hi:[0,1,0]
	v_fma_mixlo_f16 v8, v18, v21, 0 op_sel:[0,1,0] op_sel_hi:[0,1,0]
	v_fma_mixlo_f16 v19, v18, v19, 0 op_sel_hi:[0,1,0]
	v_and_b32_e32 v27, 0xffff, v19
	v_or_b32_e32 v19, v25, v22
	s_waitcnt lgkmcnt(0)
	v_lshrrev_b32_e32 v22, 16, v20
	v_and_b32_e32 v20, 0xffff, v20
	v_and_b32_e32 v8, 0xffff, v8
	;; [unrolled: 1-line block ×3, first 2 shown]
	v_fma_mixlo_f16 v21, v18, v23, 0 op_sel:[0,1,0] op_sel_hi:[0,1,0]
	;;#ASMSTART
	v_cvt_f32_f16 v20, v20;
	;;#ASMEND
	;;#ASMSTART
	v_cvt_f32_f16 v22, v22;
	;;#ASMEND
	;; [unrolled: 3-line block ×4, first 2 shown]
	ds_read_b32 v23, v12 offset:4
	v_and_b32_e32 v28, 0xffff, v21
	v_or_b32_e32 v24, v7, v24
	v_fma_mixlo_f16 v19, v18, v19, 0 op_sel_hi:[0,1,0]
	v_fma_mixlo_f16 v25, v18, v25, 0 op_sel:[0,1,0] op_sel_hi:[0,1,0]
	s_waitcnt lgkmcnt(0)
	v_lshrrev_b32_e32 v26, 16, v23
	v_and_b32_e32 v23, 0xffff, v23
	;;#ASMSTART
	v_cvt_f32_f16 v23, v23;
	;;#ASMEND
	;;#ASMSTART
	v_cvt_f32_f16 v26, v26;
	;;#ASMEND
	;; [unrolled: 3-line block ×4, first 2 shown]
	ds_read_b32 v28, v12 offset:8
	v_fma_mixlo_f16 v24, v18, v24, 0 op_sel_hi:[0,1,0]
	v_fma_mixlo_f16 v7, v18, v7, 0 op_sel:[0,1,0] op_sel_hi:[0,1,0]
	v_mul_f32_e32 v18, v23, v21
	v_fmac_f32_e32 v18, v20, v1
	s_waitcnt lgkmcnt(0)
	v_lshrrev_b32_e32 v20, 16, v28
	v_and_b32_e32 v1, 0xffff, v28
	v_and_b32_e32 v21, 0xffff, v25
	v_and_b32_e32 v19, 0xffff, v19
	;;#ASMSTART
	v_cvt_f32_f16 v1, v1;
	;;#ASMEND
	;;#ASMSTART
	v_cvt_f32_f16 v20, v20;
	;;#ASMEND
	;; [unrolled: 3-line block ×4, first 2 shown]
	ds_read_b32 v23, v12 offset:12
	v_and_b32_e32 v29, 0xffff, v24
	v_mul_f32_e32 v24, v26, v27
	v_fmac_f32_e32 v24, v22, v8
	v_fmac_f32_e32 v18, v1, v19
	s_waitcnt lgkmcnt(0)
	v_lshrrev_b32_e32 v8, 16, v23
	v_and_b32_e32 v1, 0xffff, v23
	v_fmac_f32_e32 v24, v20, v21
	;;#ASMSTART
	v_cvt_f32_f16 v1, v1;
	;;#ASMEND
	;;#ASMSTART
	v_cvt_f32_f16 v8, v8;
	;;#ASMEND
	v_and_b32_e32 v19, 0xffff, v7
	;;#ASMSTART
	v_cvt_f32_f16 v7, v29;
	;;#ASMEND
	;;#ASMSTART
	v_cvt_f32_f16 v19, v19;
	;;#ASMEND
	v_fmac_f32_e32 v18, v1, v7
	v_fmac_f32_e32 v24, v8, v19
	v_and_b32_e32 v7, 64, v13
	v_add_f32_e32 v8, v18, v24
	v_add_u32_e32 v1, 64, v7
	v_xor_b32_e32 v18, 2, v13
	v_cmp_lt_i32_e64 s[4:5], v18, v1
	v_cndmask_b32_e64 v18, v13, v18, s[4:5]
	v_lshlrev_b32_e32 v18, 2, v18
	ds_bpermute_b32 v18, v18, v8
	s_waitcnt lgkmcnt(0)
	v_add_f32_e32 v8, v8, v18
	v_xor_b32_e32 v18, 1, v13
	v_cmp_lt_i32_e64 s[4:5], v18, v1
	v_cndmask_b32_e64 v18, v13, v18, s[4:5]
	v_lshlrev_b32_e32 v18, 2, v18
	ds_bpermute_b32 v18, v18, v8
	s_and_saveexec_b64 s[34:35], vcc
	s_cbranch_execz .LBB245_8
; %bb.58:                               ;   in Loop: Header=BB245_9 Depth=1
	v_add_u32_e32 v19, s41, v14
	v_cvt_f32_i32_e32 v19, v19
	s_waitcnt lgkmcnt(0)
	v_add_f32_e32 v8, v8, v18
	v_cmp_gt_i32_e64 s[4:5], s11, v14
	v_max_f32_e32 v18, v11, v11
	v_mul_f32_e32 v19, s33, v19
	v_cndmask_b32_e64 v19, 0, v19, s[2:3]
	v_fmac_f32_e32 v19, s31, v8
	v_cndmask_b32_e64 v8, 0, v19, s[4:5]
	ds_write_b32 v15, v8
	v_max_f32_e32 v8, v18, v19
	v_cndmask_b32_e64 v11, v11, v8, s[4:5]
	s_branch .LBB245_8
.LBB245_59:
	s_or_b64 exec, exec, s[18:19]
.LBB245_60:
	s_or_b64 exec, exec, s[6:7]
	v_xor_b32_e32 v2, 32, v13
	v_cmp_lt_i32_e32 vcc, v2, v1
	v_cndmask_b32_e32 v2, v13, v2, vcc
	v_lshlrev_b32_e32 v2, 2, v2
	ds_bpermute_b32 v3, v2, v11
	v_xor_b32_e32 v5, 16, v13
	v_max_f32_e32 v4, v11, v11
	v_cmp_lt_i32_e32 vcc, v5, v1
	v_xor_b32_e32 v6, 8, v13
	s_waitcnt lgkmcnt(0)
	v_max_f32_e32 v3, v3, v3
	v_max_f32_e32 v4, v4, v3
	v_cndmask_b32_e32 v3, v13, v5, vcc
	v_lshlrev_b32_e32 v3, 2, v3
	ds_bpermute_b32 v5, v3, v4
	v_cmp_lt_i32_e32 vcc, v6, v1
	v_xor_b32_e32 v8, 4, v13
	v_and_b32_e32 v11, 63, v0
	s_waitcnt lgkmcnt(0)
	v_max_f32_e32 v5, v5, v5
	v_max_f32_e32 v4, v4, v5
	v_cndmask_b32_e32 v5, v13, v6, vcc
	v_lshlrev_b32_e32 v6, 2, v5
	ds_bpermute_b32 v5, v6, v4
	v_cmp_lt_i32_e32 vcc, v8, v1
	s_waitcnt lgkmcnt(0)
	v_max_f32_e32 v5, v5, v5
	v_max_f32_e32 v5, v4, v5
	v_cndmask_b32_e32 v4, v13, v8, vcc
	v_lshlrev_b32_e32 v8, 2, v4
	ds_bpermute_b32 v12, v8, v5
	v_cmp_eq_u32_e32 vcc, 0, v11
	v_lshlrev_b32_e32 v4, 2, v10
	s_and_saveexec_b64 s[2:3], vcc
	s_cbranch_execz .LBB245_62
; %bb.61:
	s_waitcnt lgkmcnt(0)
	v_max_f32_e32 v12, v12, v12
	v_max_f32_e32 v5, v5, v5
	v_max_f32_e32 v5, v5, v12
	ds_write_b32 v4, v5 offset:64
.LBB245_62:
	s_or_b64 exec, exec, s[2:3]
	v_cmp_gt_u32_e64 s[2:3], 2, v11
	v_mov_b32_e32 v14, 0xff7fffff
	v_lshlrev_b32_e32 v5, 2, v11
	s_waitcnt lgkmcnt(0)
	s_barrier
	s_and_saveexec_b64 s[4:5], s[2:3]
; %bb.63:
	ds_read_b32 v14, v5 offset:64
; %bb.64:
	s_or_b64 exec, exec, s[4:5]
	v_xor_b32_e32 v12, 1, v13
	v_cmp_lt_i32_e64 s[4:5], v12, v1
	v_cndmask_b32_e64 v12, v13, v12, s[4:5]
	v_lshlrev_b32_e32 v12, 2, v12
	s_waitcnt lgkmcnt(0)
	ds_bpermute_b32 v15, v12, v14
	v_max_f32_e32 v14, v14, v14
	v_lshlrev_b32_e32 v7, 2, v7
	s_lshl_b32 s4, s30, 4
	s_min_i32 s31, s4, s11
	s_waitcnt lgkmcnt(0)
	v_max_f32_e32 v15, v15, v15
	v_max_f32_e32 v14, v14, v15
	ds_bpermute_b32 v14, v7, v14
	v_cmp_gt_i32_e64 s[4:5], s31, v0
	v_mov_b32_e32 v7, 0
	s_and_saveexec_b64 s[12:13], s[4:5]
	s_cbranch_execz .LBB245_68
; %bb.65:
	v_mov_b32_e32 v7, 0x50
	v_lshl_add_u32 v15, v0, 2, v7
	v_mov_b32_e32 v7, 0
	s_mov_b64 s[18:19], 0
	v_mov_b32_e32 v16, v0
.LBB245_66:                             ; =>This Inner Loop Header: Depth=1
	ds_read_b32 v17, v15
	v_add_u32_e32 v16, 0x80, v16
	v_cmp_le_i32_e64 s[6:7], s31, v16
	s_or_b64 s[18:19], s[6:7], s[18:19]
	s_waitcnt lgkmcnt(0)
	v_sub_f32_e32 v17, v17, v14
	v_mul_f32_e32 v17, 0x3fb8aa3b, v17
	v_exp_f32_e32 v17, v17
	ds_write_b32 v15, v17
	v_add_f32_e32 v7, v7, v17
	v_add_u32_e32 v15, 0x200, v15
	s_andn2_b64 exec, exec, s[18:19]
	s_cbranch_execnz .LBB245_66
; %bb.67:
	s_or_b64 exec, exec, s[18:19]
.LBB245_68:
	s_or_b64 exec, exec, s[12:13]
	ds_bpermute_b32 v2, v2, v7
	s_waitcnt lgkmcnt(0)
	v_add_f32_e32 v2, v7, v2
	ds_bpermute_b32 v3, v3, v2
	s_waitcnt lgkmcnt(0)
	v_add_f32_e32 v2, v2, v3
	ds_bpermute_b32 v3, v6, v2
	v_xor_b32_e32 v6, 2, v13
	v_cmp_lt_i32_e64 s[6:7], v6, v1
	v_cndmask_b32_e64 v1, v13, v6, s[6:7]
	v_lshlrev_b32_e32 v1, 2, v1
	s_waitcnt lgkmcnt(0)
	v_add_f32_e32 v2, v2, v3
	ds_bpermute_b32 v3, v8, v2
	s_waitcnt lgkmcnt(0)
	v_add_f32_e32 v2, v2, v3
	ds_bpermute_b32 v1, v1, v2
	;; [unrolled: 3-line block ×3, first 2 shown]
	s_waitcnt lgkmcnt(0)
	v_add_f32_e32 v1, v1, v2
	s_and_saveexec_b64 s[6:7], vcc
; %bb.69:
	ds_write_b32 v4, v1 offset:72
; %bb.70:
	s_or_b64 exec, exec, s[6:7]
	s_waitcnt lgkmcnt(0)
	s_barrier
	s_and_saveexec_b64 s[6:7], s[2:3]
; %bb.71:
	ds_read_b32 v1, v5 offset:72
; %bb.72:
	s_or_b64 exec, exec, s[6:7]
	s_waitcnt lgkmcnt(0)
	ds_bpermute_b32 v2, v12, v1
	v_lshlrev_b32_e32 v3, 2, v13
	s_waitcnt lgkmcnt(0)
	v_add_f32_e32 v1, v1, v2
	v_and_b32_e32 v2, 0xffffff00, v3
	ds_bpermute_b32 v1, v2, v1
	s_and_saveexec_b64 s[2:3], s[4:5]
	s_cbranch_execz .LBB245_75
; %bb.73:
	s_waitcnt lgkmcnt(0)
	v_add_f32_e32 v2, 0x358637bd, v1
	v_div_scale_f32 v1, s[4:5], v2, v2, 1.0
	v_div_scale_f32 v3, vcc, 1.0, v2, 1.0
	s_mov_b64 s[4:5], 0
	v_rcp_f32_e32 v4, v1
	v_fma_f32 v5, -v1, v4, 1.0
	v_fmac_f32_e32 v4, v5, v4
	v_mul_f32_e32 v5, v3, v4
	v_fma_f32 v6, -v1, v5, v3
	v_fmac_f32_e32 v5, v6, v4
	v_fma_f32 v1, -v1, v5, v3
	v_div_fmas_f32 v3, v1, v4, v5
	v_mov_b32_e32 v1, 0x50
	v_lshl_add_u32 v1, v0, 2, v1
	v_div_fixup_f32 v2, v3, v2, 1.0
	v_mov_b32_e32 v3, v0
.LBB245_74:                             ; =>This Inner Loop Header: Depth=1
	ds_read_b32 v4, v1
	v_add_u32_e32 v3, 0x80, v3
	v_cmp_le_i32_e32 vcc, s31, v3
	s_or_b64 s[4:5], vcc, s[4:5]
	s_waitcnt lgkmcnt(0)
	v_mul_f32_e32 v4, v2, v4
	ds_write_b32 v1, v4
	v_add_u32_e32 v1, 0x200, v1
	s_andn2_b64 exec, exec, s[4:5]
	s_cbranch_execnz .LBB245_74
.LBB245_75:
	s_or_b64 exec, exec, s[2:3]
	v_mov_b32_e32 v15, 0
	s_waitcnt lgkmcnt(0)
	s_barrier
	s_and_saveexec_b64 s[2:3], s[0:1]
	s_cbranch_execz .LBB245_129
; %bb.76:
	v_lshlrev_b32_e32 v1, 3, v0
	s_ashr_i32 s0, s16, 31
	v_and_b32_e32 v5, 8, v1
	s_add_u32 s1, s28, s16
	v_and_b32_e32 v1, 0x1f8, v1
	v_add_co_u32_e32 v3, vcc, s1, v1
	v_lshlrev_b32_e32 v1, 4, v10
	s_addc_u32 s0, s29, s0
	v_or3_b32 v13, v1, v5, 7
	v_and_b32_e32 v1, 1, v0
	v_mov_b32_e32 v4, s0
	s_add_i32 s19, s30, -1
	v_lshlrev_b32_e32 v1, 5, v1
	s_lshl_b64 s[0:1], s[26:27], 2
	v_lshl_or_b32 v1, v10, 6, v1
	s_add_u32 s0, s24, s0
	v_addc_co_u32_e32 v4, vcc, 0, v4, vcc
	v_add_u32_e32 v14, 0x50, v1
	v_and_b32_e32 v1, 60, v9
	s_addc_u32 s1, s25, s1
	s_mov_b32 s4, -1
	v_mov_b32_e32 v6, s1
	v_add_co_u32_e32 v5, vcc, s0, v1
	s_mov_b32 s18, s17
	v_mov_b32_e32 v2, 0
	s_mov_b32 s5, 0xffffff
	v_addc_co_u32_e32 v6, vcc, 0, v6, vcc
	s_mov_b64 s[6:7], 0
	s_movk_i32 s24, 0x7f
	s_movk_i32 s25, 0x80
	s_mov_b32 s26, 0xffff
	s_mov_b32 s27, 0x8000
	v_mov_b32_e32 v16, 0x2000
	v_mov_b32_e32 v17, 0x7c01
	;; [unrolled: 1-line block ×3, first 2 shown]
	v_bfrev_b32_e32 v19, 1
	v_mov_b32_e32 v15, 0
	s_branch .LBB245_78
.LBB245_77:                             ;   in Loop: Header=BB245_78 Depth=1
	s_or_b64 exec, exec, s[0:1]
	v_and_b32_e32 v8, 0xffff, v20
	v_and_b32_e32 v20, 0xffff, v22
	v_lshl_or_b32 v8, v21, 16, v8
	v_lshl_or_b32 v20, v23, 16, v20
	v_and_b32_e32 v21, 0xffff, v24
	v_and_b32_e32 v22, 0xffff, v26
	;;#ASMSTART
	v_pk_mul_f16 v7, v8, v7;

	;;#ASMEND
	;;#ASMSTART
	v_pk_mul_f16 v1, v20, v1;

	;;#ASMEND
	v_lshl_or_b32 v21, v25, 16, v21
	v_lshl_or_b32 v22, v27, 16, v22
	;;#ASMSTART
	v_pk_mul_f16 v8, v21, v9;

	;;#ASMEND
	;;#ASMSTART
	v_pk_mul_f16 v9, v22, v33;

	;;#ASMEND
	;;#ASMSTART
	v_pk_add_f16 v1, v7, v1;

	;;#ASMEND
	;;#ASMSTART
	v_pk_add_f16 v1, v1, v8;
	;; [unrolled: 4-line block ×3, first 2 shown]

	;;#ASMEND
	v_lshrrev_b32_e32 v7, 16, v1
	v_and_b32_e32 v1, 0xffff, v1
	v_add_u32_e32 v10, 2, v10
	;;#ASMSTART
	v_cvt_f32_f16 v1, v1;
	;;#ASMEND
	v_cmp_le_i32_e32 vcc, s30, v10
	;;#ASMSTART
	v_cvt_f32_f16 v7, v7;
	;;#ASMEND
	v_add_f32_e32 v1, v1, v7
	s_or_b64 s[6:7], vcc, s[6:7]
	v_add_co_u32_e32 v5, vcc, 8, v5
	v_add_f32_e32 v15, v15, v1
	v_add_u32_e32 v13, 32, v13
	v_add_u32_e32 v14, 0x80, v14
	v_addc_co_u32_e32 v6, vcc, 0, v6, vcc
	s_andn2_b64 exec, exec, s[6:7]
	s_cbranch_execz .LBB245_128
.LBB245_78:                             ; =>This Inner Loop Header: Depth=1
	ds_read2_b64 v[20:23], v14 offset1:1
	ds_read2_b64 v[24:27], v14 offset0:2 offset1:3
	s_waitcnt lgkmcnt(1)
	;;#ASMSTART
	v_cvt_f16_f32 v20, v20;

	;;#ASMEND
	;;#ASMSTART
	v_cvt_f16_f32 v21, v21;

	;;#ASMEND
	;;#ASMSTART
	v_cvt_f16_f32 v22, v22;

	;;#ASMEND
	;;#ASMSTART
	v_cvt_f16_f32 v23, v23;

	;;#ASMEND
	s_waitcnt lgkmcnt(0)
	;;#ASMSTART
	v_cvt_f16_f32 v24, v24;

	;;#ASMEND
	;;#ASMSTART
	v_cvt_f16_f32 v25, v25;

	;;#ASMEND
	;; [unrolled: 4-line block ×4, first 2 shown]
	global_load_dword v1, v[5:6], off
	s_waitcnt vmcnt(0)
	v_mad_i64_i32 v[29:30], s[0:1], v1, s18, v[3:4]
	global_load_dwordx2 v[7:8], v[29:30], off
	global_load_dword v28, v2, s[14:15]
	s_mov_b64 s[0:1], 0
	s_waitcnt vmcnt(1)
	v_cmp_gt_i16_sdwa s[12:13], v7, s24 src0_sel:BYTE_0 src1_sel:DWORD
	s_and_saveexec_b64 s[16:17], s[12:13]
	s_xor_b64 s[12:13], exec, s[16:17]
	s_cbranch_execnz .LBB245_104
; %bb.79:                               ;   in Loop: Header=BB245_78 Depth=1
	s_or_saveexec_b64 s[12:13], s[12:13]
	v_mov_b32_e32 v29, 0x8000
	s_xor_b64 exec, exec, s[12:13]
	s_cbranch_execnz .LBB245_107
.LBB245_80:                             ;   in Loop: Header=BB245_78 Depth=1
	s_or_b64 exec, exec, s[12:13]
	s_and_saveexec_b64 s[12:13], s[0:1]
	s_cbranch_execz .LBB245_82
.LBB245_81:                             ;   in Loop: Header=BB245_78 Depth=1
	v_and_b32_e32 v1, 7, v7
	v_ffbh_u32_e32 v9, v1
	v_min_u32_e32 v9, 32, v9
	v_subrev_u32_e32 v29, 28, v9
	v_lshlrev_b64 v[29:30], v29, v[7:8]
	v_and_b32_e32 v30, 0x7f, v7
	v_cmp_gt_u32_e32 vcc, 8, v30
	v_sub_u32_e32 v9, 29, v9
	v_bfe_u32 v31, v7, 3, 4
	v_cndmask_b32_e32 v9, v31, v9, vcc
	v_and_b32_e32 v29, 7, v29
	v_lshl_add_u32 v9, v9, 10, v16
	v_cndmask_b32_e32 v1, v1, v29, vcc
	v_lshlrev_b32_e32 v29, 8, v7
	v_and_b32_e32 v9, 0xfc00, v9
	v_and_or_b32 v9, v29, s27, v9
	v_lshl_or_b32 v1, v1, 7, v9
	v_cmp_ne_u32_e32 vcc, s24, v30
	v_cndmask_b32_e32 v29, v17, v1, vcc
.LBB245_82:                             ;   in Loop: Header=BB245_78 Depth=1
	s_or_b64 exec, exec, s[12:13]
	v_lshrrev_b16_e32 v1, 8, v7
	v_cmp_lt_i16_e32 vcc, s24, v1
	s_mov_b64 s[0:1], 0
	s_and_saveexec_b64 s[12:13], vcc
	s_xor_b64 s[12:13], exec, s[12:13]
	s_cbranch_execnz .LBB245_108
; %bb.83:                               ;   in Loop: Header=BB245_78 Depth=1
	s_or_saveexec_b64 s[12:13], s[12:13]
	v_bfrev_b32_e32 v30, 1
	s_xor_b64 exec, exec, s[12:13]
	s_cbranch_execnz .LBB245_111
.LBB245_84:                             ;   in Loop: Header=BB245_78 Depth=1
	s_or_b64 exec, exec, s[12:13]
	s_and_saveexec_b64 s[12:13], s[0:1]
	s_cbranch_execz .LBB245_86
.LBB245_85:                             ;   in Loop: Header=BB245_78 Depth=1
	v_and_b32_e32 v9, 7, v1
	v_ffbh_u32_e32 v30, v9
	v_min_u32_e32 v34, 32, v30
	v_subrev_u32_e32 v30, 28, v34
	v_and_b32_e32 v32, 0x7f, v1
	v_lshlrev_b64 v[30:31], v30, v[1:2]
	v_bfe_u32 v33, v1, 3, 4
	v_sub_u32_e32 v31, 29, v34
	v_cmp_gt_u32_e32 vcc, 8, v32
	v_cndmask_b32_e32 v31, v33, v31, vcc
	v_lshlrev_b32_e32 v1, 8, v1
	v_lshl_add_u32 v31, v31, 10, v16
	v_and_b32_e32 v30, 7, v30
	v_and_or_b32 v1, v1, s27, v31
	v_cndmask_b32_e32 v9, v9, v30, vcc
	v_lshlrev_b32_e32 v1, 16, v1
	v_lshl_or_b32 v1, v9, 23, v1
	v_cmp_ne_u32_e32 vcc, s24, v32
	v_cndmask_b32_e32 v30, v18, v1, vcc
.LBB245_86:                             ;   in Loop: Header=BB245_78 Depth=1
	s_or_b64 exec, exec, s[12:13]
	v_lshrrev_b32_e32 v9, 16, v7
	v_cmp_gt_i16_sdwa s[12:13], v9, s24 src0_sel:BYTE_0 src1_sel:DWORD
	s_mov_b64 s[0:1], 0
	s_and_saveexec_b64 s[16:17], s[12:13]
	s_xor_b64 s[12:13], exec, s[16:17]
	s_cbranch_execnz .LBB245_112
; %bb.87:                               ;   in Loop: Header=BB245_78 Depth=1
	s_or_saveexec_b64 s[12:13], s[12:13]
	v_mov_b32_e32 v31, 0x8000
	s_xor_b64 exec, exec, s[12:13]
	s_cbranch_execnz .LBB245_115
.LBB245_88:                             ;   in Loop: Header=BB245_78 Depth=1
	s_or_b64 exec, exec, s[12:13]
	s_and_saveexec_b64 s[12:13], s[0:1]
	s_cbranch_execz .LBB245_90
.LBB245_89:                             ;   in Loop: Header=BB245_78 Depth=1
	v_and_b32_e32 v1, 7, v9
	v_ffbh_u32_e32 v31, v1
	v_min_u32_e32 v35, 32, v31
	v_subrev_u32_e32 v31, 28, v35
	v_and_b32_e32 v33, 0x7f, v9
	v_lshlrev_b64 v[31:32], v31, v[9:10]
	v_bfe_u32 v34, v9, 3, 4
	v_sub_u32_e32 v32, 29, v35
	v_cmp_gt_u32_e32 vcc, 8, v33
	v_cndmask_b32_e32 v32, v34, v32, vcc
	v_lshl_add_u32 v32, v32, 10, v16
	v_and_b32_e32 v31, 7, v31
	v_lshlrev_b32_e32 v34, 8, v9
	v_cndmask_b32_e32 v1, v1, v31, vcc
	v_and_b32_e32 v31, 0xfc00, v32
	v_and_or_b32 v31, v34, s27, v31
	v_lshl_or_b32 v1, v1, 7, v31
	v_cmp_ne_u32_e32 vcc, s24, v33
	v_cndmask_b32_e32 v31, v17, v1, vcc
.LBB245_90:                             ;   in Loop: Header=BB245_78 Depth=1
	s_or_b64 exec, exec, s[12:13]
	v_cmp_gt_i16_sdwa s[12:13], v8, s24 src0_sel:BYTE_0 src1_sel:DWORD
	s_mov_b64 s[0:1], 0
	s_and_saveexec_b64 s[16:17], s[12:13]
	s_xor_b64 s[12:13], exec, s[16:17]
	s_cbranch_execnz .LBB245_116
; %bb.91:                               ;   in Loop: Header=BB245_78 Depth=1
	s_or_saveexec_b64 s[12:13], s[12:13]
	v_mov_b32_e32 v32, 0x8000
	s_xor_b64 exec, exec, s[12:13]
	s_cbranch_execnz .LBB245_119
.LBB245_92:                             ;   in Loop: Header=BB245_78 Depth=1
	s_or_b64 exec, exec, s[12:13]
	v_mov_b32_e32 v1, v8
	s_and_saveexec_b64 s[12:13], s[0:1]
	s_cbranch_execz .LBB245_94
.LBB245_93:                             ;   in Loop: Header=BB245_78 Depth=1
	v_and_b32_e32 v34, 7, v8
	v_ffbh_u32_e32 v32, v34
	v_min_u32_e32 v37, 32, v32
	v_subrev_u32_e32 v32, 28, v37
	v_and_b32_e32 v35, 0x7f, v8
	v_lshlrev_b64 v[32:33], v32, v[1:2]
	v_bfe_u32 v36, v8, 3, 4
	v_sub_u32_e32 v33, 29, v37
	v_cmp_gt_u32_e32 vcc, 8, v35
	v_cndmask_b32_e32 v33, v36, v33, vcc
	v_lshl_add_u32 v33, v33, 10, v16
	v_lshlrev_b32_e32 v36, 8, v8
	v_and_b32_e32 v32, 7, v32
	v_and_b32_e32 v33, 0xfc00, v33
	v_cndmask_b32_e32 v32, v34, v32, vcc
	v_and_or_b32 v33, v36, s27, v33
	v_lshl_or_b32 v32, v32, 7, v33
	v_cmp_ne_u32_e32 vcc, s24, v35
	v_cndmask_b32_e32 v32, v17, v32, vcc
.LBB245_94:                             ;   in Loop: Header=BB245_78 Depth=1
	s_or_b64 exec, exec, s[12:13]
	v_lshrrev_b16_e32 v1, 8, v1
	v_cmp_lt_i16_e32 vcc, s24, v1
	s_mov_b64 s[0:1], 0
	s_and_saveexec_b64 s[12:13], vcc
	s_xor_b64 s[12:13], exec, s[12:13]
	s_cbranch_execnz .LBB245_120
; %bb.95:                               ;   in Loop: Header=BB245_78 Depth=1
	s_or_saveexec_b64 s[12:13], s[12:13]
	v_bfrev_b32_e32 v33, 1
	s_xor_b64 exec, exec, s[12:13]
	s_cbranch_execnz .LBB245_123
.LBB245_96:                             ;   in Loop: Header=BB245_78 Depth=1
	s_or_b64 exec, exec, s[12:13]
	s_and_saveexec_b64 s[12:13], s[0:1]
	s_cbranch_execz .LBB245_98
.LBB245_97:                             ;   in Loop: Header=BB245_78 Depth=1
	v_and_b32_e32 v35, 7, v1
	v_ffbh_u32_e32 v33, v35
	v_min_u32_e32 v38, 32, v33
	v_subrev_u32_e32 v33, 28, v38
	v_and_b32_e32 v36, 0x7f, v1
	v_lshlrev_b64 v[33:34], v33, v[1:2]
	v_bfe_u32 v37, v1, 3, 4
	v_sub_u32_e32 v34, 29, v38
	v_cmp_gt_u32_e32 vcc, 8, v36
	v_cndmask_b32_e32 v34, v37, v34, vcc
	v_lshlrev_b32_e32 v1, 8, v1
	v_lshl_add_u32 v34, v34, 10, v16
	v_and_b32_e32 v33, 7, v33
	v_and_or_b32 v1, v1, s27, v34
	v_cndmask_b32_e32 v33, v35, v33, vcc
	v_lshlrev_b32_e32 v1, 16, v1
	v_lshl_or_b32 v1, v33, 23, v1
	v_cmp_ne_u32_e32 vcc, s24, v36
	v_cndmask_b32_e32 v33, v18, v1, vcc
.LBB245_98:                             ;   in Loop: Header=BB245_78 Depth=1
	s_or_b64 exec, exec, s[12:13]
	v_lshrrev_b32_e32 v1, 16, v8
	v_cmp_gt_i16_sdwa s[12:13], v1, s24 src0_sel:BYTE_0 src1_sel:DWORD
	s_mov_b64 s[0:1], 0
	s_and_saveexec_b64 s[16:17], s[12:13]
	s_xor_b64 s[12:13], exec, s[16:17]
	s_cbranch_execnz .LBB245_124
; %bb.99:                               ;   in Loop: Header=BB245_78 Depth=1
	s_or_saveexec_b64 s[12:13], s[12:13]
	v_mov_b32_e32 v34, 0x8000
	s_xor_b64 exec, exec, s[12:13]
	s_cbranch_execnz .LBB245_127
.LBB245_100:                            ;   in Loop: Header=BB245_78 Depth=1
	s_or_b64 exec, exec, s[12:13]
	s_and_saveexec_b64 s[12:13], s[0:1]
	s_cbranch_execz .LBB245_102
.LBB245_101:                            ;   in Loop: Header=BB245_78 Depth=1
	v_and_b32_e32 v36, 7, v1
	v_ffbh_u32_e32 v34, v36
	v_min_u32_e32 v39, 32, v34
	v_subrev_u32_e32 v34, 28, v39
	v_and_b32_e32 v37, 0x7f, v1
	v_lshlrev_b64 v[34:35], v34, v[1:2]
	v_bfe_u32 v38, v1, 3, 4
	v_sub_u32_e32 v35, 29, v39
	v_cmp_gt_u32_e32 vcc, 8, v37
	v_cndmask_b32_e32 v35, v38, v35, vcc
	v_lshl_add_u32 v35, v35, 10, v16
	v_lshlrev_b32_e32 v38, 8, v1
	v_and_b32_e32 v34, 7, v34
	v_and_b32_e32 v35, 0xfc00, v35
	v_cndmask_b32_e32 v34, v36, v34, vcc
	v_and_or_b32 v35, v38, s27, v35
	v_lshl_or_b32 v34, v34, 7, v35
	v_cmp_ne_u32_e32 vcc, s24, v37
	v_cndmask_b32_e32 v34, v17, v34, vcc
.LBB245_102:                            ;   in Loop: Header=BB245_78 Depth=1
	s_or_b64 exec, exec, s[12:13]
	v_bfe_u32 v38, v7, 24, 3
	v_ffbh_u32_e32 v36, v38
	v_min_u32_e32 v41, 32, v36
	v_lshrrev_b32_e32 v35, 24, v7
	v_subrev_u32_e32 v36, 28, v41
	v_bfe_u32 v39, v7, 24, 7
	v_lshlrev_b64 v[36:37], v36, v[35:36]
	v_bfe_u32 v40, v35, 3, 4
	v_sub_u32_e32 v37, 29, v41
	v_cmp_gt_u32_e32 vcc, 8, v39
	v_cndmask_b32_e32 v37, v40, v37, vcc
	v_lshl_add_u32 v37, v37, 10, v16
	v_and_b32_e32 v36, 7, v36
	v_and_or_b32 v9, v9, s27, v37
	v_cndmask_b32_e32 v36, v38, v36, vcc
	v_lshlrev_b32_e32 v9, 16, v9
	v_lshl_or_b32 v9, v36, 23, v9
	v_cmp_ne_u32_e32 vcc, s24, v39
	v_bfe_u32 v38, v8, 24, 3
	v_cndmask_b32_e32 v9, v18, v9, vcc
	v_cmp_ne_u32_e32 vcc, s25, v35
	v_ffbh_u32_e32 v35, v38
	v_cndmask_b32_e32 v9, v19, v9, vcc
	v_cmp_lt_u32_e32 vcc, s5, v7
	v_min_u32_e32 v41, 32, v35
	v_cndmask_b32_e32 v37, 0, v9, vcc
	v_lshrrev_b32_e32 v9, 24, v8
	v_subrev_u32_e32 v35, 28, v41
	v_bfe_u32 v39, v8, 24, 7
	v_lshlrev_b64 v[35:36], v35, v[9:10]
	v_bfe_u32 v40, v9, 3, 4
	v_sub_u32_e32 v36, 29, v41
	v_cmp_gt_u32_e32 vcc, 8, v39
	v_cndmask_b32_e32 v36, v40, v36, vcc
	v_lshl_add_u32 v36, v36, 10, v16
	v_and_b32_e32 v35, 7, v35
	v_and_or_b32 v1, v1, s27, v36
	v_cndmask_b32_e32 v35, v38, v35, vcc
	v_lshlrev_b32_e32 v1, 16, v1
	v_lshl_or_b32 v1, v35, 23, v1
	v_cmp_ne_u32_e64 s[0:1], s24, v39
	v_cndmask_b32_e64 v1, v18, v1, s[0:1]
	v_cmp_ne_u32_e64 s[0:1], s25, v9
	v_cndmask_b32_e64 v1, v19, v1, s[0:1]
	v_cmp_lt_u64_e64 s[0:1], s[4:5], v[7:8]
	s_waitcnt vmcnt(0)
	v_fma_mixlo_f16 v7, v28, v37, 0 op_sel:[0,1,0] op_sel_hi:[0,1,0]
	v_cndmask_b32_e64 v38, 0, v1, s[0:1]
	v_fma_mixlo_f16 v9, v28, v30, 0 op_sel:[0,1,0] op_sel_hi:[0,1,0]
	v_or_b32_e32 v1, v31, v37
	v_lshlrev_b32_e32 v8, 16, v7
	v_or_b32_e32 v7, v30, v29
	v_lshlrev_b32_e32 v35, 16, v9
	v_or_b32_e32 v9, v33, v32
	v_or_b32_e32 v30, v34, v38
	v_fma_mixlo_f16 v1, v28, v1, 0 op_sel_hi:[0,1,0]
	v_fma_mixlo_f16 v7, v28, v7, 0 op_sel_hi:[0,1,0]
	v_fma_mixlo_f16 v29, v28, v33, 0 op_sel:[0,1,0] op_sel_hi:[0,1,0]
	v_fma_mixlo_f16 v9, v28, v9, 0 op_sel_hi:[0,1,0]
	v_fma_mixlo_f16 v30, v28, v30, 0 op_sel_hi:[0,1,0]
	v_fma_mixlo_f16 v28, v28, v38, 0 op_sel:[0,1,0] op_sel_hi:[0,1,0]
	v_and_b32_e32 v31, 0xffff, v1
	v_and_b32_e32 v36, 0xffff, v7
	v_lshlrev_b32_e32 v29, 16, v29
	v_and_b32_e32 v32, 0xffff, v9
	v_lshlrev_b32_e32 v28, 16, v28
	v_and_b32_e32 v30, 0xffff, v30
	v_cmp_eq_u32_e32 vcc, s19, v10
	v_or_b32_e32 v1, v8, v31
	v_or_b32_e32 v7, v35, v36
	;; [unrolled: 1-line block ×4, first 2 shown]
	s_and_saveexec_b64 s[0:1], vcc
	s_cbranch_execz .LBB245_77
; %bb.103:                              ;   in Loop: Header=BB245_78 Depth=1
	v_add_u32_e32 v1, -7, v13
	v_cmp_gt_i32_e32 vcc, s11, v1
	v_add_u32_e32 v7, -6, v13
	v_cndmask_b32_e32 v1, 0, v36, vcc
	v_cmp_gt_i32_e32 vcc, s11, v7
	v_cndmask_b32_e32 v7, 0, v35, vcc
	v_or_b32_e32 v7, v7, v1
	v_add_u32_e32 v1, -5, v13
	v_cmp_gt_i32_e32 vcc, s11, v1
	v_add_u32_e32 v9, -4, v13
	v_cndmask_b32_e32 v1, 0, v31, vcc
	v_cmp_gt_i32_e32 vcc, s11, v9
	v_cndmask_b32_e32 v8, 0, v8, vcc
	v_or_b32_e32 v1, v8, v1
	v_add_u32_e32 v8, -3, v13
	v_cmp_gt_i32_e32 vcc, s11, v8
	v_add_u32_e32 v9, -2, v13
	v_cndmask_b32_e32 v8, 0, v32, vcc
	v_cmp_gt_i32_e32 vcc, s11, v9
	v_cndmask_b32_e32 v9, 0, v29, vcc
	v_or_b32_e32 v9, v9, v8
	v_add_u32_e32 v8, -1, v13
	v_cmp_gt_i32_e32 vcc, s11, v8
	v_cndmask_b32_e32 v8, 0, v30, vcc
	v_cmp_gt_i32_e32 vcc, s11, v13
	v_cndmask_b32_e32 v28, 0, v28, vcc
	v_or_b32_e32 v33, v28, v8
	s_branch .LBB245_77
.LBB245_104:                            ;   in Loop: Header=BB245_78 Depth=1
	v_cmp_eq_u16_sdwa s[28:29], v7, s25 src0_sel:BYTE_0 src1_sel:DWORD
	s_mov_b64 s[0:1], -1
	s_and_saveexec_b64 s[16:17], s[28:29]
; %bb.105:                              ;   in Loop: Header=BB245_78 Depth=1
	s_xor_b64 s[0:1], exec, -1
; %bb.106:                              ;   in Loop: Header=BB245_78 Depth=1
	s_or_b64 exec, exec, s[16:17]
	s_and_b64 s[0:1], s[0:1], exec
	s_or_saveexec_b64 s[12:13], s[12:13]
	v_mov_b32_e32 v29, 0x8000
	s_xor_b64 exec, exec, s[12:13]
	s_cbranch_execz .LBB245_80
.LBB245_107:                            ;   in Loop: Header=BB245_78 Depth=1
	v_cmp_ne_u16_sdwa s[16:17], v7, v2 src0_sel:BYTE_0 src1_sel:DWORD
	s_andn2_b64 s[0:1], s[0:1], exec
	s_and_b64 s[16:17], s[16:17], exec
	v_and_b32_sdwa v29, s26, v7 dst_sel:DWORD dst_unused:UNUSED_PAD src0_sel:DWORD src1_sel:BYTE_0
	s_or_b64 s[0:1], s[0:1], s[16:17]
	s_or_b64 exec, exec, s[12:13]
	s_and_saveexec_b64 s[12:13], s[0:1]
	s_cbranch_execnz .LBB245_81
	s_branch .LBB245_82
.LBB245_108:                            ;   in Loop: Header=BB245_78 Depth=1
	v_cmp_eq_u16_e32 vcc, s25, v1
	s_mov_b64 s[0:1], -1
	s_and_saveexec_b64 s[16:17], vcc
; %bb.109:                              ;   in Loop: Header=BB245_78 Depth=1
	s_xor_b64 s[0:1], exec, -1
; %bb.110:                              ;   in Loop: Header=BB245_78 Depth=1
	s_or_b64 exec, exec, s[16:17]
	s_and_b64 s[0:1], s[0:1], exec
	s_or_saveexec_b64 s[12:13], s[12:13]
	v_bfrev_b32_e32 v30, 1
	s_xor_b64 exec, exec, s[12:13]
	s_cbranch_execz .LBB245_84
.LBB245_111:                            ;   in Loop: Header=BB245_78 Depth=1
	v_cmp_ne_u16_e32 vcc, 0, v1
	s_andn2_b64 s[0:1], s[0:1], exec
	s_and_b64 s[16:17], vcc, exec
	s_or_b64 s[0:1], s[0:1], s[16:17]
	v_mov_b32_e32 v30, v1
	s_or_b64 exec, exec, s[12:13]
	s_and_saveexec_b64 s[12:13], s[0:1]
	s_cbranch_execnz .LBB245_85
	s_branch .LBB245_86
.LBB245_112:                            ;   in Loop: Header=BB245_78 Depth=1
	v_cmp_eq_u16_sdwa s[28:29], v9, s25 src0_sel:BYTE_0 src1_sel:DWORD
	s_mov_b64 s[0:1], -1
	s_and_saveexec_b64 s[16:17], s[28:29]
; %bb.113:                              ;   in Loop: Header=BB245_78 Depth=1
	s_xor_b64 s[0:1], exec, -1
; %bb.114:                              ;   in Loop: Header=BB245_78 Depth=1
	s_or_b64 exec, exec, s[16:17]
	s_and_b64 s[0:1], s[0:1], exec
	s_or_saveexec_b64 s[12:13], s[12:13]
	v_mov_b32_e32 v31, 0x8000
	s_xor_b64 exec, exec, s[12:13]
	s_cbranch_execz .LBB245_88
.LBB245_115:                            ;   in Loop: Header=BB245_78 Depth=1
	v_cmp_ne_u16_sdwa s[16:17], v9, v2 src0_sel:BYTE_0 src1_sel:DWORD
	s_andn2_b64 s[0:1], s[0:1], exec
	s_and_b64 s[16:17], s[16:17], exec
	v_and_b32_sdwa v31, s26, v9 dst_sel:DWORD dst_unused:UNUSED_PAD src0_sel:DWORD src1_sel:BYTE_0
	s_or_b64 s[0:1], s[0:1], s[16:17]
	s_or_b64 exec, exec, s[12:13]
	s_and_saveexec_b64 s[12:13], s[0:1]
	s_cbranch_execnz .LBB245_89
	s_branch .LBB245_90
.LBB245_116:                            ;   in Loop: Header=BB245_78 Depth=1
	v_cmp_eq_u16_sdwa s[28:29], v8, s25 src0_sel:BYTE_0 src1_sel:DWORD
	s_mov_b64 s[0:1], -1
	s_and_saveexec_b64 s[16:17], s[28:29]
; %bb.117:                              ;   in Loop: Header=BB245_78 Depth=1
	s_xor_b64 s[0:1], exec, -1
; %bb.118:                              ;   in Loop: Header=BB245_78 Depth=1
	s_or_b64 exec, exec, s[16:17]
	s_and_b64 s[0:1], s[0:1], exec
	s_or_saveexec_b64 s[12:13], s[12:13]
	v_mov_b32_e32 v32, 0x8000
	s_xor_b64 exec, exec, s[12:13]
	s_cbranch_execz .LBB245_92
.LBB245_119:                            ;   in Loop: Header=BB245_78 Depth=1
	v_cmp_ne_u16_sdwa s[16:17], v8, v2 src0_sel:BYTE_0 src1_sel:DWORD
	s_andn2_b64 s[0:1], s[0:1], exec
	s_and_b64 s[16:17], s[16:17], exec
	v_and_b32_sdwa v32, s26, v8 dst_sel:DWORD dst_unused:UNUSED_PAD src0_sel:DWORD src1_sel:BYTE_0
	s_or_b64 s[0:1], s[0:1], s[16:17]
	s_or_b64 exec, exec, s[12:13]
	v_mov_b32_e32 v1, v8
	s_and_saveexec_b64 s[12:13], s[0:1]
	s_cbranch_execnz .LBB245_93
	s_branch .LBB245_94
.LBB245_120:                            ;   in Loop: Header=BB245_78 Depth=1
	v_cmp_eq_u16_e32 vcc, s25, v1
	s_mov_b64 s[0:1], -1
	s_and_saveexec_b64 s[16:17], vcc
; %bb.121:                              ;   in Loop: Header=BB245_78 Depth=1
	s_xor_b64 s[0:1], exec, -1
; %bb.122:                              ;   in Loop: Header=BB245_78 Depth=1
	s_or_b64 exec, exec, s[16:17]
	s_and_b64 s[0:1], s[0:1], exec
	s_or_saveexec_b64 s[12:13], s[12:13]
	v_bfrev_b32_e32 v33, 1
	s_xor_b64 exec, exec, s[12:13]
	s_cbranch_execz .LBB245_96
.LBB245_123:                            ;   in Loop: Header=BB245_78 Depth=1
	v_cmp_ne_u16_e32 vcc, 0, v1
	s_andn2_b64 s[0:1], s[0:1], exec
	s_and_b64 s[16:17], vcc, exec
	s_or_b64 s[0:1], s[0:1], s[16:17]
	v_mov_b32_e32 v33, v1
	s_or_b64 exec, exec, s[12:13]
	s_and_saveexec_b64 s[12:13], s[0:1]
	s_cbranch_execnz .LBB245_97
	s_branch .LBB245_98
.LBB245_124:                            ;   in Loop: Header=BB245_78 Depth=1
	v_cmp_eq_u16_sdwa s[28:29], v1, s25 src0_sel:BYTE_0 src1_sel:DWORD
	s_mov_b64 s[0:1], -1
	s_and_saveexec_b64 s[16:17], s[28:29]
; %bb.125:                              ;   in Loop: Header=BB245_78 Depth=1
	s_xor_b64 s[0:1], exec, -1
; %bb.126:                              ;   in Loop: Header=BB245_78 Depth=1
	s_or_b64 exec, exec, s[16:17]
	s_and_b64 s[0:1], s[0:1], exec
	s_or_saveexec_b64 s[12:13], s[12:13]
	v_mov_b32_e32 v34, 0x8000
	s_xor_b64 exec, exec, s[12:13]
	s_cbranch_execz .LBB245_100
.LBB245_127:                            ;   in Loop: Header=BB245_78 Depth=1
	v_cmp_ne_u16_sdwa s[16:17], v1, v2 src0_sel:BYTE_0 src1_sel:DWORD
	s_andn2_b64 s[0:1], s[0:1], exec
	s_and_b64 s[16:17], s[16:17], exec
	v_and_b32_sdwa v34, s26, v1 dst_sel:DWORD dst_unused:UNUSED_PAD src0_sel:DWORD src1_sel:BYTE_0
	s_or_b64 s[0:1], s[0:1], s[16:17]
	s_or_b64 exec, exec, s[12:13]
	s_and_saveexec_b64 s[12:13], s[0:1]
	s_cbranch_execnz .LBB245_101
	s_branch .LBB245_102
.LBB245_128:
	s_or_b64 exec, exec, s[6:7]
.LBB245_129:
	s_or_b64 exec, exec, s[2:3]
	ds_bpermute_b32 v1, v12, v15
	v_and_b32_e32 v2, 0x3c1, v0
	v_cmp_eq_u32_e32 vcc, 64, v2
	s_waitcnt lgkmcnt(0)
	s_barrier
	v_add_f32_e32 v1, v15, v1
	s_and_saveexec_b64 s[0:1], vcc
; %bb.130:
	v_mov_b32_e32 v3, 0x50
	v_lshl_add_u32 v3, v11, 1, v3
	ds_write_b32 v3, v1
; %bb.131:
	s_or_b64 exec, exec, s[0:1]
	v_lshrrev_b32_e32 v0, 1, v0
	v_cmp_eq_u32_e32 vcc, 0, v2
	s_waitcnt lgkmcnt(0)
	s_barrier
	s_and_saveexec_b64 s[0:1], vcc
	s_cbranch_execz .LBB245_133
; %bb.132:
	v_mov_b32_e32 v2, 0x50
	v_lshl_add_u32 v2, v0, 2, v2
	ds_read_b32 v2, v2
	s_waitcnt lgkmcnt(0)
	v_add_f32_e32 v1, v1, v2
.LBB245_133:
	s_or_b64 exec, exec, s[0:1]
	s_barrier
	s_and_saveexec_b64 s[0:1], vcc
	s_cbranch_execz .LBB245_135
; %bb.134:
	s_mul_i32 s0, s10, s21
	s_mul_i32 s0, s0, s9
	s_lshl_b32 s0, s0, 5
	s_ashr_i32 s1, s0, 31
	s_lshl_b64 s[0:1], s[0:1], 1
	s_add_u32 s2, s22, s0
	s_mul_i32 s0, s21, s20
	s_addc_u32 s3, s23, s1
	s_ashr_i32 s1, s0, 31
	s_lshl_b64 s[0:1], s[0:1], 1
	s_add_u32 s2, s2, s0
	s_addc_u32 s3, s3, s1
	s_lshl_b32 s0, s8, 5
	s_ashr_i32 s1, s0, 31
	s_lshl_b64 s[0:1], s[0:1], 1
	s_add_u32 s0, s2, s0
	s_addc_u32 s1, s3, s1
	v_lshlrev_b32_e32 v0, 1, v0
	;;#ASMSTART
	v_cvt_f16_f32 v1, v1;

	;;#ASMEND
	global_store_short v0, v1, s[0:1]
.LBB245_135:
	s_endpgm
	.section	.rodata,"a",@progbits
	.p2align	6, 0x0
	.amdhsa_kernel _ZN4vllm25paged_attention_v1_kernelIthLi32ELi16ELi128ELNS_18Fp8KVCacheDataTypeE1ELb0EEEvPT_PKS2_PKT0_S8_ifPKiSA_iPKfiiiSC_SC_iiiii
		.amdhsa_group_segment_fixed_size 80
		.amdhsa_private_segment_fixed_size 0
		.amdhsa_kernarg_size 384
		.amdhsa_user_sgpr_count 6
		.amdhsa_user_sgpr_private_segment_buffer 1
		.amdhsa_user_sgpr_dispatch_ptr 0
		.amdhsa_user_sgpr_queue_ptr 0
		.amdhsa_user_sgpr_kernarg_segment_ptr 1
		.amdhsa_user_sgpr_dispatch_id 0
		.amdhsa_user_sgpr_flat_scratch_init 0
		.amdhsa_user_sgpr_private_segment_size 0
		.amdhsa_uses_dynamic_stack 0
		.amdhsa_system_sgpr_private_segment_wavefront_offset 0
		.amdhsa_system_sgpr_workgroup_id_x 1
		.amdhsa_system_sgpr_workgroup_id_y 1
		.amdhsa_system_sgpr_workgroup_id_z 1
		.amdhsa_system_sgpr_workgroup_info 0
		.amdhsa_system_vgpr_workitem_id 0
		.amdhsa_next_free_vgpr 42
		.amdhsa_next_free_sgpr 45
		.amdhsa_reserve_vcc 1
		.amdhsa_reserve_flat_scratch 0
		.amdhsa_float_round_mode_32 0
		.amdhsa_float_round_mode_16_64 0
		.amdhsa_float_denorm_mode_32 3
		.amdhsa_float_denorm_mode_16_64 3
		.amdhsa_dx10_clamp 1
		.amdhsa_ieee_mode 1
		.amdhsa_fp16_overflow 0
		.amdhsa_exception_fp_ieee_invalid_op 0
		.amdhsa_exception_fp_denorm_src 0
		.amdhsa_exception_fp_ieee_div_zero 0
		.amdhsa_exception_fp_ieee_overflow 0
		.amdhsa_exception_fp_ieee_underflow 0
		.amdhsa_exception_fp_ieee_inexact 0
		.amdhsa_exception_int_div_zero 0
	.end_amdhsa_kernel
	.section	.text._ZN4vllm25paged_attention_v1_kernelIthLi32ELi16ELi128ELNS_18Fp8KVCacheDataTypeE1ELb0EEEvPT_PKS2_PKT0_S8_ifPKiSA_iPKfiiiSC_SC_iiiii,"axG",@progbits,_ZN4vllm25paged_attention_v1_kernelIthLi32ELi16ELi128ELNS_18Fp8KVCacheDataTypeE1ELb0EEEvPT_PKS2_PKT0_S8_ifPKiSA_iPKfiiiSC_SC_iiiii,comdat
.Lfunc_end245:
	.size	_ZN4vllm25paged_attention_v1_kernelIthLi32ELi16ELi128ELNS_18Fp8KVCacheDataTypeE1ELb0EEEvPT_PKS2_PKT0_S8_ifPKiSA_iPKfiiiSC_SC_iiiii, .Lfunc_end245-_ZN4vllm25paged_attention_v1_kernelIthLi32ELi16ELi128ELNS_18Fp8KVCacheDataTypeE1ELb0EEEvPT_PKS2_PKT0_S8_ifPKiSA_iPKfiiiSC_SC_iiiii
                                        ; -- End function
	.set _ZN4vllm25paged_attention_v1_kernelIthLi32ELi16ELi128ELNS_18Fp8KVCacheDataTypeE1ELb0EEEvPT_PKS2_PKT0_S8_ifPKiSA_iPKfiiiSC_SC_iiiii.num_vgpr, 42
	.set _ZN4vllm25paged_attention_v1_kernelIthLi32ELi16ELi128ELNS_18Fp8KVCacheDataTypeE1ELb0EEEvPT_PKS2_PKT0_S8_ifPKiSA_iPKfiiiSC_SC_iiiii.num_agpr, 0
	.set _ZN4vllm25paged_attention_v1_kernelIthLi32ELi16ELi128ELNS_18Fp8KVCacheDataTypeE1ELb0EEEvPT_PKS2_PKT0_S8_ifPKiSA_iPKfiiiSC_SC_iiiii.numbered_sgpr, 45
	.set _ZN4vllm25paged_attention_v1_kernelIthLi32ELi16ELi128ELNS_18Fp8KVCacheDataTypeE1ELb0EEEvPT_PKS2_PKT0_S8_ifPKiSA_iPKfiiiSC_SC_iiiii.num_named_barrier, 0
	.set _ZN4vllm25paged_attention_v1_kernelIthLi32ELi16ELi128ELNS_18Fp8KVCacheDataTypeE1ELb0EEEvPT_PKS2_PKT0_S8_ifPKiSA_iPKfiiiSC_SC_iiiii.private_seg_size, 0
	.set _ZN4vllm25paged_attention_v1_kernelIthLi32ELi16ELi128ELNS_18Fp8KVCacheDataTypeE1ELb0EEEvPT_PKS2_PKT0_S8_ifPKiSA_iPKfiiiSC_SC_iiiii.uses_vcc, 1
	.set _ZN4vllm25paged_attention_v1_kernelIthLi32ELi16ELi128ELNS_18Fp8KVCacheDataTypeE1ELb0EEEvPT_PKS2_PKT0_S8_ifPKiSA_iPKfiiiSC_SC_iiiii.uses_flat_scratch, 0
	.set _ZN4vllm25paged_attention_v1_kernelIthLi32ELi16ELi128ELNS_18Fp8KVCacheDataTypeE1ELb0EEEvPT_PKS2_PKT0_S8_ifPKiSA_iPKfiiiSC_SC_iiiii.has_dyn_sized_stack, 0
	.set _ZN4vllm25paged_attention_v1_kernelIthLi32ELi16ELi128ELNS_18Fp8KVCacheDataTypeE1ELb0EEEvPT_PKS2_PKT0_S8_ifPKiSA_iPKfiiiSC_SC_iiiii.has_recursion, 0
	.set _ZN4vllm25paged_attention_v1_kernelIthLi32ELi16ELi128ELNS_18Fp8KVCacheDataTypeE1ELb0EEEvPT_PKS2_PKT0_S8_ifPKiSA_iPKfiiiSC_SC_iiiii.has_indirect_call, 0
	.section	.AMDGPU.csdata,"",@progbits
; Kernel info:
; codeLenInByte = 6644
; TotalNumSgprs: 49
; NumVgprs: 42
; ScratchSize: 0
; MemoryBound: 0
; FloatMode: 240
; IeeeMode: 1
; LDSByteSize: 80 bytes/workgroup (compile time only)
; SGPRBlocks: 6
; VGPRBlocks: 10
; NumSGPRsForWavesPerEU: 49
; NumVGPRsForWavesPerEU: 42
; Occupancy: 5
; WaveLimiterHint : 1
; COMPUTE_PGM_RSRC2:SCRATCH_EN: 0
; COMPUTE_PGM_RSRC2:USER_SGPR: 6
; COMPUTE_PGM_RSRC2:TRAP_HANDLER: 0
; COMPUTE_PGM_RSRC2:TGID_X_EN: 1
; COMPUTE_PGM_RSRC2:TGID_Y_EN: 1
; COMPUTE_PGM_RSRC2:TGID_Z_EN: 1
; COMPUTE_PGM_RSRC2:TIDIG_COMP_CNT: 0
	.section	.text._ZN4vllm25paged_attention_v1_kernelIthLi64ELi16ELi128ELNS_18Fp8KVCacheDataTypeE1ELb0EEEvPT_PKS2_PKT0_S8_ifPKiSA_iPKfiiiSC_SC_iiiii,"axG",@progbits,_ZN4vllm25paged_attention_v1_kernelIthLi64ELi16ELi128ELNS_18Fp8KVCacheDataTypeE1ELb0EEEvPT_PKS2_PKT0_S8_ifPKiSA_iPKfiiiSC_SC_iiiii,comdat
	.protected	_ZN4vllm25paged_attention_v1_kernelIthLi64ELi16ELi128ELNS_18Fp8KVCacheDataTypeE1ELb0EEEvPT_PKS2_PKT0_S8_ifPKiSA_iPKfiiiSC_SC_iiiii ; -- Begin function _ZN4vllm25paged_attention_v1_kernelIthLi64ELi16ELi128ELNS_18Fp8KVCacheDataTypeE1ELb0EEEvPT_PKS2_PKT0_S8_ifPKiSA_iPKfiiiSC_SC_iiiii
	.globl	_ZN4vllm25paged_attention_v1_kernelIthLi64ELi16ELi128ELNS_18Fp8KVCacheDataTypeE1ELb0EEEvPT_PKS2_PKT0_S8_ifPKiSA_iPKfiiiSC_SC_iiiii
	.p2align	8
	.type	_ZN4vllm25paged_attention_v1_kernelIthLi64ELi16ELi128ELNS_18Fp8KVCacheDataTypeE1ELb0EEEvPT_PKS2_PKT0_S8_ifPKiSA_iPKfiiiSC_SC_iiiii,@function
_ZN4vllm25paged_attention_v1_kernelIthLi64ELi16ELi128ELNS_18Fp8KVCacheDataTypeE1ELb0EEEvPT_PKS2_PKT0_S8_ifPKiSA_iPKfiiiSC_SC_iiiii: ; @_ZN4vllm25paged_attention_v1_kernelIthLi64ELi16ELi128ELNS_18Fp8KVCacheDataTypeE1ELb0EEEvPT_PKS2_PKT0_S8_ifPKiSA_iPKfiiiSC_SC_iiiii
; %bb.0:
	s_load_dword s9, s[4:5], 0x80
	s_load_dwordx2 s[0:1], s[4:5], 0x30
	s_load_dwordx2 s[30:31], s[4:5], 0x20
	s_mov_b32 s10, s7
	s_ashr_i32 s11, s7, 31
	s_lshl_b64 s[2:3], s[10:11], 2
	s_waitcnt lgkmcnt(0)
	s_add_u32 s0, s0, s2
	s_addc_u32 s1, s1, s3
	s_abs_i32 s2, s30
	v_cvt_f32_u32_e32 v1, s2
	s_sub_i32 s11, 0, s2
	s_abs_i32 s7, s9
	s_xor_b32 s3, s9, s30
	v_rcp_iflag_f32_e32 v1, v1
	s_ashr_i32 s3, s3, 31
	s_mov_b32 s33, 0
	v_mul_f32_e32 v1, 0x4f7ffffe, v1
	v_cvt_u32_f32_e32 v1, v1
	v_readfirstlane_b32 s12, v1
	s_mul_i32 s11, s11, s12
	s_mul_hi_u32 s11, s12, s11
	s_add_i32 s12, s12, s11
	s_mul_hi_u32 s11, s7, s12
	s_mul_i32 s12, s11, s2
	s_sub_i32 s7, s7, s12
	s_add_i32 s12, s11, 1
	s_sub_i32 s13, s7, s2
	s_cmp_ge_u32 s7, s2
	s_cselect_b32 s11, s12, s11
	s_cselect_b32 s7, s13, s7
	s_add_i32 s12, s11, 1
	s_cmp_ge_u32 s7, s2
	s_cselect_b32 s2, s12, s11
	s_xor_b32 s2, s2, s3
	s_sub_i32 s14, s2, s3
	s_abs_i32 s11, s14
	v_cvt_f32_u32_e32 v1, s11
	s_load_dwordx2 s[2:3], s[4:5], 0x40
	s_sub_i32 s7, 0, s11
	s_abs_i32 s12, s6
	v_rcp_iflag_f32_e32 v1, v1
	v_mul_f32_e32 v1, 0x4f7ffffe, v1
	v_cvt_u32_f32_e32 v1, v1
	v_readfirstlane_b32 s13, v1
	s_mul_i32 s7, s7, s13
	s_mul_hi_u32 s7, s13, s7
	s_add_i32 s13, s13, s7
	s_waitcnt lgkmcnt(0)
	s_cmp_eq_u64 s[2:3], 0
	s_mul_hi_u32 s13, s12, s13
	s_cbranch_scc1 .LBB246_2
; %bb.1:
	s_ashr_i32 s7, s6, 31
	s_lshl_b64 s[16:17], s[6:7], 2
	s_add_u32 s2, s2, s16
	s_addc_u32 s3, s3, s17
	s_load_dword s33, s[2:3], 0x0
.LBB246_2:
	s_load_dword s30, s[0:1], 0x0
	s_load_dwordx4 s[16:19], s[4:5], 0x48
	s_ashr_i32 s2, s6, 31
	s_ashr_i32 s3, s14, 31
	v_and_b32_e32 v3, 3, v0
	s_lshl_b32 s20, s6, 6
	v_cmp_gt_u32_e32 vcc, 32, v0
	s_and_saveexec_b64 s[0:1], vcc
	s_cbranch_execz .LBB246_4
; %bb.3:
	s_load_dwordx2 s[6:7], s[4:5], 0x8
	s_waitcnt lgkmcnt(0)
	s_mul_i32 s14, s16, s10
	s_ashr_i32 s15, s14, 31
	s_lshl_b64 s[14:15], s[14:15], 1
	v_lshlrev_b32_e32 v1, 2, v0
	s_add_u32 s14, s6, s14
	s_addc_u32 s15, s7, s15
	s_ashr_i32 s21, s20, 31
	s_lshl_b64 s[6:7], s[20:21], 1
	s_add_u32 s6, s14, s6
	s_addc_u32 s7, s15, s7
	global_load_dword v1, v1, s[6:7]
	v_and_b32_e32 v2, 0x3fc, v0
	v_lshl_add_u32 v2, v3, 5, v2
	s_waitcnt vmcnt(0)
	ds_write_b32 v2, v1
.LBB246_4:
	s_or_b64 exec, exec, s[0:1]
	s_waitcnt lgkmcnt(0)
	s_add_i32 s1, s30, 15
	s_ashr_i32 s6, s1, 31
	s_lshr_b32 s6, s6, 28
	s_add_i32 s1, s1, s6
	s_ashr_i32 s21, s1, 4
	s_xor_b32 s1, s2, s3
	s_mul_i32 s2, s13, s11
	s_sub_i32 s2, s12, s2
	s_add_i32 s3, s13, 1
	s_sub_i32 s6, s2, s11
	s_load_dwordx2 s[24:25], s[4:5], 0x28
	s_load_dword s0, s[4:5], 0x38
	s_cmp_ge_u32 s2, s11
	s_cselect_b32 s3, s3, s13
	s_cselect_b32 s2, s6, s2
	s_add_i32 s6, s3, 1
	s_cmp_ge_u32 s2, s11
	s_cselect_b32 s2, s6, s3
	v_lshrrev_b32_e32 v11, 6, v0
	s_xor_b32 s2, s2, s1
	s_waitcnt lgkmcnt(0)
	s_mul_i32 s26, s0, s10
	s_sub_i32 s16, s2, s1
	s_ashr_i32 s27, s26, 31
	v_cmp_gt_i32_e64 s[0:1], s21, v11
	v_cmp_le_i32_e32 vcc, s21, v11
	v_mbcnt_lo_u32_b32 v8, -1, 0
	s_barrier
                                        ; implicit-def: $vgpr10
                                        ; implicit-def: $vgpr7
                                        ; implicit-def: $vgpr1
	s_and_saveexec_b64 s[2:3], vcc
	s_xor_b64 s[2:3], exec, s[2:3]
; %bb.5:
	v_mbcnt_hi_u32_b32 v10, -1, v8
	v_and_b32_e32 v7, 64, v10
	v_add_u32_e32 v1, 64, v7
                                        ; implicit-def: $vgpr3
                                        ; implicit-def: $vgpr8
; %bb.6:
	s_or_saveexec_b64 s[6:7], s[2:3]
	s_load_dwordx2 s[22:23], s[4:5], 0x0
	s_load_dwordx2 s[28:29], s[4:5], 0x18
	s_load_dword s11, s[4:5], 0x88
	s_load_dwordx4 s[12:15], s[4:5], 0x58
	v_mov_b32_e32 v12, 0xff7fffff
	s_mul_i32 s16, s16, s18
	v_lshrrev_b32_e32 v9, 4, v0
	s_xor_b64 exec, exec, s[6:7]
	s_cbranch_execz .LBB246_108
; %bb.7:
	s_load_dwordx2 s[2:3], s[4:5], 0x10
	s_ashr_i32 s4, s16, 31
	v_bfe_u32 v1, v0, 2, 4
	v_lshlrev_b32_e32 v4, 4, v1
	v_lshlrev_b32_e32 v6, 1, v3
	s_waitcnt lgkmcnt(0)
	s_add_u32 s2, s2, s16
	s_addc_u32 s3, s3, s4
	v_mov_b32_e32 v5, s3
	v_add_co_u32_e32 v4, vcc, s2, v4
	v_addc_co_u32_e32 v5, vcc, 0, v5, vcc
	v_lshlrev_b32_e32 v13, 5, v3
	v_cmp_eq_u32_e32 vcc, 0, v3
	v_add_co_u32_e64 v3, s[4:5], v4, v6
	v_addc_co_u32_e64 v4, s[4:5], 0, v5, s[4:5]
	s_sub_i32 s41, 1, s30
	v_lshl_or_b32 v14, v11, 4, v1
	v_lshlrev_b32_e32 v1, 2, v1
	s_lshl_b64 s[4:5], s[26:27], 2
	v_lshl_or_b32 v1, v11, 6, v1
	s_add_u32 s4, s24, s4
	v_add_u32_e32 v15, 0x90, v1
	v_and_b32_e32 v1, 60, v9
	s_addc_u32 s5, s25, s5
	v_mov_b32_e32 v6, s5
	v_add_co_u32_e64 v5, s[4:5], s4, v1
	s_mov_b32 s40, s17
	v_mov_b32_e32 v2, 0
	v_cmp_neq_f32_e64 s[2:3], s33, 0
	v_addc_co_u32_e64 v6, s[4:5], 0, v6, s[4:5]
	v_mov_b32_e32 v12, 0xff7fffff
	s_mov_b64 s[18:19], 0
	s_movk_i32 s42, 0x80
	s_movk_i32 s43, 0x7f
	s_mov_b32 s44, 0x8000
	v_mbcnt_hi_u32_b32 v10, -1, v8
	v_mov_b32_e32 v16, 0x2000
	v_mov_b32_e32 v17, v11
	s_branch .LBB246_9
.LBB246_8:                              ;   in Loop: Header=BB246_9 Depth=1
	s_or_b64 exec, exec, s[34:35]
	v_add_u32_e32 v17, 2, v17
	v_cmp_le_i32_e64 s[4:5], s21, v17
	s_or_b64 s[18:19], s[4:5], s[18:19]
	v_add_co_u32_e64 v5, s[4:5], 8, v5
	v_add_u32_e32 v14, 32, v14
	v_add_u32_e32 v15, 0x80, v15
	v_addc_co_u32_e64 v6, s[4:5], 0, v6, s[4:5]
	s_andn2_b64 exec, exec, s[18:19]
	s_cbranch_execz .LBB246_107
.LBB246_9:                              ; =>This Inner Loop Header: Depth=1
	global_load_dword v1, v[5:6], off
	s_waitcnt vmcnt(0)
	v_mad_i64_i32 v[7:8], s[4:5], v1, s40, v[3:4]
	global_load_ushort v19, v[7:8], off
	s_waitcnt lgkmcnt(0)
	global_load_dword v18, v2, s[12:13]
	s_waitcnt vmcnt(1)
	v_and_b32_e32 v1, 0xffff, v19
	v_cmp_ne_u16_sdwa s[4:5], v19, v2 src0_sel:BYTE_0 src1_sel:DWORD
	v_mov_b32_e32 v19, 0
	s_and_saveexec_b64 s[34:35], s[4:5]
	s_cbranch_execz .LBB246_15
; %bb.10:                               ;   in Loop: Header=BB246_9 Depth=1
	v_cmp_ne_u16_sdwa s[4:5], v1, s42 src0_sel:BYTE_0 src1_sel:DWORD
	v_mov_b32_e32 v19, 0x8000
	s_and_saveexec_b64 s[36:37], s[4:5]
	s_cbranch_execz .LBB246_14
; %bb.11:                               ;   in Loop: Header=BB246_9 Depth=1
	v_and_b32_e32 v20, 0x7f, v1
	v_cmp_ne_u32_e64 s[4:5], s43, v20
	v_mov_b32_e32 v19, 0x7c01
	s_and_saveexec_b64 s[38:39], s[4:5]
	s_cbranch_execz .LBB246_13
; %bb.12:                               ;   in Loop: Header=BB246_9 Depth=1
	v_and_b32_e32 v19, 7, v1
	v_ffbh_u32_e32 v21, v19
	v_min_u32_e32 v24, 32, v21
	v_subrev_u32_e32 v21, 28, v24
	v_lshlrev_b64 v[21:22], v21, v[1:2]
	v_lshrrev_b32_e32 v23, 3, v20
	v_sub_u32_e32 v22, 29, v24
	v_cmp_gt_u32_e64 s[4:5], 8, v20
	v_cndmask_b32_e64 v20, v23, v22, s[4:5]
	v_lshl_add_u32 v20, v20, 10, v16
	v_lshlrev_b32_e32 v22, 8, v1
	v_and_b32_e32 v21, 7, v21
	v_and_b32_e32 v20, 0xfc00, v20
	v_cndmask_b32_e64 v19, v19, v21, s[4:5]
	v_and_or_b32 v20, v22, s44, v20
	v_lshl_or_b32 v19, v19, 7, v20
.LBB246_13:                             ;   in Loop: Header=BB246_9 Depth=1
	s_or_b64 exec, exec, s[38:39]
.LBB246_14:                             ;   in Loop: Header=BB246_9 Depth=1
	s_or_b64 exec, exec, s[36:37]
.LBB246_15:                             ;   in Loop: Header=BB246_9 Depth=1
	s_or_b64 exec, exec, s[34:35]
	v_lshrrev_b16_e32 v1, 8, v1
	v_cmp_ne_u16_e64 s[4:5], 0, v1
	v_mov_b32_e32 v20, 0
	v_mov_b32_e32 v21, 0
	s_and_saveexec_b64 s[34:35], s[4:5]
	s_cbranch_execz .LBB246_21
; %bb.16:                               ;   in Loop: Header=BB246_9 Depth=1
	v_cmp_ne_u16_e64 s[4:5], s42, v1
	v_bfrev_b32_e32 v21, 1
	s_and_saveexec_b64 s[36:37], s[4:5]
	s_cbranch_execz .LBB246_20
; %bb.17:                               ;   in Loop: Header=BB246_9 Depth=1
	v_and_b32_e32 v22, 0x7f, v1
	v_cmp_ne_u32_e64 s[4:5], s43, v22
	v_mov_b32_e32 v21, 0x7c010000
	s_and_saveexec_b64 s[38:39], s[4:5]
	s_cbranch_execz .LBB246_19
; %bb.18:                               ;   in Loop: Header=BB246_9 Depth=1
	v_and_b32_e32 v21, 7, v1
	v_ffbh_u32_e32 v23, v21
	v_min_u32_e32 v26, 32, v23
	v_subrev_u32_e32 v23, 28, v26
	v_lshlrev_b64 v[23:24], v23, v[1:2]
	v_lshrrev_b32_e32 v25, 3, v22
	v_sub_u32_e32 v24, 29, v26
	v_cmp_gt_u32_e64 s[4:5], 8, v22
	v_cndmask_b32_e64 v22, v25, v24, s[4:5]
	v_lshlrev_b32_e32 v1, 8, v1
	v_lshl_add_u32 v22, v22, 10, v16
	v_and_b32_e32 v23, 7, v23
	v_and_or_b32 v1, v1, s44, v22
	v_cndmask_b32_e64 v21, v21, v23, s[4:5]
	v_lshlrev_b32_e32 v1, 16, v1
	v_lshl_or_b32 v21, v21, 23, v1
.LBB246_19:                             ;   in Loop: Header=BB246_9 Depth=1
	s_or_b64 exec, exec, s[38:39]
.LBB246_20:                             ;   in Loop: Header=BB246_9 Depth=1
	s_or_b64 exec, exec, s[36:37]
.LBB246_21:                             ;   in Loop: Header=BB246_9 Depth=1
	s_or_b64 exec, exec, s[34:35]
	global_load_ushort v22, v[7:8], off offset:8
	s_waitcnt vmcnt(0)
	v_and_b32_e32 v1, 0xffff, v22
	v_cmp_ne_u16_sdwa s[4:5], v22, v2 src0_sel:BYTE_0 src1_sel:DWORD
	s_and_saveexec_b64 s[34:35], s[4:5]
	s_cbranch_execz .LBB246_27
; %bb.22:                               ;   in Loop: Header=BB246_9 Depth=1
	v_cmp_ne_u16_sdwa s[4:5], v1, s42 src0_sel:BYTE_0 src1_sel:DWORD
	v_mov_b32_e32 v20, 0x8000
	s_and_saveexec_b64 s[36:37], s[4:5]
	s_cbranch_execz .LBB246_26
; %bb.23:                               ;   in Loop: Header=BB246_9 Depth=1
	v_and_b32_e32 v22, 0x7f, v1
	v_cmp_ne_u32_e64 s[4:5], s43, v22
	v_mov_b32_e32 v20, 0x7c01
	s_and_saveexec_b64 s[38:39], s[4:5]
	s_cbranch_execz .LBB246_25
; %bb.24:                               ;   in Loop: Header=BB246_9 Depth=1
	v_and_b32_e32 v20, 7, v1
	v_ffbh_u32_e32 v23, v20
	v_min_u32_e32 v26, 32, v23
	v_subrev_u32_e32 v23, 28, v26
	v_lshlrev_b64 v[23:24], v23, v[1:2]
	v_lshrrev_b32_e32 v25, 3, v22
	v_sub_u32_e32 v24, 29, v26
	v_cmp_gt_u32_e64 s[4:5], 8, v22
	v_cndmask_b32_e64 v22, v25, v24, s[4:5]
	v_lshl_add_u32 v22, v22, 10, v16
	v_lshlrev_b32_e32 v24, 8, v1
	v_and_b32_e32 v23, 7, v23
	v_and_b32_e32 v22, 0xfc00, v22
	v_cndmask_b32_e64 v20, v20, v23, s[4:5]
	v_and_or_b32 v22, v24, s44, v22
	v_lshl_or_b32 v20, v20, 7, v22
.LBB246_25:                             ;   in Loop: Header=BB246_9 Depth=1
	s_or_b64 exec, exec, s[38:39]
.LBB246_26:                             ;   in Loop: Header=BB246_9 Depth=1
	s_or_b64 exec, exec, s[36:37]
.LBB246_27:                             ;   in Loop: Header=BB246_9 Depth=1
	s_or_b64 exec, exec, s[34:35]
	v_lshrrev_b16_e32 v1, 8, v1
	v_cmp_ne_u16_e64 s[4:5], 0, v1
	v_mov_b32_e32 v22, 0
	v_mov_b32_e32 v23, 0
	s_and_saveexec_b64 s[34:35], s[4:5]
	s_cbranch_execz .LBB246_33
; %bb.28:                               ;   in Loop: Header=BB246_9 Depth=1
	v_cmp_ne_u16_e64 s[4:5], s42, v1
	v_bfrev_b32_e32 v23, 1
	s_and_saveexec_b64 s[36:37], s[4:5]
	s_cbranch_execz .LBB246_32
; %bb.29:                               ;   in Loop: Header=BB246_9 Depth=1
	v_and_b32_e32 v24, 0x7f, v1
	v_cmp_ne_u32_e64 s[4:5], s43, v24
	v_mov_b32_e32 v23, 0x7c010000
	s_and_saveexec_b64 s[38:39], s[4:5]
	s_cbranch_execz .LBB246_31
; %bb.30:                               ;   in Loop: Header=BB246_9 Depth=1
	v_and_b32_e32 v23, 7, v1
	v_ffbh_u32_e32 v25, v23
	v_min_u32_e32 v28, 32, v25
	v_subrev_u32_e32 v25, 28, v28
	v_lshlrev_b64 v[25:26], v25, v[1:2]
	v_lshrrev_b32_e32 v27, 3, v24
	v_sub_u32_e32 v26, 29, v28
	v_cmp_gt_u32_e64 s[4:5], 8, v24
	v_cndmask_b32_e64 v24, v27, v26, s[4:5]
	v_lshlrev_b32_e32 v1, 8, v1
	v_lshl_add_u32 v24, v24, 10, v16
	v_and_b32_e32 v25, 7, v25
	v_and_or_b32 v1, v1, s44, v24
	v_cndmask_b32_e64 v23, v23, v25, s[4:5]
	v_lshlrev_b32_e32 v1, 16, v1
	v_lshl_or_b32 v23, v23, 23, v1
.LBB246_31:                             ;   in Loop: Header=BB246_9 Depth=1
	s_or_b64 exec, exec, s[38:39]
.LBB246_32:                             ;   in Loop: Header=BB246_9 Depth=1
	s_or_b64 exec, exec, s[36:37]
.LBB246_33:                             ;   in Loop: Header=BB246_9 Depth=1
	s_or_b64 exec, exec, s[34:35]
	global_load_ushort v24, v[7:8], off offset:256
	s_waitcnt vmcnt(0)
	v_and_b32_e32 v1, 0xffff, v24
	v_cmp_ne_u16_sdwa s[4:5], v24, v2 src0_sel:BYTE_0 src1_sel:DWORD
	s_and_saveexec_b64 s[34:35], s[4:5]
	s_cbranch_execz .LBB246_39
; %bb.34:                               ;   in Loop: Header=BB246_9 Depth=1
	v_cmp_ne_u16_sdwa s[4:5], v1, s42 src0_sel:BYTE_0 src1_sel:DWORD
	v_mov_b32_e32 v22, 0x8000
	s_and_saveexec_b64 s[36:37], s[4:5]
	s_cbranch_execz .LBB246_38
; %bb.35:                               ;   in Loop: Header=BB246_9 Depth=1
	v_and_b32_e32 v24, 0x7f, v1
	v_cmp_ne_u32_e64 s[4:5], s43, v24
	v_mov_b32_e32 v22, 0x7c01
	s_and_saveexec_b64 s[38:39], s[4:5]
	s_cbranch_execz .LBB246_37
; %bb.36:                               ;   in Loop: Header=BB246_9 Depth=1
	v_and_b32_e32 v22, 7, v1
	v_ffbh_u32_e32 v25, v22
	v_min_u32_e32 v28, 32, v25
	v_subrev_u32_e32 v25, 28, v28
	v_lshlrev_b64 v[25:26], v25, v[1:2]
	v_lshrrev_b32_e32 v27, 3, v24
	v_sub_u32_e32 v26, 29, v28
	v_cmp_gt_u32_e64 s[4:5], 8, v24
	v_cndmask_b32_e64 v24, v27, v26, s[4:5]
	v_lshl_add_u32 v24, v24, 10, v16
	v_lshlrev_b32_e32 v26, 8, v1
	v_and_b32_e32 v25, 7, v25
	v_and_b32_e32 v24, 0xfc00, v24
	v_cndmask_b32_e64 v22, v22, v25, s[4:5]
	v_and_or_b32 v24, v26, s44, v24
	v_lshl_or_b32 v22, v22, 7, v24
.LBB246_37:                             ;   in Loop: Header=BB246_9 Depth=1
	s_or_b64 exec, exec, s[38:39]
.LBB246_38:                             ;   in Loop: Header=BB246_9 Depth=1
	s_or_b64 exec, exec, s[36:37]
.LBB246_39:                             ;   in Loop: Header=BB246_9 Depth=1
	s_or_b64 exec, exec, s[34:35]
	v_lshrrev_b16_e32 v1, 8, v1
	v_cmp_ne_u16_e64 s[4:5], 0, v1
	v_mov_b32_e32 v24, 0
	v_mov_b32_e32 v25, 0
	s_and_saveexec_b64 s[34:35], s[4:5]
	s_cbranch_execz .LBB246_45
; %bb.40:                               ;   in Loop: Header=BB246_9 Depth=1
	v_cmp_ne_u16_e64 s[4:5], s42, v1
	v_bfrev_b32_e32 v25, 1
	s_and_saveexec_b64 s[36:37], s[4:5]
	s_cbranch_execz .LBB246_44
; %bb.41:                               ;   in Loop: Header=BB246_9 Depth=1
	v_and_b32_e32 v26, 0x7f, v1
	v_cmp_ne_u32_e64 s[4:5], s43, v26
	v_mov_b32_e32 v25, 0x7c010000
	s_and_saveexec_b64 s[38:39], s[4:5]
	s_cbranch_execz .LBB246_43
; %bb.42:                               ;   in Loop: Header=BB246_9 Depth=1
	v_and_b32_e32 v25, 7, v1
	v_ffbh_u32_e32 v27, v25
	v_min_u32_e32 v30, 32, v27
	v_subrev_u32_e32 v27, 28, v30
	v_lshlrev_b64 v[27:28], v27, v[1:2]
	v_lshrrev_b32_e32 v29, 3, v26
	v_sub_u32_e32 v28, 29, v30
	v_cmp_gt_u32_e64 s[4:5], 8, v26
	v_cndmask_b32_e64 v26, v29, v28, s[4:5]
	v_lshlrev_b32_e32 v1, 8, v1
	v_lshl_add_u32 v26, v26, 10, v16
	v_and_b32_e32 v27, 7, v27
	v_and_or_b32 v1, v1, s44, v26
	v_cndmask_b32_e64 v25, v25, v27, s[4:5]
	v_lshlrev_b32_e32 v1, 16, v1
	v_lshl_or_b32 v25, v25, 23, v1
.LBB246_43:                             ;   in Loop: Header=BB246_9 Depth=1
	s_or_b64 exec, exec, s[38:39]
.LBB246_44:                             ;   in Loop: Header=BB246_9 Depth=1
	s_or_b64 exec, exec, s[36:37]
.LBB246_45:                             ;   in Loop: Header=BB246_9 Depth=1
	s_or_b64 exec, exec, s[34:35]
	global_load_ushort v26, v[7:8], off offset:264
	s_waitcnt vmcnt(0)
	v_and_b32_e32 v1, 0xffff, v26
	v_cmp_ne_u16_sdwa s[4:5], v26, v2 src0_sel:BYTE_0 src1_sel:DWORD
	s_and_saveexec_b64 s[34:35], s[4:5]
	s_cbranch_execz .LBB246_51
; %bb.46:                               ;   in Loop: Header=BB246_9 Depth=1
	v_cmp_ne_u16_sdwa s[4:5], v1, s42 src0_sel:BYTE_0 src1_sel:DWORD
	v_mov_b32_e32 v24, 0x8000
	s_and_saveexec_b64 s[36:37], s[4:5]
	s_cbranch_execz .LBB246_50
; %bb.47:                               ;   in Loop: Header=BB246_9 Depth=1
	v_and_b32_e32 v26, 0x7f, v1
	v_cmp_ne_u32_e64 s[4:5], s43, v26
	v_mov_b32_e32 v24, 0x7c01
	s_and_saveexec_b64 s[38:39], s[4:5]
	s_cbranch_execz .LBB246_49
; %bb.48:                               ;   in Loop: Header=BB246_9 Depth=1
	v_and_b32_e32 v24, 7, v1
	v_ffbh_u32_e32 v27, v24
	v_min_u32_e32 v30, 32, v27
	v_subrev_u32_e32 v27, 28, v30
	v_lshlrev_b64 v[27:28], v27, v[1:2]
	v_lshrrev_b32_e32 v29, 3, v26
	v_sub_u32_e32 v28, 29, v30
	v_cmp_gt_u32_e64 s[4:5], 8, v26
	v_cndmask_b32_e64 v26, v29, v28, s[4:5]
	v_lshl_add_u32 v26, v26, 10, v16
	v_lshlrev_b32_e32 v28, 8, v1
	v_and_b32_e32 v27, 7, v27
	v_and_b32_e32 v26, 0xfc00, v26
	v_cndmask_b32_e64 v24, v24, v27, s[4:5]
	v_and_or_b32 v26, v28, s44, v26
	v_lshl_or_b32 v24, v24, 7, v26
.LBB246_49:                             ;   in Loop: Header=BB246_9 Depth=1
	s_or_b64 exec, exec, s[38:39]
.LBB246_50:                             ;   in Loop: Header=BB246_9 Depth=1
	s_or_b64 exec, exec, s[36:37]
.LBB246_51:                             ;   in Loop: Header=BB246_9 Depth=1
	s_or_b64 exec, exec, s[34:35]
	v_lshrrev_b16_e32 v1, 8, v1
	v_cmp_ne_u16_e64 s[4:5], 0, v1
	v_mov_b32_e32 v26, 0
	v_mov_b32_e32 v27, 0
	s_and_saveexec_b64 s[34:35], s[4:5]
	s_cbranch_execz .LBB246_57
; %bb.52:                               ;   in Loop: Header=BB246_9 Depth=1
	v_cmp_ne_u16_e64 s[4:5], s42, v1
	v_bfrev_b32_e32 v27, 1
	s_and_saveexec_b64 s[36:37], s[4:5]
	s_cbranch_execz .LBB246_56
; %bb.53:                               ;   in Loop: Header=BB246_9 Depth=1
	v_and_b32_e32 v28, 0x7f, v1
	v_cmp_ne_u32_e64 s[4:5], s43, v28
	v_mov_b32_e32 v27, 0x7c010000
	s_and_saveexec_b64 s[38:39], s[4:5]
	s_cbranch_execz .LBB246_55
; %bb.54:                               ;   in Loop: Header=BB246_9 Depth=1
	v_and_b32_e32 v27, 7, v1
	v_ffbh_u32_e32 v29, v27
	v_min_u32_e32 v32, 32, v29
	v_subrev_u32_e32 v29, 28, v32
	v_lshlrev_b64 v[29:30], v29, v[1:2]
	v_lshrrev_b32_e32 v31, 3, v28
	v_sub_u32_e32 v30, 29, v32
	v_cmp_gt_u32_e64 s[4:5], 8, v28
	v_cndmask_b32_e64 v28, v31, v30, s[4:5]
	v_lshlrev_b32_e32 v1, 8, v1
	v_lshl_add_u32 v28, v28, 10, v16
	v_and_b32_e32 v29, 7, v29
	v_and_or_b32 v1, v1, s44, v28
	v_cndmask_b32_e64 v27, v27, v29, s[4:5]
	v_lshlrev_b32_e32 v1, 16, v1
	v_lshl_or_b32 v27, v27, 23, v1
.LBB246_55:                             ;   in Loop: Header=BB246_9 Depth=1
	s_or_b64 exec, exec, s[38:39]
.LBB246_56:                             ;   in Loop: Header=BB246_9 Depth=1
	s_or_b64 exec, exec, s[36:37]
.LBB246_57:                             ;   in Loop: Header=BB246_9 Depth=1
	s_or_b64 exec, exec, s[34:35]
	global_load_ushort v28, v[7:8], off offset:512
	s_waitcnt vmcnt(0)
	v_and_b32_e32 v1, 0xffff, v28
	v_cmp_ne_u16_sdwa s[4:5], v28, v2 src0_sel:BYTE_0 src1_sel:DWORD
	s_and_saveexec_b64 s[34:35], s[4:5]
	s_cbranch_execz .LBB246_63
; %bb.58:                               ;   in Loop: Header=BB246_9 Depth=1
	v_cmp_ne_u16_sdwa s[4:5], v1, s42 src0_sel:BYTE_0 src1_sel:DWORD
	v_mov_b32_e32 v26, 0x8000
	s_and_saveexec_b64 s[36:37], s[4:5]
	s_cbranch_execz .LBB246_62
; %bb.59:                               ;   in Loop: Header=BB246_9 Depth=1
	v_and_b32_e32 v28, 0x7f, v1
	v_cmp_ne_u32_e64 s[4:5], s43, v28
	v_mov_b32_e32 v26, 0x7c01
	s_and_saveexec_b64 s[38:39], s[4:5]
	s_cbranch_execz .LBB246_61
; %bb.60:                               ;   in Loop: Header=BB246_9 Depth=1
	v_and_b32_e32 v26, 7, v1
	v_ffbh_u32_e32 v29, v26
	v_min_u32_e32 v32, 32, v29
	v_subrev_u32_e32 v29, 28, v32
	v_lshlrev_b64 v[29:30], v29, v[1:2]
	v_lshrrev_b32_e32 v31, 3, v28
	v_sub_u32_e32 v30, 29, v32
	v_cmp_gt_u32_e64 s[4:5], 8, v28
	v_cndmask_b32_e64 v28, v31, v30, s[4:5]
	v_lshl_add_u32 v28, v28, 10, v16
	v_lshlrev_b32_e32 v30, 8, v1
	v_and_b32_e32 v29, 7, v29
	v_and_b32_e32 v28, 0xfc00, v28
	v_cndmask_b32_e64 v26, v26, v29, s[4:5]
	v_and_or_b32 v28, v30, s44, v28
	v_lshl_or_b32 v26, v26, 7, v28
.LBB246_61:                             ;   in Loop: Header=BB246_9 Depth=1
	s_or_b64 exec, exec, s[38:39]
.LBB246_62:                             ;   in Loop: Header=BB246_9 Depth=1
	s_or_b64 exec, exec, s[36:37]
.LBB246_63:                             ;   in Loop: Header=BB246_9 Depth=1
	s_or_b64 exec, exec, s[34:35]
	v_lshrrev_b16_e32 v1, 8, v1
	v_cmp_ne_u16_e64 s[4:5], 0, v1
	v_mov_b32_e32 v28, 0
	v_mov_b32_e32 v29, 0
	s_and_saveexec_b64 s[34:35], s[4:5]
	s_cbranch_execz .LBB246_69
; %bb.64:                               ;   in Loop: Header=BB246_9 Depth=1
	v_cmp_ne_u16_e64 s[4:5], s42, v1
	v_bfrev_b32_e32 v29, 1
	s_and_saveexec_b64 s[36:37], s[4:5]
	s_cbranch_execz .LBB246_68
; %bb.65:                               ;   in Loop: Header=BB246_9 Depth=1
	v_and_b32_e32 v30, 0x7f, v1
	v_cmp_ne_u32_e64 s[4:5], s43, v30
	v_mov_b32_e32 v29, 0x7c010000
	s_and_saveexec_b64 s[38:39], s[4:5]
	s_cbranch_execz .LBB246_67
; %bb.66:                               ;   in Loop: Header=BB246_9 Depth=1
	v_and_b32_e32 v29, 7, v1
	v_ffbh_u32_e32 v31, v29
	v_min_u32_e32 v34, 32, v31
	v_subrev_u32_e32 v31, 28, v34
	v_lshlrev_b64 v[31:32], v31, v[1:2]
	v_lshrrev_b32_e32 v33, 3, v30
	v_sub_u32_e32 v32, 29, v34
	v_cmp_gt_u32_e64 s[4:5], 8, v30
	v_cndmask_b32_e64 v30, v33, v32, s[4:5]
	v_lshlrev_b32_e32 v1, 8, v1
	v_lshl_add_u32 v30, v30, 10, v16
	v_and_b32_e32 v31, 7, v31
	v_and_or_b32 v1, v1, s44, v30
	v_cndmask_b32_e64 v29, v29, v31, s[4:5]
	v_lshlrev_b32_e32 v1, 16, v1
	v_lshl_or_b32 v29, v29, 23, v1
.LBB246_67:                             ;   in Loop: Header=BB246_9 Depth=1
	s_or_b64 exec, exec, s[38:39]
.LBB246_68:                             ;   in Loop: Header=BB246_9 Depth=1
	s_or_b64 exec, exec, s[36:37]
.LBB246_69:                             ;   in Loop: Header=BB246_9 Depth=1
	s_or_b64 exec, exec, s[34:35]
	global_load_ushort v30, v[7:8], off offset:520
	s_waitcnt vmcnt(0)
	v_and_b32_e32 v1, 0xffff, v30
	v_cmp_ne_u16_sdwa s[4:5], v30, v2 src0_sel:BYTE_0 src1_sel:DWORD
	s_and_saveexec_b64 s[34:35], s[4:5]
	s_cbranch_execz .LBB246_75
; %bb.70:                               ;   in Loop: Header=BB246_9 Depth=1
	v_cmp_ne_u16_sdwa s[4:5], v1, s42 src0_sel:BYTE_0 src1_sel:DWORD
	v_mov_b32_e32 v28, 0x8000
	s_and_saveexec_b64 s[36:37], s[4:5]
	s_cbranch_execz .LBB246_74
; %bb.71:                               ;   in Loop: Header=BB246_9 Depth=1
	v_and_b32_e32 v30, 0x7f, v1
	v_cmp_ne_u32_e64 s[4:5], s43, v30
	v_mov_b32_e32 v28, 0x7c01
	s_and_saveexec_b64 s[38:39], s[4:5]
	s_cbranch_execz .LBB246_73
; %bb.72:                               ;   in Loop: Header=BB246_9 Depth=1
	v_and_b32_e32 v28, 7, v1
	v_ffbh_u32_e32 v31, v28
	v_min_u32_e32 v34, 32, v31
	v_subrev_u32_e32 v31, 28, v34
	v_lshlrev_b64 v[31:32], v31, v[1:2]
	v_lshrrev_b32_e32 v33, 3, v30
	v_sub_u32_e32 v32, 29, v34
	v_cmp_gt_u32_e64 s[4:5], 8, v30
	v_cndmask_b32_e64 v30, v33, v32, s[4:5]
	v_lshl_add_u32 v30, v30, 10, v16
	v_lshlrev_b32_e32 v32, 8, v1
	v_and_b32_e32 v31, 7, v31
	v_and_b32_e32 v30, 0xfc00, v30
	v_cndmask_b32_e64 v28, v28, v31, s[4:5]
	v_and_or_b32 v30, v32, s44, v30
	v_lshl_or_b32 v28, v28, 7, v30
.LBB246_73:                             ;   in Loop: Header=BB246_9 Depth=1
	s_or_b64 exec, exec, s[38:39]
.LBB246_74:                             ;   in Loop: Header=BB246_9 Depth=1
	s_or_b64 exec, exec, s[36:37]
.LBB246_75:                             ;   in Loop: Header=BB246_9 Depth=1
	s_or_b64 exec, exec, s[34:35]
	v_lshrrev_b16_e32 v1, 8, v1
	v_cmp_ne_u16_e64 s[4:5], 0, v1
	v_mov_b32_e32 v30, 0
	v_mov_b32_e32 v31, 0
	s_and_saveexec_b64 s[34:35], s[4:5]
	s_cbranch_execz .LBB246_81
; %bb.76:                               ;   in Loop: Header=BB246_9 Depth=1
	v_cmp_ne_u16_e64 s[4:5], s42, v1
	v_bfrev_b32_e32 v31, 1
	s_and_saveexec_b64 s[36:37], s[4:5]
	s_cbranch_execz .LBB246_80
; %bb.77:                               ;   in Loop: Header=BB246_9 Depth=1
	v_and_b32_e32 v32, 0x7f, v1
	v_cmp_ne_u32_e64 s[4:5], s43, v32
	v_mov_b32_e32 v31, 0x7c010000
	s_and_saveexec_b64 s[38:39], s[4:5]
	s_cbranch_execz .LBB246_79
; %bb.78:                               ;   in Loop: Header=BB246_9 Depth=1
	v_and_b32_e32 v31, 7, v1
	v_ffbh_u32_e32 v33, v31
	v_min_u32_e32 v36, 32, v33
	v_subrev_u32_e32 v33, 28, v36
	v_lshlrev_b64 v[33:34], v33, v[1:2]
	v_lshrrev_b32_e32 v35, 3, v32
	v_sub_u32_e32 v34, 29, v36
	v_cmp_gt_u32_e64 s[4:5], 8, v32
	v_cndmask_b32_e64 v32, v35, v34, s[4:5]
	v_lshlrev_b32_e32 v1, 8, v1
	v_lshl_add_u32 v32, v32, 10, v16
	v_and_b32_e32 v33, 7, v33
	v_and_or_b32 v1, v1, s44, v32
	v_cndmask_b32_e64 v31, v31, v33, s[4:5]
	v_lshlrev_b32_e32 v1, 16, v1
	v_lshl_or_b32 v31, v31, 23, v1
.LBB246_79:                             ;   in Loop: Header=BB246_9 Depth=1
	s_or_b64 exec, exec, s[38:39]
.LBB246_80:                             ;   in Loop: Header=BB246_9 Depth=1
	s_or_b64 exec, exec, s[36:37]
.LBB246_81:                             ;   in Loop: Header=BB246_9 Depth=1
	s_or_b64 exec, exec, s[34:35]
	global_load_ushort v32, v[7:8], off offset:768
	s_waitcnt vmcnt(0)
	v_and_b32_e32 v1, 0xffff, v32
	v_cmp_ne_u16_sdwa s[4:5], v32, v2 src0_sel:BYTE_0 src1_sel:DWORD
	s_and_saveexec_b64 s[34:35], s[4:5]
	s_cbranch_execz .LBB246_87
; %bb.82:                               ;   in Loop: Header=BB246_9 Depth=1
	v_cmp_ne_u16_sdwa s[4:5], v1, s42 src0_sel:BYTE_0 src1_sel:DWORD
	v_mov_b32_e32 v30, 0x8000
	s_and_saveexec_b64 s[36:37], s[4:5]
	s_cbranch_execz .LBB246_86
; %bb.83:                               ;   in Loop: Header=BB246_9 Depth=1
	v_and_b32_e32 v32, 0x7f, v1
	v_cmp_ne_u32_e64 s[4:5], s43, v32
	v_mov_b32_e32 v30, 0x7c01
	s_and_saveexec_b64 s[38:39], s[4:5]
	s_cbranch_execz .LBB246_85
; %bb.84:                               ;   in Loop: Header=BB246_9 Depth=1
	v_and_b32_e32 v30, 7, v1
	v_ffbh_u32_e32 v33, v30
	v_min_u32_e32 v36, 32, v33
	v_subrev_u32_e32 v33, 28, v36
	v_lshlrev_b64 v[33:34], v33, v[1:2]
	v_lshrrev_b32_e32 v35, 3, v32
	v_sub_u32_e32 v34, 29, v36
	v_cmp_gt_u32_e64 s[4:5], 8, v32
	v_cndmask_b32_e64 v32, v35, v34, s[4:5]
	v_lshl_add_u32 v32, v32, 10, v16
	v_lshlrev_b32_e32 v34, 8, v1
	v_and_b32_e32 v33, 7, v33
	v_and_b32_e32 v32, 0xfc00, v32
	v_cndmask_b32_e64 v30, v30, v33, s[4:5]
	v_and_or_b32 v32, v34, s44, v32
	v_lshl_or_b32 v30, v30, 7, v32
.LBB246_85:                             ;   in Loop: Header=BB246_9 Depth=1
	s_or_b64 exec, exec, s[38:39]
.LBB246_86:                             ;   in Loop: Header=BB246_9 Depth=1
	s_or_b64 exec, exec, s[36:37]
.LBB246_87:                             ;   in Loop: Header=BB246_9 Depth=1
	s_or_b64 exec, exec, s[34:35]
	v_lshrrev_b16_e32 v1, 8, v1
	v_cmp_ne_u16_e64 s[4:5], 0, v1
	v_mov_b32_e32 v32, 0
	v_mov_b32_e32 v33, 0
	s_and_saveexec_b64 s[34:35], s[4:5]
	s_cbranch_execz .LBB246_93
; %bb.88:                               ;   in Loop: Header=BB246_9 Depth=1
	v_cmp_ne_u16_e64 s[4:5], s42, v1
	v_bfrev_b32_e32 v33, 1
	s_and_saveexec_b64 s[36:37], s[4:5]
	s_cbranch_execz .LBB246_92
; %bb.89:                               ;   in Loop: Header=BB246_9 Depth=1
	v_and_b32_e32 v34, 0x7f, v1
	v_cmp_ne_u32_e64 s[4:5], s43, v34
	v_mov_b32_e32 v33, 0x7c010000
	s_and_saveexec_b64 s[38:39], s[4:5]
	s_cbranch_execz .LBB246_91
; %bb.90:                               ;   in Loop: Header=BB246_9 Depth=1
	v_and_b32_e32 v33, 7, v1
	v_ffbh_u32_e32 v35, v33
	v_min_u32_e32 v38, 32, v35
	v_subrev_u32_e32 v35, 28, v38
	v_lshlrev_b64 v[35:36], v35, v[1:2]
	v_lshrrev_b32_e32 v37, 3, v34
	v_sub_u32_e32 v36, 29, v38
	v_cmp_gt_u32_e64 s[4:5], 8, v34
	v_cndmask_b32_e64 v34, v37, v36, s[4:5]
	v_lshlrev_b32_e32 v1, 8, v1
	v_lshl_add_u32 v34, v34, 10, v16
	v_and_b32_e32 v35, 7, v35
	v_and_or_b32 v1, v1, s44, v34
	v_cndmask_b32_e64 v33, v33, v35, s[4:5]
	v_lshlrev_b32_e32 v1, 16, v1
	v_lshl_or_b32 v33, v33, 23, v1
.LBB246_91:                             ;   in Loop: Header=BB246_9 Depth=1
	s_or_b64 exec, exec, s[38:39]
.LBB246_92:                             ;   in Loop: Header=BB246_9 Depth=1
	s_or_b64 exec, exec, s[36:37]
.LBB246_93:                             ;   in Loop: Header=BB246_9 Depth=1
	s_or_b64 exec, exec, s[34:35]
	global_load_ushort v7, v[7:8], off offset:776
	s_waitcnt vmcnt(0)
	v_and_b32_e32 v1, 0xffff, v7
	v_cmp_ne_u16_sdwa s[4:5], v7, v2 src0_sel:BYTE_0 src1_sel:DWORD
	s_and_saveexec_b64 s[34:35], s[4:5]
	s_cbranch_execz .LBB246_99
; %bb.94:                               ;   in Loop: Header=BB246_9 Depth=1
	v_cmp_ne_u16_sdwa s[4:5], v1, s42 src0_sel:BYTE_0 src1_sel:DWORD
	v_mov_b32_e32 v32, 0x8000
	s_and_saveexec_b64 s[36:37], s[4:5]
	s_cbranch_execz .LBB246_98
; %bb.95:                               ;   in Loop: Header=BB246_9 Depth=1
	v_and_b32_e32 v7, 0x7f, v1
	v_cmp_ne_u32_e64 s[4:5], s43, v7
	v_mov_b32_e32 v32, 0x7c01
	s_and_saveexec_b64 s[38:39], s[4:5]
	s_cbranch_execz .LBB246_97
; %bb.96:                               ;   in Loop: Header=BB246_9 Depth=1
	v_and_b32_e32 v8, 7, v1
	v_ffbh_u32_e32 v34, v8
	v_min_u32_e32 v36, 32, v34
	v_subrev_u32_e32 v34, 28, v36
	v_lshlrev_b64 v[34:35], v34, v[1:2]
	v_lshrrev_b32_e32 v32, 3, v7
	v_sub_u32_e32 v35, 29, v36
	v_cmp_gt_u32_e64 s[4:5], 8, v7
	v_cndmask_b32_e64 v7, v32, v35, s[4:5]
	v_lshl_add_u32 v7, v7, 10, v16
	v_lshlrev_b32_e32 v32, 8, v1
	v_and_b32_e32 v34, 7, v34
	v_and_b32_e32 v7, 0xfc00, v7
	v_cndmask_b32_e64 v8, v8, v34, s[4:5]
	v_and_or_b32 v7, v32, s44, v7
	v_lshl_or_b32 v32, v8, 7, v7
.LBB246_97:                             ;   in Loop: Header=BB246_9 Depth=1
	s_or_b64 exec, exec, s[38:39]
.LBB246_98:                             ;   in Loop: Header=BB246_9 Depth=1
	s_or_b64 exec, exec, s[36:37]
.LBB246_99:                             ;   in Loop: Header=BB246_9 Depth=1
	s_or_b64 exec, exec, s[34:35]
	v_lshrrev_b16_e32 v1, 8, v1
	v_cmp_ne_u16_e64 s[4:5], 0, v1
	v_mov_b32_e32 v7, 0
	s_and_saveexec_b64 s[34:35], s[4:5]
	s_cbranch_execz .LBB246_105
; %bb.100:                              ;   in Loop: Header=BB246_9 Depth=1
	v_cmp_ne_u16_e64 s[4:5], s42, v1
	v_bfrev_b32_e32 v7, 1
	s_and_saveexec_b64 s[36:37], s[4:5]
	s_cbranch_execz .LBB246_104
; %bb.101:                              ;   in Loop: Header=BB246_9 Depth=1
	v_and_b32_e32 v8, 0x7f, v1
	v_cmp_ne_u32_e64 s[4:5], s43, v8
	v_mov_b32_e32 v7, 0x7c010000
	s_and_saveexec_b64 s[38:39], s[4:5]
	s_cbranch_execz .LBB246_103
; %bb.102:                              ;   in Loop: Header=BB246_9 Depth=1
	v_and_b32_e32 v7, 7, v1
	v_ffbh_u32_e32 v34, v7
	v_min_u32_e32 v37, 32, v34
	v_subrev_u32_e32 v34, 28, v37
	v_lshlrev_b64 v[34:35], v34, v[1:2]
	v_lshrrev_b32_e32 v36, 3, v8
	v_sub_u32_e32 v35, 29, v37
	v_cmp_gt_u32_e64 s[4:5], 8, v8
	v_cndmask_b32_e64 v8, v36, v35, s[4:5]
	v_lshlrev_b32_e32 v1, 8, v1
	v_lshl_add_u32 v8, v8, 10, v16
	v_and_b32_e32 v34, 7, v34
	v_and_or_b32 v1, v1, s44, v8
	v_cndmask_b32_e64 v7, v7, v34, s[4:5]
	v_lshlrev_b32_e32 v1, 16, v1
	v_lshl_or_b32 v7, v7, 23, v1
.LBB246_103:                            ;   in Loop: Header=BB246_9 Depth=1
	s_or_b64 exec, exec, s[38:39]
.LBB246_104:                            ;   in Loop: Header=BB246_9 Depth=1
	s_or_b64 exec, exec, s[36:37]
.LBB246_105:                            ;   in Loop: Header=BB246_9 Depth=1
	s_or_b64 exec, exec, s[34:35]
	v_or_b32_e32 v1, v21, v19
	v_or_b32_e32 v19, v23, v20
	v_fma_mixlo_f16 v19, v18, v19, 0 op_sel_hi:[0,1,0]
	v_and_b32_e32 v34, 0xffff, v19
	v_or_b32_e32 v19, v25, v22
	ds_read_b32 v22, v13
	v_fma_mixlo_f16 v20, v18, v23, 0 op_sel:[0,1,0] op_sel_hi:[0,1,0]
	v_or_b32_e32 v23, v27, v24
	v_fma_mixlo_f16 v1, v18, v1, 0 op_sel_hi:[0,1,0]
	v_fma_mixlo_f16 v8, v18, v21, 0 op_sel:[0,1,0] op_sel_hi:[0,1,0]
	v_fma_mixlo_f16 v23, v18, v23, 0 op_sel_hi:[0,1,0]
	v_and_b32_e32 v38, 0xffff, v23
	s_waitcnt lgkmcnt(0)
	v_lshrrev_b32_e32 v23, 16, v22
	v_and_b32_e32 v22, 0xffff, v22
	v_and_b32_e32 v8, 0xffff, v8
	v_and_b32_e32 v1, 0xffff, v1
	v_fma_mixlo_f16 v21, v18, v25, 0 op_sel:[0,1,0] op_sel_hi:[0,1,0]
	;;#ASMSTART
	v_cvt_f32_f16 v22, v22;
	;;#ASMEND
	;;#ASMSTART
	v_cvt_f32_f16 v23, v23;
	;;#ASMEND
	;;#ASMSTART
	v_cvt_f32_f16 v1, v1;
	;;#ASMEND
	;;#ASMSTART
	v_cvt_f32_f16 v8, v8;
	;;#ASMEND
	ds_read_b32 v25, v13 offset:4
	v_fma_mixlo_f16 v24, v18, v27, 0 op_sel:[0,1,0] op_sel_hi:[0,1,0]
	v_or_b32_e32 v26, v29, v26
	v_fma_mixlo_f16 v27, v18, v29, 0 op_sel:[0,1,0] op_sel_hi:[0,1,0]
	v_and_b32_e32 v35, 0xffff, v20
	s_waitcnt lgkmcnt(0)
	v_lshrrev_b32_e32 v29, 16, v25
	v_and_b32_e32 v25, 0xffff, v25
	;;#ASMSTART
	v_cvt_f32_f16 v25, v25;
	;;#ASMEND
	;;#ASMSTART
	v_cvt_f32_f16 v29, v29;
	;;#ASMEND
	;; [unrolled: 3-line block ×4, first 2 shown]
	ds_read_b32 v35, v13 offset:8
	v_or_b32_e32 v28, v31, v28
	v_fma_mixlo_f16 v19, v18, v19, 0 op_sel_hi:[0,1,0]
	v_fma_mixlo_f16 v28, v18, v28, 0 op_sel_hi:[0,1,0]
	v_and_b32_e32 v40, 0xffff, v28
	v_or_b32_e32 v28, v33, v30
	s_waitcnt lgkmcnt(0)
	v_lshrrev_b32_e32 v36, 16, v35
	v_and_b32_e32 v30, 0xffff, v35
	v_and_b32_e32 v21, 0xffff, v21
	;; [unrolled: 1-line block ×3, first 2 shown]
	;;#ASMSTART
	v_cvt_f32_f16 v30, v30;
	;;#ASMEND
	;;#ASMSTART
	v_cvt_f32_f16 v35, v36;
	;;#ASMEND
	;; [unrolled: 3-line block ×4, first 2 shown]
	ds_read_b32 v36, v13 offset:12
	v_and_b32_e32 v39, 0xffff, v24
	v_or_b32_e32 v32, v7, v32
	v_fma_mixlo_f16 v26, v18, v26, 0 op_sel_hi:[0,1,0]
	v_fma_mixlo_f16 v31, v18, v31, 0 op_sel:[0,1,0] op_sel_hi:[0,1,0]
	s_waitcnt lgkmcnt(0)
	v_lshrrev_b32_e32 v37, 16, v36
	v_and_b32_e32 v36, 0xffff, v36
	;;#ASMSTART
	v_cvt_f32_f16 v36, v36;
	;;#ASMEND
	;;#ASMSTART
	v_cvt_f32_f16 v37, v37;
	;;#ASMEND
	;; [unrolled: 3-line block ×4, first 2 shown]
	ds_read_b32 v39, v13 offset:16
	v_fma_mixlo_f16 v28, v18, v28, 0 op_sel_hi:[0,1,0]
	v_fma_mixlo_f16 v33, v18, v33, 0 op_sel:[0,1,0] op_sel_hi:[0,1,0]
	v_fma_mixlo_f16 v32, v18, v32, 0 op_sel_hi:[0,1,0]
	v_fma_mixlo_f16 v7, v18, v7, 0 op_sel:[0,1,0] op_sel_hi:[0,1,0]
	v_mul_f32_e32 v18, v25, v20
	v_fmac_f32_e32 v18, v22, v1
	s_waitcnt lgkmcnt(0)
	v_lshrrev_b32_e32 v20, 16, v39
	v_and_b32_e32 v1, 0xffff, v39
	v_and_b32_e32 v25, 0xffff, v27
	v_and_b32_e32 v22, 0xffff, v26
	;;#ASMSTART
	v_cvt_f32_f16 v1, v1;
	;;#ASMEND
	;;#ASMSTART
	v_cvt_f32_f16 v20, v20;
	;;#ASMEND
	;; [unrolled: 3-line block ×4, first 2 shown]
	ds_read_b32 v26, v13 offset:20
	v_mul_f32_e32 v27, v29, v34
	v_fmac_f32_e32 v27, v23, v8
	v_fmac_f32_e32 v18, v30, v19
	v_and_b32_e32 v23, 0xffff, v31
	s_waitcnt lgkmcnt(0)
	v_lshrrev_b32_e32 v19, 16, v26
	v_and_b32_e32 v8, 0xffff, v26
	v_fmac_f32_e32 v27, v35, v21
	;;#ASMSTART
	v_cvt_f32_f16 v8, v8;
	;;#ASMEND
	;;#ASMSTART
	v_cvt_f32_f16 v19, v19;
	;;#ASMEND
	;; [unrolled: 3-line block ×4, first 2 shown]
	ds_read_b32 v26, v13 offset:24
	v_fmac_f32_e32 v18, v36, v24
	v_fmac_f32_e32 v27, v37, v38
	;; [unrolled: 1-line block ×4, first 2 shown]
	s_waitcnt lgkmcnt(0)
	v_lshrrev_b32_e32 v20, 16, v26
	v_and_b32_e32 v1, 0xffff, v26
	v_and_b32_e32 v24, 0xffff, v33
	;; [unrolled: 1-line block ×3, first 2 shown]
	;;#ASMSTART
	v_cvt_f32_f16 v1, v1;
	;;#ASMEND
	;;#ASMSTART
	v_cvt_f32_f16 v20, v20;
	;;#ASMEND
	;; [unrolled: 3-line block ×4, first 2 shown]
	ds_read_b32 v25, v13 offset:28
	v_fmac_f32_e32 v18, v8, v21
	v_fmac_f32_e32 v27, v19, v23
	;; [unrolled: 1-line block ×3, first 2 shown]
	v_and_b32_e32 v32, 0xffff, v32
	s_waitcnt lgkmcnt(0)
	v_lshrrev_b32_e32 v8, 16, v25
	v_and_b32_e32 v1, 0xffff, v25
	v_fmac_f32_e32 v27, v20, v24
	;;#ASMSTART
	v_cvt_f32_f16 v1, v1;
	;;#ASMEND
	;;#ASMSTART
	v_cvt_f32_f16 v8, v8;
	;;#ASMEND
	v_and_b32_e32 v19, 0xffff, v7
	;;#ASMSTART
	v_cvt_f32_f16 v7, v32;
	;;#ASMEND
	;;#ASMSTART
	v_cvt_f32_f16 v19, v19;
	;;#ASMEND
	v_fmac_f32_e32 v18, v1, v7
	v_fmac_f32_e32 v27, v8, v19
	v_and_b32_e32 v7, 64, v10
	v_add_f32_e32 v8, v18, v27
	v_add_u32_e32 v1, 64, v7
	v_xor_b32_e32 v18, 2, v10
	v_cmp_lt_i32_e64 s[4:5], v18, v1
	v_cndmask_b32_e64 v18, v10, v18, s[4:5]
	v_lshlrev_b32_e32 v18, 2, v18
	ds_bpermute_b32 v18, v18, v8
	s_waitcnt lgkmcnt(0)
	v_add_f32_e32 v8, v8, v18
	v_xor_b32_e32 v18, 1, v10
	v_cmp_lt_i32_e64 s[4:5], v18, v1
	v_cndmask_b32_e64 v18, v10, v18, s[4:5]
	v_lshlrev_b32_e32 v18, 2, v18
	ds_bpermute_b32 v18, v18, v8
	s_and_saveexec_b64 s[34:35], vcc
	s_cbranch_execz .LBB246_8
; %bb.106:                              ;   in Loop: Header=BB246_9 Depth=1
	v_add_u32_e32 v19, s41, v14
	v_cvt_f32_i32_e32 v19, v19
	s_waitcnt lgkmcnt(0)
	v_add_f32_e32 v8, v8, v18
	v_cmp_gt_i32_e64 s[4:5], s30, v14
	v_max_f32_e32 v18, v12, v12
	v_mul_f32_e32 v19, s33, v19
	v_cndmask_b32_e64 v19, 0, v19, s[2:3]
	v_fmac_f32_e32 v19, s31, v8
	v_cndmask_b32_e64 v8, 0, v19, s[4:5]
	ds_write_b32 v15, v8
	v_max_f32_e32 v8, v18, v19
	v_cndmask_b32_e64 v12, v12, v8, s[4:5]
	s_branch .LBB246_8
.LBB246_107:
	s_or_b64 exec, exec, s[18:19]
.LBB246_108:
	s_or_b64 exec, exec, s[6:7]
	v_xor_b32_e32 v2, 32, v10
	v_cmp_lt_i32_e32 vcc, v2, v1
	v_cndmask_b32_e32 v2, v10, v2, vcc
	v_lshlrev_b32_e32 v2, 2, v2
	ds_bpermute_b32 v3, v2, v12
	v_xor_b32_e32 v5, 16, v10
	v_max_f32_e32 v4, v12, v12
	v_cmp_lt_i32_e32 vcc, v5, v1
	v_xor_b32_e32 v6, 8, v10
	s_waitcnt lgkmcnt(0)
	v_max_f32_e32 v3, v3, v3
	v_max_f32_e32 v4, v4, v3
	v_cndmask_b32_e32 v3, v10, v5, vcc
	v_lshlrev_b32_e32 v3, 2, v3
	ds_bpermute_b32 v5, v3, v4
	v_cmp_lt_i32_e32 vcc, v6, v1
	v_xor_b32_e32 v8, 4, v10
	v_and_b32_e32 v12, 63, v0
	s_waitcnt lgkmcnt(0)
	v_max_f32_e32 v5, v5, v5
	v_max_f32_e32 v4, v4, v5
	v_cndmask_b32_e32 v5, v10, v6, vcc
	v_lshlrev_b32_e32 v6, 2, v5
	ds_bpermute_b32 v5, v6, v4
	v_cmp_lt_i32_e32 vcc, v8, v1
	s_waitcnt lgkmcnt(0)
	v_max_f32_e32 v5, v5, v5
	v_max_f32_e32 v5, v4, v5
	v_cndmask_b32_e32 v4, v10, v8, vcc
	v_lshlrev_b32_e32 v8, 2, v4
	ds_bpermute_b32 v13, v8, v5
	v_cmp_eq_u32_e32 vcc, 0, v12
	v_lshlrev_b32_e32 v4, 2, v11
	s_and_saveexec_b64 s[2:3], vcc
	s_cbranch_execz .LBB246_110
; %bb.109:
	s_waitcnt lgkmcnt(0)
	v_max_f32_e32 v13, v13, v13
	v_max_f32_e32 v5, v5, v5
	;; [unrolled: 1-line block ×3, first 2 shown]
	ds_write_b32 v4, v5 offset:128
.LBB246_110:
	s_or_b64 exec, exec, s[2:3]
	v_cmp_gt_u32_e64 s[2:3], 2, v12
	v_mov_b32_e32 v14, 0xff7fffff
	v_lshlrev_b32_e32 v5, 2, v12
	s_waitcnt lgkmcnt(0)
	s_barrier
	s_and_saveexec_b64 s[4:5], s[2:3]
; %bb.111:
	ds_read_b32 v14, v5 offset:128
; %bb.112:
	s_or_b64 exec, exec, s[4:5]
	v_xor_b32_e32 v13, 1, v10
	v_cmp_lt_i32_e64 s[4:5], v13, v1
	v_cndmask_b32_e64 v13, v10, v13, s[4:5]
	v_lshlrev_b32_e32 v13, 2, v13
	s_waitcnt lgkmcnt(0)
	ds_bpermute_b32 v15, v13, v14
	v_max_f32_e32 v14, v14, v14
	v_lshlrev_b32_e32 v7, 2, v7
	s_lshl_b32 s4, s21, 4
	s_min_i32 s31, s4, s30
	s_waitcnt lgkmcnt(0)
	v_max_f32_e32 v15, v15, v15
	v_max_f32_e32 v14, v14, v15
	ds_bpermute_b32 v14, v7, v14
	v_cmp_gt_i32_e64 s[4:5], s31, v0
	v_mov_b32_e32 v7, 0
	s_and_saveexec_b64 s[12:13], s[4:5]
	s_cbranch_execz .LBB246_116
; %bb.113:
	v_mov_b32_e32 v7, 0x90
	v_lshl_add_u32 v15, v0, 2, v7
	v_mov_b32_e32 v7, 0
	s_mov_b64 s[18:19], 0
	v_mov_b32_e32 v16, v0
.LBB246_114:                            ; =>This Inner Loop Header: Depth=1
	ds_read_b32 v17, v15
	v_add_u32_e32 v16, 0x80, v16
	v_cmp_le_i32_e64 s[6:7], s31, v16
	s_or_b64 s[18:19], s[6:7], s[18:19]
	s_waitcnt lgkmcnt(0)
	v_sub_f32_e32 v17, v17, v14
	v_mul_f32_e32 v17, 0x3fb8aa3b, v17
	v_exp_f32_e32 v17, v17
	ds_write_b32 v15, v17
	v_add_f32_e32 v7, v7, v17
	v_add_u32_e32 v15, 0x200, v15
	s_andn2_b64 exec, exec, s[18:19]
	s_cbranch_execnz .LBB246_114
; %bb.115:
	s_or_b64 exec, exec, s[18:19]
.LBB246_116:
	s_or_b64 exec, exec, s[12:13]
	ds_bpermute_b32 v2, v2, v7
	s_waitcnt lgkmcnt(0)
	v_add_f32_e32 v2, v7, v2
	ds_bpermute_b32 v3, v3, v2
	s_waitcnt lgkmcnt(0)
	v_add_f32_e32 v2, v2, v3
	ds_bpermute_b32 v3, v6, v2
	v_xor_b32_e32 v6, 2, v10
	v_cmp_lt_i32_e64 s[6:7], v6, v1
	v_cndmask_b32_e64 v1, v10, v6, s[6:7]
	v_lshlrev_b32_e32 v1, 2, v1
	s_waitcnt lgkmcnt(0)
	v_add_f32_e32 v2, v2, v3
	ds_bpermute_b32 v3, v8, v2
	s_waitcnt lgkmcnt(0)
	v_add_f32_e32 v2, v2, v3
	ds_bpermute_b32 v1, v1, v2
	;; [unrolled: 3-line block ×3, first 2 shown]
	s_waitcnt lgkmcnt(0)
	v_add_f32_e32 v1, v1, v2
	s_and_saveexec_b64 s[6:7], vcc
; %bb.117:
	ds_write_b32 v4, v1 offset:136
; %bb.118:
	s_or_b64 exec, exec, s[6:7]
	s_waitcnt lgkmcnt(0)
	s_barrier
	s_and_saveexec_b64 s[6:7], s[2:3]
; %bb.119:
	ds_read_b32 v1, v5 offset:136
; %bb.120:
	s_or_b64 exec, exec, s[6:7]
	s_waitcnt lgkmcnt(0)
	ds_bpermute_b32 v2, v13, v1
	v_lshlrev_b32_e32 v3, 2, v10
	s_waitcnt lgkmcnt(0)
	v_add_f32_e32 v1, v1, v2
	v_and_b32_e32 v2, 0xffffff00, v3
	ds_bpermute_b32 v1, v2, v1
	s_and_saveexec_b64 s[2:3], s[4:5]
	s_cbranch_execz .LBB246_123
; %bb.121:
	s_waitcnt lgkmcnt(0)
	v_add_f32_e32 v2, 0x358637bd, v1
	v_div_scale_f32 v1, s[4:5], v2, v2, 1.0
	v_div_scale_f32 v3, vcc, 1.0, v2, 1.0
	s_mov_b64 s[4:5], 0
	v_rcp_f32_e32 v4, v1
	v_fma_f32 v5, -v1, v4, 1.0
	v_fmac_f32_e32 v4, v5, v4
	v_mul_f32_e32 v5, v3, v4
	v_fma_f32 v6, -v1, v5, v3
	v_fmac_f32_e32 v5, v6, v4
	v_fma_f32 v1, -v1, v5, v3
	v_div_fmas_f32 v3, v1, v4, v5
	v_mov_b32_e32 v1, 0x90
	v_lshl_add_u32 v1, v0, 2, v1
	v_div_fixup_f32 v2, v3, v2, 1.0
	v_mov_b32_e32 v3, v0
.LBB246_122:                            ; =>This Inner Loop Header: Depth=1
	ds_read_b32 v4, v1
	v_add_u32_e32 v3, 0x80, v3
	v_cmp_le_i32_e32 vcc, s31, v3
	s_or_b64 s[4:5], vcc, s[4:5]
	s_waitcnt lgkmcnt(0)
	v_mul_f32_e32 v4, v2, v4
	ds_write_b32 v1, v4
	v_add_u32_e32 v1, 0x200, v1
	s_andn2_b64 exec, exec, s[4:5]
	s_cbranch_execnz .LBB246_122
.LBB246_123:
	s_or_b64 exec, exec, s[2:3]
	v_mov_b32_e32 v16, 0
	v_and_b32_e32 v14, 1, v0
	v_mov_b32_e32 v17, 0
	s_waitcnt lgkmcnt(0)
	s_barrier
	s_and_saveexec_b64 s[2:3], s[0:1]
	s_cbranch_execz .LBB246_227
; %bb.124:
	v_lshlrev_b32_e32 v1, 3, v0
	s_ashr_i32 s0, s16, 31
	v_and_b32_e32 v5, 8, v1
	s_add_u32 s1, s28, s16
	v_and_b32_e32 v1, 0x1f8, v1
	s_addc_u32 s0, s29, s0
	v_add_co_u32_e32 v3, vcc, s1, v1
	v_lshlrev_b32_e32 v1, 4, v11
	s_add_i32 s28, s21, -1
	v_mov_b32_e32 v4, s0
	v_or3_b32 v15, v1, v5, 7
	v_lshlrev_b32_e32 v1, 5, v14
	s_lshl_b64 s[0:1], s[26:27], 2
	v_lshl_or_b32 v1, v11, 6, v1
	s_add_u32 s0, s24, s0
	v_addc_co_u32_e32 v4, vcc, 0, v4, vcc
	v_add_u32_e32 v18, 0x90, v1
	v_and_b32_e32 v1, 60, v9
	s_addc_u32 s1, s25, s1
	s_mov_b32 s4, -1
	v_mov_b32_e32 v6, s1
	v_add_co_u32_e32 v5, vcc, s0, v1
	s_mov_b32 s31, s17
	s_mov_b32 s5, 0xffffff
	v_mov_b32_e32 v2, 0
	v_addc_co_u32_e32 v6, vcc, 0, v6, vcc
	s_mov_b64 s[6:7], 0
	s_movk_i32 s24, 0x80
	s_movk_i32 s25, 0x7f
	s_mov_b32 s26, 0x8000
	v_mov_b32_e32 v19, 0x2000
	v_mov_b32_e32 v17, 0
	;; [unrolled: 1-line block ×3, first 2 shown]
	s_branch .LBB246_126
.LBB246_125:                            ;   in Loop: Header=BB246_126 Depth=1
	s_or_b64 exec, exec, s[0:1]
	v_add_f32_e32 v7, v29, v30
	v_add_f32_e32 v16, v16, v7
	;;#ASMSTART
	v_pk_mul_f16 v7, v25, v8;

	;;#ASMEND
	;;#ASMSTART
	v_pk_mul_f16 v1, v26, v1;

	;;#ASMEND
	;; [unrolled: 4-line block ×4, first 2 shown]
	;;#ASMSTART
	v_pk_add_f16 v1, v7, v1;

	;;#ASMEND
	;;#ASMSTART
	v_pk_add_f16 v1, v1, v8;

	;;#ASMEND
	;;#ASMSTART
	v_pk_add_f16 v1, v1, v9;

	;;#ASMEND
	v_lshrrev_b32_e32 v7, 16, v1
	v_and_b32_e32 v1, 0xffff, v1
	v_add_u32_e32 v11, 2, v11
	;;#ASMSTART
	v_cvt_f32_f16 v1, v1;
	;;#ASMEND
	v_cmp_le_i32_e32 vcc, s21, v11
	;;#ASMSTART
	v_cvt_f32_f16 v7, v7;
	;;#ASMEND
	v_add_f32_e32 v1, v1, v7
	s_or_b64 s[6:7], vcc, s[6:7]
	v_add_co_u32_e32 v5, vcc, 8, v5
	v_add_f32_e32 v17, v17, v1
	v_add_u32_e32 v15, 32, v15
	v_add_u32_e32 v18, 0x80, v18
	v_addc_co_u32_e32 v6, vcc, 0, v6, vcc
	s_andn2_b64 exec, exec, s[6:7]
	s_cbranch_execz .LBB246_226
.LBB246_126:                            ; =>This Inner Loop Header: Depth=1
	global_load_dword v1, v[5:6], off
	ds_read2_b64 v[7:10], v18 offset1:1
	ds_read2_b64 v[20:23], v18 offset0:2 offset1:3
	s_waitcnt lgkmcnt(1)
	;;#ASMSTART
	v_cvt_f16_f32 v25, v7;

	;;#ASMEND
	;;#ASMSTART
	v_cvt_f16_f32 v26, v8;

	;;#ASMEND
	;; [unrolled: 4-line block ×4, first 2 shown]
	s_waitcnt lgkmcnt(0)
	;;#ASMSTART
	v_cvt_f16_f32 v29, v20;

	;;#ASMEND
	;;#ASMSTART
	v_cvt_f16_f32 v30, v21;

	;;#ASMEND
	;; [unrolled: 4-line block ×4, first 2 shown]
	v_mov_b32_e32 v21, 0
	s_waitcnt vmcnt(0)
	v_mad_i64_i32 v[7:8], s[0:1], v1, s31, v[3:4]
	global_load_dwordx2 v[9:10], v[7:8], off
	global_load_dword v20, v2, s[14:15]
	s_waitcnt vmcnt(1)
	v_cmp_ne_u16_sdwa s[12:13], v9, v2 src0_sel:BYTE_0 src1_sel:DWORD
	s_and_saveexec_b64 s[0:1], s[12:13]
	s_cbranch_execz .LBB246_132
; %bb.127:                              ;   in Loop: Header=BB246_126 Depth=1
	v_cmp_ne_u16_sdwa s[16:17], v9, s24 src0_sel:BYTE_0 src1_sel:DWORD
	v_mov_b32_e32 v21, 0x8000
	s_and_saveexec_b64 s[12:13], s[16:17]
	s_cbranch_execz .LBB246_131
; %bb.128:                              ;   in Loop: Header=BB246_126 Depth=1
	v_and_b32_e32 v1, 0x7f, v9
	v_cmp_ne_u32_e32 vcc, s25, v1
	v_mov_b32_e32 v21, 0x7c01
	s_and_saveexec_b64 s[16:17], vcc
	s_cbranch_execz .LBB246_130
; %bb.129:                              ;   in Loop: Header=BB246_126 Depth=1
	v_and_b32_e32 v23, 7, v9
	v_ffbh_u32_e32 v21, v23
	v_min_u32_e32 v33, 32, v21
	v_subrev_u32_e32 v21, 28, v33
	v_lshlrev_b64 v[21:22], v21, v[9:10]
	v_lshrrev_b32_e32 v24, 3, v1
	v_sub_u32_e32 v22, 29, v33
	v_cmp_gt_u32_e32 vcc, 8, v1
	v_cndmask_b32_e32 v1, v24, v22, vcc
	v_lshl_add_u32 v1, v1, 10, v19
	v_lshlrev_b32_e32 v22, 8, v9
	v_and_b32_e32 v21, 7, v21
	v_and_b32_e32 v1, 0xfc00, v1
	v_cndmask_b32_e32 v21, v23, v21, vcc
	v_and_or_b32 v1, v22, s26, v1
	v_lshl_or_b32 v21, v21, 7, v1
.LBB246_130:                            ;   in Loop: Header=BB246_126 Depth=1
	s_or_b64 exec, exec, s[16:17]
.LBB246_131:                            ;   in Loop: Header=BB246_126 Depth=1
	s_or_b64 exec, exec, s[12:13]
.LBB246_132:                            ;   in Loop: Header=BB246_126 Depth=1
	s_or_b64 exec, exec, s[0:1]
	v_lshrrev_b16_e32 v1, 8, v9
	v_cmp_ne_u16_e32 vcc, 0, v1
	v_mov_b32_e32 v23, 0
	v_mov_b32_e32 v22, 0
	s_and_saveexec_b64 s[0:1], vcc
	s_cbranch_execz .LBB246_138
; %bb.133:                              ;   in Loop: Header=BB246_126 Depth=1
	v_cmp_ne_u16_e32 vcc, s24, v1
	v_bfrev_b32_e32 v22, 1
	s_and_saveexec_b64 s[12:13], vcc
	s_cbranch_execz .LBB246_137
; %bb.134:                              ;   in Loop: Header=BB246_126 Depth=1
	v_and_b32_e32 v24, 0x7f, v1
	v_cmp_ne_u32_e32 vcc, s25, v24
	v_mov_b32_e32 v22, 0x7c010000
	s_and_saveexec_b64 s[16:17], vcc
	s_cbranch_execz .LBB246_136
; %bb.135:                              ;   in Loop: Header=BB246_126 Depth=1
	v_and_b32_e32 v22, 7, v1
	v_ffbh_u32_e32 v33, v22
	v_min_u32_e32 v36, 32, v33
	v_subrev_u32_e32 v33, 28, v36
	v_lshlrev_b64 v[33:34], v33, v[1:2]
	v_lshrrev_b32_e32 v35, 3, v24
	v_sub_u32_e32 v34, 29, v36
	v_cmp_gt_u32_e32 vcc, 8, v24
	v_cndmask_b32_e32 v24, v35, v34, vcc
	v_lshlrev_b32_e32 v1, 8, v1
	v_lshl_add_u32 v24, v24, 10, v19
	v_and_b32_e32 v33, 7, v33
	v_and_or_b32 v1, v1, s26, v24
	v_cndmask_b32_e32 v22, v22, v33, vcc
	v_lshlrev_b32_e32 v1, 16, v1
	v_lshl_or_b32 v22, v22, 23, v1
.LBB246_136:                            ;   in Loop: Header=BB246_126 Depth=1
	s_or_b64 exec, exec, s[16:17]
.LBB246_137:                            ;   in Loop: Header=BB246_126 Depth=1
	s_or_b64 exec, exec, s[12:13]
.LBB246_138:                            ;   in Loop: Header=BB246_126 Depth=1
	s_or_b64 exec, exec, s[0:1]
	v_lshrrev_b32_e32 v1, 16, v9
	v_cmp_ne_u16_sdwa s[12:13], v1, v2 src0_sel:BYTE_0 src1_sel:DWORD
	s_and_saveexec_b64 s[0:1], s[12:13]
	s_cbranch_execz .LBB246_144
; %bb.139:                              ;   in Loop: Header=BB246_126 Depth=1
	v_cmp_ne_u16_sdwa s[16:17], v1, s24 src0_sel:BYTE_0 src1_sel:DWORD
	v_mov_b32_e32 v23, 0x8000
	s_and_saveexec_b64 s[12:13], s[16:17]
	s_cbranch_execz .LBB246_143
; %bb.140:                              ;   in Loop: Header=BB246_126 Depth=1
	v_bfe_u32 v24, v9, 16, 7
	v_cmp_ne_u32_e32 vcc, s25, v24
	v_mov_b32_e32 v23, 0x7c01
	s_and_saveexec_b64 s[16:17], vcc
	s_cbranch_execz .LBB246_142
; %bb.141:                              ;   in Loop: Header=BB246_126 Depth=1
	v_and_b32_e32 v23, 7, v1
	v_ffbh_u32_e32 v33, v23
	v_min_u32_e32 v36, 32, v33
	v_subrev_u32_e32 v33, 28, v36
	v_lshlrev_b64 v[33:34], v33, v[1:2]
	v_lshrrev_b32_e32 v35, 3, v24
	v_sub_u32_e32 v34, 29, v36
	v_cmp_gt_u32_e32 vcc, 8, v24
	v_cndmask_b32_e32 v24, v35, v34, vcc
	v_lshl_add_u32 v24, v24, 10, v19
	v_lshlrev_b32_e32 v1, 8, v1
	v_and_b32_e32 v33, 7, v33
	v_and_b32_e32 v24, 0xfc00, v24
	v_cndmask_b32_e32 v23, v23, v33, vcc
	v_and_or_b32 v1, v1, s26, v24
	v_lshl_or_b32 v23, v23, 7, v1
.LBB246_142:                            ;   in Loop: Header=BB246_126 Depth=1
	s_or_b64 exec, exec, s[16:17]
.LBB246_143:                            ;   in Loop: Header=BB246_126 Depth=1
	s_or_b64 exec, exec, s[12:13]
.LBB246_144:                            ;   in Loop: Header=BB246_126 Depth=1
	s_or_b64 exec, exec, s[0:1]
	v_cmp_lt_u32_e32 vcc, s5, v9
	v_mov_b32_e32 v24, 0
	v_mov_b32_e32 v33, 0
	s_and_saveexec_b64 s[0:1], vcc
	s_cbranch_execz .LBB246_150
; %bb.145:                              ;   in Loop: Header=BB246_126 Depth=1
	v_lshrrev_b32_e32 v1, 24, v9
	v_cmp_ne_u32_e32 vcc, s24, v1
	v_bfrev_b32_e32 v33, 1
	s_and_saveexec_b64 s[12:13], vcc
	s_cbranch_execz .LBB246_149
; %bb.146:                              ;   in Loop: Header=BB246_126 Depth=1
	v_and_b32_e32 v34, 0x7f, v1
	v_cmp_ne_u32_e32 vcc, s25, v34
	v_mov_b32_e32 v33, 0x7c010000
	s_and_saveexec_b64 s[16:17], vcc
	s_cbranch_execz .LBB246_148
; %bb.147:                              ;   in Loop: Header=BB246_126 Depth=1
	v_and_b32_e32 v33, 7, v1
	v_ffbh_u32_e32 v35, v33
	v_min_u32_e32 v38, 32, v35
	v_subrev_u32_e32 v35, 28, v38
	v_lshlrev_b64 v[35:36], v35, v[1:2]
	v_lshrrev_b32_e32 v37, 3, v34
	v_sub_u32_e32 v36, 29, v38
	v_cmp_gt_u32_e32 vcc, 8, v34
	v_cndmask_b32_e32 v34, v37, v36, vcc
	v_lshlrev_b32_e32 v1, 8, v1
	v_lshl_add_u32 v34, v34, 10, v19
	v_and_b32_e32 v35, 7, v35
	v_and_or_b32 v1, v1, s26, v34
	v_cndmask_b32_e32 v33, v33, v35, vcc
	v_lshlrev_b32_e32 v1, 16, v1
	v_lshl_or_b32 v33, v33, 23, v1
.LBB246_148:                            ;   in Loop: Header=BB246_126 Depth=1
	s_or_b64 exec, exec, s[16:17]
.LBB246_149:                            ;   in Loop: Header=BB246_126 Depth=1
	s_or_b64 exec, exec, s[12:13]
.LBB246_150:                            ;   in Loop: Header=BB246_126 Depth=1
	s_or_b64 exec, exec, s[0:1]
	v_mov_b32_e32 v1, v10
	v_cmp_ne_u16_sdwa s[12:13], v10, v2 src0_sel:BYTE_0 src1_sel:DWORD
	s_and_saveexec_b64 s[0:1], s[12:13]
	s_cbranch_execz .LBB246_156
; %bb.151:                              ;   in Loop: Header=BB246_126 Depth=1
	v_cmp_ne_u16_sdwa s[16:17], v10, s24 src0_sel:BYTE_0 src1_sel:DWORD
	v_mov_b32_e32 v24, 0x8000
	s_and_saveexec_b64 s[12:13], s[16:17]
	s_cbranch_execz .LBB246_155
; %bb.152:                              ;   in Loop: Header=BB246_126 Depth=1
	v_and_b32_e32 v34, 0x7f, v10
	v_cmp_ne_u32_e32 vcc, s25, v34
	v_mov_b32_e32 v24, 0x7c01
	s_and_saveexec_b64 s[16:17], vcc
	s_cbranch_execz .LBB246_154
; %bb.153:                              ;   in Loop: Header=BB246_126 Depth=1
	v_and_b32_e32 v24, 7, v10
	v_ffbh_u32_e32 v35, v24
	v_min_u32_e32 v38, 32, v35
	v_subrev_u32_e32 v35, 28, v38
	v_lshlrev_b64 v[35:36], v35, v[1:2]
	v_lshrrev_b32_e32 v37, 3, v34
	v_sub_u32_e32 v36, 29, v38
	v_cmp_gt_u32_e32 vcc, 8, v34
	v_cndmask_b32_e32 v34, v37, v36, vcc
	v_lshl_add_u32 v34, v34, 10, v19
	v_lshlrev_b32_e32 v36, 8, v10
	v_and_b32_e32 v35, 7, v35
	v_and_b32_e32 v34, 0xfc00, v34
	v_cndmask_b32_e32 v24, v24, v35, vcc
	v_and_or_b32 v34, v36, s26, v34
	v_lshl_or_b32 v24, v24, 7, v34
.LBB246_154:                            ;   in Loop: Header=BB246_126 Depth=1
	s_or_b64 exec, exec, s[16:17]
.LBB246_155:                            ;   in Loop: Header=BB246_126 Depth=1
	s_or_b64 exec, exec, s[12:13]
.LBB246_156:                            ;   in Loop: Header=BB246_126 Depth=1
	s_or_b64 exec, exec, s[0:1]
	v_lshrrev_b16_e32 v1, 8, v1
	v_cmp_ne_u16_e32 vcc, 0, v1
	v_mov_b32_e32 v34, 0
	v_mov_b32_e32 v35, 0
	s_and_saveexec_b64 s[0:1], vcc
	s_cbranch_execz .LBB246_162
; %bb.157:                              ;   in Loop: Header=BB246_126 Depth=1
	v_cmp_ne_u16_e32 vcc, s24, v1
	v_bfrev_b32_e32 v35, 1
	s_and_saveexec_b64 s[12:13], vcc
	s_cbranch_execz .LBB246_161
; %bb.158:                              ;   in Loop: Header=BB246_126 Depth=1
	v_and_b32_e32 v36, 0x7f, v1
	v_cmp_ne_u32_e32 vcc, s25, v36
	v_mov_b32_e32 v35, 0x7c010000
	s_and_saveexec_b64 s[16:17], vcc
	s_cbranch_execz .LBB246_160
; %bb.159:                              ;   in Loop: Header=BB246_126 Depth=1
	v_and_b32_e32 v35, 7, v1
	v_ffbh_u32_e32 v37, v35
	v_min_u32_e32 v40, 32, v37
	v_subrev_u32_e32 v37, 28, v40
	v_lshlrev_b64 v[37:38], v37, v[1:2]
	v_lshrrev_b32_e32 v39, 3, v36
	v_sub_u32_e32 v38, 29, v40
	v_cmp_gt_u32_e32 vcc, 8, v36
	v_cndmask_b32_e32 v36, v39, v38, vcc
	v_lshlrev_b32_e32 v1, 8, v1
	v_lshl_add_u32 v36, v36, 10, v19
	v_and_b32_e32 v37, 7, v37
	v_and_or_b32 v1, v1, s26, v36
	v_cndmask_b32_e32 v35, v35, v37, vcc
	v_lshlrev_b32_e32 v1, 16, v1
	v_lshl_or_b32 v35, v35, 23, v1
.LBB246_160:                            ;   in Loop: Header=BB246_126 Depth=1
	s_or_b64 exec, exec, s[16:17]
.LBB246_161:                            ;   in Loop: Header=BB246_126 Depth=1
	s_or_b64 exec, exec, s[12:13]
.LBB246_162:                            ;   in Loop: Header=BB246_126 Depth=1
	s_or_b64 exec, exec, s[0:1]
	v_lshrrev_b32_e32 v1, 16, v10
	v_cmp_ne_u16_sdwa s[12:13], v1, v2 src0_sel:BYTE_0 src1_sel:DWORD
	s_and_saveexec_b64 s[0:1], s[12:13]
	s_cbranch_execz .LBB246_168
; %bb.163:                              ;   in Loop: Header=BB246_126 Depth=1
	v_cmp_ne_u16_sdwa s[16:17], v1, s24 src0_sel:BYTE_0 src1_sel:DWORD
	v_mov_b32_e32 v34, 0x8000
	s_and_saveexec_b64 s[12:13], s[16:17]
	s_cbranch_execz .LBB246_167
; %bb.164:                              ;   in Loop: Header=BB246_126 Depth=1
	v_bfe_u32 v36, v10, 16, 7
	v_cmp_ne_u32_e32 vcc, s25, v36
	v_mov_b32_e32 v34, 0x7c01
	s_and_saveexec_b64 s[16:17], vcc
	s_cbranch_execz .LBB246_166
; %bb.165:                              ;   in Loop: Header=BB246_126 Depth=1
	v_and_b32_e32 v34, 7, v1
	v_ffbh_u32_e32 v37, v34
	v_min_u32_e32 v40, 32, v37
	v_subrev_u32_e32 v37, 28, v40
	v_lshlrev_b64 v[37:38], v37, v[1:2]
	v_lshrrev_b32_e32 v39, 3, v36
	v_sub_u32_e32 v38, 29, v40
	v_cmp_gt_u32_e32 vcc, 8, v36
	v_cndmask_b32_e32 v36, v39, v38, vcc
	v_lshl_add_u32 v36, v36, 10, v19
	v_lshlrev_b32_e32 v1, 8, v1
	v_and_b32_e32 v37, 7, v37
	v_and_b32_e32 v36, 0xfc00, v36
	v_cndmask_b32_e32 v34, v34, v37, vcc
	v_and_or_b32 v1, v1, s26, v36
	v_lshl_or_b32 v34, v34, 7, v1
.LBB246_166:                            ;   in Loop: Header=BB246_126 Depth=1
	s_or_b64 exec, exec, s[16:17]
.LBB246_167:                            ;   in Loop: Header=BB246_126 Depth=1
	s_or_b64 exec, exec, s[12:13]
.LBB246_168:                            ;   in Loop: Header=BB246_126 Depth=1
	s_or_b64 exec, exec, s[0:1]
	v_cmp_lt_u64_e32 vcc, s[4:5], v[9:10]
	v_mov_b32_e32 v36, 0
	s_and_saveexec_b64 s[0:1], vcc
	s_cbranch_execz .LBB246_174
; %bb.169:                              ;   in Loop: Header=BB246_126 Depth=1
	v_lshrrev_b32_e32 v1, 24, v10
	v_cmp_ne_u32_e32 vcc, s24, v1
	v_bfrev_b32_e32 v36, 1
	s_and_saveexec_b64 s[12:13], vcc
	s_cbranch_execz .LBB246_173
; %bb.170:                              ;   in Loop: Header=BB246_126 Depth=1
	v_and_b32_e32 v9, 0x7f, v1
	v_cmp_ne_u32_e32 vcc, s25, v9
	v_mov_b32_e32 v36, 0x7c010000
	s_and_saveexec_b64 s[16:17], vcc
	s_cbranch_execz .LBB246_172
; %bb.171:                              ;   in Loop: Header=BB246_126 Depth=1
	v_and_b32_e32 v10, 7, v1
	v_ffbh_u32_e32 v36, v10
	v_min_u32_e32 v39, 32, v36
	v_subrev_u32_e32 v36, 28, v39
	v_lshlrev_b64 v[36:37], v36, v[1:2]
	v_lshrrev_b32_e32 v38, 3, v9
	v_sub_u32_e32 v37, 29, v39
	v_cmp_gt_u32_e32 vcc, 8, v9
	v_cndmask_b32_e32 v9, v38, v37, vcc
	v_lshlrev_b32_e32 v1, 8, v1
	v_lshl_add_u32 v9, v9, 10, v19
	v_and_b32_e32 v36, 7, v36
	v_and_or_b32 v1, v1, s26, v9
	v_cndmask_b32_e32 v10, v10, v36, vcc
	v_lshlrev_b32_e32 v1, 16, v1
	v_lshl_or_b32 v36, v10, 23, v1
.LBB246_172:                            ;   in Loop: Header=BB246_126 Depth=1
	s_or_b64 exec, exec, s[16:17]
.LBB246_173:                            ;   in Loop: Header=BB246_126 Depth=1
	s_or_b64 exec, exec, s[12:13]
.LBB246_174:                            ;   in Loop: Header=BB246_126 Depth=1
	s_or_b64 exec, exec, s[0:1]
	s_waitcnt vmcnt(0)
	v_fma_mixlo_f16 v10, v20, v33, 0 op_sel:[0,1,0] op_sel_hi:[0,1,0]
	v_lshlrev_b32_e32 v37, 16, v10
	v_or_b32_e32 v10, v22, v21
	v_fma_mixlo_f16 v10, v20, v10, 0 op_sel_hi:[0,1,0]
	v_and_b32_e32 v43, 0xffff, v10
	v_or_b32_e32 v10, v35, v24
	v_fma_mixlo_f16 v10, v20, v10, 0 op_sel_hi:[0,1,0]
	v_or_b32_e32 v1, v33, v23
	v_fma_mixlo_f16 v21, v20, v22, 0 op_sel:[0,1,0] op_sel_hi:[0,1,0]
	v_and_b32_e32 v41, 0xffff, v10
	v_or_b32_e32 v10, v36, v34
	v_fma_mixlo_f16 v1, v20, v1, 0 op_sel_hi:[0,1,0]
	v_lshlrev_b32_e32 v40, 16, v21
	v_fma_mixlo_f16 v21, v20, v35, 0 op_sel:[0,1,0] op_sel_hi:[0,1,0]
	v_fma_mixlo_f16 v10, v20, v10, 0 op_sel_hi:[0,1,0]
	v_fma_mixlo_f16 v20, v20, v36, 0 op_sel:[0,1,0] op_sel_hi:[0,1,0]
	v_and_b32_e32 v38, 0xffff, v1
	v_lshlrev_b32_e32 v39, 16, v21
	v_lshlrev_b32_e32 v36, 16, v20
	v_and_b32_e32 v42, 0xffff, v10
	v_add_u32_e32 v9, -7, v15
	v_cmp_eq_u32_e32 vcc, s28, v11
	v_or_b32_e32 v1, v37, v38
	v_or_b32_e32 v33, v40, v43
	v_or_b32_e32 v35, v39, v41
	v_or_b32_e32 v34, v36, v42
	v_add_u32_e32 v24, -6, v15
	v_add_u32_e32 v23, -5, v15
	;; [unrolled: 1-line block ×6, first 2 shown]
	s_and_saveexec_b64 s[12:13], vcc
	s_cbranch_execz .LBB246_176
; %bb.175:                              ;   in Loop: Header=BB246_126 Depth=1
	v_cmp_gt_i32_e64 s[0:1], s30, v9
	v_cndmask_b32_e64 v1, 0, v43, s[0:1]
	v_cmp_gt_i32_e64 s[0:1], s30, v24
	v_cndmask_b32_e64 v33, 0, v40, s[0:1]
	v_cmp_gt_i32_e64 s[0:1], s30, v23
	v_or_b32_e32 v33, v33, v1
	v_cndmask_b32_e64 v1, 0, v38, s[0:1]
	v_cmp_gt_i32_e64 s[0:1], s30, v22
	v_cndmask_b32_e64 v34, 0, v37, s[0:1]
	v_cmp_gt_i32_e64 s[0:1], s30, v21
	v_or_b32_e32 v1, v34, v1
	;; [unrolled: 5-line block ×3, first 2 shown]
	v_cndmask_b32_e64 v34, 0, v42, s[0:1]
	v_cmp_gt_i32_e64 s[0:1], s30, v15
	v_cndmask_b32_e64 v36, 0, v36, s[0:1]
	v_or_b32_e32 v34, v36, v34
.LBB246_176:                            ;   in Loop: Header=BB246_126 Depth=1
	s_or_b64 exec, exec, s[12:13]
	v_and_b32_e32 v25, 0xffff, v25
	v_lshl_or_b32 v25, v26, 16, v25
	v_and_b32_e32 v26, 0xffff, v27
	v_lshl_or_b32 v26, v28, 16, v26
	v_and_b32_e32 v27, 0xffff, v29
	v_and_b32_e32 v28, 0xffff, v31
	;;#ASMSTART
	v_pk_mul_f16 v29, v25, v33;

	;;#ASMEND
	;;#ASMSTART
	v_pk_mul_f16 v1, v26, v1;

	;;#ASMEND
	v_lshl_or_b32 v27, v30, 16, v27
	v_lshl_or_b32 v28, v32, 16, v28
	;;#ASMSTART
	v_pk_mul_f16 v30, v27, v35;

	;;#ASMEND
	;;#ASMSTART
	v_pk_mul_f16 v31, v28, v34;

	;;#ASMEND
	;;#ASMSTART
	v_pk_add_f16 v1, v29, v1;

	;;#ASMEND
	;;#ASMSTART
	v_pk_add_f16 v1, v1, v30;
	;; [unrolled: 4-line block ×3, first 2 shown]

	;;#ASMEND
	v_lshrrev_b32_e32 v30, 16, v1
	v_and_b32_e32 v1, 0xffff, v1
	;;#ASMSTART
	v_cvt_f32_f16 v29, v1;
	;;#ASMEND
	;;#ASMSTART
	v_cvt_f32_f16 v30, v30;
	;;#ASMEND
	global_load_dwordx2 v[7:8], v[7:8], off offset:512
	v_mov_b32_e32 v32, 0
	global_load_dword v31, v32, s[14:15]
	v_mov_b32_e32 v33, 0
	s_waitcnt vmcnt(1)
	v_cmp_ne_u16_sdwa s[0:1], v7, v2 src0_sel:BYTE_0 src1_sel:DWORD
	s_and_saveexec_b64 s[12:13], s[0:1]
	s_cbranch_execz .LBB246_182
; %bb.177:                              ;   in Loop: Header=BB246_126 Depth=1
	v_cmp_ne_u16_sdwa s[0:1], v7, s24 src0_sel:BYTE_0 src1_sel:DWORD
	v_mov_b32_e32 v33, 0x8000
	s_and_saveexec_b64 s[16:17], s[0:1]
	s_cbranch_execz .LBB246_181
; %bb.178:                              ;   in Loop: Header=BB246_126 Depth=1
	v_and_b32_e32 v1, 0x7f, v7
	v_cmp_ne_u32_e64 s[0:1], s25, v1
	v_mov_b32_e32 v33, 0x7c01
	s_and_saveexec_b64 s[18:19], s[0:1]
	s_cbranch_execz .LBB246_180
; %bb.179:                              ;   in Loop: Header=BB246_126 Depth=1
	v_and_b32_e32 v35, 7, v7
	v_ffbh_u32_e32 v33, v35
	v_min_u32_e32 v37, 32, v33
	v_subrev_u32_e32 v33, 28, v37
	v_lshlrev_b64 v[33:34], v33, v[7:8]
	v_lshrrev_b32_e32 v36, 3, v1
	v_sub_u32_e32 v34, 29, v37
	v_cmp_gt_u32_e64 s[0:1], 8, v1
	v_cndmask_b32_e64 v1, v36, v34, s[0:1]
	v_lshl_add_u32 v1, v1, 10, v19
	v_lshlrev_b32_e32 v34, 8, v7
	v_and_b32_e32 v33, 7, v33
	v_and_b32_e32 v1, 0xfc00, v1
	v_cndmask_b32_e64 v33, v35, v33, s[0:1]
	v_and_or_b32 v1, v34, s26, v1
	v_lshl_or_b32 v33, v33, 7, v1
.LBB246_180:                            ;   in Loop: Header=BB246_126 Depth=1
	s_or_b64 exec, exec, s[18:19]
.LBB246_181:                            ;   in Loop: Header=BB246_126 Depth=1
	s_or_b64 exec, exec, s[16:17]
.LBB246_182:                            ;   in Loop: Header=BB246_126 Depth=1
	s_or_b64 exec, exec, s[12:13]
	v_lshrrev_b16_e32 v1, 8, v7
	v_cmp_ne_u16_e64 s[0:1], 0, v1
	s_and_saveexec_b64 s[12:13], s[0:1]
	s_cbranch_execz .LBB246_188
; %bb.183:                              ;   in Loop: Header=BB246_126 Depth=1
	v_cmp_ne_u16_e64 s[0:1], s24, v1
	v_bfrev_b32_e32 v32, 1
	s_and_saveexec_b64 s[16:17], s[0:1]
	s_cbranch_execz .LBB246_187
; %bb.184:                              ;   in Loop: Header=BB246_126 Depth=1
	v_and_b32_e32 v34, 0x7f, v1
	v_cmp_ne_u32_e64 s[0:1], s25, v34
	v_mov_b32_e32 v32, 0x7c010000
	s_and_saveexec_b64 s[18:19], s[0:1]
	s_cbranch_execz .LBB246_186
; %bb.185:                              ;   in Loop: Header=BB246_126 Depth=1
	v_and_b32_e32 v32, 7, v1
	v_ffbh_u32_e32 v35, v32
	v_min_u32_e32 v38, 32, v35
	v_subrev_u32_e32 v35, 28, v38
	v_lshlrev_b64 v[35:36], v35, v[1:2]
	v_lshrrev_b32_e32 v37, 3, v34
	v_sub_u32_e32 v36, 29, v38
	v_cmp_gt_u32_e64 s[0:1], 8, v34
	v_cndmask_b32_e64 v34, v37, v36, s[0:1]
	v_lshlrev_b32_e32 v1, 8, v1
	v_lshl_add_u32 v34, v34, 10, v19
	v_and_b32_e32 v35, 7, v35
	v_and_or_b32 v1, v1, s26, v34
	v_cndmask_b32_e64 v32, v32, v35, s[0:1]
	v_lshlrev_b32_e32 v1, 16, v1
	v_lshl_or_b32 v32, v32, 23, v1
.LBB246_186:                            ;   in Loop: Header=BB246_126 Depth=1
	s_or_b64 exec, exec, s[18:19]
.LBB246_187:                            ;   in Loop: Header=BB246_126 Depth=1
	s_or_b64 exec, exec, s[16:17]
.LBB246_188:                            ;   in Loop: Header=BB246_126 Depth=1
	s_or_b64 exec, exec, s[12:13]
	v_lshrrev_b32_e32 v1, 16, v7
	v_cmp_ne_u16_sdwa s[0:1], v1, v2 src0_sel:BYTE_0 src1_sel:DWORD
	v_mov_b32_e32 v34, 0
	v_mov_b32_e32 v35, 0
	s_and_saveexec_b64 s[12:13], s[0:1]
	s_cbranch_execz .LBB246_194
; %bb.189:                              ;   in Loop: Header=BB246_126 Depth=1
	v_cmp_ne_u16_sdwa s[0:1], v1, s24 src0_sel:BYTE_0 src1_sel:DWORD
	v_mov_b32_e32 v35, 0x8000
	s_and_saveexec_b64 s[16:17], s[0:1]
	s_cbranch_execz .LBB246_193
; %bb.190:                              ;   in Loop: Header=BB246_126 Depth=1
	v_bfe_u32 v36, v7, 16, 7
	v_cmp_ne_u32_e64 s[0:1], s25, v36
	v_mov_b32_e32 v35, 0x7c01
	s_and_saveexec_b64 s[18:19], s[0:1]
	s_cbranch_execz .LBB246_192
; %bb.191:                              ;   in Loop: Header=BB246_126 Depth=1
	v_and_b32_e32 v35, 7, v1
	v_ffbh_u32_e32 v37, v35
	v_min_u32_e32 v40, 32, v37
	v_subrev_u32_e32 v37, 28, v40
	v_lshlrev_b64 v[37:38], v37, v[1:2]
	v_lshrrev_b32_e32 v39, 3, v36
	v_sub_u32_e32 v38, 29, v40
	v_cmp_gt_u32_e64 s[0:1], 8, v36
	v_cndmask_b32_e64 v36, v39, v38, s[0:1]
	v_lshl_add_u32 v36, v36, 10, v19
	v_lshlrev_b32_e32 v1, 8, v1
	v_and_b32_e32 v37, 7, v37
	v_and_b32_e32 v36, 0xfc00, v36
	v_cndmask_b32_e64 v35, v35, v37, s[0:1]
	v_and_or_b32 v1, v1, s26, v36
	v_lshl_or_b32 v35, v35, 7, v1
.LBB246_192:                            ;   in Loop: Header=BB246_126 Depth=1
	s_or_b64 exec, exec, s[18:19]
.LBB246_193:                            ;   in Loop: Header=BB246_126 Depth=1
	s_or_b64 exec, exec, s[16:17]
.LBB246_194:                            ;   in Loop: Header=BB246_126 Depth=1
	s_or_b64 exec, exec, s[12:13]
	v_cmp_lt_u32_e64 s[0:1], s5, v7
	s_and_saveexec_b64 s[12:13], s[0:1]
	s_cbranch_execz .LBB246_200
; %bb.195:                              ;   in Loop: Header=BB246_126 Depth=1
	v_lshrrev_b32_e32 v1, 24, v7
	v_cmp_ne_u32_e64 s[0:1], s24, v1
	v_bfrev_b32_e32 v34, 1
	s_and_saveexec_b64 s[16:17], s[0:1]
	s_cbranch_execz .LBB246_199
; %bb.196:                              ;   in Loop: Header=BB246_126 Depth=1
	v_and_b32_e32 v36, 0x7f, v1
	v_cmp_ne_u32_e64 s[0:1], s25, v36
	v_mov_b32_e32 v34, 0x7c010000
	s_and_saveexec_b64 s[18:19], s[0:1]
	s_cbranch_execz .LBB246_198
; %bb.197:                              ;   in Loop: Header=BB246_126 Depth=1
	v_and_b32_e32 v34, 7, v1
	v_ffbh_u32_e32 v37, v34
	v_min_u32_e32 v40, 32, v37
	v_subrev_u32_e32 v37, 28, v40
	v_lshlrev_b64 v[37:38], v37, v[1:2]
	v_lshrrev_b32_e32 v39, 3, v36
	v_sub_u32_e32 v38, 29, v40
	v_cmp_gt_u32_e64 s[0:1], 8, v36
	v_cndmask_b32_e64 v36, v39, v38, s[0:1]
	v_lshlrev_b32_e32 v1, 8, v1
	v_lshl_add_u32 v36, v36, 10, v19
	v_and_b32_e32 v37, 7, v37
	v_and_or_b32 v1, v1, s26, v36
	v_cndmask_b32_e64 v34, v34, v37, s[0:1]
	v_lshlrev_b32_e32 v1, 16, v1
	v_lshl_or_b32 v34, v34, 23, v1
.LBB246_198:                            ;   in Loop: Header=BB246_126 Depth=1
	s_or_b64 exec, exec, s[18:19]
.LBB246_199:                            ;   in Loop: Header=BB246_126 Depth=1
	s_or_b64 exec, exec, s[16:17]
.LBB246_200:                            ;   in Loop: Header=BB246_126 Depth=1
	s_or_b64 exec, exec, s[12:13]
	v_mov_b32_e32 v1, v8
	v_cmp_ne_u16_sdwa s[0:1], v8, v2 src0_sel:BYTE_0 src1_sel:DWORD
	v_mov_b32_e32 v36, 0
	v_mov_b32_e32 v37, 0
	s_and_saveexec_b64 s[12:13], s[0:1]
	s_cbranch_execz .LBB246_206
; %bb.201:                              ;   in Loop: Header=BB246_126 Depth=1
	v_cmp_ne_u16_sdwa s[0:1], v8, s24 src0_sel:BYTE_0 src1_sel:DWORD
	v_mov_b32_e32 v37, 0x8000
	s_and_saveexec_b64 s[16:17], s[0:1]
	s_cbranch_execz .LBB246_205
; %bb.202:                              ;   in Loop: Header=BB246_126 Depth=1
	v_and_b32_e32 v38, 0x7f, v8
	v_cmp_ne_u32_e64 s[0:1], s25, v38
	v_mov_b32_e32 v37, 0x7c01
	s_and_saveexec_b64 s[18:19], s[0:1]
	s_cbranch_execz .LBB246_204
; %bb.203:                              ;   in Loop: Header=BB246_126 Depth=1
	v_and_b32_e32 v37, 7, v8
	v_ffbh_u32_e32 v39, v37
	v_min_u32_e32 v42, 32, v39
	v_subrev_u32_e32 v39, 28, v42
	v_lshlrev_b64 v[39:40], v39, v[1:2]
	v_lshrrev_b32_e32 v41, 3, v38
	v_sub_u32_e32 v40, 29, v42
	v_cmp_gt_u32_e64 s[0:1], 8, v38
	v_cndmask_b32_e64 v38, v41, v40, s[0:1]
	v_lshl_add_u32 v38, v38, 10, v19
	v_lshlrev_b32_e32 v40, 8, v8
	v_and_b32_e32 v39, 7, v39
	v_and_b32_e32 v38, 0xfc00, v38
	v_cndmask_b32_e64 v37, v37, v39, s[0:1]
	v_and_or_b32 v38, v40, s26, v38
	v_lshl_or_b32 v37, v37, 7, v38
.LBB246_204:                            ;   in Loop: Header=BB246_126 Depth=1
	s_or_b64 exec, exec, s[18:19]
.LBB246_205:                            ;   in Loop: Header=BB246_126 Depth=1
	s_or_b64 exec, exec, s[16:17]
.LBB246_206:                            ;   in Loop: Header=BB246_126 Depth=1
	s_or_b64 exec, exec, s[12:13]
	v_lshrrev_b16_e32 v1, 8, v1
	v_cmp_ne_u16_e64 s[0:1], 0, v1
	v_mov_b32_e32 v38, 0
	s_and_saveexec_b64 s[12:13], s[0:1]
	s_cbranch_execz .LBB246_212
; %bb.207:                              ;   in Loop: Header=BB246_126 Depth=1
	v_cmp_ne_u16_e64 s[0:1], s24, v1
	v_bfrev_b32_e32 v38, 1
	s_and_saveexec_b64 s[16:17], s[0:1]
	s_cbranch_execz .LBB246_211
; %bb.208:                              ;   in Loop: Header=BB246_126 Depth=1
	v_and_b32_e32 v39, 0x7f, v1
	v_cmp_ne_u32_e64 s[0:1], s25, v39
	v_mov_b32_e32 v38, 0x7c010000
	s_and_saveexec_b64 s[18:19], s[0:1]
	s_cbranch_execz .LBB246_210
; %bb.209:                              ;   in Loop: Header=BB246_126 Depth=1
	v_and_b32_e32 v38, 7, v1
	v_ffbh_u32_e32 v40, v38
	v_min_u32_e32 v43, 32, v40
	v_subrev_u32_e32 v40, 28, v43
	v_lshlrev_b64 v[40:41], v40, v[1:2]
	v_lshrrev_b32_e32 v42, 3, v39
	v_sub_u32_e32 v41, 29, v43
	v_cmp_gt_u32_e64 s[0:1], 8, v39
	v_cndmask_b32_e64 v39, v42, v41, s[0:1]
	v_lshlrev_b32_e32 v1, 8, v1
	v_lshl_add_u32 v39, v39, 10, v19
	v_and_b32_e32 v40, 7, v40
	v_and_or_b32 v1, v1, s26, v39
	v_cndmask_b32_e64 v38, v38, v40, s[0:1]
	v_lshlrev_b32_e32 v1, 16, v1
	v_lshl_or_b32 v38, v38, 23, v1
.LBB246_210:                            ;   in Loop: Header=BB246_126 Depth=1
	s_or_b64 exec, exec, s[18:19]
.LBB246_211:                            ;   in Loop: Header=BB246_126 Depth=1
	s_or_b64 exec, exec, s[16:17]
.LBB246_212:                            ;   in Loop: Header=BB246_126 Depth=1
	s_or_b64 exec, exec, s[12:13]
	v_lshrrev_b32_e32 v1, 16, v8
	v_cmp_ne_u16_sdwa s[0:1], v1, v2 src0_sel:BYTE_0 src1_sel:DWORD
	s_and_saveexec_b64 s[12:13], s[0:1]
	s_cbranch_execz .LBB246_218
; %bb.213:                              ;   in Loop: Header=BB246_126 Depth=1
	v_cmp_ne_u16_sdwa s[0:1], v1, s24 src0_sel:BYTE_0 src1_sel:DWORD
	v_mov_b32_e32 v36, 0x8000
	s_and_saveexec_b64 s[16:17], s[0:1]
	s_cbranch_execz .LBB246_217
; %bb.214:                              ;   in Loop: Header=BB246_126 Depth=1
	v_bfe_u32 v39, v8, 16, 7
	v_cmp_ne_u32_e64 s[0:1], s25, v39
	v_mov_b32_e32 v36, 0x7c01
	s_and_saveexec_b64 s[18:19], s[0:1]
	s_cbranch_execz .LBB246_216
; %bb.215:                              ;   in Loop: Header=BB246_126 Depth=1
	v_and_b32_e32 v36, 7, v1
	v_ffbh_u32_e32 v40, v36
	v_min_u32_e32 v43, 32, v40
	v_subrev_u32_e32 v40, 28, v43
	v_lshlrev_b64 v[40:41], v40, v[1:2]
	v_lshrrev_b32_e32 v42, 3, v39
	v_sub_u32_e32 v41, 29, v43
	v_cmp_gt_u32_e64 s[0:1], 8, v39
	v_cndmask_b32_e64 v39, v42, v41, s[0:1]
	v_lshl_add_u32 v39, v39, 10, v19
	v_lshlrev_b32_e32 v1, 8, v1
	v_and_b32_e32 v40, 7, v40
	v_and_b32_e32 v39, 0xfc00, v39
	v_cndmask_b32_e64 v36, v36, v40, s[0:1]
	v_and_or_b32 v1, v1, s26, v39
	v_lshl_or_b32 v36, v36, 7, v1
.LBB246_216:                            ;   in Loop: Header=BB246_126 Depth=1
	s_or_b64 exec, exec, s[18:19]
.LBB246_217:                            ;   in Loop: Header=BB246_126 Depth=1
	s_or_b64 exec, exec, s[16:17]
.LBB246_218:                            ;   in Loop: Header=BB246_126 Depth=1
	s_or_b64 exec, exec, s[12:13]
	v_cmp_lt_u64_e64 s[0:1], s[4:5], v[7:8]
	v_mov_b32_e32 v7, 0
	s_and_saveexec_b64 s[12:13], s[0:1]
	s_cbranch_execz .LBB246_224
; %bb.219:                              ;   in Loop: Header=BB246_126 Depth=1
	v_lshrrev_b32_e32 v1, 24, v8
	v_cmp_ne_u32_e64 s[0:1], s24, v1
	v_bfrev_b32_e32 v7, 1
	s_and_saveexec_b64 s[16:17], s[0:1]
	s_cbranch_execz .LBB246_223
; %bb.220:                              ;   in Loop: Header=BB246_126 Depth=1
	v_and_b32_e32 v8, 0x7f, v1
	v_cmp_ne_u32_e64 s[0:1], s25, v8
	v_mov_b32_e32 v7, 0x7c010000
	s_and_saveexec_b64 s[18:19], s[0:1]
	s_cbranch_execz .LBB246_222
; %bb.221:                              ;   in Loop: Header=BB246_126 Depth=1
	v_and_b32_e32 v7, 7, v1
	v_ffbh_u32_e32 v39, v7
	v_min_u32_e32 v42, 32, v39
	v_subrev_u32_e32 v39, 28, v42
	v_lshlrev_b64 v[39:40], v39, v[1:2]
	v_lshrrev_b32_e32 v41, 3, v8
	v_sub_u32_e32 v40, 29, v42
	v_cmp_gt_u32_e64 s[0:1], 8, v8
	v_cndmask_b32_e64 v8, v41, v40, s[0:1]
	v_lshlrev_b32_e32 v1, 8, v1
	v_lshl_add_u32 v8, v8, 10, v19
	v_and_b32_e32 v39, 7, v39
	v_and_or_b32 v1, v1, s26, v8
	v_cndmask_b32_e64 v7, v7, v39, s[0:1]
	v_lshlrev_b32_e32 v1, 16, v1
	v_lshl_or_b32 v7, v7, 23, v1
.LBB246_222:                            ;   in Loop: Header=BB246_126 Depth=1
	s_or_b64 exec, exec, s[18:19]
.LBB246_223:                            ;   in Loop: Header=BB246_126 Depth=1
	s_or_b64 exec, exec, s[16:17]
.LBB246_224:                            ;   in Loop: Header=BB246_126 Depth=1
	s_or_b64 exec, exec, s[12:13]
	s_waitcnt vmcnt(0)
	v_fma_mixlo_f16 v8, v31, v34, 0 op_sel:[0,1,0] op_sel_hi:[0,1,0]
	v_or_b32_e32 v1, v34, v35
	v_lshlrev_b32_e32 v34, 16, v8
	v_or_b32_e32 v8, v32, v33
	v_fma_mixlo_f16 v32, v31, v32, 0 op_sel:[0,1,0] op_sel_hi:[0,1,0]
	v_lshlrev_b32_e32 v39, 16, v32
	v_or_b32_e32 v32, v38, v37
	v_or_b32_e32 v36, v7, v36
	v_fma_mixlo_f16 v1, v31, v1, 0 op_sel_hi:[0,1,0]
	v_fma_mixlo_f16 v8, v31, v8, 0 op_sel_hi:[0,1,0]
	v_fma_mixlo_f16 v33, v31, v38, 0 op_sel:[0,1,0] op_sel_hi:[0,1,0]
	v_fma_mixlo_f16 v32, v31, v32, 0 op_sel_hi:[0,1,0]
	v_fma_mixlo_f16 v36, v31, v36, 0 op_sel_hi:[0,1,0]
	v_fma_mixlo_f16 v7, v31, v7, 0 op_sel:[0,1,0] op_sel_hi:[0,1,0]
	v_and_b32_e32 v35, 0xffff, v1
	v_and_b32_e32 v40, 0xffff, v8
	v_lshlrev_b32_e32 v33, 16, v33
	v_and_b32_e32 v37, 0xffff, v32
	v_lshlrev_b32_e32 v7, 16, v7
	v_and_b32_e32 v36, 0xffff, v36
	v_or_b32_e32 v1, v34, v35
	v_or_b32_e32 v8, v39, v40
	;; [unrolled: 1-line block ×4, first 2 shown]
	s_and_saveexec_b64 s[0:1], vcc
	s_cbranch_execz .LBB246_125
; %bb.225:                              ;   in Loop: Header=BB246_126 Depth=1
	v_cmp_gt_i32_e32 vcc, s30, v9
	v_cndmask_b32_e32 v1, 0, v40, vcc
	v_cmp_gt_i32_e32 vcc, s30, v24
	v_cndmask_b32_e32 v8, 0, v39, vcc
	v_cmp_gt_i32_e32 vcc, s30, v23
	v_or_b32_e32 v8, v8, v1
	v_cndmask_b32_e32 v1, 0, v35, vcc
	v_cmp_gt_i32_e32 vcc, s30, v22
	v_cndmask_b32_e32 v9, 0, v34, vcc
	v_cmp_gt_i32_e32 vcc, s30, v21
	v_or_b32_e32 v1, v9, v1
	;; [unrolled: 5-line block ×3, first 2 shown]
	v_cndmask_b32_e32 v9, 0, v36, vcc
	v_cmp_gt_i32_e32 vcc, s30, v15
	v_cndmask_b32_e32 v7, 0, v7, vcc
	v_or_b32_e32 v31, v7, v9
	s_branch .LBB246_125
.LBB246_226:
	s_or_b64 exec, exec, s[6:7]
.LBB246_227:
	s_or_b64 exec, exec, s[2:3]
	ds_bpermute_b32 v1, v13, v16
	ds_bpermute_b32 v3, v13, v17
	s_waitcnt lgkmcnt(0)
	s_barrier
	v_add_f32_e32 v2, v16, v1
	v_add_f32_e32 v1, v17, v3
	v_and_b32_e32 v3, 0x3c1, v0
	v_cmp_eq_u32_e32 vcc, 64, v3
	s_and_saveexec_b64 s[0:1], vcc
; %bb.228:
	v_mov_b32_e32 v4, 0x90
	v_lshl_add_u32 v4, v12, 1, v4
	ds_write2_b32 v4, v2, v1 offset1:32
; %bb.229:
	s_or_b64 exec, exec, s[0:1]
	v_cmp_gt_u32_e32 vcc, 64, v0
	v_lshrrev_b32_e32 v0, 1, v0
	s_waitcnt lgkmcnt(0)
	s_barrier
	s_and_saveexec_b64 s[0:1], vcc
	s_cbranch_execz .LBB246_235
; %bb.230:
	v_mov_b32_e32 v4, 0x90
	v_cmp_eq_u32_e32 vcc, 0, v14
	v_lshl_add_u32 v4, v0, 2, v4
	s_and_saveexec_b64 s[2:3], vcc
	s_cbranch_execz .LBB246_232
; %bb.231:
	ds_read_b32 v5, v4
	s_waitcnt lgkmcnt(0)
	v_add_f32_e32 v2, v2, v5
.LBB246_232:
	s_or_b64 exec, exec, s[2:3]
	s_and_saveexec_b64 s[2:3], vcc
	s_cbranch_execz .LBB246_234
; %bb.233:
	ds_read_b32 v4, v4 offset:128
	s_waitcnt lgkmcnt(0)
	v_add_f32_e32 v1, v1, v4
.LBB246_234:
	s_or_b64 exec, exec, s[2:3]
.LBB246_235:
	s_or_b64 exec, exec, s[0:1]
	v_cmp_eq_u32_e32 vcc, 0, v3
	s_barrier
	s_and_saveexec_b64 s[0:1], vcc
	s_cbranch_execz .LBB246_237
; %bb.236:
	s_mul_i32 s0, s10, s11
	s_mul_i32 s0, s0, s9
	s_lshl_b32 s0, s0, 6
	s_ashr_i32 s1, s0, 31
	s_lshl_b64 s[0:1], s[0:1], 1
	s_add_u32 s2, s22, s0
	s_mul_i32 s0, s11, s20
	s_addc_u32 s3, s23, s1
	s_ashr_i32 s1, s0, 31
	s_lshl_b64 s[0:1], s[0:1], 1
	s_add_u32 s2, s2, s0
	s_addc_u32 s3, s3, s1
	s_lshl_b32 s0, s8, 6
	s_ashr_i32 s1, s0, 31
	s_lshl_b64 s[0:1], s[0:1], 1
	s_add_u32 s0, s2, s0
	s_addc_u32 s1, s3, s1
	v_lshlrev_b32_e32 v0, 1, v0
	;;#ASMSTART
	v_cvt_f16_f32 v2, v2;

	;;#ASMEND
	global_store_short v0, v2, s[0:1]
	;;#ASMSTART
	v_cvt_f16_f32 v1, v1;

	;;#ASMEND
	global_store_short v0, v1, s[0:1] offset:64
.LBB246_237:
	s_endpgm
	.section	.rodata,"a",@progbits
	.p2align	6, 0x0
	.amdhsa_kernel _ZN4vllm25paged_attention_v1_kernelIthLi64ELi16ELi128ELNS_18Fp8KVCacheDataTypeE1ELb0EEEvPT_PKS2_PKT0_S8_ifPKiSA_iPKfiiiSC_SC_iiiii
		.amdhsa_group_segment_fixed_size 144
		.amdhsa_private_segment_fixed_size 0
		.amdhsa_kernarg_size 384
		.amdhsa_user_sgpr_count 6
		.amdhsa_user_sgpr_private_segment_buffer 1
		.amdhsa_user_sgpr_dispatch_ptr 0
		.amdhsa_user_sgpr_queue_ptr 0
		.amdhsa_user_sgpr_kernarg_segment_ptr 1
		.amdhsa_user_sgpr_dispatch_id 0
		.amdhsa_user_sgpr_flat_scratch_init 0
		.amdhsa_user_sgpr_private_segment_size 0
		.amdhsa_uses_dynamic_stack 0
		.amdhsa_system_sgpr_private_segment_wavefront_offset 0
		.amdhsa_system_sgpr_workgroup_id_x 1
		.amdhsa_system_sgpr_workgroup_id_y 1
		.amdhsa_system_sgpr_workgroup_id_z 1
		.amdhsa_system_sgpr_workgroup_info 0
		.amdhsa_system_vgpr_workitem_id 0
		.amdhsa_next_free_vgpr 44
		.amdhsa_next_free_sgpr 45
		.amdhsa_reserve_vcc 1
		.amdhsa_reserve_flat_scratch 0
		.amdhsa_float_round_mode_32 0
		.amdhsa_float_round_mode_16_64 0
		.amdhsa_float_denorm_mode_32 3
		.amdhsa_float_denorm_mode_16_64 3
		.amdhsa_dx10_clamp 1
		.amdhsa_ieee_mode 1
		.amdhsa_fp16_overflow 0
		.amdhsa_exception_fp_ieee_invalid_op 0
		.amdhsa_exception_fp_denorm_src 0
		.amdhsa_exception_fp_ieee_div_zero 0
		.amdhsa_exception_fp_ieee_overflow 0
		.amdhsa_exception_fp_ieee_underflow 0
		.amdhsa_exception_fp_ieee_inexact 0
		.amdhsa_exception_int_div_zero 0
	.end_amdhsa_kernel
	.section	.text._ZN4vllm25paged_attention_v1_kernelIthLi64ELi16ELi128ELNS_18Fp8KVCacheDataTypeE1ELb0EEEvPT_PKS2_PKT0_S8_ifPKiSA_iPKfiiiSC_SC_iiiii,"axG",@progbits,_ZN4vllm25paged_attention_v1_kernelIthLi64ELi16ELi128ELNS_18Fp8KVCacheDataTypeE1ELb0EEEvPT_PKS2_PKT0_S8_ifPKiSA_iPKfiiiSC_SC_iiiii,comdat
.Lfunc_end246:
	.size	_ZN4vllm25paged_attention_v1_kernelIthLi64ELi16ELi128ELNS_18Fp8KVCacheDataTypeE1ELb0EEEvPT_PKS2_PKT0_S8_ifPKiSA_iPKfiiiSC_SC_iiiii, .Lfunc_end246-_ZN4vllm25paged_attention_v1_kernelIthLi64ELi16ELi128ELNS_18Fp8KVCacheDataTypeE1ELb0EEEvPT_PKS2_PKT0_S8_ifPKiSA_iPKfiiiSC_SC_iiiii
                                        ; -- End function
	.set _ZN4vllm25paged_attention_v1_kernelIthLi64ELi16ELi128ELNS_18Fp8KVCacheDataTypeE1ELb0EEEvPT_PKS2_PKT0_S8_ifPKiSA_iPKfiiiSC_SC_iiiii.num_vgpr, 44
	.set _ZN4vllm25paged_attention_v1_kernelIthLi64ELi16ELi128ELNS_18Fp8KVCacheDataTypeE1ELb0EEEvPT_PKS2_PKT0_S8_ifPKiSA_iPKfiiiSC_SC_iiiii.num_agpr, 0
	.set _ZN4vllm25paged_attention_v1_kernelIthLi64ELi16ELi128ELNS_18Fp8KVCacheDataTypeE1ELb0EEEvPT_PKS2_PKT0_S8_ifPKiSA_iPKfiiiSC_SC_iiiii.numbered_sgpr, 45
	.set _ZN4vllm25paged_attention_v1_kernelIthLi64ELi16ELi128ELNS_18Fp8KVCacheDataTypeE1ELb0EEEvPT_PKS2_PKT0_S8_ifPKiSA_iPKfiiiSC_SC_iiiii.num_named_barrier, 0
	.set _ZN4vllm25paged_attention_v1_kernelIthLi64ELi16ELi128ELNS_18Fp8KVCacheDataTypeE1ELb0EEEvPT_PKS2_PKT0_S8_ifPKiSA_iPKfiiiSC_SC_iiiii.private_seg_size, 0
	.set _ZN4vllm25paged_attention_v1_kernelIthLi64ELi16ELi128ELNS_18Fp8KVCacheDataTypeE1ELb0EEEvPT_PKS2_PKT0_S8_ifPKiSA_iPKfiiiSC_SC_iiiii.uses_vcc, 1
	.set _ZN4vllm25paged_attention_v1_kernelIthLi64ELi16ELi128ELNS_18Fp8KVCacheDataTypeE1ELb0EEEvPT_PKS2_PKT0_S8_ifPKiSA_iPKfiiiSC_SC_iiiii.uses_flat_scratch, 0
	.set _ZN4vllm25paged_attention_v1_kernelIthLi64ELi16ELi128ELNS_18Fp8KVCacheDataTypeE1ELb0EEEvPT_PKS2_PKT0_S8_ifPKiSA_iPKfiiiSC_SC_iiiii.has_dyn_sized_stack, 0
	.set _ZN4vllm25paged_attention_v1_kernelIthLi64ELi16ELi128ELNS_18Fp8KVCacheDataTypeE1ELb0EEEvPT_PKS2_PKT0_S8_ifPKiSA_iPKfiiiSC_SC_iiiii.has_recursion, 0
	.set _ZN4vllm25paged_attention_v1_kernelIthLi64ELi16ELi128ELNS_18Fp8KVCacheDataTypeE1ELb0EEEvPT_PKS2_PKT0_S8_ifPKiSA_iPKfiiiSC_SC_iiiii.has_indirect_call, 0
	.section	.AMDGPU.csdata,"",@progbits
; Kernel info:
; codeLenInByte = 10060
; TotalNumSgprs: 49
; NumVgprs: 44
; ScratchSize: 0
; MemoryBound: 0
; FloatMode: 240
; IeeeMode: 1
; LDSByteSize: 144 bytes/workgroup (compile time only)
; SGPRBlocks: 6
; VGPRBlocks: 10
; NumSGPRsForWavesPerEU: 49
; NumVGPRsForWavesPerEU: 44
; Occupancy: 5
; WaveLimiterHint : 1
; COMPUTE_PGM_RSRC2:SCRATCH_EN: 0
; COMPUTE_PGM_RSRC2:USER_SGPR: 6
; COMPUTE_PGM_RSRC2:TRAP_HANDLER: 0
; COMPUTE_PGM_RSRC2:TGID_X_EN: 1
; COMPUTE_PGM_RSRC2:TGID_Y_EN: 1
; COMPUTE_PGM_RSRC2:TGID_Z_EN: 1
; COMPUTE_PGM_RSRC2:TIDIG_COMP_CNT: 0
	.section	.text._ZN4vllm25paged_attention_v1_kernelIthLi80ELi16ELi128ELNS_18Fp8KVCacheDataTypeE1ELb0EEEvPT_PKS2_PKT0_S8_ifPKiSA_iPKfiiiSC_SC_iiiii,"axG",@progbits,_ZN4vllm25paged_attention_v1_kernelIthLi80ELi16ELi128ELNS_18Fp8KVCacheDataTypeE1ELb0EEEvPT_PKS2_PKT0_S8_ifPKiSA_iPKfiiiSC_SC_iiiii,comdat
	.protected	_ZN4vllm25paged_attention_v1_kernelIthLi80ELi16ELi128ELNS_18Fp8KVCacheDataTypeE1ELb0EEEvPT_PKS2_PKT0_S8_ifPKiSA_iPKfiiiSC_SC_iiiii ; -- Begin function _ZN4vllm25paged_attention_v1_kernelIthLi80ELi16ELi128ELNS_18Fp8KVCacheDataTypeE1ELb0EEEvPT_PKS2_PKT0_S8_ifPKiSA_iPKfiiiSC_SC_iiiii
	.globl	_ZN4vllm25paged_attention_v1_kernelIthLi80ELi16ELi128ELNS_18Fp8KVCacheDataTypeE1ELb0EEEvPT_PKS2_PKT0_S8_ifPKiSA_iPKfiiiSC_SC_iiiii
	.p2align	8
	.type	_ZN4vllm25paged_attention_v1_kernelIthLi80ELi16ELi128ELNS_18Fp8KVCacheDataTypeE1ELb0EEEvPT_PKS2_PKT0_S8_ifPKiSA_iPKfiiiSC_SC_iiiii,@function
_ZN4vllm25paged_attention_v1_kernelIthLi80ELi16ELi128ELNS_18Fp8KVCacheDataTypeE1ELb0EEEvPT_PKS2_PKT0_S8_ifPKiSA_iPKfiiiSC_SC_iiiii: ; @_ZN4vllm25paged_attention_v1_kernelIthLi80ELi16ELi128ELNS_18Fp8KVCacheDataTypeE1ELb0EEEvPT_PKS2_PKT0_S8_ifPKiSA_iPKfiiiSC_SC_iiiii
; %bb.0:
	s_load_dword s9, s[4:5], 0x80
	s_load_dwordx2 s[0:1], s[4:5], 0x30
	s_load_dwordx2 s[30:31], s[4:5], 0x20
	s_mov_b32 s10, s7
	s_ashr_i32 s11, s7, 31
	s_lshl_b64 s[2:3], s[10:11], 2
	s_waitcnt lgkmcnt(0)
	s_add_u32 s0, s0, s2
	s_addc_u32 s1, s1, s3
	s_abs_i32 s2, s30
	v_cvt_f32_u32_e32 v1, s2
	s_sub_i32 s11, 0, s2
	s_abs_i32 s7, s9
	s_xor_b32 s3, s9, s30
	v_rcp_iflag_f32_e32 v1, v1
	s_ashr_i32 s3, s3, 31
	s_mov_b32 s33, 0
	v_mul_f32_e32 v1, 0x4f7ffffe, v1
	v_cvt_u32_f32_e32 v1, v1
	v_readfirstlane_b32 s12, v1
	s_mul_i32 s11, s11, s12
	s_mul_hi_u32 s11, s12, s11
	s_add_i32 s12, s12, s11
	s_mul_hi_u32 s11, s7, s12
	s_mul_i32 s12, s11, s2
	s_sub_i32 s7, s7, s12
	s_add_i32 s12, s11, 1
	s_sub_i32 s13, s7, s2
	s_cmp_ge_u32 s7, s2
	s_cselect_b32 s11, s12, s11
	s_cselect_b32 s7, s13, s7
	s_add_i32 s12, s11, 1
	s_cmp_ge_u32 s7, s2
	s_cselect_b32 s2, s12, s11
	s_xor_b32 s2, s2, s3
	s_sub_i32 s14, s2, s3
	s_abs_i32 s11, s14
	v_cvt_f32_u32_e32 v1, s11
	s_load_dwordx2 s[2:3], s[4:5], 0x40
	s_sub_i32 s7, 0, s11
	s_abs_i32 s12, s6
	v_rcp_iflag_f32_e32 v1, v1
	v_mul_f32_e32 v1, 0x4f7ffffe, v1
	v_cvt_u32_f32_e32 v1, v1
	v_readfirstlane_b32 s13, v1
	s_mul_i32 s7, s7, s13
	s_mul_hi_u32 s7, s13, s7
	s_add_i32 s13, s13, s7
	s_waitcnt lgkmcnt(0)
	s_cmp_eq_u64 s[2:3], 0
	s_mul_hi_u32 s13, s12, s13
	s_cbranch_scc1 .LBB247_2
; %bb.1:
	s_ashr_i32 s7, s6, 31
	s_lshl_b64 s[16:17], s[6:7], 2
	s_add_u32 s2, s2, s16
	s_addc_u32 s3, s3, s17
	s_load_dword s33, s[2:3], 0x0
.LBB247_2:
	s_load_dword s30, s[0:1], 0x0
	s_load_dwordx4 s[16:19], s[4:5], 0x48
	s_ashr_i32 s2, s6, 31
	s_ashr_i32 s3, s14, 31
	v_and_b32_e32 v3, 3, v0
	s_mul_i32 s20, s6, 0x50
	v_cmp_gt_u32_e32 vcc, 40, v0
	s_and_saveexec_b64 s[0:1], vcc
	s_cbranch_execz .LBB247_4
; %bb.3:
	s_load_dwordx2 s[6:7], s[4:5], 0x8
	s_waitcnt lgkmcnt(0)
	s_mul_i32 s14, s16, s10
	s_ashr_i32 s15, s14, 31
	s_lshl_b64 s[14:15], s[14:15], 1
	v_lshlrev_b32_e32 v1, 2, v0
	s_add_u32 s14, s6, s14
	s_addc_u32 s15, s7, s15
	s_ashr_i32 s21, s20, 31
	s_lshl_b64 s[6:7], s[20:21], 1
	s_add_u32 s6, s14, s6
	s_addc_u32 s7, s15, s7
	global_load_dword v1, v1, s[6:7]
	v_and_b32_e32 v2, 0x3fc, v0
	v_mad_u32_u24 v2, v3, 40, v2
	s_waitcnt vmcnt(0)
	ds_write_b32 v2, v1
.LBB247_4:
	s_or_b64 exec, exec, s[0:1]
	s_waitcnt lgkmcnt(0)
	s_add_i32 s1, s30, 15
	s_ashr_i32 s6, s1, 31
	s_lshr_b32 s6, s6, 28
	s_add_i32 s1, s1, s6
	s_ashr_i32 s21, s1, 4
	s_xor_b32 s1, s2, s3
	s_mul_i32 s2, s13, s11
	s_sub_i32 s2, s12, s2
	s_add_i32 s3, s13, 1
	s_sub_i32 s6, s2, s11
	s_load_dwordx2 s[24:25], s[4:5], 0x28
	s_load_dword s0, s[4:5], 0x38
	s_cmp_ge_u32 s2, s11
	s_cselect_b32 s3, s3, s13
	s_cselect_b32 s2, s6, s2
	s_add_i32 s6, s3, 1
	s_cmp_ge_u32 s2, s11
	s_cselect_b32 s2, s6, s3
	v_lshrrev_b32_e32 v13, 6, v0
	s_xor_b32 s2, s2, s1
	s_waitcnt lgkmcnt(0)
	s_mul_i32 s26, s0, s10
	s_sub_i32 s16, s2, s1
	s_ashr_i32 s27, s26, 31
	v_cmp_le_i32_e64 s[0:1], s21, v13
	v_mbcnt_lo_u32_b32 v8, -1, 0
	s_barrier
                                        ; implicit-def: $vgpr10
                                        ; implicit-def: $vgpr7
                                        ; implicit-def: $vgpr1
	s_and_saveexec_b64 s[2:3], s[0:1]
	s_xor_b64 s[2:3], exec, s[2:3]
; %bb.5:
	v_mbcnt_hi_u32_b32 v10, -1, v8
	v_and_b32_e32 v7, 64, v10
	v_add_u32_e32 v1, 64, v7
                                        ; implicit-def: $vgpr3
                                        ; implicit-def: $vgpr8
; %bb.6:
	s_or_saveexec_b64 s[6:7], s[2:3]
	s_load_dwordx2 s[22:23], s[4:5], 0x0
	s_load_dwordx2 s[28:29], s[4:5], 0x18
	s_load_dword s11, s[4:5], 0x88
	s_load_dwordx4 s[12:15], s[4:5], 0x58
	v_mov_b32_e32 v11, 0xff7fffff
	s_mul_i32 s16, s16, s18
	v_lshrrev_b32_e32 v9, 4, v0
	s_xor_b64 exec, exec, s[6:7]
	s_cbranch_execz .LBB247_132
; %bb.7:
	s_load_dwordx2 s[2:3], s[4:5], 0x10
	s_ashr_i32 s4, s16, 31
	v_bfe_u32 v1, v0, 2, 4
	v_lshlrev_b32_e32 v4, 4, v1
	v_lshlrev_b32_e32 v6, 1, v3
	s_waitcnt lgkmcnt(0)
	s_add_u32 s2, s2, s16
	s_addc_u32 s3, s3, s4
	v_mov_b32_e32 v5, s3
	v_add_co_u32_e32 v4, vcc, s2, v4
	v_addc_co_u32_e32 v5, vcc, 0, v5, vcc
	v_mul_u32_u24_e32 v12, 40, v3
	v_cmp_eq_u32_e32 vcc, 0, v3
	v_add_co_u32_e64 v3, s[4:5], v4, v6
	v_addc_co_u32_e64 v4, s[4:5], 0, v5, s[4:5]
	s_sub_i32 s41, 1, s30
	v_lshl_or_b32 v14, v13, 4, v1
	v_lshlrev_b32_e32 v1, 2, v1
	s_lshl_b64 s[4:5], s[26:27], 2
	v_lshl_or_b32 v1, v13, 6, v1
	s_add_u32 s4, s24, s4
	v_add_u32_e32 v15, 0xb0, v1
	v_and_b32_e32 v1, 60, v9
	s_addc_u32 s5, s25, s5
	v_mov_b32_e32 v6, s5
	v_add_co_u32_e64 v5, s[4:5], s4, v1
	s_mov_b32 s40, s17
	v_mov_b32_e32 v2, 0
	v_cmp_neq_f32_e64 s[2:3], s33, 0
	v_addc_co_u32_e64 v6, s[4:5], 0, v6, s[4:5]
	v_mov_b32_e32 v11, 0xff7fffff
	s_mov_b64 s[18:19], 0
	s_movk_i32 s42, 0x80
	s_movk_i32 s43, 0x7f
	s_mov_b32 s44, 0x8000
	v_mbcnt_hi_u32_b32 v10, -1, v8
	v_mov_b32_e32 v16, 0x2000
	v_mov_b32_e32 v17, v13
	s_branch .LBB247_9
.LBB247_8:                              ;   in Loop: Header=BB247_9 Depth=1
	s_or_b64 exec, exec, s[34:35]
	v_add_u32_e32 v17, 2, v17
	v_cmp_le_i32_e64 s[4:5], s21, v17
	s_or_b64 s[18:19], s[4:5], s[18:19]
	v_add_co_u32_e64 v5, s[4:5], 8, v5
	v_add_u32_e32 v14, 32, v14
	v_add_u32_e32 v15, 0x80, v15
	v_addc_co_u32_e64 v6, s[4:5], 0, v6, s[4:5]
	s_andn2_b64 exec, exec, s[18:19]
	s_cbranch_execz .LBB247_131
.LBB247_9:                              ; =>This Inner Loop Header: Depth=1
	global_load_dword v1, v[5:6], off
	s_waitcnt vmcnt(0)
	v_mad_i64_i32 v[7:8], s[4:5], v1, s40, v[3:4]
	global_load_ushort v19, v[7:8], off
	s_waitcnt lgkmcnt(0)
	global_load_dword v18, v2, s[12:13]
	s_waitcnt vmcnt(1)
	v_and_b32_e32 v1, 0xffff, v19
	v_cmp_ne_u16_sdwa s[4:5], v19, v2 src0_sel:BYTE_0 src1_sel:DWORD
	v_mov_b32_e32 v19, 0
	s_and_saveexec_b64 s[34:35], s[4:5]
	s_cbranch_execz .LBB247_15
; %bb.10:                               ;   in Loop: Header=BB247_9 Depth=1
	v_cmp_ne_u16_sdwa s[4:5], v1, s42 src0_sel:BYTE_0 src1_sel:DWORD
	v_mov_b32_e32 v19, 0x8000
	s_and_saveexec_b64 s[36:37], s[4:5]
	s_cbranch_execz .LBB247_14
; %bb.11:                               ;   in Loop: Header=BB247_9 Depth=1
	v_and_b32_e32 v20, 0x7f, v1
	v_cmp_ne_u32_e64 s[4:5], s43, v20
	v_mov_b32_e32 v19, 0x7c01
	s_and_saveexec_b64 s[38:39], s[4:5]
	s_cbranch_execz .LBB247_13
; %bb.12:                               ;   in Loop: Header=BB247_9 Depth=1
	v_and_b32_e32 v19, 7, v1
	v_ffbh_u32_e32 v21, v19
	v_min_u32_e32 v24, 32, v21
	v_subrev_u32_e32 v21, 28, v24
	v_lshlrev_b64 v[21:22], v21, v[1:2]
	v_lshrrev_b32_e32 v23, 3, v20
	v_sub_u32_e32 v22, 29, v24
	v_cmp_gt_u32_e64 s[4:5], 8, v20
	v_cndmask_b32_e64 v20, v23, v22, s[4:5]
	v_lshl_add_u32 v20, v20, 10, v16
	v_lshlrev_b32_e32 v22, 8, v1
	v_and_b32_e32 v21, 7, v21
	v_and_b32_e32 v20, 0xfc00, v20
	v_cndmask_b32_e64 v19, v19, v21, s[4:5]
	v_and_or_b32 v20, v22, s44, v20
	v_lshl_or_b32 v19, v19, 7, v20
.LBB247_13:                             ;   in Loop: Header=BB247_9 Depth=1
	s_or_b64 exec, exec, s[38:39]
.LBB247_14:                             ;   in Loop: Header=BB247_9 Depth=1
	s_or_b64 exec, exec, s[36:37]
.LBB247_15:                             ;   in Loop: Header=BB247_9 Depth=1
	s_or_b64 exec, exec, s[34:35]
	v_lshrrev_b16_e32 v1, 8, v1
	v_cmp_ne_u16_e64 s[4:5], 0, v1
	v_mov_b32_e32 v20, 0
	v_mov_b32_e32 v21, 0
	s_and_saveexec_b64 s[34:35], s[4:5]
	s_cbranch_execz .LBB247_21
; %bb.16:                               ;   in Loop: Header=BB247_9 Depth=1
	v_cmp_ne_u16_e64 s[4:5], s42, v1
	v_bfrev_b32_e32 v21, 1
	s_and_saveexec_b64 s[36:37], s[4:5]
	s_cbranch_execz .LBB247_20
; %bb.17:                               ;   in Loop: Header=BB247_9 Depth=1
	v_and_b32_e32 v22, 0x7f, v1
	v_cmp_ne_u32_e64 s[4:5], s43, v22
	v_mov_b32_e32 v21, 0x7c010000
	s_and_saveexec_b64 s[38:39], s[4:5]
	s_cbranch_execz .LBB247_19
; %bb.18:                               ;   in Loop: Header=BB247_9 Depth=1
	v_and_b32_e32 v21, 7, v1
	v_ffbh_u32_e32 v23, v21
	v_min_u32_e32 v26, 32, v23
	v_subrev_u32_e32 v23, 28, v26
	v_lshlrev_b64 v[23:24], v23, v[1:2]
	v_lshrrev_b32_e32 v25, 3, v22
	v_sub_u32_e32 v24, 29, v26
	v_cmp_gt_u32_e64 s[4:5], 8, v22
	v_cndmask_b32_e64 v22, v25, v24, s[4:5]
	v_lshlrev_b32_e32 v1, 8, v1
	v_lshl_add_u32 v22, v22, 10, v16
	v_and_b32_e32 v23, 7, v23
	v_and_or_b32 v1, v1, s44, v22
	v_cndmask_b32_e64 v21, v21, v23, s[4:5]
	v_lshlrev_b32_e32 v1, 16, v1
	v_lshl_or_b32 v21, v21, 23, v1
.LBB247_19:                             ;   in Loop: Header=BB247_9 Depth=1
	s_or_b64 exec, exec, s[38:39]
.LBB247_20:                             ;   in Loop: Header=BB247_9 Depth=1
	s_or_b64 exec, exec, s[36:37]
.LBB247_21:                             ;   in Loop: Header=BB247_9 Depth=1
	s_or_b64 exec, exec, s[34:35]
	global_load_ushort v22, v[7:8], off offset:8
	s_waitcnt vmcnt(0)
	v_and_b32_e32 v1, 0xffff, v22
	v_cmp_ne_u16_sdwa s[4:5], v22, v2 src0_sel:BYTE_0 src1_sel:DWORD
	s_and_saveexec_b64 s[34:35], s[4:5]
	s_cbranch_execz .LBB247_27
; %bb.22:                               ;   in Loop: Header=BB247_9 Depth=1
	v_cmp_ne_u16_sdwa s[4:5], v1, s42 src0_sel:BYTE_0 src1_sel:DWORD
	v_mov_b32_e32 v20, 0x8000
	s_and_saveexec_b64 s[36:37], s[4:5]
	s_cbranch_execz .LBB247_26
; %bb.23:                               ;   in Loop: Header=BB247_9 Depth=1
	v_and_b32_e32 v22, 0x7f, v1
	v_cmp_ne_u32_e64 s[4:5], s43, v22
	v_mov_b32_e32 v20, 0x7c01
	s_and_saveexec_b64 s[38:39], s[4:5]
	s_cbranch_execz .LBB247_25
; %bb.24:                               ;   in Loop: Header=BB247_9 Depth=1
	v_and_b32_e32 v20, 7, v1
	v_ffbh_u32_e32 v23, v20
	v_min_u32_e32 v26, 32, v23
	v_subrev_u32_e32 v23, 28, v26
	v_lshlrev_b64 v[23:24], v23, v[1:2]
	v_lshrrev_b32_e32 v25, 3, v22
	v_sub_u32_e32 v24, 29, v26
	v_cmp_gt_u32_e64 s[4:5], 8, v22
	v_cndmask_b32_e64 v22, v25, v24, s[4:5]
	v_lshl_add_u32 v22, v22, 10, v16
	v_lshlrev_b32_e32 v24, 8, v1
	v_and_b32_e32 v23, 7, v23
	v_and_b32_e32 v22, 0xfc00, v22
	v_cndmask_b32_e64 v20, v20, v23, s[4:5]
	v_and_or_b32 v22, v24, s44, v22
	v_lshl_or_b32 v20, v20, 7, v22
.LBB247_25:                             ;   in Loop: Header=BB247_9 Depth=1
	s_or_b64 exec, exec, s[38:39]
.LBB247_26:                             ;   in Loop: Header=BB247_9 Depth=1
	s_or_b64 exec, exec, s[36:37]
.LBB247_27:                             ;   in Loop: Header=BB247_9 Depth=1
	s_or_b64 exec, exec, s[34:35]
	v_lshrrev_b16_e32 v1, 8, v1
	v_cmp_ne_u16_e64 s[4:5], 0, v1
	v_mov_b32_e32 v22, 0
	v_mov_b32_e32 v23, 0
	s_and_saveexec_b64 s[34:35], s[4:5]
	s_cbranch_execz .LBB247_33
; %bb.28:                               ;   in Loop: Header=BB247_9 Depth=1
	v_cmp_ne_u16_e64 s[4:5], s42, v1
	v_bfrev_b32_e32 v23, 1
	s_and_saveexec_b64 s[36:37], s[4:5]
	s_cbranch_execz .LBB247_32
; %bb.29:                               ;   in Loop: Header=BB247_9 Depth=1
	v_and_b32_e32 v24, 0x7f, v1
	v_cmp_ne_u32_e64 s[4:5], s43, v24
	v_mov_b32_e32 v23, 0x7c010000
	s_and_saveexec_b64 s[38:39], s[4:5]
	s_cbranch_execz .LBB247_31
; %bb.30:                               ;   in Loop: Header=BB247_9 Depth=1
	v_and_b32_e32 v23, 7, v1
	v_ffbh_u32_e32 v25, v23
	v_min_u32_e32 v28, 32, v25
	v_subrev_u32_e32 v25, 28, v28
	v_lshlrev_b64 v[25:26], v25, v[1:2]
	v_lshrrev_b32_e32 v27, 3, v24
	v_sub_u32_e32 v26, 29, v28
	v_cmp_gt_u32_e64 s[4:5], 8, v24
	v_cndmask_b32_e64 v24, v27, v26, s[4:5]
	v_lshlrev_b32_e32 v1, 8, v1
	v_lshl_add_u32 v24, v24, 10, v16
	v_and_b32_e32 v25, 7, v25
	v_and_or_b32 v1, v1, s44, v24
	v_cndmask_b32_e64 v23, v23, v25, s[4:5]
	v_lshlrev_b32_e32 v1, 16, v1
	v_lshl_or_b32 v23, v23, 23, v1
.LBB247_31:                             ;   in Loop: Header=BB247_9 Depth=1
	s_or_b64 exec, exec, s[38:39]
.LBB247_32:                             ;   in Loop: Header=BB247_9 Depth=1
	s_or_b64 exec, exec, s[36:37]
.LBB247_33:                             ;   in Loop: Header=BB247_9 Depth=1
	s_or_b64 exec, exec, s[34:35]
	global_load_ushort v24, v[7:8], off offset:256
	s_waitcnt vmcnt(0)
	v_and_b32_e32 v1, 0xffff, v24
	v_cmp_ne_u16_sdwa s[4:5], v24, v2 src0_sel:BYTE_0 src1_sel:DWORD
	s_and_saveexec_b64 s[34:35], s[4:5]
	s_cbranch_execz .LBB247_39
; %bb.34:                               ;   in Loop: Header=BB247_9 Depth=1
	v_cmp_ne_u16_sdwa s[4:5], v1, s42 src0_sel:BYTE_0 src1_sel:DWORD
	v_mov_b32_e32 v22, 0x8000
	s_and_saveexec_b64 s[36:37], s[4:5]
	s_cbranch_execz .LBB247_38
; %bb.35:                               ;   in Loop: Header=BB247_9 Depth=1
	v_and_b32_e32 v24, 0x7f, v1
	v_cmp_ne_u32_e64 s[4:5], s43, v24
	v_mov_b32_e32 v22, 0x7c01
	s_and_saveexec_b64 s[38:39], s[4:5]
	s_cbranch_execz .LBB247_37
; %bb.36:                               ;   in Loop: Header=BB247_9 Depth=1
	v_and_b32_e32 v22, 7, v1
	v_ffbh_u32_e32 v25, v22
	v_min_u32_e32 v28, 32, v25
	v_subrev_u32_e32 v25, 28, v28
	v_lshlrev_b64 v[25:26], v25, v[1:2]
	v_lshrrev_b32_e32 v27, 3, v24
	v_sub_u32_e32 v26, 29, v28
	v_cmp_gt_u32_e64 s[4:5], 8, v24
	v_cndmask_b32_e64 v24, v27, v26, s[4:5]
	v_lshl_add_u32 v24, v24, 10, v16
	v_lshlrev_b32_e32 v26, 8, v1
	v_and_b32_e32 v25, 7, v25
	v_and_b32_e32 v24, 0xfc00, v24
	v_cndmask_b32_e64 v22, v22, v25, s[4:5]
	v_and_or_b32 v24, v26, s44, v24
	v_lshl_or_b32 v22, v22, 7, v24
.LBB247_37:                             ;   in Loop: Header=BB247_9 Depth=1
	s_or_b64 exec, exec, s[38:39]
.LBB247_38:                             ;   in Loop: Header=BB247_9 Depth=1
	s_or_b64 exec, exec, s[36:37]
.LBB247_39:                             ;   in Loop: Header=BB247_9 Depth=1
	s_or_b64 exec, exec, s[34:35]
	v_lshrrev_b16_e32 v1, 8, v1
	v_cmp_ne_u16_e64 s[4:5], 0, v1
	v_mov_b32_e32 v24, 0
	v_mov_b32_e32 v25, 0
	s_and_saveexec_b64 s[34:35], s[4:5]
	s_cbranch_execz .LBB247_45
; %bb.40:                               ;   in Loop: Header=BB247_9 Depth=1
	v_cmp_ne_u16_e64 s[4:5], s42, v1
	v_bfrev_b32_e32 v25, 1
	s_and_saveexec_b64 s[36:37], s[4:5]
	s_cbranch_execz .LBB247_44
; %bb.41:                               ;   in Loop: Header=BB247_9 Depth=1
	v_and_b32_e32 v26, 0x7f, v1
	v_cmp_ne_u32_e64 s[4:5], s43, v26
	v_mov_b32_e32 v25, 0x7c010000
	s_and_saveexec_b64 s[38:39], s[4:5]
	s_cbranch_execz .LBB247_43
; %bb.42:                               ;   in Loop: Header=BB247_9 Depth=1
	v_and_b32_e32 v25, 7, v1
	v_ffbh_u32_e32 v27, v25
	v_min_u32_e32 v30, 32, v27
	v_subrev_u32_e32 v27, 28, v30
	v_lshlrev_b64 v[27:28], v27, v[1:2]
	v_lshrrev_b32_e32 v29, 3, v26
	v_sub_u32_e32 v28, 29, v30
	v_cmp_gt_u32_e64 s[4:5], 8, v26
	v_cndmask_b32_e64 v26, v29, v28, s[4:5]
	v_lshlrev_b32_e32 v1, 8, v1
	v_lshl_add_u32 v26, v26, 10, v16
	v_and_b32_e32 v27, 7, v27
	v_and_or_b32 v1, v1, s44, v26
	v_cndmask_b32_e64 v25, v25, v27, s[4:5]
	v_lshlrev_b32_e32 v1, 16, v1
	v_lshl_or_b32 v25, v25, 23, v1
.LBB247_43:                             ;   in Loop: Header=BB247_9 Depth=1
	s_or_b64 exec, exec, s[38:39]
.LBB247_44:                             ;   in Loop: Header=BB247_9 Depth=1
	s_or_b64 exec, exec, s[36:37]
.LBB247_45:                             ;   in Loop: Header=BB247_9 Depth=1
	s_or_b64 exec, exec, s[34:35]
	global_load_ushort v26, v[7:8], off offset:264
	s_waitcnt vmcnt(0)
	v_and_b32_e32 v1, 0xffff, v26
	v_cmp_ne_u16_sdwa s[4:5], v26, v2 src0_sel:BYTE_0 src1_sel:DWORD
	s_and_saveexec_b64 s[34:35], s[4:5]
	s_cbranch_execz .LBB247_51
; %bb.46:                               ;   in Loop: Header=BB247_9 Depth=1
	v_cmp_ne_u16_sdwa s[4:5], v1, s42 src0_sel:BYTE_0 src1_sel:DWORD
	v_mov_b32_e32 v24, 0x8000
	s_and_saveexec_b64 s[36:37], s[4:5]
	s_cbranch_execz .LBB247_50
; %bb.47:                               ;   in Loop: Header=BB247_9 Depth=1
	v_and_b32_e32 v26, 0x7f, v1
	v_cmp_ne_u32_e64 s[4:5], s43, v26
	v_mov_b32_e32 v24, 0x7c01
	s_and_saveexec_b64 s[38:39], s[4:5]
	s_cbranch_execz .LBB247_49
; %bb.48:                               ;   in Loop: Header=BB247_9 Depth=1
	v_and_b32_e32 v24, 7, v1
	v_ffbh_u32_e32 v27, v24
	v_min_u32_e32 v30, 32, v27
	v_subrev_u32_e32 v27, 28, v30
	v_lshlrev_b64 v[27:28], v27, v[1:2]
	v_lshrrev_b32_e32 v29, 3, v26
	v_sub_u32_e32 v28, 29, v30
	v_cmp_gt_u32_e64 s[4:5], 8, v26
	v_cndmask_b32_e64 v26, v29, v28, s[4:5]
	v_lshl_add_u32 v26, v26, 10, v16
	v_lshlrev_b32_e32 v28, 8, v1
	v_and_b32_e32 v27, 7, v27
	v_and_b32_e32 v26, 0xfc00, v26
	v_cndmask_b32_e64 v24, v24, v27, s[4:5]
	v_and_or_b32 v26, v28, s44, v26
	v_lshl_or_b32 v24, v24, 7, v26
.LBB247_49:                             ;   in Loop: Header=BB247_9 Depth=1
	s_or_b64 exec, exec, s[38:39]
.LBB247_50:                             ;   in Loop: Header=BB247_9 Depth=1
	s_or_b64 exec, exec, s[36:37]
.LBB247_51:                             ;   in Loop: Header=BB247_9 Depth=1
	s_or_b64 exec, exec, s[34:35]
	v_lshrrev_b16_e32 v1, 8, v1
	v_cmp_ne_u16_e64 s[4:5], 0, v1
	v_mov_b32_e32 v26, 0
	v_mov_b32_e32 v27, 0
	s_and_saveexec_b64 s[34:35], s[4:5]
	s_cbranch_execz .LBB247_57
; %bb.52:                               ;   in Loop: Header=BB247_9 Depth=1
	v_cmp_ne_u16_e64 s[4:5], s42, v1
	v_bfrev_b32_e32 v27, 1
	s_and_saveexec_b64 s[36:37], s[4:5]
	s_cbranch_execz .LBB247_56
; %bb.53:                               ;   in Loop: Header=BB247_9 Depth=1
	v_and_b32_e32 v28, 0x7f, v1
	v_cmp_ne_u32_e64 s[4:5], s43, v28
	v_mov_b32_e32 v27, 0x7c010000
	s_and_saveexec_b64 s[38:39], s[4:5]
	s_cbranch_execz .LBB247_55
; %bb.54:                               ;   in Loop: Header=BB247_9 Depth=1
	v_and_b32_e32 v27, 7, v1
	v_ffbh_u32_e32 v29, v27
	v_min_u32_e32 v32, 32, v29
	v_subrev_u32_e32 v29, 28, v32
	v_lshlrev_b64 v[29:30], v29, v[1:2]
	v_lshrrev_b32_e32 v31, 3, v28
	v_sub_u32_e32 v30, 29, v32
	v_cmp_gt_u32_e64 s[4:5], 8, v28
	v_cndmask_b32_e64 v28, v31, v30, s[4:5]
	v_lshlrev_b32_e32 v1, 8, v1
	v_lshl_add_u32 v28, v28, 10, v16
	v_and_b32_e32 v29, 7, v29
	v_and_or_b32 v1, v1, s44, v28
	v_cndmask_b32_e64 v27, v27, v29, s[4:5]
	v_lshlrev_b32_e32 v1, 16, v1
	v_lshl_or_b32 v27, v27, 23, v1
.LBB247_55:                             ;   in Loop: Header=BB247_9 Depth=1
	s_or_b64 exec, exec, s[38:39]
.LBB247_56:                             ;   in Loop: Header=BB247_9 Depth=1
	s_or_b64 exec, exec, s[36:37]
.LBB247_57:                             ;   in Loop: Header=BB247_9 Depth=1
	s_or_b64 exec, exec, s[34:35]
	global_load_ushort v28, v[7:8], off offset:512
	s_waitcnt vmcnt(0)
	v_and_b32_e32 v1, 0xffff, v28
	v_cmp_ne_u16_sdwa s[4:5], v28, v2 src0_sel:BYTE_0 src1_sel:DWORD
	s_and_saveexec_b64 s[34:35], s[4:5]
	s_cbranch_execz .LBB247_63
; %bb.58:                               ;   in Loop: Header=BB247_9 Depth=1
	v_cmp_ne_u16_sdwa s[4:5], v1, s42 src0_sel:BYTE_0 src1_sel:DWORD
	v_mov_b32_e32 v26, 0x8000
	s_and_saveexec_b64 s[36:37], s[4:5]
	s_cbranch_execz .LBB247_62
; %bb.59:                               ;   in Loop: Header=BB247_9 Depth=1
	v_and_b32_e32 v28, 0x7f, v1
	v_cmp_ne_u32_e64 s[4:5], s43, v28
	v_mov_b32_e32 v26, 0x7c01
	s_and_saveexec_b64 s[38:39], s[4:5]
	s_cbranch_execz .LBB247_61
; %bb.60:                               ;   in Loop: Header=BB247_9 Depth=1
	v_and_b32_e32 v26, 7, v1
	v_ffbh_u32_e32 v29, v26
	v_min_u32_e32 v32, 32, v29
	v_subrev_u32_e32 v29, 28, v32
	v_lshlrev_b64 v[29:30], v29, v[1:2]
	v_lshrrev_b32_e32 v31, 3, v28
	v_sub_u32_e32 v30, 29, v32
	v_cmp_gt_u32_e64 s[4:5], 8, v28
	v_cndmask_b32_e64 v28, v31, v30, s[4:5]
	v_lshl_add_u32 v28, v28, 10, v16
	v_lshlrev_b32_e32 v30, 8, v1
	v_and_b32_e32 v29, 7, v29
	v_and_b32_e32 v28, 0xfc00, v28
	v_cndmask_b32_e64 v26, v26, v29, s[4:5]
	v_and_or_b32 v28, v30, s44, v28
	v_lshl_or_b32 v26, v26, 7, v28
.LBB247_61:                             ;   in Loop: Header=BB247_9 Depth=1
	s_or_b64 exec, exec, s[38:39]
.LBB247_62:                             ;   in Loop: Header=BB247_9 Depth=1
	s_or_b64 exec, exec, s[36:37]
.LBB247_63:                             ;   in Loop: Header=BB247_9 Depth=1
	s_or_b64 exec, exec, s[34:35]
	v_lshrrev_b16_e32 v1, 8, v1
	v_cmp_ne_u16_e64 s[4:5], 0, v1
	v_mov_b32_e32 v29, 0
	v_mov_b32_e32 v28, 0
	s_and_saveexec_b64 s[34:35], s[4:5]
	s_cbranch_execz .LBB247_69
; %bb.64:                               ;   in Loop: Header=BB247_9 Depth=1
	v_cmp_ne_u16_e64 s[4:5], s42, v1
	v_bfrev_b32_e32 v28, 1
	s_and_saveexec_b64 s[36:37], s[4:5]
	s_cbranch_execz .LBB247_68
; %bb.65:                               ;   in Loop: Header=BB247_9 Depth=1
	v_and_b32_e32 v30, 0x7f, v1
	v_cmp_ne_u32_e64 s[4:5], s43, v30
	v_mov_b32_e32 v28, 0x7c010000
	s_and_saveexec_b64 s[38:39], s[4:5]
	s_cbranch_execz .LBB247_67
; %bb.66:                               ;   in Loop: Header=BB247_9 Depth=1
	v_and_b32_e32 v28, 7, v1
	v_ffbh_u32_e32 v31, v28
	v_min_u32_e32 v34, 32, v31
	v_subrev_u32_e32 v31, 28, v34
	v_lshlrev_b64 v[31:32], v31, v[1:2]
	v_lshrrev_b32_e32 v33, 3, v30
	v_sub_u32_e32 v32, 29, v34
	v_cmp_gt_u32_e64 s[4:5], 8, v30
	v_cndmask_b32_e64 v30, v33, v32, s[4:5]
	v_lshlrev_b32_e32 v1, 8, v1
	v_lshl_add_u32 v30, v30, 10, v16
	v_and_b32_e32 v31, 7, v31
	v_and_or_b32 v1, v1, s44, v30
	v_cndmask_b32_e64 v28, v28, v31, s[4:5]
	v_lshlrev_b32_e32 v1, 16, v1
	v_lshl_or_b32 v28, v28, 23, v1
.LBB247_67:                             ;   in Loop: Header=BB247_9 Depth=1
	s_or_b64 exec, exec, s[38:39]
.LBB247_68:                             ;   in Loop: Header=BB247_9 Depth=1
	s_or_b64 exec, exec, s[36:37]
.LBB247_69:                             ;   in Loop: Header=BB247_9 Depth=1
	s_or_b64 exec, exec, s[34:35]
	global_load_ushort v30, v[7:8], off offset:520
	s_waitcnt vmcnt(0)
	v_and_b32_e32 v1, 0xffff, v30
	v_cmp_ne_u16_sdwa s[4:5], v30, v2 src0_sel:BYTE_0 src1_sel:DWORD
	s_and_saveexec_b64 s[34:35], s[4:5]
	s_cbranch_execz .LBB247_75
; %bb.70:                               ;   in Loop: Header=BB247_9 Depth=1
	v_cmp_ne_u16_sdwa s[4:5], v1, s42 src0_sel:BYTE_0 src1_sel:DWORD
	v_mov_b32_e32 v29, 0x8000
	s_and_saveexec_b64 s[36:37], s[4:5]
	s_cbranch_execz .LBB247_74
; %bb.71:                               ;   in Loop: Header=BB247_9 Depth=1
	v_and_b32_e32 v30, 0x7f, v1
	v_cmp_ne_u32_e64 s[4:5], s43, v30
	v_mov_b32_e32 v29, 0x7c01
	s_and_saveexec_b64 s[38:39], s[4:5]
	s_cbranch_execz .LBB247_73
; %bb.72:                               ;   in Loop: Header=BB247_9 Depth=1
	v_and_b32_e32 v29, 7, v1
	v_ffbh_u32_e32 v31, v29
	v_min_u32_e32 v34, 32, v31
	v_subrev_u32_e32 v31, 28, v34
	v_lshlrev_b64 v[31:32], v31, v[1:2]
	v_lshrrev_b32_e32 v33, 3, v30
	v_sub_u32_e32 v32, 29, v34
	v_cmp_gt_u32_e64 s[4:5], 8, v30
	v_cndmask_b32_e64 v30, v33, v32, s[4:5]
	v_lshl_add_u32 v30, v30, 10, v16
	v_lshlrev_b32_e32 v32, 8, v1
	v_and_b32_e32 v31, 7, v31
	v_and_b32_e32 v30, 0xfc00, v30
	v_cndmask_b32_e64 v29, v29, v31, s[4:5]
	v_and_or_b32 v30, v32, s44, v30
	v_lshl_or_b32 v29, v29, 7, v30
.LBB247_73:                             ;   in Loop: Header=BB247_9 Depth=1
	s_or_b64 exec, exec, s[38:39]
.LBB247_74:                             ;   in Loop: Header=BB247_9 Depth=1
	s_or_b64 exec, exec, s[36:37]
.LBB247_75:                             ;   in Loop: Header=BB247_9 Depth=1
	s_or_b64 exec, exec, s[34:35]
	v_lshrrev_b16_e32 v1, 8, v1
	v_cmp_ne_u16_e64 s[4:5], 0, v1
	v_mov_b32_e32 v31, 0
	v_mov_b32_e32 v30, 0
	s_and_saveexec_b64 s[34:35], s[4:5]
	s_cbranch_execz .LBB247_81
; %bb.76:                               ;   in Loop: Header=BB247_9 Depth=1
	v_cmp_ne_u16_e64 s[4:5], s42, v1
	v_bfrev_b32_e32 v30, 1
	s_and_saveexec_b64 s[36:37], s[4:5]
	s_cbranch_execz .LBB247_80
; %bb.77:                               ;   in Loop: Header=BB247_9 Depth=1
	v_and_b32_e32 v32, 0x7f, v1
	v_cmp_ne_u32_e64 s[4:5], s43, v32
	v_mov_b32_e32 v30, 0x7c010000
	s_and_saveexec_b64 s[38:39], s[4:5]
	s_cbranch_execz .LBB247_79
; %bb.78:                               ;   in Loop: Header=BB247_9 Depth=1
	v_and_b32_e32 v30, 7, v1
	v_ffbh_u32_e32 v33, v30
	v_min_u32_e32 v36, 32, v33
	v_subrev_u32_e32 v33, 28, v36
	v_lshlrev_b64 v[33:34], v33, v[1:2]
	v_lshrrev_b32_e32 v35, 3, v32
	v_sub_u32_e32 v34, 29, v36
	v_cmp_gt_u32_e64 s[4:5], 8, v32
	v_cndmask_b32_e64 v32, v35, v34, s[4:5]
	v_lshlrev_b32_e32 v1, 8, v1
	v_lshl_add_u32 v32, v32, 10, v16
	v_and_b32_e32 v33, 7, v33
	v_and_or_b32 v1, v1, s44, v32
	v_cndmask_b32_e64 v30, v30, v33, s[4:5]
	v_lshlrev_b32_e32 v1, 16, v1
	v_lshl_or_b32 v30, v30, 23, v1
.LBB247_79:                             ;   in Loop: Header=BB247_9 Depth=1
	s_or_b64 exec, exec, s[38:39]
.LBB247_80:                             ;   in Loop: Header=BB247_9 Depth=1
	s_or_b64 exec, exec, s[36:37]
.LBB247_81:                             ;   in Loop: Header=BB247_9 Depth=1
	s_or_b64 exec, exec, s[34:35]
	global_load_ushort v32, v[7:8], off offset:768
	s_waitcnt vmcnt(0)
	v_and_b32_e32 v1, 0xffff, v32
	v_cmp_ne_u16_sdwa s[4:5], v32, v2 src0_sel:BYTE_0 src1_sel:DWORD
	s_and_saveexec_b64 s[34:35], s[4:5]
	s_cbranch_execz .LBB247_87
; %bb.82:                               ;   in Loop: Header=BB247_9 Depth=1
	v_cmp_ne_u16_sdwa s[4:5], v1, s42 src0_sel:BYTE_0 src1_sel:DWORD
	v_mov_b32_e32 v31, 0x8000
	s_and_saveexec_b64 s[36:37], s[4:5]
	s_cbranch_execz .LBB247_86
; %bb.83:                               ;   in Loop: Header=BB247_9 Depth=1
	v_and_b32_e32 v32, 0x7f, v1
	v_cmp_ne_u32_e64 s[4:5], s43, v32
	v_mov_b32_e32 v31, 0x7c01
	s_and_saveexec_b64 s[38:39], s[4:5]
	s_cbranch_execz .LBB247_85
; %bb.84:                               ;   in Loop: Header=BB247_9 Depth=1
	v_and_b32_e32 v31, 7, v1
	v_ffbh_u32_e32 v33, v31
	v_min_u32_e32 v36, 32, v33
	v_subrev_u32_e32 v33, 28, v36
	v_lshlrev_b64 v[33:34], v33, v[1:2]
	v_lshrrev_b32_e32 v35, 3, v32
	v_sub_u32_e32 v34, 29, v36
	v_cmp_gt_u32_e64 s[4:5], 8, v32
	v_cndmask_b32_e64 v32, v35, v34, s[4:5]
	v_lshl_add_u32 v32, v32, 10, v16
	v_lshlrev_b32_e32 v34, 8, v1
	v_and_b32_e32 v33, 7, v33
	v_and_b32_e32 v32, 0xfc00, v32
	v_cndmask_b32_e64 v31, v31, v33, s[4:5]
	v_and_or_b32 v32, v34, s44, v32
	v_lshl_or_b32 v31, v31, 7, v32
.LBB247_85:                             ;   in Loop: Header=BB247_9 Depth=1
	s_or_b64 exec, exec, s[38:39]
.LBB247_86:                             ;   in Loop: Header=BB247_9 Depth=1
	s_or_b64 exec, exec, s[36:37]
.LBB247_87:                             ;   in Loop: Header=BB247_9 Depth=1
	s_or_b64 exec, exec, s[34:35]
	v_lshrrev_b16_e32 v1, 8, v1
	v_cmp_ne_u16_e64 s[4:5], 0, v1
	v_mov_b32_e32 v33, 0
	v_mov_b32_e32 v32, 0
	s_and_saveexec_b64 s[34:35], s[4:5]
	s_cbranch_execz .LBB247_93
; %bb.88:                               ;   in Loop: Header=BB247_9 Depth=1
	v_cmp_ne_u16_e64 s[4:5], s42, v1
	v_bfrev_b32_e32 v32, 1
	s_and_saveexec_b64 s[36:37], s[4:5]
	s_cbranch_execz .LBB247_92
; %bb.89:                               ;   in Loop: Header=BB247_9 Depth=1
	v_and_b32_e32 v34, 0x7f, v1
	v_cmp_ne_u32_e64 s[4:5], s43, v34
	v_mov_b32_e32 v32, 0x7c010000
	s_and_saveexec_b64 s[38:39], s[4:5]
	s_cbranch_execz .LBB247_91
; %bb.90:                               ;   in Loop: Header=BB247_9 Depth=1
	v_and_b32_e32 v32, 7, v1
	v_ffbh_u32_e32 v35, v32
	v_min_u32_e32 v38, 32, v35
	v_subrev_u32_e32 v35, 28, v38
	v_lshlrev_b64 v[35:36], v35, v[1:2]
	v_lshrrev_b32_e32 v37, 3, v34
	v_sub_u32_e32 v36, 29, v38
	v_cmp_gt_u32_e64 s[4:5], 8, v34
	v_cndmask_b32_e64 v34, v37, v36, s[4:5]
	v_lshlrev_b32_e32 v1, 8, v1
	v_lshl_add_u32 v34, v34, 10, v16
	v_and_b32_e32 v35, 7, v35
	v_and_or_b32 v1, v1, s44, v34
	v_cndmask_b32_e64 v32, v32, v35, s[4:5]
	v_lshlrev_b32_e32 v1, 16, v1
	v_lshl_or_b32 v32, v32, 23, v1
.LBB247_91:                             ;   in Loop: Header=BB247_9 Depth=1
	s_or_b64 exec, exec, s[38:39]
.LBB247_92:                             ;   in Loop: Header=BB247_9 Depth=1
	s_or_b64 exec, exec, s[36:37]
.LBB247_93:                             ;   in Loop: Header=BB247_9 Depth=1
	s_or_b64 exec, exec, s[34:35]
	global_load_ushort v34, v[7:8], off offset:776
	s_waitcnt vmcnt(0)
	v_and_b32_e32 v1, 0xffff, v34
	v_cmp_ne_u16_sdwa s[4:5], v34, v2 src0_sel:BYTE_0 src1_sel:DWORD
	s_and_saveexec_b64 s[34:35], s[4:5]
	s_cbranch_execz .LBB247_99
; %bb.94:                               ;   in Loop: Header=BB247_9 Depth=1
	v_cmp_ne_u16_sdwa s[4:5], v1, s42 src0_sel:BYTE_0 src1_sel:DWORD
	v_mov_b32_e32 v33, 0x8000
	s_and_saveexec_b64 s[36:37], s[4:5]
	s_cbranch_execz .LBB247_98
; %bb.95:                               ;   in Loop: Header=BB247_9 Depth=1
	v_and_b32_e32 v34, 0x7f, v1
	v_cmp_ne_u32_e64 s[4:5], s43, v34
	v_mov_b32_e32 v33, 0x7c01
	s_and_saveexec_b64 s[38:39], s[4:5]
	s_cbranch_execz .LBB247_97
; %bb.96:                               ;   in Loop: Header=BB247_9 Depth=1
	v_and_b32_e32 v33, 7, v1
	v_ffbh_u32_e32 v35, v33
	v_min_u32_e32 v38, 32, v35
	v_subrev_u32_e32 v35, 28, v38
	v_lshlrev_b64 v[35:36], v35, v[1:2]
	v_lshrrev_b32_e32 v37, 3, v34
	v_sub_u32_e32 v36, 29, v38
	v_cmp_gt_u32_e64 s[4:5], 8, v34
	v_cndmask_b32_e64 v34, v37, v36, s[4:5]
	v_lshl_add_u32 v34, v34, 10, v16
	v_lshlrev_b32_e32 v36, 8, v1
	v_and_b32_e32 v35, 7, v35
	v_and_b32_e32 v34, 0xfc00, v34
	v_cndmask_b32_e64 v33, v33, v35, s[4:5]
	v_and_or_b32 v34, v36, s44, v34
	v_lshl_or_b32 v33, v33, 7, v34
.LBB247_97:                             ;   in Loop: Header=BB247_9 Depth=1
	s_or_b64 exec, exec, s[38:39]
.LBB247_98:                             ;   in Loop: Header=BB247_9 Depth=1
	s_or_b64 exec, exec, s[36:37]
.LBB247_99:                             ;   in Loop: Header=BB247_9 Depth=1
	s_or_b64 exec, exec, s[34:35]
	v_lshrrev_b16_e32 v1, 8, v1
	v_cmp_ne_u16_e64 s[4:5], 0, v1
	v_mov_b32_e32 v35, 0
	v_mov_b32_e32 v34, 0
	s_and_saveexec_b64 s[34:35], s[4:5]
	s_cbranch_execz .LBB247_105
; %bb.100:                              ;   in Loop: Header=BB247_9 Depth=1
	v_cmp_ne_u16_e64 s[4:5], s42, v1
	v_bfrev_b32_e32 v34, 1
	s_and_saveexec_b64 s[36:37], s[4:5]
	s_cbranch_execz .LBB247_104
; %bb.101:                              ;   in Loop: Header=BB247_9 Depth=1
	v_and_b32_e32 v36, 0x7f, v1
	v_cmp_ne_u32_e64 s[4:5], s43, v36
	v_mov_b32_e32 v34, 0x7c010000
	s_and_saveexec_b64 s[38:39], s[4:5]
	s_cbranch_execz .LBB247_103
; %bb.102:                              ;   in Loop: Header=BB247_9 Depth=1
	v_and_b32_e32 v34, 7, v1
	v_ffbh_u32_e32 v37, v34
	v_min_u32_e32 v40, 32, v37
	v_subrev_u32_e32 v37, 28, v40
	v_lshlrev_b64 v[37:38], v37, v[1:2]
	v_lshrrev_b32_e32 v39, 3, v36
	v_sub_u32_e32 v38, 29, v40
	v_cmp_gt_u32_e64 s[4:5], 8, v36
	v_cndmask_b32_e64 v36, v39, v38, s[4:5]
	v_lshlrev_b32_e32 v1, 8, v1
	v_lshl_add_u32 v36, v36, 10, v16
	v_and_b32_e32 v37, 7, v37
	v_and_or_b32 v1, v1, s44, v36
	v_cndmask_b32_e64 v34, v34, v37, s[4:5]
	v_lshlrev_b32_e32 v1, 16, v1
	v_lshl_or_b32 v34, v34, 23, v1
.LBB247_103:                            ;   in Loop: Header=BB247_9 Depth=1
	s_or_b64 exec, exec, s[38:39]
.LBB247_104:                            ;   in Loop: Header=BB247_9 Depth=1
	s_or_b64 exec, exec, s[36:37]
.LBB247_105:                            ;   in Loop: Header=BB247_9 Depth=1
	s_or_b64 exec, exec, s[34:35]
	global_load_ushort v36, v[7:8], off offset:1024
	s_waitcnt vmcnt(0)
	v_and_b32_e32 v1, 0xffff, v36
	v_cmp_ne_u16_sdwa s[4:5], v36, v2 src0_sel:BYTE_0 src1_sel:DWORD
	s_and_saveexec_b64 s[34:35], s[4:5]
	s_cbranch_execz .LBB247_111
; %bb.106:                              ;   in Loop: Header=BB247_9 Depth=1
	v_cmp_ne_u16_sdwa s[4:5], v1, s42 src0_sel:BYTE_0 src1_sel:DWORD
	v_mov_b32_e32 v35, 0x8000
	s_and_saveexec_b64 s[36:37], s[4:5]
	s_cbranch_execz .LBB247_110
; %bb.107:                              ;   in Loop: Header=BB247_9 Depth=1
	v_and_b32_e32 v36, 0x7f, v1
	v_cmp_ne_u32_e64 s[4:5], s43, v36
	v_mov_b32_e32 v35, 0x7c01
	s_and_saveexec_b64 s[38:39], s[4:5]
	s_cbranch_execz .LBB247_109
; %bb.108:                              ;   in Loop: Header=BB247_9 Depth=1
	v_and_b32_e32 v35, 7, v1
	v_ffbh_u32_e32 v37, v35
	v_min_u32_e32 v40, 32, v37
	v_subrev_u32_e32 v37, 28, v40
	v_lshlrev_b64 v[37:38], v37, v[1:2]
	v_lshrrev_b32_e32 v39, 3, v36
	v_sub_u32_e32 v38, 29, v40
	v_cmp_gt_u32_e64 s[4:5], 8, v36
	v_cndmask_b32_e64 v36, v39, v38, s[4:5]
	v_lshl_add_u32 v36, v36, 10, v16
	v_lshlrev_b32_e32 v38, 8, v1
	v_and_b32_e32 v37, 7, v37
	v_and_b32_e32 v36, 0xfc00, v36
	v_cndmask_b32_e64 v35, v35, v37, s[4:5]
	v_and_or_b32 v36, v38, s44, v36
	v_lshl_or_b32 v35, v35, 7, v36
.LBB247_109:                            ;   in Loop: Header=BB247_9 Depth=1
	s_or_b64 exec, exec, s[38:39]
.LBB247_110:                            ;   in Loop: Header=BB247_9 Depth=1
	s_or_b64 exec, exec, s[36:37]
.LBB247_111:                            ;   in Loop: Header=BB247_9 Depth=1
	s_or_b64 exec, exec, s[34:35]
	v_lshrrev_b16_e32 v1, 8, v1
	v_cmp_ne_u16_e64 s[4:5], 0, v1
	v_mov_b32_e32 v36, 0
	v_mov_b32_e32 v38, 0
	s_and_saveexec_b64 s[34:35], s[4:5]
	s_cbranch_execz .LBB247_117
; %bb.112:                              ;   in Loop: Header=BB247_9 Depth=1
	v_cmp_ne_u16_e64 s[4:5], s42, v1
	v_bfrev_b32_e32 v38, 1
	s_and_saveexec_b64 s[36:37], s[4:5]
	s_cbranch_execz .LBB247_116
; %bb.113:                              ;   in Loop: Header=BB247_9 Depth=1
	v_and_b32_e32 v37, 0x7f, v1
	v_cmp_ne_u32_e64 s[4:5], s43, v37
	v_mov_b32_e32 v38, 0x7c010000
	s_and_saveexec_b64 s[38:39], s[4:5]
	s_cbranch_execz .LBB247_115
; %bb.114:                              ;   in Loop: Header=BB247_9 Depth=1
	v_and_b32_e32 v40, 7, v1
	v_ffbh_u32_e32 v38, v40
	v_min_u32_e32 v42, 32, v38
	v_subrev_u32_e32 v38, 28, v42
	v_lshlrev_b64 v[38:39], v38, v[1:2]
	v_lshrrev_b32_e32 v41, 3, v37
	v_sub_u32_e32 v39, 29, v42
	v_cmp_gt_u32_e64 s[4:5], 8, v37
	v_cndmask_b32_e64 v37, v41, v39, s[4:5]
	v_lshlrev_b32_e32 v1, 8, v1
	v_lshl_add_u32 v37, v37, 10, v16
	v_and_b32_e32 v38, 7, v38
	v_and_or_b32 v1, v1, s44, v37
	v_cndmask_b32_e64 v38, v40, v38, s[4:5]
	v_lshlrev_b32_e32 v1, 16, v1
	v_lshl_or_b32 v38, v38, 23, v1
.LBB247_115:                            ;   in Loop: Header=BB247_9 Depth=1
	s_or_b64 exec, exec, s[38:39]
.LBB247_116:                            ;   in Loop: Header=BB247_9 Depth=1
	s_or_b64 exec, exec, s[36:37]
.LBB247_117:                            ;   in Loop: Header=BB247_9 Depth=1
	s_or_b64 exec, exec, s[34:35]
	global_load_ushort v7, v[7:8], off offset:1032
	s_waitcnt vmcnt(0)
	v_and_b32_e32 v1, 0xffff, v7
	v_cmp_ne_u16_sdwa s[4:5], v7, v2 src0_sel:BYTE_0 src1_sel:DWORD
	s_and_saveexec_b64 s[34:35], s[4:5]
	s_cbranch_execz .LBB247_123
; %bb.118:                              ;   in Loop: Header=BB247_9 Depth=1
	v_cmp_ne_u16_sdwa s[4:5], v1, s42 src0_sel:BYTE_0 src1_sel:DWORD
	v_mov_b32_e32 v36, 0x8000
	s_and_saveexec_b64 s[36:37], s[4:5]
	s_cbranch_execz .LBB247_122
; %bb.119:                              ;   in Loop: Header=BB247_9 Depth=1
	v_and_b32_e32 v7, 0x7f, v1
	v_cmp_ne_u32_e64 s[4:5], s43, v7
	v_mov_b32_e32 v36, 0x7c01
	s_and_saveexec_b64 s[38:39], s[4:5]
	s_cbranch_execz .LBB247_121
; %bb.120:                              ;   in Loop: Header=BB247_9 Depth=1
	v_and_b32_e32 v8, 7, v1
	v_ffbh_u32_e32 v36, v8
	v_min_u32_e32 v40, 32, v36
	v_subrev_u32_e32 v36, 28, v40
	v_lshlrev_b64 v[36:37], v36, v[1:2]
	v_lshrrev_b32_e32 v39, 3, v7
	v_sub_u32_e32 v37, 29, v40
	v_cmp_gt_u32_e64 s[4:5], 8, v7
	v_cndmask_b32_e64 v7, v39, v37, s[4:5]
	v_lshl_add_u32 v7, v7, 10, v16
	v_lshlrev_b32_e32 v37, 8, v1
	v_and_b32_e32 v36, 7, v36
	v_and_b32_e32 v7, 0xfc00, v7
	v_cndmask_b32_e64 v8, v8, v36, s[4:5]
	v_and_or_b32 v7, v37, s44, v7
	v_lshl_or_b32 v36, v8, 7, v7
.LBB247_121:                            ;   in Loop: Header=BB247_9 Depth=1
	s_or_b64 exec, exec, s[38:39]
.LBB247_122:                            ;   in Loop: Header=BB247_9 Depth=1
	s_or_b64 exec, exec, s[36:37]
.LBB247_123:                            ;   in Loop: Header=BB247_9 Depth=1
	s_or_b64 exec, exec, s[34:35]
	v_lshrrev_b16_e32 v1, 8, v1
	v_cmp_ne_u16_e64 s[4:5], 0, v1
	v_mov_b32_e32 v37, 0
	s_and_saveexec_b64 s[34:35], s[4:5]
	s_cbranch_execz .LBB247_129
; %bb.124:                              ;   in Loop: Header=BB247_9 Depth=1
	v_cmp_ne_u16_e64 s[4:5], s42, v1
	v_bfrev_b32_e32 v37, 1
	s_and_saveexec_b64 s[36:37], s[4:5]
	s_cbranch_execz .LBB247_128
; %bb.125:                              ;   in Loop: Header=BB247_9 Depth=1
	v_and_b32_e32 v7, 0x7f, v1
	v_cmp_ne_u32_e64 s[4:5], s43, v7
	v_mov_b32_e32 v37, 0x7c010000
	s_and_saveexec_b64 s[38:39], s[4:5]
	s_cbranch_execz .LBB247_127
; %bb.126:                              ;   in Loop: Header=BB247_9 Depth=1
	v_and_b32_e32 v8, 7, v1
	v_ffbh_u32_e32 v39, v8
	v_min_u32_e32 v41, 32, v39
	v_subrev_u32_e32 v39, 28, v41
	v_lshlrev_b64 v[39:40], v39, v[1:2]
	v_lshrrev_b32_e32 v37, 3, v7
	v_sub_u32_e32 v40, 29, v41
	v_cmp_gt_u32_e64 s[4:5], 8, v7
	v_cndmask_b32_e64 v7, v37, v40, s[4:5]
	v_lshlrev_b32_e32 v1, 8, v1
	v_lshl_add_u32 v7, v7, 10, v16
	v_and_b32_e32 v37, 7, v39
	v_and_or_b32 v1, v1, s44, v7
	v_cndmask_b32_e64 v8, v8, v37, s[4:5]
	v_lshlrev_b32_e32 v1, 16, v1
	v_lshl_or_b32 v37, v8, 23, v1
.LBB247_127:                            ;   in Loop: Header=BB247_9 Depth=1
	s_or_b64 exec, exec, s[38:39]
.LBB247_128:                            ;   in Loop: Header=BB247_9 Depth=1
	s_or_b64 exec, exec, s[36:37]
.LBB247_129:                            ;   in Loop: Header=BB247_9 Depth=1
	s_or_b64 exec, exec, s[34:35]
	v_or_b32_e32 v8, v34, v33
	v_fma_mixlo_f16 v33, v18, v8, 0 op_sel_hi:[0,1,0]
	v_fma_mixlo_f16 v8, v18, v34, 0 op_sel:[0,1,0] op_sel_hi:[0,1,0]
	ds_read_b32 v34, v12
	v_or_b32_e32 v19, v21, v19
	v_fma_mixlo_f16 v19, v18, v19, 0 op_sel_hi:[0,1,0]
	v_fma_mixlo_f16 v21, v18, v21, 0 op_sel:[0,1,0] op_sel_hi:[0,1,0]
	v_or_b32_e32 v1, v38, v35
	s_waitcnt lgkmcnt(0)
	v_lshrrev_b32_e32 v35, 16, v34
	v_and_b32_e32 v34, 0xffff, v34
	v_and_b32_e32 v19, 0xffff, v19
	;; [unrolled: 1-line block ×3, first 2 shown]
	v_fma_mixlo_f16 v7, v18, v1, 0 op_sel_hi:[0,1,0]
	v_fma_mixlo_f16 v1, v18, v38, 0 op_sel:[0,1,0] op_sel_hi:[0,1,0]
	;;#ASMSTART
	v_cvt_f32_f16 v34, v34;
	;;#ASMEND
	;;#ASMSTART
	v_cvt_f32_f16 v35, v35;
	;;#ASMEND
	;;#ASMSTART
	v_cvt_f32_f16 v19, v19;
	;;#ASMEND
	;;#ASMSTART
	v_cvt_f32_f16 v21, v21;
	;;#ASMEND
	ds_read_b32 v38, v12 offset:4
	v_or_b32_e32 v20, v23, v20
	v_fma_mixlo_f16 v20, v18, v20, 0 op_sel_hi:[0,1,0]
	v_fma_mixlo_f16 v23, v18, v23, 0 op_sel:[0,1,0] op_sel_hi:[0,1,0]
	v_and_b32_e32 v20, 0xffff, v20
	s_waitcnt lgkmcnt(0)
	v_lshrrev_b32_e32 v39, 16, v38
	v_and_b32_e32 v38, 0xffff, v38
	v_and_b32_e32 v23, 0xffff, v23
	;;#ASMSTART
	v_cvt_f32_f16 v38, v38;
	;;#ASMEND
	;;#ASMSTART
	v_cvt_f32_f16 v39, v39;
	;;#ASMEND
	;;#ASMSTART
	v_cvt_f32_f16 v20, v20;
	;;#ASMEND
	;;#ASMSTART
	v_cvt_f32_f16 v23, v23;
	;;#ASMEND
	ds_read_b32 v40, v12 offset:8
	v_or_b32_e32 v22, v25, v22
	v_fma_mixlo_f16 v22, v18, v22, 0 op_sel_hi:[0,1,0]
	v_fma_mixlo_f16 v25, v18, v25, 0 op_sel:[0,1,0] op_sel_hi:[0,1,0]
	v_and_b32_e32 v22, 0xffff, v22
	s_waitcnt lgkmcnt(0)
	v_lshrrev_b32_e32 v41, 16, v40
	v_and_b32_e32 v40, 0xffff, v40
	v_and_b32_e32 v25, 0xffff, v25
	;; [unrolled: 21-line block ×4, first 2 shown]
	;;#ASMSTART
	v_cvt_f32_f16 v44, v44;
	;;#ASMEND
	;;#ASMSTART
	v_cvt_f32_f16 v45, v45;
	;;#ASMEND
	;; [unrolled: 3-line block ×4, first 2 shown]
	ds_read_b32 v46, v12 offset:20
	v_or_b32_e32 v29, v30, v29
	v_fma_mixlo_f16 v29, v18, v29, 0 op_sel_hi:[0,1,0]
	v_fma_mixlo_f16 v30, v18, v30, 0 op_sel:[0,1,0] op_sel_hi:[0,1,0]
	v_mul_f32_e32 v20, v38, v20
	v_or_b32_e32 v31, v32, v31
	v_or_b32_e32 v36, v37, v36
	v_fmac_f32_e32 v20, v34, v19
	s_waitcnt lgkmcnt(0)
	v_lshrrev_b32_e32 v34, 16, v46
	v_and_b32_e32 v19, 0xffff, v46
	v_and_b32_e32 v29, 0xffff, v29
	;; [unrolled: 1-line block ×3, first 2 shown]
	v_fma_mixlo_f16 v31, v18, v31, 0 op_sel_hi:[0,1,0]
	v_fma_mixlo_f16 v32, v18, v32, 0 op_sel:[0,1,0] op_sel_hi:[0,1,0]
	v_fma_mixlo_f16 v36, v18, v36, 0 op_sel_hi:[0,1,0]
	v_fma_mixlo_f16 v18, v18, v37, 0 op_sel:[0,1,0] op_sel_hi:[0,1,0]
	;;#ASMSTART
	v_cvt_f32_f16 v19, v19;
	;;#ASMEND
	;;#ASMSTART
	v_cvt_f32_f16 v34, v34;
	;;#ASMEND
	;; [unrolled: 3-line block ×4, first 2 shown]
	ds_read_b32 v37, v12 offset:24
	v_mul_f32_e32 v23, v39, v23
	v_fmac_f32_e32 v23, v35, v21
	v_fmac_f32_e32 v20, v40, v22
	;; [unrolled: 1-line block ×3, first 2 shown]
	s_waitcnt lgkmcnt(0)
	v_lshrrev_b32_e32 v22, 16, v37
	v_and_b32_e32 v21, 0xffff, v37
	v_and_b32_e32 v25, 0xffff, v31
	;; [unrolled: 1-line block ×3, first 2 shown]
	;;#ASMSTART
	v_cvt_f32_f16 v21, v21;
	;;#ASMEND
	;;#ASMSTART
	v_cvt_f32_f16 v22, v22;
	;;#ASMEND
	;; [unrolled: 3-line block ×4, first 2 shown]
	ds_read_b32 v32, v12 offset:28
	v_fmac_f32_e32 v20, v42, v24
	v_fmac_f32_e32 v23, v43, v27
	v_fmac_f32_e32 v20, v44, v26
	v_and_b32_e32 v27, 0xffff, v33
	s_waitcnt lgkmcnt(0)
	v_lshrrev_b32_e32 v26, 16, v32
	v_and_b32_e32 v24, 0xffff, v32
	v_and_b32_e32 v8, 0xffff, v8
	v_fmac_f32_e32 v23, v45, v28
	;;#ASMSTART
	v_cvt_f32_f16 v24, v24;
	;;#ASMEND
	;;#ASMSTART
	v_cvt_f32_f16 v26, v26;
	;;#ASMEND
	;;#ASMSTART
	v_cvt_f32_f16 v27, v27;
	;;#ASMEND
	;;#ASMSTART
	v_cvt_f32_f16 v8, v8;
	;;#ASMEND
	ds_read_b32 v28, v12 offset:32
	v_fmac_f32_e32 v20, v19, v29
	v_fmac_f32_e32 v23, v34, v30
	;; [unrolled: 1-line block ×3, first 2 shown]
	v_and_b32_e32 v7, 0xffff, v7
	s_waitcnt lgkmcnt(0)
	v_lshrrev_b32_e32 v21, 16, v28
	v_and_b32_e32 v19, 0xffff, v28
	v_and_b32_e32 v1, 0xffff, v1
	v_fmac_f32_e32 v23, v22, v31
	;;#ASMSTART
	v_cvt_f32_f16 v19, v19;
	;;#ASMEND
	;;#ASMSTART
	v_cvt_f32_f16 v21, v21;
	;;#ASMEND
	;; [unrolled: 3-line block ×4, first 2 shown]
	ds_read_b32 v22, v12 offset:36
	v_fmac_f32_e32 v20, v24, v27
	v_fmac_f32_e32 v23, v26, v8
	;; [unrolled: 1-line block ×4, first 2 shown]
	s_waitcnt lgkmcnt(0)
	v_lshrrev_b32_e32 v7, 16, v22
	v_and_b32_e32 v1, 0xffff, v22
	;;#ASMSTART
	v_cvt_f32_f16 v1, v1;
	;;#ASMEND
	;;#ASMSTART
	v_cvt_f32_f16 v7, v7;
	;;#ASMEND
	v_and_b32_e32 v8, 0xffff, v36
	v_and_b32_e32 v18, 0xffff, v18
	;;#ASMSTART
	v_cvt_f32_f16 v8, v8;
	;;#ASMEND
	;;#ASMSTART
	v_cvt_f32_f16 v18, v18;
	;;#ASMEND
	v_fmac_f32_e32 v23, v7, v18
	v_and_b32_e32 v7, 64, v10
	v_fmac_f32_e32 v20, v1, v8
	v_add_u32_e32 v1, 64, v7
	v_xor_b32_e32 v18, 2, v10
	v_cmp_lt_i32_e64 s[4:5], v18, v1
	v_cndmask_b32_e64 v18, v10, v18, s[4:5]
	v_add_f32_e32 v8, v20, v23
	v_lshlrev_b32_e32 v18, 2, v18
	ds_bpermute_b32 v18, v18, v8
	s_waitcnt lgkmcnt(0)
	v_add_f32_e32 v8, v8, v18
	v_xor_b32_e32 v18, 1, v10
	v_cmp_lt_i32_e64 s[4:5], v18, v1
	v_cndmask_b32_e64 v18, v10, v18, s[4:5]
	v_lshlrev_b32_e32 v18, 2, v18
	ds_bpermute_b32 v18, v18, v8
	s_and_saveexec_b64 s[34:35], vcc
	s_cbranch_execz .LBB247_8
; %bb.130:                              ;   in Loop: Header=BB247_9 Depth=1
	v_add_u32_e32 v19, s41, v14
	v_cvt_f32_i32_e32 v19, v19
	s_waitcnt lgkmcnt(0)
	v_add_f32_e32 v8, v8, v18
	v_cmp_gt_i32_e64 s[4:5], s30, v14
	v_max_f32_e32 v18, v11, v11
	v_mul_f32_e32 v19, s33, v19
	v_cndmask_b32_e64 v19, 0, v19, s[2:3]
	v_fmac_f32_e32 v19, s31, v8
	v_cndmask_b32_e64 v8, 0, v19, s[4:5]
	ds_write_b32 v15, v8
	v_max_f32_e32 v8, v18, v19
	v_cndmask_b32_e64 v11, v11, v8, s[4:5]
	s_branch .LBB247_8
.LBB247_131:
	s_or_b64 exec, exec, s[18:19]
.LBB247_132:
	s_or_b64 exec, exec, s[6:7]
	v_xor_b32_e32 v2, 32, v10
	v_cmp_lt_i32_e32 vcc, v2, v1
	v_cndmask_b32_e32 v2, v10, v2, vcc
	v_lshlrev_b32_e32 v3, 2, v2
	ds_bpermute_b32 v2, v3, v11
	v_xor_b32_e32 v5, 16, v10
	v_max_f32_e32 v4, v11, v11
	v_cmp_lt_i32_e32 vcc, v5, v1
	v_xor_b32_e32 v6, 8, v10
	s_waitcnt lgkmcnt(0)
	v_max_f32_e32 v2, v2, v2
	v_max_f32_e32 v2, v4, v2
	v_cndmask_b32_e32 v4, v10, v5, vcc
	v_lshlrev_b32_e32 v4, 2, v4
	ds_bpermute_b32 v5, v4, v2
	v_cmp_lt_i32_e32 vcc, v6, v1
	v_xor_b32_e32 v11, 4, v10
	s_waitcnt lgkmcnt(0)
	v_max_f32_e32 v5, v5, v5
	v_max_f32_e32 v2, v2, v5
	v_cndmask_b32_e32 v5, v10, v6, vcc
	v_lshlrev_b32_e32 v8, 2, v5
	ds_bpermute_b32 v5, v8, v2
	v_cmp_lt_i32_e32 vcc, v11, v1
	s_waitcnt lgkmcnt(0)
	v_max_f32_e32 v5, v5, v5
	v_max_f32_e32 v6, v2, v5
	v_cndmask_b32_e32 v2, v10, v11, vcc
	v_lshlrev_b32_e32 v11, 2, v2
	ds_bpermute_b32 v12, v11, v6
	v_and_b32_e32 v2, 63, v0
	v_cmp_eq_u32_e32 vcc, 0, v2
	v_lshlrev_b32_e32 v5, 2, v13
	s_and_saveexec_b64 s[2:3], vcc
	s_cbranch_execz .LBB247_134
; %bb.133:
	s_waitcnt lgkmcnt(0)
	v_max_f32_e32 v12, v12, v12
	v_max_f32_e32 v6, v6, v6
	;; [unrolled: 1-line block ×3, first 2 shown]
	ds_write_b32 v5, v6 offset:160
.LBB247_134:
	s_or_b64 exec, exec, s[2:3]
	v_cmp_gt_u32_e64 s[2:3], 2, v2
	s_waitcnt lgkmcnt(0)
	v_mov_b32_e32 v12, 0xff7fffff
	v_lshlrev_b32_e32 v6, 2, v2
	s_barrier
	s_and_saveexec_b64 s[4:5], s[2:3]
; %bb.135:
	ds_read_b32 v12, v6 offset:160
; %bb.136:
	s_or_b64 exec, exec, s[4:5]
	v_xor_b32_e32 v14, 1, v10
	v_cmp_lt_i32_e64 s[4:5], v14, v1
	v_cndmask_b32_e64 v14, v10, v14, s[4:5]
	v_lshlrev_b32_e32 v14, 2, v14
	s_waitcnt lgkmcnt(0)
	ds_bpermute_b32 v15, v14, v12
	v_max_f32_e32 v12, v12, v12
	v_lshlrev_b32_e32 v7, 2, v7
	s_lshl_b32 s4, s21, 4
	s_min_i32 s31, s4, s30
	s_waitcnt lgkmcnt(0)
	v_max_f32_e32 v15, v15, v15
	v_max_f32_e32 v12, v12, v15
	ds_bpermute_b32 v12, v7, v12
	v_cmp_gt_i32_e64 s[4:5], s31, v0
	v_mov_b32_e32 v7, 0
	s_and_saveexec_b64 s[12:13], s[4:5]
	s_cbranch_execz .LBB247_140
; %bb.137:
	v_mov_b32_e32 v7, 0xb0
	v_lshl_add_u32 v15, v0, 2, v7
	v_mov_b32_e32 v7, 0
	s_mov_b64 s[18:19], 0
	v_mov_b32_e32 v16, v0
.LBB247_138:                            ; =>This Inner Loop Header: Depth=1
	ds_read_b32 v17, v15
	v_add_u32_e32 v16, 0x80, v16
	v_cmp_le_i32_e64 s[6:7], s31, v16
	s_or_b64 s[18:19], s[6:7], s[18:19]
	s_waitcnt lgkmcnt(0)
	v_sub_f32_e32 v17, v17, v12
	v_mul_f32_e32 v17, 0x3fb8aa3b, v17
	v_exp_f32_e32 v17, v17
	ds_write_b32 v15, v17
	v_add_f32_e32 v7, v7, v17
	v_add_u32_e32 v15, 0x200, v15
	s_andn2_b64 exec, exec, s[18:19]
	s_cbranch_execnz .LBB247_138
; %bb.139:
	s_or_b64 exec, exec, s[18:19]
.LBB247_140:
	s_or_b64 exec, exec, s[12:13]
	ds_bpermute_b32 v3, v3, v7
	s_waitcnt lgkmcnt(0)
	v_add_f32_e32 v3, v7, v3
	ds_bpermute_b32 v4, v4, v3
	v_xor_b32_e32 v7, 2, v10
	v_cmp_lt_i32_e64 s[6:7], v7, v1
	v_cndmask_b32_e64 v1, v10, v7, s[6:7]
	v_lshlrev_b32_e32 v1, 2, v1
	s_waitcnt lgkmcnt(0)
	v_add_f32_e32 v3, v3, v4
	ds_bpermute_b32 v4, v8, v3
	s_waitcnt lgkmcnt(0)
	v_add_f32_e32 v3, v3, v4
	ds_bpermute_b32 v4, v11, v3
	;; [unrolled: 3-line block ×4, first 2 shown]
	s_waitcnt lgkmcnt(0)
	v_add_f32_e32 v1, v1, v3
	s_and_saveexec_b64 s[6:7], vcc
; %bb.141:
	ds_write_b32 v5, v1 offset:168
; %bb.142:
	s_or_b64 exec, exec, s[6:7]
	s_waitcnt lgkmcnt(0)
	s_barrier
	s_and_saveexec_b64 s[6:7], s[2:3]
; %bb.143:
	ds_read_b32 v1, v6 offset:168
; %bb.144:
	s_or_b64 exec, exec, s[6:7]
	s_waitcnt lgkmcnt(0)
	ds_bpermute_b32 v3, v14, v1
	v_lshlrev_b32_e32 v4, 2, v10
	s_waitcnt lgkmcnt(0)
	v_add_f32_e32 v1, v1, v3
	v_and_b32_e32 v3, 0xffffff00, v4
	ds_bpermute_b32 v1, v3, v1
	s_and_saveexec_b64 s[2:3], s[4:5]
	s_cbranch_execz .LBB247_147
; %bb.145:
	s_waitcnt lgkmcnt(0)
	v_add_f32_e32 v3, 0x358637bd, v1
	v_div_scale_f32 v1, s[4:5], v3, v3, 1.0
	v_div_scale_f32 v4, vcc, 1.0, v3, 1.0
	s_mov_b64 s[4:5], 0
	v_rcp_f32_e32 v5, v1
	v_fma_f32 v6, -v1, v5, 1.0
	v_fmac_f32_e32 v5, v6, v5
	v_mul_f32_e32 v6, v4, v5
	v_fma_f32 v7, -v1, v6, v4
	v_fmac_f32_e32 v6, v7, v5
	v_fma_f32 v1, -v1, v6, v4
	v_div_fmas_f32 v4, v1, v5, v6
	v_mov_b32_e32 v1, 0xb0
	v_lshl_add_u32 v1, v0, 2, v1
	v_div_fixup_f32 v3, v4, v3, 1.0
	v_mov_b32_e32 v4, v0
.LBB247_146:                            ; =>This Inner Loop Header: Depth=1
	ds_read_b32 v5, v1
	v_add_u32_e32 v4, 0x80, v4
	v_cmp_le_i32_e32 vcc, s31, v4
	s_or_b64 s[4:5], vcc, s[4:5]
	s_waitcnt lgkmcnt(0)
	v_mul_f32_e32 v5, v3, v5
	ds_write_b32 v1, v5
	v_add_u32_e32 v1, 0x200, v1
	s_andn2_b64 exec, exec, s[4:5]
	s_cbranch_execnz .LBB247_146
.LBB247_147:
	s_or_b64 exec, exec, s[2:3]
	v_lshrrev_b32_e32 v15, 1, v2
	s_waitcnt lgkmcnt(0)
	s_barrier
	s_and_saveexec_b64 s[2:3], s[0:1]
	s_xor_b64 s[0:1], exec, s[2:3]
; %bb.148:
	v_lshrrev_b32_e32 v15, 1, v2
                                        ; implicit-def: $vgpr13
                                        ; implicit-def: $vgpr9
; %bb.149:
	s_or_saveexec_b64 s[4:5], s[0:1]
	v_mov_b32_e32 v19, 0
	v_and_b32_e32 v16, 1, v0
	v_mov_b32_e32 v20, 0
	v_mov_b32_e32 v22, 0
	s_xor_b64 exec, exec, s[4:5]
	s_cbranch_execz .LBB247_305
; %bb.150:
	s_ashr_i32 s0, s16, 31
	v_lshlrev_b32_e32 v1, 3, v0
	s_add_u32 s2, s28, s16
	v_and_b32_e32 v1, 8, v1
	s_addc_u32 s3, s29, s0
	v_or_b32_e32 v3, 64, v15
	s_movk_i32 s0, 0x50
	v_cmp_gt_u32_e32 vcc, s0, v3
	v_lshl_or_b32 v18, v3, 4, v1
	v_lshlrev_b32_e32 v3, 4, v13
	s_add_i32 s28, s21, -1
	v_lshl_or_b32 v17, v15, 4, v1
	v_or3_b32 v21, v3, v1, 7
	v_lshlrev_b32_e32 v1, 5, v16
	s_lshl_b64 s[0:1], s[26:27], 2
	v_lshl_or_b32 v1, v13, 6, v1
	s_add_u32 s0, s24, s0
	v_add_u32_e32 v23, 0xb0, v1
	v_and_b32_e32 v1, 60, v9
	s_addc_u32 s1, s25, s1
	s_mov_b32 s6, -1
	v_mov_b32_e32 v4, s1
	v_add_co_u32_e64 v3, s[0:1], s0, v1
	v_mov_b32_e32 v6, s3
	s_mov_b32 s31, s17
	s_mov_b32 s7, 0xffffff
	v_mov_b32_e32 v2, 0
	v_addc_co_u32_e64 v4, s[0:1], 0, v4, s[0:1]
	s_mov_b64 s[12:13], 0
	v_mov_b32_e32 v5, s2
	s_movk_i32 s29, 0x80
	s_movk_i32 s33, 0x7f
	s_mov_b32 s34, 0x8000
	v_mov_b32_e32 v24, 0x2000
	v_mov_b32_e32 v22, 0
	;; [unrolled: 1-line block ×4, first 2 shown]
	s_branch .LBB247_153
.LBB247_151:                            ;   in Loop: Header=BB247_153 Depth=1
	s_or_b64 exec, exec, s[2:3]
	;;#ASMSTART
	v_pk_mul_f16 v7, v29, v7;

	;;#ASMEND
	;;#ASMSTART
	v_pk_mul_f16 v1, v28, v1;

	;;#ASMEND
	;; [unrolled: 4-line block ×4, first 2 shown]
	;;#ASMSTART
	v_pk_add_f16 v1, v7, v1;

	;;#ASMEND
	;;#ASMSTART
	v_pk_add_f16 v1, v1, v8;

	;;#ASMEND
	;; [unrolled: 4-line block ×3, first 2 shown]
	v_lshrrev_b32_e32 v7, 16, v1
	v_and_b32_e32 v1, 0xffff, v1
	;;#ASMSTART
	v_cvt_f32_f16 v1, v1;
	;;#ASMEND
	;;#ASMSTART
	v_cvt_f32_f16 v7, v7;
	;;#ASMEND
	v_add_f32_e32 v1, v1, v7
	v_add_f32_e32 v22, v22, v1
.LBB247_152:                            ;   in Loop: Header=BB247_153 Depth=1
	s_or_b64 exec, exec, s[16:17]
	v_add_u32_e32 v13, 2, v13
	v_add_f32_e32 v1, v9, v10
	v_cmp_le_i32_e64 s[0:1], s21, v13
	v_add_f32_e32 v20, v20, v1
	v_add_f32_e32 v1, v12, v25
	s_or_b64 s[12:13], s[0:1], s[12:13]
	v_add_co_u32_e64 v3, s[0:1], 8, v3
	v_add_f32_e32 v19, v19, v1
	v_add_u32_e32 v21, 32, v21
	v_add_u32_e32 v23, 0x80, v23
	v_addc_co_u32_e64 v4, s[0:1], 0, v4, s[0:1]
	s_andn2_b64 exec, exec, s[12:13]
	s_cbranch_execz .LBB247_304
.LBB247_153:                            ; =>This Inner Loop Header: Depth=1
	global_load_dword v1, v[3:4], off
	ds_read2_b64 v[7:10], v23 offset1:1
	ds_read2_b64 v[30:33], v23 offset0:2 offset1:3
	v_mov_b32_e32 v34, 0
	s_waitcnt lgkmcnt(1)
	;;#ASMSTART
	v_cvt_f16_f32 v25, v7;

	;;#ASMEND
	;;#ASMSTART
	v_cvt_f16_f32 v26, v8;

	;;#ASMEND
	;; [unrolled: 4-line block ×4, first 2 shown]
	s_waitcnt lgkmcnt(0)
	;;#ASMSTART
	v_cvt_f16_f32 v30, v30;

	;;#ASMEND
	;;#ASMSTART
	v_cvt_f16_f32 v31, v31;

	;;#ASMEND
	;; [unrolled: 4-line block ×4, first 2 shown]
	s_waitcnt vmcnt(0)
	v_mad_i64_i32 v[7:8], s[0:1], v1, s31, v[5:6]
	v_add_co_u32_e64 v9, s[0:1], v7, v17
	v_addc_co_u32_e64 v10, s[0:1], 0, v8, s[0:1]
	global_load_dwordx2 v[11:12], v[9:10], off
	global_load_dword v29, v2, s[14:15]
	s_waitcnt vmcnt(1)
	v_cmp_ne_u16_sdwa s[0:1], v11, v2 src0_sel:BYTE_0 src1_sel:DWORD
	s_and_saveexec_b64 s[2:3], s[0:1]
	s_cbranch_execz .LBB247_159
; %bb.154:                              ;   in Loop: Header=BB247_153 Depth=1
	v_cmp_ne_u16_sdwa s[0:1], v11, s29 src0_sel:BYTE_0 src1_sel:DWORD
	v_mov_b32_e32 v34, 0x8000
	s_and_saveexec_b64 s[16:17], s[0:1]
	s_cbranch_execz .LBB247_158
; %bb.155:                              ;   in Loop: Header=BB247_153 Depth=1
	v_and_b32_e32 v1, 0x7f, v11
	v_cmp_ne_u32_e64 s[0:1], s33, v1
	v_mov_b32_e32 v34, 0x7c01
	s_and_saveexec_b64 s[18:19], s[0:1]
	s_cbranch_execz .LBB247_157
; %bb.156:                              ;   in Loop: Header=BB247_153 Depth=1
	v_and_b32_e32 v36, 7, v11
	v_ffbh_u32_e32 v34, v36
	v_min_u32_e32 v38, 32, v34
	v_subrev_u32_e32 v34, 28, v38
	v_lshlrev_b64 v[34:35], v34, v[11:12]
	v_lshrrev_b32_e32 v37, 3, v1
	v_sub_u32_e32 v35, 29, v38
	v_cmp_gt_u32_e64 s[0:1], 8, v1
	v_cndmask_b32_e64 v1, v37, v35, s[0:1]
	v_lshl_add_u32 v1, v1, 10, v24
	v_lshlrev_b32_e32 v35, 8, v11
	v_and_b32_e32 v34, 7, v34
	v_and_b32_e32 v1, 0xfc00, v1
	v_cndmask_b32_e64 v34, v36, v34, s[0:1]
	v_and_or_b32 v1, v35, s34, v1
	v_lshl_or_b32 v34, v34, 7, v1
.LBB247_157:                            ;   in Loop: Header=BB247_153 Depth=1
	s_or_b64 exec, exec, s[18:19]
.LBB247_158:                            ;   in Loop: Header=BB247_153 Depth=1
	s_or_b64 exec, exec, s[16:17]
.LBB247_159:                            ;   in Loop: Header=BB247_153 Depth=1
	s_or_b64 exec, exec, s[2:3]
	v_lshrrev_b16_e32 v1, 8, v11
	v_cmp_ne_u16_e64 s[0:1], 0, v1
	v_mov_b32_e32 v36, 0
	v_mov_b32_e32 v35, 0
	s_and_saveexec_b64 s[2:3], s[0:1]
	s_cbranch_execz .LBB247_165
; %bb.160:                              ;   in Loop: Header=BB247_153 Depth=1
	v_cmp_ne_u16_e64 s[0:1], s29, v1
	v_bfrev_b32_e32 v35, 1
	s_and_saveexec_b64 s[16:17], s[0:1]
	s_cbranch_execz .LBB247_164
; %bb.161:                              ;   in Loop: Header=BB247_153 Depth=1
	v_and_b32_e32 v37, 0x7f, v1
	v_cmp_ne_u32_e64 s[0:1], s33, v37
	v_mov_b32_e32 v35, 0x7c010000
	s_and_saveexec_b64 s[18:19], s[0:1]
	s_cbranch_execz .LBB247_163
; %bb.162:                              ;   in Loop: Header=BB247_153 Depth=1
	v_and_b32_e32 v35, 7, v1
	v_ffbh_u32_e32 v38, v35
	v_min_u32_e32 v41, 32, v38
	v_subrev_u32_e32 v38, 28, v41
	v_lshlrev_b64 v[38:39], v38, v[1:2]
	v_lshrrev_b32_e32 v40, 3, v37
	v_sub_u32_e32 v39, 29, v41
	v_cmp_gt_u32_e64 s[0:1], 8, v37
	v_cndmask_b32_e64 v37, v40, v39, s[0:1]
	v_lshlrev_b32_e32 v1, 8, v1
	v_lshl_add_u32 v37, v37, 10, v24
	v_and_b32_e32 v38, 7, v38
	v_and_or_b32 v1, v1, s34, v37
	v_cndmask_b32_e64 v35, v35, v38, s[0:1]
	v_lshlrev_b32_e32 v1, 16, v1
	v_lshl_or_b32 v35, v35, 23, v1
.LBB247_163:                            ;   in Loop: Header=BB247_153 Depth=1
	s_or_b64 exec, exec, s[18:19]
.LBB247_164:                            ;   in Loop: Header=BB247_153 Depth=1
	s_or_b64 exec, exec, s[16:17]
.LBB247_165:                            ;   in Loop: Header=BB247_153 Depth=1
	s_or_b64 exec, exec, s[2:3]
	v_lshrrev_b32_e32 v1, 16, v11
	v_cmp_ne_u16_sdwa s[0:1], v1, v2 src0_sel:BYTE_0 src1_sel:DWORD
	s_and_saveexec_b64 s[2:3], s[0:1]
	s_cbranch_execz .LBB247_171
; %bb.166:                              ;   in Loop: Header=BB247_153 Depth=1
	v_cmp_ne_u16_sdwa s[0:1], v1, s29 src0_sel:BYTE_0 src1_sel:DWORD
	v_mov_b32_e32 v36, 0x8000
	s_and_saveexec_b64 s[16:17], s[0:1]
	s_cbranch_execz .LBB247_170
; %bb.167:                              ;   in Loop: Header=BB247_153 Depth=1
	v_bfe_u32 v37, v11, 16, 7
	v_cmp_ne_u32_e64 s[0:1], s33, v37
	v_mov_b32_e32 v36, 0x7c01
	s_and_saveexec_b64 s[18:19], s[0:1]
	s_cbranch_execz .LBB247_169
; %bb.168:                              ;   in Loop: Header=BB247_153 Depth=1
	v_and_b32_e32 v36, 7, v1
	v_ffbh_u32_e32 v38, v36
	v_min_u32_e32 v41, 32, v38
	v_subrev_u32_e32 v38, 28, v41
	v_lshlrev_b64 v[38:39], v38, v[1:2]
	v_lshrrev_b32_e32 v40, 3, v37
	v_sub_u32_e32 v39, 29, v41
	v_cmp_gt_u32_e64 s[0:1], 8, v37
	v_cndmask_b32_e64 v37, v40, v39, s[0:1]
	v_lshl_add_u32 v37, v37, 10, v24
	v_lshlrev_b32_e32 v1, 8, v1
	v_and_b32_e32 v38, 7, v38
	v_and_b32_e32 v37, 0xfc00, v37
	v_cndmask_b32_e64 v36, v36, v38, s[0:1]
	v_and_or_b32 v1, v1, s34, v37
	v_lshl_or_b32 v36, v36, 7, v1
.LBB247_169:                            ;   in Loop: Header=BB247_153 Depth=1
	s_or_b64 exec, exec, s[18:19]
.LBB247_170:                            ;   in Loop: Header=BB247_153 Depth=1
	s_or_b64 exec, exec, s[16:17]
.LBB247_171:                            ;   in Loop: Header=BB247_153 Depth=1
	s_or_b64 exec, exec, s[2:3]
	v_cmp_lt_u32_e64 s[0:1], s7, v11
	v_mov_b32_e32 v37, 0
	v_mov_b32_e32 v38, 0
	s_and_saveexec_b64 s[2:3], s[0:1]
	s_cbranch_execz .LBB247_177
; %bb.172:                              ;   in Loop: Header=BB247_153 Depth=1
	v_lshrrev_b32_e32 v1, 24, v11
	v_cmp_ne_u32_e64 s[0:1], s29, v1
	v_bfrev_b32_e32 v38, 1
	s_and_saveexec_b64 s[16:17], s[0:1]
	s_cbranch_execz .LBB247_176
; %bb.173:                              ;   in Loop: Header=BB247_153 Depth=1
	v_and_b32_e32 v39, 0x7f, v1
	v_cmp_ne_u32_e64 s[0:1], s33, v39
	v_mov_b32_e32 v38, 0x7c010000
	s_and_saveexec_b64 s[18:19], s[0:1]
	s_cbranch_execz .LBB247_175
; %bb.174:                              ;   in Loop: Header=BB247_153 Depth=1
	v_and_b32_e32 v38, 7, v1
	v_ffbh_u32_e32 v40, v38
	v_min_u32_e32 v43, 32, v40
	v_subrev_u32_e32 v40, 28, v43
	v_lshlrev_b64 v[40:41], v40, v[1:2]
	v_lshrrev_b32_e32 v42, 3, v39
	v_sub_u32_e32 v41, 29, v43
	v_cmp_gt_u32_e64 s[0:1], 8, v39
	v_cndmask_b32_e64 v39, v42, v41, s[0:1]
	v_lshlrev_b32_e32 v1, 8, v1
	v_lshl_add_u32 v39, v39, 10, v24
	v_and_b32_e32 v40, 7, v40
	v_and_or_b32 v1, v1, s34, v39
	v_cndmask_b32_e64 v38, v38, v40, s[0:1]
	v_lshlrev_b32_e32 v1, 16, v1
	v_lshl_or_b32 v38, v38, 23, v1
.LBB247_175:                            ;   in Loop: Header=BB247_153 Depth=1
	s_or_b64 exec, exec, s[18:19]
.LBB247_176:                            ;   in Loop: Header=BB247_153 Depth=1
	s_or_b64 exec, exec, s[16:17]
.LBB247_177:                            ;   in Loop: Header=BB247_153 Depth=1
	s_or_b64 exec, exec, s[2:3]
	v_mov_b32_e32 v1, v12
	v_cmp_ne_u16_sdwa s[0:1], v12, v2 src0_sel:BYTE_0 src1_sel:DWORD
	s_and_saveexec_b64 s[2:3], s[0:1]
	s_cbranch_execz .LBB247_183
; %bb.178:                              ;   in Loop: Header=BB247_153 Depth=1
	v_cmp_ne_u16_sdwa s[0:1], v12, s29 src0_sel:BYTE_0 src1_sel:DWORD
	v_mov_b32_e32 v37, 0x8000
	s_and_saveexec_b64 s[16:17], s[0:1]
	s_cbranch_execz .LBB247_182
; %bb.179:                              ;   in Loop: Header=BB247_153 Depth=1
	v_and_b32_e32 v39, 0x7f, v12
	v_cmp_ne_u32_e64 s[0:1], s33, v39
	v_mov_b32_e32 v37, 0x7c01
	s_and_saveexec_b64 s[18:19], s[0:1]
	s_cbranch_execz .LBB247_181
; %bb.180:                              ;   in Loop: Header=BB247_153 Depth=1
	v_and_b32_e32 v37, 7, v12
	v_ffbh_u32_e32 v40, v37
	v_min_u32_e32 v43, 32, v40
	v_subrev_u32_e32 v40, 28, v43
	v_lshlrev_b64 v[40:41], v40, v[1:2]
	v_lshrrev_b32_e32 v42, 3, v39
	v_sub_u32_e32 v41, 29, v43
	v_cmp_gt_u32_e64 s[0:1], 8, v39
	v_cndmask_b32_e64 v39, v42, v41, s[0:1]
	v_lshl_add_u32 v39, v39, 10, v24
	v_lshlrev_b32_e32 v41, 8, v12
	v_and_b32_e32 v40, 7, v40
	v_and_b32_e32 v39, 0xfc00, v39
	v_cndmask_b32_e64 v37, v37, v40, s[0:1]
	v_and_or_b32 v39, v41, s34, v39
	v_lshl_or_b32 v37, v37, 7, v39
.LBB247_181:                            ;   in Loop: Header=BB247_153 Depth=1
	s_or_b64 exec, exec, s[18:19]
.LBB247_182:                            ;   in Loop: Header=BB247_153 Depth=1
	s_or_b64 exec, exec, s[16:17]
.LBB247_183:                            ;   in Loop: Header=BB247_153 Depth=1
	s_or_b64 exec, exec, s[2:3]
	v_lshrrev_b16_e32 v1, 8, v1
	v_cmp_ne_u16_e64 s[0:1], 0, v1
	v_mov_b32_e32 v39, 0
	v_mov_b32_e32 v40, 0
	s_and_saveexec_b64 s[2:3], s[0:1]
	s_cbranch_execz .LBB247_189
; %bb.184:                              ;   in Loop: Header=BB247_153 Depth=1
	v_cmp_ne_u16_e64 s[0:1], s29, v1
	v_bfrev_b32_e32 v40, 1
	s_and_saveexec_b64 s[16:17], s[0:1]
	s_cbranch_execz .LBB247_188
; %bb.185:                              ;   in Loop: Header=BB247_153 Depth=1
	v_and_b32_e32 v41, 0x7f, v1
	v_cmp_ne_u32_e64 s[0:1], s33, v41
	v_mov_b32_e32 v40, 0x7c010000
	s_and_saveexec_b64 s[18:19], s[0:1]
	s_cbranch_execz .LBB247_187
; %bb.186:                              ;   in Loop: Header=BB247_153 Depth=1
	v_and_b32_e32 v40, 7, v1
	v_ffbh_u32_e32 v42, v40
	v_min_u32_e32 v45, 32, v42
	v_subrev_u32_e32 v42, 28, v45
	v_lshlrev_b64 v[42:43], v42, v[1:2]
	v_lshrrev_b32_e32 v44, 3, v41
	v_sub_u32_e32 v43, 29, v45
	v_cmp_gt_u32_e64 s[0:1], 8, v41
	v_cndmask_b32_e64 v41, v44, v43, s[0:1]
	v_lshlrev_b32_e32 v1, 8, v1
	v_lshl_add_u32 v41, v41, 10, v24
	v_and_b32_e32 v42, 7, v42
	v_and_or_b32 v1, v1, s34, v41
	v_cndmask_b32_e64 v40, v40, v42, s[0:1]
	v_lshlrev_b32_e32 v1, 16, v1
	v_lshl_or_b32 v40, v40, 23, v1
.LBB247_187:                            ;   in Loop: Header=BB247_153 Depth=1
	s_or_b64 exec, exec, s[18:19]
.LBB247_188:                            ;   in Loop: Header=BB247_153 Depth=1
	s_or_b64 exec, exec, s[16:17]
.LBB247_189:                            ;   in Loop: Header=BB247_153 Depth=1
	s_or_b64 exec, exec, s[2:3]
	v_lshrrev_b32_e32 v1, 16, v12
	v_cmp_ne_u16_sdwa s[0:1], v1, v2 src0_sel:BYTE_0 src1_sel:DWORD
	s_and_saveexec_b64 s[2:3], s[0:1]
	s_cbranch_execz .LBB247_195
; %bb.190:                              ;   in Loop: Header=BB247_153 Depth=1
	v_cmp_ne_u16_sdwa s[0:1], v1, s29 src0_sel:BYTE_0 src1_sel:DWORD
	v_mov_b32_e32 v39, 0x8000
	s_and_saveexec_b64 s[16:17], s[0:1]
	s_cbranch_execz .LBB247_194
; %bb.191:                              ;   in Loop: Header=BB247_153 Depth=1
	v_bfe_u32 v41, v12, 16, 7
	v_cmp_ne_u32_e64 s[0:1], s33, v41
	v_mov_b32_e32 v39, 0x7c01
	s_and_saveexec_b64 s[18:19], s[0:1]
	s_cbranch_execz .LBB247_193
; %bb.192:                              ;   in Loop: Header=BB247_153 Depth=1
	v_and_b32_e32 v39, 7, v1
	v_ffbh_u32_e32 v42, v39
	v_min_u32_e32 v45, 32, v42
	v_subrev_u32_e32 v42, 28, v45
	v_lshlrev_b64 v[42:43], v42, v[1:2]
	v_lshrrev_b32_e32 v44, 3, v41
	v_sub_u32_e32 v43, 29, v45
	v_cmp_gt_u32_e64 s[0:1], 8, v41
	v_cndmask_b32_e64 v41, v44, v43, s[0:1]
	v_lshl_add_u32 v41, v41, 10, v24
	v_lshlrev_b32_e32 v1, 8, v1
	v_and_b32_e32 v42, 7, v42
	v_and_b32_e32 v41, 0xfc00, v41
	v_cndmask_b32_e64 v39, v39, v42, s[0:1]
	v_and_or_b32 v1, v1, s34, v41
	v_lshl_or_b32 v39, v39, 7, v1
.LBB247_193:                            ;   in Loop: Header=BB247_153 Depth=1
	s_or_b64 exec, exec, s[18:19]
.LBB247_194:                            ;   in Loop: Header=BB247_153 Depth=1
	s_or_b64 exec, exec, s[16:17]
.LBB247_195:                            ;   in Loop: Header=BB247_153 Depth=1
	s_or_b64 exec, exec, s[2:3]
	v_cmp_lt_u64_e64 s[0:1], s[6:7], v[11:12]
	v_mov_b32_e32 v41, 0
	s_and_saveexec_b64 s[2:3], s[0:1]
	s_cbranch_execz .LBB247_201
; %bb.196:                              ;   in Loop: Header=BB247_153 Depth=1
	v_lshrrev_b32_e32 v1, 24, v12
	v_cmp_ne_u32_e64 s[0:1], s29, v1
	v_bfrev_b32_e32 v41, 1
	s_and_saveexec_b64 s[16:17], s[0:1]
	s_cbranch_execz .LBB247_200
; %bb.197:                              ;   in Loop: Header=BB247_153 Depth=1
	v_and_b32_e32 v11, 0x7f, v1
	v_cmp_ne_u32_e64 s[0:1], s33, v11
	v_mov_b32_e32 v41, 0x7c010000
	s_and_saveexec_b64 s[18:19], s[0:1]
	s_cbranch_execz .LBB247_199
; %bb.198:                              ;   in Loop: Header=BB247_153 Depth=1
	v_and_b32_e32 v12, 7, v1
	v_ffbh_u32_e32 v41, v12
	v_min_u32_e32 v44, 32, v41
	v_subrev_u32_e32 v41, 28, v44
	v_lshlrev_b64 v[41:42], v41, v[1:2]
	v_lshrrev_b32_e32 v43, 3, v11
	v_sub_u32_e32 v42, 29, v44
	v_cmp_gt_u32_e64 s[0:1], 8, v11
	v_cndmask_b32_e64 v11, v43, v42, s[0:1]
	v_lshlrev_b32_e32 v1, 8, v1
	v_lshl_add_u32 v11, v11, 10, v24
	v_and_b32_e32 v41, 7, v41
	v_and_or_b32 v1, v1, s34, v11
	v_cndmask_b32_e64 v12, v12, v41, s[0:1]
	v_lshlrev_b32_e32 v1, 16, v1
	v_lshl_or_b32 v41, v12, 23, v1
.LBB247_199:                            ;   in Loop: Header=BB247_153 Depth=1
	s_or_b64 exec, exec, s[18:19]
.LBB247_200:                            ;   in Loop: Header=BB247_153 Depth=1
	s_or_b64 exec, exec, s[16:17]
.LBB247_201:                            ;   in Loop: Header=BB247_153 Depth=1
	s_or_b64 exec, exec, s[2:3]
	s_waitcnt vmcnt(0)
	v_fma_mixlo_f16 v12, v29, v38, 0 op_sel:[0,1,0] op_sel_hi:[0,1,0]
	v_or_b32_e32 v1, v38, v36
	v_lshlrev_b32_e32 v36, 16, v12
	v_or_b32_e32 v12, v35, v34
	v_fma_mixlo_f16 v34, v29, v35, 0 op_sel:[0,1,0] op_sel_hi:[0,1,0]
	v_lshlrev_b32_e32 v42, 16, v34
	v_or_b32_e32 v34, v40, v37
	v_or_b32_e32 v37, v41, v39
	v_fma_mixlo_f16 v1, v29, v1, 0 op_sel_hi:[0,1,0]
	v_fma_mixlo_f16 v12, v29, v12, 0 op_sel_hi:[0,1,0]
	v_fma_mixlo_f16 v35, v29, v40, 0 op_sel:[0,1,0] op_sel_hi:[0,1,0]
	v_fma_mixlo_f16 v34, v29, v34, 0 op_sel_hi:[0,1,0]
	v_fma_mixlo_f16 v37, v29, v37, 0 op_sel_hi:[0,1,0]
	v_fma_mixlo_f16 v29, v29, v41, 0 op_sel:[0,1,0] op_sel_hi:[0,1,0]
	v_and_b32_e32 v38, 0xffff, v1
	v_and_b32_e32 v43, 0xffff, v12
	v_lshlrev_b32_e32 v35, 16, v35
	v_and_b32_e32 v40, 0xffff, v34
	v_lshlrev_b32_e32 v29, 16, v29
	v_and_b32_e32 v37, 0xffff, v37
	v_add_u32_e32 v11, -7, v21
	v_cmp_eq_u32_e64 s[0:1], s28, v13
	v_or_b32_e32 v1, v36, v38
	v_or_b32_e32 v12, v42, v43
	;; [unrolled: 1-line block ×4, first 2 shown]
	s_and_saveexec_b64 s[16:17], s[0:1]
	s_cbranch_execz .LBB247_203
; %bb.202:                              ;   in Loop: Header=BB247_153 Depth=1
	v_cmp_gt_i32_e64 s[2:3], s30, v11
	v_add_u32_e32 v12, -6, v21
	v_cndmask_b32_e64 v1, 0, v43, s[2:3]
	v_cmp_gt_i32_e64 s[2:3], s30, v12
	v_cndmask_b32_e64 v12, 0, v42, s[2:3]
	v_or_b32_e32 v12, v12, v1
	v_add_u32_e32 v1, -5, v21
	v_cmp_gt_i32_e64 s[2:3], s30, v1
	v_add_u32_e32 v34, -4, v21
	v_cndmask_b32_e64 v1, 0, v38, s[2:3]
	v_cmp_gt_i32_e64 s[2:3], s30, v34
	v_cndmask_b32_e64 v34, 0, v36, s[2:3]
	v_or_b32_e32 v1, v34, v1
	v_add_u32_e32 v34, -3, v21
	;; [unrolled: 7-line block ×3, first 2 shown]
	v_cmp_gt_i32_e64 s[2:3], s30, v35
	v_cndmask_b32_e64 v35, 0, v37, s[2:3]
	v_cmp_gt_i32_e64 s[2:3], s30, v21
	v_cndmask_b32_e64 v29, 0, v29, s[2:3]
	v_or_b32_e32 v39, v29, v35
.LBB247_203:                            ;   in Loop: Header=BB247_153 Depth=1
	s_or_b64 exec, exec, s[16:17]
	v_and_b32_e32 v25, 0xffff, v25
	v_lshl_or_b32 v29, v26, 16, v25
	v_and_b32_e32 v25, 0xffff, v27
	v_lshl_or_b32 v28, v28, 16, v25
	;; [unrolled: 2-line block ×3, first 2 shown]
	v_and_b32_e32 v25, 0xffff, v32
	;;#ASMSTART
	v_pk_mul_f16 v12, v29, v12;

	;;#ASMEND
	;;#ASMSTART
	v_pk_mul_f16 v1, v28, v1;

	;;#ASMEND
	v_lshl_or_b32 v26, v33, 16, v25
	;;#ASMSTART
	v_pk_mul_f16 v25, v27, v34;

	;;#ASMEND
	;;#ASMSTART
	v_pk_mul_f16 v30, v26, v39;

	;;#ASMEND
	;;#ASMSTART
	v_pk_add_f16 v1, v12, v1;

	;;#ASMEND
	;;#ASMSTART
	v_pk_add_f16 v1, v1, v25;
	;; [unrolled: 4-line block ×3, first 2 shown]

	;;#ASMEND
	v_lshrrev_b32_e32 v25, 16, v1
	v_and_b32_e32 v1, 0xffff, v1
	;;#ASMSTART
	v_cvt_f32_f16 v12, v1;
	;;#ASMEND
	;;#ASMSTART
	v_cvt_f32_f16 v25, v25;
	;;#ASMEND
	global_load_dwordx2 v[9:10], v[9:10], off offset:512
	v_mov_b32_e32 v31, 0
	global_load_dword v30, v31, s[14:15]
	v_mov_b32_e32 v32, 0
	s_waitcnt vmcnt(1)
	v_cmp_ne_u16_sdwa s[2:3], v9, v2 src0_sel:BYTE_0 src1_sel:DWORD
	s_and_saveexec_b64 s[16:17], s[2:3]
	s_cbranch_execz .LBB247_209
; %bb.204:                              ;   in Loop: Header=BB247_153 Depth=1
	v_cmp_ne_u16_sdwa s[2:3], v9, s29 src0_sel:BYTE_0 src1_sel:DWORD
	v_mov_b32_e32 v32, 0x8000
	s_and_saveexec_b64 s[18:19], s[2:3]
	s_cbranch_execz .LBB247_208
; %bb.205:                              ;   in Loop: Header=BB247_153 Depth=1
	v_and_b32_e32 v1, 0x7f, v9
	v_cmp_ne_u32_e64 s[2:3], s33, v1
	v_mov_b32_e32 v32, 0x7c01
	s_and_saveexec_b64 s[24:25], s[2:3]
	s_cbranch_execz .LBB247_207
; %bb.206:                              ;   in Loop: Header=BB247_153 Depth=1
	v_and_b32_e32 v34, 7, v9
	v_ffbh_u32_e32 v32, v34
	v_min_u32_e32 v36, 32, v32
	v_subrev_u32_e32 v32, 28, v36
	v_lshlrev_b64 v[32:33], v32, v[9:10]
	v_lshrrev_b32_e32 v35, 3, v1
	v_sub_u32_e32 v33, 29, v36
	v_cmp_gt_u32_e64 s[2:3], 8, v1
	v_cndmask_b32_e64 v1, v35, v33, s[2:3]
	v_lshl_add_u32 v1, v1, 10, v24
	v_lshlrev_b32_e32 v33, 8, v9
	v_and_b32_e32 v32, 7, v32
	v_and_b32_e32 v1, 0xfc00, v1
	v_cndmask_b32_e64 v32, v34, v32, s[2:3]
	v_and_or_b32 v1, v33, s34, v1
	v_lshl_or_b32 v32, v32, 7, v1
.LBB247_207:                            ;   in Loop: Header=BB247_153 Depth=1
	s_or_b64 exec, exec, s[24:25]
.LBB247_208:                            ;   in Loop: Header=BB247_153 Depth=1
	s_or_b64 exec, exec, s[18:19]
.LBB247_209:                            ;   in Loop: Header=BB247_153 Depth=1
	s_or_b64 exec, exec, s[16:17]
	v_lshrrev_b16_e32 v1, 8, v9
	v_cmp_ne_u16_e64 s[2:3], 0, v1
	s_and_saveexec_b64 s[16:17], s[2:3]
	s_cbranch_execz .LBB247_215
; %bb.210:                              ;   in Loop: Header=BB247_153 Depth=1
	v_cmp_ne_u16_e64 s[2:3], s29, v1
	v_bfrev_b32_e32 v31, 1
	s_and_saveexec_b64 s[18:19], s[2:3]
	s_cbranch_execz .LBB247_214
; %bb.211:                              ;   in Loop: Header=BB247_153 Depth=1
	v_and_b32_e32 v33, 0x7f, v1
	v_cmp_ne_u32_e64 s[2:3], s33, v33
	v_mov_b32_e32 v31, 0x7c010000
	s_and_saveexec_b64 s[24:25], s[2:3]
	s_cbranch_execz .LBB247_213
; %bb.212:                              ;   in Loop: Header=BB247_153 Depth=1
	v_and_b32_e32 v31, 7, v1
	v_ffbh_u32_e32 v34, v31
	v_min_u32_e32 v37, 32, v34
	v_subrev_u32_e32 v34, 28, v37
	v_lshlrev_b64 v[34:35], v34, v[1:2]
	v_lshrrev_b32_e32 v36, 3, v33
	v_sub_u32_e32 v35, 29, v37
	v_cmp_gt_u32_e64 s[2:3], 8, v33
	v_cndmask_b32_e64 v33, v36, v35, s[2:3]
	v_lshlrev_b32_e32 v1, 8, v1
	v_lshl_add_u32 v33, v33, 10, v24
	v_and_b32_e32 v34, 7, v34
	v_and_or_b32 v1, v1, s34, v33
	v_cndmask_b32_e64 v31, v31, v34, s[2:3]
	v_lshlrev_b32_e32 v1, 16, v1
	v_lshl_or_b32 v31, v31, 23, v1
.LBB247_213:                            ;   in Loop: Header=BB247_153 Depth=1
	s_or_b64 exec, exec, s[24:25]
.LBB247_214:                            ;   in Loop: Header=BB247_153 Depth=1
	s_or_b64 exec, exec, s[18:19]
.LBB247_215:                            ;   in Loop: Header=BB247_153 Depth=1
	s_or_b64 exec, exec, s[16:17]
	v_lshrrev_b32_e32 v1, 16, v9
	v_cmp_ne_u16_sdwa s[2:3], v1, v2 src0_sel:BYTE_0 src1_sel:DWORD
	v_mov_b32_e32 v33, 0
	v_mov_b32_e32 v34, 0
	s_and_saveexec_b64 s[16:17], s[2:3]
	s_cbranch_execz .LBB247_221
; %bb.216:                              ;   in Loop: Header=BB247_153 Depth=1
	v_cmp_ne_u16_sdwa s[2:3], v1, s29 src0_sel:BYTE_0 src1_sel:DWORD
	v_mov_b32_e32 v34, 0x8000
	s_and_saveexec_b64 s[18:19], s[2:3]
	s_cbranch_execz .LBB247_220
; %bb.217:                              ;   in Loop: Header=BB247_153 Depth=1
	v_bfe_u32 v35, v9, 16, 7
	v_cmp_ne_u32_e64 s[2:3], s33, v35
	v_mov_b32_e32 v34, 0x7c01
	s_and_saveexec_b64 s[24:25], s[2:3]
	s_cbranch_execz .LBB247_219
; %bb.218:                              ;   in Loop: Header=BB247_153 Depth=1
	v_and_b32_e32 v34, 7, v1
	v_ffbh_u32_e32 v36, v34
	v_min_u32_e32 v39, 32, v36
	v_subrev_u32_e32 v36, 28, v39
	v_lshlrev_b64 v[36:37], v36, v[1:2]
	v_lshrrev_b32_e32 v38, 3, v35
	v_sub_u32_e32 v37, 29, v39
	v_cmp_gt_u32_e64 s[2:3], 8, v35
	v_cndmask_b32_e64 v35, v38, v37, s[2:3]
	v_lshl_add_u32 v35, v35, 10, v24
	v_lshlrev_b32_e32 v1, 8, v1
	v_and_b32_e32 v36, 7, v36
	v_and_b32_e32 v35, 0xfc00, v35
	v_cndmask_b32_e64 v34, v34, v36, s[2:3]
	v_and_or_b32 v1, v1, s34, v35
	v_lshl_or_b32 v34, v34, 7, v1
.LBB247_219:                            ;   in Loop: Header=BB247_153 Depth=1
	s_or_b64 exec, exec, s[24:25]
.LBB247_220:                            ;   in Loop: Header=BB247_153 Depth=1
	s_or_b64 exec, exec, s[18:19]
.LBB247_221:                            ;   in Loop: Header=BB247_153 Depth=1
	s_or_b64 exec, exec, s[16:17]
	v_cmp_lt_u32_e64 s[2:3], s7, v9
	s_and_saveexec_b64 s[16:17], s[2:3]
	s_cbranch_execz .LBB247_227
; %bb.222:                              ;   in Loop: Header=BB247_153 Depth=1
	v_lshrrev_b32_e32 v1, 24, v9
	v_cmp_ne_u32_e64 s[2:3], s29, v1
	v_bfrev_b32_e32 v33, 1
	s_and_saveexec_b64 s[18:19], s[2:3]
	s_cbranch_execz .LBB247_226
; %bb.223:                              ;   in Loop: Header=BB247_153 Depth=1
	v_and_b32_e32 v35, 0x7f, v1
	v_cmp_ne_u32_e64 s[2:3], s33, v35
	v_mov_b32_e32 v33, 0x7c010000
	s_and_saveexec_b64 s[24:25], s[2:3]
	s_cbranch_execz .LBB247_225
; %bb.224:                              ;   in Loop: Header=BB247_153 Depth=1
	v_and_b32_e32 v33, 7, v1
	v_ffbh_u32_e32 v36, v33
	v_min_u32_e32 v39, 32, v36
	v_subrev_u32_e32 v36, 28, v39
	v_lshlrev_b64 v[36:37], v36, v[1:2]
	v_lshrrev_b32_e32 v38, 3, v35
	v_sub_u32_e32 v37, 29, v39
	v_cmp_gt_u32_e64 s[2:3], 8, v35
	v_cndmask_b32_e64 v35, v38, v37, s[2:3]
	v_lshlrev_b32_e32 v1, 8, v1
	v_lshl_add_u32 v35, v35, 10, v24
	v_and_b32_e32 v36, 7, v36
	v_and_or_b32 v1, v1, s34, v35
	v_cndmask_b32_e64 v33, v33, v36, s[2:3]
	v_lshlrev_b32_e32 v1, 16, v1
	v_lshl_or_b32 v33, v33, 23, v1
.LBB247_225:                            ;   in Loop: Header=BB247_153 Depth=1
	s_or_b64 exec, exec, s[24:25]
.LBB247_226:                            ;   in Loop: Header=BB247_153 Depth=1
	s_or_b64 exec, exec, s[18:19]
.LBB247_227:                            ;   in Loop: Header=BB247_153 Depth=1
	s_or_b64 exec, exec, s[16:17]
	v_mov_b32_e32 v1, v10
	v_cmp_ne_u16_sdwa s[2:3], v10, v2 src0_sel:BYTE_0 src1_sel:DWORD
	v_mov_b32_e32 v35, 0
	v_mov_b32_e32 v36, 0
	s_and_saveexec_b64 s[16:17], s[2:3]
	s_cbranch_execz .LBB247_233
; %bb.228:                              ;   in Loop: Header=BB247_153 Depth=1
	v_cmp_ne_u16_sdwa s[2:3], v10, s29 src0_sel:BYTE_0 src1_sel:DWORD
	v_mov_b32_e32 v36, 0x8000
	s_and_saveexec_b64 s[18:19], s[2:3]
	s_cbranch_execz .LBB247_232
; %bb.229:                              ;   in Loop: Header=BB247_153 Depth=1
	v_and_b32_e32 v37, 0x7f, v10
	v_cmp_ne_u32_e64 s[2:3], s33, v37
	v_mov_b32_e32 v36, 0x7c01
	s_and_saveexec_b64 s[24:25], s[2:3]
	s_cbranch_execz .LBB247_231
; %bb.230:                              ;   in Loop: Header=BB247_153 Depth=1
	v_and_b32_e32 v36, 7, v10
	v_ffbh_u32_e32 v38, v36
	v_min_u32_e32 v41, 32, v38
	v_subrev_u32_e32 v38, 28, v41
	v_lshlrev_b64 v[38:39], v38, v[1:2]
	v_lshrrev_b32_e32 v40, 3, v37
	v_sub_u32_e32 v39, 29, v41
	v_cmp_gt_u32_e64 s[2:3], 8, v37
	v_cndmask_b32_e64 v37, v40, v39, s[2:3]
	v_lshl_add_u32 v37, v37, 10, v24
	v_lshlrev_b32_e32 v39, 8, v10
	v_and_b32_e32 v38, 7, v38
	v_and_b32_e32 v37, 0xfc00, v37
	v_cndmask_b32_e64 v36, v36, v38, s[2:3]
	v_and_or_b32 v37, v39, s34, v37
	v_lshl_or_b32 v36, v36, 7, v37
.LBB247_231:                            ;   in Loop: Header=BB247_153 Depth=1
	s_or_b64 exec, exec, s[24:25]
.LBB247_232:                            ;   in Loop: Header=BB247_153 Depth=1
	s_or_b64 exec, exec, s[18:19]
.LBB247_233:                            ;   in Loop: Header=BB247_153 Depth=1
	s_or_b64 exec, exec, s[16:17]
	v_lshrrev_b16_e32 v1, 8, v1
	v_cmp_ne_u16_e64 s[2:3], 0, v1
	v_mov_b32_e32 v37, 0
	s_and_saveexec_b64 s[16:17], s[2:3]
	s_cbranch_execz .LBB247_239
; %bb.234:                              ;   in Loop: Header=BB247_153 Depth=1
	v_cmp_ne_u16_e64 s[2:3], s29, v1
	v_bfrev_b32_e32 v37, 1
	s_and_saveexec_b64 s[18:19], s[2:3]
	s_cbranch_execz .LBB247_238
; %bb.235:                              ;   in Loop: Header=BB247_153 Depth=1
	v_and_b32_e32 v38, 0x7f, v1
	v_cmp_ne_u32_e64 s[2:3], s33, v38
	v_mov_b32_e32 v37, 0x7c010000
	s_and_saveexec_b64 s[24:25], s[2:3]
	s_cbranch_execz .LBB247_237
; %bb.236:                              ;   in Loop: Header=BB247_153 Depth=1
	v_and_b32_e32 v37, 7, v1
	v_ffbh_u32_e32 v39, v37
	v_min_u32_e32 v42, 32, v39
	v_subrev_u32_e32 v39, 28, v42
	v_lshlrev_b64 v[39:40], v39, v[1:2]
	v_lshrrev_b32_e32 v41, 3, v38
	v_sub_u32_e32 v40, 29, v42
	v_cmp_gt_u32_e64 s[2:3], 8, v38
	v_cndmask_b32_e64 v38, v41, v40, s[2:3]
	v_lshlrev_b32_e32 v1, 8, v1
	v_lshl_add_u32 v38, v38, 10, v24
	v_and_b32_e32 v39, 7, v39
	v_and_or_b32 v1, v1, s34, v38
	v_cndmask_b32_e64 v37, v37, v39, s[2:3]
	v_lshlrev_b32_e32 v1, 16, v1
	v_lshl_or_b32 v37, v37, 23, v1
.LBB247_237:                            ;   in Loop: Header=BB247_153 Depth=1
	s_or_b64 exec, exec, s[24:25]
.LBB247_238:                            ;   in Loop: Header=BB247_153 Depth=1
	s_or_b64 exec, exec, s[18:19]
.LBB247_239:                            ;   in Loop: Header=BB247_153 Depth=1
	s_or_b64 exec, exec, s[16:17]
	v_lshrrev_b32_e32 v1, 16, v10
	v_cmp_ne_u16_sdwa s[2:3], v1, v2 src0_sel:BYTE_0 src1_sel:DWORD
	s_and_saveexec_b64 s[16:17], s[2:3]
	s_cbranch_execz .LBB247_245
; %bb.240:                              ;   in Loop: Header=BB247_153 Depth=1
	v_cmp_ne_u16_sdwa s[2:3], v1, s29 src0_sel:BYTE_0 src1_sel:DWORD
	v_mov_b32_e32 v35, 0x8000
	s_and_saveexec_b64 s[18:19], s[2:3]
	s_cbranch_execz .LBB247_244
; %bb.241:                              ;   in Loop: Header=BB247_153 Depth=1
	v_bfe_u32 v38, v10, 16, 7
	v_cmp_ne_u32_e64 s[2:3], s33, v38
	v_mov_b32_e32 v35, 0x7c01
	s_and_saveexec_b64 s[24:25], s[2:3]
	s_cbranch_execz .LBB247_243
; %bb.242:                              ;   in Loop: Header=BB247_153 Depth=1
	v_and_b32_e32 v35, 7, v1
	v_ffbh_u32_e32 v39, v35
	v_min_u32_e32 v42, 32, v39
	v_subrev_u32_e32 v39, 28, v42
	v_lshlrev_b64 v[39:40], v39, v[1:2]
	v_lshrrev_b32_e32 v41, 3, v38
	v_sub_u32_e32 v40, 29, v42
	v_cmp_gt_u32_e64 s[2:3], 8, v38
	v_cndmask_b32_e64 v38, v41, v40, s[2:3]
	v_lshl_add_u32 v38, v38, 10, v24
	v_lshlrev_b32_e32 v1, 8, v1
	v_and_b32_e32 v39, 7, v39
	v_and_b32_e32 v38, 0xfc00, v38
	v_cndmask_b32_e64 v35, v35, v39, s[2:3]
	v_and_or_b32 v1, v1, s34, v38
	v_lshl_or_b32 v35, v35, 7, v1
.LBB247_243:                            ;   in Loop: Header=BB247_153 Depth=1
	s_or_b64 exec, exec, s[24:25]
.LBB247_244:                            ;   in Loop: Header=BB247_153 Depth=1
	s_or_b64 exec, exec, s[18:19]
.LBB247_245:                            ;   in Loop: Header=BB247_153 Depth=1
	s_or_b64 exec, exec, s[16:17]
	v_cmp_lt_u64_e64 s[2:3], s[6:7], v[9:10]
	v_mov_b32_e32 v38, 0
	s_and_saveexec_b64 s[16:17], s[2:3]
	s_cbranch_execz .LBB247_251
; %bb.246:                              ;   in Loop: Header=BB247_153 Depth=1
	v_lshrrev_b32_e32 v1, 24, v10
	v_cmp_ne_u32_e64 s[2:3], s29, v1
	v_bfrev_b32_e32 v38, 1
	s_and_saveexec_b64 s[18:19], s[2:3]
	s_cbranch_execz .LBB247_250
; %bb.247:                              ;   in Loop: Header=BB247_153 Depth=1
	v_and_b32_e32 v9, 0x7f, v1
	v_cmp_ne_u32_e64 s[2:3], s33, v9
	v_mov_b32_e32 v38, 0x7c010000
	s_and_saveexec_b64 s[24:25], s[2:3]
	s_cbranch_execz .LBB247_249
; %bb.248:                              ;   in Loop: Header=BB247_153 Depth=1
	v_and_b32_e32 v10, 7, v1
	v_ffbh_u32_e32 v38, v10
	v_min_u32_e32 v41, 32, v38
	v_subrev_u32_e32 v38, 28, v41
	v_lshlrev_b64 v[38:39], v38, v[1:2]
	v_lshrrev_b32_e32 v40, 3, v9
	v_sub_u32_e32 v39, 29, v41
	v_cmp_gt_u32_e64 s[2:3], 8, v9
	v_cndmask_b32_e64 v9, v40, v39, s[2:3]
	v_lshlrev_b32_e32 v1, 8, v1
	v_lshl_add_u32 v9, v9, 10, v24
	v_and_b32_e32 v38, 7, v38
	v_and_or_b32 v1, v1, s34, v9
	v_cndmask_b32_e64 v10, v10, v38, s[2:3]
	v_lshlrev_b32_e32 v1, 16, v1
	v_lshl_or_b32 v38, v10, 23, v1
.LBB247_249:                            ;   in Loop: Header=BB247_153 Depth=1
	s_or_b64 exec, exec, s[24:25]
.LBB247_250:                            ;   in Loop: Header=BB247_153 Depth=1
	s_or_b64 exec, exec, s[18:19]
.LBB247_251:                            ;   in Loop: Header=BB247_153 Depth=1
	s_or_b64 exec, exec, s[16:17]
	s_waitcnt vmcnt(0)
	v_fma_mixlo_f16 v9, v30, v33, 0 op_sel:[0,1,0] op_sel_hi:[0,1,0]
	v_or_b32_e32 v1, v33, v34
	v_lshlrev_b32_e32 v10, 16, v9
	v_or_b32_e32 v9, v31, v32
	v_fma_mixlo_f16 v31, v30, v31, 0 op_sel:[0,1,0] op_sel_hi:[0,1,0]
	v_or_b32_e32 v32, v37, v36
	v_or_b32_e32 v34, v38, v35
	v_fma_mixlo_f16 v1, v30, v1, 0 op_sel_hi:[0,1,0]
	v_lshlrev_b32_e32 v39, 16, v31
	v_fma_mixlo_f16 v9, v30, v9, 0 op_sel_hi:[0,1,0]
	v_fma_mixlo_f16 v31, v30, v37, 0 op_sel:[0,1,0] op_sel_hi:[0,1,0]
	v_fma_mixlo_f16 v32, v30, v32, 0 op_sel_hi:[0,1,0]
	v_fma_mixlo_f16 v34, v30, v34, 0 op_sel_hi:[0,1,0]
	v_fma_mixlo_f16 v30, v30, v38, 0 op_sel:[0,1,0] op_sel_hi:[0,1,0]
	v_and_b32_e32 v33, 0xffff, v1
	v_and_b32_e32 v40, 0xffff, v9
	v_lshlrev_b32_e32 v31, 16, v31
	v_and_b32_e32 v36, 0xffff, v32
	v_lshlrev_b32_e32 v30, 16, v30
	v_and_b32_e32 v34, 0xffff, v34
	v_or_b32_e32 v1, v10, v33
	v_or_b32_e32 v9, v39, v40
	;; [unrolled: 1-line block ×4, first 2 shown]
	s_and_saveexec_b64 s[16:17], s[0:1]
	s_cbranch_execz .LBB247_253
; %bb.252:                              ;   in Loop: Header=BB247_153 Depth=1
	v_cmp_gt_i32_e64 s[2:3], s30, v11
	v_add_u32_e32 v9, -6, v21
	v_cndmask_b32_e64 v1, 0, v40, s[2:3]
	v_cmp_gt_i32_e64 s[2:3], s30, v9
	v_cndmask_b32_e64 v9, 0, v39, s[2:3]
	v_or_b32_e32 v9, v9, v1
	v_add_u32_e32 v1, -5, v21
	v_cmp_gt_i32_e64 s[2:3], s30, v1
	v_add_u32_e32 v32, -4, v21
	v_cndmask_b32_e64 v1, 0, v33, s[2:3]
	v_cmp_gt_i32_e64 s[2:3], s30, v32
	v_cndmask_b32_e64 v10, 0, v10, s[2:3]
	v_or_b32_e32 v1, v10, v1
	v_add_u32_e32 v10, -3, v21
	;; [unrolled: 7-line block ×3, first 2 shown]
	v_cmp_gt_i32_e64 s[2:3], s30, v10
	v_cndmask_b32_e64 v10, 0, v34, s[2:3]
	v_cmp_gt_i32_e64 s[2:3], s30, v21
	v_cndmask_b32_e64 v30, 0, v30, s[2:3]
	v_or_b32_e32 v35, v30, v10
.LBB247_253:                            ;   in Loop: Header=BB247_153 Depth=1
	s_or_b64 exec, exec, s[16:17]
	;;#ASMSTART
	v_pk_mul_f16 v9, v29, v9;

	;;#ASMEND
	;;#ASMSTART
	v_pk_mul_f16 v1, v28, v1;

	;;#ASMEND
	;; [unrolled: 4-line block ×4, first 2 shown]
	;;#ASMSTART
	v_pk_add_f16 v1, v9, v1;

	;;#ASMEND
	;;#ASMSTART
	v_pk_add_f16 v1, v1, v10;

	;;#ASMEND
	;; [unrolled: 4-line block ×3, first 2 shown]
	v_lshrrev_b32_e32 v10, 16, v1
	v_and_b32_e32 v1, 0xffff, v1
	;;#ASMSTART
	v_cvt_f32_f16 v9, v1;
	;;#ASMEND
	;;#ASMSTART
	v_cvt_f32_f16 v10, v10;
	;;#ASMEND
	s_and_saveexec_b64 s[16:17], vcc
	s_cbranch_execz .LBB247_152
; %bb.254:                              ;   in Loop: Header=BB247_153 Depth=1
	v_add_co_u32_e64 v7, s[2:3], v7, v18
	v_addc_co_u32_e64 v8, s[2:3], 0, v8, s[2:3]
	global_load_dwordx2 v[7:8], v[7:8], off
	v_mov_b32_e32 v31, 0
	global_load_dword v30, v31, s[14:15]
	v_mov_b32_e32 v32, 0
	s_waitcnt vmcnt(1)
	v_cmp_ne_u16_sdwa s[2:3], v7, v2 src0_sel:BYTE_0 src1_sel:DWORD
	s_and_saveexec_b64 s[18:19], s[2:3]
	s_cbranch_execz .LBB247_260
; %bb.255:                              ;   in Loop: Header=BB247_153 Depth=1
	v_cmp_ne_u16_sdwa s[2:3], v7, s29 src0_sel:BYTE_0 src1_sel:DWORD
	v_mov_b32_e32 v32, 0x8000
	s_and_saveexec_b64 s[24:25], s[2:3]
	s_cbranch_execz .LBB247_259
; %bb.256:                              ;   in Loop: Header=BB247_153 Depth=1
	v_and_b32_e32 v1, 0x7f, v7
	v_cmp_ne_u32_e64 s[2:3], s33, v1
	v_mov_b32_e32 v32, 0x7c01
	s_and_saveexec_b64 s[26:27], s[2:3]
	s_cbranch_execz .LBB247_258
; %bb.257:                              ;   in Loop: Header=BB247_153 Depth=1
	v_and_b32_e32 v34, 7, v7
	v_ffbh_u32_e32 v32, v34
	v_min_u32_e32 v36, 32, v32
	v_subrev_u32_e32 v32, 28, v36
	v_lshlrev_b64 v[32:33], v32, v[7:8]
	v_lshrrev_b32_e32 v35, 3, v1
	v_sub_u32_e32 v33, 29, v36
	v_cmp_gt_u32_e64 s[2:3], 8, v1
	v_cndmask_b32_e64 v1, v35, v33, s[2:3]
	v_lshl_add_u32 v1, v1, 10, v24
	v_lshlrev_b32_e32 v33, 8, v7
	v_and_b32_e32 v32, 7, v32
	v_and_b32_e32 v1, 0xfc00, v1
	v_cndmask_b32_e64 v32, v34, v32, s[2:3]
	v_and_or_b32 v1, v33, s34, v1
	v_lshl_or_b32 v32, v32, 7, v1
.LBB247_258:                            ;   in Loop: Header=BB247_153 Depth=1
	s_or_b64 exec, exec, s[26:27]
.LBB247_259:                            ;   in Loop: Header=BB247_153 Depth=1
	s_or_b64 exec, exec, s[24:25]
.LBB247_260:                            ;   in Loop: Header=BB247_153 Depth=1
	s_or_b64 exec, exec, s[18:19]
	v_lshrrev_b16_e32 v1, 8, v7
	v_cmp_ne_u16_e64 s[2:3], 0, v1
	s_and_saveexec_b64 s[18:19], s[2:3]
	s_cbranch_execz .LBB247_266
; %bb.261:                              ;   in Loop: Header=BB247_153 Depth=1
	v_cmp_ne_u16_e64 s[2:3], s29, v1
	v_bfrev_b32_e32 v31, 1
	s_and_saveexec_b64 s[24:25], s[2:3]
	s_cbranch_execz .LBB247_265
; %bb.262:                              ;   in Loop: Header=BB247_153 Depth=1
	v_and_b32_e32 v33, 0x7f, v1
	v_cmp_ne_u32_e64 s[2:3], s33, v33
	v_mov_b32_e32 v31, 0x7c010000
	s_and_saveexec_b64 s[26:27], s[2:3]
	s_cbranch_execz .LBB247_264
; %bb.263:                              ;   in Loop: Header=BB247_153 Depth=1
	v_and_b32_e32 v31, 7, v1
	v_ffbh_u32_e32 v34, v31
	v_min_u32_e32 v37, 32, v34
	v_subrev_u32_e32 v34, 28, v37
	v_lshlrev_b64 v[34:35], v34, v[1:2]
	v_lshrrev_b32_e32 v36, 3, v33
	v_sub_u32_e32 v35, 29, v37
	v_cmp_gt_u32_e64 s[2:3], 8, v33
	v_cndmask_b32_e64 v33, v36, v35, s[2:3]
	v_lshlrev_b32_e32 v1, 8, v1
	v_lshl_add_u32 v33, v33, 10, v24
	v_and_b32_e32 v34, 7, v34
	v_and_or_b32 v1, v1, s34, v33
	v_cndmask_b32_e64 v31, v31, v34, s[2:3]
	v_lshlrev_b32_e32 v1, 16, v1
	v_lshl_or_b32 v31, v31, 23, v1
.LBB247_264:                            ;   in Loop: Header=BB247_153 Depth=1
	s_or_b64 exec, exec, s[26:27]
.LBB247_265:                            ;   in Loop: Header=BB247_153 Depth=1
	s_or_b64 exec, exec, s[24:25]
.LBB247_266:                            ;   in Loop: Header=BB247_153 Depth=1
	s_or_b64 exec, exec, s[18:19]
	v_lshrrev_b32_e32 v1, 16, v7
	v_cmp_ne_u16_sdwa s[2:3], v1, v2 src0_sel:BYTE_0 src1_sel:DWORD
	v_mov_b32_e32 v33, 0
	v_mov_b32_e32 v34, 0
	s_and_saveexec_b64 s[18:19], s[2:3]
	s_cbranch_execz .LBB247_272
; %bb.267:                              ;   in Loop: Header=BB247_153 Depth=1
	v_cmp_ne_u16_sdwa s[2:3], v1, s29 src0_sel:BYTE_0 src1_sel:DWORD
	v_mov_b32_e32 v34, 0x8000
	s_and_saveexec_b64 s[24:25], s[2:3]
	s_cbranch_execz .LBB247_271
; %bb.268:                              ;   in Loop: Header=BB247_153 Depth=1
	v_bfe_u32 v35, v7, 16, 7
	v_cmp_ne_u32_e64 s[2:3], s33, v35
	v_mov_b32_e32 v34, 0x7c01
	s_and_saveexec_b64 s[26:27], s[2:3]
	s_cbranch_execz .LBB247_270
; %bb.269:                              ;   in Loop: Header=BB247_153 Depth=1
	v_and_b32_e32 v34, 7, v1
	v_ffbh_u32_e32 v36, v34
	v_min_u32_e32 v39, 32, v36
	v_subrev_u32_e32 v36, 28, v39
	v_lshlrev_b64 v[36:37], v36, v[1:2]
	v_lshrrev_b32_e32 v38, 3, v35
	v_sub_u32_e32 v37, 29, v39
	v_cmp_gt_u32_e64 s[2:3], 8, v35
	v_cndmask_b32_e64 v35, v38, v37, s[2:3]
	v_lshl_add_u32 v35, v35, 10, v24
	v_lshlrev_b32_e32 v1, 8, v1
	v_and_b32_e32 v36, 7, v36
	v_and_b32_e32 v35, 0xfc00, v35
	v_cndmask_b32_e64 v34, v34, v36, s[2:3]
	v_and_or_b32 v1, v1, s34, v35
	v_lshl_or_b32 v34, v34, 7, v1
.LBB247_270:                            ;   in Loop: Header=BB247_153 Depth=1
	s_or_b64 exec, exec, s[26:27]
.LBB247_271:                            ;   in Loop: Header=BB247_153 Depth=1
	s_or_b64 exec, exec, s[24:25]
.LBB247_272:                            ;   in Loop: Header=BB247_153 Depth=1
	s_or_b64 exec, exec, s[18:19]
	v_cmp_lt_u32_e64 s[2:3], s7, v7
	s_and_saveexec_b64 s[18:19], s[2:3]
	s_cbranch_execz .LBB247_278
; %bb.273:                              ;   in Loop: Header=BB247_153 Depth=1
	v_lshrrev_b32_e32 v1, 24, v7
	v_cmp_ne_u32_e64 s[2:3], s29, v1
	v_bfrev_b32_e32 v33, 1
	s_and_saveexec_b64 s[24:25], s[2:3]
	s_cbranch_execz .LBB247_277
; %bb.274:                              ;   in Loop: Header=BB247_153 Depth=1
	v_and_b32_e32 v35, 0x7f, v1
	v_cmp_ne_u32_e64 s[2:3], s33, v35
	v_mov_b32_e32 v33, 0x7c010000
	s_and_saveexec_b64 s[26:27], s[2:3]
	s_cbranch_execz .LBB247_276
; %bb.275:                              ;   in Loop: Header=BB247_153 Depth=1
	v_and_b32_e32 v33, 7, v1
	v_ffbh_u32_e32 v36, v33
	v_min_u32_e32 v39, 32, v36
	v_subrev_u32_e32 v36, 28, v39
	v_lshlrev_b64 v[36:37], v36, v[1:2]
	v_lshrrev_b32_e32 v38, 3, v35
	v_sub_u32_e32 v37, 29, v39
	v_cmp_gt_u32_e64 s[2:3], 8, v35
	v_cndmask_b32_e64 v35, v38, v37, s[2:3]
	v_lshlrev_b32_e32 v1, 8, v1
	v_lshl_add_u32 v35, v35, 10, v24
	v_and_b32_e32 v36, 7, v36
	v_and_or_b32 v1, v1, s34, v35
	v_cndmask_b32_e64 v33, v33, v36, s[2:3]
	v_lshlrev_b32_e32 v1, 16, v1
	v_lshl_or_b32 v33, v33, 23, v1
.LBB247_276:                            ;   in Loop: Header=BB247_153 Depth=1
	s_or_b64 exec, exec, s[26:27]
.LBB247_277:                            ;   in Loop: Header=BB247_153 Depth=1
	s_or_b64 exec, exec, s[24:25]
.LBB247_278:                            ;   in Loop: Header=BB247_153 Depth=1
	s_or_b64 exec, exec, s[18:19]
	v_mov_b32_e32 v1, v8
	v_cmp_ne_u16_sdwa s[2:3], v8, v2 src0_sel:BYTE_0 src1_sel:DWORD
	v_mov_b32_e32 v35, 0
	v_mov_b32_e32 v36, 0
	s_and_saveexec_b64 s[18:19], s[2:3]
	s_cbranch_execz .LBB247_284
; %bb.279:                              ;   in Loop: Header=BB247_153 Depth=1
	v_cmp_ne_u16_sdwa s[2:3], v8, s29 src0_sel:BYTE_0 src1_sel:DWORD
	v_mov_b32_e32 v36, 0x8000
	s_and_saveexec_b64 s[24:25], s[2:3]
	s_cbranch_execz .LBB247_283
; %bb.280:                              ;   in Loop: Header=BB247_153 Depth=1
	v_and_b32_e32 v37, 0x7f, v8
	v_cmp_ne_u32_e64 s[2:3], s33, v37
	v_mov_b32_e32 v36, 0x7c01
	s_and_saveexec_b64 s[26:27], s[2:3]
	s_cbranch_execz .LBB247_282
; %bb.281:                              ;   in Loop: Header=BB247_153 Depth=1
	v_and_b32_e32 v36, 7, v8
	v_ffbh_u32_e32 v38, v36
	v_min_u32_e32 v41, 32, v38
	v_subrev_u32_e32 v38, 28, v41
	v_lshlrev_b64 v[38:39], v38, v[1:2]
	v_lshrrev_b32_e32 v40, 3, v37
	v_sub_u32_e32 v39, 29, v41
	v_cmp_gt_u32_e64 s[2:3], 8, v37
	v_cndmask_b32_e64 v37, v40, v39, s[2:3]
	v_lshl_add_u32 v37, v37, 10, v24
	v_lshlrev_b32_e32 v39, 8, v8
	v_and_b32_e32 v38, 7, v38
	v_and_b32_e32 v37, 0xfc00, v37
	v_cndmask_b32_e64 v36, v36, v38, s[2:3]
	v_and_or_b32 v37, v39, s34, v37
	v_lshl_or_b32 v36, v36, 7, v37
.LBB247_282:                            ;   in Loop: Header=BB247_153 Depth=1
	s_or_b64 exec, exec, s[26:27]
.LBB247_283:                            ;   in Loop: Header=BB247_153 Depth=1
	s_or_b64 exec, exec, s[24:25]
.LBB247_284:                            ;   in Loop: Header=BB247_153 Depth=1
	s_or_b64 exec, exec, s[18:19]
	v_lshrrev_b16_e32 v1, 8, v1
	v_cmp_ne_u16_e64 s[2:3], 0, v1
	v_mov_b32_e32 v37, 0
	s_and_saveexec_b64 s[18:19], s[2:3]
	s_cbranch_execz .LBB247_290
; %bb.285:                              ;   in Loop: Header=BB247_153 Depth=1
	v_cmp_ne_u16_e64 s[2:3], s29, v1
	v_bfrev_b32_e32 v37, 1
	s_and_saveexec_b64 s[24:25], s[2:3]
	s_cbranch_execz .LBB247_289
; %bb.286:                              ;   in Loop: Header=BB247_153 Depth=1
	v_and_b32_e32 v38, 0x7f, v1
	v_cmp_ne_u32_e64 s[2:3], s33, v38
	v_mov_b32_e32 v37, 0x7c010000
	s_and_saveexec_b64 s[26:27], s[2:3]
	s_cbranch_execz .LBB247_288
; %bb.287:                              ;   in Loop: Header=BB247_153 Depth=1
	v_and_b32_e32 v37, 7, v1
	v_ffbh_u32_e32 v39, v37
	v_min_u32_e32 v42, 32, v39
	v_subrev_u32_e32 v39, 28, v42
	v_lshlrev_b64 v[39:40], v39, v[1:2]
	v_lshrrev_b32_e32 v41, 3, v38
	v_sub_u32_e32 v40, 29, v42
	v_cmp_gt_u32_e64 s[2:3], 8, v38
	v_cndmask_b32_e64 v38, v41, v40, s[2:3]
	v_lshlrev_b32_e32 v1, 8, v1
	v_lshl_add_u32 v38, v38, 10, v24
	v_and_b32_e32 v39, 7, v39
	v_and_or_b32 v1, v1, s34, v38
	v_cndmask_b32_e64 v37, v37, v39, s[2:3]
	v_lshlrev_b32_e32 v1, 16, v1
	v_lshl_or_b32 v37, v37, 23, v1
.LBB247_288:                            ;   in Loop: Header=BB247_153 Depth=1
	s_or_b64 exec, exec, s[26:27]
.LBB247_289:                            ;   in Loop: Header=BB247_153 Depth=1
	s_or_b64 exec, exec, s[24:25]
.LBB247_290:                            ;   in Loop: Header=BB247_153 Depth=1
	s_or_b64 exec, exec, s[18:19]
	v_lshrrev_b32_e32 v1, 16, v8
	v_cmp_ne_u16_sdwa s[2:3], v1, v2 src0_sel:BYTE_0 src1_sel:DWORD
	s_and_saveexec_b64 s[18:19], s[2:3]
	s_cbranch_execz .LBB247_296
; %bb.291:                              ;   in Loop: Header=BB247_153 Depth=1
	v_cmp_ne_u16_sdwa s[2:3], v1, s29 src0_sel:BYTE_0 src1_sel:DWORD
	v_mov_b32_e32 v35, 0x8000
	s_and_saveexec_b64 s[24:25], s[2:3]
	s_cbranch_execz .LBB247_295
; %bb.292:                              ;   in Loop: Header=BB247_153 Depth=1
	v_bfe_u32 v38, v8, 16, 7
	v_cmp_ne_u32_e64 s[2:3], s33, v38
	v_mov_b32_e32 v35, 0x7c01
	s_and_saveexec_b64 s[26:27], s[2:3]
	s_cbranch_execz .LBB247_294
; %bb.293:                              ;   in Loop: Header=BB247_153 Depth=1
	v_and_b32_e32 v35, 7, v1
	v_ffbh_u32_e32 v39, v35
	v_min_u32_e32 v42, 32, v39
	v_subrev_u32_e32 v39, 28, v42
	v_lshlrev_b64 v[39:40], v39, v[1:2]
	v_lshrrev_b32_e32 v41, 3, v38
	v_sub_u32_e32 v40, 29, v42
	v_cmp_gt_u32_e64 s[2:3], 8, v38
	v_cndmask_b32_e64 v38, v41, v40, s[2:3]
	v_lshl_add_u32 v38, v38, 10, v24
	v_lshlrev_b32_e32 v1, 8, v1
	v_and_b32_e32 v39, 7, v39
	v_and_b32_e32 v38, 0xfc00, v38
	v_cndmask_b32_e64 v35, v35, v39, s[2:3]
	v_and_or_b32 v1, v1, s34, v38
	v_lshl_or_b32 v35, v35, 7, v1
.LBB247_294:                            ;   in Loop: Header=BB247_153 Depth=1
	s_or_b64 exec, exec, s[26:27]
.LBB247_295:                            ;   in Loop: Header=BB247_153 Depth=1
	s_or_b64 exec, exec, s[24:25]
.LBB247_296:                            ;   in Loop: Header=BB247_153 Depth=1
	s_or_b64 exec, exec, s[18:19]
	v_cmp_lt_u64_e64 s[2:3], s[6:7], v[7:8]
	v_mov_b32_e32 v38, 0
	s_and_saveexec_b64 s[18:19], s[2:3]
	s_cbranch_execz .LBB247_302
; %bb.297:                              ;   in Loop: Header=BB247_153 Depth=1
	v_lshrrev_b32_e32 v1, 24, v8
	v_cmp_ne_u32_e64 s[2:3], s29, v1
	v_bfrev_b32_e32 v38, 1
	s_and_saveexec_b64 s[24:25], s[2:3]
	s_cbranch_execz .LBB247_301
; %bb.298:                              ;   in Loop: Header=BB247_153 Depth=1
	v_and_b32_e32 v7, 0x7f, v1
	v_cmp_ne_u32_e64 s[2:3], s33, v7
	v_mov_b32_e32 v38, 0x7c010000
	s_and_saveexec_b64 s[26:27], s[2:3]
	s_cbranch_execz .LBB247_300
; %bb.299:                              ;   in Loop: Header=BB247_153 Depth=1
	v_and_b32_e32 v8, 7, v1
	v_ffbh_u32_e32 v38, v8
	v_min_u32_e32 v41, 32, v38
	v_subrev_u32_e32 v38, 28, v41
	v_lshlrev_b64 v[38:39], v38, v[1:2]
	v_lshrrev_b32_e32 v40, 3, v7
	v_sub_u32_e32 v39, 29, v41
	v_cmp_gt_u32_e64 s[2:3], 8, v7
	v_cndmask_b32_e64 v7, v40, v39, s[2:3]
	v_lshlrev_b32_e32 v1, 8, v1
	v_lshl_add_u32 v7, v7, 10, v24
	v_and_b32_e32 v38, 7, v38
	v_and_or_b32 v1, v1, s34, v7
	v_cndmask_b32_e64 v8, v8, v38, s[2:3]
	v_lshlrev_b32_e32 v1, 16, v1
	v_lshl_or_b32 v38, v8, 23, v1
.LBB247_300:                            ;   in Loop: Header=BB247_153 Depth=1
	s_or_b64 exec, exec, s[26:27]
.LBB247_301:                            ;   in Loop: Header=BB247_153 Depth=1
	s_or_b64 exec, exec, s[24:25]
.LBB247_302:                            ;   in Loop: Header=BB247_153 Depth=1
	s_or_b64 exec, exec, s[18:19]
	s_waitcnt vmcnt(0)
	v_fma_mixlo_f16 v7, v30, v33, 0 op_sel:[0,1,0] op_sel_hi:[0,1,0]
	v_lshlrev_b32_e32 v8, 16, v7
	v_or_b32_e32 v7, v31, v32
	v_fma_mixlo_f16 v31, v30, v31, 0 op_sel:[0,1,0] op_sel_hi:[0,1,0]
	v_or_b32_e32 v1, v33, v34
	v_lshlrev_b32_e32 v39, 16, v31
	v_or_b32_e32 v31, v37, v36
	v_or_b32_e32 v34, v38, v35
	v_fma_mixlo_f16 v1, v30, v1, 0 op_sel_hi:[0,1,0]
	v_fma_mixlo_f16 v7, v30, v7, 0 op_sel_hi:[0,1,0]
	v_fma_mixlo_f16 v32, v30, v37, 0 op_sel:[0,1,0] op_sel_hi:[0,1,0]
	v_fma_mixlo_f16 v31, v30, v31, 0 op_sel_hi:[0,1,0]
	v_fma_mixlo_f16 v34, v30, v34, 0 op_sel_hi:[0,1,0]
	v_fma_mixlo_f16 v30, v30, v38, 0 op_sel:[0,1,0] op_sel_hi:[0,1,0]
	v_and_b32_e32 v33, 0xffff, v1
	v_and_b32_e32 v40, 0xffff, v7
	v_lshlrev_b32_e32 v32, 16, v32
	v_and_b32_e32 v36, 0xffff, v31
	v_lshlrev_b32_e32 v30, 16, v30
	v_and_b32_e32 v34, 0xffff, v34
	v_or_b32_e32 v1, v8, v33
	v_or_b32_e32 v7, v39, v40
	;; [unrolled: 1-line block ×4, first 2 shown]
	s_and_saveexec_b64 s[2:3], s[0:1]
	s_cbranch_execz .LBB247_151
; %bb.303:                              ;   in Loop: Header=BB247_153 Depth=1
	v_cmp_gt_i32_e64 s[0:1], s30, v11
	v_add_u32_e32 v7, -6, v21
	v_cndmask_b32_e64 v1, 0, v40, s[0:1]
	v_cmp_gt_i32_e64 s[0:1], s30, v7
	v_cndmask_b32_e64 v7, 0, v39, s[0:1]
	v_or_b32_e32 v7, v7, v1
	v_add_u32_e32 v1, -5, v21
	v_cmp_gt_i32_e64 s[0:1], s30, v1
	v_add_u32_e32 v11, -4, v21
	v_cndmask_b32_e64 v1, 0, v33, s[0:1]
	v_cmp_gt_i32_e64 s[0:1], s30, v11
	v_cndmask_b32_e64 v8, 0, v8, s[0:1]
	v_or_b32_e32 v1, v8, v1
	v_add_u32_e32 v8, -3, v21
	;; [unrolled: 7-line block ×3, first 2 shown]
	v_cmp_gt_i32_e64 s[0:1], s30, v8
	v_cndmask_b32_e64 v8, 0, v34, s[0:1]
	v_cmp_gt_i32_e64 s[0:1], s30, v21
	v_cndmask_b32_e64 v11, 0, v30, s[0:1]
	v_or_b32_e32 v35, v11, v8
	s_branch .LBB247_151
.LBB247_304:
	s_or_b64 exec, exec, s[12:13]
.LBB247_305:
	s_or_b64 exec, exec, s[4:5]
	ds_bpermute_b32 v1, v14, v19
	ds_bpermute_b32 v4, v14, v22
	;; [unrolled: 1-line block ×3, first 2 shown]
	v_cmp_eq_u32_e32 vcc, 0, v16
	s_waitcnt lgkmcnt(0)
	v_add_f32_e32 v3, v19, v1
	v_add_f32_e32 v1, v22, v4
	v_and_b32_e32 v4, 0x3c0, v0
	v_add_f32_e32 v2, v20, v2
	v_cmp_eq_u32_e64 s[0:1], 64, v4
	s_barrier
	s_and_saveexec_b64 s[2:3], s[0:1]
	s_cbranch_execz .LBB247_310
; %bb.306:
	s_and_saveexec_b64 s[0:1], vcc
; %bb.307:
	v_mov_b32_e32 v4, 0xb0
	v_lshl_add_u32 v4, v15, 2, v4
	ds_write2_b32 v4, v3, v2 offset1:32
; %bb.308:
	s_or_b64 exec, exec, s[0:1]
	v_or_b32_e32 v4, 64, v15
	s_movk_i32 s0, 0x50
	v_cmp_gt_u32_e64 s[0:1], s0, v4
	s_and_b64 s[0:1], vcc, s[0:1]
	s_and_b64 exec, exec, s[0:1]
; %bb.309:
	v_mov_b32_e32 v4, 0xb0
	v_lshl_add_u32 v4, v15, 2, v4
	ds_write_b32 v4, v1 offset:256
.LBB247_310:
	s_or_b64 exec, exec, s[2:3]
	v_cmp_gt_u32_e64 s[0:1], 64, v0
	v_lshrrev_b32_e32 v0, 1, v0
	s_waitcnt lgkmcnt(0)
	s_barrier
	s_and_saveexec_b64 s[4:5], s[0:1]
	s_cbranch_execz .LBB247_318
; %bb.311:
	s_and_saveexec_b64 s[2:3], vcc
	s_cbranch_execz .LBB247_313
; %bb.312:
	v_mov_b32_e32 v4, 0xb0
	v_lshl_add_u32 v4, v0, 2, v4
	ds_read_b32 v4, v4
	s_waitcnt lgkmcnt(0)
	v_add_f32_e32 v3, v3, v4
.LBB247_313:
	s_or_b64 exec, exec, s[2:3]
	v_or_b32_e32 v4, 32, v0
	s_movk_i32 s6, 0x50
	v_cmp_gt_u32_e64 s[2:3], s6, v4
	s_and_b64 s[12:13], vcc, s[2:3]
	s_and_saveexec_b64 s[2:3], s[12:13]
	s_cbranch_execz .LBB247_315
; %bb.314:
	v_mov_b32_e32 v4, 0xb0
	v_lshl_add_u32 v4, v0, 2, v4
	ds_read_b32 v4, v4 offset:128
	s_waitcnt lgkmcnt(0)
	v_add_f32_e32 v2, v2, v4
.LBB247_315:
	s_or_b64 exec, exec, s[2:3]
	v_or_b32_e32 v4, 64, v0
	v_cmp_gt_u32_e64 s[2:3], s6, v4
	s_and_b64 s[6:7], vcc, s[2:3]
	s_and_saveexec_b64 s[2:3], s[6:7]
	s_cbranch_execz .LBB247_317
; %bb.316:
	v_mov_b32_e32 v4, 0xb0
	v_lshl_add_u32 v4, v0, 2, v4
	ds_read_b32 v4, v4 offset:256
	s_waitcnt lgkmcnt(0)
	v_add_f32_e32 v1, v1, v4
.LBB247_317:
	s_or_b64 exec, exec, s[2:3]
.LBB247_318:
	s_or_b64 exec, exec, s[4:5]
	s_barrier
	s_and_saveexec_b64 s[2:3], s[0:1]
	s_cbranch_execz .LBB247_325
; %bb.319:
	s_mul_i32 s0, s10, s11
	s_mul_i32 s0, s0, s9
	s_mulk_i32 s0, 0x50
	s_ashr_i32 s1, s0, 31
	s_lshl_b64 s[0:1], s[0:1], 1
	s_add_u32 s2, s22, s0
	s_mul_i32 s0, s11, s20
	s_addc_u32 s3, s23, s1
	s_ashr_i32 s1, s0, 31
	s_lshl_b64 s[0:1], s[0:1], 1
	s_add_u32 s2, s2, s0
	s_mul_i32 s0, s8, 0x50
	s_addc_u32 s3, s3, s1
	s_ashr_i32 s1, s0, 31
	s_lshl_b64 s[0:1], s[0:1], 1
	s_add_u32 s2, s2, s0
	s_movk_i32 s4, 0x50
	s_addc_u32 s3, s3, s1
	v_lshlrev_b32_e32 v4, 1, v0
	s_and_saveexec_b64 s[0:1], vcc
	s_cbranch_execz .LBB247_321
; %bb.320:
	;;#ASMSTART
	v_cvt_f16_f32 v3, v3;

	;;#ASMEND
	global_store_short v4, v3, s[2:3]
.LBB247_321:
	s_or_b64 exec, exec, s[0:1]
	v_or_b32_e32 v3, 32, v0
	v_cmp_gt_u32_e64 s[0:1], s4, v3
	s_and_b64 s[4:5], vcc, s[0:1]
	s_and_saveexec_b64 s[0:1], s[4:5]
	s_cbranch_execz .LBB247_323
; %bb.322:
	;;#ASMSTART
	v_cvt_f16_f32 v2, v2;

	;;#ASMEND
	global_store_short v4, v2, s[2:3] offset:64
.LBB247_323:
	s_or_b64 exec, exec, s[0:1]
	v_or_b32_e32 v0, 64, v0
	s_movk_i32 s0, 0x50
	v_cmp_gt_u32_e64 s[0:1], s0, v0
	s_and_b64 s[0:1], vcc, s[0:1]
	s_and_b64 exec, exec, s[0:1]
	s_cbranch_execz .LBB247_325
; %bb.324:
	;;#ASMSTART
	v_cvt_f16_f32 v0, v1;

	;;#ASMEND
	global_store_short v4, v0, s[2:3] offset:128
.LBB247_325:
	s_endpgm
	.section	.rodata,"a",@progbits
	.p2align	6, 0x0
	.amdhsa_kernel _ZN4vllm25paged_attention_v1_kernelIthLi80ELi16ELi128ELNS_18Fp8KVCacheDataTypeE1ELb0EEEvPT_PKS2_PKT0_S8_ifPKiSA_iPKfiiiSC_SC_iiiii
		.amdhsa_group_segment_fixed_size 176
		.amdhsa_private_segment_fixed_size 0
		.amdhsa_kernarg_size 384
		.amdhsa_user_sgpr_count 6
		.amdhsa_user_sgpr_private_segment_buffer 1
		.amdhsa_user_sgpr_dispatch_ptr 0
		.amdhsa_user_sgpr_queue_ptr 0
		.amdhsa_user_sgpr_kernarg_segment_ptr 1
		.amdhsa_user_sgpr_dispatch_id 0
		.amdhsa_user_sgpr_flat_scratch_init 0
		.amdhsa_user_sgpr_private_segment_size 0
		.amdhsa_uses_dynamic_stack 0
		.amdhsa_system_sgpr_private_segment_wavefront_offset 0
		.amdhsa_system_sgpr_workgroup_id_x 1
		.amdhsa_system_sgpr_workgroup_id_y 1
		.amdhsa_system_sgpr_workgroup_id_z 1
		.amdhsa_system_sgpr_workgroup_info 0
		.amdhsa_system_vgpr_workitem_id 0
		.amdhsa_next_free_vgpr 47
		.amdhsa_next_free_sgpr 45
		.amdhsa_reserve_vcc 1
		.amdhsa_reserve_flat_scratch 0
		.amdhsa_float_round_mode_32 0
		.amdhsa_float_round_mode_16_64 0
		.amdhsa_float_denorm_mode_32 3
		.amdhsa_float_denorm_mode_16_64 3
		.amdhsa_dx10_clamp 1
		.amdhsa_ieee_mode 1
		.amdhsa_fp16_overflow 0
		.amdhsa_exception_fp_ieee_invalid_op 0
		.amdhsa_exception_fp_denorm_src 0
		.amdhsa_exception_fp_ieee_div_zero 0
		.amdhsa_exception_fp_ieee_overflow 0
		.amdhsa_exception_fp_ieee_underflow 0
		.amdhsa_exception_fp_ieee_inexact 0
		.amdhsa_exception_int_div_zero 0
	.end_amdhsa_kernel
	.section	.text._ZN4vllm25paged_attention_v1_kernelIthLi80ELi16ELi128ELNS_18Fp8KVCacheDataTypeE1ELb0EEEvPT_PKS2_PKT0_S8_ifPKiSA_iPKfiiiSC_SC_iiiii,"axG",@progbits,_ZN4vllm25paged_attention_v1_kernelIthLi80ELi16ELi128ELNS_18Fp8KVCacheDataTypeE1ELb0EEEvPT_PKS2_PKT0_S8_ifPKiSA_iPKfiiiSC_SC_iiiii,comdat
.Lfunc_end247:
	.size	_ZN4vllm25paged_attention_v1_kernelIthLi80ELi16ELi128ELNS_18Fp8KVCacheDataTypeE1ELb0EEEvPT_PKS2_PKT0_S8_ifPKiSA_iPKfiiiSC_SC_iiiii, .Lfunc_end247-_ZN4vllm25paged_attention_v1_kernelIthLi80ELi16ELi128ELNS_18Fp8KVCacheDataTypeE1ELb0EEEvPT_PKS2_PKT0_S8_ifPKiSA_iPKfiiiSC_SC_iiiii
                                        ; -- End function
	.set _ZN4vllm25paged_attention_v1_kernelIthLi80ELi16ELi128ELNS_18Fp8KVCacheDataTypeE1ELb0EEEvPT_PKS2_PKT0_S8_ifPKiSA_iPKfiiiSC_SC_iiiii.num_vgpr, 47
	.set _ZN4vllm25paged_attention_v1_kernelIthLi80ELi16ELi128ELNS_18Fp8KVCacheDataTypeE1ELb0EEEvPT_PKS2_PKT0_S8_ifPKiSA_iPKfiiiSC_SC_iiiii.num_agpr, 0
	.set _ZN4vllm25paged_attention_v1_kernelIthLi80ELi16ELi128ELNS_18Fp8KVCacheDataTypeE1ELb0EEEvPT_PKS2_PKT0_S8_ifPKiSA_iPKfiiiSC_SC_iiiii.numbered_sgpr, 45
	.set _ZN4vllm25paged_attention_v1_kernelIthLi80ELi16ELi128ELNS_18Fp8KVCacheDataTypeE1ELb0EEEvPT_PKS2_PKT0_S8_ifPKiSA_iPKfiiiSC_SC_iiiii.num_named_barrier, 0
	.set _ZN4vllm25paged_attention_v1_kernelIthLi80ELi16ELi128ELNS_18Fp8KVCacheDataTypeE1ELb0EEEvPT_PKS2_PKT0_S8_ifPKiSA_iPKfiiiSC_SC_iiiii.private_seg_size, 0
	.set _ZN4vllm25paged_attention_v1_kernelIthLi80ELi16ELi128ELNS_18Fp8KVCacheDataTypeE1ELb0EEEvPT_PKS2_PKT0_S8_ifPKiSA_iPKfiiiSC_SC_iiiii.uses_vcc, 1
	.set _ZN4vllm25paged_attention_v1_kernelIthLi80ELi16ELi128ELNS_18Fp8KVCacheDataTypeE1ELb0EEEvPT_PKS2_PKT0_S8_ifPKiSA_iPKfiiiSC_SC_iiiii.uses_flat_scratch, 0
	.set _ZN4vllm25paged_attention_v1_kernelIthLi80ELi16ELi128ELNS_18Fp8KVCacheDataTypeE1ELb0EEEvPT_PKS2_PKT0_S8_ifPKiSA_iPKfiiiSC_SC_iiiii.has_dyn_sized_stack, 0
	.set _ZN4vllm25paged_attention_v1_kernelIthLi80ELi16ELi128ELNS_18Fp8KVCacheDataTypeE1ELb0EEEvPT_PKS2_PKT0_S8_ifPKiSA_iPKfiiiSC_SC_iiiii.has_recursion, 0
	.set _ZN4vllm25paged_attention_v1_kernelIthLi80ELi16ELi128ELNS_18Fp8KVCacheDataTypeE1ELb0EEEvPT_PKS2_PKT0_S8_ifPKiSA_iPKfiiiSC_SC_iiiii.has_indirect_call, 0
	.section	.AMDGPU.csdata,"",@progbits
; Kernel info:
; codeLenInByte = 13560
; TotalNumSgprs: 49
; NumVgprs: 47
; ScratchSize: 0
; MemoryBound: 0
; FloatMode: 240
; IeeeMode: 1
; LDSByteSize: 176 bytes/workgroup (compile time only)
; SGPRBlocks: 6
; VGPRBlocks: 11
; NumSGPRsForWavesPerEU: 49
; NumVGPRsForWavesPerEU: 47
; Occupancy: 5
; WaveLimiterHint : 1
; COMPUTE_PGM_RSRC2:SCRATCH_EN: 0
; COMPUTE_PGM_RSRC2:USER_SGPR: 6
; COMPUTE_PGM_RSRC2:TRAP_HANDLER: 0
; COMPUTE_PGM_RSRC2:TGID_X_EN: 1
; COMPUTE_PGM_RSRC2:TGID_Y_EN: 1
; COMPUTE_PGM_RSRC2:TGID_Z_EN: 1
; COMPUTE_PGM_RSRC2:TIDIG_COMP_CNT: 0
	.section	.text._ZN4vllm25paged_attention_v1_kernelIthLi96ELi16ELi128ELNS_18Fp8KVCacheDataTypeE1ELb0EEEvPT_PKS2_PKT0_S8_ifPKiSA_iPKfiiiSC_SC_iiiii,"axG",@progbits,_ZN4vllm25paged_attention_v1_kernelIthLi96ELi16ELi128ELNS_18Fp8KVCacheDataTypeE1ELb0EEEvPT_PKS2_PKT0_S8_ifPKiSA_iPKfiiiSC_SC_iiiii,comdat
	.protected	_ZN4vllm25paged_attention_v1_kernelIthLi96ELi16ELi128ELNS_18Fp8KVCacheDataTypeE1ELb0EEEvPT_PKS2_PKT0_S8_ifPKiSA_iPKfiiiSC_SC_iiiii ; -- Begin function _ZN4vllm25paged_attention_v1_kernelIthLi96ELi16ELi128ELNS_18Fp8KVCacheDataTypeE1ELb0EEEvPT_PKS2_PKT0_S8_ifPKiSA_iPKfiiiSC_SC_iiiii
	.globl	_ZN4vllm25paged_attention_v1_kernelIthLi96ELi16ELi128ELNS_18Fp8KVCacheDataTypeE1ELb0EEEvPT_PKS2_PKT0_S8_ifPKiSA_iPKfiiiSC_SC_iiiii
	.p2align	8
	.type	_ZN4vllm25paged_attention_v1_kernelIthLi96ELi16ELi128ELNS_18Fp8KVCacheDataTypeE1ELb0EEEvPT_PKS2_PKT0_S8_ifPKiSA_iPKfiiiSC_SC_iiiii,@function
_ZN4vllm25paged_attention_v1_kernelIthLi96ELi16ELi128ELNS_18Fp8KVCacheDataTypeE1ELb0EEEvPT_PKS2_PKT0_S8_ifPKiSA_iPKfiiiSC_SC_iiiii: ; @_ZN4vllm25paged_attention_v1_kernelIthLi96ELi16ELi128ELNS_18Fp8KVCacheDataTypeE1ELb0EEEvPT_PKS2_PKT0_S8_ifPKiSA_iPKfiiiSC_SC_iiiii
; %bb.0:
	s_load_dword s9, s[4:5], 0x80
	s_load_dwordx2 s[0:1], s[4:5], 0x30
	s_load_dwordx2 s[30:31], s[4:5], 0x20
	s_mov_b32 s10, s7
	s_ashr_i32 s11, s7, 31
	s_lshl_b64 s[2:3], s[10:11], 2
	s_waitcnt lgkmcnt(0)
	s_add_u32 s0, s0, s2
	s_addc_u32 s1, s1, s3
	s_abs_i32 s2, s30
	v_cvt_f32_u32_e32 v1, s2
	s_sub_i32 s11, 0, s2
	s_abs_i32 s7, s9
	s_xor_b32 s3, s9, s30
	v_rcp_iflag_f32_e32 v1, v1
	s_ashr_i32 s3, s3, 31
	s_mov_b32 s33, 0
	v_mul_f32_e32 v1, 0x4f7ffffe, v1
	v_cvt_u32_f32_e32 v1, v1
	v_readfirstlane_b32 s12, v1
	s_mul_i32 s11, s11, s12
	s_mul_hi_u32 s11, s12, s11
	s_add_i32 s12, s12, s11
	s_mul_hi_u32 s11, s7, s12
	s_mul_i32 s12, s11, s2
	s_sub_i32 s7, s7, s12
	s_add_i32 s12, s11, 1
	s_sub_i32 s13, s7, s2
	s_cmp_ge_u32 s7, s2
	s_cselect_b32 s11, s12, s11
	s_cselect_b32 s7, s13, s7
	s_add_i32 s12, s11, 1
	s_cmp_ge_u32 s7, s2
	s_cselect_b32 s2, s12, s11
	s_xor_b32 s2, s2, s3
	s_sub_i32 s14, s2, s3
	s_abs_i32 s11, s14
	v_cvt_f32_u32_e32 v1, s11
	s_load_dwordx2 s[2:3], s[4:5], 0x40
	s_sub_i32 s7, 0, s11
	s_abs_i32 s12, s6
	v_rcp_iflag_f32_e32 v1, v1
	v_mul_f32_e32 v1, 0x4f7ffffe, v1
	v_cvt_u32_f32_e32 v1, v1
	v_readfirstlane_b32 s13, v1
	s_mul_i32 s7, s7, s13
	s_mul_hi_u32 s7, s13, s7
	s_add_i32 s13, s13, s7
	s_waitcnt lgkmcnt(0)
	s_cmp_eq_u64 s[2:3], 0
	s_mul_hi_u32 s13, s12, s13
	s_cbranch_scc1 .LBB248_2
; %bb.1:
	s_ashr_i32 s7, s6, 31
	s_lshl_b64 s[16:17], s[6:7], 2
	s_add_u32 s2, s2, s16
	s_addc_u32 s3, s3, s17
	s_load_dword s33, s[2:3], 0x0
.LBB248_2:
	s_load_dword s30, s[0:1], 0x0
	s_load_dwordx4 s[16:19], s[4:5], 0x48
	s_ashr_i32 s2, s6, 31
	s_ashr_i32 s3, s14, 31
	v_and_b32_e32 v3, 3, v0
	s_mul_i32 s20, s6, 0x60
	v_cmp_gt_u32_e32 vcc, 48, v0
	s_and_saveexec_b64 s[0:1], vcc
	s_cbranch_execz .LBB248_4
; %bb.3:
	s_load_dwordx2 s[6:7], s[4:5], 0x8
	s_waitcnt lgkmcnt(0)
	s_mul_i32 s14, s16, s10
	s_ashr_i32 s15, s14, 31
	s_lshl_b64 s[14:15], s[14:15], 1
	v_lshlrev_b32_e32 v1, 2, v0
	s_add_u32 s14, s6, s14
	s_addc_u32 s15, s7, s15
	s_ashr_i32 s21, s20, 31
	s_lshl_b64 s[6:7], s[20:21], 1
	s_add_u32 s6, s14, s6
	s_addc_u32 s7, s15, s7
	global_load_dword v1, v1, s[6:7]
	v_and_b32_e32 v2, 0x3fc, v0
	v_mad_u32_u24 v2, v3, 48, v2
	s_waitcnt vmcnt(0)
	ds_write_b32 v2, v1
.LBB248_4:
	s_or_b64 exec, exec, s[0:1]
	s_waitcnt lgkmcnt(0)
	s_add_i32 s1, s30, 15
	s_ashr_i32 s6, s1, 31
	s_lshr_b32 s6, s6, 28
	s_add_i32 s1, s1, s6
	s_ashr_i32 s21, s1, 4
	s_xor_b32 s1, s2, s3
	s_mul_i32 s2, s13, s11
	s_sub_i32 s2, s12, s2
	s_add_i32 s3, s13, 1
	s_sub_i32 s6, s2, s11
	s_load_dwordx2 s[24:25], s[4:5], 0x28
	s_load_dword s0, s[4:5], 0x38
	s_cmp_ge_u32 s2, s11
	s_cselect_b32 s3, s3, s13
	s_cselect_b32 s2, s6, s2
	s_add_i32 s6, s3, 1
	s_cmp_ge_u32 s2, s11
	s_cselect_b32 s2, s6, s3
	v_lshrrev_b32_e32 v11, 6, v0
	s_xor_b32 s2, s2, s1
	s_waitcnt lgkmcnt(0)
	s_mul_i32 s26, s0, s10
	s_sub_i32 s16, s2, s1
	s_ashr_i32 s27, s26, 31
	v_cmp_gt_i32_e64 s[0:1], s21, v11
	v_cmp_le_i32_e32 vcc, s21, v11
	v_mbcnt_lo_u32_b32 v8, -1, 0
	s_barrier
                                        ; implicit-def: $vgpr10
                                        ; implicit-def: $vgpr7
                                        ; implicit-def: $vgpr1
	s_and_saveexec_b64 s[2:3], vcc
	s_xor_b64 s[2:3], exec, s[2:3]
; %bb.5:
	v_mbcnt_hi_u32_b32 v10, -1, v8
	v_and_b32_e32 v7, 64, v10
	v_add_u32_e32 v1, 64, v7
                                        ; implicit-def: $vgpr3
                                        ; implicit-def: $vgpr8
; %bb.6:
	s_or_saveexec_b64 s[6:7], s[2:3]
	s_load_dwordx2 s[22:23], s[4:5], 0x0
	s_load_dwordx2 s[28:29], s[4:5], 0x18
	s_load_dword s11, s[4:5], 0x88
	s_load_dwordx4 s[12:15], s[4:5], 0x58
	v_mov_b32_e32 v12, 0xff7fffff
	s_mul_i32 s16, s16, s18
	v_lshrrev_b32_e32 v9, 4, v0
	s_xor_b64 exec, exec, s[6:7]
	s_cbranch_execz .LBB248_156
; %bb.7:
	s_load_dwordx2 s[2:3], s[4:5], 0x10
	s_ashr_i32 s4, s16, 31
	v_bfe_u32 v1, v0, 2, 4
	v_lshlrev_b32_e32 v4, 4, v1
	v_lshlrev_b32_e32 v6, 1, v3
	s_waitcnt lgkmcnt(0)
	s_add_u32 s2, s2, s16
	s_addc_u32 s3, s3, s4
	v_mov_b32_e32 v5, s3
	v_add_co_u32_e32 v4, vcc, s2, v4
	v_addc_co_u32_e32 v5, vcc, 0, v5, vcc
	v_mul_u32_u24_e32 v13, 48, v3
	v_cmp_eq_u32_e32 vcc, 0, v3
	v_add_co_u32_e64 v3, s[4:5], v4, v6
	v_addc_co_u32_e64 v4, s[4:5], 0, v5, s[4:5]
	s_sub_i32 s41, 1, s30
	v_lshl_or_b32 v14, v11, 4, v1
	v_lshlrev_b32_e32 v1, 2, v1
	s_lshl_b64 s[4:5], s[26:27], 2
	v_lshl_or_b32 v1, v11, 6, v1
	s_add_u32 s4, s24, s4
	v_add_u32_e32 v15, 0xd0, v1
	v_and_b32_e32 v1, 60, v9
	s_addc_u32 s5, s25, s5
	v_mov_b32_e32 v6, s5
	v_add_co_u32_e64 v5, s[4:5], s4, v1
	s_mov_b32 s40, s17
	v_mov_b32_e32 v2, 0
	v_cmp_neq_f32_e64 s[2:3], s33, 0
	v_addc_co_u32_e64 v6, s[4:5], 0, v6, s[4:5]
	v_mov_b32_e32 v12, 0xff7fffff
	s_mov_b64 s[18:19], 0
	s_movk_i32 s42, 0x80
	s_movk_i32 s43, 0x7f
	s_mov_b32 s44, 0x8000
	v_mbcnt_hi_u32_b32 v10, -1, v8
	v_mov_b32_e32 v16, 0x2000
	v_mov_b32_e32 v17, v11
	s_branch .LBB248_9
.LBB248_8:                              ;   in Loop: Header=BB248_9 Depth=1
	s_or_b64 exec, exec, s[34:35]
	v_add_u32_e32 v17, 2, v17
	v_cmp_le_i32_e64 s[4:5], s21, v17
	s_or_b64 s[18:19], s[4:5], s[18:19]
	v_add_co_u32_e64 v5, s[4:5], 8, v5
	v_add_u32_e32 v14, 32, v14
	v_add_u32_e32 v15, 0x80, v15
	v_addc_co_u32_e64 v6, s[4:5], 0, v6, s[4:5]
	s_andn2_b64 exec, exec, s[18:19]
	s_cbranch_execz .LBB248_155
.LBB248_9:                              ; =>This Inner Loop Header: Depth=1
	global_load_dword v1, v[5:6], off
	s_waitcnt vmcnt(0)
	v_mad_i64_i32 v[7:8], s[4:5], v1, s40, v[3:4]
	global_load_ushort v19, v[7:8], off
	s_waitcnt lgkmcnt(0)
	global_load_dword v18, v2, s[12:13]
	s_waitcnt vmcnt(1)
	v_and_b32_e32 v1, 0xffff, v19
	v_cmp_ne_u16_sdwa s[4:5], v19, v2 src0_sel:BYTE_0 src1_sel:DWORD
	v_mov_b32_e32 v19, 0
	s_and_saveexec_b64 s[34:35], s[4:5]
	s_cbranch_execz .LBB248_15
; %bb.10:                               ;   in Loop: Header=BB248_9 Depth=1
	v_cmp_ne_u16_sdwa s[4:5], v1, s42 src0_sel:BYTE_0 src1_sel:DWORD
	v_mov_b32_e32 v19, 0x8000
	s_and_saveexec_b64 s[36:37], s[4:5]
	s_cbranch_execz .LBB248_14
; %bb.11:                               ;   in Loop: Header=BB248_9 Depth=1
	v_and_b32_e32 v20, 0x7f, v1
	v_cmp_ne_u32_e64 s[4:5], s43, v20
	v_mov_b32_e32 v19, 0x7c01
	s_and_saveexec_b64 s[38:39], s[4:5]
	s_cbranch_execz .LBB248_13
; %bb.12:                               ;   in Loop: Header=BB248_9 Depth=1
	v_and_b32_e32 v19, 7, v1
	v_ffbh_u32_e32 v21, v19
	v_min_u32_e32 v24, 32, v21
	v_subrev_u32_e32 v21, 28, v24
	v_lshlrev_b64 v[21:22], v21, v[1:2]
	v_lshrrev_b32_e32 v23, 3, v20
	v_sub_u32_e32 v22, 29, v24
	v_cmp_gt_u32_e64 s[4:5], 8, v20
	v_cndmask_b32_e64 v20, v23, v22, s[4:5]
	v_lshl_add_u32 v20, v20, 10, v16
	v_lshlrev_b32_e32 v22, 8, v1
	v_and_b32_e32 v21, 7, v21
	v_and_b32_e32 v20, 0xfc00, v20
	v_cndmask_b32_e64 v19, v19, v21, s[4:5]
	v_and_or_b32 v20, v22, s44, v20
	v_lshl_or_b32 v19, v19, 7, v20
.LBB248_13:                             ;   in Loop: Header=BB248_9 Depth=1
	s_or_b64 exec, exec, s[38:39]
.LBB248_14:                             ;   in Loop: Header=BB248_9 Depth=1
	s_or_b64 exec, exec, s[36:37]
.LBB248_15:                             ;   in Loop: Header=BB248_9 Depth=1
	s_or_b64 exec, exec, s[34:35]
	v_lshrrev_b16_e32 v1, 8, v1
	v_cmp_ne_u16_e64 s[4:5], 0, v1
	v_mov_b32_e32 v20, 0
	v_mov_b32_e32 v21, 0
	s_and_saveexec_b64 s[34:35], s[4:5]
	s_cbranch_execz .LBB248_21
; %bb.16:                               ;   in Loop: Header=BB248_9 Depth=1
	v_cmp_ne_u16_e64 s[4:5], s42, v1
	v_bfrev_b32_e32 v21, 1
	s_and_saveexec_b64 s[36:37], s[4:5]
	s_cbranch_execz .LBB248_20
; %bb.17:                               ;   in Loop: Header=BB248_9 Depth=1
	v_and_b32_e32 v22, 0x7f, v1
	v_cmp_ne_u32_e64 s[4:5], s43, v22
	v_mov_b32_e32 v21, 0x7c010000
	s_and_saveexec_b64 s[38:39], s[4:5]
	s_cbranch_execz .LBB248_19
; %bb.18:                               ;   in Loop: Header=BB248_9 Depth=1
	v_and_b32_e32 v21, 7, v1
	v_ffbh_u32_e32 v23, v21
	v_min_u32_e32 v26, 32, v23
	v_subrev_u32_e32 v23, 28, v26
	v_lshlrev_b64 v[23:24], v23, v[1:2]
	v_lshrrev_b32_e32 v25, 3, v22
	v_sub_u32_e32 v24, 29, v26
	v_cmp_gt_u32_e64 s[4:5], 8, v22
	v_cndmask_b32_e64 v22, v25, v24, s[4:5]
	v_lshlrev_b32_e32 v1, 8, v1
	v_lshl_add_u32 v22, v22, 10, v16
	v_and_b32_e32 v23, 7, v23
	v_and_or_b32 v1, v1, s44, v22
	v_cndmask_b32_e64 v21, v21, v23, s[4:5]
	v_lshlrev_b32_e32 v1, 16, v1
	v_lshl_or_b32 v21, v21, 23, v1
.LBB248_19:                             ;   in Loop: Header=BB248_9 Depth=1
	s_or_b64 exec, exec, s[38:39]
.LBB248_20:                             ;   in Loop: Header=BB248_9 Depth=1
	s_or_b64 exec, exec, s[36:37]
.LBB248_21:                             ;   in Loop: Header=BB248_9 Depth=1
	s_or_b64 exec, exec, s[34:35]
	global_load_ushort v22, v[7:8], off offset:8
	s_waitcnt vmcnt(0)
	v_and_b32_e32 v1, 0xffff, v22
	v_cmp_ne_u16_sdwa s[4:5], v22, v2 src0_sel:BYTE_0 src1_sel:DWORD
	s_and_saveexec_b64 s[34:35], s[4:5]
	s_cbranch_execz .LBB248_27
; %bb.22:                               ;   in Loop: Header=BB248_9 Depth=1
	v_cmp_ne_u16_sdwa s[4:5], v1, s42 src0_sel:BYTE_0 src1_sel:DWORD
	v_mov_b32_e32 v20, 0x8000
	s_and_saveexec_b64 s[36:37], s[4:5]
	s_cbranch_execz .LBB248_26
; %bb.23:                               ;   in Loop: Header=BB248_9 Depth=1
	v_and_b32_e32 v22, 0x7f, v1
	v_cmp_ne_u32_e64 s[4:5], s43, v22
	v_mov_b32_e32 v20, 0x7c01
	s_and_saveexec_b64 s[38:39], s[4:5]
	s_cbranch_execz .LBB248_25
; %bb.24:                               ;   in Loop: Header=BB248_9 Depth=1
	v_and_b32_e32 v20, 7, v1
	v_ffbh_u32_e32 v23, v20
	v_min_u32_e32 v26, 32, v23
	v_subrev_u32_e32 v23, 28, v26
	v_lshlrev_b64 v[23:24], v23, v[1:2]
	v_lshrrev_b32_e32 v25, 3, v22
	v_sub_u32_e32 v24, 29, v26
	v_cmp_gt_u32_e64 s[4:5], 8, v22
	v_cndmask_b32_e64 v22, v25, v24, s[4:5]
	v_lshl_add_u32 v22, v22, 10, v16
	v_lshlrev_b32_e32 v24, 8, v1
	v_and_b32_e32 v23, 7, v23
	v_and_b32_e32 v22, 0xfc00, v22
	v_cndmask_b32_e64 v20, v20, v23, s[4:5]
	v_and_or_b32 v22, v24, s44, v22
	v_lshl_or_b32 v20, v20, 7, v22
.LBB248_25:                             ;   in Loop: Header=BB248_9 Depth=1
	s_or_b64 exec, exec, s[38:39]
.LBB248_26:                             ;   in Loop: Header=BB248_9 Depth=1
	s_or_b64 exec, exec, s[36:37]
.LBB248_27:                             ;   in Loop: Header=BB248_9 Depth=1
	s_or_b64 exec, exec, s[34:35]
	v_lshrrev_b16_e32 v1, 8, v1
	v_cmp_ne_u16_e64 s[4:5], 0, v1
	v_mov_b32_e32 v22, 0
	v_mov_b32_e32 v23, 0
	s_and_saveexec_b64 s[34:35], s[4:5]
	s_cbranch_execz .LBB248_33
; %bb.28:                               ;   in Loop: Header=BB248_9 Depth=1
	v_cmp_ne_u16_e64 s[4:5], s42, v1
	v_bfrev_b32_e32 v23, 1
	s_and_saveexec_b64 s[36:37], s[4:5]
	s_cbranch_execz .LBB248_32
; %bb.29:                               ;   in Loop: Header=BB248_9 Depth=1
	v_and_b32_e32 v24, 0x7f, v1
	v_cmp_ne_u32_e64 s[4:5], s43, v24
	v_mov_b32_e32 v23, 0x7c010000
	s_and_saveexec_b64 s[38:39], s[4:5]
	s_cbranch_execz .LBB248_31
; %bb.30:                               ;   in Loop: Header=BB248_9 Depth=1
	v_and_b32_e32 v23, 7, v1
	v_ffbh_u32_e32 v25, v23
	v_min_u32_e32 v28, 32, v25
	v_subrev_u32_e32 v25, 28, v28
	v_lshlrev_b64 v[25:26], v25, v[1:2]
	v_lshrrev_b32_e32 v27, 3, v24
	v_sub_u32_e32 v26, 29, v28
	v_cmp_gt_u32_e64 s[4:5], 8, v24
	v_cndmask_b32_e64 v24, v27, v26, s[4:5]
	v_lshlrev_b32_e32 v1, 8, v1
	v_lshl_add_u32 v24, v24, 10, v16
	v_and_b32_e32 v25, 7, v25
	v_and_or_b32 v1, v1, s44, v24
	v_cndmask_b32_e64 v23, v23, v25, s[4:5]
	v_lshlrev_b32_e32 v1, 16, v1
	v_lshl_or_b32 v23, v23, 23, v1
.LBB248_31:                             ;   in Loop: Header=BB248_9 Depth=1
	s_or_b64 exec, exec, s[38:39]
.LBB248_32:                             ;   in Loop: Header=BB248_9 Depth=1
	s_or_b64 exec, exec, s[36:37]
.LBB248_33:                             ;   in Loop: Header=BB248_9 Depth=1
	s_or_b64 exec, exec, s[34:35]
	global_load_ushort v24, v[7:8], off offset:256
	s_waitcnt vmcnt(0)
	v_and_b32_e32 v1, 0xffff, v24
	v_cmp_ne_u16_sdwa s[4:5], v24, v2 src0_sel:BYTE_0 src1_sel:DWORD
	s_and_saveexec_b64 s[34:35], s[4:5]
	s_cbranch_execz .LBB248_39
; %bb.34:                               ;   in Loop: Header=BB248_9 Depth=1
	v_cmp_ne_u16_sdwa s[4:5], v1, s42 src0_sel:BYTE_0 src1_sel:DWORD
	v_mov_b32_e32 v22, 0x8000
	s_and_saveexec_b64 s[36:37], s[4:5]
	s_cbranch_execz .LBB248_38
; %bb.35:                               ;   in Loop: Header=BB248_9 Depth=1
	v_and_b32_e32 v24, 0x7f, v1
	v_cmp_ne_u32_e64 s[4:5], s43, v24
	v_mov_b32_e32 v22, 0x7c01
	s_and_saveexec_b64 s[38:39], s[4:5]
	s_cbranch_execz .LBB248_37
; %bb.36:                               ;   in Loop: Header=BB248_9 Depth=1
	v_and_b32_e32 v22, 7, v1
	v_ffbh_u32_e32 v25, v22
	v_min_u32_e32 v28, 32, v25
	v_subrev_u32_e32 v25, 28, v28
	v_lshlrev_b64 v[25:26], v25, v[1:2]
	v_lshrrev_b32_e32 v27, 3, v24
	v_sub_u32_e32 v26, 29, v28
	v_cmp_gt_u32_e64 s[4:5], 8, v24
	v_cndmask_b32_e64 v24, v27, v26, s[4:5]
	v_lshl_add_u32 v24, v24, 10, v16
	v_lshlrev_b32_e32 v26, 8, v1
	v_and_b32_e32 v25, 7, v25
	v_and_b32_e32 v24, 0xfc00, v24
	v_cndmask_b32_e64 v22, v22, v25, s[4:5]
	v_and_or_b32 v24, v26, s44, v24
	v_lshl_or_b32 v22, v22, 7, v24
.LBB248_37:                             ;   in Loop: Header=BB248_9 Depth=1
	s_or_b64 exec, exec, s[38:39]
.LBB248_38:                             ;   in Loop: Header=BB248_9 Depth=1
	s_or_b64 exec, exec, s[36:37]
.LBB248_39:                             ;   in Loop: Header=BB248_9 Depth=1
	s_or_b64 exec, exec, s[34:35]
	v_lshrrev_b16_e32 v1, 8, v1
	v_cmp_ne_u16_e64 s[4:5], 0, v1
	v_mov_b32_e32 v24, 0
	v_mov_b32_e32 v25, 0
	s_and_saveexec_b64 s[34:35], s[4:5]
	s_cbranch_execz .LBB248_45
; %bb.40:                               ;   in Loop: Header=BB248_9 Depth=1
	v_cmp_ne_u16_e64 s[4:5], s42, v1
	v_bfrev_b32_e32 v25, 1
	s_and_saveexec_b64 s[36:37], s[4:5]
	s_cbranch_execz .LBB248_44
; %bb.41:                               ;   in Loop: Header=BB248_9 Depth=1
	v_and_b32_e32 v26, 0x7f, v1
	v_cmp_ne_u32_e64 s[4:5], s43, v26
	v_mov_b32_e32 v25, 0x7c010000
	s_and_saveexec_b64 s[38:39], s[4:5]
	s_cbranch_execz .LBB248_43
; %bb.42:                               ;   in Loop: Header=BB248_9 Depth=1
	v_and_b32_e32 v25, 7, v1
	v_ffbh_u32_e32 v27, v25
	v_min_u32_e32 v30, 32, v27
	v_subrev_u32_e32 v27, 28, v30
	v_lshlrev_b64 v[27:28], v27, v[1:2]
	v_lshrrev_b32_e32 v29, 3, v26
	v_sub_u32_e32 v28, 29, v30
	v_cmp_gt_u32_e64 s[4:5], 8, v26
	v_cndmask_b32_e64 v26, v29, v28, s[4:5]
	v_lshlrev_b32_e32 v1, 8, v1
	v_lshl_add_u32 v26, v26, 10, v16
	v_and_b32_e32 v27, 7, v27
	v_and_or_b32 v1, v1, s44, v26
	v_cndmask_b32_e64 v25, v25, v27, s[4:5]
	v_lshlrev_b32_e32 v1, 16, v1
	v_lshl_or_b32 v25, v25, 23, v1
.LBB248_43:                             ;   in Loop: Header=BB248_9 Depth=1
	s_or_b64 exec, exec, s[38:39]
.LBB248_44:                             ;   in Loop: Header=BB248_9 Depth=1
	s_or_b64 exec, exec, s[36:37]
.LBB248_45:                             ;   in Loop: Header=BB248_9 Depth=1
	s_or_b64 exec, exec, s[34:35]
	global_load_ushort v26, v[7:8], off offset:264
	s_waitcnt vmcnt(0)
	v_and_b32_e32 v1, 0xffff, v26
	v_cmp_ne_u16_sdwa s[4:5], v26, v2 src0_sel:BYTE_0 src1_sel:DWORD
	s_and_saveexec_b64 s[34:35], s[4:5]
	s_cbranch_execz .LBB248_51
; %bb.46:                               ;   in Loop: Header=BB248_9 Depth=1
	v_cmp_ne_u16_sdwa s[4:5], v1, s42 src0_sel:BYTE_0 src1_sel:DWORD
	v_mov_b32_e32 v24, 0x8000
	s_and_saveexec_b64 s[36:37], s[4:5]
	s_cbranch_execz .LBB248_50
; %bb.47:                               ;   in Loop: Header=BB248_9 Depth=1
	v_and_b32_e32 v26, 0x7f, v1
	v_cmp_ne_u32_e64 s[4:5], s43, v26
	v_mov_b32_e32 v24, 0x7c01
	s_and_saveexec_b64 s[38:39], s[4:5]
	s_cbranch_execz .LBB248_49
; %bb.48:                               ;   in Loop: Header=BB248_9 Depth=1
	v_and_b32_e32 v24, 7, v1
	v_ffbh_u32_e32 v27, v24
	v_min_u32_e32 v30, 32, v27
	v_subrev_u32_e32 v27, 28, v30
	v_lshlrev_b64 v[27:28], v27, v[1:2]
	v_lshrrev_b32_e32 v29, 3, v26
	v_sub_u32_e32 v28, 29, v30
	v_cmp_gt_u32_e64 s[4:5], 8, v26
	v_cndmask_b32_e64 v26, v29, v28, s[4:5]
	v_lshl_add_u32 v26, v26, 10, v16
	v_lshlrev_b32_e32 v28, 8, v1
	v_and_b32_e32 v27, 7, v27
	v_and_b32_e32 v26, 0xfc00, v26
	v_cndmask_b32_e64 v24, v24, v27, s[4:5]
	v_and_or_b32 v26, v28, s44, v26
	v_lshl_or_b32 v24, v24, 7, v26
.LBB248_49:                             ;   in Loop: Header=BB248_9 Depth=1
	s_or_b64 exec, exec, s[38:39]
.LBB248_50:                             ;   in Loop: Header=BB248_9 Depth=1
	s_or_b64 exec, exec, s[36:37]
.LBB248_51:                             ;   in Loop: Header=BB248_9 Depth=1
	s_or_b64 exec, exec, s[34:35]
	v_lshrrev_b16_e32 v1, 8, v1
	v_cmp_ne_u16_e64 s[4:5], 0, v1
	v_mov_b32_e32 v26, 0
	v_mov_b32_e32 v27, 0
	s_and_saveexec_b64 s[34:35], s[4:5]
	s_cbranch_execz .LBB248_57
; %bb.52:                               ;   in Loop: Header=BB248_9 Depth=1
	v_cmp_ne_u16_e64 s[4:5], s42, v1
	v_bfrev_b32_e32 v27, 1
	s_and_saveexec_b64 s[36:37], s[4:5]
	s_cbranch_execz .LBB248_56
; %bb.53:                               ;   in Loop: Header=BB248_9 Depth=1
	v_and_b32_e32 v28, 0x7f, v1
	v_cmp_ne_u32_e64 s[4:5], s43, v28
	v_mov_b32_e32 v27, 0x7c010000
	s_and_saveexec_b64 s[38:39], s[4:5]
	s_cbranch_execz .LBB248_55
; %bb.54:                               ;   in Loop: Header=BB248_9 Depth=1
	v_and_b32_e32 v27, 7, v1
	v_ffbh_u32_e32 v29, v27
	v_min_u32_e32 v32, 32, v29
	v_subrev_u32_e32 v29, 28, v32
	v_lshlrev_b64 v[29:30], v29, v[1:2]
	v_lshrrev_b32_e32 v31, 3, v28
	v_sub_u32_e32 v30, 29, v32
	v_cmp_gt_u32_e64 s[4:5], 8, v28
	v_cndmask_b32_e64 v28, v31, v30, s[4:5]
	v_lshlrev_b32_e32 v1, 8, v1
	v_lshl_add_u32 v28, v28, 10, v16
	v_and_b32_e32 v29, 7, v29
	v_and_or_b32 v1, v1, s44, v28
	v_cndmask_b32_e64 v27, v27, v29, s[4:5]
	v_lshlrev_b32_e32 v1, 16, v1
	v_lshl_or_b32 v27, v27, 23, v1
.LBB248_55:                             ;   in Loop: Header=BB248_9 Depth=1
	s_or_b64 exec, exec, s[38:39]
.LBB248_56:                             ;   in Loop: Header=BB248_9 Depth=1
	s_or_b64 exec, exec, s[36:37]
.LBB248_57:                             ;   in Loop: Header=BB248_9 Depth=1
	s_or_b64 exec, exec, s[34:35]
	global_load_ushort v28, v[7:8], off offset:512
	s_waitcnt vmcnt(0)
	v_and_b32_e32 v1, 0xffff, v28
	v_cmp_ne_u16_sdwa s[4:5], v28, v2 src0_sel:BYTE_0 src1_sel:DWORD
	s_and_saveexec_b64 s[34:35], s[4:5]
	s_cbranch_execz .LBB248_63
; %bb.58:                               ;   in Loop: Header=BB248_9 Depth=1
	v_cmp_ne_u16_sdwa s[4:5], v1, s42 src0_sel:BYTE_0 src1_sel:DWORD
	v_mov_b32_e32 v26, 0x8000
	s_and_saveexec_b64 s[36:37], s[4:5]
	s_cbranch_execz .LBB248_62
; %bb.59:                               ;   in Loop: Header=BB248_9 Depth=1
	v_and_b32_e32 v28, 0x7f, v1
	v_cmp_ne_u32_e64 s[4:5], s43, v28
	v_mov_b32_e32 v26, 0x7c01
	s_and_saveexec_b64 s[38:39], s[4:5]
	s_cbranch_execz .LBB248_61
; %bb.60:                               ;   in Loop: Header=BB248_9 Depth=1
	v_and_b32_e32 v26, 7, v1
	v_ffbh_u32_e32 v29, v26
	v_min_u32_e32 v32, 32, v29
	v_subrev_u32_e32 v29, 28, v32
	v_lshlrev_b64 v[29:30], v29, v[1:2]
	v_lshrrev_b32_e32 v31, 3, v28
	v_sub_u32_e32 v30, 29, v32
	v_cmp_gt_u32_e64 s[4:5], 8, v28
	v_cndmask_b32_e64 v28, v31, v30, s[4:5]
	v_lshl_add_u32 v28, v28, 10, v16
	v_lshlrev_b32_e32 v30, 8, v1
	v_and_b32_e32 v29, 7, v29
	v_and_b32_e32 v28, 0xfc00, v28
	v_cndmask_b32_e64 v26, v26, v29, s[4:5]
	v_and_or_b32 v28, v30, s44, v28
	v_lshl_or_b32 v26, v26, 7, v28
.LBB248_61:                             ;   in Loop: Header=BB248_9 Depth=1
	s_or_b64 exec, exec, s[38:39]
.LBB248_62:                             ;   in Loop: Header=BB248_9 Depth=1
	s_or_b64 exec, exec, s[36:37]
.LBB248_63:                             ;   in Loop: Header=BB248_9 Depth=1
	s_or_b64 exec, exec, s[34:35]
	v_lshrrev_b16_e32 v1, 8, v1
	v_cmp_ne_u16_e64 s[4:5], 0, v1
	v_mov_b32_e32 v28, 0
	v_mov_b32_e32 v29, 0
	s_and_saveexec_b64 s[34:35], s[4:5]
	s_cbranch_execz .LBB248_69
; %bb.64:                               ;   in Loop: Header=BB248_9 Depth=1
	v_cmp_ne_u16_e64 s[4:5], s42, v1
	v_bfrev_b32_e32 v29, 1
	s_and_saveexec_b64 s[36:37], s[4:5]
	s_cbranch_execz .LBB248_68
; %bb.65:                               ;   in Loop: Header=BB248_9 Depth=1
	v_and_b32_e32 v30, 0x7f, v1
	v_cmp_ne_u32_e64 s[4:5], s43, v30
	v_mov_b32_e32 v29, 0x7c010000
	s_and_saveexec_b64 s[38:39], s[4:5]
	s_cbranch_execz .LBB248_67
; %bb.66:                               ;   in Loop: Header=BB248_9 Depth=1
	v_and_b32_e32 v29, 7, v1
	v_ffbh_u32_e32 v31, v29
	v_min_u32_e32 v34, 32, v31
	v_subrev_u32_e32 v31, 28, v34
	v_lshlrev_b64 v[31:32], v31, v[1:2]
	v_lshrrev_b32_e32 v33, 3, v30
	v_sub_u32_e32 v32, 29, v34
	v_cmp_gt_u32_e64 s[4:5], 8, v30
	v_cndmask_b32_e64 v30, v33, v32, s[4:5]
	v_lshlrev_b32_e32 v1, 8, v1
	v_lshl_add_u32 v30, v30, 10, v16
	v_and_b32_e32 v31, 7, v31
	v_and_or_b32 v1, v1, s44, v30
	v_cndmask_b32_e64 v29, v29, v31, s[4:5]
	v_lshlrev_b32_e32 v1, 16, v1
	v_lshl_or_b32 v29, v29, 23, v1
.LBB248_67:                             ;   in Loop: Header=BB248_9 Depth=1
	s_or_b64 exec, exec, s[38:39]
.LBB248_68:                             ;   in Loop: Header=BB248_9 Depth=1
	s_or_b64 exec, exec, s[36:37]
.LBB248_69:                             ;   in Loop: Header=BB248_9 Depth=1
	s_or_b64 exec, exec, s[34:35]
	global_load_ushort v30, v[7:8], off offset:520
	s_waitcnt vmcnt(0)
	v_and_b32_e32 v1, 0xffff, v30
	v_cmp_ne_u16_sdwa s[4:5], v30, v2 src0_sel:BYTE_0 src1_sel:DWORD
	s_and_saveexec_b64 s[34:35], s[4:5]
	s_cbranch_execz .LBB248_75
; %bb.70:                               ;   in Loop: Header=BB248_9 Depth=1
	v_cmp_ne_u16_sdwa s[4:5], v1, s42 src0_sel:BYTE_0 src1_sel:DWORD
	v_mov_b32_e32 v28, 0x8000
	s_and_saveexec_b64 s[36:37], s[4:5]
	s_cbranch_execz .LBB248_74
; %bb.71:                               ;   in Loop: Header=BB248_9 Depth=1
	v_and_b32_e32 v30, 0x7f, v1
	v_cmp_ne_u32_e64 s[4:5], s43, v30
	v_mov_b32_e32 v28, 0x7c01
	s_and_saveexec_b64 s[38:39], s[4:5]
	s_cbranch_execz .LBB248_73
; %bb.72:                               ;   in Loop: Header=BB248_9 Depth=1
	v_and_b32_e32 v28, 7, v1
	v_ffbh_u32_e32 v31, v28
	v_min_u32_e32 v34, 32, v31
	v_subrev_u32_e32 v31, 28, v34
	v_lshlrev_b64 v[31:32], v31, v[1:2]
	v_lshrrev_b32_e32 v33, 3, v30
	v_sub_u32_e32 v32, 29, v34
	v_cmp_gt_u32_e64 s[4:5], 8, v30
	v_cndmask_b32_e64 v30, v33, v32, s[4:5]
	v_lshl_add_u32 v30, v30, 10, v16
	v_lshlrev_b32_e32 v32, 8, v1
	v_and_b32_e32 v31, 7, v31
	v_and_b32_e32 v30, 0xfc00, v30
	v_cndmask_b32_e64 v28, v28, v31, s[4:5]
	v_and_or_b32 v30, v32, s44, v30
	v_lshl_or_b32 v28, v28, 7, v30
.LBB248_73:                             ;   in Loop: Header=BB248_9 Depth=1
	s_or_b64 exec, exec, s[38:39]
.LBB248_74:                             ;   in Loop: Header=BB248_9 Depth=1
	s_or_b64 exec, exec, s[36:37]
.LBB248_75:                             ;   in Loop: Header=BB248_9 Depth=1
	s_or_b64 exec, exec, s[34:35]
	v_lshrrev_b16_e32 v1, 8, v1
	v_cmp_ne_u16_e64 s[4:5], 0, v1
	v_mov_b32_e32 v31, 0
	v_mov_b32_e32 v30, 0
	s_and_saveexec_b64 s[34:35], s[4:5]
	s_cbranch_execz .LBB248_81
; %bb.76:                               ;   in Loop: Header=BB248_9 Depth=1
	v_cmp_ne_u16_e64 s[4:5], s42, v1
	v_bfrev_b32_e32 v30, 1
	s_and_saveexec_b64 s[36:37], s[4:5]
	s_cbranch_execz .LBB248_80
; %bb.77:                               ;   in Loop: Header=BB248_9 Depth=1
	v_and_b32_e32 v32, 0x7f, v1
	v_cmp_ne_u32_e64 s[4:5], s43, v32
	v_mov_b32_e32 v30, 0x7c010000
	s_and_saveexec_b64 s[38:39], s[4:5]
	s_cbranch_execz .LBB248_79
; %bb.78:                               ;   in Loop: Header=BB248_9 Depth=1
	v_and_b32_e32 v30, 7, v1
	v_ffbh_u32_e32 v33, v30
	v_min_u32_e32 v36, 32, v33
	v_subrev_u32_e32 v33, 28, v36
	v_lshlrev_b64 v[33:34], v33, v[1:2]
	v_lshrrev_b32_e32 v35, 3, v32
	v_sub_u32_e32 v34, 29, v36
	v_cmp_gt_u32_e64 s[4:5], 8, v32
	v_cndmask_b32_e64 v32, v35, v34, s[4:5]
	v_lshlrev_b32_e32 v1, 8, v1
	v_lshl_add_u32 v32, v32, 10, v16
	v_and_b32_e32 v33, 7, v33
	v_and_or_b32 v1, v1, s44, v32
	v_cndmask_b32_e64 v30, v30, v33, s[4:5]
	v_lshlrev_b32_e32 v1, 16, v1
	v_lshl_or_b32 v30, v30, 23, v1
.LBB248_79:                             ;   in Loop: Header=BB248_9 Depth=1
	s_or_b64 exec, exec, s[38:39]
.LBB248_80:                             ;   in Loop: Header=BB248_9 Depth=1
	s_or_b64 exec, exec, s[36:37]
.LBB248_81:                             ;   in Loop: Header=BB248_9 Depth=1
	s_or_b64 exec, exec, s[34:35]
	global_load_ushort v32, v[7:8], off offset:768
	s_waitcnt vmcnt(0)
	v_and_b32_e32 v1, 0xffff, v32
	v_cmp_ne_u16_sdwa s[4:5], v32, v2 src0_sel:BYTE_0 src1_sel:DWORD
	s_and_saveexec_b64 s[34:35], s[4:5]
	s_cbranch_execz .LBB248_87
; %bb.82:                               ;   in Loop: Header=BB248_9 Depth=1
	v_cmp_ne_u16_sdwa s[4:5], v1, s42 src0_sel:BYTE_0 src1_sel:DWORD
	v_mov_b32_e32 v31, 0x8000
	s_and_saveexec_b64 s[36:37], s[4:5]
	s_cbranch_execz .LBB248_86
; %bb.83:                               ;   in Loop: Header=BB248_9 Depth=1
	v_and_b32_e32 v32, 0x7f, v1
	v_cmp_ne_u32_e64 s[4:5], s43, v32
	v_mov_b32_e32 v31, 0x7c01
	s_and_saveexec_b64 s[38:39], s[4:5]
	s_cbranch_execz .LBB248_85
; %bb.84:                               ;   in Loop: Header=BB248_9 Depth=1
	v_and_b32_e32 v31, 7, v1
	v_ffbh_u32_e32 v33, v31
	v_min_u32_e32 v36, 32, v33
	v_subrev_u32_e32 v33, 28, v36
	v_lshlrev_b64 v[33:34], v33, v[1:2]
	v_lshrrev_b32_e32 v35, 3, v32
	v_sub_u32_e32 v34, 29, v36
	v_cmp_gt_u32_e64 s[4:5], 8, v32
	v_cndmask_b32_e64 v32, v35, v34, s[4:5]
	v_lshl_add_u32 v32, v32, 10, v16
	v_lshlrev_b32_e32 v34, 8, v1
	v_and_b32_e32 v33, 7, v33
	v_and_b32_e32 v32, 0xfc00, v32
	v_cndmask_b32_e64 v31, v31, v33, s[4:5]
	v_and_or_b32 v32, v34, s44, v32
	v_lshl_or_b32 v31, v31, 7, v32
.LBB248_85:                             ;   in Loop: Header=BB248_9 Depth=1
	s_or_b64 exec, exec, s[38:39]
.LBB248_86:                             ;   in Loop: Header=BB248_9 Depth=1
	s_or_b64 exec, exec, s[36:37]
.LBB248_87:                             ;   in Loop: Header=BB248_9 Depth=1
	s_or_b64 exec, exec, s[34:35]
	v_lshrrev_b16_e32 v1, 8, v1
	v_cmp_ne_u16_e64 s[4:5], 0, v1
	v_mov_b32_e32 v33, 0
	v_mov_b32_e32 v32, 0
	s_and_saveexec_b64 s[34:35], s[4:5]
	s_cbranch_execz .LBB248_93
; %bb.88:                               ;   in Loop: Header=BB248_9 Depth=1
	v_cmp_ne_u16_e64 s[4:5], s42, v1
	v_bfrev_b32_e32 v32, 1
	s_and_saveexec_b64 s[36:37], s[4:5]
	s_cbranch_execz .LBB248_92
; %bb.89:                               ;   in Loop: Header=BB248_9 Depth=1
	v_and_b32_e32 v34, 0x7f, v1
	v_cmp_ne_u32_e64 s[4:5], s43, v34
	v_mov_b32_e32 v32, 0x7c010000
	s_and_saveexec_b64 s[38:39], s[4:5]
	s_cbranch_execz .LBB248_91
; %bb.90:                               ;   in Loop: Header=BB248_9 Depth=1
	v_and_b32_e32 v32, 7, v1
	v_ffbh_u32_e32 v35, v32
	v_min_u32_e32 v38, 32, v35
	v_subrev_u32_e32 v35, 28, v38
	v_lshlrev_b64 v[35:36], v35, v[1:2]
	v_lshrrev_b32_e32 v37, 3, v34
	v_sub_u32_e32 v36, 29, v38
	v_cmp_gt_u32_e64 s[4:5], 8, v34
	v_cndmask_b32_e64 v34, v37, v36, s[4:5]
	v_lshlrev_b32_e32 v1, 8, v1
	v_lshl_add_u32 v34, v34, 10, v16
	v_and_b32_e32 v35, 7, v35
	v_and_or_b32 v1, v1, s44, v34
	v_cndmask_b32_e64 v32, v32, v35, s[4:5]
	v_lshlrev_b32_e32 v1, 16, v1
	v_lshl_or_b32 v32, v32, 23, v1
.LBB248_91:                             ;   in Loop: Header=BB248_9 Depth=1
	s_or_b64 exec, exec, s[38:39]
.LBB248_92:                             ;   in Loop: Header=BB248_9 Depth=1
	s_or_b64 exec, exec, s[36:37]
.LBB248_93:                             ;   in Loop: Header=BB248_9 Depth=1
	s_or_b64 exec, exec, s[34:35]
	global_load_ushort v34, v[7:8], off offset:776
	s_waitcnt vmcnt(0)
	v_and_b32_e32 v1, 0xffff, v34
	v_cmp_ne_u16_sdwa s[4:5], v34, v2 src0_sel:BYTE_0 src1_sel:DWORD
	s_and_saveexec_b64 s[34:35], s[4:5]
	s_cbranch_execz .LBB248_99
; %bb.94:                               ;   in Loop: Header=BB248_9 Depth=1
	v_cmp_ne_u16_sdwa s[4:5], v1, s42 src0_sel:BYTE_0 src1_sel:DWORD
	v_mov_b32_e32 v33, 0x8000
	s_and_saveexec_b64 s[36:37], s[4:5]
	s_cbranch_execz .LBB248_98
; %bb.95:                               ;   in Loop: Header=BB248_9 Depth=1
	v_and_b32_e32 v34, 0x7f, v1
	v_cmp_ne_u32_e64 s[4:5], s43, v34
	v_mov_b32_e32 v33, 0x7c01
	s_and_saveexec_b64 s[38:39], s[4:5]
	s_cbranch_execz .LBB248_97
; %bb.96:                               ;   in Loop: Header=BB248_9 Depth=1
	v_and_b32_e32 v33, 7, v1
	v_ffbh_u32_e32 v35, v33
	v_min_u32_e32 v38, 32, v35
	v_subrev_u32_e32 v35, 28, v38
	v_lshlrev_b64 v[35:36], v35, v[1:2]
	v_lshrrev_b32_e32 v37, 3, v34
	v_sub_u32_e32 v36, 29, v38
	v_cmp_gt_u32_e64 s[4:5], 8, v34
	v_cndmask_b32_e64 v34, v37, v36, s[4:5]
	v_lshl_add_u32 v34, v34, 10, v16
	v_lshlrev_b32_e32 v36, 8, v1
	v_and_b32_e32 v35, 7, v35
	v_and_b32_e32 v34, 0xfc00, v34
	v_cndmask_b32_e64 v33, v33, v35, s[4:5]
	v_and_or_b32 v34, v36, s44, v34
	v_lshl_or_b32 v33, v33, 7, v34
.LBB248_97:                             ;   in Loop: Header=BB248_9 Depth=1
	s_or_b64 exec, exec, s[38:39]
.LBB248_98:                             ;   in Loop: Header=BB248_9 Depth=1
	s_or_b64 exec, exec, s[36:37]
.LBB248_99:                             ;   in Loop: Header=BB248_9 Depth=1
	s_or_b64 exec, exec, s[34:35]
	v_lshrrev_b16_e32 v1, 8, v1
	v_cmp_ne_u16_e64 s[4:5], 0, v1
	v_mov_b32_e32 v35, 0
	v_mov_b32_e32 v34, 0
	s_and_saveexec_b64 s[34:35], s[4:5]
	s_cbranch_execz .LBB248_105
; %bb.100:                              ;   in Loop: Header=BB248_9 Depth=1
	v_cmp_ne_u16_e64 s[4:5], s42, v1
	v_bfrev_b32_e32 v34, 1
	s_and_saveexec_b64 s[36:37], s[4:5]
	s_cbranch_execz .LBB248_104
; %bb.101:                              ;   in Loop: Header=BB248_9 Depth=1
	v_and_b32_e32 v36, 0x7f, v1
	v_cmp_ne_u32_e64 s[4:5], s43, v36
	v_mov_b32_e32 v34, 0x7c010000
	s_and_saveexec_b64 s[38:39], s[4:5]
	s_cbranch_execz .LBB248_103
; %bb.102:                              ;   in Loop: Header=BB248_9 Depth=1
	v_and_b32_e32 v34, 7, v1
	v_ffbh_u32_e32 v37, v34
	v_min_u32_e32 v40, 32, v37
	v_subrev_u32_e32 v37, 28, v40
	v_lshlrev_b64 v[37:38], v37, v[1:2]
	v_lshrrev_b32_e32 v39, 3, v36
	v_sub_u32_e32 v38, 29, v40
	v_cmp_gt_u32_e64 s[4:5], 8, v36
	v_cndmask_b32_e64 v36, v39, v38, s[4:5]
	v_lshlrev_b32_e32 v1, 8, v1
	v_lshl_add_u32 v36, v36, 10, v16
	v_and_b32_e32 v37, 7, v37
	v_and_or_b32 v1, v1, s44, v36
	v_cndmask_b32_e64 v34, v34, v37, s[4:5]
	v_lshlrev_b32_e32 v1, 16, v1
	v_lshl_or_b32 v34, v34, 23, v1
.LBB248_103:                            ;   in Loop: Header=BB248_9 Depth=1
	s_or_b64 exec, exec, s[38:39]
.LBB248_104:                            ;   in Loop: Header=BB248_9 Depth=1
	s_or_b64 exec, exec, s[36:37]
.LBB248_105:                            ;   in Loop: Header=BB248_9 Depth=1
	s_or_b64 exec, exec, s[34:35]
	global_load_ushort v36, v[7:8], off offset:1024
	s_waitcnt vmcnt(0)
	v_and_b32_e32 v1, 0xffff, v36
	v_cmp_ne_u16_sdwa s[4:5], v36, v2 src0_sel:BYTE_0 src1_sel:DWORD
	s_and_saveexec_b64 s[34:35], s[4:5]
	s_cbranch_execz .LBB248_111
; %bb.106:                              ;   in Loop: Header=BB248_9 Depth=1
	v_cmp_ne_u16_sdwa s[4:5], v1, s42 src0_sel:BYTE_0 src1_sel:DWORD
	v_mov_b32_e32 v35, 0x8000
	s_and_saveexec_b64 s[36:37], s[4:5]
	s_cbranch_execz .LBB248_110
; %bb.107:                              ;   in Loop: Header=BB248_9 Depth=1
	v_and_b32_e32 v36, 0x7f, v1
	v_cmp_ne_u32_e64 s[4:5], s43, v36
	v_mov_b32_e32 v35, 0x7c01
	s_and_saveexec_b64 s[38:39], s[4:5]
	s_cbranch_execz .LBB248_109
; %bb.108:                              ;   in Loop: Header=BB248_9 Depth=1
	v_and_b32_e32 v35, 7, v1
	v_ffbh_u32_e32 v37, v35
	v_min_u32_e32 v40, 32, v37
	v_subrev_u32_e32 v37, 28, v40
	v_lshlrev_b64 v[37:38], v37, v[1:2]
	v_lshrrev_b32_e32 v39, 3, v36
	v_sub_u32_e32 v38, 29, v40
	v_cmp_gt_u32_e64 s[4:5], 8, v36
	v_cndmask_b32_e64 v36, v39, v38, s[4:5]
	v_lshl_add_u32 v36, v36, 10, v16
	v_lshlrev_b32_e32 v38, 8, v1
	v_and_b32_e32 v37, 7, v37
	v_and_b32_e32 v36, 0xfc00, v36
	v_cndmask_b32_e64 v35, v35, v37, s[4:5]
	v_and_or_b32 v36, v38, s44, v36
	v_lshl_or_b32 v35, v35, 7, v36
.LBB248_109:                            ;   in Loop: Header=BB248_9 Depth=1
	s_or_b64 exec, exec, s[38:39]
.LBB248_110:                            ;   in Loop: Header=BB248_9 Depth=1
	s_or_b64 exec, exec, s[36:37]
.LBB248_111:                            ;   in Loop: Header=BB248_9 Depth=1
	s_or_b64 exec, exec, s[34:35]
	v_lshrrev_b16_e32 v1, 8, v1
	v_cmp_ne_u16_e64 s[4:5], 0, v1
	v_mov_b32_e32 v37, 0
	v_mov_b32_e32 v36, 0
	s_and_saveexec_b64 s[34:35], s[4:5]
	s_cbranch_execz .LBB248_117
; %bb.112:                              ;   in Loop: Header=BB248_9 Depth=1
	v_cmp_ne_u16_e64 s[4:5], s42, v1
	v_bfrev_b32_e32 v36, 1
	s_and_saveexec_b64 s[36:37], s[4:5]
	s_cbranch_execz .LBB248_116
; %bb.113:                              ;   in Loop: Header=BB248_9 Depth=1
	v_and_b32_e32 v38, 0x7f, v1
	v_cmp_ne_u32_e64 s[4:5], s43, v38
	v_mov_b32_e32 v36, 0x7c010000
	s_and_saveexec_b64 s[38:39], s[4:5]
	s_cbranch_execz .LBB248_115
; %bb.114:                              ;   in Loop: Header=BB248_9 Depth=1
	v_and_b32_e32 v36, 7, v1
	v_ffbh_u32_e32 v39, v36
	v_min_u32_e32 v42, 32, v39
	v_subrev_u32_e32 v39, 28, v42
	v_lshlrev_b64 v[39:40], v39, v[1:2]
	v_lshrrev_b32_e32 v41, 3, v38
	v_sub_u32_e32 v40, 29, v42
	v_cmp_gt_u32_e64 s[4:5], 8, v38
	v_cndmask_b32_e64 v38, v41, v40, s[4:5]
	v_lshlrev_b32_e32 v1, 8, v1
	v_lshl_add_u32 v38, v38, 10, v16
	v_and_b32_e32 v39, 7, v39
	v_and_or_b32 v1, v1, s44, v38
	v_cndmask_b32_e64 v36, v36, v39, s[4:5]
	v_lshlrev_b32_e32 v1, 16, v1
	v_lshl_or_b32 v36, v36, 23, v1
.LBB248_115:                            ;   in Loop: Header=BB248_9 Depth=1
	s_or_b64 exec, exec, s[38:39]
.LBB248_116:                            ;   in Loop: Header=BB248_9 Depth=1
	s_or_b64 exec, exec, s[36:37]
.LBB248_117:                            ;   in Loop: Header=BB248_9 Depth=1
	s_or_b64 exec, exec, s[34:35]
	global_load_ushort v38, v[7:8], off offset:1032
	s_waitcnt vmcnt(0)
	v_and_b32_e32 v1, 0xffff, v38
	v_cmp_ne_u16_sdwa s[4:5], v38, v2 src0_sel:BYTE_0 src1_sel:DWORD
	s_and_saveexec_b64 s[34:35], s[4:5]
	s_cbranch_execz .LBB248_123
; %bb.118:                              ;   in Loop: Header=BB248_9 Depth=1
	v_cmp_ne_u16_sdwa s[4:5], v1, s42 src0_sel:BYTE_0 src1_sel:DWORD
	v_mov_b32_e32 v37, 0x8000
	s_and_saveexec_b64 s[36:37], s[4:5]
	s_cbranch_execz .LBB248_122
; %bb.119:                              ;   in Loop: Header=BB248_9 Depth=1
	v_and_b32_e32 v38, 0x7f, v1
	v_cmp_ne_u32_e64 s[4:5], s43, v38
	v_mov_b32_e32 v37, 0x7c01
	s_and_saveexec_b64 s[38:39], s[4:5]
	s_cbranch_execz .LBB248_121
; %bb.120:                              ;   in Loop: Header=BB248_9 Depth=1
	v_and_b32_e32 v37, 7, v1
	v_ffbh_u32_e32 v39, v37
	v_min_u32_e32 v42, 32, v39
	v_subrev_u32_e32 v39, 28, v42
	v_lshlrev_b64 v[39:40], v39, v[1:2]
	v_lshrrev_b32_e32 v41, 3, v38
	v_sub_u32_e32 v40, 29, v42
	v_cmp_gt_u32_e64 s[4:5], 8, v38
	v_cndmask_b32_e64 v38, v41, v40, s[4:5]
	v_lshl_add_u32 v38, v38, 10, v16
	v_lshlrev_b32_e32 v40, 8, v1
	v_and_b32_e32 v39, 7, v39
	v_and_b32_e32 v38, 0xfc00, v38
	v_cndmask_b32_e64 v37, v37, v39, s[4:5]
	v_and_or_b32 v38, v40, s44, v38
	v_lshl_or_b32 v37, v37, 7, v38
.LBB248_121:                            ;   in Loop: Header=BB248_9 Depth=1
	s_or_b64 exec, exec, s[38:39]
.LBB248_122:                            ;   in Loop: Header=BB248_9 Depth=1
	s_or_b64 exec, exec, s[36:37]
.LBB248_123:                            ;   in Loop: Header=BB248_9 Depth=1
	s_or_b64 exec, exec, s[34:35]
	v_lshrrev_b16_e32 v1, 8, v1
	v_cmp_ne_u16_e64 s[4:5], 0, v1
	v_mov_b32_e32 v40, 0
	v_mov_b32_e32 v39, 0
	s_and_saveexec_b64 s[34:35], s[4:5]
	s_cbranch_execz .LBB248_129
; %bb.124:                              ;   in Loop: Header=BB248_9 Depth=1
	v_cmp_ne_u16_e64 s[4:5], s42, v1
	v_bfrev_b32_e32 v39, 1
	s_and_saveexec_b64 s[36:37], s[4:5]
	s_cbranch_execz .LBB248_128
; %bb.125:                              ;   in Loop: Header=BB248_9 Depth=1
	v_and_b32_e32 v38, 0x7f, v1
	v_cmp_ne_u32_e64 s[4:5], s43, v38
	v_mov_b32_e32 v39, 0x7c010000
	s_and_saveexec_b64 s[38:39], s[4:5]
	s_cbranch_execz .LBB248_127
; %bb.126:                              ;   in Loop: Header=BB248_9 Depth=1
	v_and_b32_e32 v39, 7, v1
	v_ffbh_u32_e32 v41, v39
	v_min_u32_e32 v44, 32, v41
	v_subrev_u32_e32 v41, 28, v44
	v_lshlrev_b64 v[41:42], v41, v[1:2]
	v_lshrrev_b32_e32 v43, 3, v38
	v_sub_u32_e32 v42, 29, v44
	v_cmp_gt_u32_e64 s[4:5], 8, v38
	v_cndmask_b32_e64 v38, v43, v42, s[4:5]
	v_lshlrev_b32_e32 v1, 8, v1
	v_lshl_add_u32 v38, v38, 10, v16
	v_and_b32_e32 v41, 7, v41
	v_and_or_b32 v1, v1, s44, v38
	v_cndmask_b32_e64 v39, v39, v41, s[4:5]
	v_lshlrev_b32_e32 v1, 16, v1
	v_lshl_or_b32 v39, v39, 23, v1
.LBB248_127:                            ;   in Loop: Header=BB248_9 Depth=1
	s_or_b64 exec, exec, s[38:39]
.LBB248_128:                            ;   in Loop: Header=BB248_9 Depth=1
	s_or_b64 exec, exec, s[36:37]
.LBB248_129:                            ;   in Loop: Header=BB248_9 Depth=1
	s_or_b64 exec, exec, s[34:35]
	global_load_ushort v38, v[7:8], off offset:1280
	s_waitcnt vmcnt(0)
	v_and_b32_e32 v1, 0xffff, v38
	v_cmp_ne_u16_sdwa s[4:5], v38, v2 src0_sel:BYTE_0 src1_sel:DWORD
	s_and_saveexec_b64 s[34:35], s[4:5]
	s_cbranch_execz .LBB248_135
; %bb.130:                              ;   in Loop: Header=BB248_9 Depth=1
	v_cmp_ne_u16_sdwa s[4:5], v1, s42 src0_sel:BYTE_0 src1_sel:DWORD
	v_mov_b32_e32 v40, 0x8000
	s_and_saveexec_b64 s[36:37], s[4:5]
	s_cbranch_execz .LBB248_134
; %bb.131:                              ;   in Loop: Header=BB248_9 Depth=1
	v_and_b32_e32 v38, 0x7f, v1
	v_cmp_ne_u32_e64 s[4:5], s43, v38
	v_mov_b32_e32 v40, 0x7c01
	s_and_saveexec_b64 s[38:39], s[4:5]
	s_cbranch_execz .LBB248_133
; %bb.132:                              ;   in Loop: Header=BB248_9 Depth=1
	v_and_b32_e32 v42, 7, v1
	v_ffbh_u32_e32 v40, v42
	v_min_u32_e32 v44, 32, v40
	v_subrev_u32_e32 v40, 28, v44
	v_lshlrev_b64 v[40:41], v40, v[1:2]
	v_lshrrev_b32_e32 v43, 3, v38
	v_sub_u32_e32 v41, 29, v44
	v_cmp_gt_u32_e64 s[4:5], 8, v38
	v_cndmask_b32_e64 v38, v43, v41, s[4:5]
	v_lshl_add_u32 v38, v38, 10, v16
	v_lshlrev_b32_e32 v41, 8, v1
	v_and_b32_e32 v40, 7, v40
	v_and_b32_e32 v38, 0xfc00, v38
	v_cndmask_b32_e64 v40, v42, v40, s[4:5]
	v_and_or_b32 v38, v41, s44, v38
	v_lshl_or_b32 v40, v40, 7, v38
.LBB248_133:                            ;   in Loop: Header=BB248_9 Depth=1
	s_or_b64 exec, exec, s[38:39]
.LBB248_134:                            ;   in Loop: Header=BB248_9 Depth=1
	s_or_b64 exec, exec, s[36:37]
.LBB248_135:                            ;   in Loop: Header=BB248_9 Depth=1
	s_or_b64 exec, exec, s[34:35]
	v_lshrrev_b16_e32 v1, 8, v1
	v_cmp_ne_u16_e64 s[4:5], 0, v1
	v_mov_b32_e32 v38, 0
	v_mov_b32_e32 v42, 0
	s_and_saveexec_b64 s[34:35], s[4:5]
	s_cbranch_execz .LBB248_141
; %bb.136:                              ;   in Loop: Header=BB248_9 Depth=1
	v_cmp_ne_u16_e64 s[4:5], s42, v1
	v_bfrev_b32_e32 v42, 1
	s_and_saveexec_b64 s[36:37], s[4:5]
	s_cbranch_execz .LBB248_140
; %bb.137:                              ;   in Loop: Header=BB248_9 Depth=1
	v_and_b32_e32 v41, 0x7f, v1
	v_cmp_ne_u32_e64 s[4:5], s43, v41
	v_mov_b32_e32 v42, 0x7c010000
	s_and_saveexec_b64 s[38:39], s[4:5]
	s_cbranch_execz .LBB248_139
; %bb.138:                              ;   in Loop: Header=BB248_9 Depth=1
	v_and_b32_e32 v44, 7, v1
	v_ffbh_u32_e32 v42, v44
	v_min_u32_e32 v46, 32, v42
	v_subrev_u32_e32 v42, 28, v46
	v_lshlrev_b64 v[42:43], v42, v[1:2]
	v_lshrrev_b32_e32 v45, 3, v41
	v_sub_u32_e32 v43, 29, v46
	v_cmp_gt_u32_e64 s[4:5], 8, v41
	v_cndmask_b32_e64 v41, v45, v43, s[4:5]
	v_lshlrev_b32_e32 v1, 8, v1
	v_lshl_add_u32 v41, v41, 10, v16
	v_and_b32_e32 v42, 7, v42
	v_and_or_b32 v1, v1, s44, v41
	v_cndmask_b32_e64 v42, v44, v42, s[4:5]
	v_lshlrev_b32_e32 v1, 16, v1
	v_lshl_or_b32 v42, v42, 23, v1
.LBB248_139:                            ;   in Loop: Header=BB248_9 Depth=1
	s_or_b64 exec, exec, s[38:39]
.LBB248_140:                            ;   in Loop: Header=BB248_9 Depth=1
	s_or_b64 exec, exec, s[36:37]
.LBB248_141:                            ;   in Loop: Header=BB248_9 Depth=1
	s_or_b64 exec, exec, s[34:35]
	global_load_ushort v7, v[7:8], off offset:1288
	s_waitcnt vmcnt(0)
	v_and_b32_e32 v1, 0xffff, v7
	v_cmp_ne_u16_sdwa s[4:5], v7, v2 src0_sel:BYTE_0 src1_sel:DWORD
	s_and_saveexec_b64 s[34:35], s[4:5]
	s_cbranch_execz .LBB248_147
; %bb.142:                              ;   in Loop: Header=BB248_9 Depth=1
	v_cmp_ne_u16_sdwa s[4:5], v1, s42 src0_sel:BYTE_0 src1_sel:DWORD
	v_mov_b32_e32 v38, 0x8000
	s_and_saveexec_b64 s[36:37], s[4:5]
	s_cbranch_execz .LBB248_146
; %bb.143:                              ;   in Loop: Header=BB248_9 Depth=1
	v_and_b32_e32 v7, 0x7f, v1
	v_cmp_ne_u32_e64 s[4:5], s43, v7
	v_mov_b32_e32 v38, 0x7c01
	s_and_saveexec_b64 s[38:39], s[4:5]
	s_cbranch_execz .LBB248_145
; %bb.144:                              ;   in Loop: Header=BB248_9 Depth=1
	v_and_b32_e32 v8, 7, v1
	v_ffbh_u32_e32 v41, v8
	v_min_u32_e32 v41, 32, v41
	v_lshrrev_b32_e32 v38, 3, v7
	v_subrev_u32_e32 v43, 28, v41
	v_sub_u32_e32 v41, 29, v41
	v_cmp_gt_u32_e64 s[4:5], 8, v7
	v_lshlrev_b64 v[43:44], v43, v[1:2]
	v_cndmask_b32_e64 v7, v38, v41, s[4:5]
	v_lshl_add_u32 v7, v7, 10, v16
	v_lshlrev_b32_e32 v38, 8, v1
	v_and_b32_e32 v41, 7, v43
	v_and_b32_e32 v7, 0xfc00, v7
	v_cndmask_b32_e64 v8, v8, v41, s[4:5]
	v_and_or_b32 v7, v38, s44, v7
	v_lshl_or_b32 v38, v8, 7, v7
.LBB248_145:                            ;   in Loop: Header=BB248_9 Depth=1
	s_or_b64 exec, exec, s[38:39]
.LBB248_146:                            ;   in Loop: Header=BB248_9 Depth=1
	s_or_b64 exec, exec, s[36:37]
.LBB248_147:                            ;   in Loop: Header=BB248_9 Depth=1
	s_or_b64 exec, exec, s[34:35]
	v_lshrrev_b16_e32 v1, 8, v1
	v_cmp_ne_u16_e64 s[4:5], 0, v1
	v_mov_b32_e32 v41, 0
	s_and_saveexec_b64 s[34:35], s[4:5]
	s_cbranch_execz .LBB248_153
; %bb.148:                              ;   in Loop: Header=BB248_9 Depth=1
	v_cmp_ne_u16_e64 s[4:5], s42, v1
	v_bfrev_b32_e32 v41, 1
	s_and_saveexec_b64 s[36:37], s[4:5]
	s_cbranch_execz .LBB248_152
; %bb.149:                              ;   in Loop: Header=BB248_9 Depth=1
	v_and_b32_e32 v7, 0x7f, v1
	v_cmp_ne_u32_e64 s[4:5], s43, v7
	v_mov_b32_e32 v41, 0x7c010000
	s_and_saveexec_b64 s[38:39], s[4:5]
	s_cbranch_execz .LBB248_151
; %bb.150:                              ;   in Loop: Header=BB248_9 Depth=1
	v_and_b32_e32 v8, 7, v1
	v_ffbh_u32_e32 v43, v8
	v_min_u32_e32 v45, 32, v43
	v_subrev_u32_e32 v43, 28, v45
	v_lshlrev_b64 v[43:44], v43, v[1:2]
	v_lshrrev_b32_e32 v41, 3, v7
	v_sub_u32_e32 v44, 29, v45
	v_cmp_gt_u32_e64 s[4:5], 8, v7
	v_cndmask_b32_e64 v7, v41, v44, s[4:5]
	v_lshlrev_b32_e32 v1, 8, v1
	v_lshl_add_u32 v7, v7, 10, v16
	v_and_b32_e32 v41, 7, v43
	v_and_or_b32 v1, v1, s44, v7
	v_cndmask_b32_e64 v8, v8, v41, s[4:5]
	v_lshlrev_b32_e32 v1, 16, v1
	v_lshl_or_b32 v41, v8, 23, v1
.LBB248_151:                            ;   in Loop: Header=BB248_9 Depth=1
	s_or_b64 exec, exec, s[38:39]
.LBB248_152:                            ;   in Loop: Header=BB248_9 Depth=1
	s_or_b64 exec, exec, s[36:37]
.LBB248_153:                            ;   in Loop: Header=BB248_9 Depth=1
	s_or_b64 exec, exec, s[34:35]
	v_or_b32_e32 v8, v39, v37
	v_or_b32_e32 v35, v36, v35
	v_fma_mixlo_f16 v37, v18, v8, 0 op_sel_hi:[0,1,0]
	v_fma_mixlo_f16 v8, v18, v39, 0 op_sel:[0,1,0] op_sel_hi:[0,1,0]
	v_fma_mixlo_f16 v39, v18, v35, 0 op_sel_hi:[0,1,0]
	v_fma_mixlo_f16 v35, v18, v36, 0 op_sel:[0,1,0] op_sel_hi:[0,1,0]
	ds_read_b32 v36, v13
	v_or_b32_e32 v19, v21, v19
	v_fma_mixlo_f16 v19, v18, v19, 0 op_sel_hi:[0,1,0]
	v_or_b32_e32 v1, v42, v40
	v_fma_mixlo_f16 v40, v18, v21, 0 op_sel:[0,1,0] op_sel_hi:[0,1,0]
	s_waitcnt lgkmcnt(0)
	v_lshrrev_b32_e32 v21, 16, v36
	v_and_b32_e32 v36, 0xffff, v36
	v_and_b32_e32 v19, 0xffff, v19
	v_fma_mixlo_f16 v7, v18, v1, 0 op_sel_hi:[0,1,0]
	v_fma_mixlo_f16 v1, v18, v42, 0 op_sel:[0,1,0] op_sel_hi:[0,1,0]
	;;#ASMSTART
	v_cvt_f32_f16 v42, v36;
	;;#ASMEND
	;;#ASMSTART
	v_cvt_f32_f16 v21, v21;
	;;#ASMEND
	;; [unrolled: 3-line block ×3, first 2 shown]
	v_and_b32_e32 v19, 0xffff, v40
	;;#ASMSTART
	v_cvt_f32_f16 v36, v19;
	;;#ASMEND
	ds_read_b32 v40, v13 offset:4
	v_or_b32_e32 v20, v23, v20
	v_fma_mixlo_f16 v20, v18, v20, 0 op_sel_hi:[0,1,0]
	v_fma_mixlo_f16 v23, v18, v23, 0 op_sel:[0,1,0] op_sel_hi:[0,1,0]
	v_or_b32_e32 v33, v34, v33
	v_fma_mixlo_f16 v19, v18, v34, 0 op_sel:[0,1,0] op_sel_hi:[0,1,0]
	s_waitcnt lgkmcnt(0)
	v_lshrrev_b32_e32 v44, 16, v40
	v_and_b32_e32 v34, 0xffff, v40
	v_and_b32_e32 v20, 0xffff, v20
	;; [unrolled: 1-line block ×3, first 2 shown]
	;;#ASMSTART
	v_cvt_f32_f16 v34, v34;
	;;#ASMEND
	;;#ASMSTART
	v_cvt_f32_f16 v40, v44;
	;;#ASMEND
	;;#ASMSTART
	v_cvt_f32_f16 v20, v20;
	;;#ASMEND
	;;#ASMSTART
	v_cvt_f32_f16 v23, v23;
	;;#ASMEND
	ds_read_b32 v44, v13 offset:8
	v_or_b32_e32 v22, v25, v22
	v_fma_mixlo_f16 v22, v18, v22, 0 op_sel_hi:[0,1,0]
	v_fma_mixlo_f16 v25, v18, v25, 0 op_sel:[0,1,0] op_sel_hi:[0,1,0]
	v_and_b32_e32 v22, 0xffff, v22
	s_waitcnt lgkmcnt(0)
	v_lshrrev_b32_e32 v45, 16, v44
	v_and_b32_e32 v44, 0xffff, v44
	v_and_b32_e32 v25, 0xffff, v25
	;;#ASMSTART
	v_cvt_f32_f16 v44, v44;
	;;#ASMEND
	;;#ASMSTART
	v_cvt_f32_f16 v45, v45;
	;;#ASMEND
	;;#ASMSTART
	v_cvt_f32_f16 v22, v22;
	;;#ASMEND
	;;#ASMSTART
	v_cvt_f32_f16 v25, v25;
	;;#ASMEND
	ds_read_b32 v46, v13 offset:12
	v_or_b32_e32 v24, v27, v24
	v_fma_mixlo_f16 v24, v18, v24, 0 op_sel_hi:[0,1,0]
	v_fma_mixlo_f16 v27, v18, v27, 0 op_sel:[0,1,0] op_sel_hi:[0,1,0]
	v_and_b32_e32 v24, 0xffff, v24
	s_waitcnt lgkmcnt(0)
	v_lshrrev_b32_e32 v47, 16, v46
	v_and_b32_e32 v46, 0xffff, v46
	v_and_b32_e32 v27, 0xffff, v27
	;; [unrolled: 21-line block ×4, first 2 shown]
	;;#ASMSTART
	v_cvt_f32_f16 v50, v50;
	;;#ASMEND
	;;#ASMSTART
	v_cvt_f32_f16 v51, v51;
	;;#ASMEND
	;; [unrolled: 3-line block ×4, first 2 shown]
	ds_read_b32 v52, v13 offset:24
	v_or_b32_e32 v31, v32, v31
	v_fma_mixlo_f16 v31, v18, v31, 0 op_sel_hi:[0,1,0]
	v_fma_mixlo_f16 v32, v18, v32, 0 op_sel:[0,1,0] op_sel_hi:[0,1,0]
	v_or_b32_e32 v38, v41, v38
	v_fma_mixlo_f16 v33, v18, v33, 0 op_sel_hi:[0,1,0]
	v_fma_mixlo_f16 v38, v18, v38, 0 op_sel_hi:[0,1,0]
	v_fma_mixlo_f16 v18, v18, v41, 0 op_sel:[0,1,0] op_sel_hi:[0,1,0]
	v_mul_f32_e32 v20, v34, v20
	s_waitcnt lgkmcnt(0)
	v_lshrrev_b32_e32 v41, 16, v52
	v_and_b32_e32 v34, 0xffff, v52
	v_and_b32_e32 v31, 0xffff, v31
	;; [unrolled: 1-line block ×3, first 2 shown]
	v_fmac_f32_e32 v20, v42, v43
	;;#ASMSTART
	v_cvt_f32_f16 v34, v34;
	;;#ASMEND
	;;#ASMSTART
	v_cvt_f32_f16 v41, v41;
	;;#ASMEND
	;; [unrolled: 3-line block ×4, first 2 shown]
	ds_read_b32 v42, v13 offset:28
	v_mul_f32_e32 v23, v40, v23
	v_fmac_f32_e32 v23, v21, v36
	v_fmac_f32_e32 v20, v44, v22
	;; [unrolled: 1-line block ×3, first 2 shown]
	s_waitcnt lgkmcnt(0)
	v_lshrrev_b32_e32 v22, 16, v42
	v_and_b32_e32 v21, 0xffff, v42
	v_and_b32_e32 v25, 0xffff, v33
	;; [unrolled: 1-line block ×3, first 2 shown]
	;;#ASMSTART
	v_cvt_f32_f16 v21, v21;
	;;#ASMEND
	;;#ASMSTART
	v_cvt_f32_f16 v22, v22;
	;;#ASMEND
	;; [unrolled: 3-line block ×4, first 2 shown]
	ds_read_b32 v33, v13 offset:32
	v_fmac_f32_e32 v20, v46, v24
	v_fmac_f32_e32 v23, v47, v27
	;; [unrolled: 1-line block ×4, first 2 shown]
	s_waitcnt lgkmcnt(0)
	v_lshrrev_b32_e32 v26, 16, v33
	v_and_b32_e32 v24, 0xffff, v33
	v_and_b32_e32 v27, 0xffff, v39
	;; [unrolled: 1-line block ×3, first 2 shown]
	;;#ASMSTART
	v_cvt_f32_f16 v24, v24;
	;;#ASMEND
	;;#ASMSTART
	v_cvt_f32_f16 v26, v26;
	;;#ASMEND
	;; [unrolled: 3-line block ×4, first 2 shown]
	ds_read_b32 v33, v13 offset:36
	v_fmac_f32_e32 v20, v50, v28
	v_fmac_f32_e32 v23, v51, v30
	;; [unrolled: 1-line block ×3, first 2 shown]
	v_and_b32_e32 v31, 0xffff, v37
	s_waitcnt lgkmcnt(0)
	v_lshrrev_b32_e32 v30, 16, v33
	v_and_b32_e32 v28, 0xffff, v33
	v_and_b32_e32 v8, 0xffff, v8
	v_fmac_f32_e32 v23, v41, v32
	;;#ASMSTART
	v_cvt_f32_f16 v28, v28;
	;;#ASMEND
	;;#ASMSTART
	v_cvt_f32_f16 v30, v30;
	;;#ASMEND
	;; [unrolled: 3-line block ×4, first 2 shown]
	ds_read_b32 v32, v13 offset:40
	v_fmac_f32_e32 v20, v21, v25
	v_fmac_f32_e32 v23, v22, v19
	v_and_b32_e32 v7, 0xffff, v7
	v_and_b32_e32 v1, 0xffff, v1
	s_waitcnt lgkmcnt(0)
	v_lshrrev_b32_e32 v21, 16, v32
	v_and_b32_e32 v19, 0xffff, v32
	;;#ASMSTART
	v_cvt_f32_f16 v19, v19;
	;;#ASMEND
	;;#ASMSTART
	v_cvt_f32_f16 v21, v21;
	;;#ASMEND
	;; [unrolled: 3-line block ×4, first 2 shown]
	ds_read_b32 v22, v13 offset:44
	v_fmac_f32_e32 v20, v24, v27
	v_fmac_f32_e32 v23, v26, v29
	;; [unrolled: 1-line block ×6, first 2 shown]
	s_waitcnt lgkmcnt(0)
	v_lshrrev_b32_e32 v7, 16, v22
	v_and_b32_e32 v1, 0xffff, v22
	;;#ASMSTART
	v_cvt_f32_f16 v1, v1;
	;;#ASMEND
	;;#ASMSTART
	v_cvt_f32_f16 v7, v7;
	;;#ASMEND
	v_and_b32_e32 v8, 0xffff, v38
	v_and_b32_e32 v18, 0xffff, v18
	;;#ASMSTART
	v_cvt_f32_f16 v8, v8;
	;;#ASMEND
	;;#ASMSTART
	v_cvt_f32_f16 v18, v18;
	;;#ASMEND
	v_fmac_f32_e32 v23, v7, v18
	v_and_b32_e32 v7, 64, v10
	v_fmac_f32_e32 v20, v1, v8
	v_add_u32_e32 v1, 64, v7
	v_xor_b32_e32 v18, 2, v10
	v_cmp_lt_i32_e64 s[4:5], v18, v1
	v_cndmask_b32_e64 v18, v10, v18, s[4:5]
	v_add_f32_e32 v8, v20, v23
	v_lshlrev_b32_e32 v18, 2, v18
	ds_bpermute_b32 v18, v18, v8
	s_waitcnt lgkmcnt(0)
	v_add_f32_e32 v8, v8, v18
	v_xor_b32_e32 v18, 1, v10
	v_cmp_lt_i32_e64 s[4:5], v18, v1
	v_cndmask_b32_e64 v18, v10, v18, s[4:5]
	v_lshlrev_b32_e32 v18, 2, v18
	ds_bpermute_b32 v18, v18, v8
	s_and_saveexec_b64 s[34:35], vcc
	s_cbranch_execz .LBB248_8
; %bb.154:                              ;   in Loop: Header=BB248_9 Depth=1
	v_add_u32_e32 v19, s41, v14
	v_cvt_f32_i32_e32 v19, v19
	s_waitcnt lgkmcnt(0)
	v_add_f32_e32 v8, v8, v18
	v_cmp_gt_i32_e64 s[4:5], s30, v14
	v_max_f32_e32 v18, v12, v12
	v_mul_f32_e32 v19, s33, v19
	v_cndmask_b32_e64 v19, 0, v19, s[2:3]
	v_fmac_f32_e32 v19, s31, v8
	v_cndmask_b32_e64 v8, 0, v19, s[4:5]
	ds_write_b32 v15, v8
	v_max_f32_e32 v8, v18, v19
	v_cndmask_b32_e64 v12, v12, v8, s[4:5]
	s_branch .LBB248_8
.LBB248_155:
	s_or_b64 exec, exec, s[18:19]
.LBB248_156:
	s_or_b64 exec, exec, s[6:7]
	v_xor_b32_e32 v2, 32, v10
	v_cmp_lt_i32_e32 vcc, v2, v1
	v_cndmask_b32_e32 v2, v10, v2, vcc
	v_lshlrev_b32_e32 v2, 2, v2
	ds_bpermute_b32 v3, v2, v12
	v_xor_b32_e32 v5, 16, v10
	v_max_f32_e32 v4, v12, v12
	v_cmp_lt_i32_e32 vcc, v5, v1
	v_xor_b32_e32 v6, 8, v10
	s_waitcnt lgkmcnt(0)
	v_max_f32_e32 v3, v3, v3
	v_max_f32_e32 v4, v4, v3
	v_cndmask_b32_e32 v3, v10, v5, vcc
	v_lshlrev_b32_e32 v3, 2, v3
	ds_bpermute_b32 v5, v3, v4
	v_cmp_lt_i32_e32 vcc, v6, v1
	v_xor_b32_e32 v8, 4, v10
	v_and_b32_e32 v12, 63, v0
	s_waitcnt lgkmcnt(0)
	v_max_f32_e32 v5, v5, v5
	v_max_f32_e32 v4, v4, v5
	v_cndmask_b32_e32 v5, v10, v6, vcc
	v_lshlrev_b32_e32 v6, 2, v5
	ds_bpermute_b32 v5, v6, v4
	v_cmp_lt_i32_e32 vcc, v8, v1
	s_waitcnt lgkmcnt(0)
	v_max_f32_e32 v5, v5, v5
	v_max_f32_e32 v5, v4, v5
	v_cndmask_b32_e32 v4, v10, v8, vcc
	v_lshlrev_b32_e32 v8, 2, v4
	ds_bpermute_b32 v13, v8, v5
	v_cmp_eq_u32_e32 vcc, 0, v12
	v_lshlrev_b32_e32 v4, 2, v11
	s_and_saveexec_b64 s[2:3], vcc
	s_cbranch_execz .LBB248_158
; %bb.157:
	s_waitcnt lgkmcnt(0)
	v_max_f32_e32 v13, v13, v13
	v_max_f32_e32 v5, v5, v5
	;; [unrolled: 1-line block ×3, first 2 shown]
	ds_write_b32 v4, v5 offset:192
.LBB248_158:
	s_or_b64 exec, exec, s[2:3]
	v_cmp_gt_u32_e64 s[2:3], 2, v12
	v_mov_b32_e32 v14, 0xff7fffff
	v_lshlrev_b32_e32 v5, 2, v12
	s_waitcnt lgkmcnt(0)
	s_barrier
	s_and_saveexec_b64 s[4:5], s[2:3]
; %bb.159:
	ds_read_b32 v14, v5 offset:192
; %bb.160:
	s_or_b64 exec, exec, s[4:5]
	v_xor_b32_e32 v13, 1, v10
	v_cmp_lt_i32_e64 s[4:5], v13, v1
	v_cndmask_b32_e64 v13, v10, v13, s[4:5]
	v_lshlrev_b32_e32 v13, 2, v13
	s_waitcnt lgkmcnt(0)
	ds_bpermute_b32 v15, v13, v14
	v_max_f32_e32 v14, v14, v14
	v_lshlrev_b32_e32 v7, 2, v7
	s_lshl_b32 s4, s21, 4
	s_min_i32 s31, s4, s30
	s_waitcnt lgkmcnt(0)
	v_max_f32_e32 v15, v15, v15
	v_max_f32_e32 v14, v14, v15
	ds_bpermute_b32 v14, v7, v14
	v_cmp_gt_i32_e64 s[4:5], s31, v0
	v_mov_b32_e32 v7, 0
	s_and_saveexec_b64 s[12:13], s[4:5]
	s_cbranch_execz .LBB248_164
; %bb.161:
	v_mov_b32_e32 v7, 0xd0
	v_lshl_add_u32 v15, v0, 2, v7
	v_mov_b32_e32 v7, 0
	s_mov_b64 s[18:19], 0
	v_mov_b32_e32 v16, v0
.LBB248_162:                            ; =>This Inner Loop Header: Depth=1
	ds_read_b32 v17, v15
	v_add_u32_e32 v16, 0x80, v16
	v_cmp_le_i32_e64 s[6:7], s31, v16
	s_or_b64 s[18:19], s[6:7], s[18:19]
	s_waitcnt lgkmcnt(0)
	v_sub_f32_e32 v17, v17, v14
	v_mul_f32_e32 v17, 0x3fb8aa3b, v17
	v_exp_f32_e32 v17, v17
	ds_write_b32 v15, v17
	v_add_f32_e32 v7, v7, v17
	v_add_u32_e32 v15, 0x200, v15
	s_andn2_b64 exec, exec, s[18:19]
	s_cbranch_execnz .LBB248_162
; %bb.163:
	s_or_b64 exec, exec, s[18:19]
.LBB248_164:
	s_or_b64 exec, exec, s[12:13]
	ds_bpermute_b32 v2, v2, v7
	s_waitcnt lgkmcnt(0)
	v_add_f32_e32 v2, v7, v2
	ds_bpermute_b32 v3, v3, v2
	s_waitcnt lgkmcnt(0)
	v_add_f32_e32 v2, v2, v3
	ds_bpermute_b32 v3, v6, v2
	v_xor_b32_e32 v6, 2, v10
	v_cmp_lt_i32_e64 s[6:7], v6, v1
	v_cndmask_b32_e64 v1, v10, v6, s[6:7]
	v_lshlrev_b32_e32 v1, 2, v1
	s_waitcnt lgkmcnt(0)
	v_add_f32_e32 v2, v2, v3
	ds_bpermute_b32 v3, v8, v2
	s_waitcnt lgkmcnt(0)
	v_add_f32_e32 v2, v2, v3
	ds_bpermute_b32 v1, v1, v2
	;; [unrolled: 3-line block ×3, first 2 shown]
	s_waitcnt lgkmcnt(0)
	v_add_f32_e32 v1, v1, v2
	s_and_saveexec_b64 s[6:7], vcc
; %bb.165:
	ds_write_b32 v4, v1 offset:200
; %bb.166:
	s_or_b64 exec, exec, s[6:7]
	s_waitcnt lgkmcnt(0)
	s_barrier
	s_and_saveexec_b64 s[6:7], s[2:3]
; %bb.167:
	ds_read_b32 v1, v5 offset:200
; %bb.168:
	s_or_b64 exec, exec, s[6:7]
	s_waitcnt lgkmcnt(0)
	ds_bpermute_b32 v2, v13, v1
	v_lshlrev_b32_e32 v3, 2, v10
	s_waitcnt lgkmcnt(0)
	v_add_f32_e32 v1, v1, v2
	v_and_b32_e32 v2, 0xffffff00, v3
	ds_bpermute_b32 v1, v2, v1
	s_and_saveexec_b64 s[2:3], s[4:5]
	s_cbranch_execz .LBB248_171
; %bb.169:
	s_waitcnt lgkmcnt(0)
	v_add_f32_e32 v2, 0x358637bd, v1
	v_div_scale_f32 v1, s[4:5], v2, v2, 1.0
	v_div_scale_f32 v3, vcc, 1.0, v2, 1.0
	s_mov_b64 s[4:5], 0
	v_rcp_f32_e32 v4, v1
	v_fma_f32 v5, -v1, v4, 1.0
	v_fmac_f32_e32 v4, v5, v4
	v_mul_f32_e32 v5, v3, v4
	v_fma_f32 v6, -v1, v5, v3
	v_fmac_f32_e32 v5, v6, v4
	v_fma_f32 v1, -v1, v5, v3
	v_div_fmas_f32 v3, v1, v4, v5
	v_mov_b32_e32 v1, 0xd0
	v_lshl_add_u32 v1, v0, 2, v1
	v_div_fixup_f32 v2, v3, v2, 1.0
	v_mov_b32_e32 v3, v0
.LBB248_170:                            ; =>This Inner Loop Header: Depth=1
	ds_read_b32 v4, v1
	v_add_u32_e32 v3, 0x80, v3
	v_cmp_le_i32_e32 vcc, s31, v3
	s_or_b64 s[4:5], vcc, s[4:5]
	s_waitcnt lgkmcnt(0)
	v_mul_f32_e32 v4, v2, v4
	ds_write_b32 v1, v4
	v_add_u32_e32 v1, 0x200, v1
	s_andn2_b64 exec, exec, s[4:5]
	s_cbranch_execnz .LBB248_170
.LBB248_171:
	s_or_b64 exec, exec, s[2:3]
	v_mov_b32_e32 v15, 0
	v_and_b32_e32 v14, 1, v0
	v_mov_b32_e32 v18, 0
	v_mov_b32_e32 v16, 0
	s_waitcnt lgkmcnt(0)
	s_barrier
	s_and_saveexec_b64 s[2:3], s[0:1]
	s_cbranch_execz .LBB248_325
; %bb.172:
	v_lshlrev_b32_e32 v1, 3, v0
	s_ashr_i32 s0, s16, 31
	v_and_b32_e32 v5, 8, v1
	s_add_u32 s1, s28, s16
	v_and_b32_e32 v1, 0x1f8, v1
	s_addc_u32 s0, s29, s0
	v_add_co_u32_e32 v3, vcc, s1, v1
	v_lshlrev_b32_e32 v1, 4, v11
	s_add_i32 s28, s21, -1
	v_mov_b32_e32 v4, s0
	v_or3_b32 v17, v1, v5, 7
	v_lshlrev_b32_e32 v1, 5, v14
	s_lshl_b64 s[0:1], s[26:27], 2
	v_lshl_or_b32 v1, v11, 6, v1
	s_add_u32 s0, s24, s0
	v_addc_co_u32_e32 v4, vcc, 0, v4, vcc
	v_add_u32_e32 v19, 0xd0, v1
	v_and_b32_e32 v1, 60, v9
	s_addc_u32 s1, s25, s1
	s_mov_b32 s4, -1
	v_mov_b32_e32 v6, s1
	v_add_co_u32_e32 v5, vcc, s0, v1
	s_mov_b32 s31, s17
	s_mov_b32 s5, 0xffffff
	v_mov_b32_e32 v2, 0
	v_addc_co_u32_e32 v6, vcc, 0, v6, vcc
	s_mov_b64 s[6:7], 0
	s_movk_i32 s24, 0x80
	s_movk_i32 s25, 0x7f
	s_mov_b32 s26, 0x8000
	v_mov_b32_e32 v20, 0x2000
	v_mov_b32_e32 v16, 0
	;; [unrolled: 1-line block ×4, first 2 shown]
	s_branch .LBB248_174
.LBB248_173:                            ;   in Loop: Header=BB248_174 Depth=1
	s_or_b64 exec, exec, s[0:1]
	v_add_f32_e32 v9, v9, v10
	v_add_f32_e32 v18, v18, v9
	;; [unrolled: 1-line block ×3, first 2 shown]
	;;#ASMSTART
	v_pk_mul_f16 v8, v28, v8;

	;;#ASMEND
	;;#ASMSTART
	v_pk_mul_f16 v1, v29, v1;

	;;#ASMEND
	v_add_f32_e32 v15, v15, v9
	;;#ASMSTART
	v_pk_mul_f16 v9, v30, v35;

	;;#ASMEND
	;;#ASMSTART
	v_pk_mul_f16 v7, v31, v7;

	;;#ASMEND
	;;#ASMSTART
	v_pk_add_f16 v1, v8, v1;

	;;#ASMEND
	;;#ASMSTART
	v_pk_add_f16 v1, v1, v9;
	;; [unrolled: 4-line block ×3, first 2 shown]

	;;#ASMEND
	v_lshrrev_b32_e32 v7, 16, v1
	v_and_b32_e32 v1, 0xffff, v1
	v_add_u32_e32 v11, 2, v11
	;;#ASMSTART
	v_cvt_f32_f16 v1, v1;
	;;#ASMEND
	v_cmp_le_i32_e32 vcc, s21, v11
	;;#ASMSTART
	v_cvt_f32_f16 v7, v7;
	;;#ASMEND
	v_add_f32_e32 v1, v1, v7
	s_or_b64 s[6:7], vcc, s[6:7]
	v_add_co_u32_e32 v5, vcc, 8, v5
	v_add_f32_e32 v16, v16, v1
	v_add_u32_e32 v17, 32, v17
	v_add_u32_e32 v19, 0x80, v19
	v_addc_co_u32_e32 v6, vcc, 0, v6, vcc
	s_andn2_b64 exec, exec, s[6:7]
	s_cbranch_execz .LBB248_324
.LBB248_174:                            ; =>This Inner Loop Header: Depth=1
	global_load_dword v1, v[5:6], off
	ds_read2_b64 v[7:10], v19 offset1:1
	ds_read2_b64 v[21:24], v19 offset0:2 offset1:3
	s_waitcnt lgkmcnt(1)
	;;#ASMSTART
	v_cvt_f16_f32 v28, v7;

	;;#ASMEND
	;;#ASMSTART
	v_cvt_f16_f32 v29, v8;

	;;#ASMEND
	;; [unrolled: 4-line block ×4, first 2 shown]
	s_waitcnt lgkmcnt(0)
	;;#ASMSTART
	v_cvt_f16_f32 v32, v21;

	;;#ASMEND
	;;#ASMSTART
	v_cvt_f16_f32 v33, v22;

	;;#ASMEND
	;; [unrolled: 4-line block ×4, first 2 shown]
	v_mov_b32_e32 v23, 0
	s_waitcnt vmcnt(0)
	v_mad_i64_i32 v[7:8], s[0:1], v1, s31, v[3:4]
	global_load_dwordx2 v[9:10], v[7:8], off
	global_load_dword v22, v2, s[14:15]
	s_waitcnt vmcnt(1)
	v_cmp_ne_u16_sdwa s[12:13], v9, v2 src0_sel:BYTE_0 src1_sel:DWORD
	s_and_saveexec_b64 s[0:1], s[12:13]
	s_cbranch_execz .LBB248_180
; %bb.175:                              ;   in Loop: Header=BB248_174 Depth=1
	v_cmp_ne_u16_sdwa s[16:17], v9, s24 src0_sel:BYTE_0 src1_sel:DWORD
	v_mov_b32_e32 v23, 0x8000
	s_and_saveexec_b64 s[12:13], s[16:17]
	s_cbranch_execz .LBB248_179
; %bb.176:                              ;   in Loop: Header=BB248_174 Depth=1
	v_and_b32_e32 v1, 0x7f, v9
	v_cmp_ne_u32_e32 vcc, s25, v1
	v_mov_b32_e32 v23, 0x7c01
	s_and_saveexec_b64 s[16:17], vcc
	s_cbranch_execz .LBB248_178
; %bb.177:                              ;   in Loop: Header=BB248_174 Depth=1
	v_and_b32_e32 v21, 7, v9
	v_ffbh_u32_e32 v23, v21
	v_min_u32_e32 v26, 32, v23
	v_subrev_u32_e32 v23, 28, v26
	v_lshlrev_b64 v[23:24], v23, v[9:10]
	v_lshrrev_b32_e32 v25, 3, v1
	v_sub_u32_e32 v24, 29, v26
	v_cmp_gt_u32_e32 vcc, 8, v1
	v_cndmask_b32_e32 v1, v25, v24, vcc
	v_lshl_add_u32 v1, v1, 10, v20
	v_lshlrev_b32_e32 v24, 8, v9
	v_and_b32_e32 v23, 7, v23
	v_and_b32_e32 v1, 0xfc00, v1
	v_cndmask_b32_e32 v21, v21, v23, vcc
	v_and_or_b32 v1, v24, s26, v1
	v_lshl_or_b32 v23, v21, 7, v1
.LBB248_178:                            ;   in Loop: Header=BB248_174 Depth=1
	s_or_b64 exec, exec, s[16:17]
.LBB248_179:                            ;   in Loop: Header=BB248_174 Depth=1
	s_or_b64 exec, exec, s[12:13]
.LBB248_180:                            ;   in Loop: Header=BB248_174 Depth=1
	s_or_b64 exec, exec, s[0:1]
	v_lshrrev_b16_e32 v1, 8, v9
	v_cmp_ne_u16_e32 vcc, 0, v1
	v_mov_b32_e32 v25, 0
	v_mov_b32_e32 v24, 0
	s_and_saveexec_b64 s[0:1], vcc
	s_cbranch_execz .LBB248_186
; %bb.181:                              ;   in Loop: Header=BB248_174 Depth=1
	v_cmp_ne_u16_e32 vcc, s24, v1
	v_bfrev_b32_e32 v24, 1
	s_and_saveexec_b64 s[12:13], vcc
	s_cbranch_execz .LBB248_185
; %bb.182:                              ;   in Loop: Header=BB248_174 Depth=1
	v_and_b32_e32 v21, 0x7f, v1
	v_cmp_ne_u32_e32 vcc, s25, v21
	v_mov_b32_e32 v24, 0x7c010000
	s_and_saveexec_b64 s[16:17], vcc
	s_cbranch_execz .LBB248_184
; %bb.183:                              ;   in Loop: Header=BB248_174 Depth=1
	v_and_b32_e32 v24, 7, v1
	v_ffbh_u32_e32 v26, v24
	v_min_u32_e32 v37, 32, v26
	v_subrev_u32_e32 v26, 28, v37
	v_lshlrev_b64 v[26:27], v26, v[1:2]
	v_lshrrev_b32_e32 v36, 3, v21
	v_sub_u32_e32 v27, 29, v37
	v_cmp_gt_u32_e32 vcc, 8, v21
	v_cndmask_b32_e32 v21, v36, v27, vcc
	v_lshlrev_b32_e32 v1, 8, v1
	v_lshl_add_u32 v21, v21, 10, v20
	v_and_b32_e32 v26, 7, v26
	v_and_or_b32 v1, v1, s26, v21
	v_cndmask_b32_e32 v24, v24, v26, vcc
	v_lshlrev_b32_e32 v1, 16, v1
	v_lshl_or_b32 v24, v24, 23, v1
.LBB248_184:                            ;   in Loop: Header=BB248_174 Depth=1
	s_or_b64 exec, exec, s[16:17]
.LBB248_185:                            ;   in Loop: Header=BB248_174 Depth=1
	s_or_b64 exec, exec, s[12:13]
.LBB248_186:                            ;   in Loop: Header=BB248_174 Depth=1
	s_or_b64 exec, exec, s[0:1]
	v_lshrrev_b32_e32 v1, 16, v9
	v_cmp_ne_u16_sdwa s[12:13], v1, v2 src0_sel:BYTE_0 src1_sel:DWORD
	s_and_saveexec_b64 s[0:1], s[12:13]
	s_cbranch_execz .LBB248_192
; %bb.187:                              ;   in Loop: Header=BB248_174 Depth=1
	v_cmp_ne_u16_sdwa s[16:17], v1, s24 src0_sel:BYTE_0 src1_sel:DWORD
	v_mov_b32_e32 v25, 0x8000
	s_and_saveexec_b64 s[12:13], s[16:17]
	s_cbranch_execz .LBB248_191
; %bb.188:                              ;   in Loop: Header=BB248_174 Depth=1
	v_bfe_u32 v21, v9, 16, 7
	v_cmp_ne_u32_e32 vcc, s25, v21
	v_mov_b32_e32 v25, 0x7c01
	s_and_saveexec_b64 s[16:17], vcc
	s_cbranch_execz .LBB248_190
; %bb.189:                              ;   in Loop: Header=BB248_174 Depth=1
	v_and_b32_e32 v27, 7, v1
	v_ffbh_u32_e32 v25, v27
	v_min_u32_e32 v37, 32, v25
	v_subrev_u32_e32 v25, 28, v37
	v_lshlrev_b64 v[25:26], v25, v[1:2]
	v_lshrrev_b32_e32 v36, 3, v21
	v_sub_u32_e32 v26, 29, v37
	v_cmp_gt_u32_e32 vcc, 8, v21
	v_cndmask_b32_e32 v21, v36, v26, vcc
	v_lshl_add_u32 v21, v21, 10, v20
	v_lshlrev_b32_e32 v1, 8, v1
	v_and_b32_e32 v25, 7, v25
	v_and_b32_e32 v21, 0xfc00, v21
	v_cndmask_b32_e32 v25, v27, v25, vcc
	v_and_or_b32 v1, v1, s26, v21
	v_lshl_or_b32 v25, v25, 7, v1
.LBB248_190:                            ;   in Loop: Header=BB248_174 Depth=1
	s_or_b64 exec, exec, s[16:17]
.LBB248_191:                            ;   in Loop: Header=BB248_174 Depth=1
	s_or_b64 exec, exec, s[12:13]
.LBB248_192:                            ;   in Loop: Header=BB248_174 Depth=1
	s_or_b64 exec, exec, s[0:1]
	v_cmp_lt_u32_e32 vcc, s5, v9
	v_mov_b32_e32 v26, 0
	v_mov_b32_e32 v27, 0
	s_and_saveexec_b64 s[0:1], vcc
	s_cbranch_execz .LBB248_198
; %bb.193:                              ;   in Loop: Header=BB248_174 Depth=1
	v_lshrrev_b32_e32 v1, 24, v9
	v_cmp_ne_u32_e32 vcc, s24, v1
	v_bfrev_b32_e32 v27, 1
	s_and_saveexec_b64 s[12:13], vcc
	s_cbranch_execz .LBB248_197
; %bb.194:                              ;   in Loop: Header=BB248_174 Depth=1
	v_and_b32_e32 v21, 0x7f, v1
	v_cmp_ne_u32_e32 vcc, s25, v21
	v_mov_b32_e32 v27, 0x7c010000
	s_and_saveexec_b64 s[16:17], vcc
	s_cbranch_execz .LBB248_196
; %bb.195:                              ;   in Loop: Header=BB248_174 Depth=1
	v_and_b32_e32 v27, 7, v1
	v_ffbh_u32_e32 v36, v27
	v_min_u32_e32 v39, 32, v36
	v_subrev_u32_e32 v36, 28, v39
	v_lshlrev_b64 v[36:37], v36, v[1:2]
	v_lshrrev_b32_e32 v38, 3, v21
	v_sub_u32_e32 v37, 29, v39
	v_cmp_gt_u32_e32 vcc, 8, v21
	v_cndmask_b32_e32 v21, v38, v37, vcc
	v_lshlrev_b32_e32 v1, 8, v1
	v_lshl_add_u32 v21, v21, 10, v20
	v_and_b32_e32 v36, 7, v36
	v_and_or_b32 v1, v1, s26, v21
	v_cndmask_b32_e32 v27, v27, v36, vcc
	v_lshlrev_b32_e32 v1, 16, v1
	v_lshl_or_b32 v27, v27, 23, v1
.LBB248_196:                            ;   in Loop: Header=BB248_174 Depth=1
	s_or_b64 exec, exec, s[16:17]
.LBB248_197:                            ;   in Loop: Header=BB248_174 Depth=1
	s_or_b64 exec, exec, s[12:13]
.LBB248_198:                            ;   in Loop: Header=BB248_174 Depth=1
	s_or_b64 exec, exec, s[0:1]
	v_mov_b32_e32 v1, v10
	v_cmp_ne_u16_sdwa s[12:13], v10, v2 src0_sel:BYTE_0 src1_sel:DWORD
	s_and_saveexec_b64 s[0:1], s[12:13]
	s_cbranch_execz .LBB248_204
; %bb.199:                              ;   in Loop: Header=BB248_174 Depth=1
	v_cmp_ne_u16_sdwa s[16:17], v10, s24 src0_sel:BYTE_0 src1_sel:DWORD
	v_mov_b32_e32 v26, 0x8000
	s_and_saveexec_b64 s[12:13], s[16:17]
	s_cbranch_execz .LBB248_203
; %bb.200:                              ;   in Loop: Header=BB248_174 Depth=1
	v_and_b32_e32 v21, 0x7f, v10
	v_cmp_ne_u32_e32 vcc, s25, v21
	v_mov_b32_e32 v26, 0x7c01
	s_and_saveexec_b64 s[16:17], vcc
	s_cbranch_execz .LBB248_202
; %bb.201:                              ;   in Loop: Header=BB248_174 Depth=1
	v_and_b32_e32 v26, 7, v10
	v_ffbh_u32_e32 v36, v26
	v_min_u32_e32 v39, 32, v36
	v_subrev_u32_e32 v36, 28, v39
	v_lshlrev_b64 v[36:37], v36, v[1:2]
	v_lshrrev_b32_e32 v38, 3, v21
	v_sub_u32_e32 v37, 29, v39
	v_cmp_gt_u32_e32 vcc, 8, v21
	v_cndmask_b32_e32 v21, v38, v37, vcc
	v_lshl_add_u32 v21, v21, 10, v20
	v_lshlrev_b32_e32 v37, 8, v10
	v_and_b32_e32 v36, 7, v36
	v_and_b32_e32 v21, 0xfc00, v21
	v_cndmask_b32_e32 v26, v26, v36, vcc
	v_and_or_b32 v21, v37, s26, v21
	v_lshl_or_b32 v26, v26, 7, v21
.LBB248_202:                            ;   in Loop: Header=BB248_174 Depth=1
	s_or_b64 exec, exec, s[16:17]
.LBB248_203:                            ;   in Loop: Header=BB248_174 Depth=1
	s_or_b64 exec, exec, s[12:13]
.LBB248_204:                            ;   in Loop: Header=BB248_174 Depth=1
	s_or_b64 exec, exec, s[0:1]
	v_lshrrev_b16_e32 v1, 8, v1
	v_cmp_ne_u16_e32 vcc, 0, v1
	v_mov_b32_e32 v36, 0
	v_mov_b32_e32 v37, 0
	s_and_saveexec_b64 s[0:1], vcc
	s_cbranch_execz .LBB248_210
; %bb.205:                              ;   in Loop: Header=BB248_174 Depth=1
	v_cmp_ne_u16_e32 vcc, s24, v1
	v_bfrev_b32_e32 v37, 1
	s_and_saveexec_b64 s[12:13], vcc
	s_cbranch_execz .LBB248_209
; %bb.206:                              ;   in Loop: Header=BB248_174 Depth=1
	v_and_b32_e32 v21, 0x7f, v1
	v_cmp_ne_u32_e32 vcc, s25, v21
	v_mov_b32_e32 v37, 0x7c010000
	s_and_saveexec_b64 s[16:17], vcc
	s_cbranch_execz .LBB248_208
; %bb.207:                              ;   in Loop: Header=BB248_174 Depth=1
	v_and_b32_e32 v39, 7, v1
	v_ffbh_u32_e32 v37, v39
	v_min_u32_e32 v41, 32, v37
	v_subrev_u32_e32 v37, 28, v41
	v_lshlrev_b64 v[37:38], v37, v[1:2]
	v_lshrrev_b32_e32 v40, 3, v21
	v_sub_u32_e32 v38, 29, v41
	v_cmp_gt_u32_e32 vcc, 8, v21
	v_cndmask_b32_e32 v21, v40, v38, vcc
	v_lshlrev_b32_e32 v1, 8, v1
	v_lshl_add_u32 v21, v21, 10, v20
	v_and_b32_e32 v37, 7, v37
	v_and_or_b32 v1, v1, s26, v21
	v_cndmask_b32_e32 v37, v39, v37, vcc
	v_lshlrev_b32_e32 v1, 16, v1
	v_lshl_or_b32 v37, v37, 23, v1
.LBB248_208:                            ;   in Loop: Header=BB248_174 Depth=1
	s_or_b64 exec, exec, s[16:17]
.LBB248_209:                            ;   in Loop: Header=BB248_174 Depth=1
	s_or_b64 exec, exec, s[12:13]
.LBB248_210:                            ;   in Loop: Header=BB248_174 Depth=1
	s_or_b64 exec, exec, s[0:1]
	v_lshrrev_b32_e32 v1, 16, v10
	v_cmp_ne_u16_sdwa s[12:13], v1, v2 src0_sel:BYTE_0 src1_sel:DWORD
	s_and_saveexec_b64 s[0:1], s[12:13]
	s_cbranch_execz .LBB248_216
; %bb.211:                              ;   in Loop: Header=BB248_174 Depth=1
	v_cmp_ne_u16_sdwa s[16:17], v1, s24 src0_sel:BYTE_0 src1_sel:DWORD
	v_mov_b32_e32 v36, 0x8000
	s_and_saveexec_b64 s[12:13], s[16:17]
	s_cbranch_execz .LBB248_215
; %bb.212:                              ;   in Loop: Header=BB248_174 Depth=1
	v_bfe_u32 v21, v10, 16, 7
	v_cmp_ne_u32_e32 vcc, s25, v21
	v_mov_b32_e32 v36, 0x7c01
	s_and_saveexec_b64 s[16:17], vcc
	s_cbranch_execz .LBB248_214
; %bb.213:                              ;   in Loop: Header=BB248_174 Depth=1
	v_and_b32_e32 v36, 7, v1
	v_ffbh_u32_e32 v38, v36
	v_min_u32_e32 v41, 32, v38
	v_subrev_u32_e32 v38, 28, v41
	v_lshlrev_b64 v[38:39], v38, v[1:2]
	v_lshrrev_b32_e32 v40, 3, v21
	v_sub_u32_e32 v39, 29, v41
	v_cmp_gt_u32_e32 vcc, 8, v21
	v_cndmask_b32_e32 v21, v40, v39, vcc
	v_lshl_add_u32 v21, v21, 10, v20
	v_lshlrev_b32_e32 v1, 8, v1
	v_and_b32_e32 v38, 7, v38
	v_and_b32_e32 v21, 0xfc00, v21
	v_cndmask_b32_e32 v36, v36, v38, vcc
	v_and_or_b32 v1, v1, s26, v21
	v_lshl_or_b32 v36, v36, 7, v1
.LBB248_214:                            ;   in Loop: Header=BB248_174 Depth=1
	s_or_b64 exec, exec, s[16:17]
.LBB248_215:                            ;   in Loop: Header=BB248_174 Depth=1
	s_or_b64 exec, exec, s[12:13]
.LBB248_216:                            ;   in Loop: Header=BB248_174 Depth=1
	s_or_b64 exec, exec, s[0:1]
	v_cmp_lt_u64_e32 vcc, s[4:5], v[9:10]
	v_mov_b32_e32 v38, 0
	s_and_saveexec_b64 s[0:1], vcc
	s_cbranch_execz .LBB248_222
; %bb.217:                              ;   in Loop: Header=BB248_174 Depth=1
	v_lshrrev_b32_e32 v1, 24, v10
	v_cmp_ne_u32_e32 vcc, s24, v1
	v_bfrev_b32_e32 v38, 1
	s_and_saveexec_b64 s[12:13], vcc
	s_cbranch_execz .LBB248_221
; %bb.218:                              ;   in Loop: Header=BB248_174 Depth=1
	v_and_b32_e32 v9, 0x7f, v1
	v_cmp_ne_u32_e32 vcc, s25, v9
	v_mov_b32_e32 v38, 0x7c010000
	s_and_saveexec_b64 s[16:17], vcc
	s_cbranch_execz .LBB248_220
; %bb.219:                              ;   in Loop: Header=BB248_174 Depth=1
	v_and_b32_e32 v10, 7, v1
	v_ffbh_u32_e32 v38, v10
	v_min_u32_e32 v40, 32, v38
	v_subrev_u32_e32 v38, 28, v40
	v_lshlrev_b64 v[38:39], v38, v[1:2]
	v_lshrrev_b32_e32 v21, 3, v9
	v_sub_u32_e32 v39, 29, v40
	v_cmp_gt_u32_e32 vcc, 8, v9
	v_cndmask_b32_e32 v9, v21, v39, vcc
	v_lshlrev_b32_e32 v1, 8, v1
	v_lshl_add_u32 v9, v9, 10, v20
	v_and_b32_e32 v21, 7, v38
	v_and_or_b32 v1, v1, s26, v9
	v_cndmask_b32_e32 v10, v10, v21, vcc
	v_lshlrev_b32_e32 v1, 16, v1
	v_lshl_or_b32 v38, v10, 23, v1
.LBB248_220:                            ;   in Loop: Header=BB248_174 Depth=1
	s_or_b64 exec, exec, s[16:17]
.LBB248_221:                            ;   in Loop: Header=BB248_174 Depth=1
	s_or_b64 exec, exec, s[12:13]
.LBB248_222:                            ;   in Loop: Header=BB248_174 Depth=1
	s_or_b64 exec, exec, s[0:1]
	s_waitcnt vmcnt(0)
	v_fma_mixlo_f16 v9, v22, v27, 0 op_sel:[0,1,0] op_sel_hi:[0,1,0]
	v_lshlrev_b32_e32 v39, 16, v9
	v_or_b32_e32 v9, v24, v23
	v_fma_mixlo_f16 v10, v22, v24, 0 op_sel:[0,1,0] op_sel_hi:[0,1,0]
	v_fma_mixlo_f16 v23, v22, v37, 0 op_sel:[0,1,0] op_sel_hi:[0,1,0]
	v_or_b32_e32 v1, v27, v25
	v_lshlrev_b32_e32 v41, 16, v10
	v_or_b32_e32 v10, v37, v26
	v_lshlrev_b32_e32 v37, 16, v23
	v_or_b32_e32 v23, v38, v36
	v_fma_mixlo_f16 v1, v22, v1, 0 op_sel_hi:[0,1,0]
	v_fma_mixlo_f16 v9, v22, v9, 0 op_sel_hi:[0,1,0]
	;; [unrolled: 1-line block ×4, first 2 shown]
	v_fma_mixlo_f16 v22, v22, v38, 0 op_sel:[0,1,0] op_sel_hi:[0,1,0]
	v_and_b32_e32 v40, 0xffff, v1
	v_and_b32_e32 v44, 0xffff, v9
	;; [unrolled: 1-line block ×3, first 2 shown]
	v_lshlrev_b32_e32 v38, 16, v22
	v_and_b32_e32 v43, 0xffff, v23
	v_add_u32_e32 v21, -7, v17
	v_cmp_eq_u32_e32 vcc, s28, v11
	v_or_b32_e32 v1, v39, v40
	v_or_b32_e32 v9, v41, v44
	;; [unrolled: 1-line block ×4, first 2 shown]
	v_add_u32_e32 v27, -6, v17
	v_add_u32_e32 v26, -5, v17
	;; [unrolled: 1-line block ×6, first 2 shown]
	s_and_saveexec_b64 s[12:13], vcc
	s_cbranch_execz .LBB248_224
; %bb.223:                              ;   in Loop: Header=BB248_174 Depth=1
	v_cmp_gt_i32_e64 s[0:1], s30, v21
	v_cndmask_b32_e64 v1, 0, v44, s[0:1]
	v_cmp_gt_i32_e64 s[0:1], s30, v27
	v_cndmask_b32_e64 v9, 0, v41, s[0:1]
	v_cmp_gt_i32_e64 s[0:1], s30, v26
	v_or_b32_e32 v9, v9, v1
	v_cndmask_b32_e64 v1, 0, v40, s[0:1]
	v_cmp_gt_i32_e64 s[0:1], s30, v25
	v_cndmask_b32_e64 v10, 0, v39, s[0:1]
	v_cmp_gt_i32_e64 s[0:1], s30, v24
	v_or_b32_e32 v1, v10, v1
	;; [unrolled: 5-line block ×3, first 2 shown]
	v_cndmask_b32_e64 v36, 0, v43, s[0:1]
	v_cmp_gt_i32_e64 s[0:1], s30, v17
	v_cndmask_b32_e64 v37, 0, v38, s[0:1]
	v_or_b32_e32 v36, v37, v36
.LBB248_224:                            ;   in Loop: Header=BB248_174 Depth=1
	s_or_b64 exec, exec, s[12:13]
	v_and_b32_e32 v28, 0xffff, v28
	v_lshl_or_b32 v28, v29, 16, v28
	v_and_b32_e32 v29, 0xffff, v30
	v_lshl_or_b32 v29, v31, 16, v29
	v_and_b32_e32 v30, 0xffff, v32
	v_and_b32_e32 v31, 0xffff, v34
	;;#ASMSTART
	v_pk_mul_f16 v9, v28, v9;

	;;#ASMEND
	;;#ASMSTART
	v_pk_mul_f16 v1, v29, v1;

	;;#ASMEND
	v_lshl_or_b32 v30, v33, 16, v30
	v_lshl_or_b32 v31, v35, 16, v31
	;;#ASMSTART
	v_pk_mul_f16 v10, v30, v10;

	;;#ASMEND
	;;#ASMSTART
	v_pk_mul_f16 v32, v31, v36;

	;;#ASMEND
	;;#ASMSTART
	v_pk_add_f16 v1, v9, v1;

	;;#ASMEND
	;;#ASMSTART
	v_pk_add_f16 v1, v1, v10;

	;;#ASMEND
	;;#ASMSTART
	v_pk_add_f16 v1, v1, v32;

	;;#ASMEND
	v_lshrrev_b32_e32 v9, 16, v1
	v_and_b32_e32 v1, 0xffff, v1
	;;#ASMSTART
	v_cvt_f32_f16 v32, v1;
	;;#ASMEND
	;;#ASMSTART
	v_cvt_f32_f16 v33, v9;
	;;#ASMEND
	global_load_dwordx2 v[9:10], v[7:8], off offset:512
	v_mov_b32_e32 v35, 0
	global_load_dword v34, v35, s[14:15]
	v_mov_b32_e32 v36, 0
	s_waitcnt vmcnt(1)
	v_cmp_ne_u16_sdwa s[0:1], v9, v2 src0_sel:BYTE_0 src1_sel:DWORD
	s_and_saveexec_b64 s[12:13], s[0:1]
	s_cbranch_execz .LBB248_230
; %bb.225:                              ;   in Loop: Header=BB248_174 Depth=1
	v_cmp_ne_u16_sdwa s[0:1], v9, s24 src0_sel:BYTE_0 src1_sel:DWORD
	v_mov_b32_e32 v36, 0x8000
	s_and_saveexec_b64 s[16:17], s[0:1]
	s_cbranch_execz .LBB248_229
; %bb.226:                              ;   in Loop: Header=BB248_174 Depth=1
	v_and_b32_e32 v1, 0x7f, v9
	v_cmp_ne_u32_e64 s[0:1], s25, v1
	v_mov_b32_e32 v36, 0x7c01
	s_and_saveexec_b64 s[18:19], s[0:1]
	s_cbranch_execz .LBB248_228
; %bb.227:                              ;   in Loop: Header=BB248_174 Depth=1
	v_and_b32_e32 v38, 7, v9
	v_ffbh_u32_e32 v36, v38
	v_min_u32_e32 v40, 32, v36
	v_subrev_u32_e32 v36, 28, v40
	v_lshlrev_b64 v[36:37], v36, v[9:10]
	v_lshrrev_b32_e32 v39, 3, v1
	v_sub_u32_e32 v37, 29, v40
	v_cmp_gt_u32_e64 s[0:1], 8, v1
	v_cndmask_b32_e64 v1, v39, v37, s[0:1]
	v_lshl_add_u32 v1, v1, 10, v20
	v_lshlrev_b32_e32 v37, 8, v9
	v_and_b32_e32 v36, 7, v36
	v_and_b32_e32 v1, 0xfc00, v1
	v_cndmask_b32_e64 v36, v38, v36, s[0:1]
	v_and_or_b32 v1, v37, s26, v1
	v_lshl_or_b32 v36, v36, 7, v1
.LBB248_228:                            ;   in Loop: Header=BB248_174 Depth=1
	s_or_b64 exec, exec, s[18:19]
.LBB248_229:                            ;   in Loop: Header=BB248_174 Depth=1
	s_or_b64 exec, exec, s[16:17]
.LBB248_230:                            ;   in Loop: Header=BB248_174 Depth=1
	s_or_b64 exec, exec, s[12:13]
	v_lshrrev_b16_e32 v1, 8, v9
	v_cmp_ne_u16_e64 s[0:1], 0, v1
	s_and_saveexec_b64 s[12:13], s[0:1]
	s_cbranch_execz .LBB248_236
; %bb.231:                              ;   in Loop: Header=BB248_174 Depth=1
	v_cmp_ne_u16_e64 s[0:1], s24, v1
	v_bfrev_b32_e32 v35, 1
	s_and_saveexec_b64 s[16:17], s[0:1]
	s_cbranch_execz .LBB248_235
; %bb.232:                              ;   in Loop: Header=BB248_174 Depth=1
	v_and_b32_e32 v37, 0x7f, v1
	v_cmp_ne_u32_e64 s[0:1], s25, v37
	v_mov_b32_e32 v35, 0x7c010000
	s_and_saveexec_b64 s[18:19], s[0:1]
	s_cbranch_execz .LBB248_234
; %bb.233:                              ;   in Loop: Header=BB248_174 Depth=1
	v_and_b32_e32 v35, 7, v1
	v_ffbh_u32_e32 v38, v35
	v_min_u32_e32 v41, 32, v38
	v_subrev_u32_e32 v38, 28, v41
	v_lshlrev_b64 v[38:39], v38, v[1:2]
	v_lshrrev_b32_e32 v40, 3, v37
	v_sub_u32_e32 v39, 29, v41
	v_cmp_gt_u32_e64 s[0:1], 8, v37
	v_cndmask_b32_e64 v37, v40, v39, s[0:1]
	v_lshlrev_b32_e32 v1, 8, v1
	v_lshl_add_u32 v37, v37, 10, v20
	v_and_b32_e32 v38, 7, v38
	v_and_or_b32 v1, v1, s26, v37
	v_cndmask_b32_e64 v35, v35, v38, s[0:1]
	v_lshlrev_b32_e32 v1, 16, v1
	v_lshl_or_b32 v35, v35, 23, v1
.LBB248_234:                            ;   in Loop: Header=BB248_174 Depth=1
	s_or_b64 exec, exec, s[18:19]
.LBB248_235:                            ;   in Loop: Header=BB248_174 Depth=1
	s_or_b64 exec, exec, s[16:17]
.LBB248_236:                            ;   in Loop: Header=BB248_174 Depth=1
	s_or_b64 exec, exec, s[12:13]
	v_lshrrev_b32_e32 v1, 16, v9
	v_cmp_ne_u16_sdwa s[0:1], v1, v2 src0_sel:BYTE_0 src1_sel:DWORD
	v_mov_b32_e32 v37, 0
	v_mov_b32_e32 v38, 0
	s_and_saveexec_b64 s[12:13], s[0:1]
	s_cbranch_execz .LBB248_242
; %bb.237:                              ;   in Loop: Header=BB248_174 Depth=1
	v_cmp_ne_u16_sdwa s[0:1], v1, s24 src0_sel:BYTE_0 src1_sel:DWORD
	v_mov_b32_e32 v38, 0x8000
	s_and_saveexec_b64 s[16:17], s[0:1]
	s_cbranch_execz .LBB248_241
; %bb.238:                              ;   in Loop: Header=BB248_174 Depth=1
	v_bfe_u32 v39, v9, 16, 7
	v_cmp_ne_u32_e64 s[0:1], s25, v39
	v_mov_b32_e32 v38, 0x7c01
	s_and_saveexec_b64 s[18:19], s[0:1]
	s_cbranch_execz .LBB248_240
; %bb.239:                              ;   in Loop: Header=BB248_174 Depth=1
	v_and_b32_e32 v38, 7, v1
	v_ffbh_u32_e32 v40, v38
	v_min_u32_e32 v43, 32, v40
	v_subrev_u32_e32 v40, 28, v43
	v_lshlrev_b64 v[40:41], v40, v[1:2]
	v_lshrrev_b32_e32 v42, 3, v39
	v_sub_u32_e32 v41, 29, v43
	v_cmp_gt_u32_e64 s[0:1], 8, v39
	v_cndmask_b32_e64 v39, v42, v41, s[0:1]
	v_lshl_add_u32 v39, v39, 10, v20
	v_lshlrev_b32_e32 v1, 8, v1
	v_and_b32_e32 v40, 7, v40
	v_and_b32_e32 v39, 0xfc00, v39
	v_cndmask_b32_e64 v38, v38, v40, s[0:1]
	v_and_or_b32 v1, v1, s26, v39
	v_lshl_or_b32 v38, v38, 7, v1
.LBB248_240:                            ;   in Loop: Header=BB248_174 Depth=1
	s_or_b64 exec, exec, s[18:19]
.LBB248_241:                            ;   in Loop: Header=BB248_174 Depth=1
	s_or_b64 exec, exec, s[16:17]
.LBB248_242:                            ;   in Loop: Header=BB248_174 Depth=1
	s_or_b64 exec, exec, s[12:13]
	v_cmp_lt_u32_e64 s[0:1], s5, v9
	s_and_saveexec_b64 s[12:13], s[0:1]
	s_cbranch_execz .LBB248_248
; %bb.243:                              ;   in Loop: Header=BB248_174 Depth=1
	v_lshrrev_b32_e32 v1, 24, v9
	v_cmp_ne_u32_e64 s[0:1], s24, v1
	v_bfrev_b32_e32 v37, 1
	s_and_saveexec_b64 s[16:17], s[0:1]
	s_cbranch_execz .LBB248_247
; %bb.244:                              ;   in Loop: Header=BB248_174 Depth=1
	v_and_b32_e32 v39, 0x7f, v1
	v_cmp_ne_u32_e64 s[0:1], s25, v39
	v_mov_b32_e32 v37, 0x7c010000
	s_and_saveexec_b64 s[18:19], s[0:1]
	s_cbranch_execz .LBB248_246
; %bb.245:                              ;   in Loop: Header=BB248_174 Depth=1
	v_and_b32_e32 v37, 7, v1
	v_ffbh_u32_e32 v40, v37
	v_min_u32_e32 v43, 32, v40
	v_subrev_u32_e32 v40, 28, v43
	v_lshlrev_b64 v[40:41], v40, v[1:2]
	v_lshrrev_b32_e32 v42, 3, v39
	v_sub_u32_e32 v41, 29, v43
	v_cmp_gt_u32_e64 s[0:1], 8, v39
	v_cndmask_b32_e64 v39, v42, v41, s[0:1]
	v_lshlrev_b32_e32 v1, 8, v1
	v_lshl_add_u32 v39, v39, 10, v20
	v_and_b32_e32 v40, 7, v40
	v_and_or_b32 v1, v1, s26, v39
	v_cndmask_b32_e64 v37, v37, v40, s[0:1]
	v_lshlrev_b32_e32 v1, 16, v1
	v_lshl_or_b32 v37, v37, 23, v1
.LBB248_246:                            ;   in Loop: Header=BB248_174 Depth=1
	s_or_b64 exec, exec, s[18:19]
.LBB248_247:                            ;   in Loop: Header=BB248_174 Depth=1
	s_or_b64 exec, exec, s[16:17]
.LBB248_248:                            ;   in Loop: Header=BB248_174 Depth=1
	s_or_b64 exec, exec, s[12:13]
	v_mov_b32_e32 v1, v10
	v_cmp_ne_u16_sdwa s[0:1], v10, v2 src0_sel:BYTE_0 src1_sel:DWORD
	v_mov_b32_e32 v39, 0
	v_mov_b32_e32 v40, 0
	s_and_saveexec_b64 s[12:13], s[0:1]
	s_cbranch_execz .LBB248_254
; %bb.249:                              ;   in Loop: Header=BB248_174 Depth=1
	v_cmp_ne_u16_sdwa s[0:1], v10, s24 src0_sel:BYTE_0 src1_sel:DWORD
	v_mov_b32_e32 v40, 0x8000
	s_and_saveexec_b64 s[16:17], s[0:1]
	s_cbranch_execz .LBB248_253
; %bb.250:                              ;   in Loop: Header=BB248_174 Depth=1
	v_and_b32_e32 v41, 0x7f, v10
	v_cmp_ne_u32_e64 s[0:1], s25, v41
	v_mov_b32_e32 v40, 0x7c01
	s_and_saveexec_b64 s[18:19], s[0:1]
	s_cbranch_execz .LBB248_252
; %bb.251:                              ;   in Loop: Header=BB248_174 Depth=1
	v_and_b32_e32 v40, 7, v10
	v_ffbh_u32_e32 v42, v40
	v_min_u32_e32 v45, 32, v42
	v_subrev_u32_e32 v42, 28, v45
	v_lshlrev_b64 v[42:43], v42, v[1:2]
	v_lshrrev_b32_e32 v44, 3, v41
	v_sub_u32_e32 v43, 29, v45
	v_cmp_gt_u32_e64 s[0:1], 8, v41
	v_cndmask_b32_e64 v41, v44, v43, s[0:1]
	v_lshl_add_u32 v41, v41, 10, v20
	v_lshlrev_b32_e32 v43, 8, v10
	v_and_b32_e32 v42, 7, v42
	v_and_b32_e32 v41, 0xfc00, v41
	v_cndmask_b32_e64 v40, v40, v42, s[0:1]
	v_and_or_b32 v41, v43, s26, v41
	v_lshl_or_b32 v40, v40, 7, v41
.LBB248_252:                            ;   in Loop: Header=BB248_174 Depth=1
	s_or_b64 exec, exec, s[18:19]
.LBB248_253:                            ;   in Loop: Header=BB248_174 Depth=1
	s_or_b64 exec, exec, s[16:17]
.LBB248_254:                            ;   in Loop: Header=BB248_174 Depth=1
	s_or_b64 exec, exec, s[12:13]
	v_lshrrev_b16_e32 v1, 8, v1
	v_cmp_ne_u16_e64 s[0:1], 0, v1
	v_mov_b32_e32 v41, 0
	s_and_saveexec_b64 s[12:13], s[0:1]
	s_cbranch_execz .LBB248_260
; %bb.255:                              ;   in Loop: Header=BB248_174 Depth=1
	v_cmp_ne_u16_e64 s[0:1], s24, v1
	v_bfrev_b32_e32 v41, 1
	s_and_saveexec_b64 s[16:17], s[0:1]
	s_cbranch_execz .LBB248_259
; %bb.256:                              ;   in Loop: Header=BB248_174 Depth=1
	v_and_b32_e32 v42, 0x7f, v1
	v_cmp_ne_u32_e64 s[0:1], s25, v42
	v_mov_b32_e32 v41, 0x7c010000
	s_and_saveexec_b64 s[18:19], s[0:1]
	s_cbranch_execz .LBB248_258
; %bb.257:                              ;   in Loop: Header=BB248_174 Depth=1
	v_and_b32_e32 v41, 7, v1
	v_ffbh_u32_e32 v43, v41
	v_min_u32_e32 v46, 32, v43
	v_subrev_u32_e32 v43, 28, v46
	v_lshlrev_b64 v[43:44], v43, v[1:2]
	v_lshrrev_b32_e32 v45, 3, v42
	v_sub_u32_e32 v44, 29, v46
	v_cmp_gt_u32_e64 s[0:1], 8, v42
	v_cndmask_b32_e64 v42, v45, v44, s[0:1]
	v_lshlrev_b32_e32 v1, 8, v1
	v_lshl_add_u32 v42, v42, 10, v20
	v_and_b32_e32 v43, 7, v43
	v_and_or_b32 v1, v1, s26, v42
	v_cndmask_b32_e64 v41, v41, v43, s[0:1]
	v_lshlrev_b32_e32 v1, 16, v1
	v_lshl_or_b32 v41, v41, 23, v1
.LBB248_258:                            ;   in Loop: Header=BB248_174 Depth=1
	s_or_b64 exec, exec, s[18:19]
.LBB248_259:                            ;   in Loop: Header=BB248_174 Depth=1
	s_or_b64 exec, exec, s[16:17]
.LBB248_260:                            ;   in Loop: Header=BB248_174 Depth=1
	s_or_b64 exec, exec, s[12:13]
	v_lshrrev_b32_e32 v1, 16, v10
	v_cmp_ne_u16_sdwa s[0:1], v1, v2 src0_sel:BYTE_0 src1_sel:DWORD
	s_and_saveexec_b64 s[12:13], s[0:1]
	s_cbranch_execz .LBB248_266
; %bb.261:                              ;   in Loop: Header=BB248_174 Depth=1
	v_cmp_ne_u16_sdwa s[0:1], v1, s24 src0_sel:BYTE_0 src1_sel:DWORD
	v_mov_b32_e32 v39, 0x8000
	s_and_saveexec_b64 s[16:17], s[0:1]
	s_cbranch_execz .LBB248_265
; %bb.262:                              ;   in Loop: Header=BB248_174 Depth=1
	v_bfe_u32 v42, v10, 16, 7
	v_cmp_ne_u32_e64 s[0:1], s25, v42
	v_mov_b32_e32 v39, 0x7c01
	s_and_saveexec_b64 s[18:19], s[0:1]
	s_cbranch_execz .LBB248_264
; %bb.263:                              ;   in Loop: Header=BB248_174 Depth=1
	v_and_b32_e32 v39, 7, v1
	v_ffbh_u32_e32 v43, v39
	v_min_u32_e32 v46, 32, v43
	v_subrev_u32_e32 v43, 28, v46
	v_lshlrev_b64 v[43:44], v43, v[1:2]
	v_lshrrev_b32_e32 v45, 3, v42
	v_sub_u32_e32 v44, 29, v46
	v_cmp_gt_u32_e64 s[0:1], 8, v42
	v_cndmask_b32_e64 v42, v45, v44, s[0:1]
	v_lshl_add_u32 v42, v42, 10, v20
	v_lshlrev_b32_e32 v1, 8, v1
	v_and_b32_e32 v43, 7, v43
	v_and_b32_e32 v42, 0xfc00, v42
	v_cndmask_b32_e64 v39, v39, v43, s[0:1]
	v_and_or_b32 v1, v1, s26, v42
	v_lshl_or_b32 v39, v39, 7, v1
.LBB248_264:                            ;   in Loop: Header=BB248_174 Depth=1
	s_or_b64 exec, exec, s[18:19]
.LBB248_265:                            ;   in Loop: Header=BB248_174 Depth=1
	s_or_b64 exec, exec, s[16:17]
.LBB248_266:                            ;   in Loop: Header=BB248_174 Depth=1
	s_or_b64 exec, exec, s[12:13]
	v_cmp_lt_u64_e64 s[0:1], s[4:5], v[9:10]
	v_mov_b32_e32 v9, 0
	s_and_saveexec_b64 s[12:13], s[0:1]
	s_cbranch_execz .LBB248_272
; %bb.267:                              ;   in Loop: Header=BB248_174 Depth=1
	v_lshrrev_b32_e32 v1, 24, v10
	v_cmp_ne_u32_e64 s[0:1], s24, v1
	v_bfrev_b32_e32 v9, 1
	s_and_saveexec_b64 s[16:17], s[0:1]
	s_cbranch_execz .LBB248_271
; %bb.268:                              ;   in Loop: Header=BB248_174 Depth=1
	v_and_b32_e32 v10, 0x7f, v1
	v_cmp_ne_u32_e64 s[0:1], s25, v10
	v_mov_b32_e32 v9, 0x7c010000
	s_and_saveexec_b64 s[18:19], s[0:1]
	s_cbranch_execz .LBB248_270
; %bb.269:                              ;   in Loop: Header=BB248_174 Depth=1
	v_and_b32_e32 v9, 7, v1
	v_ffbh_u32_e32 v42, v9
	v_min_u32_e32 v45, 32, v42
	v_subrev_u32_e32 v42, 28, v45
	v_lshlrev_b64 v[42:43], v42, v[1:2]
	v_lshrrev_b32_e32 v44, 3, v10
	v_sub_u32_e32 v43, 29, v45
	v_cmp_gt_u32_e64 s[0:1], 8, v10
	v_cndmask_b32_e64 v10, v44, v43, s[0:1]
	v_lshlrev_b32_e32 v1, 8, v1
	v_lshl_add_u32 v10, v10, 10, v20
	v_and_b32_e32 v42, 7, v42
	v_and_or_b32 v1, v1, s26, v10
	v_cndmask_b32_e64 v9, v9, v42, s[0:1]
	v_lshlrev_b32_e32 v1, 16, v1
	v_lshl_or_b32 v9, v9, 23, v1
.LBB248_270:                            ;   in Loop: Header=BB248_174 Depth=1
	s_or_b64 exec, exec, s[18:19]
.LBB248_271:                            ;   in Loop: Header=BB248_174 Depth=1
	s_or_b64 exec, exec, s[16:17]
.LBB248_272:                            ;   in Loop: Header=BB248_174 Depth=1
	s_or_b64 exec, exec, s[12:13]
	s_waitcnt vmcnt(0)
	v_fma_mixlo_f16 v10, v34, v37, 0 op_sel:[0,1,0] op_sel_hi:[0,1,0]
	v_or_b32_e32 v1, v37, v38
	v_lshlrev_b32_e32 v37, 16, v10
	v_or_b32_e32 v10, v35, v36
	v_fma_mixlo_f16 v35, v34, v35, 0 op_sel:[0,1,0] op_sel_hi:[0,1,0]
	v_lshlrev_b32_e32 v42, 16, v35
	v_or_b32_e32 v35, v41, v40
	v_or_b32_e32 v39, v9, v39
	v_fma_mixlo_f16 v1, v34, v1, 0 op_sel_hi:[0,1,0]
	v_fma_mixlo_f16 v10, v34, v10, 0 op_sel_hi:[0,1,0]
	v_fma_mixlo_f16 v36, v34, v41, 0 op_sel:[0,1,0] op_sel_hi:[0,1,0]
	v_fma_mixlo_f16 v35, v34, v35, 0 op_sel_hi:[0,1,0]
	v_fma_mixlo_f16 v39, v34, v39, 0 op_sel_hi:[0,1,0]
	v_fma_mixlo_f16 v9, v34, v9, 0 op_sel:[0,1,0] op_sel_hi:[0,1,0]
	v_and_b32_e32 v38, 0xffff, v1
	v_and_b32_e32 v43, 0xffff, v10
	v_lshlrev_b32_e32 v36, 16, v36
	v_and_b32_e32 v40, 0xffff, v35
	v_lshlrev_b32_e32 v9, 16, v9
	v_and_b32_e32 v34, 0xffff, v39
	v_or_b32_e32 v1, v37, v38
	v_or_b32_e32 v10, v42, v43
	;; [unrolled: 1-line block ×4, first 2 shown]
	s_and_saveexec_b64 s[12:13], vcc
	s_cbranch_execz .LBB248_274
; %bb.273:                              ;   in Loop: Header=BB248_174 Depth=1
	v_cmp_gt_i32_e64 s[0:1], s30, v21
	v_cndmask_b32_e64 v1, 0, v43, s[0:1]
	v_cmp_gt_i32_e64 s[0:1], s30, v27
	v_cndmask_b32_e64 v10, 0, v42, s[0:1]
	v_cmp_gt_i32_e64 s[0:1], s30, v26
	v_or_b32_e32 v10, v10, v1
	v_cndmask_b32_e64 v1, 0, v38, s[0:1]
	v_cmp_gt_i32_e64 s[0:1], s30, v25
	v_cndmask_b32_e64 v35, 0, v37, s[0:1]
	v_cmp_gt_i32_e64 s[0:1], s30, v24
	v_or_b32_e32 v1, v35, v1
	v_cndmask_b32_e64 v35, 0, v40, s[0:1]
	v_cmp_gt_i32_e64 s[0:1], s30, v23
	v_cndmask_b32_e64 v36, 0, v36, s[0:1]
	v_cmp_gt_i32_e64 s[0:1], s30, v22
	;; [unrolled: 2-line block ×3, first 2 shown]
	v_cndmask_b32_e64 v9, 0, v9, s[0:1]
	v_or_b32_e32 v35, v36, v35
	v_or_b32_e32 v39, v9, v34
.LBB248_274:                            ;   in Loop: Header=BB248_174 Depth=1
	s_or_b64 exec, exec, s[12:13]
	;;#ASMSTART
	v_pk_mul_f16 v9, v28, v10;

	;;#ASMEND
	;;#ASMSTART
	v_pk_mul_f16 v1, v29, v1;

	;;#ASMEND
	;; [unrolled: 4-line block ×4, first 2 shown]
	;;#ASMSTART
	v_pk_add_f16 v1, v9, v1;

	;;#ASMEND
	;;#ASMSTART
	v_pk_add_f16 v1, v1, v10;

	;;#ASMEND
	;; [unrolled: 4-line block ×3, first 2 shown]
	v_lshrrev_b32_e32 v10, 16, v1
	v_and_b32_e32 v1, 0xffff, v1
	;;#ASMSTART
	v_cvt_f32_f16 v9, v1;
	;;#ASMEND
	;;#ASMSTART
	v_cvt_f32_f16 v10, v10;
	;;#ASMEND
	global_load_dwordx2 v[7:8], v[7:8], off offset:1024
	v_mov_b32_e32 v35, 0
	global_load_dword v34, v35, s[14:15]
	v_mov_b32_e32 v36, 0
	s_waitcnt vmcnt(1)
	v_cmp_ne_u16_sdwa s[0:1], v7, v2 src0_sel:BYTE_0 src1_sel:DWORD
	s_and_saveexec_b64 s[12:13], s[0:1]
	s_cbranch_execz .LBB248_280
; %bb.275:                              ;   in Loop: Header=BB248_174 Depth=1
	v_cmp_ne_u16_sdwa s[0:1], v7, s24 src0_sel:BYTE_0 src1_sel:DWORD
	v_mov_b32_e32 v36, 0x8000
	s_and_saveexec_b64 s[16:17], s[0:1]
	s_cbranch_execz .LBB248_279
; %bb.276:                              ;   in Loop: Header=BB248_174 Depth=1
	v_and_b32_e32 v1, 0x7f, v7
	v_cmp_ne_u32_e64 s[0:1], s25, v1
	v_mov_b32_e32 v36, 0x7c01
	s_and_saveexec_b64 s[18:19], s[0:1]
	s_cbranch_execz .LBB248_278
; %bb.277:                              ;   in Loop: Header=BB248_174 Depth=1
	v_and_b32_e32 v38, 7, v7
	v_ffbh_u32_e32 v36, v38
	v_min_u32_e32 v40, 32, v36
	v_subrev_u32_e32 v36, 28, v40
	v_lshlrev_b64 v[36:37], v36, v[7:8]
	v_lshrrev_b32_e32 v39, 3, v1
	v_sub_u32_e32 v37, 29, v40
	v_cmp_gt_u32_e64 s[0:1], 8, v1
	v_cndmask_b32_e64 v1, v39, v37, s[0:1]
	v_lshl_add_u32 v1, v1, 10, v20
	v_lshlrev_b32_e32 v37, 8, v7
	v_and_b32_e32 v36, 7, v36
	v_and_b32_e32 v1, 0xfc00, v1
	v_cndmask_b32_e64 v36, v38, v36, s[0:1]
	v_and_or_b32 v1, v37, s26, v1
	v_lshl_or_b32 v36, v36, 7, v1
.LBB248_278:                            ;   in Loop: Header=BB248_174 Depth=1
	s_or_b64 exec, exec, s[18:19]
.LBB248_279:                            ;   in Loop: Header=BB248_174 Depth=1
	s_or_b64 exec, exec, s[16:17]
.LBB248_280:                            ;   in Loop: Header=BB248_174 Depth=1
	s_or_b64 exec, exec, s[12:13]
	v_lshrrev_b16_e32 v1, 8, v7
	v_cmp_ne_u16_e64 s[0:1], 0, v1
	s_and_saveexec_b64 s[12:13], s[0:1]
	s_cbranch_execz .LBB248_286
; %bb.281:                              ;   in Loop: Header=BB248_174 Depth=1
	v_cmp_ne_u16_e64 s[0:1], s24, v1
	v_bfrev_b32_e32 v35, 1
	s_and_saveexec_b64 s[16:17], s[0:1]
	s_cbranch_execz .LBB248_285
; %bb.282:                              ;   in Loop: Header=BB248_174 Depth=1
	v_and_b32_e32 v37, 0x7f, v1
	v_cmp_ne_u32_e64 s[0:1], s25, v37
	v_mov_b32_e32 v35, 0x7c010000
	s_and_saveexec_b64 s[18:19], s[0:1]
	s_cbranch_execz .LBB248_284
; %bb.283:                              ;   in Loop: Header=BB248_174 Depth=1
	v_and_b32_e32 v35, 7, v1
	v_ffbh_u32_e32 v38, v35
	v_min_u32_e32 v41, 32, v38
	v_subrev_u32_e32 v38, 28, v41
	v_lshlrev_b64 v[38:39], v38, v[1:2]
	v_lshrrev_b32_e32 v40, 3, v37
	v_sub_u32_e32 v39, 29, v41
	v_cmp_gt_u32_e64 s[0:1], 8, v37
	v_cndmask_b32_e64 v37, v40, v39, s[0:1]
	v_lshlrev_b32_e32 v1, 8, v1
	v_lshl_add_u32 v37, v37, 10, v20
	v_and_b32_e32 v38, 7, v38
	v_and_or_b32 v1, v1, s26, v37
	v_cndmask_b32_e64 v35, v35, v38, s[0:1]
	v_lshlrev_b32_e32 v1, 16, v1
	v_lshl_or_b32 v35, v35, 23, v1
.LBB248_284:                            ;   in Loop: Header=BB248_174 Depth=1
	s_or_b64 exec, exec, s[18:19]
.LBB248_285:                            ;   in Loop: Header=BB248_174 Depth=1
	s_or_b64 exec, exec, s[16:17]
.LBB248_286:                            ;   in Loop: Header=BB248_174 Depth=1
	s_or_b64 exec, exec, s[12:13]
	v_lshrrev_b32_e32 v1, 16, v7
	v_cmp_ne_u16_sdwa s[0:1], v1, v2 src0_sel:BYTE_0 src1_sel:DWORD
	v_mov_b32_e32 v37, 0
	v_mov_b32_e32 v38, 0
	s_and_saveexec_b64 s[12:13], s[0:1]
	s_cbranch_execz .LBB248_292
; %bb.287:                              ;   in Loop: Header=BB248_174 Depth=1
	v_cmp_ne_u16_sdwa s[0:1], v1, s24 src0_sel:BYTE_0 src1_sel:DWORD
	v_mov_b32_e32 v38, 0x8000
	s_and_saveexec_b64 s[16:17], s[0:1]
	s_cbranch_execz .LBB248_291
; %bb.288:                              ;   in Loop: Header=BB248_174 Depth=1
	v_bfe_u32 v39, v7, 16, 7
	v_cmp_ne_u32_e64 s[0:1], s25, v39
	v_mov_b32_e32 v38, 0x7c01
	s_and_saveexec_b64 s[18:19], s[0:1]
	s_cbranch_execz .LBB248_290
; %bb.289:                              ;   in Loop: Header=BB248_174 Depth=1
	v_and_b32_e32 v38, 7, v1
	v_ffbh_u32_e32 v40, v38
	v_min_u32_e32 v43, 32, v40
	v_subrev_u32_e32 v40, 28, v43
	v_lshlrev_b64 v[40:41], v40, v[1:2]
	v_lshrrev_b32_e32 v42, 3, v39
	v_sub_u32_e32 v41, 29, v43
	v_cmp_gt_u32_e64 s[0:1], 8, v39
	v_cndmask_b32_e64 v39, v42, v41, s[0:1]
	v_lshl_add_u32 v39, v39, 10, v20
	v_lshlrev_b32_e32 v1, 8, v1
	v_and_b32_e32 v40, 7, v40
	v_and_b32_e32 v39, 0xfc00, v39
	v_cndmask_b32_e64 v38, v38, v40, s[0:1]
	v_and_or_b32 v1, v1, s26, v39
	v_lshl_or_b32 v38, v38, 7, v1
.LBB248_290:                            ;   in Loop: Header=BB248_174 Depth=1
	s_or_b64 exec, exec, s[18:19]
.LBB248_291:                            ;   in Loop: Header=BB248_174 Depth=1
	s_or_b64 exec, exec, s[16:17]
.LBB248_292:                            ;   in Loop: Header=BB248_174 Depth=1
	s_or_b64 exec, exec, s[12:13]
	v_cmp_lt_u32_e64 s[0:1], s5, v7
	s_and_saveexec_b64 s[12:13], s[0:1]
	s_cbranch_execz .LBB248_298
; %bb.293:                              ;   in Loop: Header=BB248_174 Depth=1
	v_lshrrev_b32_e32 v1, 24, v7
	v_cmp_ne_u32_e64 s[0:1], s24, v1
	v_bfrev_b32_e32 v37, 1
	s_and_saveexec_b64 s[16:17], s[0:1]
	s_cbranch_execz .LBB248_297
; %bb.294:                              ;   in Loop: Header=BB248_174 Depth=1
	v_and_b32_e32 v39, 0x7f, v1
	v_cmp_ne_u32_e64 s[0:1], s25, v39
	v_mov_b32_e32 v37, 0x7c010000
	s_and_saveexec_b64 s[18:19], s[0:1]
	s_cbranch_execz .LBB248_296
; %bb.295:                              ;   in Loop: Header=BB248_174 Depth=1
	v_and_b32_e32 v37, 7, v1
	v_ffbh_u32_e32 v40, v37
	v_min_u32_e32 v43, 32, v40
	v_subrev_u32_e32 v40, 28, v43
	v_lshlrev_b64 v[40:41], v40, v[1:2]
	v_lshrrev_b32_e32 v42, 3, v39
	v_sub_u32_e32 v41, 29, v43
	v_cmp_gt_u32_e64 s[0:1], 8, v39
	v_cndmask_b32_e64 v39, v42, v41, s[0:1]
	v_lshlrev_b32_e32 v1, 8, v1
	v_lshl_add_u32 v39, v39, 10, v20
	v_and_b32_e32 v40, 7, v40
	v_and_or_b32 v1, v1, s26, v39
	v_cndmask_b32_e64 v37, v37, v40, s[0:1]
	v_lshlrev_b32_e32 v1, 16, v1
	v_lshl_or_b32 v37, v37, 23, v1
.LBB248_296:                            ;   in Loop: Header=BB248_174 Depth=1
	s_or_b64 exec, exec, s[18:19]
.LBB248_297:                            ;   in Loop: Header=BB248_174 Depth=1
	s_or_b64 exec, exec, s[16:17]
.LBB248_298:                            ;   in Loop: Header=BB248_174 Depth=1
	s_or_b64 exec, exec, s[12:13]
	v_mov_b32_e32 v1, v8
	v_cmp_ne_u16_sdwa s[0:1], v8, v2 src0_sel:BYTE_0 src1_sel:DWORD
	v_mov_b32_e32 v39, 0
	v_mov_b32_e32 v40, 0
	s_and_saveexec_b64 s[12:13], s[0:1]
	s_cbranch_execz .LBB248_304
; %bb.299:                              ;   in Loop: Header=BB248_174 Depth=1
	v_cmp_ne_u16_sdwa s[0:1], v8, s24 src0_sel:BYTE_0 src1_sel:DWORD
	v_mov_b32_e32 v40, 0x8000
	s_and_saveexec_b64 s[16:17], s[0:1]
	s_cbranch_execz .LBB248_303
; %bb.300:                              ;   in Loop: Header=BB248_174 Depth=1
	v_and_b32_e32 v41, 0x7f, v8
	v_cmp_ne_u32_e64 s[0:1], s25, v41
	v_mov_b32_e32 v40, 0x7c01
	s_and_saveexec_b64 s[18:19], s[0:1]
	s_cbranch_execz .LBB248_302
; %bb.301:                              ;   in Loop: Header=BB248_174 Depth=1
	v_and_b32_e32 v40, 7, v8
	v_ffbh_u32_e32 v42, v40
	v_min_u32_e32 v45, 32, v42
	v_subrev_u32_e32 v42, 28, v45
	v_lshlrev_b64 v[42:43], v42, v[1:2]
	v_lshrrev_b32_e32 v44, 3, v41
	v_sub_u32_e32 v43, 29, v45
	v_cmp_gt_u32_e64 s[0:1], 8, v41
	v_cndmask_b32_e64 v41, v44, v43, s[0:1]
	v_lshl_add_u32 v41, v41, 10, v20
	v_lshlrev_b32_e32 v43, 8, v8
	v_and_b32_e32 v42, 7, v42
	v_and_b32_e32 v41, 0xfc00, v41
	v_cndmask_b32_e64 v40, v40, v42, s[0:1]
	v_and_or_b32 v41, v43, s26, v41
	v_lshl_or_b32 v40, v40, 7, v41
.LBB248_302:                            ;   in Loop: Header=BB248_174 Depth=1
	s_or_b64 exec, exec, s[18:19]
.LBB248_303:                            ;   in Loop: Header=BB248_174 Depth=1
	s_or_b64 exec, exec, s[16:17]
.LBB248_304:                            ;   in Loop: Header=BB248_174 Depth=1
	s_or_b64 exec, exec, s[12:13]
	v_lshrrev_b16_e32 v1, 8, v1
	v_cmp_ne_u16_e64 s[0:1], 0, v1
	v_mov_b32_e32 v41, 0
	s_and_saveexec_b64 s[12:13], s[0:1]
	s_cbranch_execz .LBB248_310
; %bb.305:                              ;   in Loop: Header=BB248_174 Depth=1
	v_cmp_ne_u16_e64 s[0:1], s24, v1
	v_bfrev_b32_e32 v41, 1
	s_and_saveexec_b64 s[16:17], s[0:1]
	s_cbranch_execz .LBB248_309
; %bb.306:                              ;   in Loop: Header=BB248_174 Depth=1
	v_and_b32_e32 v42, 0x7f, v1
	v_cmp_ne_u32_e64 s[0:1], s25, v42
	v_mov_b32_e32 v41, 0x7c010000
	s_and_saveexec_b64 s[18:19], s[0:1]
	s_cbranch_execz .LBB248_308
; %bb.307:                              ;   in Loop: Header=BB248_174 Depth=1
	v_and_b32_e32 v41, 7, v1
	v_ffbh_u32_e32 v43, v41
	v_min_u32_e32 v46, 32, v43
	v_subrev_u32_e32 v43, 28, v46
	v_lshlrev_b64 v[43:44], v43, v[1:2]
	v_lshrrev_b32_e32 v45, 3, v42
	v_sub_u32_e32 v44, 29, v46
	v_cmp_gt_u32_e64 s[0:1], 8, v42
	v_cndmask_b32_e64 v42, v45, v44, s[0:1]
	v_lshlrev_b32_e32 v1, 8, v1
	v_lshl_add_u32 v42, v42, 10, v20
	v_and_b32_e32 v43, 7, v43
	v_and_or_b32 v1, v1, s26, v42
	v_cndmask_b32_e64 v41, v41, v43, s[0:1]
	v_lshlrev_b32_e32 v1, 16, v1
	v_lshl_or_b32 v41, v41, 23, v1
.LBB248_308:                            ;   in Loop: Header=BB248_174 Depth=1
	s_or_b64 exec, exec, s[18:19]
.LBB248_309:                            ;   in Loop: Header=BB248_174 Depth=1
	s_or_b64 exec, exec, s[16:17]
.LBB248_310:                            ;   in Loop: Header=BB248_174 Depth=1
	s_or_b64 exec, exec, s[12:13]
	v_lshrrev_b32_e32 v1, 16, v8
	v_cmp_ne_u16_sdwa s[0:1], v1, v2 src0_sel:BYTE_0 src1_sel:DWORD
	s_and_saveexec_b64 s[12:13], s[0:1]
	s_cbranch_execz .LBB248_316
; %bb.311:                              ;   in Loop: Header=BB248_174 Depth=1
	v_cmp_ne_u16_sdwa s[0:1], v1, s24 src0_sel:BYTE_0 src1_sel:DWORD
	v_mov_b32_e32 v39, 0x8000
	s_and_saveexec_b64 s[16:17], s[0:1]
	s_cbranch_execz .LBB248_315
; %bb.312:                              ;   in Loop: Header=BB248_174 Depth=1
	v_bfe_u32 v42, v8, 16, 7
	v_cmp_ne_u32_e64 s[0:1], s25, v42
	v_mov_b32_e32 v39, 0x7c01
	s_and_saveexec_b64 s[18:19], s[0:1]
	s_cbranch_execz .LBB248_314
; %bb.313:                              ;   in Loop: Header=BB248_174 Depth=1
	v_and_b32_e32 v39, 7, v1
	v_ffbh_u32_e32 v43, v39
	v_min_u32_e32 v46, 32, v43
	v_subrev_u32_e32 v43, 28, v46
	v_lshlrev_b64 v[43:44], v43, v[1:2]
	v_lshrrev_b32_e32 v45, 3, v42
	v_sub_u32_e32 v44, 29, v46
	v_cmp_gt_u32_e64 s[0:1], 8, v42
	v_cndmask_b32_e64 v42, v45, v44, s[0:1]
	v_lshl_add_u32 v42, v42, 10, v20
	v_lshlrev_b32_e32 v1, 8, v1
	v_and_b32_e32 v43, 7, v43
	v_and_b32_e32 v42, 0xfc00, v42
	v_cndmask_b32_e64 v39, v39, v43, s[0:1]
	v_and_or_b32 v1, v1, s26, v42
	v_lshl_or_b32 v39, v39, 7, v1
.LBB248_314:                            ;   in Loop: Header=BB248_174 Depth=1
	s_or_b64 exec, exec, s[18:19]
.LBB248_315:                            ;   in Loop: Header=BB248_174 Depth=1
	s_or_b64 exec, exec, s[16:17]
.LBB248_316:                            ;   in Loop: Header=BB248_174 Depth=1
	s_or_b64 exec, exec, s[12:13]
	v_cmp_lt_u64_e64 s[0:1], s[4:5], v[7:8]
	v_mov_b32_e32 v7, 0
	s_and_saveexec_b64 s[12:13], s[0:1]
	s_cbranch_execz .LBB248_322
; %bb.317:                              ;   in Loop: Header=BB248_174 Depth=1
	v_lshrrev_b32_e32 v1, 24, v8
	v_cmp_ne_u32_e64 s[0:1], s24, v1
	v_bfrev_b32_e32 v7, 1
	s_and_saveexec_b64 s[16:17], s[0:1]
	s_cbranch_execz .LBB248_321
; %bb.318:                              ;   in Loop: Header=BB248_174 Depth=1
	v_and_b32_e32 v8, 0x7f, v1
	v_cmp_ne_u32_e64 s[0:1], s25, v8
	v_mov_b32_e32 v7, 0x7c010000
	s_and_saveexec_b64 s[18:19], s[0:1]
	s_cbranch_execz .LBB248_320
; %bb.319:                              ;   in Loop: Header=BB248_174 Depth=1
	v_and_b32_e32 v7, 7, v1
	v_ffbh_u32_e32 v42, v7
	v_min_u32_e32 v45, 32, v42
	v_subrev_u32_e32 v42, 28, v45
	v_lshlrev_b64 v[42:43], v42, v[1:2]
	v_lshrrev_b32_e32 v44, 3, v8
	v_sub_u32_e32 v43, 29, v45
	v_cmp_gt_u32_e64 s[0:1], 8, v8
	v_cndmask_b32_e64 v8, v44, v43, s[0:1]
	v_lshlrev_b32_e32 v1, 8, v1
	v_lshl_add_u32 v8, v8, 10, v20
	v_and_b32_e32 v42, 7, v42
	v_and_or_b32 v1, v1, s26, v8
	v_cndmask_b32_e64 v7, v7, v42, s[0:1]
	v_lshlrev_b32_e32 v1, 16, v1
	v_lshl_or_b32 v7, v7, 23, v1
.LBB248_320:                            ;   in Loop: Header=BB248_174 Depth=1
	s_or_b64 exec, exec, s[18:19]
.LBB248_321:                            ;   in Loop: Header=BB248_174 Depth=1
	s_or_b64 exec, exec, s[16:17]
.LBB248_322:                            ;   in Loop: Header=BB248_174 Depth=1
	s_or_b64 exec, exec, s[12:13]
	s_waitcnt vmcnt(0)
	v_fma_mixlo_f16 v8, v34, v37, 0 op_sel:[0,1,0] op_sel_hi:[0,1,0]
	v_or_b32_e32 v1, v37, v38
	v_lshlrev_b32_e32 v37, 16, v8
	v_or_b32_e32 v8, v35, v36
	v_fma_mixlo_f16 v35, v34, v35, 0 op_sel:[0,1,0] op_sel_hi:[0,1,0]
	v_lshlrev_b32_e32 v42, 16, v35
	v_or_b32_e32 v35, v41, v40
	v_or_b32_e32 v39, v7, v39
	v_fma_mixlo_f16 v1, v34, v1, 0 op_sel_hi:[0,1,0]
	v_fma_mixlo_f16 v8, v34, v8, 0 op_sel_hi:[0,1,0]
	v_fma_mixlo_f16 v36, v34, v41, 0 op_sel:[0,1,0] op_sel_hi:[0,1,0]
	v_fma_mixlo_f16 v35, v34, v35, 0 op_sel_hi:[0,1,0]
	v_fma_mixlo_f16 v39, v34, v39, 0 op_sel_hi:[0,1,0]
	v_fma_mixlo_f16 v7, v34, v7, 0 op_sel:[0,1,0] op_sel_hi:[0,1,0]
	v_and_b32_e32 v38, 0xffff, v1
	v_and_b32_e32 v43, 0xffff, v8
	v_lshlrev_b32_e32 v36, 16, v36
	v_and_b32_e32 v40, 0xffff, v35
	v_lshlrev_b32_e32 v34, 16, v7
	v_and_b32_e32 v39, 0xffff, v39
	v_or_b32_e32 v1, v37, v38
	v_or_b32_e32 v8, v42, v43
	;; [unrolled: 1-line block ×4, first 2 shown]
	s_and_saveexec_b64 s[0:1], vcc
	s_cbranch_execz .LBB248_173
; %bb.323:                              ;   in Loop: Header=BB248_174 Depth=1
	v_cmp_gt_i32_e32 vcc, s30, v21
	v_cndmask_b32_e32 v1, 0, v43, vcc
	v_cmp_gt_i32_e32 vcc, s30, v27
	v_cndmask_b32_e32 v7, 0, v42, vcc
	v_cmp_gt_i32_e32 vcc, s30, v26
	v_or_b32_e32 v8, v7, v1
	v_cndmask_b32_e32 v1, 0, v38, vcc
	v_cmp_gt_i32_e32 vcc, s30, v25
	v_cndmask_b32_e32 v7, 0, v37, vcc
	v_cmp_gt_i32_e32 vcc, s30, v24
	v_or_b32_e32 v1, v7, v1
	;; [unrolled: 5-line block ×3, first 2 shown]
	v_cndmask_b32_e32 v7, 0, v39, vcc
	v_cmp_gt_i32_e32 vcc, s30, v17
	v_cndmask_b32_e32 v21, 0, v34, vcc
	v_or_b32_e32 v7, v21, v7
	s_branch .LBB248_173
.LBB248_324:
	s_or_b64 exec, exec, s[6:7]
.LBB248_325:
	s_or_b64 exec, exec, s[2:3]
	ds_bpermute_b32 v1, v13, v15
	ds_bpermute_b32 v4, v13, v16
	;; [unrolled: 1-line block ×3, first 2 shown]
	s_waitcnt lgkmcnt(0)
	s_barrier
	v_add_f32_e32 v3, v15, v1
	v_add_f32_e32 v1, v16, v4
	v_and_b32_e32 v4, 0x3c1, v0
	v_add_f32_e32 v2, v18, v2
	v_cmp_eq_u32_e32 vcc, 64, v4
	s_and_saveexec_b64 s[0:1], vcc
	s_cbranch_execz .LBB248_327
; %bb.326:
	v_mov_b32_e32 v5, 0xd0
	v_lshl_add_u32 v5, v12, 1, v5
	ds_write2_b32 v5, v3, v2 offset1:32
	ds_write_b32 v5, v1 offset:256
.LBB248_327:
	s_or_b64 exec, exec, s[0:1]
	v_cmp_gt_u32_e32 vcc, 64, v0
	v_lshrrev_b32_e32 v0, 1, v0
	s_waitcnt lgkmcnt(0)
	s_barrier
	s_and_saveexec_b64 s[0:1], vcc
	s_cbranch_execz .LBB248_333
; %bb.328:
	v_mov_b32_e32 v5, 0xd0
	v_cmp_eq_u32_e32 vcc, 0, v14
	v_lshl_add_u32 v5, v0, 2, v5
	s_and_saveexec_b64 s[2:3], vcc
	s_cbranch_execnz .LBB248_336
; %bb.329:
	s_or_b64 exec, exec, s[2:3]
	s_and_saveexec_b64 s[2:3], vcc
	s_cbranch_execnz .LBB248_337
.LBB248_330:
	s_or_b64 exec, exec, s[2:3]
	s_and_saveexec_b64 s[2:3], vcc
	s_cbranch_execz .LBB248_332
.LBB248_331:
	ds_read_b32 v5, v5 offset:256
	s_waitcnt lgkmcnt(0)
	v_add_f32_e32 v1, v1, v5
.LBB248_332:
	s_or_b64 exec, exec, s[2:3]
.LBB248_333:
	s_or_b64 exec, exec, s[0:1]
	v_cmp_eq_u32_e32 vcc, 0, v4
	s_barrier
	s_and_saveexec_b64 s[0:1], vcc
	s_cbranch_execz .LBB248_335
; %bb.334:
	s_mul_i32 s0, s10, s11
	s_mul_i32 s0, s0, s9
	s_mulk_i32 s0, 0x60
	s_ashr_i32 s1, s0, 31
	s_lshl_b64 s[0:1], s[0:1], 1
	s_add_u32 s2, s22, s0
	s_mul_i32 s0, s11, s20
	s_addc_u32 s3, s23, s1
	s_ashr_i32 s1, s0, 31
	s_lshl_b64 s[0:1], s[0:1], 1
	s_add_u32 s2, s2, s0
	s_mul_i32 s0, s8, 0x60
	s_addc_u32 s3, s3, s1
	s_ashr_i32 s1, s0, 31
	s_lshl_b64 s[0:1], s[0:1], 1
	s_add_u32 s0, s2, s0
	s_addc_u32 s1, s3, s1
	v_lshlrev_b32_e32 v0, 1, v0
	;;#ASMSTART
	v_cvt_f16_f32 v3, v3;

	;;#ASMEND
	global_store_short v0, v3, s[0:1]
	;;#ASMSTART
	v_cvt_f16_f32 v2, v2;

	;;#ASMEND
	global_store_short v0, v2, s[0:1] offset:64
	;;#ASMSTART
	v_cvt_f16_f32 v1, v1;

	;;#ASMEND
	global_store_short v0, v1, s[0:1] offset:128
.LBB248_335:
	s_endpgm
.LBB248_336:
	ds_read_b32 v6, v5
	s_waitcnt lgkmcnt(0)
	v_add_f32_e32 v3, v3, v6
	s_or_b64 exec, exec, s[2:3]
	s_and_saveexec_b64 s[2:3], vcc
	s_cbranch_execz .LBB248_330
.LBB248_337:
	ds_read_b32 v6, v5 offset:128
	s_waitcnt lgkmcnt(0)
	v_add_f32_e32 v2, v2, v6
	s_or_b64 exec, exec, s[2:3]
	s_and_saveexec_b64 s[2:3], vcc
	s_cbranch_execnz .LBB248_331
	s_branch .LBB248_332
	.section	.rodata,"a",@progbits
	.p2align	6, 0x0
	.amdhsa_kernel _ZN4vllm25paged_attention_v1_kernelIthLi96ELi16ELi128ELNS_18Fp8KVCacheDataTypeE1ELb0EEEvPT_PKS2_PKT0_S8_ifPKiSA_iPKfiiiSC_SC_iiiii
		.amdhsa_group_segment_fixed_size 208
		.amdhsa_private_segment_fixed_size 0
		.amdhsa_kernarg_size 384
		.amdhsa_user_sgpr_count 6
		.amdhsa_user_sgpr_private_segment_buffer 1
		.amdhsa_user_sgpr_dispatch_ptr 0
		.amdhsa_user_sgpr_queue_ptr 0
		.amdhsa_user_sgpr_kernarg_segment_ptr 1
		.amdhsa_user_sgpr_dispatch_id 0
		.amdhsa_user_sgpr_flat_scratch_init 0
		.amdhsa_user_sgpr_private_segment_size 0
		.amdhsa_uses_dynamic_stack 0
		.amdhsa_system_sgpr_private_segment_wavefront_offset 0
		.amdhsa_system_sgpr_workgroup_id_x 1
		.amdhsa_system_sgpr_workgroup_id_y 1
		.amdhsa_system_sgpr_workgroup_id_z 1
		.amdhsa_system_sgpr_workgroup_info 0
		.amdhsa_system_vgpr_workitem_id 0
		.amdhsa_next_free_vgpr 53
		.amdhsa_next_free_sgpr 45
		.amdhsa_reserve_vcc 1
		.amdhsa_reserve_flat_scratch 0
		.amdhsa_float_round_mode_32 0
		.amdhsa_float_round_mode_16_64 0
		.amdhsa_float_denorm_mode_32 3
		.amdhsa_float_denorm_mode_16_64 3
		.amdhsa_dx10_clamp 1
		.amdhsa_ieee_mode 1
		.amdhsa_fp16_overflow 0
		.amdhsa_exception_fp_ieee_invalid_op 0
		.amdhsa_exception_fp_denorm_src 0
		.amdhsa_exception_fp_ieee_div_zero 0
		.amdhsa_exception_fp_ieee_overflow 0
		.amdhsa_exception_fp_ieee_underflow 0
		.amdhsa_exception_fp_ieee_inexact 0
		.amdhsa_exception_int_div_zero 0
	.end_amdhsa_kernel
	.section	.text._ZN4vllm25paged_attention_v1_kernelIthLi96ELi16ELi128ELNS_18Fp8KVCacheDataTypeE1ELb0EEEvPT_PKS2_PKT0_S8_ifPKiSA_iPKfiiiSC_SC_iiiii,"axG",@progbits,_ZN4vllm25paged_attention_v1_kernelIthLi96ELi16ELi128ELNS_18Fp8KVCacheDataTypeE1ELb0EEEvPT_PKS2_PKT0_S8_ifPKiSA_iPKfiiiSC_SC_iiiii,comdat
.Lfunc_end248:
	.size	_ZN4vllm25paged_attention_v1_kernelIthLi96ELi16ELi128ELNS_18Fp8KVCacheDataTypeE1ELb0EEEvPT_PKS2_PKT0_S8_ifPKiSA_iPKfiiiSC_SC_iiiii, .Lfunc_end248-_ZN4vllm25paged_attention_v1_kernelIthLi96ELi16ELi128ELNS_18Fp8KVCacheDataTypeE1ELb0EEEvPT_PKS2_PKT0_S8_ifPKiSA_iPKfiiiSC_SC_iiiii
                                        ; -- End function
	.set _ZN4vllm25paged_attention_v1_kernelIthLi96ELi16ELi128ELNS_18Fp8KVCacheDataTypeE1ELb0EEEvPT_PKS2_PKT0_S8_ifPKiSA_iPKfiiiSC_SC_iiiii.num_vgpr, 53
	.set _ZN4vllm25paged_attention_v1_kernelIthLi96ELi16ELi128ELNS_18Fp8KVCacheDataTypeE1ELb0EEEvPT_PKS2_PKT0_S8_ifPKiSA_iPKfiiiSC_SC_iiiii.num_agpr, 0
	.set _ZN4vllm25paged_attention_v1_kernelIthLi96ELi16ELi128ELNS_18Fp8KVCacheDataTypeE1ELb0EEEvPT_PKS2_PKT0_S8_ifPKiSA_iPKfiiiSC_SC_iiiii.numbered_sgpr, 45
	.set _ZN4vllm25paged_attention_v1_kernelIthLi96ELi16ELi128ELNS_18Fp8KVCacheDataTypeE1ELb0EEEvPT_PKS2_PKT0_S8_ifPKiSA_iPKfiiiSC_SC_iiiii.num_named_barrier, 0
	.set _ZN4vllm25paged_attention_v1_kernelIthLi96ELi16ELi128ELNS_18Fp8KVCacheDataTypeE1ELb0EEEvPT_PKS2_PKT0_S8_ifPKiSA_iPKfiiiSC_SC_iiiii.private_seg_size, 0
	.set _ZN4vllm25paged_attention_v1_kernelIthLi96ELi16ELi128ELNS_18Fp8KVCacheDataTypeE1ELb0EEEvPT_PKS2_PKT0_S8_ifPKiSA_iPKfiiiSC_SC_iiiii.uses_vcc, 1
	.set _ZN4vllm25paged_attention_v1_kernelIthLi96ELi16ELi128ELNS_18Fp8KVCacheDataTypeE1ELb0EEEvPT_PKS2_PKT0_S8_ifPKiSA_iPKfiiiSC_SC_iiiii.uses_flat_scratch, 0
	.set _ZN4vllm25paged_attention_v1_kernelIthLi96ELi16ELi128ELNS_18Fp8KVCacheDataTypeE1ELb0EEEvPT_PKS2_PKT0_S8_ifPKiSA_iPKfiiiSC_SC_iiiii.has_dyn_sized_stack, 0
	.set _ZN4vllm25paged_attention_v1_kernelIthLi96ELi16ELi128ELNS_18Fp8KVCacheDataTypeE1ELb0EEEvPT_PKS2_PKT0_S8_ifPKiSA_iPKfiiiSC_SC_iiiii.has_recursion, 0
	.set _ZN4vllm25paged_attention_v1_kernelIthLi96ELi16ELi128ELNS_18Fp8KVCacheDataTypeE1ELb0EEEvPT_PKS2_PKT0_S8_ifPKiSA_iPKfiiiSC_SC_iiiii.has_indirect_call, 0
	.section	.AMDGPU.csdata,"",@progbits
; Kernel info:
; codeLenInByte = 13992
; TotalNumSgprs: 49
; NumVgprs: 53
; ScratchSize: 0
; MemoryBound: 0
; FloatMode: 240
; IeeeMode: 1
; LDSByteSize: 208 bytes/workgroup (compile time only)
; SGPRBlocks: 6
; VGPRBlocks: 13
; NumSGPRsForWavesPerEU: 49
; NumVGPRsForWavesPerEU: 53
; Occupancy: 4
; WaveLimiterHint : 1
; COMPUTE_PGM_RSRC2:SCRATCH_EN: 0
; COMPUTE_PGM_RSRC2:USER_SGPR: 6
; COMPUTE_PGM_RSRC2:TRAP_HANDLER: 0
; COMPUTE_PGM_RSRC2:TGID_X_EN: 1
; COMPUTE_PGM_RSRC2:TGID_Y_EN: 1
; COMPUTE_PGM_RSRC2:TGID_Z_EN: 1
; COMPUTE_PGM_RSRC2:TIDIG_COMP_CNT: 0
	.section	.text._ZN4vllm25paged_attention_v1_kernelIthLi112ELi16ELi128ELNS_18Fp8KVCacheDataTypeE1ELb0EEEvPT_PKS2_PKT0_S8_ifPKiSA_iPKfiiiSC_SC_iiiii,"axG",@progbits,_ZN4vllm25paged_attention_v1_kernelIthLi112ELi16ELi128ELNS_18Fp8KVCacheDataTypeE1ELb0EEEvPT_PKS2_PKT0_S8_ifPKiSA_iPKfiiiSC_SC_iiiii,comdat
	.protected	_ZN4vllm25paged_attention_v1_kernelIthLi112ELi16ELi128ELNS_18Fp8KVCacheDataTypeE1ELb0EEEvPT_PKS2_PKT0_S8_ifPKiSA_iPKfiiiSC_SC_iiiii ; -- Begin function _ZN4vllm25paged_attention_v1_kernelIthLi112ELi16ELi128ELNS_18Fp8KVCacheDataTypeE1ELb0EEEvPT_PKS2_PKT0_S8_ifPKiSA_iPKfiiiSC_SC_iiiii
	.globl	_ZN4vllm25paged_attention_v1_kernelIthLi112ELi16ELi128ELNS_18Fp8KVCacheDataTypeE1ELb0EEEvPT_PKS2_PKT0_S8_ifPKiSA_iPKfiiiSC_SC_iiiii
	.p2align	8
	.type	_ZN4vllm25paged_attention_v1_kernelIthLi112ELi16ELi128ELNS_18Fp8KVCacheDataTypeE1ELb0EEEvPT_PKS2_PKT0_S8_ifPKiSA_iPKfiiiSC_SC_iiiii,@function
_ZN4vllm25paged_attention_v1_kernelIthLi112ELi16ELi128ELNS_18Fp8KVCacheDataTypeE1ELb0EEEvPT_PKS2_PKT0_S8_ifPKiSA_iPKfiiiSC_SC_iiiii: ; @_ZN4vllm25paged_attention_v1_kernelIthLi112ELi16ELi128ELNS_18Fp8KVCacheDataTypeE1ELb0EEEvPT_PKS2_PKT0_S8_ifPKiSA_iPKfiiiSC_SC_iiiii
; %bb.0:
	s_load_dword s9, s[4:5], 0x80
	s_load_dwordx2 s[0:1], s[4:5], 0x30
	s_load_dwordx2 s[30:31], s[4:5], 0x20
	s_mov_b32 s10, s7
	s_ashr_i32 s11, s7, 31
	s_lshl_b64 s[2:3], s[10:11], 2
	s_waitcnt lgkmcnt(0)
	s_add_u32 s0, s0, s2
	s_addc_u32 s1, s1, s3
	s_abs_i32 s2, s30
	v_cvt_f32_u32_e32 v1, s2
	s_sub_i32 s11, 0, s2
	s_abs_i32 s7, s9
	s_xor_b32 s3, s9, s30
	v_rcp_iflag_f32_e32 v1, v1
	s_ashr_i32 s3, s3, 31
	s_mov_b32 s33, 0
	v_mul_f32_e32 v1, 0x4f7ffffe, v1
	v_cvt_u32_f32_e32 v1, v1
	v_readfirstlane_b32 s12, v1
	s_mul_i32 s11, s11, s12
	s_mul_hi_u32 s11, s12, s11
	s_add_i32 s12, s12, s11
	s_mul_hi_u32 s11, s7, s12
	s_mul_i32 s12, s11, s2
	s_sub_i32 s7, s7, s12
	s_add_i32 s12, s11, 1
	s_sub_i32 s13, s7, s2
	s_cmp_ge_u32 s7, s2
	s_cselect_b32 s11, s12, s11
	s_cselect_b32 s7, s13, s7
	s_add_i32 s12, s11, 1
	s_cmp_ge_u32 s7, s2
	s_cselect_b32 s2, s12, s11
	s_xor_b32 s2, s2, s3
	s_sub_i32 s14, s2, s3
	s_abs_i32 s11, s14
	v_cvt_f32_u32_e32 v1, s11
	s_load_dwordx2 s[2:3], s[4:5], 0x40
	s_sub_i32 s7, 0, s11
	s_abs_i32 s12, s6
	v_rcp_iflag_f32_e32 v1, v1
	v_mul_f32_e32 v1, 0x4f7ffffe, v1
	v_cvt_u32_f32_e32 v1, v1
	v_readfirstlane_b32 s13, v1
	s_mul_i32 s7, s7, s13
	s_mul_hi_u32 s7, s13, s7
	s_add_i32 s13, s13, s7
	s_waitcnt lgkmcnt(0)
	s_cmp_eq_u64 s[2:3], 0
	s_mul_hi_u32 s13, s12, s13
	s_cbranch_scc1 .LBB249_2
; %bb.1:
	s_ashr_i32 s7, s6, 31
	s_lshl_b64 s[16:17], s[6:7], 2
	s_add_u32 s2, s2, s16
	s_addc_u32 s3, s3, s17
	s_load_dword s33, s[2:3], 0x0
.LBB249_2:
	s_load_dword s30, s[0:1], 0x0
	s_load_dwordx4 s[16:19], s[4:5], 0x48
	s_ashr_i32 s2, s6, 31
	s_ashr_i32 s3, s14, 31
	v_and_b32_e32 v3, 3, v0
	s_mul_i32 s20, s6, 0x70
	v_cmp_gt_u32_e32 vcc, 56, v0
	s_and_saveexec_b64 s[0:1], vcc
	s_cbranch_execz .LBB249_4
; %bb.3:
	s_load_dwordx2 s[6:7], s[4:5], 0x8
	s_waitcnt lgkmcnt(0)
	s_mul_i32 s14, s16, s10
	s_ashr_i32 s15, s14, 31
	s_lshl_b64 s[14:15], s[14:15], 1
	v_lshlrev_b32_e32 v1, 2, v0
	s_add_u32 s14, s6, s14
	s_addc_u32 s15, s7, s15
	s_ashr_i32 s21, s20, 31
	s_lshl_b64 s[6:7], s[20:21], 1
	s_add_u32 s6, s14, s6
	s_addc_u32 s7, s15, s7
	global_load_dword v1, v1, s[6:7]
	v_and_b32_e32 v2, 0x3fc, v0
	v_mad_u32_u24 v2, v3, 56, v2
	s_waitcnt vmcnt(0)
	ds_write_b32 v2, v1
.LBB249_4:
	s_or_b64 exec, exec, s[0:1]
	s_waitcnt lgkmcnt(0)
	s_add_i32 s1, s30, 15
	s_ashr_i32 s6, s1, 31
	s_lshr_b32 s6, s6, 28
	s_add_i32 s1, s1, s6
	s_ashr_i32 s21, s1, 4
	s_xor_b32 s1, s2, s3
	s_mul_i32 s2, s13, s11
	s_sub_i32 s2, s12, s2
	s_add_i32 s3, s13, 1
	s_sub_i32 s6, s2, s11
	s_load_dwordx2 s[24:25], s[4:5], 0x28
	s_load_dword s0, s[4:5], 0x38
	s_cmp_ge_u32 s2, s11
	s_cselect_b32 s3, s3, s13
	s_cselect_b32 s2, s6, s2
	s_add_i32 s6, s3, 1
	s_cmp_ge_u32 s2, s11
	s_cselect_b32 s2, s6, s3
	v_lshrrev_b32_e32 v13, 6, v0
	s_xor_b32 s2, s2, s1
	s_waitcnt lgkmcnt(0)
	s_mul_i32 s26, s0, s10
	s_sub_i32 s16, s2, s1
	s_ashr_i32 s27, s26, 31
	v_cmp_le_i32_e64 s[0:1], s21, v13
	v_mbcnt_lo_u32_b32 v8, -1, 0
	s_barrier
                                        ; implicit-def: $vgpr10
                                        ; implicit-def: $vgpr7
                                        ; implicit-def: $vgpr1
	s_and_saveexec_b64 s[2:3], s[0:1]
	s_xor_b64 s[2:3], exec, s[2:3]
; %bb.5:
	v_mbcnt_hi_u32_b32 v10, -1, v8
	v_and_b32_e32 v7, 64, v10
	v_add_u32_e32 v1, 64, v7
                                        ; implicit-def: $vgpr3
                                        ; implicit-def: $vgpr8
; %bb.6:
	s_or_saveexec_b64 s[6:7], s[2:3]
	s_load_dwordx2 s[22:23], s[4:5], 0x0
	s_load_dwordx2 s[28:29], s[4:5], 0x18
	s_load_dword s11, s[4:5], 0x88
	s_load_dwordx4 s[12:15], s[4:5], 0x58
	v_mov_b32_e32 v11, 0xff7fffff
	s_mul_i32 s16, s16, s18
	v_lshrrev_b32_e32 v9, 4, v0
	s_xor_b64 exec, exec, s[6:7]
	s_cbranch_execz .LBB249_180
; %bb.7:
	s_load_dwordx2 s[2:3], s[4:5], 0x10
	s_ashr_i32 s4, s16, 31
	v_bfe_u32 v1, v0, 2, 4
	v_lshlrev_b32_e32 v4, 4, v1
	v_lshlrev_b32_e32 v6, 1, v3
	s_waitcnt lgkmcnt(0)
	s_add_u32 s2, s2, s16
	s_addc_u32 s3, s3, s4
	v_mov_b32_e32 v5, s3
	v_add_co_u32_e32 v4, vcc, s2, v4
	v_addc_co_u32_e32 v5, vcc, 0, v5, vcc
	v_mul_u32_u24_e32 v12, 56, v3
	v_cmp_eq_u32_e32 vcc, 0, v3
	v_add_co_u32_e64 v3, s[4:5], v4, v6
	v_addc_co_u32_e64 v4, s[4:5], 0, v5, s[4:5]
	s_sub_i32 s41, 1, s30
	v_lshl_or_b32 v14, v13, 4, v1
	v_lshlrev_b32_e32 v1, 2, v1
	s_lshl_b64 s[4:5], s[26:27], 2
	v_lshl_or_b32 v1, v13, 6, v1
	s_add_u32 s4, s24, s4
	v_add_u32_e32 v15, 0xf0, v1
	v_and_b32_e32 v1, 60, v9
	s_addc_u32 s5, s25, s5
	v_mov_b32_e32 v6, s5
	v_add_co_u32_e64 v5, s[4:5], s4, v1
	s_mov_b32 s40, s17
	v_mov_b32_e32 v2, 0
	v_cmp_neq_f32_e64 s[2:3], s33, 0
	v_addc_co_u32_e64 v6, s[4:5], 0, v6, s[4:5]
	v_mov_b32_e32 v11, 0xff7fffff
	s_mov_b64 s[18:19], 0
	s_movk_i32 s42, 0x80
	s_movk_i32 s43, 0x7f
	s_mov_b32 s44, 0x8000
	v_mbcnt_hi_u32_b32 v10, -1, v8
	v_mov_b32_e32 v16, 0x2000
	v_mov_b32_e32 v17, v13
	s_branch .LBB249_9
.LBB249_8:                              ;   in Loop: Header=BB249_9 Depth=1
	s_or_b64 exec, exec, s[34:35]
	v_add_u32_e32 v17, 2, v17
	v_cmp_le_i32_e64 s[4:5], s21, v17
	s_or_b64 s[18:19], s[4:5], s[18:19]
	v_add_co_u32_e64 v5, s[4:5], 8, v5
	v_add_u32_e32 v14, 32, v14
	v_add_u32_e32 v15, 0x80, v15
	v_addc_co_u32_e64 v6, s[4:5], 0, v6, s[4:5]
	s_andn2_b64 exec, exec, s[18:19]
	s_cbranch_execz .LBB249_179
.LBB249_9:                              ; =>This Inner Loop Header: Depth=1
	global_load_dword v1, v[5:6], off
	s_waitcnt vmcnt(0)
	v_mad_i64_i32 v[7:8], s[4:5], v1, s40, v[3:4]
	global_load_ushort v19, v[7:8], off
	s_waitcnt lgkmcnt(0)
	global_load_dword v18, v2, s[12:13]
	s_waitcnt vmcnt(1)
	v_and_b32_e32 v1, 0xffff, v19
	v_cmp_ne_u16_sdwa s[4:5], v19, v2 src0_sel:BYTE_0 src1_sel:DWORD
	v_mov_b32_e32 v19, 0
	s_and_saveexec_b64 s[34:35], s[4:5]
	s_cbranch_execz .LBB249_15
; %bb.10:                               ;   in Loop: Header=BB249_9 Depth=1
	v_cmp_ne_u16_sdwa s[4:5], v1, s42 src0_sel:BYTE_0 src1_sel:DWORD
	v_mov_b32_e32 v19, 0x8000
	s_and_saveexec_b64 s[36:37], s[4:5]
	s_cbranch_execz .LBB249_14
; %bb.11:                               ;   in Loop: Header=BB249_9 Depth=1
	v_and_b32_e32 v20, 0x7f, v1
	v_cmp_ne_u32_e64 s[4:5], s43, v20
	v_mov_b32_e32 v19, 0x7c01
	s_and_saveexec_b64 s[38:39], s[4:5]
	s_cbranch_execz .LBB249_13
; %bb.12:                               ;   in Loop: Header=BB249_9 Depth=1
	v_and_b32_e32 v19, 7, v1
	v_ffbh_u32_e32 v21, v19
	v_min_u32_e32 v24, 32, v21
	v_subrev_u32_e32 v21, 28, v24
	v_lshlrev_b64 v[21:22], v21, v[1:2]
	v_lshrrev_b32_e32 v23, 3, v20
	v_sub_u32_e32 v22, 29, v24
	v_cmp_gt_u32_e64 s[4:5], 8, v20
	v_cndmask_b32_e64 v20, v23, v22, s[4:5]
	v_lshl_add_u32 v20, v20, 10, v16
	v_lshlrev_b32_e32 v22, 8, v1
	v_and_b32_e32 v21, 7, v21
	v_and_b32_e32 v20, 0xfc00, v20
	v_cndmask_b32_e64 v19, v19, v21, s[4:5]
	v_and_or_b32 v20, v22, s44, v20
	v_lshl_or_b32 v19, v19, 7, v20
.LBB249_13:                             ;   in Loop: Header=BB249_9 Depth=1
	s_or_b64 exec, exec, s[38:39]
.LBB249_14:                             ;   in Loop: Header=BB249_9 Depth=1
	s_or_b64 exec, exec, s[36:37]
.LBB249_15:                             ;   in Loop: Header=BB249_9 Depth=1
	s_or_b64 exec, exec, s[34:35]
	v_lshrrev_b16_e32 v1, 8, v1
	v_cmp_ne_u16_e64 s[4:5], 0, v1
	v_mov_b32_e32 v20, 0
	v_mov_b32_e32 v21, 0
	s_and_saveexec_b64 s[34:35], s[4:5]
	s_cbranch_execz .LBB249_21
; %bb.16:                               ;   in Loop: Header=BB249_9 Depth=1
	v_cmp_ne_u16_e64 s[4:5], s42, v1
	v_bfrev_b32_e32 v21, 1
	s_and_saveexec_b64 s[36:37], s[4:5]
	s_cbranch_execz .LBB249_20
; %bb.17:                               ;   in Loop: Header=BB249_9 Depth=1
	v_and_b32_e32 v22, 0x7f, v1
	v_cmp_ne_u32_e64 s[4:5], s43, v22
	v_mov_b32_e32 v21, 0x7c010000
	s_and_saveexec_b64 s[38:39], s[4:5]
	s_cbranch_execz .LBB249_19
; %bb.18:                               ;   in Loop: Header=BB249_9 Depth=1
	v_and_b32_e32 v21, 7, v1
	v_ffbh_u32_e32 v23, v21
	v_min_u32_e32 v26, 32, v23
	v_subrev_u32_e32 v23, 28, v26
	v_lshlrev_b64 v[23:24], v23, v[1:2]
	v_lshrrev_b32_e32 v25, 3, v22
	v_sub_u32_e32 v24, 29, v26
	v_cmp_gt_u32_e64 s[4:5], 8, v22
	v_cndmask_b32_e64 v22, v25, v24, s[4:5]
	v_lshlrev_b32_e32 v1, 8, v1
	v_lshl_add_u32 v22, v22, 10, v16
	v_and_b32_e32 v23, 7, v23
	v_and_or_b32 v1, v1, s44, v22
	v_cndmask_b32_e64 v21, v21, v23, s[4:5]
	v_lshlrev_b32_e32 v1, 16, v1
	v_lshl_or_b32 v21, v21, 23, v1
.LBB249_19:                             ;   in Loop: Header=BB249_9 Depth=1
	s_or_b64 exec, exec, s[38:39]
.LBB249_20:                             ;   in Loop: Header=BB249_9 Depth=1
	s_or_b64 exec, exec, s[36:37]
.LBB249_21:                             ;   in Loop: Header=BB249_9 Depth=1
	s_or_b64 exec, exec, s[34:35]
	global_load_ushort v22, v[7:8], off offset:8
	s_waitcnt vmcnt(0)
	v_and_b32_e32 v1, 0xffff, v22
	v_cmp_ne_u16_sdwa s[4:5], v22, v2 src0_sel:BYTE_0 src1_sel:DWORD
	s_and_saveexec_b64 s[34:35], s[4:5]
	s_cbranch_execz .LBB249_27
; %bb.22:                               ;   in Loop: Header=BB249_9 Depth=1
	v_cmp_ne_u16_sdwa s[4:5], v1, s42 src0_sel:BYTE_0 src1_sel:DWORD
	v_mov_b32_e32 v20, 0x8000
	s_and_saveexec_b64 s[36:37], s[4:5]
	s_cbranch_execz .LBB249_26
; %bb.23:                               ;   in Loop: Header=BB249_9 Depth=1
	v_and_b32_e32 v22, 0x7f, v1
	v_cmp_ne_u32_e64 s[4:5], s43, v22
	v_mov_b32_e32 v20, 0x7c01
	s_and_saveexec_b64 s[38:39], s[4:5]
	s_cbranch_execz .LBB249_25
; %bb.24:                               ;   in Loop: Header=BB249_9 Depth=1
	v_and_b32_e32 v20, 7, v1
	v_ffbh_u32_e32 v23, v20
	v_min_u32_e32 v26, 32, v23
	v_subrev_u32_e32 v23, 28, v26
	v_lshlrev_b64 v[23:24], v23, v[1:2]
	v_lshrrev_b32_e32 v25, 3, v22
	v_sub_u32_e32 v24, 29, v26
	v_cmp_gt_u32_e64 s[4:5], 8, v22
	v_cndmask_b32_e64 v22, v25, v24, s[4:5]
	v_lshl_add_u32 v22, v22, 10, v16
	v_lshlrev_b32_e32 v24, 8, v1
	v_and_b32_e32 v23, 7, v23
	v_and_b32_e32 v22, 0xfc00, v22
	v_cndmask_b32_e64 v20, v20, v23, s[4:5]
	v_and_or_b32 v22, v24, s44, v22
	v_lshl_or_b32 v20, v20, 7, v22
.LBB249_25:                             ;   in Loop: Header=BB249_9 Depth=1
	s_or_b64 exec, exec, s[38:39]
.LBB249_26:                             ;   in Loop: Header=BB249_9 Depth=1
	s_or_b64 exec, exec, s[36:37]
.LBB249_27:                             ;   in Loop: Header=BB249_9 Depth=1
	s_or_b64 exec, exec, s[34:35]
	v_lshrrev_b16_e32 v1, 8, v1
	v_cmp_ne_u16_e64 s[4:5], 0, v1
	v_mov_b32_e32 v22, 0
	v_mov_b32_e32 v23, 0
	s_and_saveexec_b64 s[34:35], s[4:5]
	s_cbranch_execz .LBB249_33
; %bb.28:                               ;   in Loop: Header=BB249_9 Depth=1
	v_cmp_ne_u16_e64 s[4:5], s42, v1
	v_bfrev_b32_e32 v23, 1
	s_and_saveexec_b64 s[36:37], s[4:5]
	s_cbranch_execz .LBB249_32
; %bb.29:                               ;   in Loop: Header=BB249_9 Depth=1
	v_and_b32_e32 v24, 0x7f, v1
	v_cmp_ne_u32_e64 s[4:5], s43, v24
	v_mov_b32_e32 v23, 0x7c010000
	s_and_saveexec_b64 s[38:39], s[4:5]
	s_cbranch_execz .LBB249_31
; %bb.30:                               ;   in Loop: Header=BB249_9 Depth=1
	v_and_b32_e32 v23, 7, v1
	v_ffbh_u32_e32 v25, v23
	v_min_u32_e32 v28, 32, v25
	v_subrev_u32_e32 v25, 28, v28
	v_lshlrev_b64 v[25:26], v25, v[1:2]
	v_lshrrev_b32_e32 v27, 3, v24
	v_sub_u32_e32 v26, 29, v28
	v_cmp_gt_u32_e64 s[4:5], 8, v24
	v_cndmask_b32_e64 v24, v27, v26, s[4:5]
	v_lshlrev_b32_e32 v1, 8, v1
	v_lshl_add_u32 v24, v24, 10, v16
	v_and_b32_e32 v25, 7, v25
	v_and_or_b32 v1, v1, s44, v24
	v_cndmask_b32_e64 v23, v23, v25, s[4:5]
	v_lshlrev_b32_e32 v1, 16, v1
	v_lshl_or_b32 v23, v23, 23, v1
.LBB249_31:                             ;   in Loop: Header=BB249_9 Depth=1
	s_or_b64 exec, exec, s[38:39]
.LBB249_32:                             ;   in Loop: Header=BB249_9 Depth=1
	s_or_b64 exec, exec, s[36:37]
.LBB249_33:                             ;   in Loop: Header=BB249_9 Depth=1
	s_or_b64 exec, exec, s[34:35]
	global_load_ushort v24, v[7:8], off offset:256
	s_waitcnt vmcnt(0)
	v_and_b32_e32 v1, 0xffff, v24
	v_cmp_ne_u16_sdwa s[4:5], v24, v2 src0_sel:BYTE_0 src1_sel:DWORD
	s_and_saveexec_b64 s[34:35], s[4:5]
	s_cbranch_execz .LBB249_39
; %bb.34:                               ;   in Loop: Header=BB249_9 Depth=1
	v_cmp_ne_u16_sdwa s[4:5], v1, s42 src0_sel:BYTE_0 src1_sel:DWORD
	v_mov_b32_e32 v22, 0x8000
	s_and_saveexec_b64 s[36:37], s[4:5]
	s_cbranch_execz .LBB249_38
; %bb.35:                               ;   in Loop: Header=BB249_9 Depth=1
	v_and_b32_e32 v24, 0x7f, v1
	v_cmp_ne_u32_e64 s[4:5], s43, v24
	v_mov_b32_e32 v22, 0x7c01
	s_and_saveexec_b64 s[38:39], s[4:5]
	s_cbranch_execz .LBB249_37
; %bb.36:                               ;   in Loop: Header=BB249_9 Depth=1
	v_and_b32_e32 v22, 7, v1
	v_ffbh_u32_e32 v25, v22
	v_min_u32_e32 v28, 32, v25
	v_subrev_u32_e32 v25, 28, v28
	v_lshlrev_b64 v[25:26], v25, v[1:2]
	v_lshrrev_b32_e32 v27, 3, v24
	v_sub_u32_e32 v26, 29, v28
	v_cmp_gt_u32_e64 s[4:5], 8, v24
	v_cndmask_b32_e64 v24, v27, v26, s[4:5]
	v_lshl_add_u32 v24, v24, 10, v16
	v_lshlrev_b32_e32 v26, 8, v1
	v_and_b32_e32 v25, 7, v25
	v_and_b32_e32 v24, 0xfc00, v24
	v_cndmask_b32_e64 v22, v22, v25, s[4:5]
	v_and_or_b32 v24, v26, s44, v24
	v_lshl_or_b32 v22, v22, 7, v24
.LBB249_37:                             ;   in Loop: Header=BB249_9 Depth=1
	s_or_b64 exec, exec, s[38:39]
.LBB249_38:                             ;   in Loop: Header=BB249_9 Depth=1
	s_or_b64 exec, exec, s[36:37]
.LBB249_39:                             ;   in Loop: Header=BB249_9 Depth=1
	s_or_b64 exec, exec, s[34:35]
	v_lshrrev_b16_e32 v1, 8, v1
	v_cmp_ne_u16_e64 s[4:5], 0, v1
	v_mov_b32_e32 v24, 0
	v_mov_b32_e32 v25, 0
	s_and_saveexec_b64 s[34:35], s[4:5]
	s_cbranch_execz .LBB249_45
; %bb.40:                               ;   in Loop: Header=BB249_9 Depth=1
	v_cmp_ne_u16_e64 s[4:5], s42, v1
	v_bfrev_b32_e32 v25, 1
	s_and_saveexec_b64 s[36:37], s[4:5]
	s_cbranch_execz .LBB249_44
; %bb.41:                               ;   in Loop: Header=BB249_9 Depth=1
	v_and_b32_e32 v26, 0x7f, v1
	v_cmp_ne_u32_e64 s[4:5], s43, v26
	v_mov_b32_e32 v25, 0x7c010000
	s_and_saveexec_b64 s[38:39], s[4:5]
	s_cbranch_execz .LBB249_43
; %bb.42:                               ;   in Loop: Header=BB249_9 Depth=1
	v_and_b32_e32 v25, 7, v1
	v_ffbh_u32_e32 v27, v25
	v_min_u32_e32 v30, 32, v27
	v_subrev_u32_e32 v27, 28, v30
	v_lshlrev_b64 v[27:28], v27, v[1:2]
	v_lshrrev_b32_e32 v29, 3, v26
	v_sub_u32_e32 v28, 29, v30
	v_cmp_gt_u32_e64 s[4:5], 8, v26
	v_cndmask_b32_e64 v26, v29, v28, s[4:5]
	v_lshlrev_b32_e32 v1, 8, v1
	v_lshl_add_u32 v26, v26, 10, v16
	v_and_b32_e32 v27, 7, v27
	v_and_or_b32 v1, v1, s44, v26
	v_cndmask_b32_e64 v25, v25, v27, s[4:5]
	v_lshlrev_b32_e32 v1, 16, v1
	v_lshl_or_b32 v25, v25, 23, v1
.LBB249_43:                             ;   in Loop: Header=BB249_9 Depth=1
	s_or_b64 exec, exec, s[38:39]
.LBB249_44:                             ;   in Loop: Header=BB249_9 Depth=1
	s_or_b64 exec, exec, s[36:37]
.LBB249_45:                             ;   in Loop: Header=BB249_9 Depth=1
	s_or_b64 exec, exec, s[34:35]
	global_load_ushort v26, v[7:8], off offset:264
	s_waitcnt vmcnt(0)
	v_and_b32_e32 v1, 0xffff, v26
	v_cmp_ne_u16_sdwa s[4:5], v26, v2 src0_sel:BYTE_0 src1_sel:DWORD
	s_and_saveexec_b64 s[34:35], s[4:5]
	s_cbranch_execz .LBB249_51
; %bb.46:                               ;   in Loop: Header=BB249_9 Depth=1
	v_cmp_ne_u16_sdwa s[4:5], v1, s42 src0_sel:BYTE_0 src1_sel:DWORD
	v_mov_b32_e32 v24, 0x8000
	s_and_saveexec_b64 s[36:37], s[4:5]
	s_cbranch_execz .LBB249_50
; %bb.47:                               ;   in Loop: Header=BB249_9 Depth=1
	v_and_b32_e32 v26, 0x7f, v1
	v_cmp_ne_u32_e64 s[4:5], s43, v26
	v_mov_b32_e32 v24, 0x7c01
	s_and_saveexec_b64 s[38:39], s[4:5]
	s_cbranch_execz .LBB249_49
; %bb.48:                               ;   in Loop: Header=BB249_9 Depth=1
	v_and_b32_e32 v24, 7, v1
	v_ffbh_u32_e32 v27, v24
	v_min_u32_e32 v30, 32, v27
	v_subrev_u32_e32 v27, 28, v30
	v_lshlrev_b64 v[27:28], v27, v[1:2]
	v_lshrrev_b32_e32 v29, 3, v26
	v_sub_u32_e32 v28, 29, v30
	v_cmp_gt_u32_e64 s[4:5], 8, v26
	v_cndmask_b32_e64 v26, v29, v28, s[4:5]
	v_lshl_add_u32 v26, v26, 10, v16
	v_lshlrev_b32_e32 v28, 8, v1
	v_and_b32_e32 v27, 7, v27
	v_and_b32_e32 v26, 0xfc00, v26
	v_cndmask_b32_e64 v24, v24, v27, s[4:5]
	v_and_or_b32 v26, v28, s44, v26
	v_lshl_or_b32 v24, v24, 7, v26
.LBB249_49:                             ;   in Loop: Header=BB249_9 Depth=1
	s_or_b64 exec, exec, s[38:39]
.LBB249_50:                             ;   in Loop: Header=BB249_9 Depth=1
	s_or_b64 exec, exec, s[36:37]
.LBB249_51:                             ;   in Loop: Header=BB249_9 Depth=1
	s_or_b64 exec, exec, s[34:35]
	v_lshrrev_b16_e32 v1, 8, v1
	v_cmp_ne_u16_e64 s[4:5], 0, v1
	v_mov_b32_e32 v26, 0
	v_mov_b32_e32 v27, 0
	s_and_saveexec_b64 s[34:35], s[4:5]
	s_cbranch_execz .LBB249_57
; %bb.52:                               ;   in Loop: Header=BB249_9 Depth=1
	v_cmp_ne_u16_e64 s[4:5], s42, v1
	v_bfrev_b32_e32 v27, 1
	s_and_saveexec_b64 s[36:37], s[4:5]
	s_cbranch_execz .LBB249_56
; %bb.53:                               ;   in Loop: Header=BB249_9 Depth=1
	v_and_b32_e32 v28, 0x7f, v1
	v_cmp_ne_u32_e64 s[4:5], s43, v28
	v_mov_b32_e32 v27, 0x7c010000
	s_and_saveexec_b64 s[38:39], s[4:5]
	s_cbranch_execz .LBB249_55
; %bb.54:                               ;   in Loop: Header=BB249_9 Depth=1
	v_and_b32_e32 v27, 7, v1
	v_ffbh_u32_e32 v29, v27
	v_min_u32_e32 v32, 32, v29
	v_subrev_u32_e32 v29, 28, v32
	v_lshlrev_b64 v[29:30], v29, v[1:2]
	v_lshrrev_b32_e32 v31, 3, v28
	v_sub_u32_e32 v30, 29, v32
	v_cmp_gt_u32_e64 s[4:5], 8, v28
	v_cndmask_b32_e64 v28, v31, v30, s[4:5]
	v_lshlrev_b32_e32 v1, 8, v1
	v_lshl_add_u32 v28, v28, 10, v16
	v_and_b32_e32 v29, 7, v29
	v_and_or_b32 v1, v1, s44, v28
	v_cndmask_b32_e64 v27, v27, v29, s[4:5]
	v_lshlrev_b32_e32 v1, 16, v1
	v_lshl_or_b32 v27, v27, 23, v1
.LBB249_55:                             ;   in Loop: Header=BB249_9 Depth=1
	s_or_b64 exec, exec, s[38:39]
.LBB249_56:                             ;   in Loop: Header=BB249_9 Depth=1
	s_or_b64 exec, exec, s[36:37]
.LBB249_57:                             ;   in Loop: Header=BB249_9 Depth=1
	s_or_b64 exec, exec, s[34:35]
	global_load_ushort v28, v[7:8], off offset:512
	s_waitcnt vmcnt(0)
	v_and_b32_e32 v1, 0xffff, v28
	v_cmp_ne_u16_sdwa s[4:5], v28, v2 src0_sel:BYTE_0 src1_sel:DWORD
	s_and_saveexec_b64 s[34:35], s[4:5]
	s_cbranch_execz .LBB249_63
; %bb.58:                               ;   in Loop: Header=BB249_9 Depth=1
	v_cmp_ne_u16_sdwa s[4:5], v1, s42 src0_sel:BYTE_0 src1_sel:DWORD
	v_mov_b32_e32 v26, 0x8000
	s_and_saveexec_b64 s[36:37], s[4:5]
	s_cbranch_execz .LBB249_62
; %bb.59:                               ;   in Loop: Header=BB249_9 Depth=1
	v_and_b32_e32 v28, 0x7f, v1
	v_cmp_ne_u32_e64 s[4:5], s43, v28
	v_mov_b32_e32 v26, 0x7c01
	s_and_saveexec_b64 s[38:39], s[4:5]
	s_cbranch_execz .LBB249_61
; %bb.60:                               ;   in Loop: Header=BB249_9 Depth=1
	v_and_b32_e32 v26, 7, v1
	v_ffbh_u32_e32 v29, v26
	v_min_u32_e32 v32, 32, v29
	v_subrev_u32_e32 v29, 28, v32
	v_lshlrev_b64 v[29:30], v29, v[1:2]
	v_lshrrev_b32_e32 v31, 3, v28
	v_sub_u32_e32 v30, 29, v32
	v_cmp_gt_u32_e64 s[4:5], 8, v28
	v_cndmask_b32_e64 v28, v31, v30, s[4:5]
	v_lshl_add_u32 v28, v28, 10, v16
	v_lshlrev_b32_e32 v30, 8, v1
	v_and_b32_e32 v29, 7, v29
	v_and_b32_e32 v28, 0xfc00, v28
	v_cndmask_b32_e64 v26, v26, v29, s[4:5]
	v_and_or_b32 v28, v30, s44, v28
	v_lshl_or_b32 v26, v26, 7, v28
.LBB249_61:                             ;   in Loop: Header=BB249_9 Depth=1
	s_or_b64 exec, exec, s[38:39]
.LBB249_62:                             ;   in Loop: Header=BB249_9 Depth=1
	s_or_b64 exec, exec, s[36:37]
.LBB249_63:                             ;   in Loop: Header=BB249_9 Depth=1
	s_or_b64 exec, exec, s[34:35]
	v_lshrrev_b16_e32 v1, 8, v1
	v_cmp_ne_u16_e64 s[4:5], 0, v1
	v_mov_b32_e32 v28, 0
	v_mov_b32_e32 v29, 0
	s_and_saveexec_b64 s[34:35], s[4:5]
	s_cbranch_execz .LBB249_69
; %bb.64:                               ;   in Loop: Header=BB249_9 Depth=1
	v_cmp_ne_u16_e64 s[4:5], s42, v1
	v_bfrev_b32_e32 v29, 1
	s_and_saveexec_b64 s[36:37], s[4:5]
	s_cbranch_execz .LBB249_68
; %bb.65:                               ;   in Loop: Header=BB249_9 Depth=1
	v_and_b32_e32 v30, 0x7f, v1
	v_cmp_ne_u32_e64 s[4:5], s43, v30
	v_mov_b32_e32 v29, 0x7c010000
	s_and_saveexec_b64 s[38:39], s[4:5]
	s_cbranch_execz .LBB249_67
; %bb.66:                               ;   in Loop: Header=BB249_9 Depth=1
	v_and_b32_e32 v29, 7, v1
	v_ffbh_u32_e32 v31, v29
	v_min_u32_e32 v34, 32, v31
	v_subrev_u32_e32 v31, 28, v34
	v_lshlrev_b64 v[31:32], v31, v[1:2]
	v_lshrrev_b32_e32 v33, 3, v30
	v_sub_u32_e32 v32, 29, v34
	v_cmp_gt_u32_e64 s[4:5], 8, v30
	v_cndmask_b32_e64 v30, v33, v32, s[4:5]
	v_lshlrev_b32_e32 v1, 8, v1
	v_lshl_add_u32 v30, v30, 10, v16
	v_and_b32_e32 v31, 7, v31
	v_and_or_b32 v1, v1, s44, v30
	v_cndmask_b32_e64 v29, v29, v31, s[4:5]
	v_lshlrev_b32_e32 v1, 16, v1
	v_lshl_or_b32 v29, v29, 23, v1
.LBB249_67:                             ;   in Loop: Header=BB249_9 Depth=1
	s_or_b64 exec, exec, s[38:39]
.LBB249_68:                             ;   in Loop: Header=BB249_9 Depth=1
	s_or_b64 exec, exec, s[36:37]
.LBB249_69:                             ;   in Loop: Header=BB249_9 Depth=1
	s_or_b64 exec, exec, s[34:35]
	global_load_ushort v30, v[7:8], off offset:520
	s_waitcnt vmcnt(0)
	v_and_b32_e32 v1, 0xffff, v30
	v_cmp_ne_u16_sdwa s[4:5], v30, v2 src0_sel:BYTE_0 src1_sel:DWORD
	s_and_saveexec_b64 s[34:35], s[4:5]
	s_cbranch_execz .LBB249_75
; %bb.70:                               ;   in Loop: Header=BB249_9 Depth=1
	v_cmp_ne_u16_sdwa s[4:5], v1, s42 src0_sel:BYTE_0 src1_sel:DWORD
	v_mov_b32_e32 v28, 0x8000
	s_and_saveexec_b64 s[36:37], s[4:5]
	s_cbranch_execz .LBB249_74
; %bb.71:                               ;   in Loop: Header=BB249_9 Depth=1
	v_and_b32_e32 v30, 0x7f, v1
	v_cmp_ne_u32_e64 s[4:5], s43, v30
	v_mov_b32_e32 v28, 0x7c01
	s_and_saveexec_b64 s[38:39], s[4:5]
	s_cbranch_execz .LBB249_73
; %bb.72:                               ;   in Loop: Header=BB249_9 Depth=1
	v_and_b32_e32 v28, 7, v1
	v_ffbh_u32_e32 v31, v28
	v_min_u32_e32 v34, 32, v31
	v_subrev_u32_e32 v31, 28, v34
	v_lshlrev_b64 v[31:32], v31, v[1:2]
	v_lshrrev_b32_e32 v33, 3, v30
	v_sub_u32_e32 v32, 29, v34
	v_cmp_gt_u32_e64 s[4:5], 8, v30
	v_cndmask_b32_e64 v30, v33, v32, s[4:5]
	v_lshl_add_u32 v30, v30, 10, v16
	v_lshlrev_b32_e32 v32, 8, v1
	v_and_b32_e32 v31, 7, v31
	v_and_b32_e32 v30, 0xfc00, v30
	v_cndmask_b32_e64 v28, v28, v31, s[4:5]
	v_and_or_b32 v30, v32, s44, v30
	v_lshl_or_b32 v28, v28, 7, v30
.LBB249_73:                             ;   in Loop: Header=BB249_9 Depth=1
	s_or_b64 exec, exec, s[38:39]
.LBB249_74:                             ;   in Loop: Header=BB249_9 Depth=1
	s_or_b64 exec, exec, s[36:37]
.LBB249_75:                             ;   in Loop: Header=BB249_9 Depth=1
	s_or_b64 exec, exec, s[34:35]
	v_lshrrev_b16_e32 v1, 8, v1
	v_cmp_ne_u16_e64 s[4:5], 0, v1
	v_mov_b32_e32 v30, 0
	v_mov_b32_e32 v31, 0
	s_and_saveexec_b64 s[34:35], s[4:5]
	s_cbranch_execz .LBB249_81
; %bb.76:                               ;   in Loop: Header=BB249_9 Depth=1
	v_cmp_ne_u16_e64 s[4:5], s42, v1
	v_bfrev_b32_e32 v31, 1
	s_and_saveexec_b64 s[36:37], s[4:5]
	s_cbranch_execz .LBB249_80
; %bb.77:                               ;   in Loop: Header=BB249_9 Depth=1
	v_and_b32_e32 v32, 0x7f, v1
	v_cmp_ne_u32_e64 s[4:5], s43, v32
	v_mov_b32_e32 v31, 0x7c010000
	s_and_saveexec_b64 s[38:39], s[4:5]
	s_cbranch_execz .LBB249_79
; %bb.78:                               ;   in Loop: Header=BB249_9 Depth=1
	v_and_b32_e32 v31, 7, v1
	v_ffbh_u32_e32 v33, v31
	v_min_u32_e32 v36, 32, v33
	v_subrev_u32_e32 v33, 28, v36
	v_lshlrev_b64 v[33:34], v33, v[1:2]
	v_lshrrev_b32_e32 v35, 3, v32
	v_sub_u32_e32 v34, 29, v36
	v_cmp_gt_u32_e64 s[4:5], 8, v32
	v_cndmask_b32_e64 v32, v35, v34, s[4:5]
	v_lshlrev_b32_e32 v1, 8, v1
	v_lshl_add_u32 v32, v32, 10, v16
	v_and_b32_e32 v33, 7, v33
	v_and_or_b32 v1, v1, s44, v32
	v_cndmask_b32_e64 v31, v31, v33, s[4:5]
	v_lshlrev_b32_e32 v1, 16, v1
	v_lshl_or_b32 v31, v31, 23, v1
.LBB249_79:                             ;   in Loop: Header=BB249_9 Depth=1
	s_or_b64 exec, exec, s[38:39]
.LBB249_80:                             ;   in Loop: Header=BB249_9 Depth=1
	s_or_b64 exec, exec, s[36:37]
.LBB249_81:                             ;   in Loop: Header=BB249_9 Depth=1
	s_or_b64 exec, exec, s[34:35]
	global_load_ushort v32, v[7:8], off offset:768
	s_waitcnt vmcnt(0)
	v_and_b32_e32 v1, 0xffff, v32
	v_cmp_ne_u16_sdwa s[4:5], v32, v2 src0_sel:BYTE_0 src1_sel:DWORD
	s_and_saveexec_b64 s[34:35], s[4:5]
	s_cbranch_execz .LBB249_87
; %bb.82:                               ;   in Loop: Header=BB249_9 Depth=1
	v_cmp_ne_u16_sdwa s[4:5], v1, s42 src0_sel:BYTE_0 src1_sel:DWORD
	v_mov_b32_e32 v30, 0x8000
	s_and_saveexec_b64 s[36:37], s[4:5]
	s_cbranch_execz .LBB249_86
; %bb.83:                               ;   in Loop: Header=BB249_9 Depth=1
	v_and_b32_e32 v32, 0x7f, v1
	v_cmp_ne_u32_e64 s[4:5], s43, v32
	v_mov_b32_e32 v30, 0x7c01
	s_and_saveexec_b64 s[38:39], s[4:5]
	s_cbranch_execz .LBB249_85
; %bb.84:                               ;   in Loop: Header=BB249_9 Depth=1
	v_and_b32_e32 v30, 7, v1
	v_ffbh_u32_e32 v33, v30
	v_min_u32_e32 v36, 32, v33
	v_subrev_u32_e32 v33, 28, v36
	v_lshlrev_b64 v[33:34], v33, v[1:2]
	v_lshrrev_b32_e32 v35, 3, v32
	v_sub_u32_e32 v34, 29, v36
	v_cmp_gt_u32_e64 s[4:5], 8, v32
	v_cndmask_b32_e64 v32, v35, v34, s[4:5]
	v_lshl_add_u32 v32, v32, 10, v16
	v_lshlrev_b32_e32 v34, 8, v1
	v_and_b32_e32 v33, 7, v33
	v_and_b32_e32 v32, 0xfc00, v32
	v_cndmask_b32_e64 v30, v30, v33, s[4:5]
	v_and_or_b32 v32, v34, s44, v32
	v_lshl_or_b32 v30, v30, 7, v32
.LBB249_85:                             ;   in Loop: Header=BB249_9 Depth=1
	s_or_b64 exec, exec, s[38:39]
.LBB249_86:                             ;   in Loop: Header=BB249_9 Depth=1
	s_or_b64 exec, exec, s[36:37]
.LBB249_87:                             ;   in Loop: Header=BB249_9 Depth=1
	s_or_b64 exec, exec, s[34:35]
	v_lshrrev_b16_e32 v1, 8, v1
	v_cmp_ne_u16_e64 s[4:5], 0, v1
	v_mov_b32_e32 v33, 0
	v_mov_b32_e32 v32, 0
	s_and_saveexec_b64 s[34:35], s[4:5]
	s_cbranch_execz .LBB249_93
; %bb.88:                               ;   in Loop: Header=BB249_9 Depth=1
	v_cmp_ne_u16_e64 s[4:5], s42, v1
	v_bfrev_b32_e32 v32, 1
	s_and_saveexec_b64 s[36:37], s[4:5]
	s_cbranch_execz .LBB249_92
; %bb.89:                               ;   in Loop: Header=BB249_9 Depth=1
	v_and_b32_e32 v34, 0x7f, v1
	v_cmp_ne_u32_e64 s[4:5], s43, v34
	v_mov_b32_e32 v32, 0x7c010000
	s_and_saveexec_b64 s[38:39], s[4:5]
	s_cbranch_execz .LBB249_91
; %bb.90:                               ;   in Loop: Header=BB249_9 Depth=1
	v_and_b32_e32 v32, 7, v1
	v_ffbh_u32_e32 v35, v32
	v_min_u32_e32 v38, 32, v35
	v_subrev_u32_e32 v35, 28, v38
	v_lshlrev_b64 v[35:36], v35, v[1:2]
	v_lshrrev_b32_e32 v37, 3, v34
	v_sub_u32_e32 v36, 29, v38
	v_cmp_gt_u32_e64 s[4:5], 8, v34
	v_cndmask_b32_e64 v34, v37, v36, s[4:5]
	v_lshlrev_b32_e32 v1, 8, v1
	v_lshl_add_u32 v34, v34, 10, v16
	v_and_b32_e32 v35, 7, v35
	v_and_or_b32 v1, v1, s44, v34
	v_cndmask_b32_e64 v32, v32, v35, s[4:5]
	v_lshlrev_b32_e32 v1, 16, v1
	v_lshl_or_b32 v32, v32, 23, v1
.LBB249_91:                             ;   in Loop: Header=BB249_9 Depth=1
	s_or_b64 exec, exec, s[38:39]
.LBB249_92:                             ;   in Loop: Header=BB249_9 Depth=1
	s_or_b64 exec, exec, s[36:37]
.LBB249_93:                             ;   in Loop: Header=BB249_9 Depth=1
	s_or_b64 exec, exec, s[34:35]
	global_load_ushort v34, v[7:8], off offset:776
	s_waitcnt vmcnt(0)
	v_and_b32_e32 v1, 0xffff, v34
	v_cmp_ne_u16_sdwa s[4:5], v34, v2 src0_sel:BYTE_0 src1_sel:DWORD
	s_and_saveexec_b64 s[34:35], s[4:5]
	s_cbranch_execz .LBB249_99
; %bb.94:                               ;   in Loop: Header=BB249_9 Depth=1
	v_cmp_ne_u16_sdwa s[4:5], v1, s42 src0_sel:BYTE_0 src1_sel:DWORD
	v_mov_b32_e32 v33, 0x8000
	s_and_saveexec_b64 s[36:37], s[4:5]
	s_cbranch_execz .LBB249_98
; %bb.95:                               ;   in Loop: Header=BB249_9 Depth=1
	v_and_b32_e32 v34, 0x7f, v1
	v_cmp_ne_u32_e64 s[4:5], s43, v34
	v_mov_b32_e32 v33, 0x7c01
	s_and_saveexec_b64 s[38:39], s[4:5]
	s_cbranch_execz .LBB249_97
; %bb.96:                               ;   in Loop: Header=BB249_9 Depth=1
	v_and_b32_e32 v33, 7, v1
	v_ffbh_u32_e32 v35, v33
	v_min_u32_e32 v38, 32, v35
	v_subrev_u32_e32 v35, 28, v38
	v_lshlrev_b64 v[35:36], v35, v[1:2]
	v_lshrrev_b32_e32 v37, 3, v34
	v_sub_u32_e32 v36, 29, v38
	v_cmp_gt_u32_e64 s[4:5], 8, v34
	v_cndmask_b32_e64 v34, v37, v36, s[4:5]
	v_lshl_add_u32 v34, v34, 10, v16
	v_lshlrev_b32_e32 v36, 8, v1
	v_and_b32_e32 v35, 7, v35
	v_and_b32_e32 v34, 0xfc00, v34
	v_cndmask_b32_e64 v33, v33, v35, s[4:5]
	v_and_or_b32 v34, v36, s44, v34
	v_lshl_or_b32 v33, v33, 7, v34
.LBB249_97:                             ;   in Loop: Header=BB249_9 Depth=1
	s_or_b64 exec, exec, s[38:39]
.LBB249_98:                             ;   in Loop: Header=BB249_9 Depth=1
	s_or_b64 exec, exec, s[36:37]
.LBB249_99:                             ;   in Loop: Header=BB249_9 Depth=1
	s_or_b64 exec, exec, s[34:35]
	v_lshrrev_b16_e32 v1, 8, v1
	v_cmp_ne_u16_e64 s[4:5], 0, v1
	v_mov_b32_e32 v35, 0
	v_mov_b32_e32 v34, 0
	s_and_saveexec_b64 s[34:35], s[4:5]
	s_cbranch_execz .LBB249_105
; %bb.100:                              ;   in Loop: Header=BB249_9 Depth=1
	v_cmp_ne_u16_e64 s[4:5], s42, v1
	v_bfrev_b32_e32 v34, 1
	s_and_saveexec_b64 s[36:37], s[4:5]
	s_cbranch_execz .LBB249_104
; %bb.101:                              ;   in Loop: Header=BB249_9 Depth=1
	v_and_b32_e32 v36, 0x7f, v1
	v_cmp_ne_u32_e64 s[4:5], s43, v36
	v_mov_b32_e32 v34, 0x7c010000
	s_and_saveexec_b64 s[38:39], s[4:5]
	s_cbranch_execz .LBB249_103
; %bb.102:                              ;   in Loop: Header=BB249_9 Depth=1
	v_and_b32_e32 v34, 7, v1
	v_ffbh_u32_e32 v37, v34
	v_min_u32_e32 v40, 32, v37
	v_subrev_u32_e32 v37, 28, v40
	v_lshlrev_b64 v[37:38], v37, v[1:2]
	v_lshrrev_b32_e32 v39, 3, v36
	v_sub_u32_e32 v38, 29, v40
	v_cmp_gt_u32_e64 s[4:5], 8, v36
	v_cndmask_b32_e64 v36, v39, v38, s[4:5]
	v_lshlrev_b32_e32 v1, 8, v1
	v_lshl_add_u32 v36, v36, 10, v16
	v_and_b32_e32 v37, 7, v37
	v_and_or_b32 v1, v1, s44, v36
	v_cndmask_b32_e64 v34, v34, v37, s[4:5]
	v_lshlrev_b32_e32 v1, 16, v1
	v_lshl_or_b32 v34, v34, 23, v1
.LBB249_103:                            ;   in Loop: Header=BB249_9 Depth=1
	s_or_b64 exec, exec, s[38:39]
.LBB249_104:                            ;   in Loop: Header=BB249_9 Depth=1
	s_or_b64 exec, exec, s[36:37]
.LBB249_105:                            ;   in Loop: Header=BB249_9 Depth=1
	s_or_b64 exec, exec, s[34:35]
	global_load_ushort v36, v[7:8], off offset:1024
	s_waitcnt vmcnt(0)
	v_and_b32_e32 v1, 0xffff, v36
	v_cmp_ne_u16_sdwa s[4:5], v36, v2 src0_sel:BYTE_0 src1_sel:DWORD
	s_and_saveexec_b64 s[34:35], s[4:5]
	s_cbranch_execz .LBB249_111
; %bb.106:                              ;   in Loop: Header=BB249_9 Depth=1
	v_cmp_ne_u16_sdwa s[4:5], v1, s42 src0_sel:BYTE_0 src1_sel:DWORD
	v_mov_b32_e32 v35, 0x8000
	s_and_saveexec_b64 s[36:37], s[4:5]
	s_cbranch_execz .LBB249_110
; %bb.107:                              ;   in Loop: Header=BB249_9 Depth=1
	v_and_b32_e32 v36, 0x7f, v1
	v_cmp_ne_u32_e64 s[4:5], s43, v36
	v_mov_b32_e32 v35, 0x7c01
	s_and_saveexec_b64 s[38:39], s[4:5]
	s_cbranch_execz .LBB249_109
; %bb.108:                              ;   in Loop: Header=BB249_9 Depth=1
	v_and_b32_e32 v35, 7, v1
	v_ffbh_u32_e32 v37, v35
	v_min_u32_e32 v40, 32, v37
	v_subrev_u32_e32 v37, 28, v40
	v_lshlrev_b64 v[37:38], v37, v[1:2]
	v_lshrrev_b32_e32 v39, 3, v36
	v_sub_u32_e32 v38, 29, v40
	v_cmp_gt_u32_e64 s[4:5], 8, v36
	v_cndmask_b32_e64 v36, v39, v38, s[4:5]
	v_lshl_add_u32 v36, v36, 10, v16
	v_lshlrev_b32_e32 v38, 8, v1
	v_and_b32_e32 v37, 7, v37
	v_and_b32_e32 v36, 0xfc00, v36
	v_cndmask_b32_e64 v35, v35, v37, s[4:5]
	v_and_or_b32 v36, v38, s44, v36
	v_lshl_or_b32 v35, v35, 7, v36
.LBB249_109:                            ;   in Loop: Header=BB249_9 Depth=1
	s_or_b64 exec, exec, s[38:39]
.LBB249_110:                            ;   in Loop: Header=BB249_9 Depth=1
	s_or_b64 exec, exec, s[36:37]
.LBB249_111:                            ;   in Loop: Header=BB249_9 Depth=1
	s_or_b64 exec, exec, s[34:35]
	v_lshrrev_b16_e32 v1, 8, v1
	v_cmp_ne_u16_e64 s[4:5], 0, v1
	v_mov_b32_e32 v37, 0
	v_mov_b32_e32 v36, 0
	s_and_saveexec_b64 s[34:35], s[4:5]
	s_cbranch_execz .LBB249_117
; %bb.112:                              ;   in Loop: Header=BB249_9 Depth=1
	v_cmp_ne_u16_e64 s[4:5], s42, v1
	v_bfrev_b32_e32 v36, 1
	s_and_saveexec_b64 s[36:37], s[4:5]
	s_cbranch_execz .LBB249_116
; %bb.113:                              ;   in Loop: Header=BB249_9 Depth=1
	v_and_b32_e32 v38, 0x7f, v1
	v_cmp_ne_u32_e64 s[4:5], s43, v38
	v_mov_b32_e32 v36, 0x7c010000
	s_and_saveexec_b64 s[38:39], s[4:5]
	s_cbranch_execz .LBB249_115
; %bb.114:                              ;   in Loop: Header=BB249_9 Depth=1
	v_and_b32_e32 v36, 7, v1
	v_ffbh_u32_e32 v39, v36
	v_min_u32_e32 v42, 32, v39
	v_subrev_u32_e32 v39, 28, v42
	v_lshlrev_b64 v[39:40], v39, v[1:2]
	v_lshrrev_b32_e32 v41, 3, v38
	v_sub_u32_e32 v40, 29, v42
	v_cmp_gt_u32_e64 s[4:5], 8, v38
	v_cndmask_b32_e64 v38, v41, v40, s[4:5]
	v_lshlrev_b32_e32 v1, 8, v1
	v_lshl_add_u32 v38, v38, 10, v16
	v_and_b32_e32 v39, 7, v39
	v_and_or_b32 v1, v1, s44, v38
	v_cndmask_b32_e64 v36, v36, v39, s[4:5]
	v_lshlrev_b32_e32 v1, 16, v1
	v_lshl_or_b32 v36, v36, 23, v1
.LBB249_115:                            ;   in Loop: Header=BB249_9 Depth=1
	s_or_b64 exec, exec, s[38:39]
.LBB249_116:                            ;   in Loop: Header=BB249_9 Depth=1
	s_or_b64 exec, exec, s[36:37]
.LBB249_117:                            ;   in Loop: Header=BB249_9 Depth=1
	s_or_b64 exec, exec, s[34:35]
	global_load_ushort v38, v[7:8], off offset:1032
	s_waitcnt vmcnt(0)
	v_and_b32_e32 v1, 0xffff, v38
	v_cmp_ne_u16_sdwa s[4:5], v38, v2 src0_sel:BYTE_0 src1_sel:DWORD
	s_and_saveexec_b64 s[34:35], s[4:5]
	s_cbranch_execz .LBB249_123
; %bb.118:                              ;   in Loop: Header=BB249_9 Depth=1
	v_cmp_ne_u16_sdwa s[4:5], v1, s42 src0_sel:BYTE_0 src1_sel:DWORD
	v_mov_b32_e32 v37, 0x8000
	s_and_saveexec_b64 s[36:37], s[4:5]
	s_cbranch_execz .LBB249_122
; %bb.119:                              ;   in Loop: Header=BB249_9 Depth=1
	v_and_b32_e32 v38, 0x7f, v1
	v_cmp_ne_u32_e64 s[4:5], s43, v38
	v_mov_b32_e32 v37, 0x7c01
	s_and_saveexec_b64 s[38:39], s[4:5]
	s_cbranch_execz .LBB249_121
; %bb.120:                              ;   in Loop: Header=BB249_9 Depth=1
	v_and_b32_e32 v37, 7, v1
	v_ffbh_u32_e32 v39, v37
	v_min_u32_e32 v42, 32, v39
	v_subrev_u32_e32 v39, 28, v42
	v_lshlrev_b64 v[39:40], v39, v[1:2]
	v_lshrrev_b32_e32 v41, 3, v38
	v_sub_u32_e32 v40, 29, v42
	v_cmp_gt_u32_e64 s[4:5], 8, v38
	v_cndmask_b32_e64 v38, v41, v40, s[4:5]
	v_lshl_add_u32 v38, v38, 10, v16
	v_lshlrev_b32_e32 v40, 8, v1
	v_and_b32_e32 v39, 7, v39
	v_and_b32_e32 v38, 0xfc00, v38
	v_cndmask_b32_e64 v37, v37, v39, s[4:5]
	v_and_or_b32 v38, v40, s44, v38
	v_lshl_or_b32 v37, v37, 7, v38
.LBB249_121:                            ;   in Loop: Header=BB249_9 Depth=1
	s_or_b64 exec, exec, s[38:39]
.LBB249_122:                            ;   in Loop: Header=BB249_9 Depth=1
	s_or_b64 exec, exec, s[36:37]
.LBB249_123:                            ;   in Loop: Header=BB249_9 Depth=1
	s_or_b64 exec, exec, s[34:35]
	v_lshrrev_b16_e32 v1, 8, v1
	v_cmp_ne_u16_e64 s[4:5], 0, v1
	v_mov_b32_e32 v39, 0
	v_mov_b32_e32 v38, 0
	s_and_saveexec_b64 s[34:35], s[4:5]
	s_cbranch_execz .LBB249_129
; %bb.124:                              ;   in Loop: Header=BB249_9 Depth=1
	v_cmp_ne_u16_e64 s[4:5], s42, v1
	v_bfrev_b32_e32 v38, 1
	s_and_saveexec_b64 s[36:37], s[4:5]
	s_cbranch_execz .LBB249_128
; %bb.125:                              ;   in Loop: Header=BB249_9 Depth=1
	v_and_b32_e32 v40, 0x7f, v1
	v_cmp_ne_u32_e64 s[4:5], s43, v40
	v_mov_b32_e32 v38, 0x7c010000
	s_and_saveexec_b64 s[38:39], s[4:5]
	s_cbranch_execz .LBB249_127
; %bb.126:                              ;   in Loop: Header=BB249_9 Depth=1
	v_and_b32_e32 v38, 7, v1
	v_ffbh_u32_e32 v41, v38
	v_min_u32_e32 v44, 32, v41
	v_subrev_u32_e32 v41, 28, v44
	v_lshlrev_b64 v[41:42], v41, v[1:2]
	v_lshrrev_b32_e32 v43, 3, v40
	v_sub_u32_e32 v42, 29, v44
	v_cmp_gt_u32_e64 s[4:5], 8, v40
	v_cndmask_b32_e64 v40, v43, v42, s[4:5]
	v_lshlrev_b32_e32 v1, 8, v1
	v_lshl_add_u32 v40, v40, 10, v16
	v_and_b32_e32 v41, 7, v41
	v_and_or_b32 v1, v1, s44, v40
	v_cndmask_b32_e64 v38, v38, v41, s[4:5]
	v_lshlrev_b32_e32 v1, 16, v1
	v_lshl_or_b32 v38, v38, 23, v1
.LBB249_127:                            ;   in Loop: Header=BB249_9 Depth=1
	s_or_b64 exec, exec, s[38:39]
.LBB249_128:                            ;   in Loop: Header=BB249_9 Depth=1
	s_or_b64 exec, exec, s[36:37]
.LBB249_129:                            ;   in Loop: Header=BB249_9 Depth=1
	s_or_b64 exec, exec, s[34:35]
	global_load_ushort v40, v[7:8], off offset:1280
	s_waitcnt vmcnt(0)
	v_and_b32_e32 v1, 0xffff, v40
	v_cmp_ne_u16_sdwa s[4:5], v40, v2 src0_sel:BYTE_0 src1_sel:DWORD
	s_and_saveexec_b64 s[34:35], s[4:5]
	s_cbranch_execz .LBB249_135
; %bb.130:                              ;   in Loop: Header=BB249_9 Depth=1
	v_cmp_ne_u16_sdwa s[4:5], v1, s42 src0_sel:BYTE_0 src1_sel:DWORD
	v_mov_b32_e32 v39, 0x8000
	s_and_saveexec_b64 s[36:37], s[4:5]
	s_cbranch_execz .LBB249_134
; %bb.131:                              ;   in Loop: Header=BB249_9 Depth=1
	v_and_b32_e32 v40, 0x7f, v1
	v_cmp_ne_u32_e64 s[4:5], s43, v40
	v_mov_b32_e32 v39, 0x7c01
	s_and_saveexec_b64 s[38:39], s[4:5]
	s_cbranch_execz .LBB249_133
; %bb.132:                              ;   in Loop: Header=BB249_9 Depth=1
	v_and_b32_e32 v39, 7, v1
	v_ffbh_u32_e32 v41, v39
	v_min_u32_e32 v44, 32, v41
	v_subrev_u32_e32 v41, 28, v44
	v_lshlrev_b64 v[41:42], v41, v[1:2]
	v_lshrrev_b32_e32 v43, 3, v40
	v_sub_u32_e32 v42, 29, v44
	v_cmp_gt_u32_e64 s[4:5], 8, v40
	v_cndmask_b32_e64 v40, v43, v42, s[4:5]
	v_lshl_add_u32 v40, v40, 10, v16
	v_lshlrev_b32_e32 v42, 8, v1
	v_and_b32_e32 v41, 7, v41
	v_and_b32_e32 v40, 0xfc00, v40
	v_cndmask_b32_e64 v39, v39, v41, s[4:5]
	v_and_or_b32 v40, v42, s44, v40
	v_lshl_or_b32 v39, v39, 7, v40
.LBB249_133:                            ;   in Loop: Header=BB249_9 Depth=1
	s_or_b64 exec, exec, s[38:39]
.LBB249_134:                            ;   in Loop: Header=BB249_9 Depth=1
	s_or_b64 exec, exec, s[36:37]
.LBB249_135:                            ;   in Loop: Header=BB249_9 Depth=1
	s_or_b64 exec, exec, s[34:35]
	v_lshrrev_b16_e32 v1, 8, v1
	v_cmp_ne_u16_e64 s[4:5], 0, v1
	v_mov_b32_e32 v41, 0
	v_mov_b32_e32 v40, 0
	s_and_saveexec_b64 s[34:35], s[4:5]
	s_cbranch_execz .LBB249_141
; %bb.136:                              ;   in Loop: Header=BB249_9 Depth=1
	v_cmp_ne_u16_e64 s[4:5], s42, v1
	v_bfrev_b32_e32 v40, 1
	s_and_saveexec_b64 s[36:37], s[4:5]
	s_cbranch_execz .LBB249_140
; %bb.137:                              ;   in Loop: Header=BB249_9 Depth=1
	v_and_b32_e32 v42, 0x7f, v1
	v_cmp_ne_u32_e64 s[4:5], s43, v42
	v_mov_b32_e32 v40, 0x7c010000
	s_and_saveexec_b64 s[38:39], s[4:5]
	s_cbranch_execz .LBB249_139
; %bb.138:                              ;   in Loop: Header=BB249_9 Depth=1
	v_and_b32_e32 v40, 7, v1
	v_ffbh_u32_e32 v43, v40
	v_min_u32_e32 v46, 32, v43
	v_subrev_u32_e32 v43, 28, v46
	v_lshlrev_b64 v[43:44], v43, v[1:2]
	v_lshrrev_b32_e32 v45, 3, v42
	v_sub_u32_e32 v44, 29, v46
	v_cmp_gt_u32_e64 s[4:5], 8, v42
	v_cndmask_b32_e64 v42, v45, v44, s[4:5]
	v_lshlrev_b32_e32 v1, 8, v1
	v_lshl_add_u32 v42, v42, 10, v16
	v_and_b32_e32 v43, 7, v43
	v_and_or_b32 v1, v1, s44, v42
	v_cndmask_b32_e64 v40, v40, v43, s[4:5]
	v_lshlrev_b32_e32 v1, 16, v1
	v_lshl_or_b32 v40, v40, 23, v1
.LBB249_139:                            ;   in Loop: Header=BB249_9 Depth=1
	s_or_b64 exec, exec, s[38:39]
.LBB249_140:                            ;   in Loop: Header=BB249_9 Depth=1
	s_or_b64 exec, exec, s[36:37]
.LBB249_141:                            ;   in Loop: Header=BB249_9 Depth=1
	s_or_b64 exec, exec, s[34:35]
	global_load_ushort v42, v[7:8], off offset:1288
	s_waitcnt vmcnt(0)
	v_and_b32_e32 v1, 0xffff, v42
	v_cmp_ne_u16_sdwa s[4:5], v42, v2 src0_sel:BYTE_0 src1_sel:DWORD
	s_and_saveexec_b64 s[34:35], s[4:5]
	s_cbranch_execz .LBB249_147
; %bb.142:                              ;   in Loop: Header=BB249_9 Depth=1
	v_cmp_ne_u16_sdwa s[4:5], v1, s42 src0_sel:BYTE_0 src1_sel:DWORD
	v_mov_b32_e32 v41, 0x8000
	s_and_saveexec_b64 s[36:37], s[4:5]
	s_cbranch_execz .LBB249_146
; %bb.143:                              ;   in Loop: Header=BB249_9 Depth=1
	v_and_b32_e32 v42, 0x7f, v1
	v_cmp_ne_u32_e64 s[4:5], s43, v42
	v_mov_b32_e32 v41, 0x7c01
	s_and_saveexec_b64 s[38:39], s[4:5]
	s_cbranch_execz .LBB249_145
; %bb.144:                              ;   in Loop: Header=BB249_9 Depth=1
	v_and_b32_e32 v41, 7, v1
	v_ffbh_u32_e32 v43, v41
	v_min_u32_e32 v46, 32, v43
	v_subrev_u32_e32 v43, 28, v46
	v_lshlrev_b64 v[43:44], v43, v[1:2]
	v_lshrrev_b32_e32 v45, 3, v42
	v_sub_u32_e32 v44, 29, v46
	v_cmp_gt_u32_e64 s[4:5], 8, v42
	v_cndmask_b32_e64 v42, v45, v44, s[4:5]
	v_lshl_add_u32 v42, v42, 10, v16
	v_lshlrev_b32_e32 v44, 8, v1
	v_and_b32_e32 v43, 7, v43
	v_and_b32_e32 v42, 0xfc00, v42
	v_cndmask_b32_e64 v41, v41, v43, s[4:5]
	v_and_or_b32 v42, v44, s44, v42
	v_lshl_or_b32 v41, v41, 7, v42
.LBB249_145:                            ;   in Loop: Header=BB249_9 Depth=1
	s_or_b64 exec, exec, s[38:39]
.LBB249_146:                            ;   in Loop: Header=BB249_9 Depth=1
	s_or_b64 exec, exec, s[36:37]
.LBB249_147:                            ;   in Loop: Header=BB249_9 Depth=1
	s_or_b64 exec, exec, s[34:35]
	v_lshrrev_b16_e32 v1, 8, v1
	v_cmp_ne_u16_e64 s[4:5], 0, v1
	v_mov_b32_e32 v44, 0
	v_mov_b32_e32 v43, 0
	s_and_saveexec_b64 s[34:35], s[4:5]
	s_cbranch_execz .LBB249_153
; %bb.148:                              ;   in Loop: Header=BB249_9 Depth=1
	v_cmp_ne_u16_e64 s[4:5], s42, v1
	v_bfrev_b32_e32 v43, 1
	s_and_saveexec_b64 s[36:37], s[4:5]
	s_cbranch_execz .LBB249_152
; %bb.149:                              ;   in Loop: Header=BB249_9 Depth=1
	v_and_b32_e32 v42, 0x7f, v1
	v_cmp_ne_u32_e64 s[4:5], s43, v42
	v_mov_b32_e32 v43, 0x7c010000
	s_and_saveexec_b64 s[38:39], s[4:5]
	s_cbranch_execz .LBB249_151
; %bb.150:                              ;   in Loop: Header=BB249_9 Depth=1
	v_and_b32_e32 v43, 7, v1
	v_ffbh_u32_e32 v45, v43
	v_min_u32_e32 v48, 32, v45
	v_subrev_u32_e32 v45, 28, v48
	v_lshlrev_b64 v[45:46], v45, v[1:2]
	v_lshrrev_b32_e32 v47, 3, v42
	v_sub_u32_e32 v46, 29, v48
	v_cmp_gt_u32_e64 s[4:5], 8, v42
	v_cndmask_b32_e64 v42, v47, v46, s[4:5]
	v_lshlrev_b32_e32 v1, 8, v1
	v_lshl_add_u32 v42, v42, 10, v16
	v_and_b32_e32 v45, 7, v45
	v_and_or_b32 v1, v1, s44, v42
	v_cndmask_b32_e64 v43, v43, v45, s[4:5]
	v_lshlrev_b32_e32 v1, 16, v1
	v_lshl_or_b32 v43, v43, 23, v1
.LBB249_151:                            ;   in Loop: Header=BB249_9 Depth=1
	s_or_b64 exec, exec, s[38:39]
.LBB249_152:                            ;   in Loop: Header=BB249_9 Depth=1
	s_or_b64 exec, exec, s[36:37]
.LBB249_153:                            ;   in Loop: Header=BB249_9 Depth=1
	s_or_b64 exec, exec, s[34:35]
	global_load_ushort v42, v[7:8], off offset:1536
	s_waitcnt vmcnt(0)
	v_and_b32_e32 v1, 0xffff, v42
	v_cmp_ne_u16_sdwa s[4:5], v42, v2 src0_sel:BYTE_0 src1_sel:DWORD
	s_and_saveexec_b64 s[34:35], s[4:5]
	s_cbranch_execz .LBB249_159
; %bb.154:                              ;   in Loop: Header=BB249_9 Depth=1
	v_cmp_ne_u16_sdwa s[4:5], v1, s42 src0_sel:BYTE_0 src1_sel:DWORD
	v_mov_b32_e32 v44, 0x8000
	s_and_saveexec_b64 s[36:37], s[4:5]
	s_cbranch_execz .LBB249_158
; %bb.155:                              ;   in Loop: Header=BB249_9 Depth=1
	v_and_b32_e32 v42, 0x7f, v1
	v_cmp_ne_u32_e64 s[4:5], s43, v42
	v_mov_b32_e32 v44, 0x7c01
	s_and_saveexec_b64 s[38:39], s[4:5]
	s_cbranch_execz .LBB249_157
; %bb.156:                              ;   in Loop: Header=BB249_9 Depth=1
	v_and_b32_e32 v46, 7, v1
	v_ffbh_u32_e32 v44, v46
	v_min_u32_e32 v48, 32, v44
	v_subrev_u32_e32 v44, 28, v48
	v_lshlrev_b64 v[44:45], v44, v[1:2]
	v_lshrrev_b32_e32 v47, 3, v42
	v_sub_u32_e32 v45, 29, v48
	v_cmp_gt_u32_e64 s[4:5], 8, v42
	v_cndmask_b32_e64 v42, v47, v45, s[4:5]
	v_lshl_add_u32 v42, v42, 10, v16
	v_lshlrev_b32_e32 v45, 8, v1
	v_and_b32_e32 v44, 7, v44
	v_and_b32_e32 v42, 0xfc00, v42
	v_cndmask_b32_e64 v44, v46, v44, s[4:5]
	v_and_or_b32 v42, v45, s44, v42
	v_lshl_or_b32 v44, v44, 7, v42
.LBB249_157:                            ;   in Loop: Header=BB249_9 Depth=1
	s_or_b64 exec, exec, s[38:39]
.LBB249_158:                            ;   in Loop: Header=BB249_9 Depth=1
	s_or_b64 exec, exec, s[36:37]
.LBB249_159:                            ;   in Loop: Header=BB249_9 Depth=1
	s_or_b64 exec, exec, s[34:35]
	v_lshrrev_b16_e32 v1, 8, v1
	v_cmp_ne_u16_e64 s[4:5], 0, v1
	v_mov_b32_e32 v42, 0
	v_mov_b32_e32 v46, 0
	s_and_saveexec_b64 s[34:35], s[4:5]
	s_cbranch_execz .LBB249_165
; %bb.160:                              ;   in Loop: Header=BB249_9 Depth=1
	v_cmp_ne_u16_e64 s[4:5], s42, v1
	v_bfrev_b32_e32 v46, 1
	s_and_saveexec_b64 s[36:37], s[4:5]
	s_cbranch_execz .LBB249_164
; %bb.161:                              ;   in Loop: Header=BB249_9 Depth=1
	v_and_b32_e32 v45, 0x7f, v1
	v_cmp_ne_u32_e64 s[4:5], s43, v45
	v_mov_b32_e32 v46, 0x7c010000
	s_and_saveexec_b64 s[38:39], s[4:5]
	s_cbranch_execz .LBB249_163
; %bb.162:                              ;   in Loop: Header=BB249_9 Depth=1
	v_and_b32_e32 v48, 7, v1
	v_ffbh_u32_e32 v46, v48
	v_min_u32_e32 v50, 32, v46
	v_subrev_u32_e32 v46, 28, v50
	v_lshlrev_b64 v[46:47], v46, v[1:2]
	v_lshrrev_b32_e32 v49, 3, v45
	v_sub_u32_e32 v47, 29, v50
	v_cmp_gt_u32_e64 s[4:5], 8, v45
	v_cndmask_b32_e64 v45, v49, v47, s[4:5]
	v_lshlrev_b32_e32 v1, 8, v1
	v_lshl_add_u32 v45, v45, 10, v16
	v_and_b32_e32 v46, 7, v46
	v_and_or_b32 v1, v1, s44, v45
	v_cndmask_b32_e64 v46, v48, v46, s[4:5]
	v_lshlrev_b32_e32 v1, 16, v1
	v_lshl_or_b32 v46, v46, 23, v1
.LBB249_163:                            ;   in Loop: Header=BB249_9 Depth=1
	s_or_b64 exec, exec, s[38:39]
.LBB249_164:                            ;   in Loop: Header=BB249_9 Depth=1
	s_or_b64 exec, exec, s[36:37]
.LBB249_165:                            ;   in Loop: Header=BB249_9 Depth=1
	s_or_b64 exec, exec, s[34:35]
	global_load_ushort v7, v[7:8], off offset:1544
	s_waitcnt vmcnt(0)
	v_and_b32_e32 v1, 0xffff, v7
	v_cmp_ne_u16_sdwa s[4:5], v7, v2 src0_sel:BYTE_0 src1_sel:DWORD
	s_and_saveexec_b64 s[34:35], s[4:5]
	s_cbranch_execz .LBB249_171
; %bb.166:                              ;   in Loop: Header=BB249_9 Depth=1
	v_cmp_ne_u16_sdwa s[4:5], v1, s42 src0_sel:BYTE_0 src1_sel:DWORD
	v_mov_b32_e32 v42, 0x8000
	s_and_saveexec_b64 s[36:37], s[4:5]
	s_cbranch_execz .LBB249_170
; %bb.167:                              ;   in Loop: Header=BB249_9 Depth=1
	v_and_b32_e32 v7, 0x7f, v1
	v_cmp_ne_u32_e64 s[4:5], s43, v7
	v_mov_b32_e32 v42, 0x7c01
	s_and_saveexec_b64 s[38:39], s[4:5]
	s_cbranch_execz .LBB249_169
; %bb.168:                              ;   in Loop: Header=BB249_9 Depth=1
	v_and_b32_e32 v8, 7, v1
	v_ffbh_u32_e32 v45, v8
	v_min_u32_e32 v45, 32, v45
	v_lshrrev_b32_e32 v42, 3, v7
	v_subrev_u32_e32 v47, 28, v45
	v_sub_u32_e32 v45, 29, v45
	v_cmp_gt_u32_e64 s[4:5], 8, v7
	v_lshlrev_b64 v[47:48], v47, v[1:2]
	v_cndmask_b32_e64 v7, v42, v45, s[4:5]
	v_lshl_add_u32 v7, v7, 10, v16
	v_lshlrev_b32_e32 v42, 8, v1
	v_and_b32_e32 v45, 7, v47
	v_and_b32_e32 v7, 0xfc00, v7
	v_cndmask_b32_e64 v8, v8, v45, s[4:5]
	v_and_or_b32 v7, v42, s44, v7
	v_lshl_or_b32 v42, v8, 7, v7
.LBB249_169:                            ;   in Loop: Header=BB249_9 Depth=1
	s_or_b64 exec, exec, s[38:39]
.LBB249_170:                            ;   in Loop: Header=BB249_9 Depth=1
	s_or_b64 exec, exec, s[36:37]
.LBB249_171:                            ;   in Loop: Header=BB249_9 Depth=1
	s_or_b64 exec, exec, s[34:35]
	v_lshrrev_b16_e32 v1, 8, v1
	v_cmp_ne_u16_e64 s[4:5], 0, v1
	v_mov_b32_e32 v45, 0
	s_and_saveexec_b64 s[34:35], s[4:5]
	s_cbranch_execz .LBB249_177
; %bb.172:                              ;   in Loop: Header=BB249_9 Depth=1
	v_cmp_ne_u16_e64 s[4:5], s42, v1
	v_bfrev_b32_e32 v45, 1
	s_and_saveexec_b64 s[36:37], s[4:5]
	s_cbranch_execz .LBB249_176
; %bb.173:                              ;   in Loop: Header=BB249_9 Depth=1
	v_and_b32_e32 v7, 0x7f, v1
	v_cmp_ne_u32_e64 s[4:5], s43, v7
	v_mov_b32_e32 v45, 0x7c010000
	s_and_saveexec_b64 s[38:39], s[4:5]
	s_cbranch_execz .LBB249_175
; %bb.174:                              ;   in Loop: Header=BB249_9 Depth=1
	v_and_b32_e32 v8, 7, v1
	v_ffbh_u32_e32 v47, v8
	v_min_u32_e32 v49, 32, v47
	v_subrev_u32_e32 v47, 28, v49
	v_lshlrev_b64 v[47:48], v47, v[1:2]
	v_lshrrev_b32_e32 v45, 3, v7
	v_sub_u32_e32 v48, 29, v49
	v_cmp_gt_u32_e64 s[4:5], 8, v7
	v_cndmask_b32_e64 v7, v45, v48, s[4:5]
	v_lshlrev_b32_e32 v1, 8, v1
	v_lshl_add_u32 v7, v7, 10, v16
	v_and_b32_e32 v45, 7, v47
	v_and_or_b32 v1, v1, s44, v7
	v_cndmask_b32_e64 v8, v8, v45, s[4:5]
	v_lshlrev_b32_e32 v1, 16, v1
	v_lshl_or_b32 v45, v8, 23, v1
.LBB249_175:                            ;   in Loop: Header=BB249_9 Depth=1
	s_or_b64 exec, exec, s[38:39]
.LBB249_176:                            ;   in Loop: Header=BB249_9 Depth=1
	s_or_b64 exec, exec, s[36:37]
.LBB249_177:                            ;   in Loop: Header=BB249_9 Depth=1
	s_or_b64 exec, exec, s[34:35]
	v_or_b32_e32 v8, v43, v41
	v_or_b32_e32 v39, v40, v39
	;; [unrolled: 1-line block ×3, first 2 shown]
	v_fma_mixlo_f16 v41, v18, v8, 0 op_sel_hi:[0,1,0]
	v_fma_mixlo_f16 v8, v18, v43, 0 op_sel:[0,1,0] op_sel_hi:[0,1,0]
	v_fma_mixlo_f16 v43, v18, v39, 0 op_sel_hi:[0,1,0]
	v_fma_mixlo_f16 v39, v18, v40, 0 op_sel:[0,1,0] op_sel_hi:[0,1,0]
	;; [unrolled: 2-line block ×3, first 2 shown]
	ds_read_b32 v38, v12
	v_or_b32_e32 v19, v21, v19
	v_or_b32_e32 v1, v46, v44
	v_fma_mixlo_f16 v19, v18, v19, 0 op_sel_hi:[0,1,0]
	v_fma_mixlo_f16 v7, v18, v1, 0 op_sel_hi:[0,1,0]
	v_fma_mixlo_f16 v1, v18, v46, 0 op_sel:[0,1,0] op_sel_hi:[0,1,0]
	v_or_b32_e32 v46, v36, v35
	v_fma_mixlo_f16 v35, v18, v21, 0 op_sel:[0,1,0] op_sel_hi:[0,1,0]
	s_waitcnt lgkmcnt(0)
	v_lshrrev_b32_e32 v21, 16, v38
	v_and_b32_e32 v38, 0xffff, v38
	v_and_b32_e32 v19, 0xffff, v19
	;;#ASMSTART
	v_cvt_f32_f16 v38, v38;
	;;#ASMEND
	;;#ASMSTART
	v_cvt_f32_f16 v21, v21;
	;;#ASMEND
	;; [unrolled: 3-line block ×3, first 2 shown]
	v_and_b32_e32 v19, 0xffff, v35
	;;#ASMSTART
	v_cvt_f32_f16 v35, v19;
	;;#ASMEND
	ds_read_b32 v47, v12 offset:4
	v_or_b32_e32 v20, v23, v20
	v_fma_mixlo_f16 v19, v18, v46, 0 op_sel_hi:[0,1,0]
	v_fma_mixlo_f16 v46, v18, v20, 0 op_sel_hi:[0,1,0]
	v_fma_mixlo_f16 v23, v18, v23, 0 op_sel:[0,1,0] op_sel_hi:[0,1,0]
	s_waitcnt lgkmcnt(0)
	v_lshrrev_b32_e32 v20, 16, v47
	v_and_b32_e32 v47, 0xffff, v47
	v_and_b32_e32 v46, 0xffff, v46
	;;#ASMSTART
	v_cvt_f32_f16 v47, v47;
	;;#ASMEND
	;;#ASMSTART
	v_cvt_f32_f16 v20, v20;
	;;#ASMEND
	;; [unrolled: 3-line block ×3, first 2 shown]
	v_and_b32_e32 v23, 0xffff, v23
	;;#ASMSTART
	v_cvt_f32_f16 v46, v23;
	;;#ASMEND
	ds_read_b32 v49, v12 offset:8
	v_or_b32_e32 v22, v25, v22
	v_fma_mixlo_f16 v22, v18, v22, 0 op_sel_hi:[0,1,0]
	v_fma_mixlo_f16 v23, v18, v36, 0 op_sel:[0,1,0] op_sel_hi:[0,1,0]
	v_fma_mixlo_f16 v25, v18, v25, 0 op_sel:[0,1,0] op_sel_hi:[0,1,0]
	s_waitcnt lgkmcnt(0)
	v_lshrrev_b32_e32 v50, 16, v49
	v_and_b32_e32 v36, 0xffff, v49
	v_and_b32_e32 v22, 0xffff, v22
	;;#ASMSTART
	v_cvt_f32_f16 v36, v36;
	;;#ASMEND
	;;#ASMSTART
	v_cvt_f32_f16 v49, v50;
	;;#ASMEND
	;; [unrolled: 3-line block ×3, first 2 shown]
	v_and_b32_e32 v22, 0xffff, v25
	;;#ASMSTART
	v_cvt_f32_f16 v25, v22;
	;;#ASMEND
	ds_read_b32 v22, v12 offset:12
	v_or_b32_e32 v24, v27, v24
	v_fma_mixlo_f16 v24, v18, v24, 0 op_sel_hi:[0,1,0]
	v_fma_mixlo_f16 v27, v18, v27, 0 op_sel:[0,1,0] op_sel_hi:[0,1,0]
	v_or_b32_e32 v33, v34, v33
	s_waitcnt lgkmcnt(0)
	v_lshrrev_b32_e32 v52, 16, v22
	v_and_b32_e32 v22, 0xffff, v22
	;;#ASMSTART
	v_cvt_f32_f16 v51, v22;
	;;#ASMEND
	v_and_b32_e32 v22, 0xffff, v24
	;;#ASMSTART
	v_cvt_f32_f16 v52, v52;
	;;#ASMEND
	;;#ASMSTART
	v_cvt_f32_f16 v53, v22;
	;;#ASMEND
	v_and_b32_e32 v22, 0xffff, v27
	;;#ASMSTART
	v_cvt_f32_f16 v27, v22;
	;;#ASMEND
	ds_read_b32 v22, v12 offset:16
	v_or_b32_e32 v24, v29, v26
	v_fma_mixlo_f16 v24, v18, v24, 0 op_sel_hi:[0,1,0]
	v_fma_mixlo_f16 v26, v18, v29, 0 op_sel:[0,1,0] op_sel_hi:[0,1,0]
	v_fma_mixlo_f16 v33, v18, v33, 0 op_sel_hi:[0,1,0]
	s_waitcnt lgkmcnt(0)
	v_lshrrev_b32_e32 v54, 16, v22
	v_and_b32_e32 v22, 0xffff, v22
	;;#ASMSTART
	v_cvt_f32_f16 v29, v22;
	;;#ASMEND
	v_and_b32_e32 v22, 0xffff, v24
	;;#ASMSTART
	v_cvt_f32_f16 v54, v54;
	;;#ASMEND
	;;#ASMSTART
	v_cvt_f32_f16 v55, v22;
	;;#ASMEND
	v_and_b32_e32 v22, 0xffff, v26
	;;#ASMSTART
	v_cvt_f32_f16 v26, v22;
	;;#ASMEND
	ds_read_b32 v22, v12 offset:20
	v_or_b32_e32 v24, v31, v28
	v_fma_mixlo_f16 v24, v18, v24, 0 op_sel_hi:[0,1,0]
	v_fma_mixlo_f16 v28, v18, v31, 0 op_sel:[0,1,0] op_sel_hi:[0,1,0]
	v_fma_mixlo_f16 v34, v18, v34, 0 op_sel:[0,1,0] op_sel_hi:[0,1,0]
	s_waitcnt lgkmcnt(0)
	v_lshrrev_b32_e32 v56, 16, v22
	v_and_b32_e32 v22, 0xffff, v22
	;;#ASMSTART
	v_cvt_f32_f16 v31, v22;
	;;#ASMEND
	v_and_b32_e32 v22, 0xffff, v24
	;;#ASMSTART
	v_cvt_f32_f16 v56, v56;
	;;#ASMEND
	;;#ASMSTART
	v_cvt_f32_f16 v57, v22;
	;;#ASMEND
	v_and_b32_e32 v22, 0xffff, v28
	;;#ASMSTART
	v_cvt_f32_f16 v28, v22;
	;;#ASMEND
	ds_read_b32 v22, v12 offset:24
	v_or_b32_e32 v24, v32, v30
	v_fma_mixlo_f16 v24, v18, v24, 0 op_sel_hi:[0,1,0]
	v_fma_mixlo_f16 v30, v18, v32, 0 op_sel:[0,1,0] op_sel_hi:[0,1,0]
	v_or_b32_e32 v32, v45, v42
	s_waitcnt lgkmcnt(0)
	v_lshrrev_b32_e32 v58, 16, v22
	v_and_b32_e32 v22, 0xffff, v22
	;;#ASMSTART
	v_cvt_f32_f16 v42, v22;
	;;#ASMEND
	v_and_b32_e32 v22, 0xffff, v24
	;;#ASMSTART
	v_cvt_f32_f16 v58, v58;
	;;#ASMEND
	;;#ASMSTART
	v_cvt_f32_f16 v59, v22;
	;;#ASMEND
	v_and_b32_e32 v22, 0xffff, v30
	;;#ASMSTART
	v_cvt_f32_f16 v30, v22;
	;;#ASMEND
	ds_read_b32 v60, v12 offset:28
	v_fma_mixlo_f16 v24, v18, v32, 0 op_sel_hi:[0,1,0]
	v_fma_mixlo_f16 v22, v18, v45, 0 op_sel:[0,1,0] op_sel_hi:[0,1,0]
	v_mul_f32_e32 v18, v47, v48
	v_fmac_f32_e32 v18, v38, v44
	s_waitcnt lgkmcnt(0)
	v_lshrrev_b32_e32 v38, 16, v60
	v_and_b32_e32 v32, 0xffff, v60
	v_and_b32_e32 v33, 0xffff, v33
	;; [unrolled: 1-line block ×3, first 2 shown]
	;;#ASMSTART
	v_cvt_f32_f16 v32, v32;
	;;#ASMEND
	;;#ASMSTART
	v_cvt_f32_f16 v38, v38;
	;;#ASMEND
	;; [unrolled: 3-line block ×4, first 2 shown]
	ds_read_b32 v44, v12 offset:32
	v_mul_f32_e32 v20, v20, v46
	v_fmac_f32_e32 v20, v21, v35
	v_fmac_f32_e32 v20, v49, v25
	v_and_b32_e32 v19, 0xffff, v19
	s_waitcnt lgkmcnt(0)
	v_lshrrev_b32_e32 v25, 16, v44
	v_and_b32_e32 v21, 0xffff, v44
	v_and_b32_e32 v23, 0xffff, v23
	;;#ASMSTART
	v_cvt_f32_f16 v21, v21;
	;;#ASMEND
	;;#ASMSTART
	v_cvt_f32_f16 v25, v25;
	;;#ASMEND
	;; [unrolled: 3-line block ×4, first 2 shown]
	ds_read_b32 v35, v12 offset:36
	v_fmac_f32_e32 v18, v36, v50
	v_fmac_f32_e32 v18, v51, v53
	;; [unrolled: 1-line block ×5, first 2 shown]
	s_waitcnt lgkmcnt(0)
	v_lshrrev_b32_e32 v27, 16, v35
	v_and_b32_e32 v26, 0xffff, v35
	v_and_b32_e32 v29, 0xffff, v40
	;; [unrolled: 1-line block ×3, first 2 shown]
	;;#ASMSTART
	v_cvt_f32_f16 v26, v26;
	;;#ASMEND
	;;#ASMSTART
	v_cvt_f32_f16 v27, v27;
	;;#ASMEND
	;;#ASMSTART
	v_cvt_f32_f16 v29, v29;
	;;#ASMEND
	;;#ASMSTART
	v_cvt_f32_f16 v35, v35;
	;;#ASMEND
	ds_read_b32 v36, v12 offset:40
	v_fmac_f32_e32 v20, v56, v28
	v_fmac_f32_e32 v18, v31, v57
	;; [unrolled: 1-line block ×3, first 2 shown]
	v_and_b32_e32 v31, 0xffff, v43
	s_waitcnt lgkmcnt(0)
	v_lshrrev_b32_e32 v30, 16, v36
	v_and_b32_e32 v28, 0xffff, v36
	v_and_b32_e32 v36, 0xffff, v39
	;;#ASMSTART
	v_cvt_f32_f16 v28, v28;
	;;#ASMEND
	;;#ASMSTART
	v_cvt_f32_f16 v30, v30;
	;;#ASMEND
	;; [unrolled: 3-line block ×4, first 2 shown]
	ds_read_b32 v37, v12 offset:44
	v_fmac_f32_e32 v18, v42, v59
	v_fmac_f32_e32 v18, v32, v33
	;; [unrolled: 1-line block ×5, first 2 shown]
	s_waitcnt lgkmcnt(0)
	v_lshrrev_b32_e32 v21, 16, v37
	v_and_b32_e32 v19, 0xffff, v37
	v_and_b32_e32 v23, 0xffff, v41
	;; [unrolled: 1-line block ×3, first 2 shown]
	;;#ASMSTART
	v_cvt_f32_f16 v19, v19;
	;;#ASMEND
	;;#ASMSTART
	v_cvt_f32_f16 v21, v21;
	;;#ASMEND
	;;#ASMSTART
	v_cvt_f32_f16 v23, v23;
	;;#ASMEND
	;;#ASMSTART
	v_cvt_f32_f16 v8, v8;
	;;#ASMEND
	ds_read_b32 v25, v12 offset:48
	v_fmac_f32_e32 v18, v26, v29
	v_and_b32_e32 v7, 0xffff, v7
	v_and_b32_e32 v1, 0xffff, v1
	v_fmac_f32_e32 v20, v27, v35
	s_waitcnt lgkmcnt(0)
	v_lshrrev_b32_e32 v26, 16, v25
	v_and_b32_e32 v25, 0xffff, v25
	;;#ASMSTART
	v_cvt_f32_f16 v25, v25;
	;;#ASMEND
	;;#ASMSTART
	v_cvt_f32_f16 v26, v26;
	;;#ASMEND
	;; [unrolled: 3-line block ×4, first 2 shown]
	ds_read_b32 v27, v12 offset:52
	v_fmac_f32_e32 v18, v28, v31
	v_fmac_f32_e32 v20, v30, v36
	;; [unrolled: 1-line block ×6, first 2 shown]
	s_waitcnt lgkmcnt(0)
	v_lshrrev_b32_e32 v7, 16, v27
	v_and_b32_e32 v1, 0xffff, v27
	;;#ASMSTART
	v_cvt_f32_f16 v1, v1;
	;;#ASMEND
	;;#ASMSTART
	v_cvt_f32_f16 v7, v7;
	;;#ASMEND
	v_and_b32_e32 v8, 0xffff, v24
	v_and_b32_e32 v19, 0xffff, v22
	;;#ASMSTART
	v_cvt_f32_f16 v8, v8;
	;;#ASMEND
	;;#ASMSTART
	v_cvt_f32_f16 v19, v19;
	;;#ASMEND
	v_fmac_f32_e32 v18, v1, v8
	v_fmac_f32_e32 v20, v7, v19
	v_and_b32_e32 v7, 64, v10
	v_add_f32_e32 v8, v18, v20
	v_add_u32_e32 v1, 64, v7
	v_xor_b32_e32 v18, 2, v10
	v_cmp_lt_i32_e64 s[4:5], v18, v1
	v_cndmask_b32_e64 v18, v10, v18, s[4:5]
	v_lshlrev_b32_e32 v18, 2, v18
	ds_bpermute_b32 v18, v18, v8
	s_waitcnt lgkmcnt(0)
	v_add_f32_e32 v8, v8, v18
	v_xor_b32_e32 v18, 1, v10
	v_cmp_lt_i32_e64 s[4:5], v18, v1
	v_cndmask_b32_e64 v18, v10, v18, s[4:5]
	v_lshlrev_b32_e32 v18, 2, v18
	ds_bpermute_b32 v18, v18, v8
	s_and_saveexec_b64 s[34:35], vcc
	s_cbranch_execz .LBB249_8
; %bb.178:                              ;   in Loop: Header=BB249_9 Depth=1
	v_add_u32_e32 v19, s41, v14
	v_cvt_f32_i32_e32 v19, v19
	s_waitcnt lgkmcnt(0)
	v_add_f32_e32 v8, v8, v18
	v_cmp_gt_i32_e64 s[4:5], s30, v14
	v_max_f32_e32 v18, v11, v11
	v_mul_f32_e32 v19, s33, v19
	v_cndmask_b32_e64 v19, 0, v19, s[2:3]
	v_fmac_f32_e32 v19, s31, v8
	v_cndmask_b32_e64 v8, 0, v19, s[4:5]
	ds_write_b32 v15, v8
	v_max_f32_e32 v8, v18, v19
	v_cndmask_b32_e64 v11, v11, v8, s[4:5]
	s_branch .LBB249_8
.LBB249_179:
	s_or_b64 exec, exec, s[18:19]
.LBB249_180:
	s_or_b64 exec, exec, s[6:7]
	v_xor_b32_e32 v2, 32, v10
	v_cmp_lt_i32_e32 vcc, v2, v1
	v_cndmask_b32_e32 v2, v10, v2, vcc
	v_lshlrev_b32_e32 v3, 2, v2
	ds_bpermute_b32 v2, v3, v11
	v_xor_b32_e32 v5, 16, v10
	v_max_f32_e32 v4, v11, v11
	v_cmp_lt_i32_e32 vcc, v5, v1
	v_xor_b32_e32 v6, 8, v10
	s_waitcnt lgkmcnt(0)
	v_max_f32_e32 v2, v2, v2
	v_max_f32_e32 v2, v4, v2
	v_cndmask_b32_e32 v4, v10, v5, vcc
	v_lshlrev_b32_e32 v4, 2, v4
	ds_bpermute_b32 v5, v4, v2
	v_cmp_lt_i32_e32 vcc, v6, v1
	v_xor_b32_e32 v11, 4, v10
	s_waitcnt lgkmcnt(0)
	v_max_f32_e32 v5, v5, v5
	v_max_f32_e32 v2, v2, v5
	v_cndmask_b32_e32 v5, v10, v6, vcc
	v_lshlrev_b32_e32 v8, 2, v5
	ds_bpermute_b32 v5, v8, v2
	v_cmp_lt_i32_e32 vcc, v11, v1
	s_waitcnt lgkmcnt(0)
	v_max_f32_e32 v5, v5, v5
	v_max_f32_e32 v6, v2, v5
	v_cndmask_b32_e32 v2, v10, v11, vcc
	v_lshlrev_b32_e32 v11, 2, v2
	ds_bpermute_b32 v12, v11, v6
	v_and_b32_e32 v2, 63, v0
	v_cmp_eq_u32_e32 vcc, 0, v2
	v_lshlrev_b32_e32 v5, 2, v13
	s_and_saveexec_b64 s[2:3], vcc
	s_cbranch_execz .LBB249_182
; %bb.181:
	s_waitcnt lgkmcnt(0)
	v_max_f32_e32 v12, v12, v12
	v_max_f32_e32 v6, v6, v6
	;; [unrolled: 1-line block ×3, first 2 shown]
	ds_write_b32 v5, v6 offset:224
.LBB249_182:
	s_or_b64 exec, exec, s[2:3]
	v_cmp_gt_u32_e64 s[2:3], 2, v2
	s_waitcnt lgkmcnt(0)
	v_mov_b32_e32 v12, 0xff7fffff
	v_lshlrev_b32_e32 v6, 2, v2
	s_barrier
	s_and_saveexec_b64 s[4:5], s[2:3]
; %bb.183:
	ds_read_b32 v12, v6 offset:224
; %bb.184:
	s_or_b64 exec, exec, s[4:5]
	v_xor_b32_e32 v14, 1, v10
	v_cmp_lt_i32_e64 s[4:5], v14, v1
	v_cndmask_b32_e64 v14, v10, v14, s[4:5]
	v_lshlrev_b32_e32 v14, 2, v14
	s_waitcnt lgkmcnt(0)
	ds_bpermute_b32 v15, v14, v12
	v_max_f32_e32 v12, v12, v12
	v_lshlrev_b32_e32 v7, 2, v7
	s_lshl_b32 s4, s21, 4
	s_min_i32 s31, s4, s30
	s_waitcnt lgkmcnt(0)
	v_max_f32_e32 v15, v15, v15
	v_max_f32_e32 v12, v12, v15
	ds_bpermute_b32 v12, v7, v12
	v_cmp_gt_i32_e64 s[4:5], s31, v0
	v_mov_b32_e32 v7, 0
	s_and_saveexec_b64 s[12:13], s[4:5]
	s_cbranch_execz .LBB249_188
; %bb.185:
	v_mov_b32_e32 v7, 0xf0
	v_lshl_add_u32 v15, v0, 2, v7
	v_mov_b32_e32 v7, 0
	s_mov_b64 s[18:19], 0
	v_mov_b32_e32 v16, v0
.LBB249_186:                            ; =>This Inner Loop Header: Depth=1
	ds_read_b32 v17, v15
	v_add_u32_e32 v16, 0x80, v16
	v_cmp_le_i32_e64 s[6:7], s31, v16
	s_or_b64 s[18:19], s[6:7], s[18:19]
	s_waitcnt lgkmcnt(0)
	v_sub_f32_e32 v17, v17, v12
	v_mul_f32_e32 v17, 0x3fb8aa3b, v17
	v_exp_f32_e32 v17, v17
	ds_write_b32 v15, v17
	v_add_f32_e32 v7, v7, v17
	v_add_u32_e32 v15, 0x200, v15
	s_andn2_b64 exec, exec, s[18:19]
	s_cbranch_execnz .LBB249_186
; %bb.187:
	s_or_b64 exec, exec, s[18:19]
.LBB249_188:
	s_or_b64 exec, exec, s[12:13]
	ds_bpermute_b32 v3, v3, v7
	s_waitcnt lgkmcnt(0)
	v_add_f32_e32 v3, v7, v3
	ds_bpermute_b32 v4, v4, v3
	v_xor_b32_e32 v7, 2, v10
	v_cmp_lt_i32_e64 s[6:7], v7, v1
	v_cndmask_b32_e64 v1, v10, v7, s[6:7]
	v_lshlrev_b32_e32 v1, 2, v1
	s_waitcnt lgkmcnt(0)
	v_add_f32_e32 v3, v3, v4
	ds_bpermute_b32 v4, v8, v3
	s_waitcnt lgkmcnt(0)
	v_add_f32_e32 v3, v3, v4
	ds_bpermute_b32 v4, v11, v3
	;; [unrolled: 3-line block ×4, first 2 shown]
	s_waitcnt lgkmcnt(0)
	v_add_f32_e32 v1, v1, v3
	s_and_saveexec_b64 s[6:7], vcc
; %bb.189:
	ds_write_b32 v5, v1 offset:232
; %bb.190:
	s_or_b64 exec, exec, s[6:7]
	s_waitcnt lgkmcnt(0)
	s_barrier
	s_and_saveexec_b64 s[6:7], s[2:3]
; %bb.191:
	ds_read_b32 v1, v6 offset:232
; %bb.192:
	s_or_b64 exec, exec, s[6:7]
	s_waitcnt lgkmcnt(0)
	ds_bpermute_b32 v3, v14, v1
	v_lshlrev_b32_e32 v4, 2, v10
	s_waitcnt lgkmcnt(0)
	v_add_f32_e32 v1, v1, v3
	v_and_b32_e32 v3, 0xffffff00, v4
	ds_bpermute_b32 v1, v3, v1
	s_and_saveexec_b64 s[2:3], s[4:5]
	s_cbranch_execz .LBB249_195
; %bb.193:
	s_waitcnt lgkmcnt(0)
	v_add_f32_e32 v3, 0x358637bd, v1
	v_div_scale_f32 v1, s[4:5], v3, v3, 1.0
	v_div_scale_f32 v4, vcc, 1.0, v3, 1.0
	s_mov_b64 s[4:5], 0
	v_rcp_f32_e32 v5, v1
	v_fma_f32 v6, -v1, v5, 1.0
	v_fmac_f32_e32 v5, v6, v5
	v_mul_f32_e32 v6, v4, v5
	v_fma_f32 v7, -v1, v6, v4
	v_fmac_f32_e32 v6, v7, v5
	v_fma_f32 v1, -v1, v6, v4
	v_div_fmas_f32 v4, v1, v5, v6
	v_mov_b32_e32 v1, 0xf0
	v_lshl_add_u32 v1, v0, 2, v1
	v_div_fixup_f32 v3, v4, v3, 1.0
	v_mov_b32_e32 v4, v0
.LBB249_194:                            ; =>This Inner Loop Header: Depth=1
	ds_read_b32 v5, v1
	v_add_u32_e32 v4, 0x80, v4
	v_cmp_le_i32_e32 vcc, s31, v4
	s_or_b64 s[4:5], vcc, s[4:5]
	s_waitcnt lgkmcnt(0)
	v_mul_f32_e32 v5, v3, v5
	ds_write_b32 v1, v5
	v_add_u32_e32 v1, 0x200, v1
	s_andn2_b64 exec, exec, s[4:5]
	s_cbranch_execnz .LBB249_194
.LBB249_195:
	s_or_b64 exec, exec, s[2:3]
	v_lshrrev_b32_e32 v15, 1, v2
	s_waitcnt lgkmcnt(0)
	s_barrier
	s_and_saveexec_b64 s[2:3], s[0:1]
	s_xor_b64 s[0:1], exec, s[2:3]
; %bb.196:
	v_lshrrev_b32_e32 v15, 1, v2
                                        ; implicit-def: $vgpr13
                                        ; implicit-def: $vgpr9
; %bb.197:
	s_or_saveexec_b64 s[4:5], s[0:1]
	v_mov_b32_e32 v18, 0
	v_and_b32_e32 v16, 1, v0
	v_mov_b32_e32 v20, 0
	v_mov_b32_e32 v19, 0
	;; [unrolled: 1-line block ×3, first 2 shown]
	s_xor_b64 exec, exec, s[4:5]
	s_cbranch_execz .LBB249_403
; %bb.198:
	s_ashr_i32 s0, s16, 31
	v_lshlrev_b32_e32 v1, 3, v0
	s_add_u32 s2, s28, s16
	v_and_b32_e32 v1, 8, v1
	s_addc_u32 s3, s29, s0
	v_or_b32_e32 v3, 0x60, v15
	s_movk_i32 s0, 0x70
	v_cmp_gt_u32_e32 vcc, s0, v3
	v_lshl_or_b32 v22, v3, 4, v1
	v_lshlrev_b32_e32 v3, 4, v13
	s_add_i32 s28, s21, -1
	v_lshl_or_b32 v17, v15, 4, v1
	v_or3_b32 v23, v3, v1, 7
	v_lshlrev_b32_e32 v1, 5, v16
	s_lshl_b64 s[0:1], s[26:27], 2
	v_lshl_or_b32 v1, v13, 6, v1
	s_add_u32 s0, s24, s0
	v_add_u32_e32 v24, 0xf0, v1
	v_and_b32_e32 v1, 60, v9
	s_addc_u32 s1, s25, s1
	s_mov_b32 s6, -1
	v_mov_b32_e32 v4, s1
	v_add_co_u32_e64 v3, s[0:1], s0, v1
	v_mov_b32_e32 v6, s3
	s_mov_b32 s31, s17
	s_mov_b32 s7, 0xffffff
	v_mov_b32_e32 v2, 0
	v_addc_co_u32_e64 v4, s[0:1], 0, v4, s[0:1]
	s_mov_b64 s[12:13], 0
	v_mov_b32_e32 v5, s2
	s_movk_i32 s29, 0x80
	s_movk_i32 s33, 0x7f
	s_mov_b32 s34, 0x8000
	v_mov_b32_e32 v25, 0x2000
	v_mov_b32_e32 v21, 0
	;; [unrolled: 1-line block ×5, first 2 shown]
	s_branch .LBB249_201
.LBB249_199:                            ;   in Loop: Header=BB249_201 Depth=1
	s_or_b64 exec, exec, s[2:3]
	;;#ASMSTART
	v_pk_mul_f16 v7, v32, v7;

	;;#ASMEND
	;;#ASMSTART
	v_pk_mul_f16 v1, v31, v1;

	;;#ASMEND
	;;#ASMSTART
	v_pk_mul_f16 v8, v30, v34;

	;;#ASMEND
	;;#ASMSTART
	v_pk_mul_f16 v26, v29, v38;

	;;#ASMEND
	;;#ASMSTART
	v_pk_add_f16 v1, v7, v1;

	;;#ASMEND
	;;#ASMSTART
	v_pk_add_f16 v1, v1, v8;

	;;#ASMEND
	;; [unrolled: 4-line block ×3, first 2 shown]
	v_lshrrev_b32_e32 v7, 16, v1
	v_and_b32_e32 v1, 0xffff, v1
	;;#ASMSTART
	v_cvt_f32_f16 v1, v1;
	;;#ASMEND
	;;#ASMSTART
	v_cvt_f32_f16 v7, v7;
	;;#ASMEND
	v_add_f32_e32 v1, v1, v7
	v_add_f32_e32 v21, v21, v1
.LBB249_200:                            ;   in Loop: Header=BB249_201 Depth=1
	s_or_b64 exec, exec, s[16:17]
	v_add_f32_e32 v1, v9, v10
	v_add_u32_e32 v13, 2, v13
	v_add_f32_e32 v19, v19, v1
	v_add_f32_e32 v1, v11, v12
	v_cmp_le_i32_e64 s[0:1], s21, v13
	v_add_f32_e32 v20, v20, v1
	v_add_f32_e32 v1, v27, v28
	s_or_b64 s[12:13], s[0:1], s[12:13]
	v_add_co_u32_e64 v3, s[0:1], 8, v3
	v_add_f32_e32 v18, v18, v1
	v_add_u32_e32 v23, 32, v23
	v_add_u32_e32 v24, 0x80, v24
	v_addc_co_u32_e64 v4, s[0:1], 0, v4, s[0:1]
	s_andn2_b64 exec, exec, s[12:13]
	s_cbranch_execz .LBB249_402
.LBB249_201:                            ; =>This Inner Loop Header: Depth=1
	global_load_dword v1, v[3:4], off
	ds_read2_b64 v[7:10], v24 offset1:1
	ds_read2_b64 v[33:36], v24 offset0:2 offset1:3
	v_mov_b32_e32 v32, 0
	s_waitcnt lgkmcnt(1)
	;;#ASMSTART
	v_cvt_f16_f32 v27, v7;

	;;#ASMEND
	;;#ASMSTART
	v_cvt_f16_f32 v28, v8;

	;;#ASMEND
	;; [unrolled: 4-line block ×4, first 2 shown]
	s_waitcnt lgkmcnt(0)
	;;#ASMSTART
	v_cvt_f16_f32 v33, v33;

	;;#ASMEND
	;;#ASMSTART
	v_cvt_f16_f32 v34, v34;

	;;#ASMEND
	;; [unrolled: 4-line block ×4, first 2 shown]
	s_waitcnt vmcnt(0)
	v_mad_i64_i32 v[7:8], s[0:1], v1, s31, v[5:6]
	v_add_co_u32_e64 v9, s[0:1], v7, v17
	v_addc_co_u32_e64 v10, s[0:1], 0, v8, s[0:1]
	global_load_dwordx2 v[11:12], v[9:10], off
	global_load_dword v31, v2, s[14:15]
	s_waitcnt vmcnt(1)
	v_cmp_ne_u16_sdwa s[0:1], v11, v2 src0_sel:BYTE_0 src1_sel:DWORD
	s_and_saveexec_b64 s[2:3], s[0:1]
	s_cbranch_execz .LBB249_207
; %bb.202:                              ;   in Loop: Header=BB249_201 Depth=1
	v_cmp_ne_u16_sdwa s[0:1], v11, s29 src0_sel:BYTE_0 src1_sel:DWORD
	v_mov_b32_e32 v32, 0x8000
	s_and_saveexec_b64 s[16:17], s[0:1]
	s_cbranch_execz .LBB249_206
; %bb.203:                              ;   in Loop: Header=BB249_201 Depth=1
	v_and_b32_e32 v1, 0x7f, v11
	v_cmp_ne_u32_e64 s[0:1], s33, v1
	v_mov_b32_e32 v32, 0x7c01
	s_and_saveexec_b64 s[18:19], s[0:1]
	s_cbranch_execz .LBB249_205
; %bb.204:                              ;   in Loop: Header=BB249_201 Depth=1
	v_and_b32_e32 v26, 7, v11
	v_ffbh_u32_e32 v37, v26
	v_min_u32_e32 v39, 32, v37
	v_subrev_u32_e32 v37, 28, v39
	v_lshlrev_b64 v[37:38], v37, v[11:12]
	v_lshrrev_b32_e32 v32, 3, v1
	v_sub_u32_e32 v38, 29, v39
	v_cmp_gt_u32_e64 s[0:1], 8, v1
	v_cndmask_b32_e64 v1, v32, v38, s[0:1]
	v_lshl_add_u32 v1, v1, 10, v25
	v_lshlrev_b32_e32 v32, 8, v11
	v_and_b32_e32 v37, 7, v37
	v_and_b32_e32 v1, 0xfc00, v1
	v_cndmask_b32_e64 v26, v26, v37, s[0:1]
	v_and_or_b32 v1, v32, s34, v1
	v_lshl_or_b32 v32, v26, 7, v1
.LBB249_205:                            ;   in Loop: Header=BB249_201 Depth=1
	s_or_b64 exec, exec, s[18:19]
.LBB249_206:                            ;   in Loop: Header=BB249_201 Depth=1
	s_or_b64 exec, exec, s[16:17]
.LBB249_207:                            ;   in Loop: Header=BB249_201 Depth=1
	s_or_b64 exec, exec, s[2:3]
	v_lshrrev_b16_e32 v1, 8, v11
	v_cmp_ne_u16_e64 s[0:1], 0, v1
	v_mov_b32_e32 v38, 0
	v_mov_b32_e32 v37, 0
	s_and_saveexec_b64 s[2:3], s[0:1]
	s_cbranch_execz .LBB249_213
; %bb.208:                              ;   in Loop: Header=BB249_201 Depth=1
	v_cmp_ne_u16_e64 s[0:1], s29, v1
	v_bfrev_b32_e32 v37, 1
	s_and_saveexec_b64 s[16:17], s[0:1]
	s_cbranch_execz .LBB249_212
; %bb.209:                              ;   in Loop: Header=BB249_201 Depth=1
	v_and_b32_e32 v26, 0x7f, v1
	v_cmp_ne_u32_e64 s[0:1], s33, v26
	v_mov_b32_e32 v37, 0x7c010000
	s_and_saveexec_b64 s[18:19], s[0:1]
	s_cbranch_execz .LBB249_211
; %bb.210:                              ;   in Loop: Header=BB249_201 Depth=1
	v_and_b32_e32 v37, 7, v1
	v_ffbh_u32_e32 v39, v37
	v_min_u32_e32 v42, 32, v39
	v_subrev_u32_e32 v39, 28, v42
	v_lshlrev_b64 v[39:40], v39, v[1:2]
	v_lshrrev_b32_e32 v41, 3, v26
	v_sub_u32_e32 v40, 29, v42
	v_cmp_gt_u32_e64 s[0:1], 8, v26
	v_cndmask_b32_e64 v26, v41, v40, s[0:1]
	v_lshlrev_b32_e32 v1, 8, v1
	v_lshl_add_u32 v26, v26, 10, v25
	v_and_b32_e32 v39, 7, v39
	v_and_or_b32 v1, v1, s34, v26
	v_cndmask_b32_e64 v37, v37, v39, s[0:1]
	v_lshlrev_b32_e32 v1, 16, v1
	v_lshl_or_b32 v37, v37, 23, v1
.LBB249_211:                            ;   in Loop: Header=BB249_201 Depth=1
	s_or_b64 exec, exec, s[18:19]
.LBB249_212:                            ;   in Loop: Header=BB249_201 Depth=1
	s_or_b64 exec, exec, s[16:17]
.LBB249_213:                            ;   in Loop: Header=BB249_201 Depth=1
	s_or_b64 exec, exec, s[2:3]
	v_lshrrev_b32_e32 v1, 16, v11
	v_cmp_ne_u16_sdwa s[0:1], v1, v2 src0_sel:BYTE_0 src1_sel:DWORD
	s_and_saveexec_b64 s[2:3], s[0:1]
	s_cbranch_execz .LBB249_219
; %bb.214:                              ;   in Loop: Header=BB249_201 Depth=1
	v_cmp_ne_u16_sdwa s[0:1], v1, s29 src0_sel:BYTE_0 src1_sel:DWORD
	v_mov_b32_e32 v38, 0x8000
	s_and_saveexec_b64 s[16:17], s[0:1]
	s_cbranch_execz .LBB249_218
; %bb.215:                              ;   in Loop: Header=BB249_201 Depth=1
	v_bfe_u32 v26, v11, 16, 7
	v_cmp_ne_u32_e64 s[0:1], s33, v26
	v_mov_b32_e32 v38, 0x7c01
	s_and_saveexec_b64 s[18:19], s[0:1]
	s_cbranch_execz .LBB249_217
; %bb.216:                              ;   in Loop: Header=BB249_201 Depth=1
	v_and_b32_e32 v40, 7, v1
	v_ffbh_u32_e32 v38, v40
	v_min_u32_e32 v42, 32, v38
	v_subrev_u32_e32 v38, 28, v42
	v_lshlrev_b64 v[38:39], v38, v[1:2]
	v_lshrrev_b32_e32 v41, 3, v26
	v_sub_u32_e32 v39, 29, v42
	v_cmp_gt_u32_e64 s[0:1], 8, v26
	v_cndmask_b32_e64 v26, v41, v39, s[0:1]
	v_lshl_add_u32 v26, v26, 10, v25
	v_lshlrev_b32_e32 v1, 8, v1
	v_and_b32_e32 v38, 7, v38
	v_and_b32_e32 v26, 0xfc00, v26
	v_cndmask_b32_e64 v38, v40, v38, s[0:1]
	v_and_or_b32 v1, v1, s34, v26
	v_lshl_or_b32 v38, v38, 7, v1
.LBB249_217:                            ;   in Loop: Header=BB249_201 Depth=1
	s_or_b64 exec, exec, s[18:19]
.LBB249_218:                            ;   in Loop: Header=BB249_201 Depth=1
	s_or_b64 exec, exec, s[16:17]
.LBB249_219:                            ;   in Loop: Header=BB249_201 Depth=1
	s_or_b64 exec, exec, s[2:3]
	v_cmp_lt_u32_e64 s[0:1], s7, v11
	v_mov_b32_e32 v39, 0
	v_mov_b32_e32 v40, 0
	s_and_saveexec_b64 s[2:3], s[0:1]
	s_cbranch_execz .LBB249_225
; %bb.220:                              ;   in Loop: Header=BB249_201 Depth=1
	v_lshrrev_b32_e32 v1, 24, v11
	v_cmp_ne_u32_e64 s[0:1], s29, v1
	v_bfrev_b32_e32 v40, 1
	s_and_saveexec_b64 s[16:17], s[0:1]
	s_cbranch_execz .LBB249_224
; %bb.221:                              ;   in Loop: Header=BB249_201 Depth=1
	v_and_b32_e32 v26, 0x7f, v1
	v_cmp_ne_u32_e64 s[0:1], s33, v26
	v_mov_b32_e32 v40, 0x7c010000
	s_and_saveexec_b64 s[18:19], s[0:1]
	s_cbranch_execz .LBB249_223
; %bb.222:                              ;   in Loop: Header=BB249_201 Depth=1
	v_and_b32_e32 v42, 7, v1
	v_ffbh_u32_e32 v40, v42
	v_min_u32_e32 v44, 32, v40
	v_subrev_u32_e32 v40, 28, v44
	v_lshlrev_b64 v[40:41], v40, v[1:2]
	v_lshrrev_b32_e32 v43, 3, v26
	v_sub_u32_e32 v41, 29, v44
	v_cmp_gt_u32_e64 s[0:1], 8, v26
	v_cndmask_b32_e64 v26, v43, v41, s[0:1]
	v_lshlrev_b32_e32 v1, 8, v1
	v_lshl_add_u32 v26, v26, 10, v25
	v_and_b32_e32 v40, 7, v40
	v_and_or_b32 v1, v1, s34, v26
	v_cndmask_b32_e64 v40, v42, v40, s[0:1]
	v_lshlrev_b32_e32 v1, 16, v1
	v_lshl_or_b32 v40, v40, 23, v1
.LBB249_223:                            ;   in Loop: Header=BB249_201 Depth=1
	s_or_b64 exec, exec, s[18:19]
.LBB249_224:                            ;   in Loop: Header=BB249_201 Depth=1
	s_or_b64 exec, exec, s[16:17]
.LBB249_225:                            ;   in Loop: Header=BB249_201 Depth=1
	s_or_b64 exec, exec, s[2:3]
	v_mov_b32_e32 v1, v12
	v_cmp_ne_u16_sdwa s[0:1], v12, v2 src0_sel:BYTE_0 src1_sel:DWORD
	s_and_saveexec_b64 s[2:3], s[0:1]
	s_cbranch_execz .LBB249_231
; %bb.226:                              ;   in Loop: Header=BB249_201 Depth=1
	v_cmp_ne_u16_sdwa s[0:1], v12, s29 src0_sel:BYTE_0 src1_sel:DWORD
	v_mov_b32_e32 v39, 0x8000
	s_and_saveexec_b64 s[16:17], s[0:1]
	s_cbranch_execz .LBB249_230
; %bb.227:                              ;   in Loop: Header=BB249_201 Depth=1
	v_and_b32_e32 v26, 0x7f, v12
	v_cmp_ne_u32_e64 s[0:1], s33, v26
	v_mov_b32_e32 v39, 0x7c01
	s_and_saveexec_b64 s[18:19], s[0:1]
	s_cbranch_execz .LBB249_229
; %bb.228:                              ;   in Loop: Header=BB249_201 Depth=1
	v_and_b32_e32 v39, 7, v12
	v_ffbh_u32_e32 v41, v39
	v_min_u32_e32 v44, 32, v41
	v_subrev_u32_e32 v41, 28, v44
	v_lshlrev_b64 v[41:42], v41, v[1:2]
	v_lshrrev_b32_e32 v43, 3, v26
	v_sub_u32_e32 v42, 29, v44
	v_cmp_gt_u32_e64 s[0:1], 8, v26
	v_cndmask_b32_e64 v26, v43, v42, s[0:1]
	v_lshl_add_u32 v26, v26, 10, v25
	v_lshlrev_b32_e32 v42, 8, v12
	v_and_b32_e32 v41, 7, v41
	v_and_b32_e32 v26, 0xfc00, v26
	v_cndmask_b32_e64 v39, v39, v41, s[0:1]
	v_and_or_b32 v26, v42, s34, v26
	v_lshl_or_b32 v39, v39, 7, v26
.LBB249_229:                            ;   in Loop: Header=BB249_201 Depth=1
	s_or_b64 exec, exec, s[18:19]
.LBB249_230:                            ;   in Loop: Header=BB249_201 Depth=1
	s_or_b64 exec, exec, s[16:17]
.LBB249_231:                            ;   in Loop: Header=BB249_201 Depth=1
	s_or_b64 exec, exec, s[2:3]
	v_lshrrev_b16_e32 v1, 8, v1
	v_cmp_ne_u16_e64 s[0:1], 0, v1
	v_mov_b32_e32 v41, 0
	v_mov_b32_e32 v42, 0
	s_and_saveexec_b64 s[2:3], s[0:1]
	s_cbranch_execz .LBB249_237
; %bb.232:                              ;   in Loop: Header=BB249_201 Depth=1
	v_cmp_ne_u16_e64 s[0:1], s29, v1
	v_bfrev_b32_e32 v42, 1
	s_and_saveexec_b64 s[16:17], s[0:1]
	s_cbranch_execz .LBB249_236
; %bb.233:                              ;   in Loop: Header=BB249_201 Depth=1
	v_and_b32_e32 v26, 0x7f, v1
	v_cmp_ne_u32_e64 s[0:1], s33, v26
	v_mov_b32_e32 v42, 0x7c010000
	s_and_saveexec_b64 s[18:19], s[0:1]
	s_cbranch_execz .LBB249_235
; %bb.234:                              ;   in Loop: Header=BB249_201 Depth=1
	v_and_b32_e32 v44, 7, v1
	v_ffbh_u32_e32 v42, v44
	v_min_u32_e32 v46, 32, v42
	v_subrev_u32_e32 v42, 28, v46
	v_lshlrev_b64 v[42:43], v42, v[1:2]
	v_lshrrev_b32_e32 v45, 3, v26
	v_sub_u32_e32 v43, 29, v46
	v_cmp_gt_u32_e64 s[0:1], 8, v26
	v_cndmask_b32_e64 v26, v45, v43, s[0:1]
	v_lshlrev_b32_e32 v1, 8, v1
	v_lshl_add_u32 v26, v26, 10, v25
	v_and_b32_e32 v42, 7, v42
	v_and_or_b32 v1, v1, s34, v26
	v_cndmask_b32_e64 v42, v44, v42, s[0:1]
	v_lshlrev_b32_e32 v1, 16, v1
	v_lshl_or_b32 v42, v42, 23, v1
.LBB249_235:                            ;   in Loop: Header=BB249_201 Depth=1
	s_or_b64 exec, exec, s[18:19]
.LBB249_236:                            ;   in Loop: Header=BB249_201 Depth=1
	s_or_b64 exec, exec, s[16:17]
.LBB249_237:                            ;   in Loop: Header=BB249_201 Depth=1
	s_or_b64 exec, exec, s[2:3]
	v_lshrrev_b32_e32 v1, 16, v12
	v_cmp_ne_u16_sdwa s[0:1], v1, v2 src0_sel:BYTE_0 src1_sel:DWORD
	s_and_saveexec_b64 s[2:3], s[0:1]
	s_cbranch_execz .LBB249_243
; %bb.238:                              ;   in Loop: Header=BB249_201 Depth=1
	v_cmp_ne_u16_sdwa s[0:1], v1, s29 src0_sel:BYTE_0 src1_sel:DWORD
	v_mov_b32_e32 v41, 0x8000
	s_and_saveexec_b64 s[16:17], s[0:1]
	s_cbranch_execz .LBB249_242
; %bb.239:                              ;   in Loop: Header=BB249_201 Depth=1
	v_bfe_u32 v26, v12, 16, 7
	v_cmp_ne_u32_e64 s[0:1], s33, v26
	v_mov_b32_e32 v41, 0x7c01
	s_and_saveexec_b64 s[18:19], s[0:1]
	s_cbranch_execz .LBB249_241
; %bb.240:                              ;   in Loop: Header=BB249_201 Depth=1
	v_and_b32_e32 v41, 7, v1
	v_ffbh_u32_e32 v43, v41
	v_min_u32_e32 v46, 32, v43
	v_subrev_u32_e32 v43, 28, v46
	v_lshlrev_b64 v[43:44], v43, v[1:2]
	v_lshrrev_b32_e32 v45, 3, v26
	v_sub_u32_e32 v44, 29, v46
	v_cmp_gt_u32_e64 s[0:1], 8, v26
	v_cndmask_b32_e64 v26, v45, v44, s[0:1]
	v_lshl_add_u32 v26, v26, 10, v25
	v_lshlrev_b32_e32 v1, 8, v1
	v_and_b32_e32 v43, 7, v43
	v_and_b32_e32 v26, 0xfc00, v26
	v_cndmask_b32_e64 v41, v41, v43, s[0:1]
	v_and_or_b32 v1, v1, s34, v26
	v_lshl_or_b32 v41, v41, 7, v1
.LBB249_241:                            ;   in Loop: Header=BB249_201 Depth=1
	s_or_b64 exec, exec, s[18:19]
.LBB249_242:                            ;   in Loop: Header=BB249_201 Depth=1
	s_or_b64 exec, exec, s[16:17]
.LBB249_243:                            ;   in Loop: Header=BB249_201 Depth=1
	s_or_b64 exec, exec, s[2:3]
	v_cmp_lt_u64_e64 s[0:1], s[6:7], v[11:12]
	v_mov_b32_e32 v43, 0
	s_and_saveexec_b64 s[2:3], s[0:1]
	s_cbranch_execz .LBB249_249
; %bb.244:                              ;   in Loop: Header=BB249_201 Depth=1
	v_lshrrev_b32_e32 v1, 24, v12
	v_cmp_ne_u32_e64 s[0:1], s29, v1
	v_bfrev_b32_e32 v43, 1
	s_and_saveexec_b64 s[16:17], s[0:1]
	s_cbranch_execz .LBB249_248
; %bb.245:                              ;   in Loop: Header=BB249_201 Depth=1
	v_and_b32_e32 v11, 0x7f, v1
	v_cmp_ne_u32_e64 s[0:1], s33, v11
	v_mov_b32_e32 v43, 0x7c010000
	s_and_saveexec_b64 s[18:19], s[0:1]
	s_cbranch_execz .LBB249_247
; %bb.246:                              ;   in Loop: Header=BB249_201 Depth=1
	v_and_b32_e32 v12, 7, v1
	v_ffbh_u32_e32 v43, v12
	v_min_u32_e32 v45, 32, v43
	v_subrev_u32_e32 v43, 28, v45
	v_lshlrev_b64 v[43:44], v43, v[1:2]
	v_lshrrev_b32_e32 v26, 3, v11
	v_sub_u32_e32 v44, 29, v45
	v_cmp_gt_u32_e64 s[0:1], 8, v11
	v_cndmask_b32_e64 v11, v26, v44, s[0:1]
	v_lshlrev_b32_e32 v1, 8, v1
	v_lshl_add_u32 v11, v11, 10, v25
	v_and_b32_e32 v26, 7, v43
	v_and_or_b32 v1, v1, s34, v11
	v_cndmask_b32_e64 v12, v12, v26, s[0:1]
	v_lshlrev_b32_e32 v1, 16, v1
	v_lshl_or_b32 v43, v12, 23, v1
.LBB249_247:                            ;   in Loop: Header=BB249_201 Depth=1
	s_or_b64 exec, exec, s[18:19]
.LBB249_248:                            ;   in Loop: Header=BB249_201 Depth=1
	s_or_b64 exec, exec, s[16:17]
.LBB249_249:                            ;   in Loop: Header=BB249_201 Depth=1
	s_or_b64 exec, exec, s[2:3]
	s_waitcnt vmcnt(0)
	v_fma_mixlo_f16 v11, v31, v40, 0 op_sel:[0,1,0] op_sel_hi:[0,1,0]
	v_or_b32_e32 v1, v40, v38
	v_lshlrev_b32_e32 v12, 16, v11
	v_or_b32_e32 v11, v37, v32
	v_fma_mixlo_f16 v32, v31, v37, 0 op_sel:[0,1,0] op_sel_hi:[0,1,0]
	v_or_b32_e32 v37, v42, v39
	v_or_b32_e32 v39, v43, v41
	v_fma_mixlo_f16 v1, v31, v1, 0 op_sel_hi:[0,1,0]
	v_lshlrev_b32_e32 v44, 16, v32
	v_fma_mixlo_f16 v11, v31, v11, 0 op_sel_hi:[0,1,0]
	v_fma_mixlo_f16 v32, v31, v42, 0 op_sel:[0,1,0] op_sel_hi:[0,1,0]
	v_fma_mixlo_f16 v37, v31, v37, 0 op_sel_hi:[0,1,0]
	v_fma_mixlo_f16 v39, v31, v39, 0 op_sel_hi:[0,1,0]
	v_fma_mixlo_f16 v31, v31, v43, 0 op_sel:[0,1,0] op_sel_hi:[0,1,0]
	v_and_b32_e32 v38, 0xffff, v1
	v_and_b32_e32 v45, 0xffff, v11
	v_lshlrev_b32_e32 v32, 16, v32
	v_and_b32_e32 v40, 0xffff, v37
	v_lshlrev_b32_e32 v31, 16, v31
	v_and_b32_e32 v39, 0xffff, v39
	v_add_u32_e32 v26, -7, v23
	v_cmp_eq_u32_e64 s[0:1], s28, v13
	v_or_b32_e32 v1, v12, v38
	v_or_b32_e32 v11, v44, v45
	v_or_b32_e32 v37, v32, v40
	v_or_b32_e32 v41, v31, v39
	s_and_saveexec_b64 s[16:17], s[0:1]
	s_cbranch_execz .LBB249_251
; %bb.250:                              ;   in Loop: Header=BB249_201 Depth=1
	v_cmp_gt_i32_e64 s[2:3], s30, v26
	v_add_u32_e32 v11, -6, v23
	v_cndmask_b32_e64 v1, 0, v45, s[2:3]
	v_cmp_gt_i32_e64 s[2:3], s30, v11
	v_cndmask_b32_e64 v11, 0, v44, s[2:3]
	v_or_b32_e32 v11, v11, v1
	v_add_u32_e32 v1, -5, v23
	v_cmp_gt_i32_e64 s[2:3], s30, v1
	v_add_u32_e32 v37, -4, v23
	v_cndmask_b32_e64 v1, 0, v38, s[2:3]
	v_cmp_gt_i32_e64 s[2:3], s30, v37
	v_cndmask_b32_e64 v12, 0, v12, s[2:3]
	v_or_b32_e32 v1, v12, v1
	v_add_u32_e32 v12, -3, v23
	;; [unrolled: 7-line block ×3, first 2 shown]
	v_cmp_gt_i32_e64 s[2:3], s30, v12
	v_cndmask_b32_e64 v12, 0, v39, s[2:3]
	v_cmp_gt_i32_e64 s[2:3], s30, v23
	v_cndmask_b32_e64 v31, 0, v31, s[2:3]
	v_or_b32_e32 v41, v31, v12
.LBB249_251:                            ;   in Loop: Header=BB249_201 Depth=1
	s_or_b64 exec, exec, s[16:17]
	v_and_b32_e32 v12, 0xffff, v27
	v_lshl_or_b32 v32, v28, 16, v12
	v_and_b32_e32 v12, 0xffff, v29
	v_lshl_or_b32 v31, v30, 16, v12
	;; [unrolled: 2-line block ×3, first 2 shown]
	v_and_b32_e32 v12, 0xffff, v35
	;;#ASMSTART
	v_pk_mul_f16 v11, v32, v11;

	;;#ASMEND
	;;#ASMSTART
	v_pk_mul_f16 v1, v31, v1;

	;;#ASMEND
	v_lshl_or_b32 v29, v36, 16, v12
	;;#ASMSTART
	v_pk_mul_f16 v12, v30, v37;

	;;#ASMEND
	;;#ASMSTART
	v_pk_mul_f16 v27, v29, v41;

	;;#ASMEND
	;;#ASMSTART
	v_pk_add_f16 v1, v11, v1;

	;;#ASMEND
	;;#ASMSTART
	v_pk_add_f16 v1, v1, v12;
	;; [unrolled: 4-line block ×3, first 2 shown]

	;;#ASMEND
	v_lshrrev_b32_e32 v11, 16, v1
	v_and_b32_e32 v1, 0xffff, v1
	;;#ASMSTART
	v_cvt_f32_f16 v27, v1;
	;;#ASMEND
	;;#ASMSTART
	v_cvt_f32_f16 v28, v11;
	;;#ASMEND
	global_load_dwordx2 v[11:12], v[9:10], off offset:512
	v_mov_b32_e32 v34, 0
	global_load_dword v33, v34, s[14:15]
	v_mov_b32_e32 v35, 0
	s_waitcnt vmcnt(1)
	v_cmp_ne_u16_sdwa s[2:3], v11, v2 src0_sel:BYTE_0 src1_sel:DWORD
	s_and_saveexec_b64 s[16:17], s[2:3]
	s_cbranch_execz .LBB249_257
; %bb.252:                              ;   in Loop: Header=BB249_201 Depth=1
	v_cmp_ne_u16_sdwa s[2:3], v11, s29 src0_sel:BYTE_0 src1_sel:DWORD
	v_mov_b32_e32 v35, 0x8000
	s_and_saveexec_b64 s[18:19], s[2:3]
	s_cbranch_execz .LBB249_256
; %bb.253:                              ;   in Loop: Header=BB249_201 Depth=1
	v_and_b32_e32 v1, 0x7f, v11
	v_cmp_ne_u32_e64 s[2:3], s33, v1
	v_mov_b32_e32 v35, 0x7c01
	s_and_saveexec_b64 s[24:25], s[2:3]
	s_cbranch_execz .LBB249_255
; %bb.254:                              ;   in Loop: Header=BB249_201 Depth=1
	v_and_b32_e32 v37, 7, v11
	v_ffbh_u32_e32 v35, v37
	v_min_u32_e32 v39, 32, v35
	v_subrev_u32_e32 v35, 28, v39
	v_lshlrev_b64 v[35:36], v35, v[11:12]
	v_lshrrev_b32_e32 v38, 3, v1
	v_sub_u32_e32 v36, 29, v39
	v_cmp_gt_u32_e64 s[2:3], 8, v1
	v_cndmask_b32_e64 v1, v38, v36, s[2:3]
	v_lshl_add_u32 v1, v1, 10, v25
	v_lshlrev_b32_e32 v36, 8, v11
	v_and_b32_e32 v35, 7, v35
	v_and_b32_e32 v1, 0xfc00, v1
	v_cndmask_b32_e64 v35, v37, v35, s[2:3]
	v_and_or_b32 v1, v36, s34, v1
	v_lshl_or_b32 v35, v35, 7, v1
.LBB249_255:                            ;   in Loop: Header=BB249_201 Depth=1
	s_or_b64 exec, exec, s[24:25]
.LBB249_256:                            ;   in Loop: Header=BB249_201 Depth=1
	s_or_b64 exec, exec, s[18:19]
.LBB249_257:                            ;   in Loop: Header=BB249_201 Depth=1
	s_or_b64 exec, exec, s[16:17]
	v_lshrrev_b16_e32 v1, 8, v11
	v_cmp_ne_u16_e64 s[2:3], 0, v1
	s_and_saveexec_b64 s[16:17], s[2:3]
	s_cbranch_execz .LBB249_263
; %bb.258:                              ;   in Loop: Header=BB249_201 Depth=1
	v_cmp_ne_u16_e64 s[2:3], s29, v1
	v_bfrev_b32_e32 v34, 1
	s_and_saveexec_b64 s[18:19], s[2:3]
	s_cbranch_execz .LBB249_262
; %bb.259:                              ;   in Loop: Header=BB249_201 Depth=1
	v_and_b32_e32 v36, 0x7f, v1
	v_cmp_ne_u32_e64 s[2:3], s33, v36
	v_mov_b32_e32 v34, 0x7c010000
	s_and_saveexec_b64 s[24:25], s[2:3]
	s_cbranch_execz .LBB249_261
; %bb.260:                              ;   in Loop: Header=BB249_201 Depth=1
	v_and_b32_e32 v34, 7, v1
	v_ffbh_u32_e32 v37, v34
	v_min_u32_e32 v40, 32, v37
	v_subrev_u32_e32 v37, 28, v40
	v_lshlrev_b64 v[37:38], v37, v[1:2]
	v_lshrrev_b32_e32 v39, 3, v36
	v_sub_u32_e32 v38, 29, v40
	v_cmp_gt_u32_e64 s[2:3], 8, v36
	v_cndmask_b32_e64 v36, v39, v38, s[2:3]
	v_lshlrev_b32_e32 v1, 8, v1
	v_lshl_add_u32 v36, v36, 10, v25
	v_and_b32_e32 v37, 7, v37
	v_and_or_b32 v1, v1, s34, v36
	v_cndmask_b32_e64 v34, v34, v37, s[2:3]
	v_lshlrev_b32_e32 v1, 16, v1
	v_lshl_or_b32 v34, v34, 23, v1
.LBB249_261:                            ;   in Loop: Header=BB249_201 Depth=1
	s_or_b64 exec, exec, s[24:25]
.LBB249_262:                            ;   in Loop: Header=BB249_201 Depth=1
	s_or_b64 exec, exec, s[18:19]
.LBB249_263:                            ;   in Loop: Header=BB249_201 Depth=1
	s_or_b64 exec, exec, s[16:17]
	v_lshrrev_b32_e32 v1, 16, v11
	v_cmp_ne_u16_sdwa s[2:3], v1, v2 src0_sel:BYTE_0 src1_sel:DWORD
	v_mov_b32_e32 v36, 0
	v_mov_b32_e32 v37, 0
	s_and_saveexec_b64 s[16:17], s[2:3]
	s_cbranch_execz .LBB249_269
; %bb.264:                              ;   in Loop: Header=BB249_201 Depth=1
	v_cmp_ne_u16_sdwa s[2:3], v1, s29 src0_sel:BYTE_0 src1_sel:DWORD
	v_mov_b32_e32 v37, 0x8000
	s_and_saveexec_b64 s[18:19], s[2:3]
	s_cbranch_execz .LBB249_268
; %bb.265:                              ;   in Loop: Header=BB249_201 Depth=1
	v_bfe_u32 v38, v11, 16, 7
	v_cmp_ne_u32_e64 s[2:3], s33, v38
	v_mov_b32_e32 v37, 0x7c01
	s_and_saveexec_b64 s[24:25], s[2:3]
	s_cbranch_execz .LBB249_267
; %bb.266:                              ;   in Loop: Header=BB249_201 Depth=1
	v_and_b32_e32 v37, 7, v1
	v_ffbh_u32_e32 v39, v37
	v_min_u32_e32 v42, 32, v39
	v_subrev_u32_e32 v39, 28, v42
	v_lshlrev_b64 v[39:40], v39, v[1:2]
	v_lshrrev_b32_e32 v41, 3, v38
	v_sub_u32_e32 v40, 29, v42
	v_cmp_gt_u32_e64 s[2:3], 8, v38
	v_cndmask_b32_e64 v38, v41, v40, s[2:3]
	v_lshl_add_u32 v38, v38, 10, v25
	v_lshlrev_b32_e32 v1, 8, v1
	v_and_b32_e32 v39, 7, v39
	v_and_b32_e32 v38, 0xfc00, v38
	v_cndmask_b32_e64 v37, v37, v39, s[2:3]
	v_and_or_b32 v1, v1, s34, v38
	v_lshl_or_b32 v37, v37, 7, v1
.LBB249_267:                            ;   in Loop: Header=BB249_201 Depth=1
	s_or_b64 exec, exec, s[24:25]
.LBB249_268:                            ;   in Loop: Header=BB249_201 Depth=1
	s_or_b64 exec, exec, s[18:19]
.LBB249_269:                            ;   in Loop: Header=BB249_201 Depth=1
	s_or_b64 exec, exec, s[16:17]
	v_cmp_lt_u32_e64 s[2:3], s7, v11
	s_and_saveexec_b64 s[16:17], s[2:3]
	s_cbranch_execz .LBB249_275
; %bb.270:                              ;   in Loop: Header=BB249_201 Depth=1
	v_lshrrev_b32_e32 v1, 24, v11
	v_cmp_ne_u32_e64 s[2:3], s29, v1
	v_bfrev_b32_e32 v36, 1
	s_and_saveexec_b64 s[18:19], s[2:3]
	s_cbranch_execz .LBB249_274
; %bb.271:                              ;   in Loop: Header=BB249_201 Depth=1
	v_and_b32_e32 v38, 0x7f, v1
	v_cmp_ne_u32_e64 s[2:3], s33, v38
	v_mov_b32_e32 v36, 0x7c010000
	s_and_saveexec_b64 s[24:25], s[2:3]
	s_cbranch_execz .LBB249_273
; %bb.272:                              ;   in Loop: Header=BB249_201 Depth=1
	v_and_b32_e32 v36, 7, v1
	v_ffbh_u32_e32 v39, v36
	v_min_u32_e32 v42, 32, v39
	v_subrev_u32_e32 v39, 28, v42
	v_lshlrev_b64 v[39:40], v39, v[1:2]
	v_lshrrev_b32_e32 v41, 3, v38
	v_sub_u32_e32 v40, 29, v42
	v_cmp_gt_u32_e64 s[2:3], 8, v38
	v_cndmask_b32_e64 v38, v41, v40, s[2:3]
	v_lshlrev_b32_e32 v1, 8, v1
	v_lshl_add_u32 v38, v38, 10, v25
	v_and_b32_e32 v39, 7, v39
	v_and_or_b32 v1, v1, s34, v38
	v_cndmask_b32_e64 v36, v36, v39, s[2:3]
	v_lshlrev_b32_e32 v1, 16, v1
	v_lshl_or_b32 v36, v36, 23, v1
.LBB249_273:                            ;   in Loop: Header=BB249_201 Depth=1
	s_or_b64 exec, exec, s[24:25]
.LBB249_274:                            ;   in Loop: Header=BB249_201 Depth=1
	s_or_b64 exec, exec, s[18:19]
.LBB249_275:                            ;   in Loop: Header=BB249_201 Depth=1
	s_or_b64 exec, exec, s[16:17]
	v_mov_b32_e32 v1, v12
	v_cmp_ne_u16_sdwa s[2:3], v12, v2 src0_sel:BYTE_0 src1_sel:DWORD
	v_mov_b32_e32 v38, 0
	v_mov_b32_e32 v39, 0
	s_and_saveexec_b64 s[16:17], s[2:3]
	s_cbranch_execz .LBB249_281
; %bb.276:                              ;   in Loop: Header=BB249_201 Depth=1
	v_cmp_ne_u16_sdwa s[2:3], v12, s29 src0_sel:BYTE_0 src1_sel:DWORD
	v_mov_b32_e32 v39, 0x8000
	s_and_saveexec_b64 s[18:19], s[2:3]
	s_cbranch_execz .LBB249_280
; %bb.277:                              ;   in Loop: Header=BB249_201 Depth=1
	v_and_b32_e32 v40, 0x7f, v12
	v_cmp_ne_u32_e64 s[2:3], s33, v40
	v_mov_b32_e32 v39, 0x7c01
	s_and_saveexec_b64 s[24:25], s[2:3]
	s_cbranch_execz .LBB249_279
; %bb.278:                              ;   in Loop: Header=BB249_201 Depth=1
	v_and_b32_e32 v39, 7, v12
	v_ffbh_u32_e32 v41, v39
	v_min_u32_e32 v44, 32, v41
	v_subrev_u32_e32 v41, 28, v44
	v_lshlrev_b64 v[41:42], v41, v[1:2]
	v_lshrrev_b32_e32 v43, 3, v40
	v_sub_u32_e32 v42, 29, v44
	v_cmp_gt_u32_e64 s[2:3], 8, v40
	v_cndmask_b32_e64 v40, v43, v42, s[2:3]
	v_lshl_add_u32 v40, v40, 10, v25
	v_lshlrev_b32_e32 v42, 8, v12
	v_and_b32_e32 v41, 7, v41
	v_and_b32_e32 v40, 0xfc00, v40
	v_cndmask_b32_e64 v39, v39, v41, s[2:3]
	v_and_or_b32 v40, v42, s34, v40
	v_lshl_or_b32 v39, v39, 7, v40
.LBB249_279:                            ;   in Loop: Header=BB249_201 Depth=1
	s_or_b64 exec, exec, s[24:25]
.LBB249_280:                            ;   in Loop: Header=BB249_201 Depth=1
	s_or_b64 exec, exec, s[18:19]
.LBB249_281:                            ;   in Loop: Header=BB249_201 Depth=1
	s_or_b64 exec, exec, s[16:17]
	v_lshrrev_b16_e32 v1, 8, v1
	v_cmp_ne_u16_e64 s[2:3], 0, v1
	v_mov_b32_e32 v40, 0
	s_and_saveexec_b64 s[16:17], s[2:3]
	s_cbranch_execz .LBB249_287
; %bb.282:                              ;   in Loop: Header=BB249_201 Depth=1
	v_cmp_ne_u16_e64 s[2:3], s29, v1
	v_bfrev_b32_e32 v40, 1
	s_and_saveexec_b64 s[18:19], s[2:3]
	s_cbranch_execz .LBB249_286
; %bb.283:                              ;   in Loop: Header=BB249_201 Depth=1
	v_and_b32_e32 v41, 0x7f, v1
	v_cmp_ne_u32_e64 s[2:3], s33, v41
	v_mov_b32_e32 v40, 0x7c010000
	s_and_saveexec_b64 s[24:25], s[2:3]
	s_cbranch_execz .LBB249_285
; %bb.284:                              ;   in Loop: Header=BB249_201 Depth=1
	v_and_b32_e32 v40, 7, v1
	v_ffbh_u32_e32 v42, v40
	v_min_u32_e32 v45, 32, v42
	v_subrev_u32_e32 v42, 28, v45
	v_lshlrev_b64 v[42:43], v42, v[1:2]
	v_lshrrev_b32_e32 v44, 3, v41
	v_sub_u32_e32 v43, 29, v45
	v_cmp_gt_u32_e64 s[2:3], 8, v41
	v_cndmask_b32_e64 v41, v44, v43, s[2:3]
	v_lshlrev_b32_e32 v1, 8, v1
	v_lshl_add_u32 v41, v41, 10, v25
	v_and_b32_e32 v42, 7, v42
	v_and_or_b32 v1, v1, s34, v41
	v_cndmask_b32_e64 v40, v40, v42, s[2:3]
	v_lshlrev_b32_e32 v1, 16, v1
	v_lshl_or_b32 v40, v40, 23, v1
.LBB249_285:                            ;   in Loop: Header=BB249_201 Depth=1
	s_or_b64 exec, exec, s[24:25]
.LBB249_286:                            ;   in Loop: Header=BB249_201 Depth=1
	s_or_b64 exec, exec, s[18:19]
.LBB249_287:                            ;   in Loop: Header=BB249_201 Depth=1
	s_or_b64 exec, exec, s[16:17]
	v_lshrrev_b32_e32 v1, 16, v12
	v_cmp_ne_u16_sdwa s[2:3], v1, v2 src0_sel:BYTE_0 src1_sel:DWORD
	s_and_saveexec_b64 s[16:17], s[2:3]
	s_cbranch_execz .LBB249_293
; %bb.288:                              ;   in Loop: Header=BB249_201 Depth=1
	v_cmp_ne_u16_sdwa s[2:3], v1, s29 src0_sel:BYTE_0 src1_sel:DWORD
	v_mov_b32_e32 v38, 0x8000
	s_and_saveexec_b64 s[18:19], s[2:3]
	s_cbranch_execz .LBB249_292
; %bb.289:                              ;   in Loop: Header=BB249_201 Depth=1
	v_bfe_u32 v41, v12, 16, 7
	v_cmp_ne_u32_e64 s[2:3], s33, v41
	v_mov_b32_e32 v38, 0x7c01
	s_and_saveexec_b64 s[24:25], s[2:3]
	s_cbranch_execz .LBB249_291
; %bb.290:                              ;   in Loop: Header=BB249_201 Depth=1
	v_and_b32_e32 v38, 7, v1
	v_ffbh_u32_e32 v42, v38
	v_min_u32_e32 v45, 32, v42
	v_subrev_u32_e32 v42, 28, v45
	v_lshlrev_b64 v[42:43], v42, v[1:2]
	v_lshrrev_b32_e32 v44, 3, v41
	v_sub_u32_e32 v43, 29, v45
	v_cmp_gt_u32_e64 s[2:3], 8, v41
	v_cndmask_b32_e64 v41, v44, v43, s[2:3]
	v_lshl_add_u32 v41, v41, 10, v25
	v_lshlrev_b32_e32 v1, 8, v1
	v_and_b32_e32 v42, 7, v42
	v_and_b32_e32 v41, 0xfc00, v41
	v_cndmask_b32_e64 v38, v38, v42, s[2:3]
	v_and_or_b32 v1, v1, s34, v41
	v_lshl_or_b32 v38, v38, 7, v1
.LBB249_291:                            ;   in Loop: Header=BB249_201 Depth=1
	s_or_b64 exec, exec, s[24:25]
.LBB249_292:                            ;   in Loop: Header=BB249_201 Depth=1
	s_or_b64 exec, exec, s[18:19]
.LBB249_293:                            ;   in Loop: Header=BB249_201 Depth=1
	s_or_b64 exec, exec, s[16:17]
	v_cmp_lt_u64_e64 s[2:3], s[6:7], v[11:12]
	v_mov_b32_e32 v41, 0
	s_and_saveexec_b64 s[16:17], s[2:3]
	s_cbranch_execz .LBB249_299
; %bb.294:                              ;   in Loop: Header=BB249_201 Depth=1
	v_lshrrev_b32_e32 v1, 24, v12
	v_cmp_ne_u32_e64 s[2:3], s29, v1
	v_bfrev_b32_e32 v41, 1
	s_and_saveexec_b64 s[18:19], s[2:3]
	s_cbranch_execz .LBB249_298
; %bb.295:                              ;   in Loop: Header=BB249_201 Depth=1
	v_and_b32_e32 v11, 0x7f, v1
	v_cmp_ne_u32_e64 s[2:3], s33, v11
	v_mov_b32_e32 v41, 0x7c010000
	s_and_saveexec_b64 s[24:25], s[2:3]
	s_cbranch_execz .LBB249_297
; %bb.296:                              ;   in Loop: Header=BB249_201 Depth=1
	v_and_b32_e32 v12, 7, v1
	v_ffbh_u32_e32 v41, v12
	v_min_u32_e32 v44, 32, v41
	v_subrev_u32_e32 v41, 28, v44
	v_lshlrev_b64 v[41:42], v41, v[1:2]
	v_lshrrev_b32_e32 v43, 3, v11
	v_sub_u32_e32 v42, 29, v44
	v_cmp_gt_u32_e64 s[2:3], 8, v11
	v_cndmask_b32_e64 v11, v43, v42, s[2:3]
	v_lshlrev_b32_e32 v1, 8, v1
	v_lshl_add_u32 v11, v11, 10, v25
	v_and_b32_e32 v41, 7, v41
	v_and_or_b32 v1, v1, s34, v11
	v_cndmask_b32_e64 v12, v12, v41, s[2:3]
	v_lshlrev_b32_e32 v1, 16, v1
	v_lshl_or_b32 v41, v12, 23, v1
.LBB249_297:                            ;   in Loop: Header=BB249_201 Depth=1
	s_or_b64 exec, exec, s[24:25]
.LBB249_298:                            ;   in Loop: Header=BB249_201 Depth=1
	s_or_b64 exec, exec, s[18:19]
.LBB249_299:                            ;   in Loop: Header=BB249_201 Depth=1
	s_or_b64 exec, exec, s[16:17]
	s_waitcnt vmcnt(0)
	v_fma_mixlo_f16 v11, v33, v36, 0 op_sel:[0,1,0] op_sel_hi:[0,1,0]
	v_or_b32_e32 v1, v36, v37
	v_lshlrev_b32_e32 v12, 16, v11
	v_or_b32_e32 v11, v34, v35
	v_fma_mixlo_f16 v34, v33, v34, 0 op_sel:[0,1,0] op_sel_hi:[0,1,0]
	v_or_b32_e32 v35, v40, v39
	v_or_b32_e32 v37, v41, v38
	v_fma_mixlo_f16 v1, v33, v1, 0 op_sel_hi:[0,1,0]
	v_lshlrev_b32_e32 v42, 16, v34
	v_fma_mixlo_f16 v11, v33, v11, 0 op_sel_hi:[0,1,0]
	v_fma_mixlo_f16 v34, v33, v40, 0 op_sel:[0,1,0] op_sel_hi:[0,1,0]
	v_fma_mixlo_f16 v35, v33, v35, 0 op_sel_hi:[0,1,0]
	v_fma_mixlo_f16 v37, v33, v37, 0 op_sel_hi:[0,1,0]
	v_fma_mixlo_f16 v33, v33, v41, 0 op_sel:[0,1,0] op_sel_hi:[0,1,0]
	v_and_b32_e32 v36, 0xffff, v1
	v_and_b32_e32 v43, 0xffff, v11
	v_lshlrev_b32_e32 v34, 16, v34
	v_and_b32_e32 v39, 0xffff, v35
	v_lshlrev_b32_e32 v33, 16, v33
	v_and_b32_e32 v37, 0xffff, v37
	v_or_b32_e32 v1, v12, v36
	v_or_b32_e32 v11, v42, v43
	v_or_b32_e32 v35, v34, v39
	v_or_b32_e32 v38, v33, v37
	s_and_saveexec_b64 s[16:17], s[0:1]
	s_cbranch_execz .LBB249_301
; %bb.300:                              ;   in Loop: Header=BB249_201 Depth=1
	v_cmp_gt_i32_e64 s[2:3], s30, v26
	v_add_u32_e32 v11, -6, v23
	v_cndmask_b32_e64 v1, 0, v43, s[2:3]
	v_cmp_gt_i32_e64 s[2:3], s30, v11
	v_cndmask_b32_e64 v11, 0, v42, s[2:3]
	v_or_b32_e32 v11, v11, v1
	v_add_u32_e32 v1, -5, v23
	v_cmp_gt_i32_e64 s[2:3], s30, v1
	v_add_u32_e32 v35, -4, v23
	v_cndmask_b32_e64 v1, 0, v36, s[2:3]
	v_cmp_gt_i32_e64 s[2:3], s30, v35
	v_cndmask_b32_e64 v12, 0, v12, s[2:3]
	v_or_b32_e32 v1, v12, v1
	v_add_u32_e32 v12, -3, v23
	;; [unrolled: 7-line block ×3, first 2 shown]
	v_cmp_gt_i32_e64 s[2:3], s30, v12
	v_cndmask_b32_e64 v12, 0, v37, s[2:3]
	v_cmp_gt_i32_e64 s[2:3], s30, v23
	v_cndmask_b32_e64 v33, 0, v33, s[2:3]
	v_or_b32_e32 v38, v33, v12
.LBB249_301:                            ;   in Loop: Header=BB249_201 Depth=1
	s_or_b64 exec, exec, s[16:17]
	;;#ASMSTART
	v_pk_mul_f16 v11, v32, v11;

	;;#ASMEND
	;;#ASMSTART
	v_pk_mul_f16 v1, v31, v1;

	;;#ASMEND
	;; [unrolled: 4-line block ×4, first 2 shown]
	;;#ASMSTART
	v_pk_add_f16 v1, v11, v1;

	;;#ASMEND
	;;#ASMSTART
	v_pk_add_f16 v1, v1, v12;

	;;#ASMEND
	;; [unrolled: 4-line block ×3, first 2 shown]
	v_lshrrev_b32_e32 v12, 16, v1
	v_and_b32_e32 v1, 0xffff, v1
	;;#ASMSTART
	v_cvt_f32_f16 v11, v1;
	;;#ASMEND
	;;#ASMSTART
	v_cvt_f32_f16 v12, v12;
	;;#ASMEND
	global_load_dwordx2 v[9:10], v[9:10], off offset:1024
	v_mov_b32_e32 v34, 0
	global_load_dword v33, v34, s[14:15]
	v_mov_b32_e32 v35, 0
	s_waitcnt vmcnt(1)
	v_cmp_ne_u16_sdwa s[2:3], v9, v2 src0_sel:BYTE_0 src1_sel:DWORD
	s_and_saveexec_b64 s[16:17], s[2:3]
	s_cbranch_execz .LBB249_307
; %bb.302:                              ;   in Loop: Header=BB249_201 Depth=1
	v_cmp_ne_u16_sdwa s[2:3], v9, s29 src0_sel:BYTE_0 src1_sel:DWORD
	v_mov_b32_e32 v35, 0x8000
	s_and_saveexec_b64 s[18:19], s[2:3]
	s_cbranch_execz .LBB249_306
; %bb.303:                              ;   in Loop: Header=BB249_201 Depth=1
	v_and_b32_e32 v1, 0x7f, v9
	v_cmp_ne_u32_e64 s[2:3], s33, v1
	v_mov_b32_e32 v35, 0x7c01
	s_and_saveexec_b64 s[24:25], s[2:3]
	s_cbranch_execz .LBB249_305
; %bb.304:                              ;   in Loop: Header=BB249_201 Depth=1
	v_and_b32_e32 v37, 7, v9
	v_ffbh_u32_e32 v35, v37
	v_min_u32_e32 v39, 32, v35
	v_subrev_u32_e32 v35, 28, v39
	v_lshlrev_b64 v[35:36], v35, v[9:10]
	v_lshrrev_b32_e32 v38, 3, v1
	v_sub_u32_e32 v36, 29, v39
	v_cmp_gt_u32_e64 s[2:3], 8, v1
	v_cndmask_b32_e64 v1, v38, v36, s[2:3]
	v_lshl_add_u32 v1, v1, 10, v25
	v_lshlrev_b32_e32 v36, 8, v9
	v_and_b32_e32 v35, 7, v35
	v_and_b32_e32 v1, 0xfc00, v1
	v_cndmask_b32_e64 v35, v37, v35, s[2:3]
	v_and_or_b32 v1, v36, s34, v1
	v_lshl_or_b32 v35, v35, 7, v1
.LBB249_305:                            ;   in Loop: Header=BB249_201 Depth=1
	s_or_b64 exec, exec, s[24:25]
.LBB249_306:                            ;   in Loop: Header=BB249_201 Depth=1
	s_or_b64 exec, exec, s[18:19]
.LBB249_307:                            ;   in Loop: Header=BB249_201 Depth=1
	s_or_b64 exec, exec, s[16:17]
	v_lshrrev_b16_e32 v1, 8, v9
	v_cmp_ne_u16_e64 s[2:3], 0, v1
	s_and_saveexec_b64 s[16:17], s[2:3]
	s_cbranch_execz .LBB249_313
; %bb.308:                              ;   in Loop: Header=BB249_201 Depth=1
	v_cmp_ne_u16_e64 s[2:3], s29, v1
	v_bfrev_b32_e32 v34, 1
	s_and_saveexec_b64 s[18:19], s[2:3]
	s_cbranch_execz .LBB249_312
; %bb.309:                              ;   in Loop: Header=BB249_201 Depth=1
	v_and_b32_e32 v36, 0x7f, v1
	v_cmp_ne_u32_e64 s[2:3], s33, v36
	v_mov_b32_e32 v34, 0x7c010000
	s_and_saveexec_b64 s[24:25], s[2:3]
	s_cbranch_execz .LBB249_311
; %bb.310:                              ;   in Loop: Header=BB249_201 Depth=1
	v_and_b32_e32 v34, 7, v1
	v_ffbh_u32_e32 v37, v34
	v_min_u32_e32 v40, 32, v37
	v_subrev_u32_e32 v37, 28, v40
	v_lshlrev_b64 v[37:38], v37, v[1:2]
	v_lshrrev_b32_e32 v39, 3, v36
	v_sub_u32_e32 v38, 29, v40
	v_cmp_gt_u32_e64 s[2:3], 8, v36
	v_cndmask_b32_e64 v36, v39, v38, s[2:3]
	v_lshlrev_b32_e32 v1, 8, v1
	v_lshl_add_u32 v36, v36, 10, v25
	v_and_b32_e32 v37, 7, v37
	v_and_or_b32 v1, v1, s34, v36
	v_cndmask_b32_e64 v34, v34, v37, s[2:3]
	v_lshlrev_b32_e32 v1, 16, v1
	v_lshl_or_b32 v34, v34, 23, v1
.LBB249_311:                            ;   in Loop: Header=BB249_201 Depth=1
	s_or_b64 exec, exec, s[24:25]
.LBB249_312:                            ;   in Loop: Header=BB249_201 Depth=1
	s_or_b64 exec, exec, s[18:19]
.LBB249_313:                            ;   in Loop: Header=BB249_201 Depth=1
	s_or_b64 exec, exec, s[16:17]
	v_lshrrev_b32_e32 v1, 16, v9
	v_cmp_ne_u16_sdwa s[2:3], v1, v2 src0_sel:BYTE_0 src1_sel:DWORD
	v_mov_b32_e32 v36, 0
	v_mov_b32_e32 v37, 0
	s_and_saveexec_b64 s[16:17], s[2:3]
	s_cbranch_execz .LBB249_319
; %bb.314:                              ;   in Loop: Header=BB249_201 Depth=1
	v_cmp_ne_u16_sdwa s[2:3], v1, s29 src0_sel:BYTE_0 src1_sel:DWORD
	v_mov_b32_e32 v37, 0x8000
	s_and_saveexec_b64 s[18:19], s[2:3]
	s_cbranch_execz .LBB249_318
; %bb.315:                              ;   in Loop: Header=BB249_201 Depth=1
	v_bfe_u32 v38, v9, 16, 7
	v_cmp_ne_u32_e64 s[2:3], s33, v38
	v_mov_b32_e32 v37, 0x7c01
	s_and_saveexec_b64 s[24:25], s[2:3]
	s_cbranch_execz .LBB249_317
; %bb.316:                              ;   in Loop: Header=BB249_201 Depth=1
	v_and_b32_e32 v37, 7, v1
	v_ffbh_u32_e32 v39, v37
	v_min_u32_e32 v42, 32, v39
	v_subrev_u32_e32 v39, 28, v42
	v_lshlrev_b64 v[39:40], v39, v[1:2]
	v_lshrrev_b32_e32 v41, 3, v38
	v_sub_u32_e32 v40, 29, v42
	v_cmp_gt_u32_e64 s[2:3], 8, v38
	v_cndmask_b32_e64 v38, v41, v40, s[2:3]
	v_lshl_add_u32 v38, v38, 10, v25
	v_lshlrev_b32_e32 v1, 8, v1
	v_and_b32_e32 v39, 7, v39
	v_and_b32_e32 v38, 0xfc00, v38
	v_cndmask_b32_e64 v37, v37, v39, s[2:3]
	v_and_or_b32 v1, v1, s34, v38
	v_lshl_or_b32 v37, v37, 7, v1
.LBB249_317:                            ;   in Loop: Header=BB249_201 Depth=1
	s_or_b64 exec, exec, s[24:25]
.LBB249_318:                            ;   in Loop: Header=BB249_201 Depth=1
	s_or_b64 exec, exec, s[18:19]
.LBB249_319:                            ;   in Loop: Header=BB249_201 Depth=1
	s_or_b64 exec, exec, s[16:17]
	v_cmp_lt_u32_e64 s[2:3], s7, v9
	s_and_saveexec_b64 s[16:17], s[2:3]
	s_cbranch_execz .LBB249_325
; %bb.320:                              ;   in Loop: Header=BB249_201 Depth=1
	v_lshrrev_b32_e32 v1, 24, v9
	v_cmp_ne_u32_e64 s[2:3], s29, v1
	v_bfrev_b32_e32 v36, 1
	s_and_saveexec_b64 s[18:19], s[2:3]
	s_cbranch_execz .LBB249_324
; %bb.321:                              ;   in Loop: Header=BB249_201 Depth=1
	v_and_b32_e32 v38, 0x7f, v1
	v_cmp_ne_u32_e64 s[2:3], s33, v38
	v_mov_b32_e32 v36, 0x7c010000
	s_and_saveexec_b64 s[24:25], s[2:3]
	s_cbranch_execz .LBB249_323
; %bb.322:                              ;   in Loop: Header=BB249_201 Depth=1
	v_and_b32_e32 v36, 7, v1
	v_ffbh_u32_e32 v39, v36
	v_min_u32_e32 v42, 32, v39
	v_subrev_u32_e32 v39, 28, v42
	v_lshlrev_b64 v[39:40], v39, v[1:2]
	v_lshrrev_b32_e32 v41, 3, v38
	v_sub_u32_e32 v40, 29, v42
	v_cmp_gt_u32_e64 s[2:3], 8, v38
	v_cndmask_b32_e64 v38, v41, v40, s[2:3]
	v_lshlrev_b32_e32 v1, 8, v1
	v_lshl_add_u32 v38, v38, 10, v25
	v_and_b32_e32 v39, 7, v39
	v_and_or_b32 v1, v1, s34, v38
	v_cndmask_b32_e64 v36, v36, v39, s[2:3]
	v_lshlrev_b32_e32 v1, 16, v1
	v_lshl_or_b32 v36, v36, 23, v1
.LBB249_323:                            ;   in Loop: Header=BB249_201 Depth=1
	s_or_b64 exec, exec, s[24:25]
.LBB249_324:                            ;   in Loop: Header=BB249_201 Depth=1
	s_or_b64 exec, exec, s[18:19]
.LBB249_325:                            ;   in Loop: Header=BB249_201 Depth=1
	s_or_b64 exec, exec, s[16:17]
	v_mov_b32_e32 v1, v10
	v_cmp_ne_u16_sdwa s[2:3], v10, v2 src0_sel:BYTE_0 src1_sel:DWORD
	v_mov_b32_e32 v38, 0
	v_mov_b32_e32 v39, 0
	s_and_saveexec_b64 s[16:17], s[2:3]
	s_cbranch_execz .LBB249_331
; %bb.326:                              ;   in Loop: Header=BB249_201 Depth=1
	v_cmp_ne_u16_sdwa s[2:3], v10, s29 src0_sel:BYTE_0 src1_sel:DWORD
	v_mov_b32_e32 v39, 0x8000
	s_and_saveexec_b64 s[18:19], s[2:3]
	s_cbranch_execz .LBB249_330
; %bb.327:                              ;   in Loop: Header=BB249_201 Depth=1
	v_and_b32_e32 v40, 0x7f, v10
	v_cmp_ne_u32_e64 s[2:3], s33, v40
	v_mov_b32_e32 v39, 0x7c01
	s_and_saveexec_b64 s[24:25], s[2:3]
	s_cbranch_execz .LBB249_329
; %bb.328:                              ;   in Loop: Header=BB249_201 Depth=1
	v_and_b32_e32 v39, 7, v10
	v_ffbh_u32_e32 v41, v39
	v_min_u32_e32 v44, 32, v41
	v_subrev_u32_e32 v41, 28, v44
	v_lshlrev_b64 v[41:42], v41, v[1:2]
	v_lshrrev_b32_e32 v43, 3, v40
	v_sub_u32_e32 v42, 29, v44
	v_cmp_gt_u32_e64 s[2:3], 8, v40
	v_cndmask_b32_e64 v40, v43, v42, s[2:3]
	v_lshl_add_u32 v40, v40, 10, v25
	v_lshlrev_b32_e32 v42, 8, v10
	v_and_b32_e32 v41, 7, v41
	v_and_b32_e32 v40, 0xfc00, v40
	v_cndmask_b32_e64 v39, v39, v41, s[2:3]
	v_and_or_b32 v40, v42, s34, v40
	v_lshl_or_b32 v39, v39, 7, v40
.LBB249_329:                            ;   in Loop: Header=BB249_201 Depth=1
	s_or_b64 exec, exec, s[24:25]
.LBB249_330:                            ;   in Loop: Header=BB249_201 Depth=1
	s_or_b64 exec, exec, s[18:19]
.LBB249_331:                            ;   in Loop: Header=BB249_201 Depth=1
	s_or_b64 exec, exec, s[16:17]
	v_lshrrev_b16_e32 v1, 8, v1
	v_cmp_ne_u16_e64 s[2:3], 0, v1
	v_mov_b32_e32 v40, 0
	s_and_saveexec_b64 s[16:17], s[2:3]
	s_cbranch_execz .LBB249_337
; %bb.332:                              ;   in Loop: Header=BB249_201 Depth=1
	v_cmp_ne_u16_e64 s[2:3], s29, v1
	v_bfrev_b32_e32 v40, 1
	s_and_saveexec_b64 s[18:19], s[2:3]
	s_cbranch_execz .LBB249_336
; %bb.333:                              ;   in Loop: Header=BB249_201 Depth=1
	v_and_b32_e32 v41, 0x7f, v1
	v_cmp_ne_u32_e64 s[2:3], s33, v41
	v_mov_b32_e32 v40, 0x7c010000
	s_and_saveexec_b64 s[24:25], s[2:3]
	s_cbranch_execz .LBB249_335
; %bb.334:                              ;   in Loop: Header=BB249_201 Depth=1
	v_and_b32_e32 v40, 7, v1
	v_ffbh_u32_e32 v42, v40
	v_min_u32_e32 v45, 32, v42
	v_subrev_u32_e32 v42, 28, v45
	v_lshlrev_b64 v[42:43], v42, v[1:2]
	v_lshrrev_b32_e32 v44, 3, v41
	v_sub_u32_e32 v43, 29, v45
	v_cmp_gt_u32_e64 s[2:3], 8, v41
	v_cndmask_b32_e64 v41, v44, v43, s[2:3]
	v_lshlrev_b32_e32 v1, 8, v1
	v_lshl_add_u32 v41, v41, 10, v25
	v_and_b32_e32 v42, 7, v42
	v_and_or_b32 v1, v1, s34, v41
	v_cndmask_b32_e64 v40, v40, v42, s[2:3]
	v_lshlrev_b32_e32 v1, 16, v1
	v_lshl_or_b32 v40, v40, 23, v1
.LBB249_335:                            ;   in Loop: Header=BB249_201 Depth=1
	s_or_b64 exec, exec, s[24:25]
.LBB249_336:                            ;   in Loop: Header=BB249_201 Depth=1
	s_or_b64 exec, exec, s[18:19]
.LBB249_337:                            ;   in Loop: Header=BB249_201 Depth=1
	s_or_b64 exec, exec, s[16:17]
	v_lshrrev_b32_e32 v1, 16, v10
	v_cmp_ne_u16_sdwa s[2:3], v1, v2 src0_sel:BYTE_0 src1_sel:DWORD
	s_and_saveexec_b64 s[16:17], s[2:3]
	s_cbranch_execz .LBB249_343
; %bb.338:                              ;   in Loop: Header=BB249_201 Depth=1
	v_cmp_ne_u16_sdwa s[2:3], v1, s29 src0_sel:BYTE_0 src1_sel:DWORD
	v_mov_b32_e32 v38, 0x8000
	s_and_saveexec_b64 s[18:19], s[2:3]
	s_cbranch_execz .LBB249_342
; %bb.339:                              ;   in Loop: Header=BB249_201 Depth=1
	v_bfe_u32 v41, v10, 16, 7
	v_cmp_ne_u32_e64 s[2:3], s33, v41
	v_mov_b32_e32 v38, 0x7c01
	s_and_saveexec_b64 s[24:25], s[2:3]
	s_cbranch_execz .LBB249_341
; %bb.340:                              ;   in Loop: Header=BB249_201 Depth=1
	v_and_b32_e32 v38, 7, v1
	v_ffbh_u32_e32 v42, v38
	v_min_u32_e32 v45, 32, v42
	v_subrev_u32_e32 v42, 28, v45
	v_lshlrev_b64 v[42:43], v42, v[1:2]
	v_lshrrev_b32_e32 v44, 3, v41
	v_sub_u32_e32 v43, 29, v45
	v_cmp_gt_u32_e64 s[2:3], 8, v41
	v_cndmask_b32_e64 v41, v44, v43, s[2:3]
	v_lshl_add_u32 v41, v41, 10, v25
	v_lshlrev_b32_e32 v1, 8, v1
	v_and_b32_e32 v42, 7, v42
	v_and_b32_e32 v41, 0xfc00, v41
	v_cndmask_b32_e64 v38, v38, v42, s[2:3]
	v_and_or_b32 v1, v1, s34, v41
	v_lshl_or_b32 v38, v38, 7, v1
.LBB249_341:                            ;   in Loop: Header=BB249_201 Depth=1
	s_or_b64 exec, exec, s[24:25]
.LBB249_342:                            ;   in Loop: Header=BB249_201 Depth=1
	s_or_b64 exec, exec, s[18:19]
.LBB249_343:                            ;   in Loop: Header=BB249_201 Depth=1
	s_or_b64 exec, exec, s[16:17]
	v_cmp_lt_u64_e64 s[2:3], s[6:7], v[9:10]
	v_mov_b32_e32 v41, 0
	s_and_saveexec_b64 s[16:17], s[2:3]
	s_cbranch_execz .LBB249_349
; %bb.344:                              ;   in Loop: Header=BB249_201 Depth=1
	v_lshrrev_b32_e32 v1, 24, v10
	v_cmp_ne_u32_e64 s[2:3], s29, v1
	v_bfrev_b32_e32 v41, 1
	s_and_saveexec_b64 s[18:19], s[2:3]
	s_cbranch_execz .LBB249_348
; %bb.345:                              ;   in Loop: Header=BB249_201 Depth=1
	v_and_b32_e32 v9, 0x7f, v1
	v_cmp_ne_u32_e64 s[2:3], s33, v9
	v_mov_b32_e32 v41, 0x7c010000
	s_and_saveexec_b64 s[24:25], s[2:3]
	s_cbranch_execz .LBB249_347
; %bb.346:                              ;   in Loop: Header=BB249_201 Depth=1
	v_and_b32_e32 v10, 7, v1
	v_ffbh_u32_e32 v41, v10
	v_min_u32_e32 v44, 32, v41
	v_subrev_u32_e32 v41, 28, v44
	v_lshlrev_b64 v[41:42], v41, v[1:2]
	v_lshrrev_b32_e32 v43, 3, v9
	v_sub_u32_e32 v42, 29, v44
	v_cmp_gt_u32_e64 s[2:3], 8, v9
	v_cndmask_b32_e64 v9, v43, v42, s[2:3]
	v_lshlrev_b32_e32 v1, 8, v1
	v_lshl_add_u32 v9, v9, 10, v25
	v_and_b32_e32 v41, 7, v41
	v_and_or_b32 v1, v1, s34, v9
	v_cndmask_b32_e64 v10, v10, v41, s[2:3]
	v_lshlrev_b32_e32 v1, 16, v1
	v_lshl_or_b32 v41, v10, 23, v1
.LBB249_347:                            ;   in Loop: Header=BB249_201 Depth=1
	s_or_b64 exec, exec, s[24:25]
.LBB249_348:                            ;   in Loop: Header=BB249_201 Depth=1
	s_or_b64 exec, exec, s[18:19]
.LBB249_349:                            ;   in Loop: Header=BB249_201 Depth=1
	s_or_b64 exec, exec, s[16:17]
	s_waitcnt vmcnt(0)
	v_fma_mixlo_f16 v9, v33, v36, 0 op_sel:[0,1,0] op_sel_hi:[0,1,0]
	v_or_b32_e32 v1, v36, v37
	v_lshlrev_b32_e32 v10, 16, v9
	v_or_b32_e32 v9, v34, v35
	v_fma_mixlo_f16 v34, v33, v34, 0 op_sel:[0,1,0] op_sel_hi:[0,1,0]
	v_or_b32_e32 v35, v40, v39
	v_or_b32_e32 v37, v41, v38
	v_fma_mixlo_f16 v1, v33, v1, 0 op_sel_hi:[0,1,0]
	v_lshlrev_b32_e32 v42, 16, v34
	v_fma_mixlo_f16 v9, v33, v9, 0 op_sel_hi:[0,1,0]
	v_fma_mixlo_f16 v34, v33, v40, 0 op_sel:[0,1,0] op_sel_hi:[0,1,0]
	v_fma_mixlo_f16 v35, v33, v35, 0 op_sel_hi:[0,1,0]
	v_fma_mixlo_f16 v37, v33, v37, 0 op_sel_hi:[0,1,0]
	v_fma_mixlo_f16 v33, v33, v41, 0 op_sel:[0,1,0] op_sel_hi:[0,1,0]
	v_and_b32_e32 v36, 0xffff, v1
	v_and_b32_e32 v43, 0xffff, v9
	v_lshlrev_b32_e32 v34, 16, v34
	v_and_b32_e32 v39, 0xffff, v35
	v_lshlrev_b32_e32 v33, 16, v33
	v_and_b32_e32 v37, 0xffff, v37
	v_or_b32_e32 v1, v10, v36
	v_or_b32_e32 v9, v42, v43
	;; [unrolled: 1-line block ×4, first 2 shown]
	s_and_saveexec_b64 s[16:17], s[0:1]
	s_cbranch_execz .LBB249_351
; %bb.350:                              ;   in Loop: Header=BB249_201 Depth=1
	v_cmp_gt_i32_e64 s[2:3], s30, v26
	v_add_u32_e32 v9, -6, v23
	v_cndmask_b32_e64 v1, 0, v43, s[2:3]
	v_cmp_gt_i32_e64 s[2:3], s30, v9
	v_cndmask_b32_e64 v9, 0, v42, s[2:3]
	v_or_b32_e32 v9, v9, v1
	v_add_u32_e32 v1, -5, v23
	v_cmp_gt_i32_e64 s[2:3], s30, v1
	v_add_u32_e32 v35, -4, v23
	v_cndmask_b32_e64 v1, 0, v36, s[2:3]
	v_cmp_gt_i32_e64 s[2:3], s30, v35
	v_cndmask_b32_e64 v10, 0, v10, s[2:3]
	v_or_b32_e32 v1, v10, v1
	v_add_u32_e32 v10, -3, v23
	;; [unrolled: 7-line block ×3, first 2 shown]
	v_cmp_gt_i32_e64 s[2:3], s30, v10
	v_cndmask_b32_e64 v10, 0, v37, s[2:3]
	v_cmp_gt_i32_e64 s[2:3], s30, v23
	v_cndmask_b32_e64 v33, 0, v33, s[2:3]
	v_or_b32_e32 v38, v33, v10
.LBB249_351:                            ;   in Loop: Header=BB249_201 Depth=1
	s_or_b64 exec, exec, s[16:17]
	;;#ASMSTART
	v_pk_mul_f16 v9, v32, v9;

	;;#ASMEND
	;;#ASMSTART
	v_pk_mul_f16 v1, v31, v1;

	;;#ASMEND
	;; [unrolled: 4-line block ×4, first 2 shown]
	;;#ASMSTART
	v_pk_add_f16 v1, v9, v1;

	;;#ASMEND
	;;#ASMSTART
	v_pk_add_f16 v1, v1, v10;

	;;#ASMEND
	;; [unrolled: 4-line block ×3, first 2 shown]
	v_lshrrev_b32_e32 v10, 16, v1
	v_and_b32_e32 v1, 0xffff, v1
	;;#ASMSTART
	v_cvt_f32_f16 v9, v1;
	;;#ASMEND
	;;#ASMSTART
	v_cvt_f32_f16 v10, v10;
	;;#ASMEND
	s_and_saveexec_b64 s[16:17], vcc
	s_cbranch_execz .LBB249_200
; %bb.352:                              ;   in Loop: Header=BB249_201 Depth=1
	v_add_co_u32_e64 v7, s[2:3], v7, v22
	v_addc_co_u32_e64 v8, s[2:3], 0, v8, s[2:3]
	global_load_dwordx2 v[7:8], v[7:8], off
	v_mov_b32_e32 v34, 0
	global_load_dword v33, v34, s[14:15]
	v_mov_b32_e32 v35, 0
	s_waitcnt vmcnt(1)
	v_cmp_ne_u16_sdwa s[2:3], v7, v2 src0_sel:BYTE_0 src1_sel:DWORD
	s_and_saveexec_b64 s[18:19], s[2:3]
	s_cbranch_execz .LBB249_358
; %bb.353:                              ;   in Loop: Header=BB249_201 Depth=1
	v_cmp_ne_u16_sdwa s[2:3], v7, s29 src0_sel:BYTE_0 src1_sel:DWORD
	v_mov_b32_e32 v35, 0x8000
	s_and_saveexec_b64 s[24:25], s[2:3]
	s_cbranch_execz .LBB249_357
; %bb.354:                              ;   in Loop: Header=BB249_201 Depth=1
	v_and_b32_e32 v1, 0x7f, v7
	v_cmp_ne_u32_e64 s[2:3], s33, v1
	v_mov_b32_e32 v35, 0x7c01
	s_and_saveexec_b64 s[26:27], s[2:3]
	s_cbranch_execz .LBB249_356
; %bb.355:                              ;   in Loop: Header=BB249_201 Depth=1
	v_and_b32_e32 v37, 7, v7
	v_ffbh_u32_e32 v35, v37
	v_min_u32_e32 v39, 32, v35
	v_subrev_u32_e32 v35, 28, v39
	v_lshlrev_b64 v[35:36], v35, v[7:8]
	v_lshrrev_b32_e32 v38, 3, v1
	v_sub_u32_e32 v36, 29, v39
	v_cmp_gt_u32_e64 s[2:3], 8, v1
	v_cndmask_b32_e64 v1, v38, v36, s[2:3]
	v_lshl_add_u32 v1, v1, 10, v25
	v_lshlrev_b32_e32 v36, 8, v7
	v_and_b32_e32 v35, 7, v35
	v_and_b32_e32 v1, 0xfc00, v1
	v_cndmask_b32_e64 v35, v37, v35, s[2:3]
	v_and_or_b32 v1, v36, s34, v1
	v_lshl_or_b32 v35, v35, 7, v1
.LBB249_356:                            ;   in Loop: Header=BB249_201 Depth=1
	s_or_b64 exec, exec, s[26:27]
.LBB249_357:                            ;   in Loop: Header=BB249_201 Depth=1
	s_or_b64 exec, exec, s[24:25]
.LBB249_358:                            ;   in Loop: Header=BB249_201 Depth=1
	s_or_b64 exec, exec, s[18:19]
	v_lshrrev_b16_e32 v1, 8, v7
	v_cmp_ne_u16_e64 s[2:3], 0, v1
	s_and_saveexec_b64 s[18:19], s[2:3]
	s_cbranch_execz .LBB249_364
; %bb.359:                              ;   in Loop: Header=BB249_201 Depth=1
	v_cmp_ne_u16_e64 s[2:3], s29, v1
	v_bfrev_b32_e32 v34, 1
	s_and_saveexec_b64 s[24:25], s[2:3]
	s_cbranch_execz .LBB249_363
; %bb.360:                              ;   in Loop: Header=BB249_201 Depth=1
	v_and_b32_e32 v36, 0x7f, v1
	v_cmp_ne_u32_e64 s[2:3], s33, v36
	v_mov_b32_e32 v34, 0x7c010000
	s_and_saveexec_b64 s[26:27], s[2:3]
	s_cbranch_execz .LBB249_362
; %bb.361:                              ;   in Loop: Header=BB249_201 Depth=1
	v_and_b32_e32 v34, 7, v1
	v_ffbh_u32_e32 v37, v34
	v_min_u32_e32 v40, 32, v37
	v_subrev_u32_e32 v37, 28, v40
	v_lshlrev_b64 v[37:38], v37, v[1:2]
	v_lshrrev_b32_e32 v39, 3, v36
	v_sub_u32_e32 v38, 29, v40
	v_cmp_gt_u32_e64 s[2:3], 8, v36
	v_cndmask_b32_e64 v36, v39, v38, s[2:3]
	v_lshlrev_b32_e32 v1, 8, v1
	v_lshl_add_u32 v36, v36, 10, v25
	v_and_b32_e32 v37, 7, v37
	v_and_or_b32 v1, v1, s34, v36
	v_cndmask_b32_e64 v34, v34, v37, s[2:3]
	v_lshlrev_b32_e32 v1, 16, v1
	v_lshl_or_b32 v34, v34, 23, v1
.LBB249_362:                            ;   in Loop: Header=BB249_201 Depth=1
	s_or_b64 exec, exec, s[26:27]
.LBB249_363:                            ;   in Loop: Header=BB249_201 Depth=1
	s_or_b64 exec, exec, s[24:25]
.LBB249_364:                            ;   in Loop: Header=BB249_201 Depth=1
	s_or_b64 exec, exec, s[18:19]
	v_lshrrev_b32_e32 v1, 16, v7
	v_cmp_ne_u16_sdwa s[2:3], v1, v2 src0_sel:BYTE_0 src1_sel:DWORD
	v_mov_b32_e32 v36, 0
	v_mov_b32_e32 v37, 0
	s_and_saveexec_b64 s[18:19], s[2:3]
	s_cbranch_execz .LBB249_370
; %bb.365:                              ;   in Loop: Header=BB249_201 Depth=1
	v_cmp_ne_u16_sdwa s[2:3], v1, s29 src0_sel:BYTE_0 src1_sel:DWORD
	v_mov_b32_e32 v37, 0x8000
	s_and_saveexec_b64 s[24:25], s[2:3]
	s_cbranch_execz .LBB249_369
; %bb.366:                              ;   in Loop: Header=BB249_201 Depth=1
	v_bfe_u32 v38, v7, 16, 7
	v_cmp_ne_u32_e64 s[2:3], s33, v38
	v_mov_b32_e32 v37, 0x7c01
	s_and_saveexec_b64 s[26:27], s[2:3]
	s_cbranch_execz .LBB249_368
; %bb.367:                              ;   in Loop: Header=BB249_201 Depth=1
	v_and_b32_e32 v37, 7, v1
	v_ffbh_u32_e32 v39, v37
	v_min_u32_e32 v42, 32, v39
	v_subrev_u32_e32 v39, 28, v42
	v_lshlrev_b64 v[39:40], v39, v[1:2]
	v_lshrrev_b32_e32 v41, 3, v38
	v_sub_u32_e32 v40, 29, v42
	v_cmp_gt_u32_e64 s[2:3], 8, v38
	v_cndmask_b32_e64 v38, v41, v40, s[2:3]
	v_lshl_add_u32 v38, v38, 10, v25
	v_lshlrev_b32_e32 v1, 8, v1
	v_and_b32_e32 v39, 7, v39
	v_and_b32_e32 v38, 0xfc00, v38
	v_cndmask_b32_e64 v37, v37, v39, s[2:3]
	v_and_or_b32 v1, v1, s34, v38
	v_lshl_or_b32 v37, v37, 7, v1
.LBB249_368:                            ;   in Loop: Header=BB249_201 Depth=1
	s_or_b64 exec, exec, s[26:27]
.LBB249_369:                            ;   in Loop: Header=BB249_201 Depth=1
	s_or_b64 exec, exec, s[24:25]
.LBB249_370:                            ;   in Loop: Header=BB249_201 Depth=1
	s_or_b64 exec, exec, s[18:19]
	v_cmp_lt_u32_e64 s[2:3], s7, v7
	s_and_saveexec_b64 s[18:19], s[2:3]
	s_cbranch_execz .LBB249_376
; %bb.371:                              ;   in Loop: Header=BB249_201 Depth=1
	v_lshrrev_b32_e32 v1, 24, v7
	v_cmp_ne_u32_e64 s[2:3], s29, v1
	v_bfrev_b32_e32 v36, 1
	s_and_saveexec_b64 s[24:25], s[2:3]
	s_cbranch_execz .LBB249_375
; %bb.372:                              ;   in Loop: Header=BB249_201 Depth=1
	v_and_b32_e32 v38, 0x7f, v1
	v_cmp_ne_u32_e64 s[2:3], s33, v38
	v_mov_b32_e32 v36, 0x7c010000
	s_and_saveexec_b64 s[26:27], s[2:3]
	s_cbranch_execz .LBB249_374
; %bb.373:                              ;   in Loop: Header=BB249_201 Depth=1
	v_and_b32_e32 v36, 7, v1
	v_ffbh_u32_e32 v39, v36
	v_min_u32_e32 v42, 32, v39
	v_subrev_u32_e32 v39, 28, v42
	v_lshlrev_b64 v[39:40], v39, v[1:2]
	v_lshrrev_b32_e32 v41, 3, v38
	v_sub_u32_e32 v40, 29, v42
	v_cmp_gt_u32_e64 s[2:3], 8, v38
	v_cndmask_b32_e64 v38, v41, v40, s[2:3]
	v_lshlrev_b32_e32 v1, 8, v1
	v_lshl_add_u32 v38, v38, 10, v25
	v_and_b32_e32 v39, 7, v39
	v_and_or_b32 v1, v1, s34, v38
	v_cndmask_b32_e64 v36, v36, v39, s[2:3]
	v_lshlrev_b32_e32 v1, 16, v1
	v_lshl_or_b32 v36, v36, 23, v1
.LBB249_374:                            ;   in Loop: Header=BB249_201 Depth=1
	s_or_b64 exec, exec, s[26:27]
.LBB249_375:                            ;   in Loop: Header=BB249_201 Depth=1
	s_or_b64 exec, exec, s[24:25]
.LBB249_376:                            ;   in Loop: Header=BB249_201 Depth=1
	s_or_b64 exec, exec, s[18:19]
	v_mov_b32_e32 v1, v8
	v_cmp_ne_u16_sdwa s[2:3], v8, v2 src0_sel:BYTE_0 src1_sel:DWORD
	v_mov_b32_e32 v38, 0
	v_mov_b32_e32 v39, 0
	s_and_saveexec_b64 s[18:19], s[2:3]
	s_cbranch_execz .LBB249_382
; %bb.377:                              ;   in Loop: Header=BB249_201 Depth=1
	v_cmp_ne_u16_sdwa s[2:3], v8, s29 src0_sel:BYTE_0 src1_sel:DWORD
	v_mov_b32_e32 v39, 0x8000
	s_and_saveexec_b64 s[24:25], s[2:3]
	s_cbranch_execz .LBB249_381
; %bb.378:                              ;   in Loop: Header=BB249_201 Depth=1
	v_and_b32_e32 v40, 0x7f, v8
	v_cmp_ne_u32_e64 s[2:3], s33, v40
	v_mov_b32_e32 v39, 0x7c01
	s_and_saveexec_b64 s[26:27], s[2:3]
	s_cbranch_execz .LBB249_380
; %bb.379:                              ;   in Loop: Header=BB249_201 Depth=1
	v_and_b32_e32 v39, 7, v8
	v_ffbh_u32_e32 v41, v39
	v_min_u32_e32 v44, 32, v41
	v_subrev_u32_e32 v41, 28, v44
	v_lshlrev_b64 v[41:42], v41, v[1:2]
	v_lshrrev_b32_e32 v43, 3, v40
	v_sub_u32_e32 v42, 29, v44
	v_cmp_gt_u32_e64 s[2:3], 8, v40
	v_cndmask_b32_e64 v40, v43, v42, s[2:3]
	v_lshl_add_u32 v40, v40, 10, v25
	v_lshlrev_b32_e32 v42, 8, v8
	v_and_b32_e32 v41, 7, v41
	v_and_b32_e32 v40, 0xfc00, v40
	v_cndmask_b32_e64 v39, v39, v41, s[2:3]
	v_and_or_b32 v40, v42, s34, v40
	v_lshl_or_b32 v39, v39, 7, v40
.LBB249_380:                            ;   in Loop: Header=BB249_201 Depth=1
	s_or_b64 exec, exec, s[26:27]
.LBB249_381:                            ;   in Loop: Header=BB249_201 Depth=1
	s_or_b64 exec, exec, s[24:25]
.LBB249_382:                            ;   in Loop: Header=BB249_201 Depth=1
	s_or_b64 exec, exec, s[18:19]
	v_lshrrev_b16_e32 v1, 8, v1
	v_cmp_ne_u16_e64 s[2:3], 0, v1
	v_mov_b32_e32 v40, 0
	s_and_saveexec_b64 s[18:19], s[2:3]
	s_cbranch_execz .LBB249_388
; %bb.383:                              ;   in Loop: Header=BB249_201 Depth=1
	v_cmp_ne_u16_e64 s[2:3], s29, v1
	v_bfrev_b32_e32 v40, 1
	s_and_saveexec_b64 s[24:25], s[2:3]
	s_cbranch_execz .LBB249_387
; %bb.384:                              ;   in Loop: Header=BB249_201 Depth=1
	v_and_b32_e32 v41, 0x7f, v1
	v_cmp_ne_u32_e64 s[2:3], s33, v41
	v_mov_b32_e32 v40, 0x7c010000
	s_and_saveexec_b64 s[26:27], s[2:3]
	s_cbranch_execz .LBB249_386
; %bb.385:                              ;   in Loop: Header=BB249_201 Depth=1
	v_and_b32_e32 v40, 7, v1
	v_ffbh_u32_e32 v42, v40
	v_min_u32_e32 v45, 32, v42
	v_subrev_u32_e32 v42, 28, v45
	v_lshlrev_b64 v[42:43], v42, v[1:2]
	v_lshrrev_b32_e32 v44, 3, v41
	v_sub_u32_e32 v43, 29, v45
	v_cmp_gt_u32_e64 s[2:3], 8, v41
	v_cndmask_b32_e64 v41, v44, v43, s[2:3]
	v_lshlrev_b32_e32 v1, 8, v1
	v_lshl_add_u32 v41, v41, 10, v25
	v_and_b32_e32 v42, 7, v42
	v_and_or_b32 v1, v1, s34, v41
	v_cndmask_b32_e64 v40, v40, v42, s[2:3]
	v_lshlrev_b32_e32 v1, 16, v1
	v_lshl_or_b32 v40, v40, 23, v1
.LBB249_386:                            ;   in Loop: Header=BB249_201 Depth=1
	s_or_b64 exec, exec, s[26:27]
.LBB249_387:                            ;   in Loop: Header=BB249_201 Depth=1
	s_or_b64 exec, exec, s[24:25]
.LBB249_388:                            ;   in Loop: Header=BB249_201 Depth=1
	s_or_b64 exec, exec, s[18:19]
	v_lshrrev_b32_e32 v1, 16, v8
	v_cmp_ne_u16_sdwa s[2:3], v1, v2 src0_sel:BYTE_0 src1_sel:DWORD
	s_and_saveexec_b64 s[18:19], s[2:3]
	s_cbranch_execz .LBB249_394
; %bb.389:                              ;   in Loop: Header=BB249_201 Depth=1
	v_cmp_ne_u16_sdwa s[2:3], v1, s29 src0_sel:BYTE_0 src1_sel:DWORD
	v_mov_b32_e32 v38, 0x8000
	s_and_saveexec_b64 s[24:25], s[2:3]
	s_cbranch_execz .LBB249_393
; %bb.390:                              ;   in Loop: Header=BB249_201 Depth=1
	v_bfe_u32 v41, v8, 16, 7
	v_cmp_ne_u32_e64 s[2:3], s33, v41
	v_mov_b32_e32 v38, 0x7c01
	s_and_saveexec_b64 s[26:27], s[2:3]
	s_cbranch_execz .LBB249_392
; %bb.391:                              ;   in Loop: Header=BB249_201 Depth=1
	v_and_b32_e32 v38, 7, v1
	v_ffbh_u32_e32 v42, v38
	v_min_u32_e32 v45, 32, v42
	v_subrev_u32_e32 v42, 28, v45
	v_lshlrev_b64 v[42:43], v42, v[1:2]
	v_lshrrev_b32_e32 v44, 3, v41
	v_sub_u32_e32 v43, 29, v45
	v_cmp_gt_u32_e64 s[2:3], 8, v41
	v_cndmask_b32_e64 v41, v44, v43, s[2:3]
	v_lshl_add_u32 v41, v41, 10, v25
	v_lshlrev_b32_e32 v1, 8, v1
	v_and_b32_e32 v42, 7, v42
	v_and_b32_e32 v41, 0xfc00, v41
	v_cndmask_b32_e64 v38, v38, v42, s[2:3]
	v_and_or_b32 v1, v1, s34, v41
	v_lshl_or_b32 v38, v38, 7, v1
.LBB249_392:                            ;   in Loop: Header=BB249_201 Depth=1
	s_or_b64 exec, exec, s[26:27]
.LBB249_393:                            ;   in Loop: Header=BB249_201 Depth=1
	s_or_b64 exec, exec, s[24:25]
.LBB249_394:                            ;   in Loop: Header=BB249_201 Depth=1
	s_or_b64 exec, exec, s[18:19]
	v_cmp_lt_u64_e64 s[2:3], s[6:7], v[7:8]
	v_mov_b32_e32 v41, 0
	s_and_saveexec_b64 s[18:19], s[2:3]
	s_cbranch_execz .LBB249_400
; %bb.395:                              ;   in Loop: Header=BB249_201 Depth=1
	v_lshrrev_b32_e32 v1, 24, v8
	v_cmp_ne_u32_e64 s[2:3], s29, v1
	v_bfrev_b32_e32 v41, 1
	s_and_saveexec_b64 s[24:25], s[2:3]
	s_cbranch_execz .LBB249_399
; %bb.396:                              ;   in Loop: Header=BB249_201 Depth=1
	v_and_b32_e32 v7, 0x7f, v1
	v_cmp_ne_u32_e64 s[2:3], s33, v7
	v_mov_b32_e32 v41, 0x7c010000
	s_and_saveexec_b64 s[26:27], s[2:3]
	s_cbranch_execz .LBB249_398
; %bb.397:                              ;   in Loop: Header=BB249_201 Depth=1
	v_and_b32_e32 v8, 7, v1
	v_ffbh_u32_e32 v41, v8
	v_min_u32_e32 v44, 32, v41
	v_subrev_u32_e32 v41, 28, v44
	v_lshlrev_b64 v[41:42], v41, v[1:2]
	v_lshrrev_b32_e32 v43, 3, v7
	v_sub_u32_e32 v42, 29, v44
	v_cmp_gt_u32_e64 s[2:3], 8, v7
	v_cndmask_b32_e64 v7, v43, v42, s[2:3]
	v_lshlrev_b32_e32 v1, 8, v1
	v_lshl_add_u32 v7, v7, 10, v25
	v_and_b32_e32 v41, 7, v41
	v_and_or_b32 v1, v1, s34, v7
	v_cndmask_b32_e64 v8, v8, v41, s[2:3]
	v_lshlrev_b32_e32 v1, 16, v1
	v_lshl_or_b32 v41, v8, 23, v1
.LBB249_398:                            ;   in Loop: Header=BB249_201 Depth=1
	s_or_b64 exec, exec, s[26:27]
.LBB249_399:                            ;   in Loop: Header=BB249_201 Depth=1
	s_or_b64 exec, exec, s[24:25]
.LBB249_400:                            ;   in Loop: Header=BB249_201 Depth=1
	s_or_b64 exec, exec, s[18:19]
	s_waitcnt vmcnt(0)
	v_fma_mixlo_f16 v7, v33, v36, 0 op_sel:[0,1,0] op_sel_hi:[0,1,0]
	v_lshlrev_b32_e32 v8, 16, v7
	v_or_b32_e32 v7, v34, v35
	v_fma_mixlo_f16 v34, v33, v34, 0 op_sel:[0,1,0] op_sel_hi:[0,1,0]
	v_or_b32_e32 v1, v36, v37
	v_lshlrev_b32_e32 v42, 16, v34
	v_or_b32_e32 v34, v40, v39
	v_or_b32_e32 v37, v41, v38
	v_fma_mixlo_f16 v1, v33, v1, 0 op_sel_hi:[0,1,0]
	v_fma_mixlo_f16 v7, v33, v7, 0 op_sel_hi:[0,1,0]
	v_fma_mixlo_f16 v35, v33, v40, 0 op_sel:[0,1,0] op_sel_hi:[0,1,0]
	v_fma_mixlo_f16 v34, v33, v34, 0 op_sel_hi:[0,1,0]
	v_fma_mixlo_f16 v37, v33, v37, 0 op_sel_hi:[0,1,0]
	v_fma_mixlo_f16 v33, v33, v41, 0 op_sel:[0,1,0] op_sel_hi:[0,1,0]
	v_and_b32_e32 v36, 0xffff, v1
	v_and_b32_e32 v43, 0xffff, v7
	v_lshlrev_b32_e32 v35, 16, v35
	v_and_b32_e32 v39, 0xffff, v34
	v_lshlrev_b32_e32 v33, 16, v33
	v_and_b32_e32 v37, 0xffff, v37
	v_or_b32_e32 v1, v8, v36
	v_or_b32_e32 v7, v42, v43
	;; [unrolled: 1-line block ×4, first 2 shown]
	s_and_saveexec_b64 s[2:3], s[0:1]
	s_cbranch_execz .LBB249_199
; %bb.401:                              ;   in Loop: Header=BB249_201 Depth=1
	v_cmp_gt_i32_e64 s[0:1], s30, v26
	v_add_u32_e32 v7, -6, v23
	v_cndmask_b32_e64 v1, 0, v43, s[0:1]
	v_cmp_gt_i32_e64 s[0:1], s30, v7
	v_cndmask_b32_e64 v7, 0, v42, s[0:1]
	v_or_b32_e32 v7, v7, v1
	v_add_u32_e32 v1, -5, v23
	v_cmp_gt_i32_e64 s[0:1], s30, v1
	v_add_u32_e32 v26, -4, v23
	v_cndmask_b32_e64 v1, 0, v36, s[0:1]
	v_cmp_gt_i32_e64 s[0:1], s30, v26
	v_cndmask_b32_e64 v8, 0, v8, s[0:1]
	v_or_b32_e32 v1, v8, v1
	v_add_u32_e32 v8, -3, v23
	v_cmp_gt_i32_e64 s[0:1], s30, v8
	v_add_u32_e32 v26, -2, v23
	v_cndmask_b32_e64 v8, 0, v39, s[0:1]
	v_cmp_gt_i32_e64 s[0:1], s30, v26
	v_cndmask_b32_e64 v26, 0, v35, s[0:1]
	v_or_b32_e32 v34, v26, v8
	v_add_u32_e32 v8, -1, v23
	v_cmp_gt_i32_e64 s[0:1], s30, v8
	v_cndmask_b32_e64 v8, 0, v37, s[0:1]
	v_cmp_gt_i32_e64 s[0:1], s30, v23
	v_cndmask_b32_e64 v26, 0, v33, s[0:1]
	v_or_b32_e32 v38, v26, v8
	s_branch .LBB249_199
.LBB249_402:
	s_or_b64 exec, exec, s[12:13]
.LBB249_403:
	s_or_b64 exec, exec, s[4:5]
	ds_bpermute_b32 v2, v14, v20
	ds_bpermute_b32 v5, v14, v19
	ds_bpermute_b32 v1, v14, v18
	ds_bpermute_b32 v6, v14, v21
	v_cmp_eq_u32_e32 vcc, 0, v16
	s_waitcnt lgkmcnt(3)
	v_add_f32_e32 v3, v20, v2
	s_waitcnt lgkmcnt(2)
	v_add_f32_e32 v2, v19, v5
	v_and_b32_e32 v5, 0x3c0, v0
	s_waitcnt lgkmcnt(1)
	v_add_f32_e32 v4, v18, v1
	s_waitcnt lgkmcnt(0)
	v_add_f32_e32 v1, v21, v6
	v_cmp_eq_u32_e64 s[0:1], 64, v5
	s_barrier
	s_and_saveexec_b64 s[2:3], s[0:1]
	s_cbranch_execz .LBB249_408
; %bb.404:
	s_and_saveexec_b64 s[0:1], vcc
	s_cbranch_execz .LBB249_406
; %bb.405:
	v_mov_b32_e32 v5, 0xf0
	v_lshl_add_u32 v5, v15, 2, v5
	ds_write2_b32 v5, v4, v3 offset1:32
	ds_write_b32 v5, v2 offset:256
.LBB249_406:
	s_or_b64 exec, exec, s[0:1]
	v_or_b32_e32 v5, 0x60, v15
	s_movk_i32 s0, 0x70
	v_cmp_gt_u32_e64 s[0:1], s0, v5
	s_and_b64 s[0:1], vcc, s[0:1]
	s_and_b64 exec, exec, s[0:1]
; %bb.407:
	v_mov_b32_e32 v5, 0xf0
	v_lshl_add_u32 v5, v15, 2, v5
	ds_write_b32 v5, v1 offset:384
.LBB249_408:
	s_or_b64 exec, exec, s[2:3]
	v_cmp_gt_u32_e64 s[0:1], 64, v0
	v_lshrrev_b32_e32 v0, 1, v0
	s_waitcnt lgkmcnt(0)
	s_barrier
	s_and_saveexec_b64 s[4:5], s[0:1]
	s_cbranch_execz .LBB249_418
; %bb.409:
	s_and_saveexec_b64 s[2:3], vcc
	s_cbranch_execz .LBB249_411
; %bb.410:
	v_mov_b32_e32 v5, 0xf0
	v_lshl_add_u32 v5, v0, 2, v5
	ds_read_b32 v5, v5
	s_waitcnt lgkmcnt(0)
	v_add_f32_e32 v4, v4, v5
.LBB249_411:
	s_or_b64 exec, exec, s[2:3]
	v_or_b32_e32 v5, 32, v0
	s_movk_i32 s6, 0x70
	v_cmp_gt_u32_e64 s[2:3], s6, v5
	s_and_b64 s[12:13], vcc, s[2:3]
	s_and_saveexec_b64 s[2:3], s[12:13]
	s_cbranch_execz .LBB249_413
; %bb.412:
	v_mov_b32_e32 v5, 0xf0
	v_lshl_add_u32 v5, v0, 2, v5
	ds_read_b32 v5, v5 offset:128
	s_waitcnt lgkmcnt(0)
	v_add_f32_e32 v3, v3, v5
.LBB249_413:
	s_or_b64 exec, exec, s[2:3]
	v_or_b32_e32 v5, 64, v0
	v_cmp_gt_u32_e64 s[2:3], s6, v5
	s_and_b64 s[6:7], vcc, s[2:3]
	s_and_saveexec_b64 s[2:3], s[6:7]
	s_cbranch_execz .LBB249_415
; %bb.414:
	v_mov_b32_e32 v5, 0xf0
	v_lshl_add_u32 v5, v0, 2, v5
	ds_read_b32 v5, v5 offset:256
	s_waitcnt lgkmcnt(0)
	v_add_f32_e32 v2, v2, v5
.LBB249_415:
	s_or_b64 exec, exec, s[2:3]
	v_or_b32_e32 v5, 0x60, v0
	s_movk_i32 s2, 0x70
	v_cmp_gt_u32_e64 s[2:3], s2, v5
	s_and_b64 s[6:7], vcc, s[2:3]
	s_and_saveexec_b64 s[2:3], s[6:7]
	s_cbranch_execz .LBB249_417
; %bb.416:
	v_mov_b32_e32 v5, 0xf0
	v_lshl_add_u32 v5, v0, 2, v5
	ds_read_b32 v5, v5 offset:384
	s_waitcnt lgkmcnt(0)
	v_add_f32_e32 v1, v1, v5
.LBB249_417:
	s_or_b64 exec, exec, s[2:3]
.LBB249_418:
	s_or_b64 exec, exec, s[4:5]
	s_barrier
	s_and_saveexec_b64 s[2:3], s[0:1]
	s_cbranch_execz .LBB249_427
; %bb.419:
	s_mul_i32 s0, s10, s11
	s_mul_i32 s0, s0, s9
	s_mulk_i32 s0, 0x70
	s_ashr_i32 s1, s0, 31
	s_lshl_b64 s[0:1], s[0:1], 1
	s_add_u32 s2, s22, s0
	s_mul_i32 s0, s11, s20
	s_addc_u32 s3, s23, s1
	s_ashr_i32 s1, s0, 31
	s_lshl_b64 s[0:1], s[0:1], 1
	s_add_u32 s2, s2, s0
	s_mul_i32 s0, s8, 0x70
	s_addc_u32 s3, s3, s1
	s_ashr_i32 s1, s0, 31
	s_lshl_b64 s[0:1], s[0:1], 1
	s_add_u32 s2, s2, s0
	s_movk_i32 s4, 0x70
	s_addc_u32 s3, s3, s1
	v_lshlrev_b32_e32 v5, 1, v0
	s_and_saveexec_b64 s[0:1], vcc
	s_cbranch_execz .LBB249_421
; %bb.420:
	;;#ASMSTART
	v_cvt_f16_f32 v4, v4;

	;;#ASMEND
	global_store_short v5, v4, s[2:3]
.LBB249_421:
	s_or_b64 exec, exec, s[0:1]
	v_or_b32_e32 v4, 32, v0
	v_cmp_gt_u32_e64 s[0:1], s4, v4
	s_and_b64 s[4:5], vcc, s[0:1]
	s_and_saveexec_b64 s[0:1], s[4:5]
	s_cbranch_execz .LBB249_423
; %bb.422:
	;;#ASMSTART
	v_cvt_f16_f32 v3, v3;

	;;#ASMEND
	global_store_short v5, v3, s[2:3] offset:64
.LBB249_423:
	s_or_b64 exec, exec, s[0:1]
	v_or_b32_e32 v3, 64, v0
	s_movk_i32 s4, 0x70
	v_cmp_gt_u32_e64 s[0:1], s4, v3
	s_and_b64 s[6:7], vcc, s[0:1]
	s_and_saveexec_b64 s[0:1], s[6:7]
	s_cbranch_execz .LBB249_425
; %bb.424:
	;;#ASMSTART
	v_cvt_f16_f32 v2, v2;

	;;#ASMEND
	global_store_short v5, v2, s[2:3] offset:128
.LBB249_425:
	s_or_b64 exec, exec, s[0:1]
	v_or_b32_e32 v0, 0x60, v0
	v_cmp_gt_u32_e64 s[0:1], s4, v0
	s_and_b64 s[0:1], vcc, s[0:1]
	s_and_b64 exec, exec, s[0:1]
	s_cbranch_execz .LBB249_427
; %bb.426:
	;;#ASMSTART
	v_cvt_f16_f32 v0, v1;

	;;#ASMEND
	global_store_short v5, v0, s[2:3] offset:192
.LBB249_427:
	s_endpgm
	.section	.rodata,"a",@progbits
	.p2align	6, 0x0
	.amdhsa_kernel _ZN4vllm25paged_attention_v1_kernelIthLi112ELi16ELi128ELNS_18Fp8KVCacheDataTypeE1ELb0EEEvPT_PKS2_PKT0_S8_ifPKiSA_iPKfiiiSC_SC_iiiii
		.amdhsa_group_segment_fixed_size 240
		.amdhsa_private_segment_fixed_size 0
		.amdhsa_kernarg_size 384
		.amdhsa_user_sgpr_count 6
		.amdhsa_user_sgpr_private_segment_buffer 1
		.amdhsa_user_sgpr_dispatch_ptr 0
		.amdhsa_user_sgpr_queue_ptr 0
		.amdhsa_user_sgpr_kernarg_segment_ptr 1
		.amdhsa_user_sgpr_dispatch_id 0
		.amdhsa_user_sgpr_flat_scratch_init 0
		.amdhsa_user_sgpr_private_segment_size 0
		.amdhsa_uses_dynamic_stack 0
		.amdhsa_system_sgpr_private_segment_wavefront_offset 0
		.amdhsa_system_sgpr_workgroup_id_x 1
		.amdhsa_system_sgpr_workgroup_id_y 1
		.amdhsa_system_sgpr_workgroup_id_z 1
		.amdhsa_system_sgpr_workgroup_info 0
		.amdhsa_system_vgpr_workitem_id 0
		.amdhsa_next_free_vgpr 61
		.amdhsa_next_free_sgpr 45
		.amdhsa_reserve_vcc 1
		.amdhsa_reserve_flat_scratch 0
		.amdhsa_float_round_mode_32 0
		.amdhsa_float_round_mode_16_64 0
		.amdhsa_float_denorm_mode_32 3
		.amdhsa_float_denorm_mode_16_64 3
		.amdhsa_dx10_clamp 1
		.amdhsa_ieee_mode 1
		.amdhsa_fp16_overflow 0
		.amdhsa_exception_fp_ieee_invalid_op 0
		.amdhsa_exception_fp_denorm_src 0
		.amdhsa_exception_fp_ieee_div_zero 0
		.amdhsa_exception_fp_ieee_overflow 0
		.amdhsa_exception_fp_ieee_underflow 0
		.amdhsa_exception_fp_ieee_inexact 0
		.amdhsa_exception_int_div_zero 0
	.end_amdhsa_kernel
	.section	.text._ZN4vllm25paged_attention_v1_kernelIthLi112ELi16ELi128ELNS_18Fp8KVCacheDataTypeE1ELb0EEEvPT_PKS2_PKT0_S8_ifPKiSA_iPKfiiiSC_SC_iiiii,"axG",@progbits,_ZN4vllm25paged_attention_v1_kernelIthLi112ELi16ELi128ELNS_18Fp8KVCacheDataTypeE1ELb0EEEvPT_PKS2_PKT0_S8_ifPKiSA_iPKfiiiSC_SC_iiiii,comdat
.Lfunc_end249:
	.size	_ZN4vllm25paged_attention_v1_kernelIthLi112ELi16ELi128ELNS_18Fp8KVCacheDataTypeE1ELb0EEEvPT_PKS2_PKT0_S8_ifPKiSA_iPKfiiiSC_SC_iiiii, .Lfunc_end249-_ZN4vllm25paged_attention_v1_kernelIthLi112ELi16ELi128ELNS_18Fp8KVCacheDataTypeE1ELb0EEEvPT_PKS2_PKT0_S8_ifPKiSA_iPKfiiiSC_SC_iiiii
                                        ; -- End function
	.set _ZN4vllm25paged_attention_v1_kernelIthLi112ELi16ELi128ELNS_18Fp8KVCacheDataTypeE1ELb0EEEvPT_PKS2_PKT0_S8_ifPKiSA_iPKfiiiSC_SC_iiiii.num_vgpr, 61
	.set _ZN4vllm25paged_attention_v1_kernelIthLi112ELi16ELi128ELNS_18Fp8KVCacheDataTypeE1ELb0EEEvPT_PKS2_PKT0_S8_ifPKiSA_iPKfiiiSC_SC_iiiii.num_agpr, 0
	.set _ZN4vllm25paged_attention_v1_kernelIthLi112ELi16ELi128ELNS_18Fp8KVCacheDataTypeE1ELb0EEEvPT_PKS2_PKT0_S8_ifPKiSA_iPKfiiiSC_SC_iiiii.numbered_sgpr, 45
	.set _ZN4vllm25paged_attention_v1_kernelIthLi112ELi16ELi128ELNS_18Fp8KVCacheDataTypeE1ELb0EEEvPT_PKS2_PKT0_S8_ifPKiSA_iPKfiiiSC_SC_iiiii.num_named_barrier, 0
	.set _ZN4vllm25paged_attention_v1_kernelIthLi112ELi16ELi128ELNS_18Fp8KVCacheDataTypeE1ELb0EEEvPT_PKS2_PKT0_S8_ifPKiSA_iPKfiiiSC_SC_iiiii.private_seg_size, 0
	.set _ZN4vllm25paged_attention_v1_kernelIthLi112ELi16ELi128ELNS_18Fp8KVCacheDataTypeE1ELb0EEEvPT_PKS2_PKT0_S8_ifPKiSA_iPKfiiiSC_SC_iiiii.uses_vcc, 1
	.set _ZN4vllm25paged_attention_v1_kernelIthLi112ELi16ELi128ELNS_18Fp8KVCacheDataTypeE1ELb0EEEvPT_PKS2_PKT0_S8_ifPKiSA_iPKfiiiSC_SC_iiiii.uses_flat_scratch, 0
	.set _ZN4vllm25paged_attention_v1_kernelIthLi112ELi16ELi128ELNS_18Fp8KVCacheDataTypeE1ELb0EEEvPT_PKS2_PKT0_S8_ifPKiSA_iPKfiiiSC_SC_iiiii.has_dyn_sized_stack, 0
	.set _ZN4vllm25paged_attention_v1_kernelIthLi112ELi16ELi128ELNS_18Fp8KVCacheDataTypeE1ELb0EEEvPT_PKS2_PKT0_S8_ifPKiSA_iPKfiiiSC_SC_iiiii.has_recursion, 0
	.set _ZN4vllm25paged_attention_v1_kernelIthLi112ELi16ELi128ELNS_18Fp8KVCacheDataTypeE1ELb0EEEvPT_PKS2_PKT0_S8_ifPKiSA_iPKfiiiSC_SC_iiiii.has_indirect_call, 0
	.section	.AMDGPU.csdata,"",@progbits
; Kernel info:
; codeLenInByte = 17572
; TotalNumSgprs: 49
; NumVgprs: 61
; ScratchSize: 0
; MemoryBound: 0
; FloatMode: 240
; IeeeMode: 1
; LDSByteSize: 240 bytes/workgroup (compile time only)
; SGPRBlocks: 6
; VGPRBlocks: 15
; NumSGPRsForWavesPerEU: 49
; NumVGPRsForWavesPerEU: 61
; Occupancy: 4
; WaveLimiterHint : 1
; COMPUTE_PGM_RSRC2:SCRATCH_EN: 0
; COMPUTE_PGM_RSRC2:USER_SGPR: 6
; COMPUTE_PGM_RSRC2:TRAP_HANDLER: 0
; COMPUTE_PGM_RSRC2:TGID_X_EN: 1
; COMPUTE_PGM_RSRC2:TGID_Y_EN: 1
; COMPUTE_PGM_RSRC2:TGID_Z_EN: 1
; COMPUTE_PGM_RSRC2:TIDIG_COMP_CNT: 0
	.section	.text._ZN4vllm25paged_attention_v1_kernelIthLi120ELi16ELi128ELNS_18Fp8KVCacheDataTypeE1ELb0EEEvPT_PKS2_PKT0_S8_ifPKiSA_iPKfiiiSC_SC_iiiii,"axG",@progbits,_ZN4vllm25paged_attention_v1_kernelIthLi120ELi16ELi128ELNS_18Fp8KVCacheDataTypeE1ELb0EEEvPT_PKS2_PKT0_S8_ifPKiSA_iPKfiiiSC_SC_iiiii,comdat
	.protected	_ZN4vllm25paged_attention_v1_kernelIthLi120ELi16ELi128ELNS_18Fp8KVCacheDataTypeE1ELb0EEEvPT_PKS2_PKT0_S8_ifPKiSA_iPKfiiiSC_SC_iiiii ; -- Begin function _ZN4vllm25paged_attention_v1_kernelIthLi120ELi16ELi128ELNS_18Fp8KVCacheDataTypeE1ELb0EEEvPT_PKS2_PKT0_S8_ifPKiSA_iPKfiiiSC_SC_iiiii
	.globl	_ZN4vllm25paged_attention_v1_kernelIthLi120ELi16ELi128ELNS_18Fp8KVCacheDataTypeE1ELb0EEEvPT_PKS2_PKT0_S8_ifPKiSA_iPKfiiiSC_SC_iiiii
	.p2align	8
	.type	_ZN4vllm25paged_attention_v1_kernelIthLi120ELi16ELi128ELNS_18Fp8KVCacheDataTypeE1ELb0EEEvPT_PKS2_PKT0_S8_ifPKiSA_iPKfiiiSC_SC_iiiii,@function
_ZN4vllm25paged_attention_v1_kernelIthLi120ELi16ELi128ELNS_18Fp8KVCacheDataTypeE1ELb0EEEvPT_PKS2_PKT0_S8_ifPKiSA_iPKfiiiSC_SC_iiiii: ; @_ZN4vllm25paged_attention_v1_kernelIthLi120ELi16ELi128ELNS_18Fp8KVCacheDataTypeE1ELb0EEEvPT_PKS2_PKT0_S8_ifPKiSA_iPKfiiiSC_SC_iiiii
; %bb.0:
	s_load_dword s9, s[4:5], 0x80
	s_load_dwordx2 s[0:1], s[4:5], 0x30
	s_load_dwordx2 s[30:31], s[4:5], 0x20
	s_mov_b32 s10, s7
	s_ashr_i32 s11, s7, 31
	s_lshl_b64 s[2:3], s[10:11], 2
	s_waitcnt lgkmcnt(0)
	s_add_u32 s0, s0, s2
	s_addc_u32 s1, s1, s3
	s_abs_i32 s2, s30
	v_cvt_f32_u32_e32 v1, s2
	s_sub_i32 s11, 0, s2
	s_abs_i32 s7, s9
	s_xor_b32 s3, s9, s30
	v_rcp_iflag_f32_e32 v1, v1
	s_ashr_i32 s3, s3, 31
	s_mov_b32 s33, 0
	v_mul_f32_e32 v1, 0x4f7ffffe, v1
	v_cvt_u32_f32_e32 v1, v1
	v_readfirstlane_b32 s12, v1
	s_mul_i32 s11, s11, s12
	s_mul_hi_u32 s11, s12, s11
	s_add_i32 s12, s12, s11
	s_mul_hi_u32 s11, s7, s12
	s_mul_i32 s12, s11, s2
	s_sub_i32 s7, s7, s12
	s_add_i32 s12, s11, 1
	s_sub_i32 s13, s7, s2
	s_cmp_ge_u32 s7, s2
	s_cselect_b32 s11, s12, s11
	s_cselect_b32 s7, s13, s7
	s_add_i32 s12, s11, 1
	s_cmp_ge_u32 s7, s2
	s_cselect_b32 s2, s12, s11
	s_xor_b32 s2, s2, s3
	s_sub_i32 s14, s2, s3
	s_abs_i32 s11, s14
	v_cvt_f32_u32_e32 v1, s11
	s_load_dwordx2 s[2:3], s[4:5], 0x40
	s_sub_i32 s7, 0, s11
	s_abs_i32 s12, s6
	v_rcp_iflag_f32_e32 v1, v1
	v_mul_f32_e32 v1, 0x4f7ffffe, v1
	v_cvt_u32_f32_e32 v1, v1
	v_readfirstlane_b32 s13, v1
	s_mul_i32 s7, s7, s13
	s_mul_hi_u32 s7, s13, s7
	s_add_i32 s13, s13, s7
	s_waitcnt lgkmcnt(0)
	s_cmp_eq_u64 s[2:3], 0
	s_mul_hi_u32 s13, s12, s13
	s_cbranch_scc1 .LBB250_2
; %bb.1:
	s_ashr_i32 s7, s6, 31
	s_lshl_b64 s[16:17], s[6:7], 2
	s_add_u32 s2, s2, s16
	s_addc_u32 s3, s3, s17
	s_load_dword s33, s[2:3], 0x0
.LBB250_2:
	s_load_dword s30, s[0:1], 0x0
	s_load_dwordx4 s[16:19], s[4:5], 0x48
	s_ashr_i32 s2, s6, 31
	s_ashr_i32 s3, s14, 31
	v_and_b32_e32 v3, 3, v0
	s_mul_i32 s20, s6, 0x78
	v_cmp_gt_u32_e32 vcc, 60, v0
	s_and_saveexec_b64 s[0:1], vcc
	s_cbranch_execz .LBB250_4
; %bb.3:
	s_load_dwordx2 s[6:7], s[4:5], 0x8
	s_waitcnt lgkmcnt(0)
	s_mul_i32 s14, s16, s10
	s_ashr_i32 s15, s14, 31
	s_lshl_b64 s[14:15], s[14:15], 1
	v_lshlrev_b32_e32 v1, 2, v0
	s_add_u32 s14, s6, s14
	s_addc_u32 s15, s7, s15
	s_ashr_i32 s21, s20, 31
	s_lshl_b64 s[6:7], s[20:21], 1
	s_add_u32 s6, s14, s6
	s_addc_u32 s7, s15, s7
	global_load_dword v1, v1, s[6:7]
	v_and_b32_e32 v2, 0x3fc, v0
	v_mad_u32_u24 v2, v3, 60, v2
	s_waitcnt vmcnt(0)
	ds_write_b32 v2, v1
.LBB250_4:
	s_or_b64 exec, exec, s[0:1]
	s_waitcnt lgkmcnt(0)
	s_add_i32 s1, s30, 15
	s_ashr_i32 s6, s1, 31
	s_lshr_b32 s6, s6, 28
	s_add_i32 s1, s1, s6
	s_ashr_i32 s21, s1, 4
	s_xor_b32 s1, s2, s3
	s_mul_i32 s2, s13, s11
	s_sub_i32 s2, s12, s2
	s_add_i32 s3, s13, 1
	s_sub_i32 s6, s2, s11
	s_load_dwordx2 s[24:25], s[4:5], 0x28
	s_load_dword s0, s[4:5], 0x38
	s_cmp_ge_u32 s2, s11
	s_cselect_b32 s3, s3, s13
	s_cselect_b32 s2, s6, s2
	s_add_i32 s6, s3, 1
	s_cmp_ge_u32 s2, s11
	s_cselect_b32 s2, s6, s3
	v_lshrrev_b32_e32 v13, 6, v0
	s_xor_b32 s2, s2, s1
	s_waitcnt lgkmcnt(0)
	s_mul_i32 s26, s0, s10
	s_sub_i32 s16, s2, s1
	s_ashr_i32 s27, s26, 31
	v_cmp_le_i32_e64 s[0:1], s21, v13
	v_mbcnt_lo_u32_b32 v8, -1, 0
	s_barrier
                                        ; implicit-def: $vgpr10
                                        ; implicit-def: $vgpr7
                                        ; implicit-def: $vgpr1
	s_and_saveexec_b64 s[2:3], s[0:1]
	s_xor_b64 s[2:3], exec, s[2:3]
; %bb.5:
	v_mbcnt_hi_u32_b32 v10, -1, v8
	v_and_b32_e32 v7, 64, v10
	v_add_u32_e32 v1, 64, v7
                                        ; implicit-def: $vgpr3
                                        ; implicit-def: $vgpr8
; %bb.6:
	s_or_saveexec_b64 s[6:7], s[2:3]
	s_load_dwordx2 s[22:23], s[4:5], 0x0
	s_load_dwordx2 s[28:29], s[4:5], 0x18
	s_load_dword s11, s[4:5], 0x88
	s_load_dwordx4 s[12:15], s[4:5], 0x58
	v_mov_b32_e32 v11, 0xff7fffff
	s_mul_i32 s16, s16, s18
	v_lshrrev_b32_e32 v9, 4, v0
	s_xor_b64 exec, exec, s[6:7]
	s_cbranch_execz .LBB250_192
; %bb.7:
	s_load_dwordx2 s[2:3], s[4:5], 0x10
	s_ashr_i32 s4, s16, 31
	v_bfe_u32 v1, v0, 2, 4
	v_lshlrev_b32_e32 v4, 4, v1
	v_lshlrev_b32_e32 v6, 1, v3
	s_waitcnt lgkmcnt(0)
	s_add_u32 s2, s2, s16
	s_addc_u32 s3, s3, s4
	v_mov_b32_e32 v5, s3
	v_add_co_u32_e32 v4, vcc, s2, v4
	v_addc_co_u32_e32 v5, vcc, 0, v5, vcc
	v_mul_u32_u24_e32 v12, 60, v3
	v_cmp_eq_u32_e32 vcc, 0, v3
	v_add_co_u32_e64 v3, s[4:5], v4, v6
	v_addc_co_u32_e64 v4, s[4:5], 0, v5, s[4:5]
	s_sub_i32 s41, 1, s30
	v_lshl_or_b32 v14, v13, 4, v1
	v_lshlrev_b32_e32 v1, 2, v1
	s_lshl_b64 s[4:5], s[26:27], 2
	v_lshl_or_b32 v1, v13, 6, v1
	s_add_u32 s4, s24, s4
	v_add_u32_e32 v15, 0x100, v1
	v_and_b32_e32 v1, 60, v9
	s_addc_u32 s5, s25, s5
	v_mov_b32_e32 v6, s5
	v_add_co_u32_e64 v5, s[4:5], s4, v1
	s_mov_b32 s40, s17
	v_mov_b32_e32 v2, 0
	v_cmp_neq_f32_e64 s[2:3], s33, 0
	v_addc_co_u32_e64 v6, s[4:5], 0, v6, s[4:5]
	v_mov_b32_e32 v11, 0xff7fffff
	s_mov_b64 s[18:19], 0
	s_movk_i32 s42, 0x80
	s_movk_i32 s43, 0x7f
	s_mov_b32 s44, 0x8000
	v_mbcnt_hi_u32_b32 v10, -1, v8
	v_mov_b32_e32 v16, 0x2000
	v_mov_b32_e32 v17, v13
	s_branch .LBB250_9
.LBB250_8:                              ;   in Loop: Header=BB250_9 Depth=1
	s_or_b64 exec, exec, s[34:35]
	v_add_u32_e32 v17, 2, v17
	v_cmp_le_i32_e64 s[4:5], s21, v17
	s_or_b64 s[18:19], s[4:5], s[18:19]
	v_add_co_u32_e64 v5, s[4:5], 8, v5
	v_add_u32_e32 v14, 32, v14
	v_add_u32_e32 v15, 0x80, v15
	v_addc_co_u32_e64 v6, s[4:5], 0, v6, s[4:5]
	s_andn2_b64 exec, exec, s[18:19]
	s_cbranch_execz .LBB250_191
.LBB250_9:                              ; =>This Inner Loop Header: Depth=1
	global_load_dword v1, v[5:6], off
	s_waitcnt vmcnt(0)
	v_mad_i64_i32 v[7:8], s[4:5], v1, s40, v[3:4]
	global_load_ushort v19, v[7:8], off
	s_waitcnt lgkmcnt(0)
	global_load_dword v18, v2, s[12:13]
	s_waitcnt vmcnt(1)
	v_and_b32_e32 v1, 0xffff, v19
	v_cmp_ne_u16_sdwa s[4:5], v19, v2 src0_sel:BYTE_0 src1_sel:DWORD
	v_mov_b32_e32 v19, 0
	s_and_saveexec_b64 s[34:35], s[4:5]
	s_cbranch_execz .LBB250_15
; %bb.10:                               ;   in Loop: Header=BB250_9 Depth=1
	v_cmp_ne_u16_sdwa s[4:5], v1, s42 src0_sel:BYTE_0 src1_sel:DWORD
	v_mov_b32_e32 v19, 0x8000
	s_and_saveexec_b64 s[36:37], s[4:5]
	s_cbranch_execz .LBB250_14
; %bb.11:                               ;   in Loop: Header=BB250_9 Depth=1
	v_and_b32_e32 v20, 0x7f, v1
	v_cmp_ne_u32_e64 s[4:5], s43, v20
	v_mov_b32_e32 v19, 0x7c01
	s_and_saveexec_b64 s[38:39], s[4:5]
	s_cbranch_execz .LBB250_13
; %bb.12:                               ;   in Loop: Header=BB250_9 Depth=1
	v_and_b32_e32 v19, 7, v1
	v_ffbh_u32_e32 v21, v19
	v_min_u32_e32 v24, 32, v21
	v_subrev_u32_e32 v21, 28, v24
	v_lshlrev_b64 v[21:22], v21, v[1:2]
	v_lshrrev_b32_e32 v23, 3, v20
	v_sub_u32_e32 v22, 29, v24
	v_cmp_gt_u32_e64 s[4:5], 8, v20
	v_cndmask_b32_e64 v20, v23, v22, s[4:5]
	v_lshl_add_u32 v20, v20, 10, v16
	v_lshlrev_b32_e32 v22, 8, v1
	v_and_b32_e32 v21, 7, v21
	v_and_b32_e32 v20, 0xfc00, v20
	v_cndmask_b32_e64 v19, v19, v21, s[4:5]
	v_and_or_b32 v20, v22, s44, v20
	v_lshl_or_b32 v19, v19, 7, v20
.LBB250_13:                             ;   in Loop: Header=BB250_9 Depth=1
	s_or_b64 exec, exec, s[38:39]
.LBB250_14:                             ;   in Loop: Header=BB250_9 Depth=1
	s_or_b64 exec, exec, s[36:37]
.LBB250_15:                             ;   in Loop: Header=BB250_9 Depth=1
	s_or_b64 exec, exec, s[34:35]
	v_lshrrev_b16_e32 v1, 8, v1
	v_cmp_ne_u16_e64 s[4:5], 0, v1
	v_mov_b32_e32 v20, 0
	v_mov_b32_e32 v21, 0
	s_and_saveexec_b64 s[34:35], s[4:5]
	s_cbranch_execz .LBB250_21
; %bb.16:                               ;   in Loop: Header=BB250_9 Depth=1
	v_cmp_ne_u16_e64 s[4:5], s42, v1
	v_bfrev_b32_e32 v21, 1
	s_and_saveexec_b64 s[36:37], s[4:5]
	s_cbranch_execz .LBB250_20
; %bb.17:                               ;   in Loop: Header=BB250_9 Depth=1
	v_and_b32_e32 v22, 0x7f, v1
	v_cmp_ne_u32_e64 s[4:5], s43, v22
	v_mov_b32_e32 v21, 0x7c010000
	s_and_saveexec_b64 s[38:39], s[4:5]
	s_cbranch_execz .LBB250_19
; %bb.18:                               ;   in Loop: Header=BB250_9 Depth=1
	v_and_b32_e32 v21, 7, v1
	v_ffbh_u32_e32 v23, v21
	v_min_u32_e32 v26, 32, v23
	v_subrev_u32_e32 v23, 28, v26
	v_lshlrev_b64 v[23:24], v23, v[1:2]
	v_lshrrev_b32_e32 v25, 3, v22
	v_sub_u32_e32 v24, 29, v26
	v_cmp_gt_u32_e64 s[4:5], 8, v22
	v_cndmask_b32_e64 v22, v25, v24, s[4:5]
	v_lshlrev_b32_e32 v1, 8, v1
	v_lshl_add_u32 v22, v22, 10, v16
	v_and_b32_e32 v23, 7, v23
	v_and_or_b32 v1, v1, s44, v22
	v_cndmask_b32_e64 v21, v21, v23, s[4:5]
	v_lshlrev_b32_e32 v1, 16, v1
	v_lshl_or_b32 v21, v21, 23, v1
.LBB250_19:                             ;   in Loop: Header=BB250_9 Depth=1
	s_or_b64 exec, exec, s[38:39]
.LBB250_20:                             ;   in Loop: Header=BB250_9 Depth=1
	s_or_b64 exec, exec, s[36:37]
.LBB250_21:                             ;   in Loop: Header=BB250_9 Depth=1
	s_or_b64 exec, exec, s[34:35]
	global_load_ushort v22, v[7:8], off offset:8
	s_waitcnt vmcnt(0)
	v_and_b32_e32 v1, 0xffff, v22
	v_cmp_ne_u16_sdwa s[4:5], v22, v2 src0_sel:BYTE_0 src1_sel:DWORD
	s_and_saveexec_b64 s[34:35], s[4:5]
	s_cbranch_execz .LBB250_27
; %bb.22:                               ;   in Loop: Header=BB250_9 Depth=1
	v_cmp_ne_u16_sdwa s[4:5], v1, s42 src0_sel:BYTE_0 src1_sel:DWORD
	v_mov_b32_e32 v20, 0x8000
	s_and_saveexec_b64 s[36:37], s[4:5]
	s_cbranch_execz .LBB250_26
; %bb.23:                               ;   in Loop: Header=BB250_9 Depth=1
	v_and_b32_e32 v22, 0x7f, v1
	v_cmp_ne_u32_e64 s[4:5], s43, v22
	v_mov_b32_e32 v20, 0x7c01
	s_and_saveexec_b64 s[38:39], s[4:5]
	s_cbranch_execz .LBB250_25
; %bb.24:                               ;   in Loop: Header=BB250_9 Depth=1
	v_and_b32_e32 v20, 7, v1
	v_ffbh_u32_e32 v23, v20
	v_min_u32_e32 v26, 32, v23
	v_subrev_u32_e32 v23, 28, v26
	v_lshlrev_b64 v[23:24], v23, v[1:2]
	v_lshrrev_b32_e32 v25, 3, v22
	v_sub_u32_e32 v24, 29, v26
	v_cmp_gt_u32_e64 s[4:5], 8, v22
	v_cndmask_b32_e64 v22, v25, v24, s[4:5]
	v_lshl_add_u32 v22, v22, 10, v16
	v_lshlrev_b32_e32 v24, 8, v1
	v_and_b32_e32 v23, 7, v23
	v_and_b32_e32 v22, 0xfc00, v22
	v_cndmask_b32_e64 v20, v20, v23, s[4:5]
	v_and_or_b32 v22, v24, s44, v22
	v_lshl_or_b32 v20, v20, 7, v22
.LBB250_25:                             ;   in Loop: Header=BB250_9 Depth=1
	s_or_b64 exec, exec, s[38:39]
.LBB250_26:                             ;   in Loop: Header=BB250_9 Depth=1
	s_or_b64 exec, exec, s[36:37]
.LBB250_27:                             ;   in Loop: Header=BB250_9 Depth=1
	s_or_b64 exec, exec, s[34:35]
	v_lshrrev_b16_e32 v1, 8, v1
	v_cmp_ne_u16_e64 s[4:5], 0, v1
	v_mov_b32_e32 v22, 0
	v_mov_b32_e32 v23, 0
	s_and_saveexec_b64 s[34:35], s[4:5]
	s_cbranch_execz .LBB250_33
; %bb.28:                               ;   in Loop: Header=BB250_9 Depth=1
	v_cmp_ne_u16_e64 s[4:5], s42, v1
	v_bfrev_b32_e32 v23, 1
	s_and_saveexec_b64 s[36:37], s[4:5]
	s_cbranch_execz .LBB250_32
; %bb.29:                               ;   in Loop: Header=BB250_9 Depth=1
	v_and_b32_e32 v24, 0x7f, v1
	v_cmp_ne_u32_e64 s[4:5], s43, v24
	v_mov_b32_e32 v23, 0x7c010000
	s_and_saveexec_b64 s[38:39], s[4:5]
	s_cbranch_execz .LBB250_31
; %bb.30:                               ;   in Loop: Header=BB250_9 Depth=1
	v_and_b32_e32 v23, 7, v1
	v_ffbh_u32_e32 v25, v23
	v_min_u32_e32 v28, 32, v25
	v_subrev_u32_e32 v25, 28, v28
	v_lshlrev_b64 v[25:26], v25, v[1:2]
	v_lshrrev_b32_e32 v27, 3, v24
	v_sub_u32_e32 v26, 29, v28
	v_cmp_gt_u32_e64 s[4:5], 8, v24
	v_cndmask_b32_e64 v24, v27, v26, s[4:5]
	v_lshlrev_b32_e32 v1, 8, v1
	v_lshl_add_u32 v24, v24, 10, v16
	v_and_b32_e32 v25, 7, v25
	v_and_or_b32 v1, v1, s44, v24
	v_cndmask_b32_e64 v23, v23, v25, s[4:5]
	v_lshlrev_b32_e32 v1, 16, v1
	v_lshl_or_b32 v23, v23, 23, v1
.LBB250_31:                             ;   in Loop: Header=BB250_9 Depth=1
	s_or_b64 exec, exec, s[38:39]
.LBB250_32:                             ;   in Loop: Header=BB250_9 Depth=1
	s_or_b64 exec, exec, s[36:37]
.LBB250_33:                             ;   in Loop: Header=BB250_9 Depth=1
	s_or_b64 exec, exec, s[34:35]
	global_load_ushort v24, v[7:8], off offset:256
	s_waitcnt vmcnt(0)
	v_and_b32_e32 v1, 0xffff, v24
	v_cmp_ne_u16_sdwa s[4:5], v24, v2 src0_sel:BYTE_0 src1_sel:DWORD
	s_and_saveexec_b64 s[34:35], s[4:5]
	s_cbranch_execz .LBB250_39
; %bb.34:                               ;   in Loop: Header=BB250_9 Depth=1
	v_cmp_ne_u16_sdwa s[4:5], v1, s42 src0_sel:BYTE_0 src1_sel:DWORD
	v_mov_b32_e32 v22, 0x8000
	s_and_saveexec_b64 s[36:37], s[4:5]
	s_cbranch_execz .LBB250_38
; %bb.35:                               ;   in Loop: Header=BB250_9 Depth=1
	v_and_b32_e32 v24, 0x7f, v1
	v_cmp_ne_u32_e64 s[4:5], s43, v24
	v_mov_b32_e32 v22, 0x7c01
	s_and_saveexec_b64 s[38:39], s[4:5]
	s_cbranch_execz .LBB250_37
; %bb.36:                               ;   in Loop: Header=BB250_9 Depth=1
	v_and_b32_e32 v22, 7, v1
	v_ffbh_u32_e32 v25, v22
	v_min_u32_e32 v28, 32, v25
	v_subrev_u32_e32 v25, 28, v28
	v_lshlrev_b64 v[25:26], v25, v[1:2]
	v_lshrrev_b32_e32 v27, 3, v24
	v_sub_u32_e32 v26, 29, v28
	v_cmp_gt_u32_e64 s[4:5], 8, v24
	v_cndmask_b32_e64 v24, v27, v26, s[4:5]
	v_lshl_add_u32 v24, v24, 10, v16
	v_lshlrev_b32_e32 v26, 8, v1
	v_and_b32_e32 v25, 7, v25
	v_and_b32_e32 v24, 0xfc00, v24
	v_cndmask_b32_e64 v22, v22, v25, s[4:5]
	v_and_or_b32 v24, v26, s44, v24
	v_lshl_or_b32 v22, v22, 7, v24
.LBB250_37:                             ;   in Loop: Header=BB250_9 Depth=1
	s_or_b64 exec, exec, s[38:39]
.LBB250_38:                             ;   in Loop: Header=BB250_9 Depth=1
	s_or_b64 exec, exec, s[36:37]
.LBB250_39:                             ;   in Loop: Header=BB250_9 Depth=1
	s_or_b64 exec, exec, s[34:35]
	v_lshrrev_b16_e32 v1, 8, v1
	v_cmp_ne_u16_e64 s[4:5], 0, v1
	v_mov_b32_e32 v24, 0
	v_mov_b32_e32 v25, 0
	s_and_saveexec_b64 s[34:35], s[4:5]
	s_cbranch_execz .LBB250_45
; %bb.40:                               ;   in Loop: Header=BB250_9 Depth=1
	v_cmp_ne_u16_e64 s[4:5], s42, v1
	v_bfrev_b32_e32 v25, 1
	s_and_saveexec_b64 s[36:37], s[4:5]
	s_cbranch_execz .LBB250_44
; %bb.41:                               ;   in Loop: Header=BB250_9 Depth=1
	v_and_b32_e32 v26, 0x7f, v1
	v_cmp_ne_u32_e64 s[4:5], s43, v26
	v_mov_b32_e32 v25, 0x7c010000
	s_and_saveexec_b64 s[38:39], s[4:5]
	s_cbranch_execz .LBB250_43
; %bb.42:                               ;   in Loop: Header=BB250_9 Depth=1
	v_and_b32_e32 v25, 7, v1
	v_ffbh_u32_e32 v27, v25
	v_min_u32_e32 v30, 32, v27
	v_subrev_u32_e32 v27, 28, v30
	v_lshlrev_b64 v[27:28], v27, v[1:2]
	v_lshrrev_b32_e32 v29, 3, v26
	v_sub_u32_e32 v28, 29, v30
	v_cmp_gt_u32_e64 s[4:5], 8, v26
	v_cndmask_b32_e64 v26, v29, v28, s[4:5]
	v_lshlrev_b32_e32 v1, 8, v1
	v_lshl_add_u32 v26, v26, 10, v16
	v_and_b32_e32 v27, 7, v27
	v_and_or_b32 v1, v1, s44, v26
	v_cndmask_b32_e64 v25, v25, v27, s[4:5]
	v_lshlrev_b32_e32 v1, 16, v1
	v_lshl_or_b32 v25, v25, 23, v1
.LBB250_43:                             ;   in Loop: Header=BB250_9 Depth=1
	s_or_b64 exec, exec, s[38:39]
.LBB250_44:                             ;   in Loop: Header=BB250_9 Depth=1
	s_or_b64 exec, exec, s[36:37]
.LBB250_45:                             ;   in Loop: Header=BB250_9 Depth=1
	s_or_b64 exec, exec, s[34:35]
	global_load_ushort v26, v[7:8], off offset:264
	s_waitcnt vmcnt(0)
	v_and_b32_e32 v1, 0xffff, v26
	v_cmp_ne_u16_sdwa s[4:5], v26, v2 src0_sel:BYTE_0 src1_sel:DWORD
	s_and_saveexec_b64 s[34:35], s[4:5]
	s_cbranch_execz .LBB250_51
; %bb.46:                               ;   in Loop: Header=BB250_9 Depth=1
	v_cmp_ne_u16_sdwa s[4:5], v1, s42 src0_sel:BYTE_0 src1_sel:DWORD
	v_mov_b32_e32 v24, 0x8000
	s_and_saveexec_b64 s[36:37], s[4:5]
	s_cbranch_execz .LBB250_50
; %bb.47:                               ;   in Loop: Header=BB250_9 Depth=1
	v_and_b32_e32 v26, 0x7f, v1
	v_cmp_ne_u32_e64 s[4:5], s43, v26
	v_mov_b32_e32 v24, 0x7c01
	s_and_saveexec_b64 s[38:39], s[4:5]
	s_cbranch_execz .LBB250_49
; %bb.48:                               ;   in Loop: Header=BB250_9 Depth=1
	v_and_b32_e32 v24, 7, v1
	v_ffbh_u32_e32 v27, v24
	v_min_u32_e32 v30, 32, v27
	v_subrev_u32_e32 v27, 28, v30
	v_lshlrev_b64 v[27:28], v27, v[1:2]
	v_lshrrev_b32_e32 v29, 3, v26
	v_sub_u32_e32 v28, 29, v30
	v_cmp_gt_u32_e64 s[4:5], 8, v26
	v_cndmask_b32_e64 v26, v29, v28, s[4:5]
	v_lshl_add_u32 v26, v26, 10, v16
	v_lshlrev_b32_e32 v28, 8, v1
	v_and_b32_e32 v27, 7, v27
	v_and_b32_e32 v26, 0xfc00, v26
	v_cndmask_b32_e64 v24, v24, v27, s[4:5]
	v_and_or_b32 v26, v28, s44, v26
	v_lshl_or_b32 v24, v24, 7, v26
.LBB250_49:                             ;   in Loop: Header=BB250_9 Depth=1
	s_or_b64 exec, exec, s[38:39]
.LBB250_50:                             ;   in Loop: Header=BB250_9 Depth=1
	s_or_b64 exec, exec, s[36:37]
.LBB250_51:                             ;   in Loop: Header=BB250_9 Depth=1
	s_or_b64 exec, exec, s[34:35]
	v_lshrrev_b16_e32 v1, 8, v1
	v_cmp_ne_u16_e64 s[4:5], 0, v1
	v_mov_b32_e32 v26, 0
	v_mov_b32_e32 v27, 0
	s_and_saveexec_b64 s[34:35], s[4:5]
	s_cbranch_execz .LBB250_57
; %bb.52:                               ;   in Loop: Header=BB250_9 Depth=1
	v_cmp_ne_u16_e64 s[4:5], s42, v1
	v_bfrev_b32_e32 v27, 1
	s_and_saveexec_b64 s[36:37], s[4:5]
	s_cbranch_execz .LBB250_56
; %bb.53:                               ;   in Loop: Header=BB250_9 Depth=1
	v_and_b32_e32 v28, 0x7f, v1
	v_cmp_ne_u32_e64 s[4:5], s43, v28
	v_mov_b32_e32 v27, 0x7c010000
	s_and_saveexec_b64 s[38:39], s[4:5]
	s_cbranch_execz .LBB250_55
; %bb.54:                               ;   in Loop: Header=BB250_9 Depth=1
	v_and_b32_e32 v27, 7, v1
	v_ffbh_u32_e32 v29, v27
	v_min_u32_e32 v32, 32, v29
	v_subrev_u32_e32 v29, 28, v32
	v_lshlrev_b64 v[29:30], v29, v[1:2]
	v_lshrrev_b32_e32 v31, 3, v28
	v_sub_u32_e32 v30, 29, v32
	v_cmp_gt_u32_e64 s[4:5], 8, v28
	v_cndmask_b32_e64 v28, v31, v30, s[4:5]
	v_lshlrev_b32_e32 v1, 8, v1
	v_lshl_add_u32 v28, v28, 10, v16
	v_and_b32_e32 v29, 7, v29
	v_and_or_b32 v1, v1, s44, v28
	v_cndmask_b32_e64 v27, v27, v29, s[4:5]
	v_lshlrev_b32_e32 v1, 16, v1
	v_lshl_or_b32 v27, v27, 23, v1
.LBB250_55:                             ;   in Loop: Header=BB250_9 Depth=1
	s_or_b64 exec, exec, s[38:39]
.LBB250_56:                             ;   in Loop: Header=BB250_9 Depth=1
	s_or_b64 exec, exec, s[36:37]
.LBB250_57:                             ;   in Loop: Header=BB250_9 Depth=1
	s_or_b64 exec, exec, s[34:35]
	global_load_ushort v28, v[7:8], off offset:512
	s_waitcnt vmcnt(0)
	v_and_b32_e32 v1, 0xffff, v28
	v_cmp_ne_u16_sdwa s[4:5], v28, v2 src0_sel:BYTE_0 src1_sel:DWORD
	s_and_saveexec_b64 s[34:35], s[4:5]
	s_cbranch_execz .LBB250_63
; %bb.58:                               ;   in Loop: Header=BB250_9 Depth=1
	v_cmp_ne_u16_sdwa s[4:5], v1, s42 src0_sel:BYTE_0 src1_sel:DWORD
	v_mov_b32_e32 v26, 0x8000
	s_and_saveexec_b64 s[36:37], s[4:5]
	s_cbranch_execz .LBB250_62
; %bb.59:                               ;   in Loop: Header=BB250_9 Depth=1
	v_and_b32_e32 v28, 0x7f, v1
	v_cmp_ne_u32_e64 s[4:5], s43, v28
	v_mov_b32_e32 v26, 0x7c01
	s_and_saveexec_b64 s[38:39], s[4:5]
	s_cbranch_execz .LBB250_61
; %bb.60:                               ;   in Loop: Header=BB250_9 Depth=1
	v_and_b32_e32 v26, 7, v1
	v_ffbh_u32_e32 v29, v26
	v_min_u32_e32 v32, 32, v29
	v_subrev_u32_e32 v29, 28, v32
	v_lshlrev_b64 v[29:30], v29, v[1:2]
	v_lshrrev_b32_e32 v31, 3, v28
	v_sub_u32_e32 v30, 29, v32
	v_cmp_gt_u32_e64 s[4:5], 8, v28
	v_cndmask_b32_e64 v28, v31, v30, s[4:5]
	v_lshl_add_u32 v28, v28, 10, v16
	v_lshlrev_b32_e32 v30, 8, v1
	v_and_b32_e32 v29, 7, v29
	v_and_b32_e32 v28, 0xfc00, v28
	v_cndmask_b32_e64 v26, v26, v29, s[4:5]
	v_and_or_b32 v28, v30, s44, v28
	v_lshl_or_b32 v26, v26, 7, v28
.LBB250_61:                             ;   in Loop: Header=BB250_9 Depth=1
	s_or_b64 exec, exec, s[38:39]
.LBB250_62:                             ;   in Loop: Header=BB250_9 Depth=1
	s_or_b64 exec, exec, s[36:37]
.LBB250_63:                             ;   in Loop: Header=BB250_9 Depth=1
	s_or_b64 exec, exec, s[34:35]
	v_lshrrev_b16_e32 v1, 8, v1
	v_cmp_ne_u16_e64 s[4:5], 0, v1
	v_mov_b32_e32 v28, 0
	v_mov_b32_e32 v29, 0
	s_and_saveexec_b64 s[34:35], s[4:5]
	s_cbranch_execz .LBB250_69
; %bb.64:                               ;   in Loop: Header=BB250_9 Depth=1
	v_cmp_ne_u16_e64 s[4:5], s42, v1
	v_bfrev_b32_e32 v29, 1
	s_and_saveexec_b64 s[36:37], s[4:5]
	s_cbranch_execz .LBB250_68
; %bb.65:                               ;   in Loop: Header=BB250_9 Depth=1
	v_and_b32_e32 v30, 0x7f, v1
	v_cmp_ne_u32_e64 s[4:5], s43, v30
	v_mov_b32_e32 v29, 0x7c010000
	s_and_saveexec_b64 s[38:39], s[4:5]
	s_cbranch_execz .LBB250_67
; %bb.66:                               ;   in Loop: Header=BB250_9 Depth=1
	v_and_b32_e32 v29, 7, v1
	v_ffbh_u32_e32 v31, v29
	v_min_u32_e32 v34, 32, v31
	v_subrev_u32_e32 v31, 28, v34
	v_lshlrev_b64 v[31:32], v31, v[1:2]
	v_lshrrev_b32_e32 v33, 3, v30
	v_sub_u32_e32 v32, 29, v34
	v_cmp_gt_u32_e64 s[4:5], 8, v30
	v_cndmask_b32_e64 v30, v33, v32, s[4:5]
	v_lshlrev_b32_e32 v1, 8, v1
	v_lshl_add_u32 v30, v30, 10, v16
	v_and_b32_e32 v31, 7, v31
	v_and_or_b32 v1, v1, s44, v30
	v_cndmask_b32_e64 v29, v29, v31, s[4:5]
	v_lshlrev_b32_e32 v1, 16, v1
	v_lshl_or_b32 v29, v29, 23, v1
.LBB250_67:                             ;   in Loop: Header=BB250_9 Depth=1
	s_or_b64 exec, exec, s[38:39]
.LBB250_68:                             ;   in Loop: Header=BB250_9 Depth=1
	s_or_b64 exec, exec, s[36:37]
.LBB250_69:                             ;   in Loop: Header=BB250_9 Depth=1
	s_or_b64 exec, exec, s[34:35]
	global_load_ushort v30, v[7:8], off offset:520
	s_waitcnt vmcnt(0)
	v_and_b32_e32 v1, 0xffff, v30
	v_cmp_ne_u16_sdwa s[4:5], v30, v2 src0_sel:BYTE_0 src1_sel:DWORD
	s_and_saveexec_b64 s[34:35], s[4:5]
	s_cbranch_execz .LBB250_75
; %bb.70:                               ;   in Loop: Header=BB250_9 Depth=1
	v_cmp_ne_u16_sdwa s[4:5], v1, s42 src0_sel:BYTE_0 src1_sel:DWORD
	v_mov_b32_e32 v28, 0x8000
	s_and_saveexec_b64 s[36:37], s[4:5]
	s_cbranch_execz .LBB250_74
; %bb.71:                               ;   in Loop: Header=BB250_9 Depth=1
	v_and_b32_e32 v30, 0x7f, v1
	v_cmp_ne_u32_e64 s[4:5], s43, v30
	v_mov_b32_e32 v28, 0x7c01
	s_and_saveexec_b64 s[38:39], s[4:5]
	s_cbranch_execz .LBB250_73
; %bb.72:                               ;   in Loop: Header=BB250_9 Depth=1
	v_and_b32_e32 v28, 7, v1
	v_ffbh_u32_e32 v31, v28
	v_min_u32_e32 v34, 32, v31
	v_subrev_u32_e32 v31, 28, v34
	v_lshlrev_b64 v[31:32], v31, v[1:2]
	v_lshrrev_b32_e32 v33, 3, v30
	v_sub_u32_e32 v32, 29, v34
	v_cmp_gt_u32_e64 s[4:5], 8, v30
	v_cndmask_b32_e64 v30, v33, v32, s[4:5]
	v_lshl_add_u32 v30, v30, 10, v16
	v_lshlrev_b32_e32 v32, 8, v1
	v_and_b32_e32 v31, 7, v31
	v_and_b32_e32 v30, 0xfc00, v30
	v_cndmask_b32_e64 v28, v28, v31, s[4:5]
	v_and_or_b32 v30, v32, s44, v30
	v_lshl_or_b32 v28, v28, 7, v30
.LBB250_73:                             ;   in Loop: Header=BB250_9 Depth=1
	s_or_b64 exec, exec, s[38:39]
.LBB250_74:                             ;   in Loop: Header=BB250_9 Depth=1
	s_or_b64 exec, exec, s[36:37]
.LBB250_75:                             ;   in Loop: Header=BB250_9 Depth=1
	s_or_b64 exec, exec, s[34:35]
	v_lshrrev_b16_e32 v1, 8, v1
	v_cmp_ne_u16_e64 s[4:5], 0, v1
	v_mov_b32_e32 v30, 0
	v_mov_b32_e32 v31, 0
	s_and_saveexec_b64 s[34:35], s[4:5]
	s_cbranch_execz .LBB250_81
; %bb.76:                               ;   in Loop: Header=BB250_9 Depth=1
	v_cmp_ne_u16_e64 s[4:5], s42, v1
	v_bfrev_b32_e32 v31, 1
	s_and_saveexec_b64 s[36:37], s[4:5]
	s_cbranch_execz .LBB250_80
; %bb.77:                               ;   in Loop: Header=BB250_9 Depth=1
	v_and_b32_e32 v32, 0x7f, v1
	v_cmp_ne_u32_e64 s[4:5], s43, v32
	v_mov_b32_e32 v31, 0x7c010000
	s_and_saveexec_b64 s[38:39], s[4:5]
	s_cbranch_execz .LBB250_79
; %bb.78:                               ;   in Loop: Header=BB250_9 Depth=1
	v_and_b32_e32 v31, 7, v1
	v_ffbh_u32_e32 v33, v31
	v_min_u32_e32 v36, 32, v33
	v_subrev_u32_e32 v33, 28, v36
	v_lshlrev_b64 v[33:34], v33, v[1:2]
	v_lshrrev_b32_e32 v35, 3, v32
	v_sub_u32_e32 v34, 29, v36
	v_cmp_gt_u32_e64 s[4:5], 8, v32
	v_cndmask_b32_e64 v32, v35, v34, s[4:5]
	v_lshlrev_b32_e32 v1, 8, v1
	v_lshl_add_u32 v32, v32, 10, v16
	v_and_b32_e32 v33, 7, v33
	v_and_or_b32 v1, v1, s44, v32
	v_cndmask_b32_e64 v31, v31, v33, s[4:5]
	v_lshlrev_b32_e32 v1, 16, v1
	v_lshl_or_b32 v31, v31, 23, v1
.LBB250_79:                             ;   in Loop: Header=BB250_9 Depth=1
	s_or_b64 exec, exec, s[38:39]
.LBB250_80:                             ;   in Loop: Header=BB250_9 Depth=1
	s_or_b64 exec, exec, s[36:37]
.LBB250_81:                             ;   in Loop: Header=BB250_9 Depth=1
	s_or_b64 exec, exec, s[34:35]
	global_load_ushort v32, v[7:8], off offset:768
	s_waitcnt vmcnt(0)
	v_and_b32_e32 v1, 0xffff, v32
	v_cmp_ne_u16_sdwa s[4:5], v32, v2 src0_sel:BYTE_0 src1_sel:DWORD
	s_and_saveexec_b64 s[34:35], s[4:5]
	s_cbranch_execz .LBB250_87
; %bb.82:                               ;   in Loop: Header=BB250_9 Depth=1
	v_cmp_ne_u16_sdwa s[4:5], v1, s42 src0_sel:BYTE_0 src1_sel:DWORD
	v_mov_b32_e32 v30, 0x8000
	s_and_saveexec_b64 s[36:37], s[4:5]
	s_cbranch_execz .LBB250_86
; %bb.83:                               ;   in Loop: Header=BB250_9 Depth=1
	v_and_b32_e32 v32, 0x7f, v1
	v_cmp_ne_u32_e64 s[4:5], s43, v32
	v_mov_b32_e32 v30, 0x7c01
	s_and_saveexec_b64 s[38:39], s[4:5]
	s_cbranch_execz .LBB250_85
; %bb.84:                               ;   in Loop: Header=BB250_9 Depth=1
	v_and_b32_e32 v30, 7, v1
	v_ffbh_u32_e32 v33, v30
	v_min_u32_e32 v36, 32, v33
	v_subrev_u32_e32 v33, 28, v36
	v_lshlrev_b64 v[33:34], v33, v[1:2]
	v_lshrrev_b32_e32 v35, 3, v32
	v_sub_u32_e32 v34, 29, v36
	v_cmp_gt_u32_e64 s[4:5], 8, v32
	v_cndmask_b32_e64 v32, v35, v34, s[4:5]
	v_lshl_add_u32 v32, v32, 10, v16
	v_lshlrev_b32_e32 v34, 8, v1
	v_and_b32_e32 v33, 7, v33
	v_and_b32_e32 v32, 0xfc00, v32
	v_cndmask_b32_e64 v30, v30, v33, s[4:5]
	v_and_or_b32 v32, v34, s44, v32
	v_lshl_or_b32 v30, v30, 7, v32
.LBB250_85:                             ;   in Loop: Header=BB250_9 Depth=1
	s_or_b64 exec, exec, s[38:39]
.LBB250_86:                             ;   in Loop: Header=BB250_9 Depth=1
	s_or_b64 exec, exec, s[36:37]
.LBB250_87:                             ;   in Loop: Header=BB250_9 Depth=1
	s_or_b64 exec, exec, s[34:35]
	v_lshrrev_b16_e32 v1, 8, v1
	v_cmp_ne_u16_e64 s[4:5], 0, v1
	v_mov_b32_e32 v33, 0
	v_mov_b32_e32 v32, 0
	s_and_saveexec_b64 s[34:35], s[4:5]
	s_cbranch_execz .LBB250_93
; %bb.88:                               ;   in Loop: Header=BB250_9 Depth=1
	v_cmp_ne_u16_e64 s[4:5], s42, v1
	v_bfrev_b32_e32 v32, 1
	s_and_saveexec_b64 s[36:37], s[4:5]
	s_cbranch_execz .LBB250_92
; %bb.89:                               ;   in Loop: Header=BB250_9 Depth=1
	v_and_b32_e32 v34, 0x7f, v1
	v_cmp_ne_u32_e64 s[4:5], s43, v34
	v_mov_b32_e32 v32, 0x7c010000
	s_and_saveexec_b64 s[38:39], s[4:5]
	s_cbranch_execz .LBB250_91
; %bb.90:                               ;   in Loop: Header=BB250_9 Depth=1
	v_and_b32_e32 v32, 7, v1
	v_ffbh_u32_e32 v35, v32
	v_min_u32_e32 v38, 32, v35
	v_subrev_u32_e32 v35, 28, v38
	v_lshlrev_b64 v[35:36], v35, v[1:2]
	v_lshrrev_b32_e32 v37, 3, v34
	v_sub_u32_e32 v36, 29, v38
	v_cmp_gt_u32_e64 s[4:5], 8, v34
	v_cndmask_b32_e64 v34, v37, v36, s[4:5]
	v_lshlrev_b32_e32 v1, 8, v1
	v_lshl_add_u32 v34, v34, 10, v16
	v_and_b32_e32 v35, 7, v35
	v_and_or_b32 v1, v1, s44, v34
	v_cndmask_b32_e64 v32, v32, v35, s[4:5]
	v_lshlrev_b32_e32 v1, 16, v1
	v_lshl_or_b32 v32, v32, 23, v1
.LBB250_91:                             ;   in Loop: Header=BB250_9 Depth=1
	s_or_b64 exec, exec, s[38:39]
.LBB250_92:                             ;   in Loop: Header=BB250_9 Depth=1
	s_or_b64 exec, exec, s[36:37]
.LBB250_93:                             ;   in Loop: Header=BB250_9 Depth=1
	s_or_b64 exec, exec, s[34:35]
	global_load_ushort v34, v[7:8], off offset:776
	s_waitcnt vmcnt(0)
	v_and_b32_e32 v1, 0xffff, v34
	v_cmp_ne_u16_sdwa s[4:5], v34, v2 src0_sel:BYTE_0 src1_sel:DWORD
	s_and_saveexec_b64 s[34:35], s[4:5]
	s_cbranch_execz .LBB250_99
; %bb.94:                               ;   in Loop: Header=BB250_9 Depth=1
	v_cmp_ne_u16_sdwa s[4:5], v1, s42 src0_sel:BYTE_0 src1_sel:DWORD
	v_mov_b32_e32 v33, 0x8000
	s_and_saveexec_b64 s[36:37], s[4:5]
	s_cbranch_execz .LBB250_98
; %bb.95:                               ;   in Loop: Header=BB250_9 Depth=1
	v_and_b32_e32 v34, 0x7f, v1
	v_cmp_ne_u32_e64 s[4:5], s43, v34
	v_mov_b32_e32 v33, 0x7c01
	s_and_saveexec_b64 s[38:39], s[4:5]
	s_cbranch_execz .LBB250_97
; %bb.96:                               ;   in Loop: Header=BB250_9 Depth=1
	v_and_b32_e32 v33, 7, v1
	v_ffbh_u32_e32 v35, v33
	v_min_u32_e32 v38, 32, v35
	v_subrev_u32_e32 v35, 28, v38
	v_lshlrev_b64 v[35:36], v35, v[1:2]
	v_lshrrev_b32_e32 v37, 3, v34
	v_sub_u32_e32 v36, 29, v38
	v_cmp_gt_u32_e64 s[4:5], 8, v34
	v_cndmask_b32_e64 v34, v37, v36, s[4:5]
	v_lshl_add_u32 v34, v34, 10, v16
	v_lshlrev_b32_e32 v36, 8, v1
	v_and_b32_e32 v35, 7, v35
	v_and_b32_e32 v34, 0xfc00, v34
	v_cndmask_b32_e64 v33, v33, v35, s[4:5]
	v_and_or_b32 v34, v36, s44, v34
	v_lshl_or_b32 v33, v33, 7, v34
.LBB250_97:                             ;   in Loop: Header=BB250_9 Depth=1
	s_or_b64 exec, exec, s[38:39]
.LBB250_98:                             ;   in Loop: Header=BB250_9 Depth=1
	s_or_b64 exec, exec, s[36:37]
.LBB250_99:                             ;   in Loop: Header=BB250_9 Depth=1
	s_or_b64 exec, exec, s[34:35]
	v_lshrrev_b16_e32 v1, 8, v1
	v_cmp_ne_u16_e64 s[4:5], 0, v1
	v_mov_b32_e32 v35, 0
	v_mov_b32_e32 v34, 0
	s_and_saveexec_b64 s[34:35], s[4:5]
	s_cbranch_execz .LBB250_105
; %bb.100:                              ;   in Loop: Header=BB250_9 Depth=1
	v_cmp_ne_u16_e64 s[4:5], s42, v1
	v_bfrev_b32_e32 v34, 1
	s_and_saveexec_b64 s[36:37], s[4:5]
	s_cbranch_execz .LBB250_104
; %bb.101:                              ;   in Loop: Header=BB250_9 Depth=1
	v_and_b32_e32 v36, 0x7f, v1
	v_cmp_ne_u32_e64 s[4:5], s43, v36
	v_mov_b32_e32 v34, 0x7c010000
	s_and_saveexec_b64 s[38:39], s[4:5]
	s_cbranch_execz .LBB250_103
; %bb.102:                              ;   in Loop: Header=BB250_9 Depth=1
	v_and_b32_e32 v34, 7, v1
	v_ffbh_u32_e32 v37, v34
	v_min_u32_e32 v40, 32, v37
	v_subrev_u32_e32 v37, 28, v40
	v_lshlrev_b64 v[37:38], v37, v[1:2]
	v_lshrrev_b32_e32 v39, 3, v36
	v_sub_u32_e32 v38, 29, v40
	v_cmp_gt_u32_e64 s[4:5], 8, v36
	v_cndmask_b32_e64 v36, v39, v38, s[4:5]
	v_lshlrev_b32_e32 v1, 8, v1
	v_lshl_add_u32 v36, v36, 10, v16
	v_and_b32_e32 v37, 7, v37
	v_and_or_b32 v1, v1, s44, v36
	v_cndmask_b32_e64 v34, v34, v37, s[4:5]
	v_lshlrev_b32_e32 v1, 16, v1
	v_lshl_or_b32 v34, v34, 23, v1
.LBB250_103:                            ;   in Loop: Header=BB250_9 Depth=1
	s_or_b64 exec, exec, s[38:39]
.LBB250_104:                            ;   in Loop: Header=BB250_9 Depth=1
	s_or_b64 exec, exec, s[36:37]
.LBB250_105:                            ;   in Loop: Header=BB250_9 Depth=1
	s_or_b64 exec, exec, s[34:35]
	global_load_ushort v36, v[7:8], off offset:1024
	s_waitcnt vmcnt(0)
	v_and_b32_e32 v1, 0xffff, v36
	v_cmp_ne_u16_sdwa s[4:5], v36, v2 src0_sel:BYTE_0 src1_sel:DWORD
	s_and_saveexec_b64 s[34:35], s[4:5]
	s_cbranch_execz .LBB250_111
; %bb.106:                              ;   in Loop: Header=BB250_9 Depth=1
	v_cmp_ne_u16_sdwa s[4:5], v1, s42 src0_sel:BYTE_0 src1_sel:DWORD
	v_mov_b32_e32 v35, 0x8000
	s_and_saveexec_b64 s[36:37], s[4:5]
	s_cbranch_execz .LBB250_110
; %bb.107:                              ;   in Loop: Header=BB250_9 Depth=1
	v_and_b32_e32 v36, 0x7f, v1
	v_cmp_ne_u32_e64 s[4:5], s43, v36
	v_mov_b32_e32 v35, 0x7c01
	s_and_saveexec_b64 s[38:39], s[4:5]
	s_cbranch_execz .LBB250_109
; %bb.108:                              ;   in Loop: Header=BB250_9 Depth=1
	v_and_b32_e32 v35, 7, v1
	v_ffbh_u32_e32 v37, v35
	v_min_u32_e32 v40, 32, v37
	v_subrev_u32_e32 v37, 28, v40
	v_lshlrev_b64 v[37:38], v37, v[1:2]
	v_lshrrev_b32_e32 v39, 3, v36
	v_sub_u32_e32 v38, 29, v40
	v_cmp_gt_u32_e64 s[4:5], 8, v36
	v_cndmask_b32_e64 v36, v39, v38, s[4:5]
	v_lshl_add_u32 v36, v36, 10, v16
	v_lshlrev_b32_e32 v38, 8, v1
	v_and_b32_e32 v37, 7, v37
	v_and_b32_e32 v36, 0xfc00, v36
	v_cndmask_b32_e64 v35, v35, v37, s[4:5]
	v_and_or_b32 v36, v38, s44, v36
	v_lshl_or_b32 v35, v35, 7, v36
.LBB250_109:                            ;   in Loop: Header=BB250_9 Depth=1
	s_or_b64 exec, exec, s[38:39]
.LBB250_110:                            ;   in Loop: Header=BB250_9 Depth=1
	s_or_b64 exec, exec, s[36:37]
.LBB250_111:                            ;   in Loop: Header=BB250_9 Depth=1
	s_or_b64 exec, exec, s[34:35]
	v_lshrrev_b16_e32 v1, 8, v1
	v_cmp_ne_u16_e64 s[4:5], 0, v1
	v_mov_b32_e32 v37, 0
	v_mov_b32_e32 v36, 0
	s_and_saveexec_b64 s[34:35], s[4:5]
	s_cbranch_execz .LBB250_117
; %bb.112:                              ;   in Loop: Header=BB250_9 Depth=1
	v_cmp_ne_u16_e64 s[4:5], s42, v1
	v_bfrev_b32_e32 v36, 1
	s_and_saveexec_b64 s[36:37], s[4:5]
	s_cbranch_execz .LBB250_116
; %bb.113:                              ;   in Loop: Header=BB250_9 Depth=1
	v_and_b32_e32 v38, 0x7f, v1
	v_cmp_ne_u32_e64 s[4:5], s43, v38
	v_mov_b32_e32 v36, 0x7c010000
	s_and_saveexec_b64 s[38:39], s[4:5]
	s_cbranch_execz .LBB250_115
; %bb.114:                              ;   in Loop: Header=BB250_9 Depth=1
	v_and_b32_e32 v36, 7, v1
	v_ffbh_u32_e32 v39, v36
	v_min_u32_e32 v42, 32, v39
	v_subrev_u32_e32 v39, 28, v42
	v_lshlrev_b64 v[39:40], v39, v[1:2]
	v_lshrrev_b32_e32 v41, 3, v38
	v_sub_u32_e32 v40, 29, v42
	v_cmp_gt_u32_e64 s[4:5], 8, v38
	v_cndmask_b32_e64 v38, v41, v40, s[4:5]
	v_lshlrev_b32_e32 v1, 8, v1
	v_lshl_add_u32 v38, v38, 10, v16
	v_and_b32_e32 v39, 7, v39
	v_and_or_b32 v1, v1, s44, v38
	v_cndmask_b32_e64 v36, v36, v39, s[4:5]
	v_lshlrev_b32_e32 v1, 16, v1
	v_lshl_or_b32 v36, v36, 23, v1
.LBB250_115:                            ;   in Loop: Header=BB250_9 Depth=1
	s_or_b64 exec, exec, s[38:39]
.LBB250_116:                            ;   in Loop: Header=BB250_9 Depth=1
	s_or_b64 exec, exec, s[36:37]
.LBB250_117:                            ;   in Loop: Header=BB250_9 Depth=1
	s_or_b64 exec, exec, s[34:35]
	global_load_ushort v38, v[7:8], off offset:1032
	s_waitcnt vmcnt(0)
	v_and_b32_e32 v1, 0xffff, v38
	v_cmp_ne_u16_sdwa s[4:5], v38, v2 src0_sel:BYTE_0 src1_sel:DWORD
	s_and_saveexec_b64 s[34:35], s[4:5]
	s_cbranch_execz .LBB250_123
; %bb.118:                              ;   in Loop: Header=BB250_9 Depth=1
	v_cmp_ne_u16_sdwa s[4:5], v1, s42 src0_sel:BYTE_0 src1_sel:DWORD
	v_mov_b32_e32 v37, 0x8000
	s_and_saveexec_b64 s[36:37], s[4:5]
	s_cbranch_execz .LBB250_122
; %bb.119:                              ;   in Loop: Header=BB250_9 Depth=1
	v_and_b32_e32 v38, 0x7f, v1
	v_cmp_ne_u32_e64 s[4:5], s43, v38
	v_mov_b32_e32 v37, 0x7c01
	s_and_saveexec_b64 s[38:39], s[4:5]
	s_cbranch_execz .LBB250_121
; %bb.120:                              ;   in Loop: Header=BB250_9 Depth=1
	v_and_b32_e32 v37, 7, v1
	v_ffbh_u32_e32 v39, v37
	v_min_u32_e32 v42, 32, v39
	v_subrev_u32_e32 v39, 28, v42
	v_lshlrev_b64 v[39:40], v39, v[1:2]
	v_lshrrev_b32_e32 v41, 3, v38
	v_sub_u32_e32 v40, 29, v42
	v_cmp_gt_u32_e64 s[4:5], 8, v38
	v_cndmask_b32_e64 v38, v41, v40, s[4:5]
	v_lshl_add_u32 v38, v38, 10, v16
	v_lshlrev_b32_e32 v40, 8, v1
	v_and_b32_e32 v39, 7, v39
	v_and_b32_e32 v38, 0xfc00, v38
	v_cndmask_b32_e64 v37, v37, v39, s[4:5]
	v_and_or_b32 v38, v40, s44, v38
	v_lshl_or_b32 v37, v37, 7, v38
.LBB250_121:                            ;   in Loop: Header=BB250_9 Depth=1
	s_or_b64 exec, exec, s[38:39]
.LBB250_122:                            ;   in Loop: Header=BB250_9 Depth=1
	s_or_b64 exec, exec, s[36:37]
.LBB250_123:                            ;   in Loop: Header=BB250_9 Depth=1
	s_or_b64 exec, exec, s[34:35]
	v_lshrrev_b16_e32 v1, 8, v1
	v_cmp_ne_u16_e64 s[4:5], 0, v1
	v_mov_b32_e32 v39, 0
	v_mov_b32_e32 v38, 0
	s_and_saveexec_b64 s[34:35], s[4:5]
	s_cbranch_execz .LBB250_129
; %bb.124:                              ;   in Loop: Header=BB250_9 Depth=1
	v_cmp_ne_u16_e64 s[4:5], s42, v1
	v_bfrev_b32_e32 v38, 1
	s_and_saveexec_b64 s[36:37], s[4:5]
	s_cbranch_execz .LBB250_128
; %bb.125:                              ;   in Loop: Header=BB250_9 Depth=1
	v_and_b32_e32 v40, 0x7f, v1
	v_cmp_ne_u32_e64 s[4:5], s43, v40
	v_mov_b32_e32 v38, 0x7c010000
	s_and_saveexec_b64 s[38:39], s[4:5]
	s_cbranch_execz .LBB250_127
; %bb.126:                              ;   in Loop: Header=BB250_9 Depth=1
	v_and_b32_e32 v38, 7, v1
	v_ffbh_u32_e32 v41, v38
	v_min_u32_e32 v44, 32, v41
	v_subrev_u32_e32 v41, 28, v44
	v_lshlrev_b64 v[41:42], v41, v[1:2]
	v_lshrrev_b32_e32 v43, 3, v40
	v_sub_u32_e32 v42, 29, v44
	v_cmp_gt_u32_e64 s[4:5], 8, v40
	v_cndmask_b32_e64 v40, v43, v42, s[4:5]
	v_lshlrev_b32_e32 v1, 8, v1
	v_lshl_add_u32 v40, v40, 10, v16
	v_and_b32_e32 v41, 7, v41
	v_and_or_b32 v1, v1, s44, v40
	v_cndmask_b32_e64 v38, v38, v41, s[4:5]
	v_lshlrev_b32_e32 v1, 16, v1
	v_lshl_or_b32 v38, v38, 23, v1
.LBB250_127:                            ;   in Loop: Header=BB250_9 Depth=1
	s_or_b64 exec, exec, s[38:39]
.LBB250_128:                            ;   in Loop: Header=BB250_9 Depth=1
	s_or_b64 exec, exec, s[36:37]
.LBB250_129:                            ;   in Loop: Header=BB250_9 Depth=1
	s_or_b64 exec, exec, s[34:35]
	global_load_ushort v40, v[7:8], off offset:1280
	s_waitcnt vmcnt(0)
	v_and_b32_e32 v1, 0xffff, v40
	v_cmp_ne_u16_sdwa s[4:5], v40, v2 src0_sel:BYTE_0 src1_sel:DWORD
	s_and_saveexec_b64 s[34:35], s[4:5]
	s_cbranch_execz .LBB250_135
; %bb.130:                              ;   in Loop: Header=BB250_9 Depth=1
	v_cmp_ne_u16_sdwa s[4:5], v1, s42 src0_sel:BYTE_0 src1_sel:DWORD
	v_mov_b32_e32 v39, 0x8000
	s_and_saveexec_b64 s[36:37], s[4:5]
	s_cbranch_execz .LBB250_134
; %bb.131:                              ;   in Loop: Header=BB250_9 Depth=1
	v_and_b32_e32 v40, 0x7f, v1
	v_cmp_ne_u32_e64 s[4:5], s43, v40
	v_mov_b32_e32 v39, 0x7c01
	s_and_saveexec_b64 s[38:39], s[4:5]
	s_cbranch_execz .LBB250_133
; %bb.132:                              ;   in Loop: Header=BB250_9 Depth=1
	v_and_b32_e32 v39, 7, v1
	v_ffbh_u32_e32 v41, v39
	v_min_u32_e32 v44, 32, v41
	v_subrev_u32_e32 v41, 28, v44
	v_lshlrev_b64 v[41:42], v41, v[1:2]
	v_lshrrev_b32_e32 v43, 3, v40
	v_sub_u32_e32 v42, 29, v44
	v_cmp_gt_u32_e64 s[4:5], 8, v40
	v_cndmask_b32_e64 v40, v43, v42, s[4:5]
	v_lshl_add_u32 v40, v40, 10, v16
	v_lshlrev_b32_e32 v42, 8, v1
	v_and_b32_e32 v41, 7, v41
	v_and_b32_e32 v40, 0xfc00, v40
	v_cndmask_b32_e64 v39, v39, v41, s[4:5]
	v_and_or_b32 v40, v42, s44, v40
	v_lshl_or_b32 v39, v39, 7, v40
.LBB250_133:                            ;   in Loop: Header=BB250_9 Depth=1
	s_or_b64 exec, exec, s[38:39]
.LBB250_134:                            ;   in Loop: Header=BB250_9 Depth=1
	s_or_b64 exec, exec, s[36:37]
.LBB250_135:                            ;   in Loop: Header=BB250_9 Depth=1
	s_or_b64 exec, exec, s[34:35]
	v_lshrrev_b16_e32 v1, 8, v1
	v_cmp_ne_u16_e64 s[4:5], 0, v1
	v_mov_b32_e32 v41, 0
	v_mov_b32_e32 v40, 0
	s_and_saveexec_b64 s[34:35], s[4:5]
	s_cbranch_execz .LBB250_141
; %bb.136:                              ;   in Loop: Header=BB250_9 Depth=1
	v_cmp_ne_u16_e64 s[4:5], s42, v1
	v_bfrev_b32_e32 v40, 1
	s_and_saveexec_b64 s[36:37], s[4:5]
	s_cbranch_execz .LBB250_140
; %bb.137:                              ;   in Loop: Header=BB250_9 Depth=1
	v_and_b32_e32 v42, 0x7f, v1
	v_cmp_ne_u32_e64 s[4:5], s43, v42
	v_mov_b32_e32 v40, 0x7c010000
	s_and_saveexec_b64 s[38:39], s[4:5]
	s_cbranch_execz .LBB250_139
; %bb.138:                              ;   in Loop: Header=BB250_9 Depth=1
	v_and_b32_e32 v40, 7, v1
	v_ffbh_u32_e32 v43, v40
	v_min_u32_e32 v46, 32, v43
	v_subrev_u32_e32 v43, 28, v46
	v_lshlrev_b64 v[43:44], v43, v[1:2]
	v_lshrrev_b32_e32 v45, 3, v42
	v_sub_u32_e32 v44, 29, v46
	v_cmp_gt_u32_e64 s[4:5], 8, v42
	v_cndmask_b32_e64 v42, v45, v44, s[4:5]
	v_lshlrev_b32_e32 v1, 8, v1
	v_lshl_add_u32 v42, v42, 10, v16
	v_and_b32_e32 v43, 7, v43
	v_and_or_b32 v1, v1, s44, v42
	v_cndmask_b32_e64 v40, v40, v43, s[4:5]
	v_lshlrev_b32_e32 v1, 16, v1
	v_lshl_or_b32 v40, v40, 23, v1
.LBB250_139:                            ;   in Loop: Header=BB250_9 Depth=1
	s_or_b64 exec, exec, s[38:39]
.LBB250_140:                            ;   in Loop: Header=BB250_9 Depth=1
	s_or_b64 exec, exec, s[36:37]
.LBB250_141:                            ;   in Loop: Header=BB250_9 Depth=1
	s_or_b64 exec, exec, s[34:35]
	global_load_ushort v42, v[7:8], off offset:1288
	s_waitcnt vmcnt(0)
	v_and_b32_e32 v1, 0xffff, v42
	v_cmp_ne_u16_sdwa s[4:5], v42, v2 src0_sel:BYTE_0 src1_sel:DWORD
	s_and_saveexec_b64 s[34:35], s[4:5]
	s_cbranch_execz .LBB250_147
; %bb.142:                              ;   in Loop: Header=BB250_9 Depth=1
	v_cmp_ne_u16_sdwa s[4:5], v1, s42 src0_sel:BYTE_0 src1_sel:DWORD
	v_mov_b32_e32 v41, 0x8000
	s_and_saveexec_b64 s[36:37], s[4:5]
	s_cbranch_execz .LBB250_146
; %bb.143:                              ;   in Loop: Header=BB250_9 Depth=1
	v_and_b32_e32 v42, 0x7f, v1
	v_cmp_ne_u32_e64 s[4:5], s43, v42
	v_mov_b32_e32 v41, 0x7c01
	s_and_saveexec_b64 s[38:39], s[4:5]
	s_cbranch_execz .LBB250_145
; %bb.144:                              ;   in Loop: Header=BB250_9 Depth=1
	v_and_b32_e32 v41, 7, v1
	v_ffbh_u32_e32 v43, v41
	v_min_u32_e32 v46, 32, v43
	v_subrev_u32_e32 v43, 28, v46
	v_lshlrev_b64 v[43:44], v43, v[1:2]
	v_lshrrev_b32_e32 v45, 3, v42
	v_sub_u32_e32 v44, 29, v46
	v_cmp_gt_u32_e64 s[4:5], 8, v42
	v_cndmask_b32_e64 v42, v45, v44, s[4:5]
	v_lshl_add_u32 v42, v42, 10, v16
	v_lshlrev_b32_e32 v44, 8, v1
	v_and_b32_e32 v43, 7, v43
	v_and_b32_e32 v42, 0xfc00, v42
	v_cndmask_b32_e64 v41, v41, v43, s[4:5]
	v_and_or_b32 v42, v44, s44, v42
	v_lshl_or_b32 v41, v41, 7, v42
.LBB250_145:                            ;   in Loop: Header=BB250_9 Depth=1
	s_or_b64 exec, exec, s[38:39]
.LBB250_146:                            ;   in Loop: Header=BB250_9 Depth=1
	s_or_b64 exec, exec, s[36:37]
.LBB250_147:                            ;   in Loop: Header=BB250_9 Depth=1
	s_or_b64 exec, exec, s[34:35]
	v_lshrrev_b16_e32 v1, 8, v1
	v_cmp_ne_u16_e64 s[4:5], 0, v1
	v_mov_b32_e32 v43, 0
	v_mov_b32_e32 v42, 0
	s_and_saveexec_b64 s[34:35], s[4:5]
	s_cbranch_execz .LBB250_153
; %bb.148:                              ;   in Loop: Header=BB250_9 Depth=1
	v_cmp_ne_u16_e64 s[4:5], s42, v1
	v_bfrev_b32_e32 v42, 1
	s_and_saveexec_b64 s[36:37], s[4:5]
	s_cbranch_execz .LBB250_152
; %bb.149:                              ;   in Loop: Header=BB250_9 Depth=1
	v_and_b32_e32 v44, 0x7f, v1
	v_cmp_ne_u32_e64 s[4:5], s43, v44
	v_mov_b32_e32 v42, 0x7c010000
	s_and_saveexec_b64 s[38:39], s[4:5]
	s_cbranch_execz .LBB250_151
; %bb.150:                              ;   in Loop: Header=BB250_9 Depth=1
	v_and_b32_e32 v42, 7, v1
	v_ffbh_u32_e32 v45, v42
	v_min_u32_e32 v48, 32, v45
	v_subrev_u32_e32 v45, 28, v48
	v_lshlrev_b64 v[45:46], v45, v[1:2]
	v_lshrrev_b32_e32 v47, 3, v44
	v_sub_u32_e32 v46, 29, v48
	v_cmp_gt_u32_e64 s[4:5], 8, v44
	v_cndmask_b32_e64 v44, v47, v46, s[4:5]
	v_lshlrev_b32_e32 v1, 8, v1
	v_lshl_add_u32 v44, v44, 10, v16
	v_and_b32_e32 v45, 7, v45
	v_and_or_b32 v1, v1, s44, v44
	v_cndmask_b32_e64 v42, v42, v45, s[4:5]
	v_lshlrev_b32_e32 v1, 16, v1
	v_lshl_or_b32 v42, v42, 23, v1
.LBB250_151:                            ;   in Loop: Header=BB250_9 Depth=1
	s_or_b64 exec, exec, s[38:39]
.LBB250_152:                            ;   in Loop: Header=BB250_9 Depth=1
	s_or_b64 exec, exec, s[36:37]
.LBB250_153:                            ;   in Loop: Header=BB250_9 Depth=1
	s_or_b64 exec, exec, s[34:35]
	global_load_ushort v44, v[7:8], off offset:1536
	s_waitcnt vmcnt(0)
	v_and_b32_e32 v1, 0xffff, v44
	v_cmp_ne_u16_sdwa s[4:5], v44, v2 src0_sel:BYTE_0 src1_sel:DWORD
	s_and_saveexec_b64 s[34:35], s[4:5]
	s_cbranch_execz .LBB250_159
; %bb.154:                              ;   in Loop: Header=BB250_9 Depth=1
	v_cmp_ne_u16_sdwa s[4:5], v1, s42 src0_sel:BYTE_0 src1_sel:DWORD
	v_mov_b32_e32 v43, 0x8000
	s_and_saveexec_b64 s[36:37], s[4:5]
	s_cbranch_execz .LBB250_158
; %bb.155:                              ;   in Loop: Header=BB250_9 Depth=1
	v_and_b32_e32 v44, 0x7f, v1
	v_cmp_ne_u32_e64 s[4:5], s43, v44
	v_mov_b32_e32 v43, 0x7c01
	s_and_saveexec_b64 s[38:39], s[4:5]
	s_cbranch_execz .LBB250_157
; %bb.156:                              ;   in Loop: Header=BB250_9 Depth=1
	v_and_b32_e32 v43, 7, v1
	v_ffbh_u32_e32 v45, v43
	v_min_u32_e32 v48, 32, v45
	v_subrev_u32_e32 v45, 28, v48
	v_lshlrev_b64 v[45:46], v45, v[1:2]
	v_lshrrev_b32_e32 v47, 3, v44
	v_sub_u32_e32 v46, 29, v48
	v_cmp_gt_u32_e64 s[4:5], 8, v44
	v_cndmask_b32_e64 v44, v47, v46, s[4:5]
	v_lshl_add_u32 v44, v44, 10, v16
	v_lshlrev_b32_e32 v46, 8, v1
	v_and_b32_e32 v45, 7, v45
	v_and_b32_e32 v44, 0xfc00, v44
	v_cndmask_b32_e64 v43, v43, v45, s[4:5]
	v_and_or_b32 v44, v46, s44, v44
	v_lshl_or_b32 v43, v43, 7, v44
.LBB250_157:                            ;   in Loop: Header=BB250_9 Depth=1
	s_or_b64 exec, exec, s[38:39]
.LBB250_158:                            ;   in Loop: Header=BB250_9 Depth=1
	s_or_b64 exec, exec, s[36:37]
.LBB250_159:                            ;   in Loop: Header=BB250_9 Depth=1
	s_or_b64 exec, exec, s[34:35]
	v_lshrrev_b16_e32 v1, 8, v1
	v_cmp_ne_u16_e64 s[4:5], 0, v1
	v_mov_b32_e32 v46, 0
	v_mov_b32_e32 v45, 0
	s_and_saveexec_b64 s[34:35], s[4:5]
	s_cbranch_execz .LBB250_165
; %bb.160:                              ;   in Loop: Header=BB250_9 Depth=1
	v_cmp_ne_u16_e64 s[4:5], s42, v1
	v_bfrev_b32_e32 v45, 1
	s_and_saveexec_b64 s[36:37], s[4:5]
	s_cbranch_execz .LBB250_164
; %bb.161:                              ;   in Loop: Header=BB250_9 Depth=1
	v_and_b32_e32 v44, 0x7f, v1
	v_cmp_ne_u32_e64 s[4:5], s43, v44
	v_mov_b32_e32 v45, 0x7c010000
	s_and_saveexec_b64 s[38:39], s[4:5]
	s_cbranch_execz .LBB250_163
; %bb.162:                              ;   in Loop: Header=BB250_9 Depth=1
	v_and_b32_e32 v45, 7, v1
	v_ffbh_u32_e32 v47, v45
	v_min_u32_e32 v50, 32, v47
	v_subrev_u32_e32 v47, 28, v50
	v_lshlrev_b64 v[47:48], v47, v[1:2]
	v_lshrrev_b32_e32 v49, 3, v44
	v_sub_u32_e32 v48, 29, v50
	v_cmp_gt_u32_e64 s[4:5], 8, v44
	v_cndmask_b32_e64 v44, v49, v48, s[4:5]
	v_lshlrev_b32_e32 v1, 8, v1
	v_lshl_add_u32 v44, v44, 10, v16
	v_and_b32_e32 v47, 7, v47
	v_and_or_b32 v1, v1, s44, v44
	v_cndmask_b32_e64 v45, v45, v47, s[4:5]
	v_lshlrev_b32_e32 v1, 16, v1
	v_lshl_or_b32 v45, v45, 23, v1
.LBB250_163:                            ;   in Loop: Header=BB250_9 Depth=1
	s_or_b64 exec, exec, s[38:39]
.LBB250_164:                            ;   in Loop: Header=BB250_9 Depth=1
	s_or_b64 exec, exec, s[36:37]
.LBB250_165:                            ;   in Loop: Header=BB250_9 Depth=1
	s_or_b64 exec, exec, s[34:35]
	global_load_ushort v44, v[7:8], off offset:1544
	s_waitcnt vmcnt(0)
	v_and_b32_e32 v1, 0xffff, v44
	v_cmp_ne_u16_sdwa s[4:5], v44, v2 src0_sel:BYTE_0 src1_sel:DWORD
	s_and_saveexec_b64 s[34:35], s[4:5]
	s_cbranch_execz .LBB250_171
; %bb.166:                              ;   in Loop: Header=BB250_9 Depth=1
	v_cmp_ne_u16_sdwa s[4:5], v1, s42 src0_sel:BYTE_0 src1_sel:DWORD
	v_mov_b32_e32 v46, 0x8000
	s_and_saveexec_b64 s[36:37], s[4:5]
	s_cbranch_execz .LBB250_170
; %bb.167:                              ;   in Loop: Header=BB250_9 Depth=1
	v_and_b32_e32 v44, 0x7f, v1
	v_cmp_ne_u32_e64 s[4:5], s43, v44
	v_mov_b32_e32 v46, 0x7c01
	s_and_saveexec_b64 s[38:39], s[4:5]
	s_cbranch_execz .LBB250_169
; %bb.168:                              ;   in Loop: Header=BB250_9 Depth=1
	v_and_b32_e32 v48, 7, v1
	v_ffbh_u32_e32 v46, v48
	v_min_u32_e32 v50, 32, v46
	v_subrev_u32_e32 v46, 28, v50
	v_lshlrev_b64 v[46:47], v46, v[1:2]
	v_lshrrev_b32_e32 v49, 3, v44
	v_sub_u32_e32 v47, 29, v50
	v_cmp_gt_u32_e64 s[4:5], 8, v44
	v_cndmask_b32_e64 v44, v49, v47, s[4:5]
	v_lshl_add_u32 v44, v44, 10, v16
	v_lshlrev_b32_e32 v47, 8, v1
	v_and_b32_e32 v46, 7, v46
	v_and_b32_e32 v44, 0xfc00, v44
	v_cndmask_b32_e64 v46, v48, v46, s[4:5]
	v_and_or_b32 v44, v47, s44, v44
	v_lshl_or_b32 v46, v46, 7, v44
.LBB250_169:                            ;   in Loop: Header=BB250_9 Depth=1
	s_or_b64 exec, exec, s[38:39]
.LBB250_170:                            ;   in Loop: Header=BB250_9 Depth=1
	s_or_b64 exec, exec, s[36:37]
.LBB250_171:                            ;   in Loop: Header=BB250_9 Depth=1
	s_or_b64 exec, exec, s[34:35]
	v_lshrrev_b16_e32 v1, 8, v1
	v_cmp_ne_u16_e64 s[4:5], 0, v1
	v_mov_b32_e32 v44, 0
	v_mov_b32_e32 v48, 0
	s_and_saveexec_b64 s[34:35], s[4:5]
	s_cbranch_execz .LBB250_177
; %bb.172:                              ;   in Loop: Header=BB250_9 Depth=1
	v_cmp_ne_u16_e64 s[4:5], s42, v1
	v_bfrev_b32_e32 v48, 1
	s_and_saveexec_b64 s[36:37], s[4:5]
	s_cbranch_execz .LBB250_176
; %bb.173:                              ;   in Loop: Header=BB250_9 Depth=1
	v_and_b32_e32 v47, 0x7f, v1
	v_cmp_ne_u32_e64 s[4:5], s43, v47
	v_mov_b32_e32 v48, 0x7c010000
	s_and_saveexec_b64 s[38:39], s[4:5]
	s_cbranch_execz .LBB250_175
; %bb.174:                              ;   in Loop: Header=BB250_9 Depth=1
	v_and_b32_e32 v50, 7, v1
	v_ffbh_u32_e32 v48, v50
	v_min_u32_e32 v52, 32, v48
	v_subrev_u32_e32 v48, 28, v52
	v_lshlrev_b64 v[48:49], v48, v[1:2]
	v_lshrrev_b32_e32 v51, 3, v47
	v_sub_u32_e32 v49, 29, v52
	v_cmp_gt_u32_e64 s[4:5], 8, v47
	v_cndmask_b32_e64 v47, v51, v49, s[4:5]
	v_lshlrev_b32_e32 v1, 8, v1
	v_lshl_add_u32 v47, v47, 10, v16
	v_and_b32_e32 v48, 7, v48
	v_and_or_b32 v1, v1, s44, v47
	v_cndmask_b32_e64 v48, v50, v48, s[4:5]
	v_lshlrev_b32_e32 v1, 16, v1
	v_lshl_or_b32 v48, v48, 23, v1
.LBB250_175:                            ;   in Loop: Header=BB250_9 Depth=1
	s_or_b64 exec, exec, s[38:39]
.LBB250_176:                            ;   in Loop: Header=BB250_9 Depth=1
	s_or_b64 exec, exec, s[36:37]
.LBB250_177:                            ;   in Loop: Header=BB250_9 Depth=1
	s_or_b64 exec, exec, s[34:35]
	global_load_ushort v7, v[7:8], off offset:1792
	s_waitcnt vmcnt(0)
	v_and_b32_e32 v1, 0xffff, v7
	v_cmp_ne_u16_sdwa s[4:5], v7, v2 src0_sel:BYTE_0 src1_sel:DWORD
	s_and_saveexec_b64 s[34:35], s[4:5]
	s_cbranch_execz .LBB250_183
; %bb.178:                              ;   in Loop: Header=BB250_9 Depth=1
	v_cmp_ne_u16_sdwa s[4:5], v1, s42 src0_sel:BYTE_0 src1_sel:DWORD
	v_mov_b32_e32 v44, 0x8000
	s_and_saveexec_b64 s[36:37], s[4:5]
	s_cbranch_execz .LBB250_182
; %bb.179:                              ;   in Loop: Header=BB250_9 Depth=1
	v_and_b32_e32 v7, 0x7f, v1
	v_cmp_ne_u32_e64 s[4:5], s43, v7
	v_mov_b32_e32 v44, 0x7c01
	s_and_saveexec_b64 s[38:39], s[4:5]
	s_cbranch_execz .LBB250_181
; %bb.180:                              ;   in Loop: Header=BB250_9 Depth=1
	v_and_b32_e32 v8, 7, v1
	v_ffbh_u32_e32 v47, v8
	v_min_u32_e32 v47, 32, v47
	v_lshrrev_b32_e32 v44, 3, v7
	v_subrev_u32_e32 v49, 28, v47
	v_sub_u32_e32 v47, 29, v47
	v_cmp_gt_u32_e64 s[4:5], 8, v7
	v_lshlrev_b64 v[49:50], v49, v[1:2]
	v_cndmask_b32_e64 v7, v44, v47, s[4:5]
	v_lshl_add_u32 v7, v7, 10, v16
	v_lshlrev_b32_e32 v44, 8, v1
	v_and_b32_e32 v47, 7, v49
	v_and_b32_e32 v7, 0xfc00, v7
	v_cndmask_b32_e64 v8, v8, v47, s[4:5]
	v_and_or_b32 v7, v44, s44, v7
	v_lshl_or_b32 v44, v8, 7, v7
.LBB250_181:                            ;   in Loop: Header=BB250_9 Depth=1
	s_or_b64 exec, exec, s[38:39]
.LBB250_182:                            ;   in Loop: Header=BB250_9 Depth=1
	s_or_b64 exec, exec, s[36:37]
.LBB250_183:                            ;   in Loop: Header=BB250_9 Depth=1
	s_or_b64 exec, exec, s[34:35]
	v_lshrrev_b16_e32 v1, 8, v1
	v_cmp_ne_u16_e64 s[4:5], 0, v1
	v_mov_b32_e32 v47, 0
	s_and_saveexec_b64 s[34:35], s[4:5]
	s_cbranch_execz .LBB250_189
; %bb.184:                              ;   in Loop: Header=BB250_9 Depth=1
	v_cmp_ne_u16_e64 s[4:5], s42, v1
	v_bfrev_b32_e32 v47, 1
	s_and_saveexec_b64 s[36:37], s[4:5]
	s_cbranch_execz .LBB250_188
; %bb.185:                              ;   in Loop: Header=BB250_9 Depth=1
	v_and_b32_e32 v7, 0x7f, v1
	v_cmp_ne_u32_e64 s[4:5], s43, v7
	v_mov_b32_e32 v47, 0x7c010000
	s_and_saveexec_b64 s[38:39], s[4:5]
	s_cbranch_execz .LBB250_187
; %bb.186:                              ;   in Loop: Header=BB250_9 Depth=1
	v_and_b32_e32 v8, 7, v1
	v_ffbh_u32_e32 v49, v8
	v_min_u32_e32 v51, 32, v49
	v_subrev_u32_e32 v49, 28, v51
	v_lshlrev_b64 v[49:50], v49, v[1:2]
	v_lshrrev_b32_e32 v47, 3, v7
	v_sub_u32_e32 v50, 29, v51
	v_cmp_gt_u32_e64 s[4:5], 8, v7
	v_cndmask_b32_e64 v7, v47, v50, s[4:5]
	v_lshlrev_b32_e32 v1, 8, v1
	v_lshl_add_u32 v7, v7, 10, v16
	v_and_b32_e32 v47, 7, v49
	v_and_or_b32 v1, v1, s44, v7
	v_cndmask_b32_e64 v8, v8, v47, s[4:5]
	v_lshlrev_b32_e32 v1, 16, v1
	v_lshl_or_b32 v47, v8, 23, v1
.LBB250_187:                            ;   in Loop: Header=BB250_9 Depth=1
	s_or_b64 exec, exec, s[38:39]
.LBB250_188:                            ;   in Loop: Header=BB250_9 Depth=1
	s_or_b64 exec, exec, s[36:37]
.LBB250_189:                            ;   in Loop: Header=BB250_9 Depth=1
	s_or_b64 exec, exec, s[34:35]
	v_or_b32_e32 v8, v45, v43
	v_or_b32_e32 v41, v42, v41
	;; [unrolled: 1-line block ×3, first 2 shown]
	v_fma_mixlo_f16 v43, v18, v8, 0 op_sel_hi:[0,1,0]
	v_fma_mixlo_f16 v8, v18, v45, 0 op_sel:[0,1,0] op_sel_hi:[0,1,0]
	v_fma_mixlo_f16 v45, v18, v41, 0 op_sel_hi:[0,1,0]
	v_fma_mixlo_f16 v41, v18, v42, 0 op_sel:[0,1,0] op_sel_hi:[0,1,0]
	;; [unrolled: 2-line block ×3, first 2 shown]
	ds_read_b32 v40, v12
	v_or_b32_e32 v19, v21, v19
	v_or_b32_e32 v1, v48, v46
	v_fma_mixlo_f16 v19, v18, v19, 0 op_sel_hi:[0,1,0]
	v_fma_mixlo_f16 v7, v18, v1, 0 op_sel_hi:[0,1,0]
	v_fma_mixlo_f16 v1, v18, v48, 0 op_sel:[0,1,0] op_sel_hi:[0,1,0]
	v_fma_mixlo_f16 v48, v18, v21, 0 op_sel:[0,1,0] op_sel_hi:[0,1,0]
	s_waitcnt lgkmcnt(0)
	v_lshrrev_b32_e32 v46, 16, v40
	v_and_b32_e32 v21, 0xffff, v40
	v_and_b32_e32 v19, 0xffff, v19
	;;#ASMSTART
	v_cvt_f32_f16 v21, v21;
	;;#ASMEND
	;;#ASMSTART
	v_cvt_f32_f16 v40, v46;
	;;#ASMEND
	;; [unrolled: 3-line block ×3, first 2 shown]
	v_and_b32_e32 v19, 0xffff, v48
	;;#ASMSTART
	v_cvt_f32_f16 v48, v19;
	;;#ASMEND
	ds_read_b32 v49, v12 offset:4
	v_or_b32_e32 v20, v23, v20
	v_fma_mixlo_f16 v20, v18, v20, 0 op_sel_hi:[0,1,0]
	v_or_b32_e32 v37, v38, v37
	v_fma_mixlo_f16 v19, v18, v38, 0 op_sel:[0,1,0] op_sel_hi:[0,1,0]
	v_fma_mixlo_f16 v50, v18, v23, 0 op_sel:[0,1,0] op_sel_hi:[0,1,0]
	s_waitcnt lgkmcnt(0)
	v_lshrrev_b32_e32 v38, 16, v49
	v_and_b32_e32 v23, 0xffff, v49
	v_and_b32_e32 v20, 0xffff, v20
	;;#ASMSTART
	v_cvt_f32_f16 v23, v23;
	;;#ASMEND
	;;#ASMSTART
	v_cvt_f32_f16 v38, v38;
	;;#ASMEND
	;; [unrolled: 3-line block ×3, first 2 shown]
	v_and_b32_e32 v20, 0xffff, v50
	;;#ASMSTART
	v_cvt_f32_f16 v50, v20;
	;;#ASMEND
	ds_read_b32 v20, v12 offset:8
	v_or_b32_e32 v22, v25, v22
	v_or_b32_e32 v53, v36, v35
	v_fma_mixlo_f16 v22, v18, v22, 0 op_sel_hi:[0,1,0]
	v_fma_mixlo_f16 v52, v18, v25, 0 op_sel:[0,1,0] op_sel_hi:[0,1,0]
	s_waitcnt lgkmcnt(0)
	v_lshrrev_b32_e32 v35, 16, v20
	v_and_b32_e32 v20, 0xffff, v20
	;;#ASMSTART
	v_cvt_f32_f16 v25, v20;
	;;#ASMEND
	v_and_b32_e32 v20, 0xffff, v22
	;;#ASMSTART
	v_cvt_f32_f16 v35, v35;
	;;#ASMEND
	;;#ASMSTART
	v_cvt_f32_f16 v51, v20;
	;;#ASMEND
	v_and_b32_e32 v20, 0xffff, v52
	;;#ASMSTART
	v_cvt_f32_f16 v52, v20;
	;;#ASMEND
	ds_read_b32 v20, v12 offset:12
	v_or_b32_e32 v22, v27, v24
	v_fma_mixlo_f16 v22, v18, v22, 0 op_sel_hi:[0,1,0]
	v_fma_mixlo_f16 v24, v18, v27, 0 op_sel:[0,1,0] op_sel_hi:[0,1,0]
	v_or_b32_e32 v28, v31, v28
	s_waitcnt lgkmcnt(0)
	v_lshrrev_b32_e32 v54, 16, v20
	v_and_b32_e32 v20, 0xffff, v20
	;;#ASMSTART
	v_cvt_f32_f16 v27, v20;
	;;#ASMEND
	v_and_b32_e32 v20, 0xffff, v22
	;;#ASMSTART
	v_cvt_f32_f16 v54, v54;
	;;#ASMEND
	;;#ASMSTART
	v_cvt_f32_f16 v55, v20;
	;;#ASMEND
	v_and_b32_e32 v20, 0xffff, v24
	;;#ASMSTART
	v_cvt_f32_f16 v24, v20;
	;;#ASMEND
	ds_read_b32 v20, v12 offset:16
	v_or_b32_e32 v22, v29, v26
	v_fma_mixlo_f16 v22, v18, v22, 0 op_sel_hi:[0,1,0]
	v_fma_mixlo_f16 v26, v18, v29, 0 op_sel:[0,1,0] op_sel_hi:[0,1,0]
	v_fma_mixlo_f16 v28, v18, v28, 0 op_sel_hi:[0,1,0]
	s_waitcnt lgkmcnt(0)
	v_lshrrev_b32_e32 v56, 16, v20
	v_and_b32_e32 v20, 0xffff, v20
	;;#ASMSTART
	v_cvt_f32_f16 v29, v20;
	;;#ASMEND
	v_and_b32_e32 v20, 0xffff, v22
	;;#ASMSTART
	v_cvt_f32_f16 v56, v56;
	;;#ASMEND
	;;#ASMSTART
	v_cvt_f32_f16 v57, v20;
	;;#ASMEND
	v_and_b32_e32 v20, 0xffff, v26
	;;#ASMSTART
	v_cvt_f32_f16 v26, v20;
	;;#ASMEND
	ds_read_b32 v20, v12 offset:20
	v_or_b32_e32 v22, v34, v33
	v_fma_mixlo_f16 v31, v18, v31, 0 op_sel:[0,1,0] op_sel_hi:[0,1,0]
	v_or_b32_e32 v30, v32, v30
	v_fma_mixlo_f16 v30, v18, v30, 0 op_sel_hi:[0,1,0]
	s_waitcnt lgkmcnt(0)
	v_lshrrev_b32_e32 v58, 16, v20
	v_and_b32_e32 v20, 0xffff, v20
	;;#ASMSTART
	v_cvt_f32_f16 v33, v20;
	;;#ASMEND
	v_and_b32_e32 v20, 0xffff, v28
	;;#ASMSTART
	v_cvt_f32_f16 v58, v58;
	;;#ASMEND
	;;#ASMSTART
	v_cvt_f32_f16 v28, v20;
	;;#ASMEND
	v_and_b32_e32 v20, 0xffff, v31
	;;#ASMSTART
	v_cvt_f32_f16 v31, v20;
	;;#ASMEND
	ds_read_b32 v20, v12 offset:24
	v_fma_mixlo_f16 v32, v18, v32, 0 op_sel:[0,1,0] op_sel_hi:[0,1,0]
	v_fma_mixlo_f16 v22, v18, v22, 0 op_sel_hi:[0,1,0]
	v_fma_mixlo_f16 v37, v18, v37, 0 op_sel_hi:[0,1,0]
	;; [unrolled: 1-line block ×3, first 2 shown]
	s_waitcnt lgkmcnt(0)
	v_lshrrev_b32_e32 v60, 16, v20
	v_and_b32_e32 v20, 0xffff, v20
	;;#ASMSTART
	v_cvt_f32_f16 v59, v20;
	;;#ASMEND
	v_and_b32_e32 v20, 0xffff, v30
	;;#ASMSTART
	v_cvt_f32_f16 v60, v60;
	;;#ASMEND
	;;#ASMSTART
	v_cvt_f32_f16 v30, v20;
	;;#ASMEND
	v_and_b32_e32 v20, 0xffff, v32
	;;#ASMSTART
	v_cvt_f32_f16 v32, v20;
	;;#ASMEND
	ds_read_b32 v61, v12 offset:28
	v_or_b32_e32 v20, v47, v44
	v_fma_mixlo_f16 v36, v18, v36, 0 op_sel:[0,1,0] op_sel_hi:[0,1,0]
	v_fma_mixlo_f16 v34, v18, v34, 0 op_sel:[0,1,0] op_sel_hi:[0,1,0]
	v_fma_mixlo_f16 v20, v18, v20, 0 op_sel_hi:[0,1,0]
	v_fma_mixlo_f16 v18, v18, v47, 0 op_sel:[0,1,0] op_sel_hi:[0,1,0]
	s_waitcnt lgkmcnt(0)
	v_lshrrev_b32_e32 v47, 16, v61
	v_and_b32_e32 v44, 0xffff, v61
	v_and_b32_e32 v22, 0xffff, v22
	;;#ASMSTART
	v_cvt_f32_f16 v44, v44;
	;;#ASMEND
	;;#ASMSTART
	v_cvt_f32_f16 v47, v47;
	;;#ASMEND
	;; [unrolled: 3-line block ×3, first 2 shown]
	v_and_b32_e32 v22, 0xffff, v34
	;;#ASMSTART
	v_cvt_f32_f16 v34, v22;
	;;#ASMEND
	ds_read_b32 v62, v12 offset:32
	v_mul_f32_e32 v22, v23, v49
	v_fmac_f32_e32 v22, v21, v46
	v_mul_f32_e32 v21, v38, v50
	v_fmac_f32_e32 v21, v40, v48
	s_waitcnt lgkmcnt(0)
	v_lshrrev_b32_e32 v38, 16, v62
	v_and_b32_e32 v23, 0xffff, v62
	v_and_b32_e32 v40, 0xffff, v53
	v_and_b32_e32 v36, 0xffff, v36
	;;#ASMSTART
	v_cvt_f32_f16 v23, v23;
	;;#ASMEND
	;;#ASMSTART
	v_cvt_f32_f16 v38, v38;
	;;#ASMEND
	;;#ASMSTART
	v_cvt_f32_f16 v40, v40;
	;;#ASMEND
	;;#ASMSTART
	v_cvt_f32_f16 v36, v36;
	;;#ASMEND
	ds_read_b32 v46, v12 offset:36
	v_fmac_f32_e32 v22, v25, v51
	v_fmac_f32_e32 v21, v35, v52
	v_fmac_f32_e32 v22, v27, v55
	v_fmac_f32_e32 v21, v54, v24
	s_waitcnt lgkmcnt(0)
	v_lshrrev_b32_e32 v25, 16, v46
	v_and_b32_e32 v24, 0xffff, v46
	v_and_b32_e32 v27, 0xffff, v37
	v_and_b32_e32 v19, 0xffff, v19
	;;#ASMSTART
	v_cvt_f32_f16 v24, v24;
	;;#ASMEND
	;;#ASMSTART
	v_cvt_f32_f16 v25, v25;
	;;#ASMEND
	;;#ASMSTART
	v_cvt_f32_f16 v27, v27;
	;;#ASMEND
	;;#ASMSTART
	v_cvt_f32_f16 v19, v19;
	;;#ASMEND
	ds_read_b32 v35, v12 offset:40
	v_fmac_f32_e32 v22, v29, v57
	v_fmac_f32_e32 v21, v56, v26
	v_fmac_f32_e32 v22, v33, v28
	;; [unrolled: 22-line block ×3, first 2 shown]
	v_and_b32_e32 v34, 0xffff, v41
	s_waitcnt lgkmcnt(0)
	v_lshrrev_b32_e32 v32, 16, v33
	v_and_b32_e32 v30, 0xffff, v33
	v_and_b32_e32 v33, 0xffff, v45
	;;#ASMSTART
	v_cvt_f32_f16 v30, v30;
	;;#ASMEND
	;;#ASMSTART
	v_cvt_f32_f16 v32, v32;
	;;#ASMEND
	;;#ASMSTART
	v_cvt_f32_f16 v33, v33;
	;;#ASMEND
	;;#ASMSTART
	v_cvt_f32_f16 v34, v34;
	;;#ASMEND
	ds_read_b32 v35, v12 offset:48
	v_fmac_f32_e32 v22, v44, v61
	v_fmac_f32_e32 v22, v23, v40
	;; [unrolled: 1-line block ×5, first 2 shown]
	s_waitcnt lgkmcnt(0)
	v_lshrrev_b32_e32 v23, 16, v35
	v_and_b32_e32 v19, 0xffff, v35
	v_and_b32_e32 v24, 0xffff, v43
	;; [unrolled: 1-line block ×3, first 2 shown]
	;;#ASMSTART
	v_cvt_f32_f16 v19, v19;
	;;#ASMEND
	;;#ASMSTART
	v_cvt_f32_f16 v23, v23;
	;;#ASMEND
	;; [unrolled: 3-line block ×4, first 2 shown]
	ds_read_b32 v25, v12 offset:52
	v_fmac_f32_e32 v22, v26, v29
	v_and_b32_e32 v7, 0xffff, v7
	v_and_b32_e32 v1, 0xffff, v1
	v_fmac_f32_e32 v21, v28, v31
	s_waitcnt lgkmcnt(0)
	v_lshrrev_b32_e32 v26, 16, v25
	v_and_b32_e32 v25, 0xffff, v25
	;;#ASMSTART
	v_cvt_f32_f16 v25, v25;
	;;#ASMEND
	;;#ASMSTART
	v_cvt_f32_f16 v26, v26;
	;;#ASMEND
	;; [unrolled: 3-line block ×4, first 2 shown]
	ds_read_b32 v27, v12 offset:56
	v_fmac_f32_e32 v22, v30, v33
	v_fmac_f32_e32 v21, v32, v34
	;; [unrolled: 1-line block ×6, first 2 shown]
	s_waitcnt lgkmcnt(0)
	v_lshrrev_b32_e32 v7, 16, v27
	v_and_b32_e32 v1, 0xffff, v27
	;;#ASMSTART
	v_cvt_f32_f16 v1, v1;
	;;#ASMEND
	;;#ASMSTART
	v_cvt_f32_f16 v7, v7;
	;;#ASMEND
	v_and_b32_e32 v8, 0xffff, v20
	v_and_b32_e32 v18, 0xffff, v18
	;;#ASMSTART
	v_cvt_f32_f16 v8, v8;
	;;#ASMEND
	;;#ASMSTART
	v_cvt_f32_f16 v18, v18;
	;;#ASMEND
	v_fmac_f32_e32 v21, v7, v18
	v_and_b32_e32 v7, 64, v10
	v_fmac_f32_e32 v22, v1, v8
	v_add_u32_e32 v1, 64, v7
	v_xor_b32_e32 v18, 2, v10
	v_cmp_lt_i32_e64 s[4:5], v18, v1
	v_cndmask_b32_e64 v18, v10, v18, s[4:5]
	v_add_f32_e32 v8, v22, v21
	v_lshlrev_b32_e32 v18, 2, v18
	ds_bpermute_b32 v18, v18, v8
	s_waitcnt lgkmcnt(0)
	v_add_f32_e32 v8, v8, v18
	v_xor_b32_e32 v18, 1, v10
	v_cmp_lt_i32_e64 s[4:5], v18, v1
	v_cndmask_b32_e64 v18, v10, v18, s[4:5]
	v_lshlrev_b32_e32 v18, 2, v18
	ds_bpermute_b32 v18, v18, v8
	s_and_saveexec_b64 s[34:35], vcc
	s_cbranch_execz .LBB250_8
; %bb.190:                              ;   in Loop: Header=BB250_9 Depth=1
	v_add_u32_e32 v19, s41, v14
	v_cvt_f32_i32_e32 v19, v19
	s_waitcnt lgkmcnt(0)
	v_add_f32_e32 v8, v8, v18
	v_cmp_gt_i32_e64 s[4:5], s30, v14
	v_max_f32_e32 v18, v11, v11
	v_mul_f32_e32 v19, s33, v19
	v_cndmask_b32_e64 v19, 0, v19, s[2:3]
	v_fmac_f32_e32 v19, s31, v8
	v_cndmask_b32_e64 v8, 0, v19, s[4:5]
	ds_write_b32 v15, v8
	v_max_f32_e32 v8, v18, v19
	v_cndmask_b32_e64 v11, v11, v8, s[4:5]
	s_branch .LBB250_8
.LBB250_191:
	s_or_b64 exec, exec, s[18:19]
.LBB250_192:
	s_or_b64 exec, exec, s[6:7]
	v_xor_b32_e32 v2, 32, v10
	v_cmp_lt_i32_e32 vcc, v2, v1
	v_cndmask_b32_e32 v2, v10, v2, vcc
	v_lshlrev_b32_e32 v3, 2, v2
	ds_bpermute_b32 v2, v3, v11
	v_xor_b32_e32 v5, 16, v10
	v_max_f32_e32 v4, v11, v11
	v_cmp_lt_i32_e32 vcc, v5, v1
	v_xor_b32_e32 v6, 8, v10
	s_waitcnt lgkmcnt(0)
	v_max_f32_e32 v2, v2, v2
	v_max_f32_e32 v2, v4, v2
	v_cndmask_b32_e32 v4, v10, v5, vcc
	v_lshlrev_b32_e32 v4, 2, v4
	ds_bpermute_b32 v5, v4, v2
	v_cmp_lt_i32_e32 vcc, v6, v1
	v_xor_b32_e32 v11, 4, v10
	s_waitcnt lgkmcnt(0)
	v_max_f32_e32 v5, v5, v5
	v_max_f32_e32 v2, v2, v5
	v_cndmask_b32_e32 v5, v10, v6, vcc
	v_lshlrev_b32_e32 v8, 2, v5
	ds_bpermute_b32 v5, v8, v2
	v_cmp_lt_i32_e32 vcc, v11, v1
	s_waitcnt lgkmcnt(0)
	v_max_f32_e32 v5, v5, v5
	v_max_f32_e32 v6, v2, v5
	v_cndmask_b32_e32 v2, v10, v11, vcc
	v_lshlrev_b32_e32 v11, 2, v2
	ds_bpermute_b32 v12, v11, v6
	v_and_b32_e32 v2, 63, v0
	v_cmp_eq_u32_e32 vcc, 0, v2
	v_lshlrev_b32_e32 v5, 2, v13
	s_and_saveexec_b64 s[2:3], vcc
	s_cbranch_execz .LBB250_194
; %bb.193:
	s_waitcnt lgkmcnt(0)
	v_max_f32_e32 v12, v12, v12
	v_max_f32_e32 v6, v6, v6
	;; [unrolled: 1-line block ×3, first 2 shown]
	ds_write_b32 v5, v6 offset:240
.LBB250_194:
	s_or_b64 exec, exec, s[2:3]
	v_cmp_gt_u32_e64 s[2:3], 2, v2
	s_waitcnt lgkmcnt(0)
	v_mov_b32_e32 v12, 0xff7fffff
	v_lshlrev_b32_e32 v6, 2, v2
	s_barrier
	s_and_saveexec_b64 s[4:5], s[2:3]
; %bb.195:
	ds_read_b32 v12, v6 offset:240
; %bb.196:
	s_or_b64 exec, exec, s[4:5]
	v_xor_b32_e32 v14, 1, v10
	v_cmp_lt_i32_e64 s[4:5], v14, v1
	v_cndmask_b32_e64 v14, v10, v14, s[4:5]
	v_lshlrev_b32_e32 v14, 2, v14
	s_waitcnt lgkmcnt(0)
	ds_bpermute_b32 v15, v14, v12
	v_max_f32_e32 v12, v12, v12
	v_lshlrev_b32_e32 v7, 2, v7
	s_lshl_b32 s4, s21, 4
	s_min_i32 s31, s4, s30
	s_waitcnt lgkmcnt(0)
	v_max_f32_e32 v15, v15, v15
	v_max_f32_e32 v12, v12, v15
	ds_bpermute_b32 v12, v7, v12
	v_cmp_gt_i32_e64 s[4:5], s31, v0
	v_mov_b32_e32 v7, 0
	s_and_saveexec_b64 s[12:13], s[4:5]
	s_cbranch_execz .LBB250_200
; %bb.197:
	v_mov_b32_e32 v7, 0x100
	v_lshl_add_u32 v15, v0, 2, v7
	v_mov_b32_e32 v7, 0
	s_mov_b64 s[18:19], 0
	v_mov_b32_e32 v16, v0
.LBB250_198:                            ; =>This Inner Loop Header: Depth=1
	ds_read_b32 v17, v15
	v_add_u32_e32 v16, 0x80, v16
	v_cmp_le_i32_e64 s[6:7], s31, v16
	s_or_b64 s[18:19], s[6:7], s[18:19]
	s_waitcnt lgkmcnt(0)
	v_sub_f32_e32 v17, v17, v12
	v_mul_f32_e32 v17, 0x3fb8aa3b, v17
	v_exp_f32_e32 v17, v17
	ds_write_b32 v15, v17
	v_add_f32_e32 v7, v7, v17
	v_add_u32_e32 v15, 0x200, v15
	s_andn2_b64 exec, exec, s[18:19]
	s_cbranch_execnz .LBB250_198
; %bb.199:
	s_or_b64 exec, exec, s[18:19]
.LBB250_200:
	s_or_b64 exec, exec, s[12:13]
	ds_bpermute_b32 v3, v3, v7
	s_waitcnt lgkmcnt(0)
	v_add_f32_e32 v3, v7, v3
	ds_bpermute_b32 v4, v4, v3
	v_xor_b32_e32 v7, 2, v10
	v_cmp_lt_i32_e64 s[6:7], v7, v1
	v_cndmask_b32_e64 v1, v10, v7, s[6:7]
	v_lshlrev_b32_e32 v1, 2, v1
	s_waitcnt lgkmcnt(0)
	v_add_f32_e32 v3, v3, v4
	ds_bpermute_b32 v4, v8, v3
	s_waitcnt lgkmcnt(0)
	v_add_f32_e32 v3, v3, v4
	ds_bpermute_b32 v4, v11, v3
	;; [unrolled: 3-line block ×4, first 2 shown]
	s_waitcnt lgkmcnt(0)
	v_add_f32_e32 v1, v1, v3
	s_and_saveexec_b64 s[6:7], vcc
; %bb.201:
	ds_write_b32 v5, v1 offset:248
; %bb.202:
	s_or_b64 exec, exec, s[6:7]
	s_waitcnt lgkmcnt(0)
	s_barrier
	s_and_saveexec_b64 s[6:7], s[2:3]
; %bb.203:
	ds_read_b32 v1, v6 offset:248
; %bb.204:
	s_or_b64 exec, exec, s[6:7]
	s_waitcnt lgkmcnt(0)
	ds_bpermute_b32 v3, v14, v1
	v_lshlrev_b32_e32 v4, 2, v10
	s_waitcnt lgkmcnt(0)
	v_add_f32_e32 v1, v1, v3
	v_and_b32_e32 v3, 0xffffff00, v4
	ds_bpermute_b32 v1, v3, v1
	s_and_saveexec_b64 s[2:3], s[4:5]
	s_cbranch_execz .LBB250_207
; %bb.205:
	s_waitcnt lgkmcnt(0)
	v_add_f32_e32 v3, 0x358637bd, v1
	v_div_scale_f32 v1, s[4:5], v3, v3, 1.0
	v_div_scale_f32 v4, vcc, 1.0, v3, 1.0
	s_mov_b64 s[4:5], 0
	v_rcp_f32_e32 v5, v1
	v_fma_f32 v6, -v1, v5, 1.0
	v_fmac_f32_e32 v5, v6, v5
	v_mul_f32_e32 v6, v4, v5
	v_fma_f32 v7, -v1, v6, v4
	v_fmac_f32_e32 v6, v7, v5
	v_fma_f32 v1, -v1, v6, v4
	v_div_fmas_f32 v4, v1, v5, v6
	v_mov_b32_e32 v1, 0x100
	v_lshl_add_u32 v1, v0, 2, v1
	v_div_fixup_f32 v3, v4, v3, 1.0
	v_mov_b32_e32 v4, v0
.LBB250_206:                            ; =>This Inner Loop Header: Depth=1
	ds_read_b32 v5, v1
	v_add_u32_e32 v4, 0x80, v4
	v_cmp_le_i32_e32 vcc, s31, v4
	s_or_b64 s[4:5], vcc, s[4:5]
	s_waitcnt lgkmcnt(0)
	v_mul_f32_e32 v5, v3, v5
	ds_write_b32 v1, v5
	v_add_u32_e32 v1, 0x200, v1
	s_andn2_b64 exec, exec, s[4:5]
	s_cbranch_execnz .LBB250_206
.LBB250_207:
	s_or_b64 exec, exec, s[2:3]
	v_lshrrev_b32_e32 v15, 1, v2
	s_waitcnt lgkmcnt(0)
	s_barrier
	s_and_saveexec_b64 s[2:3], s[0:1]
	s_xor_b64 s[0:1], exec, s[2:3]
; %bb.208:
	v_lshrrev_b32_e32 v15, 1, v2
                                        ; implicit-def: $vgpr13
                                        ; implicit-def: $vgpr9
; %bb.209:
	s_or_saveexec_b64 s[4:5], s[0:1]
	v_mov_b32_e32 v18, 0
	v_and_b32_e32 v16, 1, v0
	v_mov_b32_e32 v20, 0
	v_mov_b32_e32 v19, 0
	;; [unrolled: 1-line block ×3, first 2 shown]
	s_xor_b64 exec, exec, s[4:5]
	s_cbranch_execz .LBB250_415
; %bb.210:
	s_ashr_i32 s0, s16, 31
	v_lshlrev_b32_e32 v1, 3, v0
	s_add_u32 s2, s28, s16
	v_and_b32_e32 v1, 8, v1
	s_addc_u32 s3, s29, s0
	v_or_b32_e32 v3, 0x60, v15
	s_movk_i32 s0, 0x78
	v_cmp_gt_u32_e32 vcc, s0, v3
	v_lshl_or_b32 v22, v3, 4, v1
	v_lshlrev_b32_e32 v3, 4, v13
	s_add_i32 s28, s21, -1
	v_lshl_or_b32 v17, v15, 4, v1
	v_or3_b32 v23, v3, v1, 7
	v_lshlrev_b32_e32 v1, 5, v16
	s_lshl_b64 s[0:1], s[26:27], 2
	v_lshl_or_b32 v1, v13, 6, v1
	s_add_u32 s0, s24, s0
	v_add_u32_e32 v24, 0x100, v1
	v_and_b32_e32 v1, 60, v9
	s_addc_u32 s1, s25, s1
	s_mov_b32 s6, -1
	v_mov_b32_e32 v4, s1
	v_add_co_u32_e64 v3, s[0:1], s0, v1
	v_mov_b32_e32 v6, s3
	s_mov_b32 s31, s17
	s_mov_b32 s7, 0xffffff
	v_mov_b32_e32 v2, 0
	v_addc_co_u32_e64 v4, s[0:1], 0, v4, s[0:1]
	s_mov_b64 s[12:13], 0
	v_mov_b32_e32 v5, s2
	s_movk_i32 s29, 0x80
	s_movk_i32 s33, 0x7f
	s_mov_b32 s34, 0x8000
	v_mov_b32_e32 v25, 0x2000
	v_mov_b32_e32 v21, 0
	;; [unrolled: 1-line block ×5, first 2 shown]
	s_branch .LBB250_213
.LBB250_211:                            ;   in Loop: Header=BB250_213 Depth=1
	s_or_b64 exec, exec, s[2:3]
	;;#ASMSTART
	v_pk_mul_f16 v7, v32, v7;

	;;#ASMEND
	;;#ASMSTART
	v_pk_mul_f16 v1, v31, v1;

	;;#ASMEND
	;; [unrolled: 4-line block ×4, first 2 shown]
	;;#ASMSTART
	v_pk_add_f16 v1, v7, v1;

	;;#ASMEND
	;;#ASMSTART
	v_pk_add_f16 v1, v1, v8;

	;;#ASMEND
	;; [unrolled: 4-line block ×3, first 2 shown]
	v_lshrrev_b32_e32 v7, 16, v1
	v_and_b32_e32 v1, 0xffff, v1
	;;#ASMSTART
	v_cvt_f32_f16 v1, v1;
	;;#ASMEND
	;;#ASMSTART
	v_cvt_f32_f16 v7, v7;
	;;#ASMEND
	v_add_f32_e32 v1, v1, v7
	v_add_f32_e32 v21, v21, v1
.LBB250_212:                            ;   in Loop: Header=BB250_213 Depth=1
	s_or_b64 exec, exec, s[16:17]
	v_add_f32_e32 v1, v9, v10
	v_add_u32_e32 v13, 2, v13
	v_add_f32_e32 v19, v19, v1
	v_add_f32_e32 v1, v11, v12
	v_cmp_le_i32_e64 s[0:1], s21, v13
	v_add_f32_e32 v20, v20, v1
	v_add_f32_e32 v1, v27, v28
	s_or_b64 s[12:13], s[0:1], s[12:13]
	v_add_co_u32_e64 v3, s[0:1], 8, v3
	v_add_f32_e32 v18, v18, v1
	v_add_u32_e32 v23, 32, v23
	v_add_u32_e32 v24, 0x80, v24
	v_addc_co_u32_e64 v4, s[0:1], 0, v4, s[0:1]
	s_andn2_b64 exec, exec, s[12:13]
	s_cbranch_execz .LBB250_414
.LBB250_213:                            ; =>This Inner Loop Header: Depth=1
	global_load_dword v1, v[3:4], off
	ds_read2_b64 v[7:10], v24 offset1:1
	ds_read2_b64 v[33:36], v24 offset0:2 offset1:3
	v_mov_b32_e32 v32, 0
	s_waitcnt lgkmcnt(1)
	;;#ASMSTART
	v_cvt_f16_f32 v27, v7;

	;;#ASMEND
	;;#ASMSTART
	v_cvt_f16_f32 v28, v8;

	;;#ASMEND
	;; [unrolled: 4-line block ×4, first 2 shown]
	s_waitcnt lgkmcnt(0)
	;;#ASMSTART
	v_cvt_f16_f32 v33, v33;

	;;#ASMEND
	;;#ASMSTART
	v_cvt_f16_f32 v34, v34;

	;;#ASMEND
	;; [unrolled: 4-line block ×4, first 2 shown]
	s_waitcnt vmcnt(0)
	v_mad_i64_i32 v[7:8], s[0:1], v1, s31, v[5:6]
	v_add_co_u32_e64 v9, s[0:1], v7, v17
	v_addc_co_u32_e64 v10, s[0:1], 0, v8, s[0:1]
	global_load_dwordx2 v[11:12], v[9:10], off
	global_load_dword v31, v2, s[14:15]
	s_waitcnt vmcnt(1)
	v_cmp_ne_u16_sdwa s[0:1], v11, v2 src0_sel:BYTE_0 src1_sel:DWORD
	s_and_saveexec_b64 s[2:3], s[0:1]
	s_cbranch_execz .LBB250_219
; %bb.214:                              ;   in Loop: Header=BB250_213 Depth=1
	v_cmp_ne_u16_sdwa s[0:1], v11, s29 src0_sel:BYTE_0 src1_sel:DWORD
	v_mov_b32_e32 v32, 0x8000
	s_and_saveexec_b64 s[16:17], s[0:1]
	s_cbranch_execz .LBB250_218
; %bb.215:                              ;   in Loop: Header=BB250_213 Depth=1
	v_and_b32_e32 v1, 0x7f, v11
	v_cmp_ne_u32_e64 s[0:1], s33, v1
	v_mov_b32_e32 v32, 0x7c01
	s_and_saveexec_b64 s[18:19], s[0:1]
	s_cbranch_execz .LBB250_217
; %bb.216:                              ;   in Loop: Header=BB250_213 Depth=1
	v_and_b32_e32 v26, 7, v11
	v_ffbh_u32_e32 v37, v26
	v_min_u32_e32 v39, 32, v37
	v_subrev_u32_e32 v37, 28, v39
	v_lshlrev_b64 v[37:38], v37, v[11:12]
	v_lshrrev_b32_e32 v32, 3, v1
	v_sub_u32_e32 v38, 29, v39
	v_cmp_gt_u32_e64 s[0:1], 8, v1
	v_cndmask_b32_e64 v1, v32, v38, s[0:1]
	v_lshl_add_u32 v1, v1, 10, v25
	v_lshlrev_b32_e32 v32, 8, v11
	v_and_b32_e32 v37, 7, v37
	v_and_b32_e32 v1, 0xfc00, v1
	v_cndmask_b32_e64 v26, v26, v37, s[0:1]
	v_and_or_b32 v1, v32, s34, v1
	v_lshl_or_b32 v32, v26, 7, v1
.LBB250_217:                            ;   in Loop: Header=BB250_213 Depth=1
	s_or_b64 exec, exec, s[18:19]
.LBB250_218:                            ;   in Loop: Header=BB250_213 Depth=1
	s_or_b64 exec, exec, s[16:17]
.LBB250_219:                            ;   in Loop: Header=BB250_213 Depth=1
	s_or_b64 exec, exec, s[2:3]
	v_lshrrev_b16_e32 v1, 8, v11
	v_cmp_ne_u16_e64 s[0:1], 0, v1
	v_mov_b32_e32 v38, 0
	v_mov_b32_e32 v37, 0
	s_and_saveexec_b64 s[2:3], s[0:1]
	s_cbranch_execz .LBB250_225
; %bb.220:                              ;   in Loop: Header=BB250_213 Depth=1
	v_cmp_ne_u16_e64 s[0:1], s29, v1
	v_bfrev_b32_e32 v37, 1
	s_and_saveexec_b64 s[16:17], s[0:1]
	s_cbranch_execz .LBB250_224
; %bb.221:                              ;   in Loop: Header=BB250_213 Depth=1
	v_and_b32_e32 v26, 0x7f, v1
	v_cmp_ne_u32_e64 s[0:1], s33, v26
	v_mov_b32_e32 v37, 0x7c010000
	s_and_saveexec_b64 s[18:19], s[0:1]
	s_cbranch_execz .LBB250_223
; %bb.222:                              ;   in Loop: Header=BB250_213 Depth=1
	v_and_b32_e32 v37, 7, v1
	v_ffbh_u32_e32 v39, v37
	v_min_u32_e32 v42, 32, v39
	v_subrev_u32_e32 v39, 28, v42
	v_lshlrev_b64 v[39:40], v39, v[1:2]
	v_lshrrev_b32_e32 v41, 3, v26
	v_sub_u32_e32 v40, 29, v42
	v_cmp_gt_u32_e64 s[0:1], 8, v26
	v_cndmask_b32_e64 v26, v41, v40, s[0:1]
	v_lshlrev_b32_e32 v1, 8, v1
	v_lshl_add_u32 v26, v26, 10, v25
	v_and_b32_e32 v39, 7, v39
	v_and_or_b32 v1, v1, s34, v26
	v_cndmask_b32_e64 v37, v37, v39, s[0:1]
	v_lshlrev_b32_e32 v1, 16, v1
	v_lshl_or_b32 v37, v37, 23, v1
.LBB250_223:                            ;   in Loop: Header=BB250_213 Depth=1
	s_or_b64 exec, exec, s[18:19]
.LBB250_224:                            ;   in Loop: Header=BB250_213 Depth=1
	s_or_b64 exec, exec, s[16:17]
.LBB250_225:                            ;   in Loop: Header=BB250_213 Depth=1
	s_or_b64 exec, exec, s[2:3]
	v_lshrrev_b32_e32 v1, 16, v11
	v_cmp_ne_u16_sdwa s[0:1], v1, v2 src0_sel:BYTE_0 src1_sel:DWORD
	s_and_saveexec_b64 s[2:3], s[0:1]
	s_cbranch_execz .LBB250_231
; %bb.226:                              ;   in Loop: Header=BB250_213 Depth=1
	v_cmp_ne_u16_sdwa s[0:1], v1, s29 src0_sel:BYTE_0 src1_sel:DWORD
	v_mov_b32_e32 v38, 0x8000
	s_and_saveexec_b64 s[16:17], s[0:1]
	s_cbranch_execz .LBB250_230
; %bb.227:                              ;   in Loop: Header=BB250_213 Depth=1
	v_bfe_u32 v26, v11, 16, 7
	v_cmp_ne_u32_e64 s[0:1], s33, v26
	v_mov_b32_e32 v38, 0x7c01
	s_and_saveexec_b64 s[18:19], s[0:1]
	s_cbranch_execz .LBB250_229
; %bb.228:                              ;   in Loop: Header=BB250_213 Depth=1
	v_and_b32_e32 v40, 7, v1
	v_ffbh_u32_e32 v38, v40
	v_min_u32_e32 v42, 32, v38
	v_subrev_u32_e32 v38, 28, v42
	v_lshlrev_b64 v[38:39], v38, v[1:2]
	v_lshrrev_b32_e32 v41, 3, v26
	v_sub_u32_e32 v39, 29, v42
	v_cmp_gt_u32_e64 s[0:1], 8, v26
	v_cndmask_b32_e64 v26, v41, v39, s[0:1]
	v_lshl_add_u32 v26, v26, 10, v25
	v_lshlrev_b32_e32 v1, 8, v1
	v_and_b32_e32 v38, 7, v38
	v_and_b32_e32 v26, 0xfc00, v26
	v_cndmask_b32_e64 v38, v40, v38, s[0:1]
	v_and_or_b32 v1, v1, s34, v26
	v_lshl_or_b32 v38, v38, 7, v1
.LBB250_229:                            ;   in Loop: Header=BB250_213 Depth=1
	s_or_b64 exec, exec, s[18:19]
.LBB250_230:                            ;   in Loop: Header=BB250_213 Depth=1
	s_or_b64 exec, exec, s[16:17]
.LBB250_231:                            ;   in Loop: Header=BB250_213 Depth=1
	s_or_b64 exec, exec, s[2:3]
	v_cmp_lt_u32_e64 s[0:1], s7, v11
	v_mov_b32_e32 v39, 0
	v_mov_b32_e32 v40, 0
	s_and_saveexec_b64 s[2:3], s[0:1]
	s_cbranch_execz .LBB250_237
; %bb.232:                              ;   in Loop: Header=BB250_213 Depth=1
	v_lshrrev_b32_e32 v1, 24, v11
	v_cmp_ne_u32_e64 s[0:1], s29, v1
	v_bfrev_b32_e32 v40, 1
	s_and_saveexec_b64 s[16:17], s[0:1]
	s_cbranch_execz .LBB250_236
; %bb.233:                              ;   in Loop: Header=BB250_213 Depth=1
	v_and_b32_e32 v26, 0x7f, v1
	v_cmp_ne_u32_e64 s[0:1], s33, v26
	v_mov_b32_e32 v40, 0x7c010000
	s_and_saveexec_b64 s[18:19], s[0:1]
	s_cbranch_execz .LBB250_235
; %bb.234:                              ;   in Loop: Header=BB250_213 Depth=1
	v_and_b32_e32 v42, 7, v1
	v_ffbh_u32_e32 v40, v42
	v_min_u32_e32 v44, 32, v40
	v_subrev_u32_e32 v40, 28, v44
	v_lshlrev_b64 v[40:41], v40, v[1:2]
	v_lshrrev_b32_e32 v43, 3, v26
	v_sub_u32_e32 v41, 29, v44
	v_cmp_gt_u32_e64 s[0:1], 8, v26
	v_cndmask_b32_e64 v26, v43, v41, s[0:1]
	v_lshlrev_b32_e32 v1, 8, v1
	v_lshl_add_u32 v26, v26, 10, v25
	v_and_b32_e32 v40, 7, v40
	v_and_or_b32 v1, v1, s34, v26
	v_cndmask_b32_e64 v40, v42, v40, s[0:1]
	v_lshlrev_b32_e32 v1, 16, v1
	v_lshl_or_b32 v40, v40, 23, v1
.LBB250_235:                            ;   in Loop: Header=BB250_213 Depth=1
	s_or_b64 exec, exec, s[18:19]
.LBB250_236:                            ;   in Loop: Header=BB250_213 Depth=1
	s_or_b64 exec, exec, s[16:17]
.LBB250_237:                            ;   in Loop: Header=BB250_213 Depth=1
	s_or_b64 exec, exec, s[2:3]
	v_mov_b32_e32 v1, v12
	v_cmp_ne_u16_sdwa s[0:1], v12, v2 src0_sel:BYTE_0 src1_sel:DWORD
	s_and_saveexec_b64 s[2:3], s[0:1]
	s_cbranch_execz .LBB250_243
; %bb.238:                              ;   in Loop: Header=BB250_213 Depth=1
	v_cmp_ne_u16_sdwa s[0:1], v12, s29 src0_sel:BYTE_0 src1_sel:DWORD
	v_mov_b32_e32 v39, 0x8000
	s_and_saveexec_b64 s[16:17], s[0:1]
	s_cbranch_execz .LBB250_242
; %bb.239:                              ;   in Loop: Header=BB250_213 Depth=1
	v_and_b32_e32 v26, 0x7f, v12
	v_cmp_ne_u32_e64 s[0:1], s33, v26
	v_mov_b32_e32 v39, 0x7c01
	s_and_saveexec_b64 s[18:19], s[0:1]
	s_cbranch_execz .LBB250_241
; %bb.240:                              ;   in Loop: Header=BB250_213 Depth=1
	v_and_b32_e32 v39, 7, v12
	v_ffbh_u32_e32 v41, v39
	v_min_u32_e32 v44, 32, v41
	v_subrev_u32_e32 v41, 28, v44
	v_lshlrev_b64 v[41:42], v41, v[1:2]
	v_lshrrev_b32_e32 v43, 3, v26
	v_sub_u32_e32 v42, 29, v44
	v_cmp_gt_u32_e64 s[0:1], 8, v26
	v_cndmask_b32_e64 v26, v43, v42, s[0:1]
	v_lshl_add_u32 v26, v26, 10, v25
	v_lshlrev_b32_e32 v42, 8, v12
	v_and_b32_e32 v41, 7, v41
	v_and_b32_e32 v26, 0xfc00, v26
	v_cndmask_b32_e64 v39, v39, v41, s[0:1]
	v_and_or_b32 v26, v42, s34, v26
	v_lshl_or_b32 v39, v39, 7, v26
.LBB250_241:                            ;   in Loop: Header=BB250_213 Depth=1
	s_or_b64 exec, exec, s[18:19]
.LBB250_242:                            ;   in Loop: Header=BB250_213 Depth=1
	s_or_b64 exec, exec, s[16:17]
.LBB250_243:                            ;   in Loop: Header=BB250_213 Depth=1
	s_or_b64 exec, exec, s[2:3]
	v_lshrrev_b16_e32 v1, 8, v1
	v_cmp_ne_u16_e64 s[0:1], 0, v1
	v_mov_b32_e32 v41, 0
	v_mov_b32_e32 v42, 0
	s_and_saveexec_b64 s[2:3], s[0:1]
	s_cbranch_execz .LBB250_249
; %bb.244:                              ;   in Loop: Header=BB250_213 Depth=1
	v_cmp_ne_u16_e64 s[0:1], s29, v1
	v_bfrev_b32_e32 v42, 1
	s_and_saveexec_b64 s[16:17], s[0:1]
	s_cbranch_execz .LBB250_248
; %bb.245:                              ;   in Loop: Header=BB250_213 Depth=1
	v_and_b32_e32 v26, 0x7f, v1
	v_cmp_ne_u32_e64 s[0:1], s33, v26
	v_mov_b32_e32 v42, 0x7c010000
	s_and_saveexec_b64 s[18:19], s[0:1]
	s_cbranch_execz .LBB250_247
; %bb.246:                              ;   in Loop: Header=BB250_213 Depth=1
	v_and_b32_e32 v44, 7, v1
	v_ffbh_u32_e32 v42, v44
	v_min_u32_e32 v46, 32, v42
	v_subrev_u32_e32 v42, 28, v46
	v_lshlrev_b64 v[42:43], v42, v[1:2]
	v_lshrrev_b32_e32 v45, 3, v26
	v_sub_u32_e32 v43, 29, v46
	v_cmp_gt_u32_e64 s[0:1], 8, v26
	v_cndmask_b32_e64 v26, v45, v43, s[0:1]
	v_lshlrev_b32_e32 v1, 8, v1
	v_lshl_add_u32 v26, v26, 10, v25
	v_and_b32_e32 v42, 7, v42
	v_and_or_b32 v1, v1, s34, v26
	v_cndmask_b32_e64 v42, v44, v42, s[0:1]
	v_lshlrev_b32_e32 v1, 16, v1
	v_lshl_or_b32 v42, v42, 23, v1
.LBB250_247:                            ;   in Loop: Header=BB250_213 Depth=1
	s_or_b64 exec, exec, s[18:19]
.LBB250_248:                            ;   in Loop: Header=BB250_213 Depth=1
	s_or_b64 exec, exec, s[16:17]
.LBB250_249:                            ;   in Loop: Header=BB250_213 Depth=1
	s_or_b64 exec, exec, s[2:3]
	v_lshrrev_b32_e32 v1, 16, v12
	v_cmp_ne_u16_sdwa s[0:1], v1, v2 src0_sel:BYTE_0 src1_sel:DWORD
	s_and_saveexec_b64 s[2:3], s[0:1]
	s_cbranch_execz .LBB250_255
; %bb.250:                              ;   in Loop: Header=BB250_213 Depth=1
	v_cmp_ne_u16_sdwa s[0:1], v1, s29 src0_sel:BYTE_0 src1_sel:DWORD
	v_mov_b32_e32 v41, 0x8000
	s_and_saveexec_b64 s[16:17], s[0:1]
	s_cbranch_execz .LBB250_254
; %bb.251:                              ;   in Loop: Header=BB250_213 Depth=1
	v_bfe_u32 v26, v12, 16, 7
	v_cmp_ne_u32_e64 s[0:1], s33, v26
	v_mov_b32_e32 v41, 0x7c01
	s_and_saveexec_b64 s[18:19], s[0:1]
	s_cbranch_execz .LBB250_253
; %bb.252:                              ;   in Loop: Header=BB250_213 Depth=1
	v_and_b32_e32 v41, 7, v1
	v_ffbh_u32_e32 v43, v41
	v_min_u32_e32 v46, 32, v43
	v_subrev_u32_e32 v43, 28, v46
	v_lshlrev_b64 v[43:44], v43, v[1:2]
	v_lshrrev_b32_e32 v45, 3, v26
	v_sub_u32_e32 v44, 29, v46
	v_cmp_gt_u32_e64 s[0:1], 8, v26
	v_cndmask_b32_e64 v26, v45, v44, s[0:1]
	v_lshl_add_u32 v26, v26, 10, v25
	v_lshlrev_b32_e32 v1, 8, v1
	v_and_b32_e32 v43, 7, v43
	v_and_b32_e32 v26, 0xfc00, v26
	v_cndmask_b32_e64 v41, v41, v43, s[0:1]
	v_and_or_b32 v1, v1, s34, v26
	v_lshl_or_b32 v41, v41, 7, v1
.LBB250_253:                            ;   in Loop: Header=BB250_213 Depth=1
	s_or_b64 exec, exec, s[18:19]
.LBB250_254:                            ;   in Loop: Header=BB250_213 Depth=1
	s_or_b64 exec, exec, s[16:17]
.LBB250_255:                            ;   in Loop: Header=BB250_213 Depth=1
	s_or_b64 exec, exec, s[2:3]
	v_cmp_lt_u64_e64 s[0:1], s[6:7], v[11:12]
	v_mov_b32_e32 v43, 0
	s_and_saveexec_b64 s[2:3], s[0:1]
	s_cbranch_execz .LBB250_261
; %bb.256:                              ;   in Loop: Header=BB250_213 Depth=1
	v_lshrrev_b32_e32 v1, 24, v12
	v_cmp_ne_u32_e64 s[0:1], s29, v1
	v_bfrev_b32_e32 v43, 1
	s_and_saveexec_b64 s[16:17], s[0:1]
	s_cbranch_execz .LBB250_260
; %bb.257:                              ;   in Loop: Header=BB250_213 Depth=1
	v_and_b32_e32 v11, 0x7f, v1
	v_cmp_ne_u32_e64 s[0:1], s33, v11
	v_mov_b32_e32 v43, 0x7c010000
	s_and_saveexec_b64 s[18:19], s[0:1]
	s_cbranch_execz .LBB250_259
; %bb.258:                              ;   in Loop: Header=BB250_213 Depth=1
	v_and_b32_e32 v12, 7, v1
	v_ffbh_u32_e32 v43, v12
	v_min_u32_e32 v45, 32, v43
	v_subrev_u32_e32 v43, 28, v45
	v_lshlrev_b64 v[43:44], v43, v[1:2]
	v_lshrrev_b32_e32 v26, 3, v11
	v_sub_u32_e32 v44, 29, v45
	v_cmp_gt_u32_e64 s[0:1], 8, v11
	v_cndmask_b32_e64 v11, v26, v44, s[0:1]
	v_lshlrev_b32_e32 v1, 8, v1
	v_lshl_add_u32 v11, v11, 10, v25
	v_and_b32_e32 v26, 7, v43
	v_and_or_b32 v1, v1, s34, v11
	v_cndmask_b32_e64 v12, v12, v26, s[0:1]
	v_lshlrev_b32_e32 v1, 16, v1
	v_lshl_or_b32 v43, v12, 23, v1
.LBB250_259:                            ;   in Loop: Header=BB250_213 Depth=1
	s_or_b64 exec, exec, s[18:19]
.LBB250_260:                            ;   in Loop: Header=BB250_213 Depth=1
	s_or_b64 exec, exec, s[16:17]
.LBB250_261:                            ;   in Loop: Header=BB250_213 Depth=1
	s_or_b64 exec, exec, s[2:3]
	s_waitcnt vmcnt(0)
	v_fma_mixlo_f16 v11, v31, v40, 0 op_sel:[0,1,0] op_sel_hi:[0,1,0]
	v_or_b32_e32 v1, v40, v38
	v_lshlrev_b32_e32 v12, 16, v11
	v_or_b32_e32 v11, v37, v32
	v_fma_mixlo_f16 v32, v31, v37, 0 op_sel:[0,1,0] op_sel_hi:[0,1,0]
	v_or_b32_e32 v37, v42, v39
	v_or_b32_e32 v39, v43, v41
	v_fma_mixlo_f16 v1, v31, v1, 0 op_sel_hi:[0,1,0]
	v_lshlrev_b32_e32 v44, 16, v32
	v_fma_mixlo_f16 v11, v31, v11, 0 op_sel_hi:[0,1,0]
	v_fma_mixlo_f16 v32, v31, v42, 0 op_sel:[0,1,0] op_sel_hi:[0,1,0]
	v_fma_mixlo_f16 v37, v31, v37, 0 op_sel_hi:[0,1,0]
	v_fma_mixlo_f16 v39, v31, v39, 0 op_sel_hi:[0,1,0]
	v_fma_mixlo_f16 v31, v31, v43, 0 op_sel:[0,1,0] op_sel_hi:[0,1,0]
	v_and_b32_e32 v38, 0xffff, v1
	v_and_b32_e32 v45, 0xffff, v11
	v_lshlrev_b32_e32 v32, 16, v32
	v_and_b32_e32 v40, 0xffff, v37
	v_lshlrev_b32_e32 v31, 16, v31
	v_and_b32_e32 v39, 0xffff, v39
	v_add_u32_e32 v26, -7, v23
	v_cmp_eq_u32_e64 s[0:1], s28, v13
	v_or_b32_e32 v1, v12, v38
	v_or_b32_e32 v11, v44, v45
	;; [unrolled: 1-line block ×4, first 2 shown]
	s_and_saveexec_b64 s[16:17], s[0:1]
	s_cbranch_execz .LBB250_263
; %bb.262:                              ;   in Loop: Header=BB250_213 Depth=1
	v_cmp_gt_i32_e64 s[2:3], s30, v26
	v_add_u32_e32 v11, -6, v23
	v_cndmask_b32_e64 v1, 0, v45, s[2:3]
	v_cmp_gt_i32_e64 s[2:3], s30, v11
	v_cndmask_b32_e64 v11, 0, v44, s[2:3]
	v_or_b32_e32 v11, v11, v1
	v_add_u32_e32 v1, -5, v23
	v_cmp_gt_i32_e64 s[2:3], s30, v1
	v_add_u32_e32 v37, -4, v23
	v_cndmask_b32_e64 v1, 0, v38, s[2:3]
	v_cmp_gt_i32_e64 s[2:3], s30, v37
	v_cndmask_b32_e64 v12, 0, v12, s[2:3]
	v_or_b32_e32 v1, v12, v1
	v_add_u32_e32 v12, -3, v23
	;; [unrolled: 7-line block ×3, first 2 shown]
	v_cmp_gt_i32_e64 s[2:3], s30, v12
	v_cndmask_b32_e64 v12, 0, v39, s[2:3]
	v_cmp_gt_i32_e64 s[2:3], s30, v23
	v_cndmask_b32_e64 v31, 0, v31, s[2:3]
	v_or_b32_e32 v41, v31, v12
.LBB250_263:                            ;   in Loop: Header=BB250_213 Depth=1
	s_or_b64 exec, exec, s[16:17]
	v_and_b32_e32 v12, 0xffff, v27
	v_lshl_or_b32 v32, v28, 16, v12
	v_and_b32_e32 v12, 0xffff, v29
	v_lshl_or_b32 v31, v30, 16, v12
	;; [unrolled: 2-line block ×3, first 2 shown]
	v_and_b32_e32 v12, 0xffff, v35
	;;#ASMSTART
	v_pk_mul_f16 v11, v32, v11;

	;;#ASMEND
	;;#ASMSTART
	v_pk_mul_f16 v1, v31, v1;

	;;#ASMEND
	v_lshl_or_b32 v29, v36, 16, v12
	;;#ASMSTART
	v_pk_mul_f16 v12, v30, v37;

	;;#ASMEND
	;;#ASMSTART
	v_pk_mul_f16 v27, v29, v41;

	;;#ASMEND
	;;#ASMSTART
	v_pk_add_f16 v1, v11, v1;

	;;#ASMEND
	;;#ASMSTART
	v_pk_add_f16 v1, v1, v12;
	;; [unrolled: 4-line block ×3, first 2 shown]

	;;#ASMEND
	v_lshrrev_b32_e32 v11, 16, v1
	v_and_b32_e32 v1, 0xffff, v1
	;;#ASMSTART
	v_cvt_f32_f16 v27, v1;
	;;#ASMEND
	;;#ASMSTART
	v_cvt_f32_f16 v28, v11;
	;;#ASMEND
	global_load_dwordx2 v[11:12], v[9:10], off offset:512
	v_mov_b32_e32 v34, 0
	global_load_dword v33, v34, s[14:15]
	v_mov_b32_e32 v35, 0
	s_waitcnt vmcnt(1)
	v_cmp_ne_u16_sdwa s[2:3], v11, v2 src0_sel:BYTE_0 src1_sel:DWORD
	s_and_saveexec_b64 s[16:17], s[2:3]
	s_cbranch_execz .LBB250_269
; %bb.264:                              ;   in Loop: Header=BB250_213 Depth=1
	v_cmp_ne_u16_sdwa s[2:3], v11, s29 src0_sel:BYTE_0 src1_sel:DWORD
	v_mov_b32_e32 v35, 0x8000
	s_and_saveexec_b64 s[18:19], s[2:3]
	s_cbranch_execz .LBB250_268
; %bb.265:                              ;   in Loop: Header=BB250_213 Depth=1
	v_and_b32_e32 v1, 0x7f, v11
	v_cmp_ne_u32_e64 s[2:3], s33, v1
	v_mov_b32_e32 v35, 0x7c01
	s_and_saveexec_b64 s[24:25], s[2:3]
	s_cbranch_execz .LBB250_267
; %bb.266:                              ;   in Loop: Header=BB250_213 Depth=1
	v_and_b32_e32 v37, 7, v11
	v_ffbh_u32_e32 v35, v37
	v_min_u32_e32 v39, 32, v35
	v_subrev_u32_e32 v35, 28, v39
	v_lshlrev_b64 v[35:36], v35, v[11:12]
	v_lshrrev_b32_e32 v38, 3, v1
	v_sub_u32_e32 v36, 29, v39
	v_cmp_gt_u32_e64 s[2:3], 8, v1
	v_cndmask_b32_e64 v1, v38, v36, s[2:3]
	v_lshl_add_u32 v1, v1, 10, v25
	v_lshlrev_b32_e32 v36, 8, v11
	v_and_b32_e32 v35, 7, v35
	v_and_b32_e32 v1, 0xfc00, v1
	v_cndmask_b32_e64 v35, v37, v35, s[2:3]
	v_and_or_b32 v1, v36, s34, v1
	v_lshl_or_b32 v35, v35, 7, v1
.LBB250_267:                            ;   in Loop: Header=BB250_213 Depth=1
	s_or_b64 exec, exec, s[24:25]
.LBB250_268:                            ;   in Loop: Header=BB250_213 Depth=1
	s_or_b64 exec, exec, s[18:19]
.LBB250_269:                            ;   in Loop: Header=BB250_213 Depth=1
	s_or_b64 exec, exec, s[16:17]
	v_lshrrev_b16_e32 v1, 8, v11
	v_cmp_ne_u16_e64 s[2:3], 0, v1
	s_and_saveexec_b64 s[16:17], s[2:3]
	s_cbranch_execz .LBB250_275
; %bb.270:                              ;   in Loop: Header=BB250_213 Depth=1
	v_cmp_ne_u16_e64 s[2:3], s29, v1
	v_bfrev_b32_e32 v34, 1
	s_and_saveexec_b64 s[18:19], s[2:3]
	s_cbranch_execz .LBB250_274
; %bb.271:                              ;   in Loop: Header=BB250_213 Depth=1
	v_and_b32_e32 v36, 0x7f, v1
	v_cmp_ne_u32_e64 s[2:3], s33, v36
	v_mov_b32_e32 v34, 0x7c010000
	s_and_saveexec_b64 s[24:25], s[2:3]
	s_cbranch_execz .LBB250_273
; %bb.272:                              ;   in Loop: Header=BB250_213 Depth=1
	v_and_b32_e32 v34, 7, v1
	v_ffbh_u32_e32 v37, v34
	v_min_u32_e32 v40, 32, v37
	v_subrev_u32_e32 v37, 28, v40
	v_lshlrev_b64 v[37:38], v37, v[1:2]
	v_lshrrev_b32_e32 v39, 3, v36
	v_sub_u32_e32 v38, 29, v40
	v_cmp_gt_u32_e64 s[2:3], 8, v36
	v_cndmask_b32_e64 v36, v39, v38, s[2:3]
	v_lshlrev_b32_e32 v1, 8, v1
	v_lshl_add_u32 v36, v36, 10, v25
	v_and_b32_e32 v37, 7, v37
	v_and_or_b32 v1, v1, s34, v36
	v_cndmask_b32_e64 v34, v34, v37, s[2:3]
	v_lshlrev_b32_e32 v1, 16, v1
	v_lshl_or_b32 v34, v34, 23, v1
.LBB250_273:                            ;   in Loop: Header=BB250_213 Depth=1
	s_or_b64 exec, exec, s[24:25]
.LBB250_274:                            ;   in Loop: Header=BB250_213 Depth=1
	s_or_b64 exec, exec, s[18:19]
.LBB250_275:                            ;   in Loop: Header=BB250_213 Depth=1
	s_or_b64 exec, exec, s[16:17]
	v_lshrrev_b32_e32 v1, 16, v11
	v_cmp_ne_u16_sdwa s[2:3], v1, v2 src0_sel:BYTE_0 src1_sel:DWORD
	v_mov_b32_e32 v36, 0
	v_mov_b32_e32 v37, 0
	s_and_saveexec_b64 s[16:17], s[2:3]
	s_cbranch_execz .LBB250_281
; %bb.276:                              ;   in Loop: Header=BB250_213 Depth=1
	v_cmp_ne_u16_sdwa s[2:3], v1, s29 src0_sel:BYTE_0 src1_sel:DWORD
	v_mov_b32_e32 v37, 0x8000
	s_and_saveexec_b64 s[18:19], s[2:3]
	s_cbranch_execz .LBB250_280
; %bb.277:                              ;   in Loop: Header=BB250_213 Depth=1
	v_bfe_u32 v38, v11, 16, 7
	v_cmp_ne_u32_e64 s[2:3], s33, v38
	v_mov_b32_e32 v37, 0x7c01
	s_and_saveexec_b64 s[24:25], s[2:3]
	s_cbranch_execz .LBB250_279
; %bb.278:                              ;   in Loop: Header=BB250_213 Depth=1
	v_and_b32_e32 v37, 7, v1
	v_ffbh_u32_e32 v39, v37
	v_min_u32_e32 v42, 32, v39
	v_subrev_u32_e32 v39, 28, v42
	v_lshlrev_b64 v[39:40], v39, v[1:2]
	v_lshrrev_b32_e32 v41, 3, v38
	v_sub_u32_e32 v40, 29, v42
	v_cmp_gt_u32_e64 s[2:3], 8, v38
	v_cndmask_b32_e64 v38, v41, v40, s[2:3]
	v_lshl_add_u32 v38, v38, 10, v25
	v_lshlrev_b32_e32 v1, 8, v1
	v_and_b32_e32 v39, 7, v39
	v_and_b32_e32 v38, 0xfc00, v38
	v_cndmask_b32_e64 v37, v37, v39, s[2:3]
	v_and_or_b32 v1, v1, s34, v38
	v_lshl_or_b32 v37, v37, 7, v1
.LBB250_279:                            ;   in Loop: Header=BB250_213 Depth=1
	s_or_b64 exec, exec, s[24:25]
.LBB250_280:                            ;   in Loop: Header=BB250_213 Depth=1
	s_or_b64 exec, exec, s[18:19]
.LBB250_281:                            ;   in Loop: Header=BB250_213 Depth=1
	s_or_b64 exec, exec, s[16:17]
	v_cmp_lt_u32_e64 s[2:3], s7, v11
	s_and_saveexec_b64 s[16:17], s[2:3]
	s_cbranch_execz .LBB250_287
; %bb.282:                              ;   in Loop: Header=BB250_213 Depth=1
	v_lshrrev_b32_e32 v1, 24, v11
	v_cmp_ne_u32_e64 s[2:3], s29, v1
	v_bfrev_b32_e32 v36, 1
	s_and_saveexec_b64 s[18:19], s[2:3]
	s_cbranch_execz .LBB250_286
; %bb.283:                              ;   in Loop: Header=BB250_213 Depth=1
	v_and_b32_e32 v38, 0x7f, v1
	v_cmp_ne_u32_e64 s[2:3], s33, v38
	v_mov_b32_e32 v36, 0x7c010000
	s_and_saveexec_b64 s[24:25], s[2:3]
	s_cbranch_execz .LBB250_285
; %bb.284:                              ;   in Loop: Header=BB250_213 Depth=1
	v_and_b32_e32 v36, 7, v1
	v_ffbh_u32_e32 v39, v36
	v_min_u32_e32 v42, 32, v39
	v_subrev_u32_e32 v39, 28, v42
	v_lshlrev_b64 v[39:40], v39, v[1:2]
	v_lshrrev_b32_e32 v41, 3, v38
	v_sub_u32_e32 v40, 29, v42
	v_cmp_gt_u32_e64 s[2:3], 8, v38
	v_cndmask_b32_e64 v38, v41, v40, s[2:3]
	v_lshlrev_b32_e32 v1, 8, v1
	v_lshl_add_u32 v38, v38, 10, v25
	v_and_b32_e32 v39, 7, v39
	v_and_or_b32 v1, v1, s34, v38
	v_cndmask_b32_e64 v36, v36, v39, s[2:3]
	v_lshlrev_b32_e32 v1, 16, v1
	v_lshl_or_b32 v36, v36, 23, v1
.LBB250_285:                            ;   in Loop: Header=BB250_213 Depth=1
	s_or_b64 exec, exec, s[24:25]
.LBB250_286:                            ;   in Loop: Header=BB250_213 Depth=1
	s_or_b64 exec, exec, s[18:19]
.LBB250_287:                            ;   in Loop: Header=BB250_213 Depth=1
	s_or_b64 exec, exec, s[16:17]
	v_mov_b32_e32 v1, v12
	v_cmp_ne_u16_sdwa s[2:3], v12, v2 src0_sel:BYTE_0 src1_sel:DWORD
	v_mov_b32_e32 v38, 0
	v_mov_b32_e32 v39, 0
	s_and_saveexec_b64 s[16:17], s[2:3]
	s_cbranch_execz .LBB250_293
; %bb.288:                              ;   in Loop: Header=BB250_213 Depth=1
	v_cmp_ne_u16_sdwa s[2:3], v12, s29 src0_sel:BYTE_0 src1_sel:DWORD
	v_mov_b32_e32 v39, 0x8000
	s_and_saveexec_b64 s[18:19], s[2:3]
	s_cbranch_execz .LBB250_292
; %bb.289:                              ;   in Loop: Header=BB250_213 Depth=1
	v_and_b32_e32 v40, 0x7f, v12
	v_cmp_ne_u32_e64 s[2:3], s33, v40
	v_mov_b32_e32 v39, 0x7c01
	s_and_saveexec_b64 s[24:25], s[2:3]
	s_cbranch_execz .LBB250_291
; %bb.290:                              ;   in Loop: Header=BB250_213 Depth=1
	v_and_b32_e32 v39, 7, v12
	v_ffbh_u32_e32 v41, v39
	v_min_u32_e32 v44, 32, v41
	v_subrev_u32_e32 v41, 28, v44
	v_lshlrev_b64 v[41:42], v41, v[1:2]
	v_lshrrev_b32_e32 v43, 3, v40
	v_sub_u32_e32 v42, 29, v44
	v_cmp_gt_u32_e64 s[2:3], 8, v40
	v_cndmask_b32_e64 v40, v43, v42, s[2:3]
	v_lshl_add_u32 v40, v40, 10, v25
	v_lshlrev_b32_e32 v42, 8, v12
	v_and_b32_e32 v41, 7, v41
	v_and_b32_e32 v40, 0xfc00, v40
	v_cndmask_b32_e64 v39, v39, v41, s[2:3]
	v_and_or_b32 v40, v42, s34, v40
	v_lshl_or_b32 v39, v39, 7, v40
.LBB250_291:                            ;   in Loop: Header=BB250_213 Depth=1
	s_or_b64 exec, exec, s[24:25]
.LBB250_292:                            ;   in Loop: Header=BB250_213 Depth=1
	s_or_b64 exec, exec, s[18:19]
.LBB250_293:                            ;   in Loop: Header=BB250_213 Depth=1
	s_or_b64 exec, exec, s[16:17]
	v_lshrrev_b16_e32 v1, 8, v1
	v_cmp_ne_u16_e64 s[2:3], 0, v1
	v_mov_b32_e32 v40, 0
	s_and_saveexec_b64 s[16:17], s[2:3]
	s_cbranch_execz .LBB250_299
; %bb.294:                              ;   in Loop: Header=BB250_213 Depth=1
	v_cmp_ne_u16_e64 s[2:3], s29, v1
	v_bfrev_b32_e32 v40, 1
	s_and_saveexec_b64 s[18:19], s[2:3]
	s_cbranch_execz .LBB250_298
; %bb.295:                              ;   in Loop: Header=BB250_213 Depth=1
	v_and_b32_e32 v41, 0x7f, v1
	v_cmp_ne_u32_e64 s[2:3], s33, v41
	v_mov_b32_e32 v40, 0x7c010000
	s_and_saveexec_b64 s[24:25], s[2:3]
	s_cbranch_execz .LBB250_297
; %bb.296:                              ;   in Loop: Header=BB250_213 Depth=1
	v_and_b32_e32 v40, 7, v1
	v_ffbh_u32_e32 v42, v40
	v_min_u32_e32 v45, 32, v42
	v_subrev_u32_e32 v42, 28, v45
	v_lshlrev_b64 v[42:43], v42, v[1:2]
	v_lshrrev_b32_e32 v44, 3, v41
	v_sub_u32_e32 v43, 29, v45
	v_cmp_gt_u32_e64 s[2:3], 8, v41
	v_cndmask_b32_e64 v41, v44, v43, s[2:3]
	v_lshlrev_b32_e32 v1, 8, v1
	v_lshl_add_u32 v41, v41, 10, v25
	v_and_b32_e32 v42, 7, v42
	v_and_or_b32 v1, v1, s34, v41
	v_cndmask_b32_e64 v40, v40, v42, s[2:3]
	v_lshlrev_b32_e32 v1, 16, v1
	v_lshl_or_b32 v40, v40, 23, v1
.LBB250_297:                            ;   in Loop: Header=BB250_213 Depth=1
	s_or_b64 exec, exec, s[24:25]
.LBB250_298:                            ;   in Loop: Header=BB250_213 Depth=1
	s_or_b64 exec, exec, s[18:19]
.LBB250_299:                            ;   in Loop: Header=BB250_213 Depth=1
	s_or_b64 exec, exec, s[16:17]
	v_lshrrev_b32_e32 v1, 16, v12
	v_cmp_ne_u16_sdwa s[2:3], v1, v2 src0_sel:BYTE_0 src1_sel:DWORD
	s_and_saveexec_b64 s[16:17], s[2:3]
	s_cbranch_execz .LBB250_305
; %bb.300:                              ;   in Loop: Header=BB250_213 Depth=1
	v_cmp_ne_u16_sdwa s[2:3], v1, s29 src0_sel:BYTE_0 src1_sel:DWORD
	v_mov_b32_e32 v38, 0x8000
	s_and_saveexec_b64 s[18:19], s[2:3]
	s_cbranch_execz .LBB250_304
; %bb.301:                              ;   in Loop: Header=BB250_213 Depth=1
	v_bfe_u32 v41, v12, 16, 7
	v_cmp_ne_u32_e64 s[2:3], s33, v41
	v_mov_b32_e32 v38, 0x7c01
	s_and_saveexec_b64 s[24:25], s[2:3]
	s_cbranch_execz .LBB250_303
; %bb.302:                              ;   in Loop: Header=BB250_213 Depth=1
	v_and_b32_e32 v38, 7, v1
	v_ffbh_u32_e32 v42, v38
	v_min_u32_e32 v45, 32, v42
	v_subrev_u32_e32 v42, 28, v45
	v_lshlrev_b64 v[42:43], v42, v[1:2]
	v_lshrrev_b32_e32 v44, 3, v41
	v_sub_u32_e32 v43, 29, v45
	v_cmp_gt_u32_e64 s[2:3], 8, v41
	v_cndmask_b32_e64 v41, v44, v43, s[2:3]
	v_lshl_add_u32 v41, v41, 10, v25
	v_lshlrev_b32_e32 v1, 8, v1
	v_and_b32_e32 v42, 7, v42
	v_and_b32_e32 v41, 0xfc00, v41
	v_cndmask_b32_e64 v38, v38, v42, s[2:3]
	v_and_or_b32 v1, v1, s34, v41
	v_lshl_or_b32 v38, v38, 7, v1
.LBB250_303:                            ;   in Loop: Header=BB250_213 Depth=1
	s_or_b64 exec, exec, s[24:25]
.LBB250_304:                            ;   in Loop: Header=BB250_213 Depth=1
	s_or_b64 exec, exec, s[18:19]
.LBB250_305:                            ;   in Loop: Header=BB250_213 Depth=1
	s_or_b64 exec, exec, s[16:17]
	v_cmp_lt_u64_e64 s[2:3], s[6:7], v[11:12]
	v_mov_b32_e32 v41, 0
	s_and_saveexec_b64 s[16:17], s[2:3]
	s_cbranch_execz .LBB250_311
; %bb.306:                              ;   in Loop: Header=BB250_213 Depth=1
	v_lshrrev_b32_e32 v1, 24, v12
	v_cmp_ne_u32_e64 s[2:3], s29, v1
	v_bfrev_b32_e32 v41, 1
	s_and_saveexec_b64 s[18:19], s[2:3]
	s_cbranch_execz .LBB250_310
; %bb.307:                              ;   in Loop: Header=BB250_213 Depth=1
	v_and_b32_e32 v11, 0x7f, v1
	v_cmp_ne_u32_e64 s[2:3], s33, v11
	v_mov_b32_e32 v41, 0x7c010000
	s_and_saveexec_b64 s[24:25], s[2:3]
	s_cbranch_execz .LBB250_309
; %bb.308:                              ;   in Loop: Header=BB250_213 Depth=1
	v_and_b32_e32 v12, 7, v1
	v_ffbh_u32_e32 v41, v12
	v_min_u32_e32 v44, 32, v41
	v_subrev_u32_e32 v41, 28, v44
	v_lshlrev_b64 v[41:42], v41, v[1:2]
	v_lshrrev_b32_e32 v43, 3, v11
	v_sub_u32_e32 v42, 29, v44
	v_cmp_gt_u32_e64 s[2:3], 8, v11
	v_cndmask_b32_e64 v11, v43, v42, s[2:3]
	v_lshlrev_b32_e32 v1, 8, v1
	v_lshl_add_u32 v11, v11, 10, v25
	v_and_b32_e32 v41, 7, v41
	v_and_or_b32 v1, v1, s34, v11
	v_cndmask_b32_e64 v12, v12, v41, s[2:3]
	v_lshlrev_b32_e32 v1, 16, v1
	v_lshl_or_b32 v41, v12, 23, v1
.LBB250_309:                            ;   in Loop: Header=BB250_213 Depth=1
	s_or_b64 exec, exec, s[24:25]
.LBB250_310:                            ;   in Loop: Header=BB250_213 Depth=1
	s_or_b64 exec, exec, s[18:19]
.LBB250_311:                            ;   in Loop: Header=BB250_213 Depth=1
	s_or_b64 exec, exec, s[16:17]
	s_waitcnt vmcnt(0)
	v_fma_mixlo_f16 v11, v33, v36, 0 op_sel:[0,1,0] op_sel_hi:[0,1,0]
	v_or_b32_e32 v1, v36, v37
	v_lshlrev_b32_e32 v12, 16, v11
	v_or_b32_e32 v11, v34, v35
	v_fma_mixlo_f16 v34, v33, v34, 0 op_sel:[0,1,0] op_sel_hi:[0,1,0]
	v_or_b32_e32 v35, v40, v39
	v_or_b32_e32 v37, v41, v38
	v_fma_mixlo_f16 v1, v33, v1, 0 op_sel_hi:[0,1,0]
	v_lshlrev_b32_e32 v42, 16, v34
	v_fma_mixlo_f16 v11, v33, v11, 0 op_sel_hi:[0,1,0]
	v_fma_mixlo_f16 v34, v33, v40, 0 op_sel:[0,1,0] op_sel_hi:[0,1,0]
	v_fma_mixlo_f16 v35, v33, v35, 0 op_sel_hi:[0,1,0]
	v_fma_mixlo_f16 v37, v33, v37, 0 op_sel_hi:[0,1,0]
	v_fma_mixlo_f16 v33, v33, v41, 0 op_sel:[0,1,0] op_sel_hi:[0,1,0]
	v_and_b32_e32 v36, 0xffff, v1
	v_and_b32_e32 v43, 0xffff, v11
	v_lshlrev_b32_e32 v34, 16, v34
	v_and_b32_e32 v39, 0xffff, v35
	v_lshlrev_b32_e32 v33, 16, v33
	v_and_b32_e32 v37, 0xffff, v37
	v_or_b32_e32 v1, v12, v36
	v_or_b32_e32 v11, v42, v43
	;; [unrolled: 1-line block ×4, first 2 shown]
	s_and_saveexec_b64 s[16:17], s[0:1]
	s_cbranch_execz .LBB250_313
; %bb.312:                              ;   in Loop: Header=BB250_213 Depth=1
	v_cmp_gt_i32_e64 s[2:3], s30, v26
	v_add_u32_e32 v11, -6, v23
	v_cndmask_b32_e64 v1, 0, v43, s[2:3]
	v_cmp_gt_i32_e64 s[2:3], s30, v11
	v_cndmask_b32_e64 v11, 0, v42, s[2:3]
	v_or_b32_e32 v11, v11, v1
	v_add_u32_e32 v1, -5, v23
	v_cmp_gt_i32_e64 s[2:3], s30, v1
	v_add_u32_e32 v35, -4, v23
	v_cndmask_b32_e64 v1, 0, v36, s[2:3]
	v_cmp_gt_i32_e64 s[2:3], s30, v35
	v_cndmask_b32_e64 v12, 0, v12, s[2:3]
	v_or_b32_e32 v1, v12, v1
	v_add_u32_e32 v12, -3, v23
	;; [unrolled: 7-line block ×3, first 2 shown]
	v_cmp_gt_i32_e64 s[2:3], s30, v12
	v_cndmask_b32_e64 v12, 0, v37, s[2:3]
	v_cmp_gt_i32_e64 s[2:3], s30, v23
	v_cndmask_b32_e64 v33, 0, v33, s[2:3]
	v_or_b32_e32 v38, v33, v12
.LBB250_313:                            ;   in Loop: Header=BB250_213 Depth=1
	s_or_b64 exec, exec, s[16:17]
	;;#ASMSTART
	v_pk_mul_f16 v11, v32, v11;

	;;#ASMEND
	;;#ASMSTART
	v_pk_mul_f16 v1, v31, v1;

	;;#ASMEND
	;; [unrolled: 4-line block ×4, first 2 shown]
	;;#ASMSTART
	v_pk_add_f16 v1, v11, v1;

	;;#ASMEND
	;;#ASMSTART
	v_pk_add_f16 v1, v1, v12;

	;;#ASMEND
	;; [unrolled: 4-line block ×3, first 2 shown]
	v_lshrrev_b32_e32 v12, 16, v1
	v_and_b32_e32 v1, 0xffff, v1
	;;#ASMSTART
	v_cvt_f32_f16 v11, v1;
	;;#ASMEND
	;;#ASMSTART
	v_cvt_f32_f16 v12, v12;
	;;#ASMEND
	global_load_dwordx2 v[9:10], v[9:10], off offset:1024
	v_mov_b32_e32 v34, 0
	global_load_dword v33, v34, s[14:15]
	v_mov_b32_e32 v35, 0
	s_waitcnt vmcnt(1)
	v_cmp_ne_u16_sdwa s[2:3], v9, v2 src0_sel:BYTE_0 src1_sel:DWORD
	s_and_saveexec_b64 s[16:17], s[2:3]
	s_cbranch_execz .LBB250_319
; %bb.314:                              ;   in Loop: Header=BB250_213 Depth=1
	v_cmp_ne_u16_sdwa s[2:3], v9, s29 src0_sel:BYTE_0 src1_sel:DWORD
	v_mov_b32_e32 v35, 0x8000
	s_and_saveexec_b64 s[18:19], s[2:3]
	s_cbranch_execz .LBB250_318
; %bb.315:                              ;   in Loop: Header=BB250_213 Depth=1
	v_and_b32_e32 v1, 0x7f, v9
	v_cmp_ne_u32_e64 s[2:3], s33, v1
	v_mov_b32_e32 v35, 0x7c01
	s_and_saveexec_b64 s[24:25], s[2:3]
	s_cbranch_execz .LBB250_317
; %bb.316:                              ;   in Loop: Header=BB250_213 Depth=1
	v_and_b32_e32 v37, 7, v9
	v_ffbh_u32_e32 v35, v37
	v_min_u32_e32 v39, 32, v35
	v_subrev_u32_e32 v35, 28, v39
	v_lshlrev_b64 v[35:36], v35, v[9:10]
	v_lshrrev_b32_e32 v38, 3, v1
	v_sub_u32_e32 v36, 29, v39
	v_cmp_gt_u32_e64 s[2:3], 8, v1
	v_cndmask_b32_e64 v1, v38, v36, s[2:3]
	v_lshl_add_u32 v1, v1, 10, v25
	v_lshlrev_b32_e32 v36, 8, v9
	v_and_b32_e32 v35, 7, v35
	v_and_b32_e32 v1, 0xfc00, v1
	v_cndmask_b32_e64 v35, v37, v35, s[2:3]
	v_and_or_b32 v1, v36, s34, v1
	v_lshl_or_b32 v35, v35, 7, v1
.LBB250_317:                            ;   in Loop: Header=BB250_213 Depth=1
	s_or_b64 exec, exec, s[24:25]
.LBB250_318:                            ;   in Loop: Header=BB250_213 Depth=1
	s_or_b64 exec, exec, s[18:19]
.LBB250_319:                            ;   in Loop: Header=BB250_213 Depth=1
	s_or_b64 exec, exec, s[16:17]
	v_lshrrev_b16_e32 v1, 8, v9
	v_cmp_ne_u16_e64 s[2:3], 0, v1
	s_and_saveexec_b64 s[16:17], s[2:3]
	s_cbranch_execz .LBB250_325
; %bb.320:                              ;   in Loop: Header=BB250_213 Depth=1
	v_cmp_ne_u16_e64 s[2:3], s29, v1
	v_bfrev_b32_e32 v34, 1
	s_and_saveexec_b64 s[18:19], s[2:3]
	s_cbranch_execz .LBB250_324
; %bb.321:                              ;   in Loop: Header=BB250_213 Depth=1
	v_and_b32_e32 v36, 0x7f, v1
	v_cmp_ne_u32_e64 s[2:3], s33, v36
	v_mov_b32_e32 v34, 0x7c010000
	s_and_saveexec_b64 s[24:25], s[2:3]
	s_cbranch_execz .LBB250_323
; %bb.322:                              ;   in Loop: Header=BB250_213 Depth=1
	v_and_b32_e32 v34, 7, v1
	v_ffbh_u32_e32 v37, v34
	v_min_u32_e32 v40, 32, v37
	v_subrev_u32_e32 v37, 28, v40
	v_lshlrev_b64 v[37:38], v37, v[1:2]
	v_lshrrev_b32_e32 v39, 3, v36
	v_sub_u32_e32 v38, 29, v40
	v_cmp_gt_u32_e64 s[2:3], 8, v36
	v_cndmask_b32_e64 v36, v39, v38, s[2:3]
	v_lshlrev_b32_e32 v1, 8, v1
	v_lshl_add_u32 v36, v36, 10, v25
	v_and_b32_e32 v37, 7, v37
	v_and_or_b32 v1, v1, s34, v36
	v_cndmask_b32_e64 v34, v34, v37, s[2:3]
	v_lshlrev_b32_e32 v1, 16, v1
	v_lshl_or_b32 v34, v34, 23, v1
.LBB250_323:                            ;   in Loop: Header=BB250_213 Depth=1
	s_or_b64 exec, exec, s[24:25]
.LBB250_324:                            ;   in Loop: Header=BB250_213 Depth=1
	s_or_b64 exec, exec, s[18:19]
.LBB250_325:                            ;   in Loop: Header=BB250_213 Depth=1
	s_or_b64 exec, exec, s[16:17]
	v_lshrrev_b32_e32 v1, 16, v9
	v_cmp_ne_u16_sdwa s[2:3], v1, v2 src0_sel:BYTE_0 src1_sel:DWORD
	v_mov_b32_e32 v36, 0
	v_mov_b32_e32 v37, 0
	s_and_saveexec_b64 s[16:17], s[2:3]
	s_cbranch_execz .LBB250_331
; %bb.326:                              ;   in Loop: Header=BB250_213 Depth=1
	v_cmp_ne_u16_sdwa s[2:3], v1, s29 src0_sel:BYTE_0 src1_sel:DWORD
	v_mov_b32_e32 v37, 0x8000
	s_and_saveexec_b64 s[18:19], s[2:3]
	s_cbranch_execz .LBB250_330
; %bb.327:                              ;   in Loop: Header=BB250_213 Depth=1
	v_bfe_u32 v38, v9, 16, 7
	v_cmp_ne_u32_e64 s[2:3], s33, v38
	v_mov_b32_e32 v37, 0x7c01
	s_and_saveexec_b64 s[24:25], s[2:3]
	s_cbranch_execz .LBB250_329
; %bb.328:                              ;   in Loop: Header=BB250_213 Depth=1
	v_and_b32_e32 v37, 7, v1
	v_ffbh_u32_e32 v39, v37
	v_min_u32_e32 v42, 32, v39
	v_subrev_u32_e32 v39, 28, v42
	v_lshlrev_b64 v[39:40], v39, v[1:2]
	v_lshrrev_b32_e32 v41, 3, v38
	v_sub_u32_e32 v40, 29, v42
	v_cmp_gt_u32_e64 s[2:3], 8, v38
	v_cndmask_b32_e64 v38, v41, v40, s[2:3]
	v_lshl_add_u32 v38, v38, 10, v25
	v_lshlrev_b32_e32 v1, 8, v1
	v_and_b32_e32 v39, 7, v39
	v_and_b32_e32 v38, 0xfc00, v38
	v_cndmask_b32_e64 v37, v37, v39, s[2:3]
	v_and_or_b32 v1, v1, s34, v38
	v_lshl_or_b32 v37, v37, 7, v1
.LBB250_329:                            ;   in Loop: Header=BB250_213 Depth=1
	s_or_b64 exec, exec, s[24:25]
.LBB250_330:                            ;   in Loop: Header=BB250_213 Depth=1
	s_or_b64 exec, exec, s[18:19]
.LBB250_331:                            ;   in Loop: Header=BB250_213 Depth=1
	s_or_b64 exec, exec, s[16:17]
	v_cmp_lt_u32_e64 s[2:3], s7, v9
	s_and_saveexec_b64 s[16:17], s[2:3]
	s_cbranch_execz .LBB250_337
; %bb.332:                              ;   in Loop: Header=BB250_213 Depth=1
	v_lshrrev_b32_e32 v1, 24, v9
	v_cmp_ne_u32_e64 s[2:3], s29, v1
	v_bfrev_b32_e32 v36, 1
	s_and_saveexec_b64 s[18:19], s[2:3]
	s_cbranch_execz .LBB250_336
; %bb.333:                              ;   in Loop: Header=BB250_213 Depth=1
	v_and_b32_e32 v38, 0x7f, v1
	v_cmp_ne_u32_e64 s[2:3], s33, v38
	v_mov_b32_e32 v36, 0x7c010000
	s_and_saveexec_b64 s[24:25], s[2:3]
	s_cbranch_execz .LBB250_335
; %bb.334:                              ;   in Loop: Header=BB250_213 Depth=1
	v_and_b32_e32 v36, 7, v1
	v_ffbh_u32_e32 v39, v36
	v_min_u32_e32 v42, 32, v39
	v_subrev_u32_e32 v39, 28, v42
	v_lshlrev_b64 v[39:40], v39, v[1:2]
	v_lshrrev_b32_e32 v41, 3, v38
	v_sub_u32_e32 v40, 29, v42
	v_cmp_gt_u32_e64 s[2:3], 8, v38
	v_cndmask_b32_e64 v38, v41, v40, s[2:3]
	v_lshlrev_b32_e32 v1, 8, v1
	v_lshl_add_u32 v38, v38, 10, v25
	v_and_b32_e32 v39, 7, v39
	v_and_or_b32 v1, v1, s34, v38
	v_cndmask_b32_e64 v36, v36, v39, s[2:3]
	v_lshlrev_b32_e32 v1, 16, v1
	v_lshl_or_b32 v36, v36, 23, v1
.LBB250_335:                            ;   in Loop: Header=BB250_213 Depth=1
	s_or_b64 exec, exec, s[24:25]
.LBB250_336:                            ;   in Loop: Header=BB250_213 Depth=1
	s_or_b64 exec, exec, s[18:19]
.LBB250_337:                            ;   in Loop: Header=BB250_213 Depth=1
	s_or_b64 exec, exec, s[16:17]
	v_mov_b32_e32 v1, v10
	v_cmp_ne_u16_sdwa s[2:3], v10, v2 src0_sel:BYTE_0 src1_sel:DWORD
	v_mov_b32_e32 v38, 0
	v_mov_b32_e32 v39, 0
	s_and_saveexec_b64 s[16:17], s[2:3]
	s_cbranch_execz .LBB250_343
; %bb.338:                              ;   in Loop: Header=BB250_213 Depth=1
	v_cmp_ne_u16_sdwa s[2:3], v10, s29 src0_sel:BYTE_0 src1_sel:DWORD
	v_mov_b32_e32 v39, 0x8000
	s_and_saveexec_b64 s[18:19], s[2:3]
	s_cbranch_execz .LBB250_342
; %bb.339:                              ;   in Loop: Header=BB250_213 Depth=1
	v_and_b32_e32 v40, 0x7f, v10
	v_cmp_ne_u32_e64 s[2:3], s33, v40
	v_mov_b32_e32 v39, 0x7c01
	s_and_saveexec_b64 s[24:25], s[2:3]
	s_cbranch_execz .LBB250_341
; %bb.340:                              ;   in Loop: Header=BB250_213 Depth=1
	v_and_b32_e32 v39, 7, v10
	v_ffbh_u32_e32 v41, v39
	v_min_u32_e32 v44, 32, v41
	v_subrev_u32_e32 v41, 28, v44
	v_lshlrev_b64 v[41:42], v41, v[1:2]
	v_lshrrev_b32_e32 v43, 3, v40
	v_sub_u32_e32 v42, 29, v44
	v_cmp_gt_u32_e64 s[2:3], 8, v40
	v_cndmask_b32_e64 v40, v43, v42, s[2:3]
	v_lshl_add_u32 v40, v40, 10, v25
	v_lshlrev_b32_e32 v42, 8, v10
	v_and_b32_e32 v41, 7, v41
	v_and_b32_e32 v40, 0xfc00, v40
	v_cndmask_b32_e64 v39, v39, v41, s[2:3]
	v_and_or_b32 v40, v42, s34, v40
	v_lshl_or_b32 v39, v39, 7, v40
.LBB250_341:                            ;   in Loop: Header=BB250_213 Depth=1
	s_or_b64 exec, exec, s[24:25]
.LBB250_342:                            ;   in Loop: Header=BB250_213 Depth=1
	s_or_b64 exec, exec, s[18:19]
.LBB250_343:                            ;   in Loop: Header=BB250_213 Depth=1
	s_or_b64 exec, exec, s[16:17]
	v_lshrrev_b16_e32 v1, 8, v1
	v_cmp_ne_u16_e64 s[2:3], 0, v1
	v_mov_b32_e32 v40, 0
	s_and_saveexec_b64 s[16:17], s[2:3]
	s_cbranch_execz .LBB250_349
; %bb.344:                              ;   in Loop: Header=BB250_213 Depth=1
	v_cmp_ne_u16_e64 s[2:3], s29, v1
	v_bfrev_b32_e32 v40, 1
	s_and_saveexec_b64 s[18:19], s[2:3]
	s_cbranch_execz .LBB250_348
; %bb.345:                              ;   in Loop: Header=BB250_213 Depth=1
	v_and_b32_e32 v41, 0x7f, v1
	v_cmp_ne_u32_e64 s[2:3], s33, v41
	v_mov_b32_e32 v40, 0x7c010000
	s_and_saveexec_b64 s[24:25], s[2:3]
	s_cbranch_execz .LBB250_347
; %bb.346:                              ;   in Loop: Header=BB250_213 Depth=1
	v_and_b32_e32 v40, 7, v1
	v_ffbh_u32_e32 v42, v40
	v_min_u32_e32 v45, 32, v42
	v_subrev_u32_e32 v42, 28, v45
	v_lshlrev_b64 v[42:43], v42, v[1:2]
	v_lshrrev_b32_e32 v44, 3, v41
	v_sub_u32_e32 v43, 29, v45
	v_cmp_gt_u32_e64 s[2:3], 8, v41
	v_cndmask_b32_e64 v41, v44, v43, s[2:3]
	v_lshlrev_b32_e32 v1, 8, v1
	v_lshl_add_u32 v41, v41, 10, v25
	v_and_b32_e32 v42, 7, v42
	v_and_or_b32 v1, v1, s34, v41
	v_cndmask_b32_e64 v40, v40, v42, s[2:3]
	v_lshlrev_b32_e32 v1, 16, v1
	v_lshl_or_b32 v40, v40, 23, v1
.LBB250_347:                            ;   in Loop: Header=BB250_213 Depth=1
	s_or_b64 exec, exec, s[24:25]
.LBB250_348:                            ;   in Loop: Header=BB250_213 Depth=1
	s_or_b64 exec, exec, s[18:19]
.LBB250_349:                            ;   in Loop: Header=BB250_213 Depth=1
	s_or_b64 exec, exec, s[16:17]
	v_lshrrev_b32_e32 v1, 16, v10
	v_cmp_ne_u16_sdwa s[2:3], v1, v2 src0_sel:BYTE_0 src1_sel:DWORD
	s_and_saveexec_b64 s[16:17], s[2:3]
	s_cbranch_execz .LBB250_355
; %bb.350:                              ;   in Loop: Header=BB250_213 Depth=1
	v_cmp_ne_u16_sdwa s[2:3], v1, s29 src0_sel:BYTE_0 src1_sel:DWORD
	v_mov_b32_e32 v38, 0x8000
	s_and_saveexec_b64 s[18:19], s[2:3]
	s_cbranch_execz .LBB250_354
; %bb.351:                              ;   in Loop: Header=BB250_213 Depth=1
	v_bfe_u32 v41, v10, 16, 7
	v_cmp_ne_u32_e64 s[2:3], s33, v41
	v_mov_b32_e32 v38, 0x7c01
	s_and_saveexec_b64 s[24:25], s[2:3]
	s_cbranch_execz .LBB250_353
; %bb.352:                              ;   in Loop: Header=BB250_213 Depth=1
	v_and_b32_e32 v38, 7, v1
	v_ffbh_u32_e32 v42, v38
	v_min_u32_e32 v45, 32, v42
	v_subrev_u32_e32 v42, 28, v45
	v_lshlrev_b64 v[42:43], v42, v[1:2]
	v_lshrrev_b32_e32 v44, 3, v41
	v_sub_u32_e32 v43, 29, v45
	v_cmp_gt_u32_e64 s[2:3], 8, v41
	v_cndmask_b32_e64 v41, v44, v43, s[2:3]
	v_lshl_add_u32 v41, v41, 10, v25
	v_lshlrev_b32_e32 v1, 8, v1
	v_and_b32_e32 v42, 7, v42
	v_and_b32_e32 v41, 0xfc00, v41
	v_cndmask_b32_e64 v38, v38, v42, s[2:3]
	v_and_or_b32 v1, v1, s34, v41
	v_lshl_or_b32 v38, v38, 7, v1
.LBB250_353:                            ;   in Loop: Header=BB250_213 Depth=1
	s_or_b64 exec, exec, s[24:25]
.LBB250_354:                            ;   in Loop: Header=BB250_213 Depth=1
	s_or_b64 exec, exec, s[18:19]
.LBB250_355:                            ;   in Loop: Header=BB250_213 Depth=1
	s_or_b64 exec, exec, s[16:17]
	v_cmp_lt_u64_e64 s[2:3], s[6:7], v[9:10]
	v_mov_b32_e32 v41, 0
	s_and_saveexec_b64 s[16:17], s[2:3]
	s_cbranch_execz .LBB250_361
; %bb.356:                              ;   in Loop: Header=BB250_213 Depth=1
	v_lshrrev_b32_e32 v1, 24, v10
	v_cmp_ne_u32_e64 s[2:3], s29, v1
	v_bfrev_b32_e32 v41, 1
	s_and_saveexec_b64 s[18:19], s[2:3]
	s_cbranch_execz .LBB250_360
; %bb.357:                              ;   in Loop: Header=BB250_213 Depth=1
	v_and_b32_e32 v9, 0x7f, v1
	v_cmp_ne_u32_e64 s[2:3], s33, v9
	v_mov_b32_e32 v41, 0x7c010000
	s_and_saveexec_b64 s[24:25], s[2:3]
	s_cbranch_execz .LBB250_359
; %bb.358:                              ;   in Loop: Header=BB250_213 Depth=1
	v_and_b32_e32 v10, 7, v1
	v_ffbh_u32_e32 v41, v10
	v_min_u32_e32 v44, 32, v41
	v_subrev_u32_e32 v41, 28, v44
	v_lshlrev_b64 v[41:42], v41, v[1:2]
	v_lshrrev_b32_e32 v43, 3, v9
	v_sub_u32_e32 v42, 29, v44
	v_cmp_gt_u32_e64 s[2:3], 8, v9
	v_cndmask_b32_e64 v9, v43, v42, s[2:3]
	v_lshlrev_b32_e32 v1, 8, v1
	v_lshl_add_u32 v9, v9, 10, v25
	v_and_b32_e32 v41, 7, v41
	v_and_or_b32 v1, v1, s34, v9
	v_cndmask_b32_e64 v10, v10, v41, s[2:3]
	v_lshlrev_b32_e32 v1, 16, v1
	v_lshl_or_b32 v41, v10, 23, v1
.LBB250_359:                            ;   in Loop: Header=BB250_213 Depth=1
	s_or_b64 exec, exec, s[24:25]
.LBB250_360:                            ;   in Loop: Header=BB250_213 Depth=1
	s_or_b64 exec, exec, s[18:19]
.LBB250_361:                            ;   in Loop: Header=BB250_213 Depth=1
	s_or_b64 exec, exec, s[16:17]
	s_waitcnt vmcnt(0)
	v_fma_mixlo_f16 v9, v33, v36, 0 op_sel:[0,1,0] op_sel_hi:[0,1,0]
	v_or_b32_e32 v1, v36, v37
	v_lshlrev_b32_e32 v10, 16, v9
	v_or_b32_e32 v9, v34, v35
	v_fma_mixlo_f16 v34, v33, v34, 0 op_sel:[0,1,0] op_sel_hi:[0,1,0]
	v_or_b32_e32 v35, v40, v39
	v_or_b32_e32 v37, v41, v38
	v_fma_mixlo_f16 v1, v33, v1, 0 op_sel_hi:[0,1,0]
	v_lshlrev_b32_e32 v42, 16, v34
	v_fma_mixlo_f16 v9, v33, v9, 0 op_sel_hi:[0,1,0]
	v_fma_mixlo_f16 v34, v33, v40, 0 op_sel:[0,1,0] op_sel_hi:[0,1,0]
	v_fma_mixlo_f16 v35, v33, v35, 0 op_sel_hi:[0,1,0]
	v_fma_mixlo_f16 v37, v33, v37, 0 op_sel_hi:[0,1,0]
	v_fma_mixlo_f16 v33, v33, v41, 0 op_sel:[0,1,0] op_sel_hi:[0,1,0]
	v_and_b32_e32 v36, 0xffff, v1
	v_and_b32_e32 v43, 0xffff, v9
	v_lshlrev_b32_e32 v34, 16, v34
	v_and_b32_e32 v39, 0xffff, v35
	v_lshlrev_b32_e32 v33, 16, v33
	v_and_b32_e32 v37, 0xffff, v37
	v_or_b32_e32 v1, v10, v36
	v_or_b32_e32 v9, v42, v43
	;; [unrolled: 1-line block ×4, first 2 shown]
	s_and_saveexec_b64 s[16:17], s[0:1]
	s_cbranch_execz .LBB250_363
; %bb.362:                              ;   in Loop: Header=BB250_213 Depth=1
	v_cmp_gt_i32_e64 s[2:3], s30, v26
	v_add_u32_e32 v9, -6, v23
	v_cndmask_b32_e64 v1, 0, v43, s[2:3]
	v_cmp_gt_i32_e64 s[2:3], s30, v9
	v_cndmask_b32_e64 v9, 0, v42, s[2:3]
	v_or_b32_e32 v9, v9, v1
	v_add_u32_e32 v1, -5, v23
	v_cmp_gt_i32_e64 s[2:3], s30, v1
	v_add_u32_e32 v35, -4, v23
	v_cndmask_b32_e64 v1, 0, v36, s[2:3]
	v_cmp_gt_i32_e64 s[2:3], s30, v35
	v_cndmask_b32_e64 v10, 0, v10, s[2:3]
	v_or_b32_e32 v1, v10, v1
	v_add_u32_e32 v10, -3, v23
	;; [unrolled: 7-line block ×3, first 2 shown]
	v_cmp_gt_i32_e64 s[2:3], s30, v10
	v_cndmask_b32_e64 v10, 0, v37, s[2:3]
	v_cmp_gt_i32_e64 s[2:3], s30, v23
	v_cndmask_b32_e64 v33, 0, v33, s[2:3]
	v_or_b32_e32 v38, v33, v10
.LBB250_363:                            ;   in Loop: Header=BB250_213 Depth=1
	s_or_b64 exec, exec, s[16:17]
	;;#ASMSTART
	v_pk_mul_f16 v9, v32, v9;

	;;#ASMEND
	;;#ASMSTART
	v_pk_mul_f16 v1, v31, v1;

	;;#ASMEND
	;; [unrolled: 4-line block ×4, first 2 shown]
	;;#ASMSTART
	v_pk_add_f16 v1, v9, v1;

	;;#ASMEND
	;;#ASMSTART
	v_pk_add_f16 v1, v1, v10;

	;;#ASMEND
	;; [unrolled: 4-line block ×3, first 2 shown]
	v_lshrrev_b32_e32 v10, 16, v1
	v_and_b32_e32 v1, 0xffff, v1
	;;#ASMSTART
	v_cvt_f32_f16 v9, v1;
	;;#ASMEND
	;;#ASMSTART
	v_cvt_f32_f16 v10, v10;
	;;#ASMEND
	s_and_saveexec_b64 s[16:17], vcc
	s_cbranch_execz .LBB250_212
; %bb.364:                              ;   in Loop: Header=BB250_213 Depth=1
	v_add_co_u32_e64 v7, s[2:3], v7, v22
	v_addc_co_u32_e64 v8, s[2:3], 0, v8, s[2:3]
	global_load_dwordx2 v[7:8], v[7:8], off
	v_mov_b32_e32 v34, 0
	global_load_dword v33, v34, s[14:15]
	v_mov_b32_e32 v35, 0
	s_waitcnt vmcnt(1)
	v_cmp_ne_u16_sdwa s[2:3], v7, v2 src0_sel:BYTE_0 src1_sel:DWORD
	s_and_saveexec_b64 s[18:19], s[2:3]
	s_cbranch_execz .LBB250_370
; %bb.365:                              ;   in Loop: Header=BB250_213 Depth=1
	v_cmp_ne_u16_sdwa s[2:3], v7, s29 src0_sel:BYTE_0 src1_sel:DWORD
	v_mov_b32_e32 v35, 0x8000
	s_and_saveexec_b64 s[24:25], s[2:3]
	s_cbranch_execz .LBB250_369
; %bb.366:                              ;   in Loop: Header=BB250_213 Depth=1
	v_and_b32_e32 v1, 0x7f, v7
	v_cmp_ne_u32_e64 s[2:3], s33, v1
	v_mov_b32_e32 v35, 0x7c01
	s_and_saveexec_b64 s[26:27], s[2:3]
	s_cbranch_execz .LBB250_368
; %bb.367:                              ;   in Loop: Header=BB250_213 Depth=1
	v_and_b32_e32 v37, 7, v7
	v_ffbh_u32_e32 v35, v37
	v_min_u32_e32 v39, 32, v35
	v_subrev_u32_e32 v35, 28, v39
	v_lshlrev_b64 v[35:36], v35, v[7:8]
	v_lshrrev_b32_e32 v38, 3, v1
	v_sub_u32_e32 v36, 29, v39
	v_cmp_gt_u32_e64 s[2:3], 8, v1
	v_cndmask_b32_e64 v1, v38, v36, s[2:3]
	v_lshl_add_u32 v1, v1, 10, v25
	v_lshlrev_b32_e32 v36, 8, v7
	v_and_b32_e32 v35, 7, v35
	v_and_b32_e32 v1, 0xfc00, v1
	v_cndmask_b32_e64 v35, v37, v35, s[2:3]
	v_and_or_b32 v1, v36, s34, v1
	v_lshl_or_b32 v35, v35, 7, v1
.LBB250_368:                            ;   in Loop: Header=BB250_213 Depth=1
	s_or_b64 exec, exec, s[26:27]
.LBB250_369:                            ;   in Loop: Header=BB250_213 Depth=1
	s_or_b64 exec, exec, s[24:25]
.LBB250_370:                            ;   in Loop: Header=BB250_213 Depth=1
	s_or_b64 exec, exec, s[18:19]
	v_lshrrev_b16_e32 v1, 8, v7
	v_cmp_ne_u16_e64 s[2:3], 0, v1
	s_and_saveexec_b64 s[18:19], s[2:3]
	s_cbranch_execz .LBB250_376
; %bb.371:                              ;   in Loop: Header=BB250_213 Depth=1
	v_cmp_ne_u16_e64 s[2:3], s29, v1
	v_bfrev_b32_e32 v34, 1
	s_and_saveexec_b64 s[24:25], s[2:3]
	s_cbranch_execz .LBB250_375
; %bb.372:                              ;   in Loop: Header=BB250_213 Depth=1
	v_and_b32_e32 v36, 0x7f, v1
	v_cmp_ne_u32_e64 s[2:3], s33, v36
	v_mov_b32_e32 v34, 0x7c010000
	s_and_saveexec_b64 s[26:27], s[2:3]
	s_cbranch_execz .LBB250_374
; %bb.373:                              ;   in Loop: Header=BB250_213 Depth=1
	v_and_b32_e32 v34, 7, v1
	v_ffbh_u32_e32 v37, v34
	v_min_u32_e32 v40, 32, v37
	v_subrev_u32_e32 v37, 28, v40
	v_lshlrev_b64 v[37:38], v37, v[1:2]
	v_lshrrev_b32_e32 v39, 3, v36
	v_sub_u32_e32 v38, 29, v40
	v_cmp_gt_u32_e64 s[2:3], 8, v36
	v_cndmask_b32_e64 v36, v39, v38, s[2:3]
	v_lshlrev_b32_e32 v1, 8, v1
	v_lshl_add_u32 v36, v36, 10, v25
	v_and_b32_e32 v37, 7, v37
	v_and_or_b32 v1, v1, s34, v36
	v_cndmask_b32_e64 v34, v34, v37, s[2:3]
	v_lshlrev_b32_e32 v1, 16, v1
	v_lshl_or_b32 v34, v34, 23, v1
.LBB250_374:                            ;   in Loop: Header=BB250_213 Depth=1
	s_or_b64 exec, exec, s[26:27]
.LBB250_375:                            ;   in Loop: Header=BB250_213 Depth=1
	s_or_b64 exec, exec, s[24:25]
.LBB250_376:                            ;   in Loop: Header=BB250_213 Depth=1
	s_or_b64 exec, exec, s[18:19]
	v_lshrrev_b32_e32 v1, 16, v7
	v_cmp_ne_u16_sdwa s[2:3], v1, v2 src0_sel:BYTE_0 src1_sel:DWORD
	v_mov_b32_e32 v36, 0
	v_mov_b32_e32 v37, 0
	s_and_saveexec_b64 s[18:19], s[2:3]
	s_cbranch_execz .LBB250_382
; %bb.377:                              ;   in Loop: Header=BB250_213 Depth=1
	v_cmp_ne_u16_sdwa s[2:3], v1, s29 src0_sel:BYTE_0 src1_sel:DWORD
	v_mov_b32_e32 v37, 0x8000
	s_and_saveexec_b64 s[24:25], s[2:3]
	s_cbranch_execz .LBB250_381
; %bb.378:                              ;   in Loop: Header=BB250_213 Depth=1
	v_bfe_u32 v38, v7, 16, 7
	v_cmp_ne_u32_e64 s[2:3], s33, v38
	v_mov_b32_e32 v37, 0x7c01
	s_and_saveexec_b64 s[26:27], s[2:3]
	s_cbranch_execz .LBB250_380
; %bb.379:                              ;   in Loop: Header=BB250_213 Depth=1
	v_and_b32_e32 v37, 7, v1
	v_ffbh_u32_e32 v39, v37
	v_min_u32_e32 v42, 32, v39
	v_subrev_u32_e32 v39, 28, v42
	v_lshlrev_b64 v[39:40], v39, v[1:2]
	v_lshrrev_b32_e32 v41, 3, v38
	v_sub_u32_e32 v40, 29, v42
	v_cmp_gt_u32_e64 s[2:3], 8, v38
	v_cndmask_b32_e64 v38, v41, v40, s[2:3]
	v_lshl_add_u32 v38, v38, 10, v25
	v_lshlrev_b32_e32 v1, 8, v1
	v_and_b32_e32 v39, 7, v39
	v_and_b32_e32 v38, 0xfc00, v38
	v_cndmask_b32_e64 v37, v37, v39, s[2:3]
	v_and_or_b32 v1, v1, s34, v38
	v_lshl_or_b32 v37, v37, 7, v1
.LBB250_380:                            ;   in Loop: Header=BB250_213 Depth=1
	s_or_b64 exec, exec, s[26:27]
.LBB250_381:                            ;   in Loop: Header=BB250_213 Depth=1
	s_or_b64 exec, exec, s[24:25]
.LBB250_382:                            ;   in Loop: Header=BB250_213 Depth=1
	s_or_b64 exec, exec, s[18:19]
	v_cmp_lt_u32_e64 s[2:3], s7, v7
	s_and_saveexec_b64 s[18:19], s[2:3]
	s_cbranch_execz .LBB250_388
; %bb.383:                              ;   in Loop: Header=BB250_213 Depth=1
	v_lshrrev_b32_e32 v1, 24, v7
	v_cmp_ne_u32_e64 s[2:3], s29, v1
	v_bfrev_b32_e32 v36, 1
	s_and_saveexec_b64 s[24:25], s[2:3]
	s_cbranch_execz .LBB250_387
; %bb.384:                              ;   in Loop: Header=BB250_213 Depth=1
	v_and_b32_e32 v38, 0x7f, v1
	v_cmp_ne_u32_e64 s[2:3], s33, v38
	v_mov_b32_e32 v36, 0x7c010000
	s_and_saveexec_b64 s[26:27], s[2:3]
	s_cbranch_execz .LBB250_386
; %bb.385:                              ;   in Loop: Header=BB250_213 Depth=1
	v_and_b32_e32 v36, 7, v1
	v_ffbh_u32_e32 v39, v36
	v_min_u32_e32 v42, 32, v39
	v_subrev_u32_e32 v39, 28, v42
	v_lshlrev_b64 v[39:40], v39, v[1:2]
	v_lshrrev_b32_e32 v41, 3, v38
	v_sub_u32_e32 v40, 29, v42
	v_cmp_gt_u32_e64 s[2:3], 8, v38
	v_cndmask_b32_e64 v38, v41, v40, s[2:3]
	v_lshlrev_b32_e32 v1, 8, v1
	v_lshl_add_u32 v38, v38, 10, v25
	v_and_b32_e32 v39, 7, v39
	v_and_or_b32 v1, v1, s34, v38
	v_cndmask_b32_e64 v36, v36, v39, s[2:3]
	v_lshlrev_b32_e32 v1, 16, v1
	v_lshl_or_b32 v36, v36, 23, v1
.LBB250_386:                            ;   in Loop: Header=BB250_213 Depth=1
	s_or_b64 exec, exec, s[26:27]
.LBB250_387:                            ;   in Loop: Header=BB250_213 Depth=1
	s_or_b64 exec, exec, s[24:25]
.LBB250_388:                            ;   in Loop: Header=BB250_213 Depth=1
	s_or_b64 exec, exec, s[18:19]
	v_mov_b32_e32 v1, v8
	v_cmp_ne_u16_sdwa s[2:3], v8, v2 src0_sel:BYTE_0 src1_sel:DWORD
	v_mov_b32_e32 v38, 0
	v_mov_b32_e32 v39, 0
	s_and_saveexec_b64 s[18:19], s[2:3]
	s_cbranch_execz .LBB250_394
; %bb.389:                              ;   in Loop: Header=BB250_213 Depth=1
	v_cmp_ne_u16_sdwa s[2:3], v8, s29 src0_sel:BYTE_0 src1_sel:DWORD
	v_mov_b32_e32 v39, 0x8000
	s_and_saveexec_b64 s[24:25], s[2:3]
	s_cbranch_execz .LBB250_393
; %bb.390:                              ;   in Loop: Header=BB250_213 Depth=1
	v_and_b32_e32 v40, 0x7f, v8
	v_cmp_ne_u32_e64 s[2:3], s33, v40
	v_mov_b32_e32 v39, 0x7c01
	s_and_saveexec_b64 s[26:27], s[2:3]
	s_cbranch_execz .LBB250_392
; %bb.391:                              ;   in Loop: Header=BB250_213 Depth=1
	v_and_b32_e32 v39, 7, v8
	v_ffbh_u32_e32 v41, v39
	v_min_u32_e32 v44, 32, v41
	v_subrev_u32_e32 v41, 28, v44
	v_lshlrev_b64 v[41:42], v41, v[1:2]
	v_lshrrev_b32_e32 v43, 3, v40
	v_sub_u32_e32 v42, 29, v44
	v_cmp_gt_u32_e64 s[2:3], 8, v40
	v_cndmask_b32_e64 v40, v43, v42, s[2:3]
	v_lshl_add_u32 v40, v40, 10, v25
	v_lshlrev_b32_e32 v42, 8, v8
	v_and_b32_e32 v41, 7, v41
	v_and_b32_e32 v40, 0xfc00, v40
	v_cndmask_b32_e64 v39, v39, v41, s[2:3]
	v_and_or_b32 v40, v42, s34, v40
	v_lshl_or_b32 v39, v39, 7, v40
.LBB250_392:                            ;   in Loop: Header=BB250_213 Depth=1
	s_or_b64 exec, exec, s[26:27]
.LBB250_393:                            ;   in Loop: Header=BB250_213 Depth=1
	s_or_b64 exec, exec, s[24:25]
.LBB250_394:                            ;   in Loop: Header=BB250_213 Depth=1
	s_or_b64 exec, exec, s[18:19]
	v_lshrrev_b16_e32 v1, 8, v1
	v_cmp_ne_u16_e64 s[2:3], 0, v1
	v_mov_b32_e32 v40, 0
	s_and_saveexec_b64 s[18:19], s[2:3]
	s_cbranch_execz .LBB250_400
; %bb.395:                              ;   in Loop: Header=BB250_213 Depth=1
	v_cmp_ne_u16_e64 s[2:3], s29, v1
	v_bfrev_b32_e32 v40, 1
	s_and_saveexec_b64 s[24:25], s[2:3]
	s_cbranch_execz .LBB250_399
; %bb.396:                              ;   in Loop: Header=BB250_213 Depth=1
	v_and_b32_e32 v41, 0x7f, v1
	v_cmp_ne_u32_e64 s[2:3], s33, v41
	v_mov_b32_e32 v40, 0x7c010000
	s_and_saveexec_b64 s[26:27], s[2:3]
	s_cbranch_execz .LBB250_398
; %bb.397:                              ;   in Loop: Header=BB250_213 Depth=1
	v_and_b32_e32 v40, 7, v1
	v_ffbh_u32_e32 v42, v40
	v_min_u32_e32 v45, 32, v42
	v_subrev_u32_e32 v42, 28, v45
	v_lshlrev_b64 v[42:43], v42, v[1:2]
	v_lshrrev_b32_e32 v44, 3, v41
	v_sub_u32_e32 v43, 29, v45
	v_cmp_gt_u32_e64 s[2:3], 8, v41
	v_cndmask_b32_e64 v41, v44, v43, s[2:3]
	v_lshlrev_b32_e32 v1, 8, v1
	v_lshl_add_u32 v41, v41, 10, v25
	v_and_b32_e32 v42, 7, v42
	v_and_or_b32 v1, v1, s34, v41
	v_cndmask_b32_e64 v40, v40, v42, s[2:3]
	v_lshlrev_b32_e32 v1, 16, v1
	v_lshl_or_b32 v40, v40, 23, v1
.LBB250_398:                            ;   in Loop: Header=BB250_213 Depth=1
	s_or_b64 exec, exec, s[26:27]
.LBB250_399:                            ;   in Loop: Header=BB250_213 Depth=1
	s_or_b64 exec, exec, s[24:25]
.LBB250_400:                            ;   in Loop: Header=BB250_213 Depth=1
	s_or_b64 exec, exec, s[18:19]
	v_lshrrev_b32_e32 v1, 16, v8
	v_cmp_ne_u16_sdwa s[2:3], v1, v2 src0_sel:BYTE_0 src1_sel:DWORD
	s_and_saveexec_b64 s[18:19], s[2:3]
	s_cbranch_execz .LBB250_406
; %bb.401:                              ;   in Loop: Header=BB250_213 Depth=1
	v_cmp_ne_u16_sdwa s[2:3], v1, s29 src0_sel:BYTE_0 src1_sel:DWORD
	v_mov_b32_e32 v38, 0x8000
	s_and_saveexec_b64 s[24:25], s[2:3]
	s_cbranch_execz .LBB250_405
; %bb.402:                              ;   in Loop: Header=BB250_213 Depth=1
	v_bfe_u32 v41, v8, 16, 7
	v_cmp_ne_u32_e64 s[2:3], s33, v41
	v_mov_b32_e32 v38, 0x7c01
	s_and_saveexec_b64 s[26:27], s[2:3]
	s_cbranch_execz .LBB250_404
; %bb.403:                              ;   in Loop: Header=BB250_213 Depth=1
	v_and_b32_e32 v38, 7, v1
	v_ffbh_u32_e32 v42, v38
	v_min_u32_e32 v45, 32, v42
	v_subrev_u32_e32 v42, 28, v45
	v_lshlrev_b64 v[42:43], v42, v[1:2]
	v_lshrrev_b32_e32 v44, 3, v41
	v_sub_u32_e32 v43, 29, v45
	v_cmp_gt_u32_e64 s[2:3], 8, v41
	v_cndmask_b32_e64 v41, v44, v43, s[2:3]
	v_lshl_add_u32 v41, v41, 10, v25
	v_lshlrev_b32_e32 v1, 8, v1
	v_and_b32_e32 v42, 7, v42
	v_and_b32_e32 v41, 0xfc00, v41
	v_cndmask_b32_e64 v38, v38, v42, s[2:3]
	v_and_or_b32 v1, v1, s34, v41
	v_lshl_or_b32 v38, v38, 7, v1
.LBB250_404:                            ;   in Loop: Header=BB250_213 Depth=1
	s_or_b64 exec, exec, s[26:27]
.LBB250_405:                            ;   in Loop: Header=BB250_213 Depth=1
	s_or_b64 exec, exec, s[24:25]
.LBB250_406:                            ;   in Loop: Header=BB250_213 Depth=1
	s_or_b64 exec, exec, s[18:19]
	v_cmp_lt_u64_e64 s[2:3], s[6:7], v[7:8]
	v_mov_b32_e32 v41, 0
	s_and_saveexec_b64 s[18:19], s[2:3]
	s_cbranch_execz .LBB250_412
; %bb.407:                              ;   in Loop: Header=BB250_213 Depth=1
	v_lshrrev_b32_e32 v1, 24, v8
	v_cmp_ne_u32_e64 s[2:3], s29, v1
	v_bfrev_b32_e32 v41, 1
	s_and_saveexec_b64 s[24:25], s[2:3]
	s_cbranch_execz .LBB250_411
; %bb.408:                              ;   in Loop: Header=BB250_213 Depth=1
	v_and_b32_e32 v7, 0x7f, v1
	v_cmp_ne_u32_e64 s[2:3], s33, v7
	v_mov_b32_e32 v41, 0x7c010000
	s_and_saveexec_b64 s[26:27], s[2:3]
	s_cbranch_execz .LBB250_410
; %bb.409:                              ;   in Loop: Header=BB250_213 Depth=1
	v_and_b32_e32 v8, 7, v1
	v_ffbh_u32_e32 v41, v8
	v_min_u32_e32 v44, 32, v41
	v_subrev_u32_e32 v41, 28, v44
	v_lshlrev_b64 v[41:42], v41, v[1:2]
	v_lshrrev_b32_e32 v43, 3, v7
	v_sub_u32_e32 v42, 29, v44
	v_cmp_gt_u32_e64 s[2:3], 8, v7
	v_cndmask_b32_e64 v7, v43, v42, s[2:3]
	v_lshlrev_b32_e32 v1, 8, v1
	v_lshl_add_u32 v7, v7, 10, v25
	v_and_b32_e32 v41, 7, v41
	v_and_or_b32 v1, v1, s34, v7
	v_cndmask_b32_e64 v8, v8, v41, s[2:3]
	v_lshlrev_b32_e32 v1, 16, v1
	v_lshl_or_b32 v41, v8, 23, v1
.LBB250_410:                            ;   in Loop: Header=BB250_213 Depth=1
	s_or_b64 exec, exec, s[26:27]
.LBB250_411:                            ;   in Loop: Header=BB250_213 Depth=1
	s_or_b64 exec, exec, s[24:25]
.LBB250_412:                            ;   in Loop: Header=BB250_213 Depth=1
	s_or_b64 exec, exec, s[18:19]
	s_waitcnt vmcnt(0)
	v_fma_mixlo_f16 v7, v33, v36, 0 op_sel:[0,1,0] op_sel_hi:[0,1,0]
	v_lshlrev_b32_e32 v8, 16, v7
	v_or_b32_e32 v7, v34, v35
	v_fma_mixlo_f16 v34, v33, v34, 0 op_sel:[0,1,0] op_sel_hi:[0,1,0]
	v_or_b32_e32 v1, v36, v37
	v_lshlrev_b32_e32 v42, 16, v34
	v_or_b32_e32 v34, v40, v39
	v_or_b32_e32 v37, v41, v38
	v_fma_mixlo_f16 v1, v33, v1, 0 op_sel_hi:[0,1,0]
	v_fma_mixlo_f16 v7, v33, v7, 0 op_sel_hi:[0,1,0]
	v_fma_mixlo_f16 v35, v33, v40, 0 op_sel:[0,1,0] op_sel_hi:[0,1,0]
	v_fma_mixlo_f16 v34, v33, v34, 0 op_sel_hi:[0,1,0]
	v_fma_mixlo_f16 v37, v33, v37, 0 op_sel_hi:[0,1,0]
	v_fma_mixlo_f16 v33, v33, v41, 0 op_sel:[0,1,0] op_sel_hi:[0,1,0]
	v_and_b32_e32 v36, 0xffff, v1
	v_and_b32_e32 v43, 0xffff, v7
	v_lshlrev_b32_e32 v35, 16, v35
	v_and_b32_e32 v39, 0xffff, v34
	v_lshlrev_b32_e32 v33, 16, v33
	v_and_b32_e32 v37, 0xffff, v37
	v_or_b32_e32 v1, v8, v36
	v_or_b32_e32 v7, v42, v43
	;; [unrolled: 1-line block ×4, first 2 shown]
	s_and_saveexec_b64 s[2:3], s[0:1]
	s_cbranch_execz .LBB250_211
; %bb.413:                              ;   in Loop: Header=BB250_213 Depth=1
	v_cmp_gt_i32_e64 s[0:1], s30, v26
	v_add_u32_e32 v7, -6, v23
	v_cndmask_b32_e64 v1, 0, v43, s[0:1]
	v_cmp_gt_i32_e64 s[0:1], s30, v7
	v_cndmask_b32_e64 v7, 0, v42, s[0:1]
	v_or_b32_e32 v7, v7, v1
	v_add_u32_e32 v1, -5, v23
	v_cmp_gt_i32_e64 s[0:1], s30, v1
	v_add_u32_e32 v26, -4, v23
	v_cndmask_b32_e64 v1, 0, v36, s[0:1]
	v_cmp_gt_i32_e64 s[0:1], s30, v26
	v_cndmask_b32_e64 v8, 0, v8, s[0:1]
	v_or_b32_e32 v1, v8, v1
	v_add_u32_e32 v8, -3, v23
	;; [unrolled: 7-line block ×3, first 2 shown]
	v_cmp_gt_i32_e64 s[0:1], s30, v8
	v_cndmask_b32_e64 v8, 0, v37, s[0:1]
	v_cmp_gt_i32_e64 s[0:1], s30, v23
	v_cndmask_b32_e64 v26, 0, v33, s[0:1]
	v_or_b32_e32 v38, v26, v8
	s_branch .LBB250_211
.LBB250_414:
	s_or_b64 exec, exec, s[12:13]
.LBB250_415:
	s_or_b64 exec, exec, s[4:5]
	ds_bpermute_b32 v2, v14, v20
	ds_bpermute_b32 v5, v14, v19
	;; [unrolled: 1-line block ×4, first 2 shown]
	v_cmp_eq_u32_e32 vcc, 0, v16
	s_waitcnt lgkmcnt(3)
	v_add_f32_e32 v3, v20, v2
	s_waitcnt lgkmcnt(2)
	v_add_f32_e32 v2, v19, v5
	v_and_b32_e32 v5, 0x3c0, v0
	s_waitcnt lgkmcnt(1)
	v_add_f32_e32 v4, v18, v1
	s_waitcnt lgkmcnt(0)
	v_add_f32_e32 v1, v21, v6
	v_cmp_eq_u32_e64 s[0:1], 64, v5
	s_barrier
	s_and_saveexec_b64 s[2:3], s[0:1]
	s_cbranch_execz .LBB250_420
; %bb.416:
	s_and_saveexec_b64 s[0:1], vcc
	s_cbranch_execz .LBB250_418
; %bb.417:
	v_mov_b32_e32 v5, 0x100
	v_lshl_add_u32 v5, v15, 2, v5
	ds_write2_b32 v5, v4, v3 offset1:32
	ds_write_b32 v5, v2 offset:256
.LBB250_418:
	s_or_b64 exec, exec, s[0:1]
	v_or_b32_e32 v5, 0x60, v15
	s_movk_i32 s0, 0x78
	v_cmp_gt_u32_e64 s[0:1], s0, v5
	s_and_b64 s[0:1], vcc, s[0:1]
	s_and_b64 exec, exec, s[0:1]
; %bb.419:
	v_mov_b32_e32 v5, 0x100
	v_lshl_add_u32 v5, v15, 2, v5
	ds_write_b32 v5, v1 offset:384
.LBB250_420:
	s_or_b64 exec, exec, s[2:3]
	v_cmp_gt_u32_e64 s[0:1], 64, v0
	v_lshrrev_b32_e32 v0, 1, v0
	s_waitcnt lgkmcnt(0)
	s_barrier
	s_and_saveexec_b64 s[4:5], s[0:1]
	s_cbranch_execz .LBB250_430
; %bb.421:
	s_and_saveexec_b64 s[2:3], vcc
	s_cbranch_execz .LBB250_423
; %bb.422:
	v_mov_b32_e32 v5, 0x100
	v_lshl_add_u32 v5, v0, 2, v5
	ds_read_b32 v5, v5
	s_waitcnt lgkmcnt(0)
	v_add_f32_e32 v4, v4, v5
.LBB250_423:
	s_or_b64 exec, exec, s[2:3]
	v_or_b32_e32 v5, 32, v0
	s_movk_i32 s6, 0x78
	v_cmp_gt_u32_e64 s[2:3], s6, v5
	s_and_b64 s[12:13], vcc, s[2:3]
	s_and_saveexec_b64 s[2:3], s[12:13]
	s_cbranch_execz .LBB250_425
; %bb.424:
	v_mov_b32_e32 v5, 0x100
	v_lshl_add_u32 v5, v0, 2, v5
	ds_read_b32 v5, v5 offset:128
	s_waitcnt lgkmcnt(0)
	v_add_f32_e32 v3, v3, v5
.LBB250_425:
	s_or_b64 exec, exec, s[2:3]
	v_or_b32_e32 v5, 64, v0
	v_cmp_gt_u32_e64 s[2:3], s6, v5
	s_and_b64 s[6:7], vcc, s[2:3]
	s_and_saveexec_b64 s[2:3], s[6:7]
	s_cbranch_execz .LBB250_427
; %bb.426:
	v_mov_b32_e32 v5, 0x100
	v_lshl_add_u32 v5, v0, 2, v5
	ds_read_b32 v5, v5 offset:256
	s_waitcnt lgkmcnt(0)
	v_add_f32_e32 v2, v2, v5
.LBB250_427:
	s_or_b64 exec, exec, s[2:3]
	v_or_b32_e32 v5, 0x60, v0
	s_movk_i32 s2, 0x78
	v_cmp_gt_u32_e64 s[2:3], s2, v5
	s_and_b64 s[6:7], vcc, s[2:3]
	s_and_saveexec_b64 s[2:3], s[6:7]
	s_cbranch_execz .LBB250_429
; %bb.428:
	v_mov_b32_e32 v5, 0x100
	v_lshl_add_u32 v5, v0, 2, v5
	ds_read_b32 v5, v5 offset:384
	s_waitcnt lgkmcnt(0)
	v_add_f32_e32 v1, v1, v5
.LBB250_429:
	s_or_b64 exec, exec, s[2:3]
.LBB250_430:
	s_or_b64 exec, exec, s[4:5]
	s_barrier
	s_and_saveexec_b64 s[2:3], s[0:1]
	s_cbranch_execz .LBB250_439
; %bb.431:
	s_mul_i32 s0, s10, s11
	s_mul_i32 s0, s0, s9
	s_mulk_i32 s0, 0x78
	s_ashr_i32 s1, s0, 31
	s_lshl_b64 s[0:1], s[0:1], 1
	s_add_u32 s2, s22, s0
	s_mul_i32 s0, s11, s20
	s_addc_u32 s3, s23, s1
	s_ashr_i32 s1, s0, 31
	s_lshl_b64 s[0:1], s[0:1], 1
	s_add_u32 s2, s2, s0
	s_mul_i32 s0, s8, 0x78
	s_addc_u32 s3, s3, s1
	s_ashr_i32 s1, s0, 31
	s_lshl_b64 s[0:1], s[0:1], 1
	s_add_u32 s2, s2, s0
	s_movk_i32 s4, 0x78
	s_addc_u32 s3, s3, s1
	v_lshlrev_b32_e32 v5, 1, v0
	s_and_saveexec_b64 s[0:1], vcc
	s_cbranch_execz .LBB250_433
; %bb.432:
	;;#ASMSTART
	v_cvt_f16_f32 v4, v4;

	;;#ASMEND
	global_store_short v5, v4, s[2:3]
.LBB250_433:
	s_or_b64 exec, exec, s[0:1]
	v_or_b32_e32 v4, 32, v0
	v_cmp_gt_u32_e64 s[0:1], s4, v4
	s_and_b64 s[4:5], vcc, s[0:1]
	s_and_saveexec_b64 s[0:1], s[4:5]
	s_cbranch_execz .LBB250_435
; %bb.434:
	;;#ASMSTART
	v_cvt_f16_f32 v3, v3;

	;;#ASMEND
	global_store_short v5, v3, s[2:3] offset:64
.LBB250_435:
	s_or_b64 exec, exec, s[0:1]
	v_or_b32_e32 v3, 64, v0
	s_movk_i32 s4, 0x78
	v_cmp_gt_u32_e64 s[0:1], s4, v3
	s_and_b64 s[6:7], vcc, s[0:1]
	s_and_saveexec_b64 s[0:1], s[6:7]
	s_cbranch_execz .LBB250_437
; %bb.436:
	;;#ASMSTART
	v_cvt_f16_f32 v2, v2;

	;;#ASMEND
	global_store_short v5, v2, s[2:3] offset:128
.LBB250_437:
	s_or_b64 exec, exec, s[0:1]
	v_or_b32_e32 v0, 0x60, v0
	v_cmp_gt_u32_e64 s[0:1], s4, v0
	s_and_b64 s[0:1], vcc, s[0:1]
	s_and_b64 exec, exec, s[0:1]
	s_cbranch_execz .LBB250_439
; %bb.438:
	;;#ASMSTART
	v_cvt_f16_f32 v0, v1;

	;;#ASMEND
	global_store_short v5, v0, s[2:3] offset:192
.LBB250_439:
	s_endpgm
	.section	.rodata,"a",@progbits
	.p2align	6, 0x0
	.amdhsa_kernel _ZN4vllm25paged_attention_v1_kernelIthLi120ELi16ELi128ELNS_18Fp8KVCacheDataTypeE1ELb0EEEvPT_PKS2_PKT0_S8_ifPKiSA_iPKfiiiSC_SC_iiiii
		.amdhsa_group_segment_fixed_size 256
		.amdhsa_private_segment_fixed_size 0
		.amdhsa_kernarg_size 384
		.amdhsa_user_sgpr_count 6
		.amdhsa_user_sgpr_private_segment_buffer 1
		.amdhsa_user_sgpr_dispatch_ptr 0
		.amdhsa_user_sgpr_queue_ptr 0
		.amdhsa_user_sgpr_kernarg_segment_ptr 1
		.amdhsa_user_sgpr_dispatch_id 0
		.amdhsa_user_sgpr_flat_scratch_init 0
		.amdhsa_user_sgpr_private_segment_size 0
		.amdhsa_uses_dynamic_stack 0
		.amdhsa_system_sgpr_private_segment_wavefront_offset 0
		.amdhsa_system_sgpr_workgroup_id_x 1
		.amdhsa_system_sgpr_workgroup_id_y 1
		.amdhsa_system_sgpr_workgroup_id_z 1
		.amdhsa_system_sgpr_workgroup_info 0
		.amdhsa_system_vgpr_workitem_id 0
		.amdhsa_next_free_vgpr 63
		.amdhsa_next_free_sgpr 45
		.amdhsa_reserve_vcc 1
		.amdhsa_reserve_flat_scratch 0
		.amdhsa_float_round_mode_32 0
		.amdhsa_float_round_mode_16_64 0
		.amdhsa_float_denorm_mode_32 3
		.amdhsa_float_denorm_mode_16_64 3
		.amdhsa_dx10_clamp 1
		.amdhsa_ieee_mode 1
		.amdhsa_fp16_overflow 0
		.amdhsa_exception_fp_ieee_invalid_op 0
		.amdhsa_exception_fp_denorm_src 0
		.amdhsa_exception_fp_ieee_div_zero 0
		.amdhsa_exception_fp_ieee_overflow 0
		.amdhsa_exception_fp_ieee_underflow 0
		.amdhsa_exception_fp_ieee_inexact 0
		.amdhsa_exception_int_div_zero 0
	.end_amdhsa_kernel
	.section	.text._ZN4vllm25paged_attention_v1_kernelIthLi120ELi16ELi128ELNS_18Fp8KVCacheDataTypeE1ELb0EEEvPT_PKS2_PKT0_S8_ifPKiSA_iPKfiiiSC_SC_iiiii,"axG",@progbits,_ZN4vllm25paged_attention_v1_kernelIthLi120ELi16ELi128ELNS_18Fp8KVCacheDataTypeE1ELb0EEEvPT_PKS2_PKT0_S8_ifPKiSA_iPKfiiiSC_SC_iiiii,comdat
.Lfunc_end250:
	.size	_ZN4vllm25paged_attention_v1_kernelIthLi120ELi16ELi128ELNS_18Fp8KVCacheDataTypeE1ELb0EEEvPT_PKS2_PKT0_S8_ifPKiSA_iPKfiiiSC_SC_iiiii, .Lfunc_end250-_ZN4vllm25paged_attention_v1_kernelIthLi120ELi16ELi128ELNS_18Fp8KVCacheDataTypeE1ELb0EEEvPT_PKS2_PKT0_S8_ifPKiSA_iPKfiiiSC_SC_iiiii
                                        ; -- End function
	.set _ZN4vllm25paged_attention_v1_kernelIthLi120ELi16ELi128ELNS_18Fp8KVCacheDataTypeE1ELb0EEEvPT_PKS2_PKT0_S8_ifPKiSA_iPKfiiiSC_SC_iiiii.num_vgpr, 63
	.set _ZN4vllm25paged_attention_v1_kernelIthLi120ELi16ELi128ELNS_18Fp8KVCacheDataTypeE1ELb0EEEvPT_PKS2_PKT0_S8_ifPKiSA_iPKfiiiSC_SC_iiiii.num_agpr, 0
	.set _ZN4vllm25paged_attention_v1_kernelIthLi120ELi16ELi128ELNS_18Fp8KVCacheDataTypeE1ELb0EEEvPT_PKS2_PKT0_S8_ifPKiSA_iPKfiiiSC_SC_iiiii.numbered_sgpr, 45
	.set _ZN4vllm25paged_attention_v1_kernelIthLi120ELi16ELi128ELNS_18Fp8KVCacheDataTypeE1ELb0EEEvPT_PKS2_PKT0_S8_ifPKiSA_iPKfiiiSC_SC_iiiii.num_named_barrier, 0
	.set _ZN4vllm25paged_attention_v1_kernelIthLi120ELi16ELi128ELNS_18Fp8KVCacheDataTypeE1ELb0EEEvPT_PKS2_PKT0_S8_ifPKiSA_iPKfiiiSC_SC_iiiii.private_seg_size, 0
	.set _ZN4vllm25paged_attention_v1_kernelIthLi120ELi16ELi128ELNS_18Fp8KVCacheDataTypeE1ELb0EEEvPT_PKS2_PKT0_S8_ifPKiSA_iPKfiiiSC_SC_iiiii.uses_vcc, 1
	.set _ZN4vllm25paged_attention_v1_kernelIthLi120ELi16ELi128ELNS_18Fp8KVCacheDataTypeE1ELb0EEEvPT_PKS2_PKT0_S8_ifPKiSA_iPKfiiiSC_SC_iiiii.uses_flat_scratch, 0
	.set _ZN4vllm25paged_attention_v1_kernelIthLi120ELi16ELi128ELNS_18Fp8KVCacheDataTypeE1ELb0EEEvPT_PKS2_PKT0_S8_ifPKiSA_iPKfiiiSC_SC_iiiii.has_dyn_sized_stack, 0
	.set _ZN4vllm25paged_attention_v1_kernelIthLi120ELi16ELi128ELNS_18Fp8KVCacheDataTypeE1ELb0EEEvPT_PKS2_PKT0_S8_ifPKiSA_iPKfiiiSC_SC_iiiii.has_recursion, 0
	.set _ZN4vllm25paged_attention_v1_kernelIthLi120ELi16ELi128ELNS_18Fp8KVCacheDataTypeE1ELb0EEEvPT_PKS2_PKT0_S8_ifPKiSA_iPKfiiiSC_SC_iiiii.has_indirect_call, 0
	.section	.AMDGPU.csdata,"",@progbits
; Kernel info:
; codeLenInByte = 18056
; TotalNumSgprs: 49
; NumVgprs: 63
; ScratchSize: 0
; MemoryBound: 0
; FloatMode: 240
; IeeeMode: 1
; LDSByteSize: 256 bytes/workgroup (compile time only)
; SGPRBlocks: 6
; VGPRBlocks: 15
; NumSGPRsForWavesPerEU: 49
; NumVGPRsForWavesPerEU: 63
; Occupancy: 4
; WaveLimiterHint : 1
; COMPUTE_PGM_RSRC2:SCRATCH_EN: 0
; COMPUTE_PGM_RSRC2:USER_SGPR: 6
; COMPUTE_PGM_RSRC2:TRAP_HANDLER: 0
; COMPUTE_PGM_RSRC2:TGID_X_EN: 1
; COMPUTE_PGM_RSRC2:TGID_Y_EN: 1
; COMPUTE_PGM_RSRC2:TGID_Z_EN: 1
; COMPUTE_PGM_RSRC2:TIDIG_COMP_CNT: 0
	.section	.text._ZN4vllm25paged_attention_v1_kernelIthLi128ELi16ELi128ELNS_18Fp8KVCacheDataTypeE1ELb0EEEvPT_PKS2_PKT0_S8_ifPKiSA_iPKfiiiSC_SC_iiiii,"axG",@progbits,_ZN4vllm25paged_attention_v1_kernelIthLi128ELi16ELi128ELNS_18Fp8KVCacheDataTypeE1ELb0EEEvPT_PKS2_PKT0_S8_ifPKiSA_iPKfiiiSC_SC_iiiii,comdat
	.protected	_ZN4vllm25paged_attention_v1_kernelIthLi128ELi16ELi128ELNS_18Fp8KVCacheDataTypeE1ELb0EEEvPT_PKS2_PKT0_S8_ifPKiSA_iPKfiiiSC_SC_iiiii ; -- Begin function _ZN4vllm25paged_attention_v1_kernelIthLi128ELi16ELi128ELNS_18Fp8KVCacheDataTypeE1ELb0EEEvPT_PKS2_PKT0_S8_ifPKiSA_iPKfiiiSC_SC_iiiii
	.globl	_ZN4vllm25paged_attention_v1_kernelIthLi128ELi16ELi128ELNS_18Fp8KVCacheDataTypeE1ELb0EEEvPT_PKS2_PKT0_S8_ifPKiSA_iPKfiiiSC_SC_iiiii
	.p2align	8
	.type	_ZN4vllm25paged_attention_v1_kernelIthLi128ELi16ELi128ELNS_18Fp8KVCacheDataTypeE1ELb0EEEvPT_PKS2_PKT0_S8_ifPKiSA_iPKfiiiSC_SC_iiiii,@function
_ZN4vllm25paged_attention_v1_kernelIthLi128ELi16ELi128ELNS_18Fp8KVCacheDataTypeE1ELb0EEEvPT_PKS2_PKT0_S8_ifPKiSA_iPKfiiiSC_SC_iiiii: ; @_ZN4vllm25paged_attention_v1_kernelIthLi128ELi16ELi128ELNS_18Fp8KVCacheDataTypeE1ELb0EEEvPT_PKS2_PKT0_S8_ifPKiSA_iPKfiiiSC_SC_iiiii
; %bb.0:
	s_load_dword s9, s[4:5], 0x80
	s_load_dwordx2 s[0:1], s[4:5], 0x30
	s_load_dwordx2 s[10:11], s[4:5], 0x20
	s_mov_b32 s20, s7
	s_ashr_i32 s21, s7, 31
	s_lshl_b64 s[2:3], s[20:21], 2
	s_waitcnt lgkmcnt(0)
	s_add_u32 s0, s0, s2
	s_addc_u32 s1, s1, s3
	s_abs_i32 s2, s10
	v_cvt_f32_u32_e32 v1, s2
	s_xor_b32 s3, s9, s10
	s_sub_i32 s10, 0, s2
	s_abs_i32 s7, s9
	v_rcp_iflag_f32_e32 v1, v1
	s_ashr_i32 s3, s3, 31
	v_mul_f32_e32 v1, 0x4f7ffffe, v1
	v_cvt_u32_f32_e32 v1, v1
	v_readfirstlane_b32 s12, v1
	s_mul_i32 s10, s10, s12
	s_mul_hi_u32 s10, s12, s10
	s_add_i32 s12, s12, s10
	s_mul_hi_u32 s10, s7, s12
	s_mul_i32 s12, s10, s2
	s_sub_i32 s7, s7, s12
	s_add_i32 s12, s10, 1
	s_sub_i32 s13, s7, s2
	s_cmp_ge_u32 s7, s2
	s_cselect_b32 s10, s12, s10
	s_cselect_b32 s7, s13, s7
	s_add_i32 s12, s10, 1
	s_cmp_ge_u32 s7, s2
	s_cselect_b32 s2, s12, s10
	s_xor_b32 s2, s2, s3
	s_sub_i32 s15, s2, s3
	s_abs_i32 s12, s15
	v_cvt_f32_u32_e32 v1, s12
	s_load_dwordx2 s[2:3], s[4:5], 0x40
	s_sub_i32 s7, 0, s12
	s_abs_i32 s13, s6
	v_rcp_iflag_f32_e32 v1, v1
	s_mov_b32 s10, 0
	v_mul_f32_e32 v1, 0x4f7ffffe, v1
	v_cvt_u32_f32_e32 v1, v1
	v_readfirstlane_b32 s14, v1
	s_mul_i32 s7, s7, s14
	s_mul_hi_u32 s7, s14, s7
	s_add_i32 s14, s14, s7
	s_waitcnt lgkmcnt(0)
	s_cmp_eq_u64 s[2:3], 0
	s_mul_hi_u32 s14, s13, s14
	s_cbranch_scc1 .LBB251_2
; %bb.1:
	s_ashr_i32 s7, s6, 31
	s_lshl_b64 s[16:17], s[6:7], 2
	s_add_u32 s2, s2, s16
	s_addc_u32 s3, s3, s17
	s_load_dword s10, s[2:3], 0x0
.LBB251_2:
	s_load_dword s33, s[0:1], 0x0
	s_load_dwordx4 s[16:19], s[4:5], 0x48
	s_ashr_i32 s7, s6, 31
	s_ashr_i32 s15, s15, 31
	v_and_b32_e32 v3, 3, v0
	s_lshl_b32 s22, s6, 7
	v_cmp_gt_u32_e64 s[0:1], 64, v0
	s_and_saveexec_b64 s[2:3], s[0:1]
	s_cbranch_execz .LBB251_4
; %bb.3:
	s_load_dwordx2 s[24:25], s[4:5], 0x8
	s_waitcnt lgkmcnt(0)
	s_mul_i32 s26, s16, s20
	s_ashr_i32 s27, s26, 31
	s_lshl_b64 s[26:27], s[26:27], 1
	v_lshlrev_b32_e32 v1, 2, v0
	s_add_u32 s6, s24, s26
	s_addc_u32 s16, s25, s27
	s_ashr_i32 s23, s22, 31
	s_lshl_b64 s[24:25], s[22:23], 1
	s_add_u32 s24, s6, s24
	s_addc_u32 s25, s16, s25
	global_load_dword v1, v1, s[24:25]
	v_and_b32_e32 v2, 0x3fc, v0
	v_lshl_add_u32 v2, v3, 6, v2
	s_waitcnt vmcnt(0)
	ds_write_b32 v2, v1
.LBB251_4:
	s_or_b64 exec, exec, s[2:3]
	s_waitcnt lgkmcnt(0)
	s_add_i32 s3, s33, 15
	s_ashr_i32 s6, s3, 31
	s_lshr_b32 s6, s6, 28
	s_add_i32 s3, s3, s6
	s_mul_i32 s6, s14, s12
	s_sub_i32 s6, s13, s6
	s_ashr_i32 s23, s3, 4
	s_xor_b32 s3, s7, s15
	s_add_i32 s7, s14, 1
	s_sub_i32 s13, s6, s12
	s_load_dwordx2 s[26:27], s[4:5], 0x28
	s_load_dword s2, s[4:5], 0x38
	s_cmp_ge_u32 s6, s12
	s_cselect_b32 s7, s7, s14
	s_cselect_b32 s6, s13, s6
	s_add_i32 s13, s7, 1
	s_cmp_ge_u32 s6, s12
	s_cselect_b32 s6, s13, s7
	v_lshrrev_b32_e32 v11, 6, v0
	s_xor_b32 s6, s6, s3
	s_waitcnt lgkmcnt(0)
	s_mul_i32 s28, s2, s20
	s_sub_i32 s16, s6, s3
	s_ashr_i32 s29, s28, 31
	v_cmp_gt_i32_e64 s[2:3], s23, v11
	v_cmp_le_i32_e32 vcc, s23, v11
	v_mbcnt_lo_u32_b32 v8, -1, 0
	s_barrier
                                        ; implicit-def: $vgpr10
                                        ; implicit-def: $vgpr7
                                        ; implicit-def: $vgpr1
	s_and_saveexec_b64 s[6:7], vcc
	s_xor_b64 s[6:7], exec, s[6:7]
; %bb.5:
	v_mbcnt_hi_u32_b32 v10, -1, v8
	v_and_b32_e32 v7, 64, v10
	v_add_u32_e32 v1, 64, v7
                                        ; implicit-def: $vgpr3
                                        ; implicit-def: $vgpr8
; %bb.6:
	s_or_saveexec_b64 s[34:35], s[6:7]
	s_load_dwordx2 s[24:25], s[4:5], 0x0
	s_load_dwordx2 s[30:31], s[4:5], 0x18
	s_load_dword s21, s[4:5], 0x88
	s_load_dwordx4 s[12:15], s[4:5], 0x58
	v_mov_b32_e32 v12, 0xff7fffff
	s_mul_i32 s16, s16, s18
	v_lshrrev_b32_e32 v9, 4, v0
	s_xor_b64 exec, exec, s[34:35]
	s_cbranch_execz .LBB251_204
; %bb.7:
	s_load_dwordx2 s[4:5], s[4:5], 0x10
	s_ashr_i32 s6, s16, 31
	v_bfe_u32 v1, v0, 2, 4
	v_lshlrev_b32_e32 v4, 4, v1
	v_lshlrev_b32_e32 v6, 1, v3
	s_waitcnt lgkmcnt(0)
	s_add_u32 s4, s4, s16
	s_addc_u32 s5, s5, s6
	v_mov_b32_e32 v5, s5
	v_add_co_u32_e32 v4, vcc, s4, v4
	v_addc_co_u32_e32 v5, vcc, 0, v5, vcc
	v_lshlrev_b32_e32 v13, 6, v3
	v_cmp_eq_u32_e32 vcc, 0, v3
	v_add_co_u32_e64 v3, s[6:7], v4, v6
	v_addc_co_u32_e64 v4, s[6:7], 0, v5, s[6:7]
	s_sub_i32 s43, 1, s33
	v_lshl_or_b32 v14, v11, 4, v1
	v_lshlrev_b32_e32 v1, 2, v1
	s_lshl_b64 s[6:7], s[28:29], 2
	v_lshl_or_b32 v1, v11, 6, v1
	s_add_u32 s6, s26, s6
	v_add_u32_e32 v15, 0x110, v1
	v_and_b32_e32 v1, 60, v9
	s_addc_u32 s7, s27, s7
	v_mov_b32_e32 v6, s7
	v_add_co_u32_e64 v5, s[6:7], s6, v1
	s_mov_b32 s42, s17
	v_mov_b32_e32 v2, 0
	v_cmp_neq_f32_e64 s[4:5], s10, 0
	v_addc_co_u32_e64 v6, s[6:7], 0, v6, s[6:7]
	v_mov_b32_e32 v12, 0xff7fffff
	s_mov_b64 s[18:19], 0
	s_movk_i32 s44, 0x80
	s_movk_i32 s45, 0x7f
	s_mov_b32 s46, 0x8000
	v_mbcnt_hi_u32_b32 v10, -1, v8
	v_mov_b32_e32 v16, 0x2000
	v_mov_b32_e32 v17, v11
	s_branch .LBB251_9
.LBB251_8:                              ;   in Loop: Header=BB251_9 Depth=1
	s_or_b64 exec, exec, s[36:37]
	v_add_u32_e32 v17, 2, v17
	v_cmp_le_i32_e64 s[6:7], s23, v17
	s_or_b64 s[18:19], s[6:7], s[18:19]
	v_add_co_u32_e64 v5, s[6:7], 8, v5
	v_add_u32_e32 v14, 32, v14
	v_add_u32_e32 v15, 0x80, v15
	v_addc_co_u32_e64 v6, s[6:7], 0, v6, s[6:7]
	s_andn2_b64 exec, exec, s[18:19]
	s_cbranch_execz .LBB251_203
.LBB251_9:                              ; =>This Inner Loop Header: Depth=1
	global_load_dword v1, v[5:6], off
	s_waitcnt vmcnt(0)
	v_mad_i64_i32 v[7:8], s[6:7], v1, s42, v[3:4]
	global_load_ushort v19, v[7:8], off
	s_waitcnt lgkmcnt(0)
	global_load_dword v18, v2, s[12:13]
	s_waitcnt vmcnt(1)
	v_and_b32_e32 v1, 0xffff, v19
	v_cmp_ne_u16_sdwa s[6:7], v19, v2 src0_sel:BYTE_0 src1_sel:DWORD
	v_mov_b32_e32 v19, 0
	s_and_saveexec_b64 s[36:37], s[6:7]
	s_cbranch_execz .LBB251_15
; %bb.10:                               ;   in Loop: Header=BB251_9 Depth=1
	v_cmp_ne_u16_sdwa s[6:7], v1, s44 src0_sel:BYTE_0 src1_sel:DWORD
	v_mov_b32_e32 v19, 0x8000
	s_and_saveexec_b64 s[38:39], s[6:7]
	s_cbranch_execz .LBB251_14
; %bb.11:                               ;   in Loop: Header=BB251_9 Depth=1
	v_and_b32_e32 v20, 0x7f, v1
	v_cmp_ne_u32_e64 s[6:7], s45, v20
	v_mov_b32_e32 v19, 0x7c01
	s_and_saveexec_b64 s[40:41], s[6:7]
	s_cbranch_execz .LBB251_13
; %bb.12:                               ;   in Loop: Header=BB251_9 Depth=1
	v_and_b32_e32 v19, 7, v1
	v_ffbh_u32_e32 v21, v19
	v_min_u32_e32 v24, 32, v21
	v_subrev_u32_e32 v21, 28, v24
	v_lshlrev_b64 v[21:22], v21, v[1:2]
	v_lshrrev_b32_e32 v23, 3, v20
	v_sub_u32_e32 v22, 29, v24
	v_cmp_gt_u32_e64 s[6:7], 8, v20
	v_cndmask_b32_e64 v20, v23, v22, s[6:7]
	v_lshl_add_u32 v20, v20, 10, v16
	v_lshlrev_b32_e32 v22, 8, v1
	v_and_b32_e32 v21, 7, v21
	v_and_b32_e32 v20, 0xfc00, v20
	v_cndmask_b32_e64 v19, v19, v21, s[6:7]
	v_and_or_b32 v20, v22, s46, v20
	v_lshl_or_b32 v19, v19, 7, v20
.LBB251_13:                             ;   in Loop: Header=BB251_9 Depth=1
	s_or_b64 exec, exec, s[40:41]
.LBB251_14:                             ;   in Loop: Header=BB251_9 Depth=1
	s_or_b64 exec, exec, s[38:39]
.LBB251_15:                             ;   in Loop: Header=BB251_9 Depth=1
	s_or_b64 exec, exec, s[36:37]
	v_lshrrev_b16_e32 v1, 8, v1
	v_cmp_ne_u16_e64 s[6:7], 0, v1
	v_mov_b32_e32 v21, 0
	v_mov_b32_e32 v20, 0
	s_and_saveexec_b64 s[36:37], s[6:7]
	s_cbranch_execz .LBB251_21
; %bb.16:                               ;   in Loop: Header=BB251_9 Depth=1
	v_cmp_ne_u16_e64 s[6:7], s44, v1
	v_bfrev_b32_e32 v20, 1
	s_and_saveexec_b64 s[38:39], s[6:7]
	s_cbranch_execz .LBB251_20
; %bb.17:                               ;   in Loop: Header=BB251_9 Depth=1
	v_and_b32_e32 v22, 0x7f, v1
	v_cmp_ne_u32_e64 s[6:7], s45, v22
	v_mov_b32_e32 v20, 0x7c010000
	s_and_saveexec_b64 s[40:41], s[6:7]
	s_cbranch_execz .LBB251_19
; %bb.18:                               ;   in Loop: Header=BB251_9 Depth=1
	v_and_b32_e32 v20, 7, v1
	v_ffbh_u32_e32 v23, v20
	v_min_u32_e32 v26, 32, v23
	v_subrev_u32_e32 v23, 28, v26
	v_lshlrev_b64 v[23:24], v23, v[1:2]
	v_lshrrev_b32_e32 v25, 3, v22
	v_sub_u32_e32 v24, 29, v26
	v_cmp_gt_u32_e64 s[6:7], 8, v22
	v_cndmask_b32_e64 v22, v25, v24, s[6:7]
	v_lshlrev_b32_e32 v1, 8, v1
	v_lshl_add_u32 v22, v22, 10, v16
	v_and_b32_e32 v23, 7, v23
	v_and_or_b32 v1, v1, s46, v22
	v_cndmask_b32_e64 v20, v20, v23, s[6:7]
	v_lshlrev_b32_e32 v1, 16, v1
	v_lshl_or_b32 v20, v20, 23, v1
.LBB251_19:                             ;   in Loop: Header=BB251_9 Depth=1
	s_or_b64 exec, exec, s[40:41]
.LBB251_20:                             ;   in Loop: Header=BB251_9 Depth=1
	s_or_b64 exec, exec, s[38:39]
.LBB251_21:                             ;   in Loop: Header=BB251_9 Depth=1
	s_or_b64 exec, exec, s[36:37]
	global_load_ushort v22, v[7:8], off offset:8
	s_waitcnt vmcnt(0)
	v_and_b32_e32 v1, 0xffff, v22
	v_cmp_ne_u16_sdwa s[6:7], v22, v2 src0_sel:BYTE_0 src1_sel:DWORD
	s_and_saveexec_b64 s[36:37], s[6:7]
	s_cbranch_execz .LBB251_27
; %bb.22:                               ;   in Loop: Header=BB251_9 Depth=1
	v_cmp_ne_u16_sdwa s[6:7], v1, s44 src0_sel:BYTE_0 src1_sel:DWORD
	v_mov_b32_e32 v21, 0x8000
	s_and_saveexec_b64 s[38:39], s[6:7]
	s_cbranch_execz .LBB251_26
; %bb.23:                               ;   in Loop: Header=BB251_9 Depth=1
	v_and_b32_e32 v22, 0x7f, v1
	v_cmp_ne_u32_e64 s[6:7], s45, v22
	v_mov_b32_e32 v21, 0x7c01
	s_and_saveexec_b64 s[40:41], s[6:7]
	s_cbranch_execz .LBB251_25
; %bb.24:                               ;   in Loop: Header=BB251_9 Depth=1
	v_and_b32_e32 v21, 7, v1
	v_ffbh_u32_e32 v23, v21
	v_min_u32_e32 v26, 32, v23
	v_subrev_u32_e32 v23, 28, v26
	v_lshlrev_b64 v[23:24], v23, v[1:2]
	v_lshrrev_b32_e32 v25, 3, v22
	v_sub_u32_e32 v24, 29, v26
	v_cmp_gt_u32_e64 s[6:7], 8, v22
	v_cndmask_b32_e64 v22, v25, v24, s[6:7]
	v_lshl_add_u32 v22, v22, 10, v16
	v_lshlrev_b32_e32 v24, 8, v1
	v_and_b32_e32 v23, 7, v23
	v_and_b32_e32 v22, 0xfc00, v22
	v_cndmask_b32_e64 v21, v21, v23, s[6:7]
	v_and_or_b32 v22, v24, s46, v22
	v_lshl_or_b32 v21, v21, 7, v22
.LBB251_25:                             ;   in Loop: Header=BB251_9 Depth=1
	s_or_b64 exec, exec, s[40:41]
.LBB251_26:                             ;   in Loop: Header=BB251_9 Depth=1
	s_or_b64 exec, exec, s[38:39]
.LBB251_27:                             ;   in Loop: Header=BB251_9 Depth=1
	s_or_b64 exec, exec, s[36:37]
	v_lshrrev_b16_e32 v1, 8, v1
	v_cmp_ne_u16_e64 s[6:7], 0, v1
	v_mov_b32_e32 v23, 0
	v_mov_b32_e32 v22, 0
	s_and_saveexec_b64 s[36:37], s[6:7]
	s_cbranch_execz .LBB251_33
; %bb.28:                               ;   in Loop: Header=BB251_9 Depth=1
	v_cmp_ne_u16_e64 s[6:7], s44, v1
	v_bfrev_b32_e32 v22, 1
	s_and_saveexec_b64 s[38:39], s[6:7]
	s_cbranch_execz .LBB251_32
; %bb.29:                               ;   in Loop: Header=BB251_9 Depth=1
	v_and_b32_e32 v24, 0x7f, v1
	v_cmp_ne_u32_e64 s[6:7], s45, v24
	v_mov_b32_e32 v22, 0x7c010000
	s_and_saveexec_b64 s[40:41], s[6:7]
	s_cbranch_execz .LBB251_31
; %bb.30:                               ;   in Loop: Header=BB251_9 Depth=1
	v_and_b32_e32 v22, 7, v1
	v_ffbh_u32_e32 v25, v22
	v_min_u32_e32 v28, 32, v25
	v_subrev_u32_e32 v25, 28, v28
	v_lshlrev_b64 v[25:26], v25, v[1:2]
	v_lshrrev_b32_e32 v27, 3, v24
	v_sub_u32_e32 v26, 29, v28
	v_cmp_gt_u32_e64 s[6:7], 8, v24
	v_cndmask_b32_e64 v24, v27, v26, s[6:7]
	v_lshlrev_b32_e32 v1, 8, v1
	v_lshl_add_u32 v24, v24, 10, v16
	v_and_b32_e32 v25, 7, v25
	v_and_or_b32 v1, v1, s46, v24
	v_cndmask_b32_e64 v22, v22, v25, s[6:7]
	v_lshlrev_b32_e32 v1, 16, v1
	v_lshl_or_b32 v22, v22, 23, v1
.LBB251_31:                             ;   in Loop: Header=BB251_9 Depth=1
	s_or_b64 exec, exec, s[40:41]
.LBB251_32:                             ;   in Loop: Header=BB251_9 Depth=1
	s_or_b64 exec, exec, s[38:39]
.LBB251_33:                             ;   in Loop: Header=BB251_9 Depth=1
	s_or_b64 exec, exec, s[36:37]
	global_load_ushort v24, v[7:8], off offset:256
	s_waitcnt vmcnt(0)
	v_and_b32_e32 v1, 0xffff, v24
	v_cmp_ne_u16_sdwa s[6:7], v24, v2 src0_sel:BYTE_0 src1_sel:DWORD
	s_and_saveexec_b64 s[36:37], s[6:7]
	s_cbranch_execz .LBB251_39
; %bb.34:                               ;   in Loop: Header=BB251_9 Depth=1
	v_cmp_ne_u16_sdwa s[6:7], v1, s44 src0_sel:BYTE_0 src1_sel:DWORD
	v_mov_b32_e32 v23, 0x8000
	s_and_saveexec_b64 s[38:39], s[6:7]
	s_cbranch_execz .LBB251_38
; %bb.35:                               ;   in Loop: Header=BB251_9 Depth=1
	v_and_b32_e32 v24, 0x7f, v1
	v_cmp_ne_u32_e64 s[6:7], s45, v24
	v_mov_b32_e32 v23, 0x7c01
	s_and_saveexec_b64 s[40:41], s[6:7]
	s_cbranch_execz .LBB251_37
; %bb.36:                               ;   in Loop: Header=BB251_9 Depth=1
	v_and_b32_e32 v23, 7, v1
	v_ffbh_u32_e32 v25, v23
	v_min_u32_e32 v28, 32, v25
	v_subrev_u32_e32 v25, 28, v28
	v_lshlrev_b64 v[25:26], v25, v[1:2]
	v_lshrrev_b32_e32 v27, 3, v24
	v_sub_u32_e32 v26, 29, v28
	v_cmp_gt_u32_e64 s[6:7], 8, v24
	v_cndmask_b32_e64 v24, v27, v26, s[6:7]
	v_lshl_add_u32 v24, v24, 10, v16
	v_lshlrev_b32_e32 v26, 8, v1
	v_and_b32_e32 v25, 7, v25
	v_and_b32_e32 v24, 0xfc00, v24
	v_cndmask_b32_e64 v23, v23, v25, s[6:7]
	v_and_or_b32 v24, v26, s46, v24
	v_lshl_or_b32 v23, v23, 7, v24
.LBB251_37:                             ;   in Loop: Header=BB251_9 Depth=1
	s_or_b64 exec, exec, s[40:41]
.LBB251_38:                             ;   in Loop: Header=BB251_9 Depth=1
	s_or_b64 exec, exec, s[38:39]
.LBB251_39:                             ;   in Loop: Header=BB251_9 Depth=1
	s_or_b64 exec, exec, s[36:37]
	v_lshrrev_b16_e32 v1, 8, v1
	v_cmp_ne_u16_e64 s[6:7], 0, v1
	v_mov_b32_e32 v25, 0
	v_mov_b32_e32 v24, 0
	s_and_saveexec_b64 s[36:37], s[6:7]
	s_cbranch_execz .LBB251_45
; %bb.40:                               ;   in Loop: Header=BB251_9 Depth=1
	v_cmp_ne_u16_e64 s[6:7], s44, v1
	v_bfrev_b32_e32 v24, 1
	s_and_saveexec_b64 s[38:39], s[6:7]
	s_cbranch_execz .LBB251_44
; %bb.41:                               ;   in Loop: Header=BB251_9 Depth=1
	v_and_b32_e32 v26, 0x7f, v1
	v_cmp_ne_u32_e64 s[6:7], s45, v26
	v_mov_b32_e32 v24, 0x7c010000
	s_and_saveexec_b64 s[40:41], s[6:7]
	s_cbranch_execz .LBB251_43
; %bb.42:                               ;   in Loop: Header=BB251_9 Depth=1
	v_and_b32_e32 v24, 7, v1
	v_ffbh_u32_e32 v27, v24
	v_min_u32_e32 v30, 32, v27
	v_subrev_u32_e32 v27, 28, v30
	v_lshlrev_b64 v[27:28], v27, v[1:2]
	v_lshrrev_b32_e32 v29, 3, v26
	v_sub_u32_e32 v28, 29, v30
	v_cmp_gt_u32_e64 s[6:7], 8, v26
	v_cndmask_b32_e64 v26, v29, v28, s[6:7]
	v_lshlrev_b32_e32 v1, 8, v1
	v_lshl_add_u32 v26, v26, 10, v16
	v_and_b32_e32 v27, 7, v27
	v_and_or_b32 v1, v1, s46, v26
	v_cndmask_b32_e64 v24, v24, v27, s[6:7]
	v_lshlrev_b32_e32 v1, 16, v1
	v_lshl_or_b32 v24, v24, 23, v1
.LBB251_43:                             ;   in Loop: Header=BB251_9 Depth=1
	s_or_b64 exec, exec, s[40:41]
.LBB251_44:                             ;   in Loop: Header=BB251_9 Depth=1
	s_or_b64 exec, exec, s[38:39]
.LBB251_45:                             ;   in Loop: Header=BB251_9 Depth=1
	s_or_b64 exec, exec, s[36:37]
	global_load_ushort v26, v[7:8], off offset:264
	s_waitcnt vmcnt(0)
	v_and_b32_e32 v1, 0xffff, v26
	v_cmp_ne_u16_sdwa s[6:7], v26, v2 src0_sel:BYTE_0 src1_sel:DWORD
	s_and_saveexec_b64 s[36:37], s[6:7]
	s_cbranch_execz .LBB251_51
; %bb.46:                               ;   in Loop: Header=BB251_9 Depth=1
	v_cmp_ne_u16_sdwa s[6:7], v1, s44 src0_sel:BYTE_0 src1_sel:DWORD
	v_mov_b32_e32 v25, 0x8000
	s_and_saveexec_b64 s[38:39], s[6:7]
	s_cbranch_execz .LBB251_50
; %bb.47:                               ;   in Loop: Header=BB251_9 Depth=1
	v_and_b32_e32 v26, 0x7f, v1
	v_cmp_ne_u32_e64 s[6:7], s45, v26
	v_mov_b32_e32 v25, 0x7c01
	s_and_saveexec_b64 s[40:41], s[6:7]
	s_cbranch_execz .LBB251_49
; %bb.48:                               ;   in Loop: Header=BB251_9 Depth=1
	v_and_b32_e32 v25, 7, v1
	v_ffbh_u32_e32 v27, v25
	v_min_u32_e32 v30, 32, v27
	v_subrev_u32_e32 v27, 28, v30
	v_lshlrev_b64 v[27:28], v27, v[1:2]
	v_lshrrev_b32_e32 v29, 3, v26
	v_sub_u32_e32 v28, 29, v30
	v_cmp_gt_u32_e64 s[6:7], 8, v26
	v_cndmask_b32_e64 v26, v29, v28, s[6:7]
	v_lshl_add_u32 v26, v26, 10, v16
	v_lshlrev_b32_e32 v28, 8, v1
	v_and_b32_e32 v27, 7, v27
	v_and_b32_e32 v26, 0xfc00, v26
	v_cndmask_b32_e64 v25, v25, v27, s[6:7]
	v_and_or_b32 v26, v28, s46, v26
	v_lshl_or_b32 v25, v25, 7, v26
.LBB251_49:                             ;   in Loop: Header=BB251_9 Depth=1
	s_or_b64 exec, exec, s[40:41]
.LBB251_50:                             ;   in Loop: Header=BB251_9 Depth=1
	s_or_b64 exec, exec, s[38:39]
.LBB251_51:                             ;   in Loop: Header=BB251_9 Depth=1
	s_or_b64 exec, exec, s[36:37]
	v_lshrrev_b16_e32 v1, 8, v1
	v_cmp_ne_u16_e64 s[6:7], 0, v1
	v_mov_b32_e32 v27, 0
	v_mov_b32_e32 v26, 0
	s_and_saveexec_b64 s[36:37], s[6:7]
	s_cbranch_execz .LBB251_57
; %bb.52:                               ;   in Loop: Header=BB251_9 Depth=1
	v_cmp_ne_u16_e64 s[6:7], s44, v1
	v_bfrev_b32_e32 v26, 1
	s_and_saveexec_b64 s[38:39], s[6:7]
	s_cbranch_execz .LBB251_56
; %bb.53:                               ;   in Loop: Header=BB251_9 Depth=1
	v_and_b32_e32 v28, 0x7f, v1
	v_cmp_ne_u32_e64 s[6:7], s45, v28
	v_mov_b32_e32 v26, 0x7c010000
	s_and_saveexec_b64 s[40:41], s[6:7]
	s_cbranch_execz .LBB251_55
; %bb.54:                               ;   in Loop: Header=BB251_9 Depth=1
	v_and_b32_e32 v26, 7, v1
	v_ffbh_u32_e32 v29, v26
	v_min_u32_e32 v32, 32, v29
	v_subrev_u32_e32 v29, 28, v32
	v_lshlrev_b64 v[29:30], v29, v[1:2]
	v_lshrrev_b32_e32 v31, 3, v28
	v_sub_u32_e32 v30, 29, v32
	v_cmp_gt_u32_e64 s[6:7], 8, v28
	v_cndmask_b32_e64 v28, v31, v30, s[6:7]
	v_lshlrev_b32_e32 v1, 8, v1
	v_lshl_add_u32 v28, v28, 10, v16
	v_and_b32_e32 v29, 7, v29
	v_and_or_b32 v1, v1, s46, v28
	v_cndmask_b32_e64 v26, v26, v29, s[6:7]
	v_lshlrev_b32_e32 v1, 16, v1
	v_lshl_or_b32 v26, v26, 23, v1
.LBB251_55:                             ;   in Loop: Header=BB251_9 Depth=1
	s_or_b64 exec, exec, s[40:41]
.LBB251_56:                             ;   in Loop: Header=BB251_9 Depth=1
	s_or_b64 exec, exec, s[38:39]
.LBB251_57:                             ;   in Loop: Header=BB251_9 Depth=1
	s_or_b64 exec, exec, s[36:37]
	global_load_ushort v28, v[7:8], off offset:512
	s_waitcnt vmcnt(0)
	v_and_b32_e32 v1, 0xffff, v28
	v_cmp_ne_u16_sdwa s[6:7], v28, v2 src0_sel:BYTE_0 src1_sel:DWORD
	s_and_saveexec_b64 s[36:37], s[6:7]
	s_cbranch_execz .LBB251_63
; %bb.58:                               ;   in Loop: Header=BB251_9 Depth=1
	v_cmp_ne_u16_sdwa s[6:7], v1, s44 src0_sel:BYTE_0 src1_sel:DWORD
	v_mov_b32_e32 v27, 0x8000
	s_and_saveexec_b64 s[38:39], s[6:7]
	s_cbranch_execz .LBB251_62
; %bb.59:                               ;   in Loop: Header=BB251_9 Depth=1
	v_and_b32_e32 v28, 0x7f, v1
	v_cmp_ne_u32_e64 s[6:7], s45, v28
	v_mov_b32_e32 v27, 0x7c01
	s_and_saveexec_b64 s[40:41], s[6:7]
	s_cbranch_execz .LBB251_61
; %bb.60:                               ;   in Loop: Header=BB251_9 Depth=1
	v_and_b32_e32 v27, 7, v1
	v_ffbh_u32_e32 v29, v27
	v_min_u32_e32 v32, 32, v29
	v_subrev_u32_e32 v29, 28, v32
	v_lshlrev_b64 v[29:30], v29, v[1:2]
	v_lshrrev_b32_e32 v31, 3, v28
	v_sub_u32_e32 v30, 29, v32
	v_cmp_gt_u32_e64 s[6:7], 8, v28
	v_cndmask_b32_e64 v28, v31, v30, s[6:7]
	v_lshl_add_u32 v28, v28, 10, v16
	v_lshlrev_b32_e32 v30, 8, v1
	v_and_b32_e32 v29, 7, v29
	v_and_b32_e32 v28, 0xfc00, v28
	v_cndmask_b32_e64 v27, v27, v29, s[6:7]
	v_and_or_b32 v28, v30, s46, v28
	v_lshl_or_b32 v27, v27, 7, v28
.LBB251_61:                             ;   in Loop: Header=BB251_9 Depth=1
	s_or_b64 exec, exec, s[40:41]
.LBB251_62:                             ;   in Loop: Header=BB251_9 Depth=1
	s_or_b64 exec, exec, s[38:39]
.LBB251_63:                             ;   in Loop: Header=BB251_9 Depth=1
	s_or_b64 exec, exec, s[36:37]
	v_lshrrev_b16_e32 v1, 8, v1
	v_cmp_ne_u16_e64 s[6:7], 0, v1
	v_mov_b32_e32 v29, 0
	v_mov_b32_e32 v28, 0
	s_and_saveexec_b64 s[36:37], s[6:7]
	s_cbranch_execz .LBB251_69
; %bb.64:                               ;   in Loop: Header=BB251_9 Depth=1
	v_cmp_ne_u16_e64 s[6:7], s44, v1
	v_bfrev_b32_e32 v28, 1
	s_and_saveexec_b64 s[38:39], s[6:7]
	s_cbranch_execz .LBB251_68
; %bb.65:                               ;   in Loop: Header=BB251_9 Depth=1
	v_and_b32_e32 v30, 0x7f, v1
	v_cmp_ne_u32_e64 s[6:7], s45, v30
	v_mov_b32_e32 v28, 0x7c010000
	s_and_saveexec_b64 s[40:41], s[6:7]
	s_cbranch_execz .LBB251_67
; %bb.66:                               ;   in Loop: Header=BB251_9 Depth=1
	v_and_b32_e32 v28, 7, v1
	v_ffbh_u32_e32 v31, v28
	v_min_u32_e32 v34, 32, v31
	v_subrev_u32_e32 v31, 28, v34
	v_lshlrev_b64 v[31:32], v31, v[1:2]
	v_lshrrev_b32_e32 v33, 3, v30
	v_sub_u32_e32 v32, 29, v34
	v_cmp_gt_u32_e64 s[6:7], 8, v30
	v_cndmask_b32_e64 v30, v33, v32, s[6:7]
	v_lshlrev_b32_e32 v1, 8, v1
	v_lshl_add_u32 v30, v30, 10, v16
	v_and_b32_e32 v31, 7, v31
	v_and_or_b32 v1, v1, s46, v30
	v_cndmask_b32_e64 v28, v28, v31, s[6:7]
	v_lshlrev_b32_e32 v1, 16, v1
	v_lshl_or_b32 v28, v28, 23, v1
.LBB251_67:                             ;   in Loop: Header=BB251_9 Depth=1
	s_or_b64 exec, exec, s[40:41]
.LBB251_68:                             ;   in Loop: Header=BB251_9 Depth=1
	s_or_b64 exec, exec, s[38:39]
.LBB251_69:                             ;   in Loop: Header=BB251_9 Depth=1
	s_or_b64 exec, exec, s[36:37]
	global_load_ushort v30, v[7:8], off offset:520
	s_waitcnt vmcnt(0)
	v_and_b32_e32 v1, 0xffff, v30
	v_cmp_ne_u16_sdwa s[6:7], v30, v2 src0_sel:BYTE_0 src1_sel:DWORD
	s_and_saveexec_b64 s[36:37], s[6:7]
	s_cbranch_execz .LBB251_75
; %bb.70:                               ;   in Loop: Header=BB251_9 Depth=1
	v_cmp_ne_u16_sdwa s[6:7], v1, s44 src0_sel:BYTE_0 src1_sel:DWORD
	v_mov_b32_e32 v29, 0x8000
	s_and_saveexec_b64 s[38:39], s[6:7]
	s_cbranch_execz .LBB251_74
; %bb.71:                               ;   in Loop: Header=BB251_9 Depth=1
	v_and_b32_e32 v30, 0x7f, v1
	v_cmp_ne_u32_e64 s[6:7], s45, v30
	v_mov_b32_e32 v29, 0x7c01
	s_and_saveexec_b64 s[40:41], s[6:7]
	s_cbranch_execz .LBB251_73
; %bb.72:                               ;   in Loop: Header=BB251_9 Depth=1
	v_and_b32_e32 v29, 7, v1
	v_ffbh_u32_e32 v31, v29
	v_min_u32_e32 v34, 32, v31
	v_subrev_u32_e32 v31, 28, v34
	v_lshlrev_b64 v[31:32], v31, v[1:2]
	v_lshrrev_b32_e32 v33, 3, v30
	v_sub_u32_e32 v32, 29, v34
	v_cmp_gt_u32_e64 s[6:7], 8, v30
	v_cndmask_b32_e64 v30, v33, v32, s[6:7]
	v_lshl_add_u32 v30, v30, 10, v16
	v_lshlrev_b32_e32 v32, 8, v1
	v_and_b32_e32 v31, 7, v31
	v_and_b32_e32 v30, 0xfc00, v30
	v_cndmask_b32_e64 v29, v29, v31, s[6:7]
	v_and_or_b32 v30, v32, s46, v30
	v_lshl_or_b32 v29, v29, 7, v30
.LBB251_73:                             ;   in Loop: Header=BB251_9 Depth=1
	s_or_b64 exec, exec, s[40:41]
.LBB251_74:                             ;   in Loop: Header=BB251_9 Depth=1
	s_or_b64 exec, exec, s[38:39]
.LBB251_75:                             ;   in Loop: Header=BB251_9 Depth=1
	s_or_b64 exec, exec, s[36:37]
	v_lshrrev_b16_e32 v1, 8, v1
	v_cmp_ne_u16_e64 s[6:7], 0, v1
	v_mov_b32_e32 v31, 0
	v_mov_b32_e32 v30, 0
	s_and_saveexec_b64 s[36:37], s[6:7]
	s_cbranch_execz .LBB251_81
; %bb.76:                               ;   in Loop: Header=BB251_9 Depth=1
	v_cmp_ne_u16_e64 s[6:7], s44, v1
	v_bfrev_b32_e32 v30, 1
	s_and_saveexec_b64 s[38:39], s[6:7]
	s_cbranch_execz .LBB251_80
; %bb.77:                               ;   in Loop: Header=BB251_9 Depth=1
	v_and_b32_e32 v32, 0x7f, v1
	v_cmp_ne_u32_e64 s[6:7], s45, v32
	v_mov_b32_e32 v30, 0x7c010000
	s_and_saveexec_b64 s[40:41], s[6:7]
	s_cbranch_execz .LBB251_79
; %bb.78:                               ;   in Loop: Header=BB251_9 Depth=1
	v_and_b32_e32 v30, 7, v1
	v_ffbh_u32_e32 v33, v30
	v_min_u32_e32 v36, 32, v33
	v_subrev_u32_e32 v33, 28, v36
	v_lshlrev_b64 v[33:34], v33, v[1:2]
	v_lshrrev_b32_e32 v35, 3, v32
	v_sub_u32_e32 v34, 29, v36
	v_cmp_gt_u32_e64 s[6:7], 8, v32
	v_cndmask_b32_e64 v32, v35, v34, s[6:7]
	v_lshlrev_b32_e32 v1, 8, v1
	v_lshl_add_u32 v32, v32, 10, v16
	v_and_b32_e32 v33, 7, v33
	v_and_or_b32 v1, v1, s46, v32
	v_cndmask_b32_e64 v30, v30, v33, s[6:7]
	v_lshlrev_b32_e32 v1, 16, v1
	v_lshl_or_b32 v30, v30, 23, v1
.LBB251_79:                             ;   in Loop: Header=BB251_9 Depth=1
	s_or_b64 exec, exec, s[40:41]
.LBB251_80:                             ;   in Loop: Header=BB251_9 Depth=1
	s_or_b64 exec, exec, s[38:39]
.LBB251_81:                             ;   in Loop: Header=BB251_9 Depth=1
	s_or_b64 exec, exec, s[36:37]
	global_load_ushort v32, v[7:8], off offset:768
	s_waitcnt vmcnt(0)
	v_and_b32_e32 v1, 0xffff, v32
	v_cmp_ne_u16_sdwa s[6:7], v32, v2 src0_sel:BYTE_0 src1_sel:DWORD
	s_and_saveexec_b64 s[36:37], s[6:7]
	s_cbranch_execz .LBB251_87
; %bb.82:                               ;   in Loop: Header=BB251_9 Depth=1
	v_cmp_ne_u16_sdwa s[6:7], v1, s44 src0_sel:BYTE_0 src1_sel:DWORD
	v_mov_b32_e32 v31, 0x8000
	s_and_saveexec_b64 s[38:39], s[6:7]
	s_cbranch_execz .LBB251_86
; %bb.83:                               ;   in Loop: Header=BB251_9 Depth=1
	v_and_b32_e32 v32, 0x7f, v1
	v_cmp_ne_u32_e64 s[6:7], s45, v32
	v_mov_b32_e32 v31, 0x7c01
	s_and_saveexec_b64 s[40:41], s[6:7]
	s_cbranch_execz .LBB251_85
; %bb.84:                               ;   in Loop: Header=BB251_9 Depth=1
	v_and_b32_e32 v31, 7, v1
	v_ffbh_u32_e32 v33, v31
	v_min_u32_e32 v36, 32, v33
	v_subrev_u32_e32 v33, 28, v36
	v_lshlrev_b64 v[33:34], v33, v[1:2]
	v_lshrrev_b32_e32 v35, 3, v32
	v_sub_u32_e32 v34, 29, v36
	v_cmp_gt_u32_e64 s[6:7], 8, v32
	v_cndmask_b32_e64 v32, v35, v34, s[6:7]
	v_lshl_add_u32 v32, v32, 10, v16
	v_lshlrev_b32_e32 v34, 8, v1
	v_and_b32_e32 v33, 7, v33
	v_and_b32_e32 v32, 0xfc00, v32
	v_cndmask_b32_e64 v31, v31, v33, s[6:7]
	v_and_or_b32 v32, v34, s46, v32
	v_lshl_or_b32 v31, v31, 7, v32
.LBB251_85:                             ;   in Loop: Header=BB251_9 Depth=1
	s_or_b64 exec, exec, s[40:41]
.LBB251_86:                             ;   in Loop: Header=BB251_9 Depth=1
	s_or_b64 exec, exec, s[38:39]
.LBB251_87:                             ;   in Loop: Header=BB251_9 Depth=1
	s_or_b64 exec, exec, s[36:37]
	v_lshrrev_b16_e32 v1, 8, v1
	v_cmp_ne_u16_e64 s[6:7], 0, v1
	v_mov_b32_e32 v33, 0
	v_mov_b32_e32 v32, 0
	s_and_saveexec_b64 s[36:37], s[6:7]
	s_cbranch_execz .LBB251_93
; %bb.88:                               ;   in Loop: Header=BB251_9 Depth=1
	v_cmp_ne_u16_e64 s[6:7], s44, v1
	v_bfrev_b32_e32 v32, 1
	s_and_saveexec_b64 s[38:39], s[6:7]
	s_cbranch_execz .LBB251_92
; %bb.89:                               ;   in Loop: Header=BB251_9 Depth=1
	v_and_b32_e32 v34, 0x7f, v1
	v_cmp_ne_u32_e64 s[6:7], s45, v34
	v_mov_b32_e32 v32, 0x7c010000
	s_and_saveexec_b64 s[40:41], s[6:7]
	s_cbranch_execz .LBB251_91
; %bb.90:                               ;   in Loop: Header=BB251_9 Depth=1
	v_and_b32_e32 v32, 7, v1
	v_ffbh_u32_e32 v35, v32
	v_min_u32_e32 v38, 32, v35
	v_subrev_u32_e32 v35, 28, v38
	v_lshlrev_b64 v[35:36], v35, v[1:2]
	v_lshrrev_b32_e32 v37, 3, v34
	v_sub_u32_e32 v36, 29, v38
	v_cmp_gt_u32_e64 s[6:7], 8, v34
	v_cndmask_b32_e64 v34, v37, v36, s[6:7]
	v_lshlrev_b32_e32 v1, 8, v1
	v_lshl_add_u32 v34, v34, 10, v16
	v_and_b32_e32 v35, 7, v35
	v_and_or_b32 v1, v1, s46, v34
	v_cndmask_b32_e64 v32, v32, v35, s[6:7]
	v_lshlrev_b32_e32 v1, 16, v1
	v_lshl_or_b32 v32, v32, 23, v1
.LBB251_91:                             ;   in Loop: Header=BB251_9 Depth=1
	s_or_b64 exec, exec, s[40:41]
.LBB251_92:                             ;   in Loop: Header=BB251_9 Depth=1
	s_or_b64 exec, exec, s[38:39]
.LBB251_93:                             ;   in Loop: Header=BB251_9 Depth=1
	s_or_b64 exec, exec, s[36:37]
	global_load_ushort v34, v[7:8], off offset:776
	s_waitcnt vmcnt(0)
	v_and_b32_e32 v1, 0xffff, v34
	v_cmp_ne_u16_sdwa s[6:7], v34, v2 src0_sel:BYTE_0 src1_sel:DWORD
	s_and_saveexec_b64 s[36:37], s[6:7]
	s_cbranch_execz .LBB251_99
; %bb.94:                               ;   in Loop: Header=BB251_9 Depth=1
	v_cmp_ne_u16_sdwa s[6:7], v1, s44 src0_sel:BYTE_0 src1_sel:DWORD
	v_mov_b32_e32 v33, 0x8000
	s_and_saveexec_b64 s[38:39], s[6:7]
	s_cbranch_execz .LBB251_98
; %bb.95:                               ;   in Loop: Header=BB251_9 Depth=1
	v_and_b32_e32 v34, 0x7f, v1
	v_cmp_ne_u32_e64 s[6:7], s45, v34
	v_mov_b32_e32 v33, 0x7c01
	s_and_saveexec_b64 s[40:41], s[6:7]
	s_cbranch_execz .LBB251_97
; %bb.96:                               ;   in Loop: Header=BB251_9 Depth=1
	v_and_b32_e32 v33, 7, v1
	v_ffbh_u32_e32 v35, v33
	v_min_u32_e32 v38, 32, v35
	v_subrev_u32_e32 v35, 28, v38
	v_lshlrev_b64 v[35:36], v35, v[1:2]
	v_lshrrev_b32_e32 v37, 3, v34
	v_sub_u32_e32 v36, 29, v38
	v_cmp_gt_u32_e64 s[6:7], 8, v34
	v_cndmask_b32_e64 v34, v37, v36, s[6:7]
	v_lshl_add_u32 v34, v34, 10, v16
	v_lshlrev_b32_e32 v36, 8, v1
	v_and_b32_e32 v35, 7, v35
	v_and_b32_e32 v34, 0xfc00, v34
	v_cndmask_b32_e64 v33, v33, v35, s[6:7]
	v_and_or_b32 v34, v36, s46, v34
	v_lshl_or_b32 v33, v33, 7, v34
.LBB251_97:                             ;   in Loop: Header=BB251_9 Depth=1
	s_or_b64 exec, exec, s[40:41]
.LBB251_98:                             ;   in Loop: Header=BB251_9 Depth=1
	s_or_b64 exec, exec, s[38:39]
.LBB251_99:                             ;   in Loop: Header=BB251_9 Depth=1
	s_or_b64 exec, exec, s[36:37]
	v_lshrrev_b16_e32 v1, 8, v1
	v_cmp_ne_u16_e64 s[6:7], 0, v1
	v_mov_b32_e32 v35, 0
	v_mov_b32_e32 v34, 0
	s_and_saveexec_b64 s[36:37], s[6:7]
	s_cbranch_execz .LBB251_105
; %bb.100:                              ;   in Loop: Header=BB251_9 Depth=1
	v_cmp_ne_u16_e64 s[6:7], s44, v1
	v_bfrev_b32_e32 v34, 1
	s_and_saveexec_b64 s[38:39], s[6:7]
	s_cbranch_execz .LBB251_104
; %bb.101:                              ;   in Loop: Header=BB251_9 Depth=1
	v_and_b32_e32 v36, 0x7f, v1
	v_cmp_ne_u32_e64 s[6:7], s45, v36
	v_mov_b32_e32 v34, 0x7c010000
	s_and_saveexec_b64 s[40:41], s[6:7]
	s_cbranch_execz .LBB251_103
; %bb.102:                              ;   in Loop: Header=BB251_9 Depth=1
	v_and_b32_e32 v34, 7, v1
	v_ffbh_u32_e32 v37, v34
	v_min_u32_e32 v40, 32, v37
	v_subrev_u32_e32 v37, 28, v40
	v_lshlrev_b64 v[37:38], v37, v[1:2]
	v_lshrrev_b32_e32 v39, 3, v36
	v_sub_u32_e32 v38, 29, v40
	v_cmp_gt_u32_e64 s[6:7], 8, v36
	v_cndmask_b32_e64 v36, v39, v38, s[6:7]
	v_lshlrev_b32_e32 v1, 8, v1
	v_lshl_add_u32 v36, v36, 10, v16
	v_and_b32_e32 v37, 7, v37
	v_and_or_b32 v1, v1, s46, v36
	v_cndmask_b32_e64 v34, v34, v37, s[6:7]
	v_lshlrev_b32_e32 v1, 16, v1
	v_lshl_or_b32 v34, v34, 23, v1
.LBB251_103:                            ;   in Loop: Header=BB251_9 Depth=1
	s_or_b64 exec, exec, s[40:41]
.LBB251_104:                            ;   in Loop: Header=BB251_9 Depth=1
	s_or_b64 exec, exec, s[38:39]
.LBB251_105:                            ;   in Loop: Header=BB251_9 Depth=1
	s_or_b64 exec, exec, s[36:37]
	global_load_ushort v36, v[7:8], off offset:1024
	s_waitcnt vmcnt(0)
	v_and_b32_e32 v1, 0xffff, v36
	v_cmp_ne_u16_sdwa s[6:7], v36, v2 src0_sel:BYTE_0 src1_sel:DWORD
	s_and_saveexec_b64 s[36:37], s[6:7]
	s_cbranch_execz .LBB251_111
; %bb.106:                              ;   in Loop: Header=BB251_9 Depth=1
	v_cmp_ne_u16_sdwa s[6:7], v1, s44 src0_sel:BYTE_0 src1_sel:DWORD
	v_mov_b32_e32 v35, 0x8000
	s_and_saveexec_b64 s[38:39], s[6:7]
	s_cbranch_execz .LBB251_110
; %bb.107:                              ;   in Loop: Header=BB251_9 Depth=1
	v_and_b32_e32 v36, 0x7f, v1
	v_cmp_ne_u32_e64 s[6:7], s45, v36
	v_mov_b32_e32 v35, 0x7c01
	s_and_saveexec_b64 s[40:41], s[6:7]
	s_cbranch_execz .LBB251_109
; %bb.108:                              ;   in Loop: Header=BB251_9 Depth=1
	v_and_b32_e32 v35, 7, v1
	v_ffbh_u32_e32 v37, v35
	v_min_u32_e32 v40, 32, v37
	v_subrev_u32_e32 v37, 28, v40
	v_lshlrev_b64 v[37:38], v37, v[1:2]
	v_lshrrev_b32_e32 v39, 3, v36
	v_sub_u32_e32 v38, 29, v40
	v_cmp_gt_u32_e64 s[6:7], 8, v36
	v_cndmask_b32_e64 v36, v39, v38, s[6:7]
	v_lshl_add_u32 v36, v36, 10, v16
	v_lshlrev_b32_e32 v38, 8, v1
	v_and_b32_e32 v37, 7, v37
	v_and_b32_e32 v36, 0xfc00, v36
	v_cndmask_b32_e64 v35, v35, v37, s[6:7]
	v_and_or_b32 v36, v38, s46, v36
	v_lshl_or_b32 v35, v35, 7, v36
.LBB251_109:                            ;   in Loop: Header=BB251_9 Depth=1
	s_or_b64 exec, exec, s[40:41]
.LBB251_110:                            ;   in Loop: Header=BB251_9 Depth=1
	s_or_b64 exec, exec, s[38:39]
.LBB251_111:                            ;   in Loop: Header=BB251_9 Depth=1
	s_or_b64 exec, exec, s[36:37]
	v_lshrrev_b16_e32 v1, 8, v1
	v_cmp_ne_u16_e64 s[6:7], 0, v1
	v_mov_b32_e32 v37, 0
	v_mov_b32_e32 v36, 0
	s_and_saveexec_b64 s[36:37], s[6:7]
	s_cbranch_execz .LBB251_117
; %bb.112:                              ;   in Loop: Header=BB251_9 Depth=1
	v_cmp_ne_u16_e64 s[6:7], s44, v1
	v_bfrev_b32_e32 v36, 1
	s_and_saveexec_b64 s[38:39], s[6:7]
	s_cbranch_execz .LBB251_116
; %bb.113:                              ;   in Loop: Header=BB251_9 Depth=1
	v_and_b32_e32 v38, 0x7f, v1
	v_cmp_ne_u32_e64 s[6:7], s45, v38
	v_mov_b32_e32 v36, 0x7c010000
	s_and_saveexec_b64 s[40:41], s[6:7]
	s_cbranch_execz .LBB251_115
; %bb.114:                              ;   in Loop: Header=BB251_9 Depth=1
	v_and_b32_e32 v36, 7, v1
	v_ffbh_u32_e32 v39, v36
	v_min_u32_e32 v42, 32, v39
	v_subrev_u32_e32 v39, 28, v42
	v_lshlrev_b64 v[39:40], v39, v[1:2]
	v_lshrrev_b32_e32 v41, 3, v38
	v_sub_u32_e32 v40, 29, v42
	v_cmp_gt_u32_e64 s[6:7], 8, v38
	v_cndmask_b32_e64 v38, v41, v40, s[6:7]
	v_lshlrev_b32_e32 v1, 8, v1
	v_lshl_add_u32 v38, v38, 10, v16
	v_and_b32_e32 v39, 7, v39
	v_and_or_b32 v1, v1, s46, v38
	v_cndmask_b32_e64 v36, v36, v39, s[6:7]
	v_lshlrev_b32_e32 v1, 16, v1
	v_lshl_or_b32 v36, v36, 23, v1
.LBB251_115:                            ;   in Loop: Header=BB251_9 Depth=1
	s_or_b64 exec, exec, s[40:41]
.LBB251_116:                            ;   in Loop: Header=BB251_9 Depth=1
	s_or_b64 exec, exec, s[38:39]
.LBB251_117:                            ;   in Loop: Header=BB251_9 Depth=1
	s_or_b64 exec, exec, s[36:37]
	global_load_ushort v38, v[7:8], off offset:1032
	s_waitcnt vmcnt(0)
	v_and_b32_e32 v1, 0xffff, v38
	v_cmp_ne_u16_sdwa s[6:7], v38, v2 src0_sel:BYTE_0 src1_sel:DWORD
	s_and_saveexec_b64 s[36:37], s[6:7]
	s_cbranch_execz .LBB251_123
; %bb.118:                              ;   in Loop: Header=BB251_9 Depth=1
	v_cmp_ne_u16_sdwa s[6:7], v1, s44 src0_sel:BYTE_0 src1_sel:DWORD
	v_mov_b32_e32 v37, 0x8000
	s_and_saveexec_b64 s[38:39], s[6:7]
	s_cbranch_execz .LBB251_122
; %bb.119:                              ;   in Loop: Header=BB251_9 Depth=1
	v_and_b32_e32 v38, 0x7f, v1
	v_cmp_ne_u32_e64 s[6:7], s45, v38
	v_mov_b32_e32 v37, 0x7c01
	s_and_saveexec_b64 s[40:41], s[6:7]
	s_cbranch_execz .LBB251_121
; %bb.120:                              ;   in Loop: Header=BB251_9 Depth=1
	v_and_b32_e32 v37, 7, v1
	v_ffbh_u32_e32 v39, v37
	v_min_u32_e32 v42, 32, v39
	v_subrev_u32_e32 v39, 28, v42
	v_lshlrev_b64 v[39:40], v39, v[1:2]
	v_lshrrev_b32_e32 v41, 3, v38
	v_sub_u32_e32 v40, 29, v42
	v_cmp_gt_u32_e64 s[6:7], 8, v38
	v_cndmask_b32_e64 v38, v41, v40, s[6:7]
	v_lshl_add_u32 v38, v38, 10, v16
	v_lshlrev_b32_e32 v40, 8, v1
	v_and_b32_e32 v39, 7, v39
	v_and_b32_e32 v38, 0xfc00, v38
	v_cndmask_b32_e64 v37, v37, v39, s[6:7]
	v_and_or_b32 v38, v40, s46, v38
	v_lshl_or_b32 v37, v37, 7, v38
.LBB251_121:                            ;   in Loop: Header=BB251_9 Depth=1
	s_or_b64 exec, exec, s[40:41]
.LBB251_122:                            ;   in Loop: Header=BB251_9 Depth=1
	s_or_b64 exec, exec, s[38:39]
.LBB251_123:                            ;   in Loop: Header=BB251_9 Depth=1
	s_or_b64 exec, exec, s[36:37]
	v_lshrrev_b16_e32 v1, 8, v1
	v_cmp_ne_u16_e64 s[6:7], 0, v1
	v_mov_b32_e32 v39, 0
	v_mov_b32_e32 v38, 0
	s_and_saveexec_b64 s[36:37], s[6:7]
	s_cbranch_execz .LBB251_129
; %bb.124:                              ;   in Loop: Header=BB251_9 Depth=1
	v_cmp_ne_u16_e64 s[6:7], s44, v1
	v_bfrev_b32_e32 v38, 1
	s_and_saveexec_b64 s[38:39], s[6:7]
	s_cbranch_execz .LBB251_128
; %bb.125:                              ;   in Loop: Header=BB251_9 Depth=1
	v_and_b32_e32 v40, 0x7f, v1
	v_cmp_ne_u32_e64 s[6:7], s45, v40
	v_mov_b32_e32 v38, 0x7c010000
	s_and_saveexec_b64 s[40:41], s[6:7]
	s_cbranch_execz .LBB251_127
; %bb.126:                              ;   in Loop: Header=BB251_9 Depth=1
	v_and_b32_e32 v38, 7, v1
	v_ffbh_u32_e32 v41, v38
	v_min_u32_e32 v44, 32, v41
	v_subrev_u32_e32 v41, 28, v44
	v_lshlrev_b64 v[41:42], v41, v[1:2]
	v_lshrrev_b32_e32 v43, 3, v40
	v_sub_u32_e32 v42, 29, v44
	v_cmp_gt_u32_e64 s[6:7], 8, v40
	v_cndmask_b32_e64 v40, v43, v42, s[6:7]
	v_lshlrev_b32_e32 v1, 8, v1
	v_lshl_add_u32 v40, v40, 10, v16
	v_and_b32_e32 v41, 7, v41
	v_and_or_b32 v1, v1, s46, v40
	v_cndmask_b32_e64 v38, v38, v41, s[6:7]
	v_lshlrev_b32_e32 v1, 16, v1
	v_lshl_or_b32 v38, v38, 23, v1
.LBB251_127:                            ;   in Loop: Header=BB251_9 Depth=1
	s_or_b64 exec, exec, s[40:41]
.LBB251_128:                            ;   in Loop: Header=BB251_9 Depth=1
	s_or_b64 exec, exec, s[38:39]
.LBB251_129:                            ;   in Loop: Header=BB251_9 Depth=1
	s_or_b64 exec, exec, s[36:37]
	global_load_ushort v40, v[7:8], off offset:1280
	s_waitcnt vmcnt(0)
	v_and_b32_e32 v1, 0xffff, v40
	v_cmp_ne_u16_sdwa s[6:7], v40, v2 src0_sel:BYTE_0 src1_sel:DWORD
	s_and_saveexec_b64 s[36:37], s[6:7]
	s_cbranch_execz .LBB251_135
; %bb.130:                              ;   in Loop: Header=BB251_9 Depth=1
	v_cmp_ne_u16_sdwa s[6:7], v1, s44 src0_sel:BYTE_0 src1_sel:DWORD
	v_mov_b32_e32 v39, 0x8000
	s_and_saveexec_b64 s[38:39], s[6:7]
	s_cbranch_execz .LBB251_134
; %bb.131:                              ;   in Loop: Header=BB251_9 Depth=1
	v_and_b32_e32 v40, 0x7f, v1
	v_cmp_ne_u32_e64 s[6:7], s45, v40
	v_mov_b32_e32 v39, 0x7c01
	s_and_saveexec_b64 s[40:41], s[6:7]
	s_cbranch_execz .LBB251_133
; %bb.132:                              ;   in Loop: Header=BB251_9 Depth=1
	v_and_b32_e32 v39, 7, v1
	v_ffbh_u32_e32 v41, v39
	v_min_u32_e32 v44, 32, v41
	v_subrev_u32_e32 v41, 28, v44
	v_lshlrev_b64 v[41:42], v41, v[1:2]
	v_lshrrev_b32_e32 v43, 3, v40
	v_sub_u32_e32 v42, 29, v44
	v_cmp_gt_u32_e64 s[6:7], 8, v40
	v_cndmask_b32_e64 v40, v43, v42, s[6:7]
	v_lshl_add_u32 v40, v40, 10, v16
	v_lshlrev_b32_e32 v42, 8, v1
	v_and_b32_e32 v41, 7, v41
	v_and_b32_e32 v40, 0xfc00, v40
	v_cndmask_b32_e64 v39, v39, v41, s[6:7]
	v_and_or_b32 v40, v42, s46, v40
	v_lshl_or_b32 v39, v39, 7, v40
.LBB251_133:                            ;   in Loop: Header=BB251_9 Depth=1
	s_or_b64 exec, exec, s[40:41]
.LBB251_134:                            ;   in Loop: Header=BB251_9 Depth=1
	s_or_b64 exec, exec, s[38:39]
.LBB251_135:                            ;   in Loop: Header=BB251_9 Depth=1
	s_or_b64 exec, exec, s[36:37]
	v_lshrrev_b16_e32 v1, 8, v1
	v_cmp_ne_u16_e64 s[6:7], 0, v1
	v_mov_b32_e32 v41, 0
	v_mov_b32_e32 v40, 0
	s_and_saveexec_b64 s[36:37], s[6:7]
	s_cbranch_execz .LBB251_141
; %bb.136:                              ;   in Loop: Header=BB251_9 Depth=1
	v_cmp_ne_u16_e64 s[6:7], s44, v1
	v_bfrev_b32_e32 v40, 1
	s_and_saveexec_b64 s[38:39], s[6:7]
	s_cbranch_execz .LBB251_140
; %bb.137:                              ;   in Loop: Header=BB251_9 Depth=1
	v_and_b32_e32 v42, 0x7f, v1
	v_cmp_ne_u32_e64 s[6:7], s45, v42
	v_mov_b32_e32 v40, 0x7c010000
	s_and_saveexec_b64 s[40:41], s[6:7]
	s_cbranch_execz .LBB251_139
; %bb.138:                              ;   in Loop: Header=BB251_9 Depth=1
	v_and_b32_e32 v40, 7, v1
	v_ffbh_u32_e32 v43, v40
	v_min_u32_e32 v46, 32, v43
	v_subrev_u32_e32 v43, 28, v46
	v_lshlrev_b64 v[43:44], v43, v[1:2]
	v_lshrrev_b32_e32 v45, 3, v42
	v_sub_u32_e32 v44, 29, v46
	v_cmp_gt_u32_e64 s[6:7], 8, v42
	v_cndmask_b32_e64 v42, v45, v44, s[6:7]
	v_lshlrev_b32_e32 v1, 8, v1
	v_lshl_add_u32 v42, v42, 10, v16
	v_and_b32_e32 v43, 7, v43
	v_and_or_b32 v1, v1, s46, v42
	v_cndmask_b32_e64 v40, v40, v43, s[6:7]
	v_lshlrev_b32_e32 v1, 16, v1
	v_lshl_or_b32 v40, v40, 23, v1
.LBB251_139:                            ;   in Loop: Header=BB251_9 Depth=1
	s_or_b64 exec, exec, s[40:41]
.LBB251_140:                            ;   in Loop: Header=BB251_9 Depth=1
	s_or_b64 exec, exec, s[38:39]
.LBB251_141:                            ;   in Loop: Header=BB251_9 Depth=1
	s_or_b64 exec, exec, s[36:37]
	global_load_ushort v42, v[7:8], off offset:1288
	s_waitcnt vmcnt(0)
	v_and_b32_e32 v1, 0xffff, v42
	v_cmp_ne_u16_sdwa s[6:7], v42, v2 src0_sel:BYTE_0 src1_sel:DWORD
	s_and_saveexec_b64 s[36:37], s[6:7]
	s_cbranch_execz .LBB251_147
; %bb.142:                              ;   in Loop: Header=BB251_9 Depth=1
	v_cmp_ne_u16_sdwa s[6:7], v1, s44 src0_sel:BYTE_0 src1_sel:DWORD
	v_mov_b32_e32 v41, 0x8000
	s_and_saveexec_b64 s[38:39], s[6:7]
	s_cbranch_execz .LBB251_146
; %bb.143:                              ;   in Loop: Header=BB251_9 Depth=1
	v_and_b32_e32 v42, 0x7f, v1
	v_cmp_ne_u32_e64 s[6:7], s45, v42
	v_mov_b32_e32 v41, 0x7c01
	s_and_saveexec_b64 s[40:41], s[6:7]
	s_cbranch_execz .LBB251_145
; %bb.144:                              ;   in Loop: Header=BB251_9 Depth=1
	v_and_b32_e32 v41, 7, v1
	v_ffbh_u32_e32 v43, v41
	v_min_u32_e32 v46, 32, v43
	v_subrev_u32_e32 v43, 28, v46
	v_lshlrev_b64 v[43:44], v43, v[1:2]
	v_lshrrev_b32_e32 v45, 3, v42
	v_sub_u32_e32 v44, 29, v46
	v_cmp_gt_u32_e64 s[6:7], 8, v42
	v_cndmask_b32_e64 v42, v45, v44, s[6:7]
	v_lshl_add_u32 v42, v42, 10, v16
	v_lshlrev_b32_e32 v44, 8, v1
	v_and_b32_e32 v43, 7, v43
	v_and_b32_e32 v42, 0xfc00, v42
	v_cndmask_b32_e64 v41, v41, v43, s[6:7]
	v_and_or_b32 v42, v44, s46, v42
	v_lshl_or_b32 v41, v41, 7, v42
.LBB251_145:                            ;   in Loop: Header=BB251_9 Depth=1
	s_or_b64 exec, exec, s[40:41]
.LBB251_146:                            ;   in Loop: Header=BB251_9 Depth=1
	s_or_b64 exec, exec, s[38:39]
.LBB251_147:                            ;   in Loop: Header=BB251_9 Depth=1
	s_or_b64 exec, exec, s[36:37]
	v_lshrrev_b16_e32 v1, 8, v1
	v_cmp_ne_u16_e64 s[6:7], 0, v1
	v_mov_b32_e32 v44, 0
	v_mov_b32_e32 v47, 0
	s_and_saveexec_b64 s[36:37], s[6:7]
	s_cbranch_execz .LBB251_153
; %bb.148:                              ;   in Loop: Header=BB251_9 Depth=1
	v_cmp_ne_u16_e64 s[6:7], s44, v1
	v_bfrev_b32_e32 v47, 1
	s_and_saveexec_b64 s[38:39], s[6:7]
	s_cbranch_execz .LBB251_152
; %bb.149:                              ;   in Loop: Header=BB251_9 Depth=1
	v_and_b32_e32 v42, 0x7f, v1
	v_cmp_ne_u32_e64 s[6:7], s45, v42
	v_mov_b32_e32 v47, 0x7c010000
	s_and_saveexec_b64 s[40:41], s[6:7]
	s_cbranch_execz .LBB251_151
; %bb.150:                              ;   in Loop: Header=BB251_9 Depth=1
	v_and_b32_e32 v43, 7, v1
	v_ffbh_u32_e32 v45, v43
	v_min_u32_e32 v48, 32, v45
	v_subrev_u32_e32 v45, 28, v48
	v_lshlrev_b64 v[45:46], v45, v[1:2]
	v_lshrrev_b32_e32 v47, 3, v42
	v_sub_u32_e32 v46, 29, v48
	v_cmp_gt_u32_e64 s[6:7], 8, v42
	v_cndmask_b32_e64 v42, v47, v46, s[6:7]
	v_lshlrev_b32_e32 v1, 8, v1
	v_lshl_add_u32 v42, v42, 10, v16
	v_and_b32_e32 v45, 7, v45
	v_and_or_b32 v1, v1, s46, v42
	v_cndmask_b32_e64 v43, v43, v45, s[6:7]
	v_lshlrev_b32_e32 v1, 16, v1
	v_lshl_or_b32 v47, v43, 23, v1
.LBB251_151:                            ;   in Loop: Header=BB251_9 Depth=1
	s_or_b64 exec, exec, s[40:41]
.LBB251_152:                            ;   in Loop: Header=BB251_9 Depth=1
	s_or_b64 exec, exec, s[38:39]
.LBB251_153:                            ;   in Loop: Header=BB251_9 Depth=1
	s_or_b64 exec, exec, s[36:37]
	global_load_ushort v42, v[7:8], off offset:1536
	s_waitcnt vmcnt(0)
	v_and_b32_e32 v1, 0xffff, v42
	v_cmp_ne_u16_sdwa s[6:7], v42, v2 src0_sel:BYTE_0 src1_sel:DWORD
	s_and_saveexec_b64 s[36:37], s[6:7]
	s_cbranch_execz .LBB251_159
; %bb.154:                              ;   in Loop: Header=BB251_9 Depth=1
	v_cmp_ne_u16_sdwa s[6:7], v1, s44 src0_sel:BYTE_0 src1_sel:DWORD
	v_mov_b32_e32 v44, 0x8000
	s_and_saveexec_b64 s[38:39], s[6:7]
	s_cbranch_execz .LBB251_158
; %bb.155:                              ;   in Loop: Header=BB251_9 Depth=1
	v_and_b32_e32 v42, 0x7f, v1
	v_cmp_ne_u32_e64 s[6:7], s45, v42
	v_mov_b32_e32 v44, 0x7c01
	s_and_saveexec_b64 s[40:41], s[6:7]
	s_cbranch_execz .LBB251_157
; %bb.156:                              ;   in Loop: Header=BB251_9 Depth=1
	v_and_b32_e32 v45, 7, v1
	v_ffbh_u32_e32 v43, v45
	v_min_u32_e32 v48, 32, v43
	v_subrev_u32_e32 v43, 28, v48
	v_lshlrev_b64 v[43:44], v43, v[1:2]
	v_lshrrev_b32_e32 v46, 3, v42
	v_sub_u32_e32 v44, 29, v48
	v_cmp_gt_u32_e64 s[6:7], 8, v42
	v_cndmask_b32_e64 v42, v46, v44, s[6:7]
	v_lshl_add_u32 v42, v42, 10, v16
	v_lshlrev_b32_e32 v44, 8, v1
	v_and_b32_e32 v43, 7, v43
	v_and_b32_e32 v42, 0xfc00, v42
	v_cndmask_b32_e64 v43, v45, v43, s[6:7]
	v_and_or_b32 v42, v44, s46, v42
	v_lshl_or_b32 v44, v43, 7, v42
.LBB251_157:                            ;   in Loop: Header=BB251_9 Depth=1
	s_or_b64 exec, exec, s[40:41]
.LBB251_158:                            ;   in Loop: Header=BB251_9 Depth=1
	s_or_b64 exec, exec, s[38:39]
.LBB251_159:                            ;   in Loop: Header=BB251_9 Depth=1
	s_or_b64 exec, exec, s[36:37]
	v_lshrrev_b16_e32 v1, 8, v1
	v_cmp_ne_u16_e64 s[6:7], 0, v1
	v_mov_b32_e32 v42, 0
	v_mov_b32_e32 v46, 0
	s_and_saveexec_b64 s[36:37], s[6:7]
	s_cbranch_execz .LBB251_165
; %bb.160:                              ;   in Loop: Header=BB251_9 Depth=1
	v_cmp_ne_u16_e64 s[6:7], s44, v1
	v_bfrev_b32_e32 v46, 1
	s_and_saveexec_b64 s[38:39], s[6:7]
	s_cbranch_execz .LBB251_164
; %bb.161:                              ;   in Loop: Header=BB251_9 Depth=1
	v_and_b32_e32 v43, 0x7f, v1
	v_cmp_ne_u32_e64 s[6:7], s45, v43
	v_mov_b32_e32 v46, 0x7c010000
	s_and_saveexec_b64 s[40:41], s[6:7]
	s_cbranch_execz .LBB251_163
; %bb.162:                              ;   in Loop: Header=BB251_9 Depth=1
	v_and_b32_e32 v48, 7, v1
	v_ffbh_u32_e32 v45, v48
	v_min_u32_e32 v50, 32, v45
	v_subrev_u32_e32 v45, 28, v50
	v_lshlrev_b64 v[45:46], v45, v[1:2]
	v_lshrrev_b32_e32 v49, 3, v43
	v_sub_u32_e32 v46, 29, v50
	v_cmp_gt_u32_e64 s[6:7], 8, v43
	v_cndmask_b32_e64 v43, v49, v46, s[6:7]
	v_lshlrev_b32_e32 v1, 8, v1
	v_lshl_add_u32 v43, v43, 10, v16
	v_and_b32_e32 v45, 7, v45
	v_and_or_b32 v1, v1, s46, v43
	v_cndmask_b32_e64 v45, v48, v45, s[6:7]
	v_lshlrev_b32_e32 v1, 16, v1
	v_lshl_or_b32 v46, v45, 23, v1
.LBB251_163:                            ;   in Loop: Header=BB251_9 Depth=1
	s_or_b64 exec, exec, s[40:41]
.LBB251_164:                            ;   in Loop: Header=BB251_9 Depth=1
	s_or_b64 exec, exec, s[38:39]
.LBB251_165:                            ;   in Loop: Header=BB251_9 Depth=1
	s_or_b64 exec, exec, s[36:37]
	global_load_ushort v43, v[7:8], off offset:1544
	s_waitcnt vmcnt(0)
	v_and_b32_e32 v1, 0xffff, v43
	v_cmp_ne_u16_sdwa s[6:7], v43, v2 src0_sel:BYTE_0 src1_sel:DWORD
	s_and_saveexec_b64 s[36:37], s[6:7]
	s_cbranch_execz .LBB251_171
; %bb.166:                              ;   in Loop: Header=BB251_9 Depth=1
	v_cmp_ne_u16_sdwa s[6:7], v1, s44 src0_sel:BYTE_0 src1_sel:DWORD
	v_mov_b32_e32 v42, 0x8000
	s_and_saveexec_b64 s[38:39], s[6:7]
	s_cbranch_execz .LBB251_170
; %bb.167:                              ;   in Loop: Header=BB251_9 Depth=1
	v_and_b32_e32 v43, 0x7f, v1
	v_cmp_ne_u32_e64 s[6:7], s45, v43
	v_mov_b32_e32 v42, 0x7c01
	s_and_saveexec_b64 s[40:41], s[6:7]
	s_cbranch_execz .LBB251_169
; %bb.168:                              ;   in Loop: Header=BB251_9 Depth=1
	v_and_b32_e32 v42, 7, v1
	v_ffbh_u32_e32 v48, v42
	v_min_u32_e32 v50, 32, v48
	v_subrev_u32_e32 v48, 28, v50
	v_lshlrev_b64 v[48:49], v48, v[1:2]
	v_lshrrev_b32_e32 v45, 3, v43
	v_sub_u32_e32 v49, 29, v50
	v_cmp_gt_u32_e64 s[6:7], 8, v43
	v_cndmask_b32_e64 v43, v45, v49, s[6:7]
	v_lshl_add_u32 v43, v43, 10, v16
	v_lshlrev_b32_e32 v45, 8, v1
	v_and_b32_e32 v48, 7, v48
	v_and_b32_e32 v43, 0xfc00, v43
	v_cndmask_b32_e64 v42, v42, v48, s[6:7]
	v_and_or_b32 v43, v45, s46, v43
	v_lshl_or_b32 v42, v42, 7, v43
.LBB251_169:                            ;   in Loop: Header=BB251_9 Depth=1
	s_or_b64 exec, exec, s[40:41]
.LBB251_170:                            ;   in Loop: Header=BB251_9 Depth=1
	s_or_b64 exec, exec, s[38:39]
.LBB251_171:                            ;   in Loop: Header=BB251_9 Depth=1
	s_or_b64 exec, exec, s[36:37]
	v_lshrrev_b16_e32 v1, 8, v1
	v_cmp_ne_u16_e64 s[6:7], 0, v1
	v_mov_b32_e32 v43, 0
	v_mov_b32_e32 v45, 0
	s_and_saveexec_b64 s[36:37], s[6:7]
	s_cbranch_execz .LBB251_177
; %bb.172:                              ;   in Loop: Header=BB251_9 Depth=1
	v_cmp_ne_u16_e64 s[6:7], s44, v1
	v_bfrev_b32_e32 v45, 1
	s_and_saveexec_b64 s[38:39], s[6:7]
	s_cbranch_execz .LBB251_176
; %bb.173:                              ;   in Loop: Header=BB251_9 Depth=1
	v_and_b32_e32 v48, 0x7f, v1
	v_cmp_ne_u32_e64 s[6:7], s45, v48
	v_mov_b32_e32 v45, 0x7c010000
	s_and_saveexec_b64 s[40:41], s[6:7]
	s_cbranch_execz .LBB251_175
; %bb.174:                              ;   in Loop: Header=BB251_9 Depth=1
	v_and_b32_e32 v45, 7, v1
	v_ffbh_u32_e32 v49, v45
	v_min_u32_e32 v52, 32, v49
	v_subrev_u32_e32 v49, 28, v52
	v_lshlrev_b64 v[49:50], v49, v[1:2]
	v_lshrrev_b32_e32 v51, 3, v48
	v_sub_u32_e32 v50, 29, v52
	v_cmp_gt_u32_e64 s[6:7], 8, v48
	v_cndmask_b32_e64 v48, v51, v50, s[6:7]
	v_lshlrev_b32_e32 v1, 8, v1
	v_lshl_add_u32 v48, v48, 10, v16
	v_and_b32_e32 v49, 7, v49
	v_and_or_b32 v1, v1, s46, v48
	v_cndmask_b32_e64 v45, v45, v49, s[6:7]
	v_lshlrev_b32_e32 v1, 16, v1
	v_lshl_or_b32 v45, v45, 23, v1
.LBB251_175:                            ;   in Loop: Header=BB251_9 Depth=1
	s_or_b64 exec, exec, s[40:41]
.LBB251_176:                            ;   in Loop: Header=BB251_9 Depth=1
	s_or_b64 exec, exec, s[38:39]
.LBB251_177:                            ;   in Loop: Header=BB251_9 Depth=1
	s_or_b64 exec, exec, s[36:37]
	global_load_ushort v48, v[7:8], off offset:1792
	s_waitcnt vmcnt(0)
	v_and_b32_e32 v1, 0xffff, v48
	v_cmp_ne_u16_sdwa s[6:7], v48, v2 src0_sel:BYTE_0 src1_sel:DWORD
	s_and_saveexec_b64 s[36:37], s[6:7]
	s_cbranch_execz .LBB251_183
; %bb.178:                              ;   in Loop: Header=BB251_9 Depth=1
	v_cmp_ne_u16_sdwa s[6:7], v1, s44 src0_sel:BYTE_0 src1_sel:DWORD
	v_mov_b32_e32 v43, 0x8000
	s_and_saveexec_b64 s[38:39], s[6:7]
	s_cbranch_execz .LBB251_182
; %bb.179:                              ;   in Loop: Header=BB251_9 Depth=1
	v_and_b32_e32 v48, 0x7f, v1
	v_cmp_ne_u32_e64 s[6:7], s45, v48
	v_mov_b32_e32 v43, 0x7c01
	s_and_saveexec_b64 s[40:41], s[6:7]
	s_cbranch_execz .LBB251_181
; %bb.180:                              ;   in Loop: Header=BB251_9 Depth=1
	v_and_b32_e32 v43, 7, v1
	v_ffbh_u32_e32 v49, v43
	v_min_u32_e32 v52, 32, v49
	v_subrev_u32_e32 v49, 28, v52
	v_lshlrev_b64 v[49:50], v49, v[1:2]
	v_lshrrev_b32_e32 v51, 3, v48
	v_sub_u32_e32 v50, 29, v52
	v_cmp_gt_u32_e64 s[6:7], 8, v48
	v_cndmask_b32_e64 v48, v51, v50, s[6:7]
	v_lshl_add_u32 v48, v48, 10, v16
	v_lshlrev_b32_e32 v50, 8, v1
	v_and_b32_e32 v49, 7, v49
	v_and_b32_e32 v48, 0xfc00, v48
	v_cndmask_b32_e64 v43, v43, v49, s[6:7]
	v_and_or_b32 v48, v50, s46, v48
	v_lshl_or_b32 v43, v43, 7, v48
.LBB251_181:                            ;   in Loop: Header=BB251_9 Depth=1
	s_or_b64 exec, exec, s[40:41]
.LBB251_182:                            ;   in Loop: Header=BB251_9 Depth=1
	s_or_b64 exec, exec, s[38:39]
.LBB251_183:                            ;   in Loop: Header=BB251_9 Depth=1
	s_or_b64 exec, exec, s[36:37]
	v_lshrrev_b16_e32 v1, 8, v1
	v_cmp_ne_u16_e64 s[6:7], 0, v1
	v_mov_b32_e32 v48, 0
	v_mov_b32_e32 v49, 0
	s_and_saveexec_b64 s[36:37], s[6:7]
	s_cbranch_execz .LBB251_189
; %bb.184:                              ;   in Loop: Header=BB251_9 Depth=1
	v_cmp_ne_u16_e64 s[6:7], s44, v1
	v_bfrev_b32_e32 v49, 1
	s_and_saveexec_b64 s[38:39], s[6:7]
	s_cbranch_execz .LBB251_188
; %bb.185:                              ;   in Loop: Header=BB251_9 Depth=1
	v_and_b32_e32 v50, 0x7f, v1
	v_cmp_ne_u32_e64 s[6:7], s45, v50
	v_mov_b32_e32 v49, 0x7c010000
	s_and_saveexec_b64 s[40:41], s[6:7]
	s_cbranch_execz .LBB251_187
; %bb.186:                              ;   in Loop: Header=BB251_9 Depth=1
	v_and_b32_e32 v49, 7, v1
	v_ffbh_u32_e32 v51, v49
	v_min_u32_e32 v54, 32, v51
	v_subrev_u32_e32 v51, 28, v54
	v_lshlrev_b64 v[51:52], v51, v[1:2]
	v_lshrrev_b32_e32 v53, 3, v50
	v_sub_u32_e32 v52, 29, v54
	v_cmp_gt_u32_e64 s[6:7], 8, v50
	v_cndmask_b32_e64 v50, v53, v52, s[6:7]
	v_lshlrev_b32_e32 v1, 8, v1
	v_lshl_add_u32 v50, v50, 10, v16
	v_and_b32_e32 v51, 7, v51
	v_and_or_b32 v1, v1, s46, v50
	v_cndmask_b32_e64 v49, v49, v51, s[6:7]
	v_lshlrev_b32_e32 v1, 16, v1
	v_lshl_or_b32 v49, v49, 23, v1
.LBB251_187:                            ;   in Loop: Header=BB251_9 Depth=1
	s_or_b64 exec, exec, s[40:41]
.LBB251_188:                            ;   in Loop: Header=BB251_9 Depth=1
	s_or_b64 exec, exec, s[38:39]
.LBB251_189:                            ;   in Loop: Header=BB251_9 Depth=1
	s_or_b64 exec, exec, s[36:37]
	global_load_ushort v7, v[7:8], off offset:1800
	s_waitcnt vmcnt(0)
	v_and_b32_e32 v1, 0xffff, v7
	v_cmp_ne_u16_sdwa s[6:7], v7, v2 src0_sel:BYTE_0 src1_sel:DWORD
	s_and_saveexec_b64 s[36:37], s[6:7]
	s_cbranch_execz .LBB251_195
; %bb.190:                              ;   in Loop: Header=BB251_9 Depth=1
	v_cmp_ne_u16_sdwa s[6:7], v1, s44 src0_sel:BYTE_0 src1_sel:DWORD
	v_mov_b32_e32 v48, 0x8000
	s_and_saveexec_b64 s[38:39], s[6:7]
	s_cbranch_execz .LBB251_194
; %bb.191:                              ;   in Loop: Header=BB251_9 Depth=1
	v_and_b32_e32 v7, 0x7f, v1
	v_cmp_ne_u32_e64 s[6:7], s45, v7
	v_mov_b32_e32 v48, 0x7c01
	s_and_saveexec_b64 s[40:41], s[6:7]
	s_cbranch_execz .LBB251_193
; %bb.192:                              ;   in Loop: Header=BB251_9 Depth=1
	v_and_b32_e32 v8, 7, v1
	v_ffbh_u32_e32 v50, v8
	v_min_u32_e32 v52, 32, v50
	v_subrev_u32_e32 v50, 28, v52
	v_lshlrev_b64 v[50:51], v50, v[1:2]
	v_lshrrev_b32_e32 v48, 3, v7
	v_sub_u32_e32 v51, 29, v52
	v_cmp_gt_u32_e64 s[6:7], 8, v7
	v_cndmask_b32_e64 v7, v48, v51, s[6:7]
	v_lshl_add_u32 v7, v7, 10, v16
	v_lshlrev_b32_e32 v48, 8, v1
	v_and_b32_e32 v50, 7, v50
	v_and_b32_e32 v7, 0xfc00, v7
	v_cndmask_b32_e64 v8, v8, v50, s[6:7]
	v_and_or_b32 v7, v48, s46, v7
	v_lshl_or_b32 v48, v8, 7, v7
.LBB251_193:                            ;   in Loop: Header=BB251_9 Depth=1
	s_or_b64 exec, exec, s[40:41]
.LBB251_194:                            ;   in Loop: Header=BB251_9 Depth=1
	s_or_b64 exec, exec, s[38:39]
.LBB251_195:                            ;   in Loop: Header=BB251_9 Depth=1
	s_or_b64 exec, exec, s[36:37]
	v_lshrrev_b16_e32 v1, 8, v1
	v_cmp_ne_u16_e64 s[6:7], 0, v1
	v_mov_b32_e32 v8, 0
	s_and_saveexec_b64 s[36:37], s[6:7]
	s_cbranch_execz .LBB251_201
; %bb.196:                              ;   in Loop: Header=BB251_9 Depth=1
	v_cmp_ne_u16_e64 s[6:7], s44, v1
	v_bfrev_b32_e32 v8, 1
	s_and_saveexec_b64 s[38:39], s[6:7]
	s_cbranch_execz .LBB251_200
; %bb.197:                              ;   in Loop: Header=BB251_9 Depth=1
	v_and_b32_e32 v7, 0x7f, v1
	v_cmp_ne_u32_e64 s[6:7], s45, v7
	v_mov_b32_e32 v8, 0x7c010000
	s_and_saveexec_b64 s[40:41], s[6:7]
	s_cbranch_execz .LBB251_199
; %bb.198:                              ;   in Loop: Header=BB251_9 Depth=1
	v_and_b32_e32 v8, 7, v1
	v_ffbh_u32_e32 v50, v8
	v_min_u32_e32 v53, 32, v50
	v_subrev_u32_e32 v50, 28, v53
	v_lshlrev_b64 v[50:51], v50, v[1:2]
	v_lshrrev_b32_e32 v52, 3, v7
	v_sub_u32_e32 v51, 29, v53
	v_cmp_gt_u32_e64 s[6:7], 8, v7
	v_cndmask_b32_e64 v7, v52, v51, s[6:7]
	v_lshlrev_b32_e32 v1, 8, v1
	v_lshl_add_u32 v7, v7, 10, v16
	v_and_b32_e32 v50, 7, v50
	v_and_or_b32 v1, v1, s46, v7
	v_cndmask_b32_e64 v8, v8, v50, s[6:7]
	v_lshlrev_b32_e32 v1, 16, v1
	v_lshl_or_b32 v8, v8, 23, v1
.LBB251_199:                            ;   in Loop: Header=BB251_9 Depth=1
	s_or_b64 exec, exec, s[40:41]
.LBB251_200:                            ;   in Loop: Header=BB251_9 Depth=1
	s_or_b64 exec, exec, s[38:39]
.LBB251_201:                            ;   in Loop: Header=BB251_9 Depth=1
	s_or_b64 exec, exec, s[36:37]
	v_or_b32_e32 v42, v45, v42
	v_or_b32_e32 v44, v46, v44
	;; [unrolled: 1-line block ×15, first 2 shown]
	v_fma_mixlo_f16 v43, v18, v42, 0 op_sel_hi:[0,1,0]
	v_fma_mixlo_f16 v42, v18, v45, 0 op_sel:[0,1,0] op_sel_hi:[0,1,0]
	v_fma_mixlo_f16 v45, v18, v44, 0 op_sel_hi:[0,1,0]
	v_fma_mixlo_f16 v44, v18, v46, 0 op_sel:[0,1,0] op_sel_hi:[0,1,0]
	;; [unrolled: 2-line block ×13, first 2 shown]
	v_fma_mixlo_f16 v22, v18, v19, 0 op_sel_hi:[0,1,0]
	v_or_b32_e32 v19, v8, v48
	v_fma_mixlo_f16 v7, v18, v1, 0 op_sel_hi:[0,1,0]
	v_fma_mixlo_f16 v1, v18, v49, 0 op_sel:[0,1,0] op_sel_hi:[0,1,0]
	v_fma_mixlo_f16 v20, v18, v20, 0 op_sel:[0,1,0] op_sel_hi:[0,1,0]
	v_fma_mixlo_f16 v19, v18, v19, 0 op_sel_hi:[0,1,0]
	v_fma_mixlo_f16 v8, v18, v8, 0 op_sel:[0,1,0] op_sel_hi:[0,1,0]
	ds_read_b32 v18, v13
	v_and_b32_e32 v24, 0xffff, v24
	v_and_b32_e32 v21, 0xffff, v21
	;; [unrolled: 1-line block ×4, first 2 shown]
	s_waitcnt lgkmcnt(0)
	v_lshrrev_b32_e32 v49, 16, v18
	v_and_b32_e32 v18, 0xffff, v18
	;;#ASMSTART
	v_cvt_f32_f16 v48, v18;
	;;#ASMEND
	v_and_b32_e32 v18, 0xffff, v22
	;;#ASMSTART
	v_cvt_f32_f16 v49, v49;
	;;#ASMEND
	;;#ASMSTART
	v_cvt_f32_f16 v22, v18;
	;;#ASMEND
	v_and_b32_e32 v18, 0xffff, v20
	;;#ASMSTART
	v_cvt_f32_f16 v50, v18;
	;;#ASMEND
	ds_read_b32 v18, v13 offset:4
	v_and_b32_e32 v1, 0xffff, v1
	v_and_b32_e32 v19, 0xffff, v19
	;; [unrolled: 1-line block ×3, first 2 shown]
	s_waitcnt lgkmcnt(0)
	v_lshrrev_b32_e32 v20, 16, v18
	v_and_b32_e32 v18, 0xffff, v18
	;;#ASMSTART
	v_cvt_f32_f16 v18, v18;
	;;#ASMEND
	;;#ASMSTART
	v_cvt_f32_f16 v20, v20;
	;;#ASMEND
	;; [unrolled: 3-line block ×4, first 2 shown]
	v_mul_f32_e32 v20, v20, v21
	ds_read_b32 v21, v13 offset:8
	v_mul_f32_e32 v18, v18, v24
	v_fmac_f32_e32 v18, v48, v22
	v_and_b32_e32 v24, 0xffff, v26
	v_fmac_f32_e32 v20, v49, v50
	s_waitcnt lgkmcnt(0)
	v_lshrrev_b32_e32 v22, 16, v21
	v_and_b32_e32 v21, 0xffff, v21
	;;#ASMSTART
	v_cvt_f32_f16 v21, v21;
	;;#ASMEND
	;;#ASMSTART
	v_cvt_f32_f16 v22, v22;
	;;#ASMEND
	;;#ASMSTART
	v_cvt_f32_f16 v24, v24;
	;;#ASMEND
	;;#ASMSTART
	v_cvt_f32_f16 v23, v23;
	;;#ASMEND
	v_fmac_f32_e32 v18, v21, v24
	ds_read_b32 v21, v13 offset:12
	v_fmac_f32_e32 v20, v22, v23
	v_and_b32_e32 v23, 0xffff, v28
	v_and_b32_e32 v24, 0xffff, v25
	s_waitcnt lgkmcnt(0)
	v_lshrrev_b32_e32 v22, 16, v21
	v_and_b32_e32 v21, 0xffff, v21
	;;#ASMSTART
	v_cvt_f32_f16 v21, v21;
	;;#ASMEND
	;;#ASMSTART
	v_cvt_f32_f16 v22, v22;
	;;#ASMEND
	;;#ASMSTART
	v_cvt_f32_f16 v23, v23;
	;;#ASMEND
	;;#ASMSTART
	v_cvt_f32_f16 v24, v24;
	;;#ASMEND
	v_fmac_f32_e32 v18, v21, v23
	ds_read_b32 v21, v13 offset:16
	v_fmac_f32_e32 v20, v22, v24
	v_and_b32_e32 v23, 0xffff, v30
	v_and_b32_e32 v24, 0xffff, v27
	;; [unrolled: 20-line block ×11, first 2 shown]
	s_waitcnt lgkmcnt(0)
	v_lshrrev_b32_e32 v22, 16, v21
	v_and_b32_e32 v21, 0xffff, v21
	;;#ASMSTART
	v_cvt_f32_f16 v21, v21;
	;;#ASMEND
	;;#ASMSTART
	v_cvt_f32_f16 v22, v22;
	;;#ASMEND
	;; [unrolled: 3-line block ×4, first 2 shown]
	v_fmac_f32_e32 v18, v21, v23
	ds_read_b32 v21, v13 offset:56
	v_fmac_f32_e32 v20, v22, v24
	s_waitcnt lgkmcnt(0)
	v_lshrrev_b32_e32 v22, 16, v21
	v_and_b32_e32 v21, 0xffff, v21
	;;#ASMSTART
	v_cvt_f32_f16 v21, v21;
	;;#ASMEND
	;;#ASMSTART
	v_cvt_f32_f16 v22, v22;
	;;#ASMEND
	;; [unrolled: 3-line block ×4, first 2 shown]
	v_fmac_f32_e32 v20, v22, v1
	ds_read_b32 v1, v13 offset:60
	v_fmac_f32_e32 v18, v21, v7
	s_waitcnt lgkmcnt(0)
	v_lshrrev_b32_e32 v7, 16, v1
	v_and_b32_e32 v1, 0xffff, v1
	;;#ASMSTART
	v_cvt_f32_f16 v1, v1;
	;;#ASMEND
	;;#ASMSTART
	v_cvt_f32_f16 v7, v7;
	;;#ASMEND
	;; [unrolled: 3-line block ×4, first 2 shown]
	v_fmac_f32_e32 v18, v1, v19
	v_fmac_f32_e32 v20, v7, v8
	v_and_b32_e32 v7, 64, v10
	v_add_f32_e32 v8, v18, v20
	v_add_u32_e32 v1, 64, v7
	v_xor_b32_e32 v18, 2, v10
	v_cmp_lt_i32_e64 s[6:7], v18, v1
	v_cndmask_b32_e64 v18, v10, v18, s[6:7]
	v_lshlrev_b32_e32 v18, 2, v18
	ds_bpermute_b32 v18, v18, v8
	s_waitcnt lgkmcnt(0)
	v_add_f32_e32 v8, v8, v18
	v_xor_b32_e32 v18, 1, v10
	v_cmp_lt_i32_e64 s[6:7], v18, v1
	v_cndmask_b32_e64 v18, v10, v18, s[6:7]
	v_lshlrev_b32_e32 v18, 2, v18
	ds_bpermute_b32 v18, v18, v8
	s_and_saveexec_b64 s[36:37], vcc
	s_cbranch_execz .LBB251_8
; %bb.202:                              ;   in Loop: Header=BB251_9 Depth=1
	v_add_u32_e32 v19, s43, v14
	v_cvt_f32_i32_e32 v19, v19
	s_waitcnt lgkmcnt(0)
	v_add_f32_e32 v8, v8, v18
	v_cmp_gt_i32_e64 s[6:7], s33, v14
	v_max_f32_e32 v18, v12, v12
	v_mul_f32_e32 v19, s10, v19
	v_cndmask_b32_e64 v19, 0, v19, s[4:5]
	v_fmac_f32_e32 v19, s11, v8
	v_cndmask_b32_e64 v8, 0, v19, s[6:7]
	ds_write_b32 v15, v8
	v_max_f32_e32 v8, v18, v19
	v_cndmask_b32_e64 v12, v12, v8, s[6:7]
	s_branch .LBB251_8
.LBB251_203:
	s_or_b64 exec, exec, s[18:19]
.LBB251_204:
	s_or_b64 exec, exec, s[34:35]
	v_xor_b32_e32 v2, 32, v10
	v_cmp_lt_i32_e32 vcc, v2, v1
	v_cndmask_b32_e32 v2, v10, v2, vcc
	v_lshlrev_b32_e32 v2, 2, v2
	ds_bpermute_b32 v3, v2, v12
	v_xor_b32_e32 v5, 16, v10
	v_max_f32_e32 v4, v12, v12
	v_cmp_lt_i32_e32 vcc, v5, v1
	v_xor_b32_e32 v6, 8, v10
	s_waitcnt lgkmcnt(0)
	v_max_f32_e32 v3, v3, v3
	v_max_f32_e32 v4, v4, v3
	v_cndmask_b32_e32 v3, v10, v5, vcc
	v_lshlrev_b32_e32 v3, 2, v3
	ds_bpermute_b32 v5, v3, v4
	v_cmp_lt_i32_e32 vcc, v6, v1
	v_xor_b32_e32 v8, 4, v10
	v_and_b32_e32 v12, 63, v0
	s_waitcnt lgkmcnt(0)
	v_max_f32_e32 v5, v5, v5
	v_max_f32_e32 v4, v4, v5
	v_cndmask_b32_e32 v5, v10, v6, vcc
	v_lshlrev_b32_e32 v6, 2, v5
	ds_bpermute_b32 v5, v6, v4
	v_cmp_lt_i32_e32 vcc, v8, v1
	s_waitcnt lgkmcnt(0)
	v_max_f32_e32 v5, v5, v5
	v_max_f32_e32 v5, v4, v5
	v_cndmask_b32_e32 v4, v10, v8, vcc
	v_lshlrev_b32_e32 v8, 2, v4
	ds_bpermute_b32 v13, v8, v5
	v_cmp_eq_u32_e32 vcc, 0, v12
	v_lshlrev_b32_e32 v4, 2, v11
	s_and_saveexec_b64 s[4:5], vcc
	s_cbranch_execz .LBB251_206
; %bb.205:
	s_waitcnt lgkmcnt(0)
	v_max_f32_e32 v13, v13, v13
	v_max_f32_e32 v5, v5, v5
	;; [unrolled: 1-line block ×3, first 2 shown]
	ds_write_b32 v4, v5 offset:256
.LBB251_206:
	s_or_b64 exec, exec, s[4:5]
	v_cmp_gt_u32_e64 s[4:5], 2, v12
	v_mov_b32_e32 v14, 0xff7fffff
	v_lshlrev_b32_e32 v5, 2, v12
	s_waitcnt lgkmcnt(0)
	s_barrier
	s_and_saveexec_b64 s[6:7], s[4:5]
; %bb.207:
	ds_read_b32 v14, v5 offset:256
; %bb.208:
	s_or_b64 exec, exec, s[6:7]
	v_xor_b32_e32 v13, 1, v10
	v_cmp_lt_i32_e64 s[6:7], v13, v1
	v_cndmask_b32_e64 v13, v10, v13, s[6:7]
	v_lshlrev_b32_e32 v13, 2, v13
	s_waitcnt lgkmcnt(0)
	ds_bpermute_b32 v15, v13, v14
	v_max_f32_e32 v14, v14, v14
	v_lshlrev_b32_e32 v7, 2, v7
	s_lshl_b32 s6, s23, 4
	s_min_i32 s34, s6, s33
	s_waitcnt lgkmcnt(0)
	v_max_f32_e32 v15, v15, v15
	v_max_f32_e32 v14, v14, v15
	ds_bpermute_b32 v14, v7, v14
	v_cmp_gt_i32_e64 s[6:7], s34, v0
	v_mov_b32_e32 v7, 0
	s_and_saveexec_b64 s[12:13], s[6:7]
	s_cbranch_execz .LBB251_212
; %bb.209:
	v_mov_b32_e32 v7, 0x110
	v_lshl_add_u32 v15, v0, 2, v7
	v_mov_b32_e32 v7, 0
	s_mov_b64 s[18:19], 0
	v_mov_b32_e32 v16, v0
.LBB251_210:                            ; =>This Inner Loop Header: Depth=1
	ds_read_b32 v17, v15
	v_add_u32_e32 v16, 0x80, v16
	v_cmp_le_i32_e64 s[10:11], s34, v16
	s_or_b64 s[18:19], s[10:11], s[18:19]
	s_waitcnt lgkmcnt(0)
	v_sub_f32_e32 v17, v17, v14
	v_mul_f32_e32 v17, 0x3fb8aa3b, v17
	v_exp_f32_e32 v17, v17
	ds_write_b32 v15, v17
	v_add_f32_e32 v7, v7, v17
	v_add_u32_e32 v15, 0x200, v15
	s_andn2_b64 exec, exec, s[18:19]
	s_cbranch_execnz .LBB251_210
; %bb.211:
	s_or_b64 exec, exec, s[18:19]
.LBB251_212:
	s_or_b64 exec, exec, s[12:13]
	ds_bpermute_b32 v2, v2, v7
	s_waitcnt lgkmcnt(0)
	v_add_f32_e32 v2, v7, v2
	ds_bpermute_b32 v3, v3, v2
	s_waitcnt lgkmcnt(0)
	v_add_f32_e32 v2, v2, v3
	ds_bpermute_b32 v3, v6, v2
	v_xor_b32_e32 v6, 2, v10
	v_cmp_lt_i32_e64 s[10:11], v6, v1
	v_cndmask_b32_e64 v1, v10, v6, s[10:11]
	v_lshlrev_b32_e32 v1, 2, v1
	s_waitcnt lgkmcnt(0)
	v_add_f32_e32 v2, v2, v3
	ds_bpermute_b32 v3, v8, v2
	s_waitcnt lgkmcnt(0)
	v_add_f32_e32 v2, v2, v3
	ds_bpermute_b32 v1, v1, v2
	;; [unrolled: 3-line block ×3, first 2 shown]
	s_waitcnt lgkmcnt(0)
	v_add_f32_e32 v1, v1, v2
	s_and_saveexec_b64 s[10:11], vcc
; %bb.213:
	ds_write_b32 v4, v1 offset:264
; %bb.214:
	s_or_b64 exec, exec, s[10:11]
	s_waitcnt lgkmcnt(0)
	s_barrier
	s_and_saveexec_b64 s[10:11], s[4:5]
; %bb.215:
	ds_read_b32 v1, v5 offset:264
; %bb.216:
	s_or_b64 exec, exec, s[10:11]
	s_waitcnt lgkmcnt(0)
	ds_bpermute_b32 v2, v13, v1
	v_lshlrev_b32_e32 v3, 2, v10
	s_waitcnt lgkmcnt(0)
	v_add_f32_e32 v1, v1, v2
	v_and_b32_e32 v2, 0xffffff00, v3
	ds_bpermute_b32 v1, v2, v1
	s_and_saveexec_b64 s[4:5], s[6:7]
	s_cbranch_execz .LBB251_219
; %bb.217:
	s_waitcnt lgkmcnt(0)
	v_add_f32_e32 v2, 0x358637bd, v1
	v_div_scale_f32 v1, s[6:7], v2, v2, 1.0
	v_div_scale_f32 v3, vcc, 1.0, v2, 1.0
	s_mov_b64 s[6:7], 0
	v_rcp_f32_e32 v4, v1
	v_fma_f32 v5, -v1, v4, 1.0
	v_fmac_f32_e32 v4, v5, v4
	v_mul_f32_e32 v5, v3, v4
	v_fma_f32 v6, -v1, v5, v3
	v_fmac_f32_e32 v5, v6, v4
	v_fma_f32 v1, -v1, v5, v3
	v_div_fmas_f32 v3, v1, v4, v5
	v_mov_b32_e32 v1, 0x110
	v_lshl_add_u32 v1, v0, 2, v1
	v_div_fixup_f32 v2, v3, v2, 1.0
	v_mov_b32_e32 v3, v0
.LBB251_218:                            ; =>This Inner Loop Header: Depth=1
	ds_read_b32 v4, v1
	v_add_u32_e32 v3, 0x80, v3
	v_cmp_le_i32_e32 vcc, s34, v3
	s_or_b64 s[6:7], vcc, s[6:7]
	s_waitcnt lgkmcnt(0)
	v_mul_f32_e32 v4, v2, v4
	ds_write_b32 v1, v4
	v_add_u32_e32 v1, 0x200, v1
	s_andn2_b64 exec, exec, s[6:7]
	s_cbranch_execnz .LBB251_218
.LBB251_219:
	s_or_b64 exec, exec, s[4:5]
	v_mov_b32_e32 v16, 0
	v_and_b32_e32 v14, 1, v0
	v_mov_b32_e32 v18, 0
	v_mov_b32_e32 v17, 0
	;; [unrolled: 1-line block ×3, first 2 shown]
	s_waitcnt lgkmcnt(0)
	s_barrier
	s_and_saveexec_b64 s[4:5], s[2:3]
	s_cbranch_execz .LBB251_423
; %bb.220:
	v_lshlrev_b32_e32 v1, 3, v0
	s_ashr_i32 s2, s16, 31
	v_and_b32_e32 v5, 8, v1
	s_add_u32 s3, s30, s16
	v_and_b32_e32 v1, 0x1f8, v1
	s_addc_u32 s2, s31, s2
	v_add_co_u32_e32 v3, vcc, s3, v1
	v_lshlrev_b32_e32 v1, 4, v11
	s_add_i32 s30, s23, -1
	v_mov_b32_e32 v4, s2
	v_or3_b32 v19, v1, v5, 7
	v_lshlrev_b32_e32 v1, 5, v14
	s_lshl_b64 s[2:3], s[28:29], 2
	v_lshl_or_b32 v1, v11, 6, v1
	s_add_u32 s2, s26, s2
	v_addc_co_u32_e32 v4, vcc, 0, v4, vcc
	v_add_u32_e32 v20, 0x110, v1
	v_and_b32_e32 v1, 60, v9
	s_addc_u32 s3, s27, s3
	s_mov_b32 s6, -1
	v_mov_b32_e32 v6, s3
	v_add_co_u32_e32 v5, vcc, s2, v1
	s_mov_b32 s34, s17
	s_mov_b32 s7, 0xffffff
	v_mov_b32_e32 v2, 0
	v_addc_co_u32_e32 v6, vcc, 0, v6, vcc
	s_mov_b64 s[10:11], 0
	s_movk_i32 s26, 0x80
	s_movk_i32 s27, 0x7f
	s_mov_b32 s28, 0x8000
	v_mov_b32_e32 v21, 0x2000
	v_mov_b32_e32 v15, 0
	;; [unrolled: 1-line block ×5, first 2 shown]
	s_branch .LBB251_222
.LBB251_221:                            ;   in Loop: Header=BB251_222 Depth=1
	s_or_b64 exec, exec, s[2:3]
	v_add_f32_e32 v9, v9, v10
	v_add_f32_e32 v17, v17, v9
	;; [unrolled: 1-line block ×5, first 2 shown]
	;;#ASMSTART
	v_pk_mul_f16 v7, v29, v7;

	;;#ASMEND
	;;#ASMSTART
	v_pk_mul_f16 v1, v30, v1;

	;;#ASMEND
	v_add_f32_e32 v16, v16, v9
	;;#ASMSTART
	v_pk_mul_f16 v8, v31, v8;

	;;#ASMEND
	;;#ASMSTART
	v_pk_mul_f16 v9, v32, v37;

	;;#ASMEND
	;;#ASMSTART
	v_pk_add_f16 v1, v7, v1;

	;;#ASMEND
	;;#ASMSTART
	v_pk_add_f16 v1, v1, v8;

	;;#ASMEND
	;;#ASMSTART
	v_pk_add_f16 v1, v1, v9;

	;;#ASMEND
	v_lshrrev_b32_e32 v7, 16, v1
	v_and_b32_e32 v1, 0xffff, v1
	v_add_u32_e32 v11, 2, v11
	;;#ASMSTART
	v_cvt_f32_f16 v1, v1;
	;;#ASMEND
	v_cmp_le_i32_e32 vcc, s23, v11
	;;#ASMSTART
	v_cvt_f32_f16 v7, v7;
	;;#ASMEND
	v_add_f32_e32 v1, v1, v7
	s_or_b64 s[10:11], vcc, s[10:11]
	v_add_co_u32_e32 v5, vcc, 8, v5
	v_add_f32_e32 v15, v15, v1
	v_add_u32_e32 v19, 32, v19
	v_add_u32_e32 v20, 0x80, v20
	v_addc_co_u32_e32 v6, vcc, 0, v6, vcc
	s_andn2_b64 exec, exec, s[10:11]
	s_cbranch_execz .LBB251_422
.LBB251_222:                            ; =>This Inner Loop Header: Depth=1
	global_load_dword v1, v[5:6], off
	ds_read2_b64 v[7:10], v20 offset1:1
	ds_read2_b64 v[22:25], v20 offset0:2 offset1:3
	s_waitcnt lgkmcnt(1)
	;;#ASMSTART
	v_cvt_f16_f32 v29, v7;

	;;#ASMEND
	;;#ASMSTART
	v_cvt_f16_f32 v30, v8;

	;;#ASMEND
	;; [unrolled: 4-line block ×4, first 2 shown]
	s_waitcnt lgkmcnt(0)
	;;#ASMSTART
	v_cvt_f16_f32 v33, v22;

	;;#ASMEND
	;;#ASMSTART
	v_cvt_f16_f32 v34, v23;

	;;#ASMEND
	;; [unrolled: 4-line block ×4, first 2 shown]
	v_mov_b32_e32 v24, 0
	s_waitcnt vmcnt(0)
	v_mad_i64_i32 v[7:8], s[2:3], v1, s34, v[3:4]
	global_load_dwordx2 v[9:10], v[7:8], off
	global_load_dword v23, v2, s[14:15]
	s_waitcnt vmcnt(1)
	v_cmp_ne_u16_sdwa s[12:13], v9, v2 src0_sel:BYTE_0 src1_sel:DWORD
	s_and_saveexec_b64 s[2:3], s[12:13]
	s_cbranch_execz .LBB251_228
; %bb.223:                              ;   in Loop: Header=BB251_222 Depth=1
	v_cmp_ne_u16_sdwa s[16:17], v9, s26 src0_sel:BYTE_0 src1_sel:DWORD
	v_mov_b32_e32 v24, 0x8000
	s_and_saveexec_b64 s[12:13], s[16:17]
	s_cbranch_execz .LBB251_227
; %bb.224:                              ;   in Loop: Header=BB251_222 Depth=1
	v_and_b32_e32 v1, 0x7f, v9
	v_cmp_ne_u32_e32 vcc, s27, v1
	v_mov_b32_e32 v24, 0x7c01
	s_and_saveexec_b64 s[16:17], vcc
	s_cbranch_execz .LBB251_226
; %bb.225:                              ;   in Loop: Header=BB251_222 Depth=1
	v_and_b32_e32 v22, 7, v9
	v_ffbh_u32_e32 v24, v22
	v_min_u32_e32 v27, 32, v24
	v_subrev_u32_e32 v24, 28, v27
	v_lshlrev_b64 v[24:25], v24, v[9:10]
	v_lshrrev_b32_e32 v26, 3, v1
	v_sub_u32_e32 v25, 29, v27
	v_cmp_gt_u32_e32 vcc, 8, v1
	v_cndmask_b32_e32 v1, v26, v25, vcc
	v_lshl_add_u32 v1, v1, 10, v21
	v_lshlrev_b32_e32 v25, 8, v9
	v_and_b32_e32 v24, 7, v24
	v_and_b32_e32 v1, 0xfc00, v1
	v_cndmask_b32_e32 v22, v22, v24, vcc
	v_and_or_b32 v1, v25, s28, v1
	v_lshl_or_b32 v24, v22, 7, v1
.LBB251_226:                            ;   in Loop: Header=BB251_222 Depth=1
	s_or_b64 exec, exec, s[16:17]
.LBB251_227:                            ;   in Loop: Header=BB251_222 Depth=1
	s_or_b64 exec, exec, s[12:13]
.LBB251_228:                            ;   in Loop: Header=BB251_222 Depth=1
	s_or_b64 exec, exec, s[2:3]
	v_lshrrev_b16_e32 v1, 8, v9
	v_cmp_ne_u16_e32 vcc, 0, v1
	v_mov_b32_e32 v26, 0
	v_mov_b32_e32 v25, 0
	s_and_saveexec_b64 s[2:3], vcc
	s_cbranch_execz .LBB251_234
; %bb.229:                              ;   in Loop: Header=BB251_222 Depth=1
	v_cmp_ne_u16_e32 vcc, s26, v1
	v_bfrev_b32_e32 v25, 1
	s_and_saveexec_b64 s[12:13], vcc
	s_cbranch_execz .LBB251_233
; %bb.230:                              ;   in Loop: Header=BB251_222 Depth=1
	v_and_b32_e32 v22, 0x7f, v1
	v_cmp_ne_u32_e32 vcc, s27, v22
	v_mov_b32_e32 v25, 0x7c010000
	s_and_saveexec_b64 s[16:17], vcc
	s_cbranch_execz .LBB251_232
; %bb.231:                              ;   in Loop: Header=BB251_222 Depth=1
	v_and_b32_e32 v25, 7, v1
	v_ffbh_u32_e32 v27, v25
	v_min_u32_e32 v38, 32, v27
	v_subrev_u32_e32 v27, 28, v38
	v_lshlrev_b64 v[27:28], v27, v[1:2]
	v_lshrrev_b32_e32 v37, 3, v22
	v_sub_u32_e32 v28, 29, v38
	v_cmp_gt_u32_e32 vcc, 8, v22
	v_cndmask_b32_e32 v22, v37, v28, vcc
	v_lshlrev_b32_e32 v1, 8, v1
	v_lshl_add_u32 v22, v22, 10, v21
	v_and_b32_e32 v27, 7, v27
	v_and_or_b32 v1, v1, s28, v22
	v_cndmask_b32_e32 v25, v25, v27, vcc
	v_lshlrev_b32_e32 v1, 16, v1
	v_lshl_or_b32 v25, v25, 23, v1
.LBB251_232:                            ;   in Loop: Header=BB251_222 Depth=1
	s_or_b64 exec, exec, s[16:17]
.LBB251_233:                            ;   in Loop: Header=BB251_222 Depth=1
	s_or_b64 exec, exec, s[12:13]
.LBB251_234:                            ;   in Loop: Header=BB251_222 Depth=1
	s_or_b64 exec, exec, s[2:3]
	v_lshrrev_b32_e32 v1, 16, v9
	v_cmp_ne_u16_sdwa s[12:13], v1, v2 src0_sel:BYTE_0 src1_sel:DWORD
	s_and_saveexec_b64 s[2:3], s[12:13]
	s_cbranch_execz .LBB251_240
; %bb.235:                              ;   in Loop: Header=BB251_222 Depth=1
	v_cmp_ne_u16_sdwa s[16:17], v1, s26 src0_sel:BYTE_0 src1_sel:DWORD
	v_mov_b32_e32 v26, 0x8000
	s_and_saveexec_b64 s[12:13], s[16:17]
	s_cbranch_execz .LBB251_239
; %bb.236:                              ;   in Loop: Header=BB251_222 Depth=1
	v_bfe_u32 v22, v9, 16, 7
	v_cmp_ne_u32_e32 vcc, s27, v22
	v_mov_b32_e32 v26, 0x7c01
	s_and_saveexec_b64 s[16:17], vcc
	s_cbranch_execz .LBB251_238
; %bb.237:                              ;   in Loop: Header=BB251_222 Depth=1
	v_and_b32_e32 v28, 7, v1
	v_ffbh_u32_e32 v26, v28
	v_min_u32_e32 v38, 32, v26
	v_subrev_u32_e32 v26, 28, v38
	v_lshlrev_b64 v[26:27], v26, v[1:2]
	v_lshrrev_b32_e32 v37, 3, v22
	v_sub_u32_e32 v27, 29, v38
	v_cmp_gt_u32_e32 vcc, 8, v22
	v_cndmask_b32_e32 v22, v37, v27, vcc
	v_lshl_add_u32 v22, v22, 10, v21
	v_lshlrev_b32_e32 v1, 8, v1
	v_and_b32_e32 v26, 7, v26
	v_and_b32_e32 v22, 0xfc00, v22
	v_cndmask_b32_e32 v26, v28, v26, vcc
	v_and_or_b32 v1, v1, s28, v22
	v_lshl_or_b32 v26, v26, 7, v1
.LBB251_238:                            ;   in Loop: Header=BB251_222 Depth=1
	s_or_b64 exec, exec, s[16:17]
.LBB251_239:                            ;   in Loop: Header=BB251_222 Depth=1
	s_or_b64 exec, exec, s[12:13]
.LBB251_240:                            ;   in Loop: Header=BB251_222 Depth=1
	s_or_b64 exec, exec, s[2:3]
	v_cmp_lt_u32_e32 vcc, s7, v9
	v_mov_b32_e32 v27, 0
	v_mov_b32_e32 v28, 0
	s_and_saveexec_b64 s[2:3], vcc
	s_cbranch_execz .LBB251_246
; %bb.241:                              ;   in Loop: Header=BB251_222 Depth=1
	v_lshrrev_b32_e32 v1, 24, v9
	v_cmp_ne_u32_e32 vcc, s26, v1
	v_bfrev_b32_e32 v28, 1
	s_and_saveexec_b64 s[12:13], vcc
	s_cbranch_execz .LBB251_245
; %bb.242:                              ;   in Loop: Header=BB251_222 Depth=1
	v_and_b32_e32 v22, 0x7f, v1
	v_cmp_ne_u32_e32 vcc, s27, v22
	v_mov_b32_e32 v28, 0x7c010000
	s_and_saveexec_b64 s[16:17], vcc
	s_cbranch_execz .LBB251_244
; %bb.243:                              ;   in Loop: Header=BB251_222 Depth=1
	v_and_b32_e32 v28, 7, v1
	v_ffbh_u32_e32 v37, v28
	v_min_u32_e32 v40, 32, v37
	v_subrev_u32_e32 v37, 28, v40
	v_lshlrev_b64 v[37:38], v37, v[1:2]
	v_lshrrev_b32_e32 v39, 3, v22
	v_sub_u32_e32 v38, 29, v40
	v_cmp_gt_u32_e32 vcc, 8, v22
	v_cndmask_b32_e32 v22, v39, v38, vcc
	v_lshlrev_b32_e32 v1, 8, v1
	v_lshl_add_u32 v22, v22, 10, v21
	v_and_b32_e32 v37, 7, v37
	v_and_or_b32 v1, v1, s28, v22
	v_cndmask_b32_e32 v28, v28, v37, vcc
	v_lshlrev_b32_e32 v1, 16, v1
	v_lshl_or_b32 v28, v28, 23, v1
.LBB251_244:                            ;   in Loop: Header=BB251_222 Depth=1
	s_or_b64 exec, exec, s[16:17]
.LBB251_245:                            ;   in Loop: Header=BB251_222 Depth=1
	s_or_b64 exec, exec, s[12:13]
.LBB251_246:                            ;   in Loop: Header=BB251_222 Depth=1
	s_or_b64 exec, exec, s[2:3]
	v_mov_b32_e32 v1, v10
	v_cmp_ne_u16_sdwa s[12:13], v10, v2 src0_sel:BYTE_0 src1_sel:DWORD
	s_and_saveexec_b64 s[2:3], s[12:13]
	s_cbranch_execz .LBB251_252
; %bb.247:                              ;   in Loop: Header=BB251_222 Depth=1
	v_cmp_ne_u16_sdwa s[16:17], v10, s26 src0_sel:BYTE_0 src1_sel:DWORD
	v_mov_b32_e32 v27, 0x8000
	s_and_saveexec_b64 s[12:13], s[16:17]
	s_cbranch_execz .LBB251_251
; %bb.248:                              ;   in Loop: Header=BB251_222 Depth=1
	v_and_b32_e32 v22, 0x7f, v10
	v_cmp_ne_u32_e32 vcc, s27, v22
	v_mov_b32_e32 v27, 0x7c01
	s_and_saveexec_b64 s[16:17], vcc
	s_cbranch_execz .LBB251_250
; %bb.249:                              ;   in Loop: Header=BB251_222 Depth=1
	v_and_b32_e32 v27, 7, v10
	v_ffbh_u32_e32 v37, v27
	v_min_u32_e32 v40, 32, v37
	v_subrev_u32_e32 v37, 28, v40
	v_lshlrev_b64 v[37:38], v37, v[1:2]
	v_lshrrev_b32_e32 v39, 3, v22
	v_sub_u32_e32 v38, 29, v40
	v_cmp_gt_u32_e32 vcc, 8, v22
	v_cndmask_b32_e32 v22, v39, v38, vcc
	v_lshl_add_u32 v22, v22, 10, v21
	v_lshlrev_b32_e32 v38, 8, v10
	v_and_b32_e32 v37, 7, v37
	v_and_b32_e32 v22, 0xfc00, v22
	v_cndmask_b32_e32 v27, v27, v37, vcc
	v_and_or_b32 v22, v38, s28, v22
	v_lshl_or_b32 v27, v27, 7, v22
.LBB251_250:                            ;   in Loop: Header=BB251_222 Depth=1
	s_or_b64 exec, exec, s[16:17]
.LBB251_251:                            ;   in Loop: Header=BB251_222 Depth=1
	s_or_b64 exec, exec, s[12:13]
.LBB251_252:                            ;   in Loop: Header=BB251_222 Depth=1
	s_or_b64 exec, exec, s[2:3]
	v_lshrrev_b16_e32 v1, 8, v1
	v_cmp_ne_u16_e32 vcc, 0, v1
	v_mov_b32_e32 v37, 0
	v_mov_b32_e32 v38, 0
	s_and_saveexec_b64 s[2:3], vcc
	s_cbranch_execz .LBB251_258
; %bb.253:                              ;   in Loop: Header=BB251_222 Depth=1
	v_cmp_ne_u16_e32 vcc, s26, v1
	v_bfrev_b32_e32 v38, 1
	s_and_saveexec_b64 s[12:13], vcc
	s_cbranch_execz .LBB251_257
; %bb.254:                              ;   in Loop: Header=BB251_222 Depth=1
	v_and_b32_e32 v22, 0x7f, v1
	v_cmp_ne_u32_e32 vcc, s27, v22
	v_mov_b32_e32 v38, 0x7c010000
	s_and_saveexec_b64 s[16:17], vcc
	s_cbranch_execz .LBB251_256
; %bb.255:                              ;   in Loop: Header=BB251_222 Depth=1
	v_and_b32_e32 v40, 7, v1
	v_ffbh_u32_e32 v38, v40
	v_min_u32_e32 v42, 32, v38
	v_subrev_u32_e32 v38, 28, v42
	v_lshlrev_b64 v[38:39], v38, v[1:2]
	v_lshrrev_b32_e32 v41, 3, v22
	v_sub_u32_e32 v39, 29, v42
	v_cmp_gt_u32_e32 vcc, 8, v22
	v_cndmask_b32_e32 v22, v41, v39, vcc
	v_lshlrev_b32_e32 v1, 8, v1
	v_lshl_add_u32 v22, v22, 10, v21
	v_and_b32_e32 v38, 7, v38
	v_and_or_b32 v1, v1, s28, v22
	v_cndmask_b32_e32 v38, v40, v38, vcc
	v_lshlrev_b32_e32 v1, 16, v1
	v_lshl_or_b32 v38, v38, 23, v1
.LBB251_256:                            ;   in Loop: Header=BB251_222 Depth=1
	s_or_b64 exec, exec, s[16:17]
.LBB251_257:                            ;   in Loop: Header=BB251_222 Depth=1
	s_or_b64 exec, exec, s[12:13]
.LBB251_258:                            ;   in Loop: Header=BB251_222 Depth=1
	s_or_b64 exec, exec, s[2:3]
	v_lshrrev_b32_e32 v1, 16, v10
	v_cmp_ne_u16_sdwa s[12:13], v1, v2 src0_sel:BYTE_0 src1_sel:DWORD
	s_and_saveexec_b64 s[2:3], s[12:13]
	s_cbranch_execz .LBB251_264
; %bb.259:                              ;   in Loop: Header=BB251_222 Depth=1
	v_cmp_ne_u16_sdwa s[16:17], v1, s26 src0_sel:BYTE_0 src1_sel:DWORD
	v_mov_b32_e32 v37, 0x8000
	s_and_saveexec_b64 s[12:13], s[16:17]
	s_cbranch_execz .LBB251_263
; %bb.260:                              ;   in Loop: Header=BB251_222 Depth=1
	v_bfe_u32 v22, v10, 16, 7
	v_cmp_ne_u32_e32 vcc, s27, v22
	v_mov_b32_e32 v37, 0x7c01
	s_and_saveexec_b64 s[16:17], vcc
	s_cbranch_execz .LBB251_262
; %bb.261:                              ;   in Loop: Header=BB251_222 Depth=1
	v_and_b32_e32 v37, 7, v1
	v_ffbh_u32_e32 v39, v37
	v_min_u32_e32 v42, 32, v39
	v_subrev_u32_e32 v39, 28, v42
	v_lshlrev_b64 v[39:40], v39, v[1:2]
	v_lshrrev_b32_e32 v41, 3, v22
	v_sub_u32_e32 v40, 29, v42
	v_cmp_gt_u32_e32 vcc, 8, v22
	v_cndmask_b32_e32 v22, v41, v40, vcc
	v_lshl_add_u32 v22, v22, 10, v21
	v_lshlrev_b32_e32 v1, 8, v1
	v_and_b32_e32 v39, 7, v39
	v_and_b32_e32 v22, 0xfc00, v22
	v_cndmask_b32_e32 v37, v37, v39, vcc
	v_and_or_b32 v1, v1, s28, v22
	v_lshl_or_b32 v37, v37, 7, v1
.LBB251_262:                            ;   in Loop: Header=BB251_222 Depth=1
	s_or_b64 exec, exec, s[16:17]
.LBB251_263:                            ;   in Loop: Header=BB251_222 Depth=1
	s_or_b64 exec, exec, s[12:13]
.LBB251_264:                            ;   in Loop: Header=BB251_222 Depth=1
	s_or_b64 exec, exec, s[2:3]
	v_cmp_lt_u64_e32 vcc, s[6:7], v[9:10]
	v_mov_b32_e32 v39, 0
	s_and_saveexec_b64 s[2:3], vcc
	s_cbranch_execz .LBB251_270
; %bb.265:                              ;   in Loop: Header=BB251_222 Depth=1
	v_lshrrev_b32_e32 v1, 24, v10
	v_cmp_ne_u32_e32 vcc, s26, v1
	v_bfrev_b32_e32 v39, 1
	s_and_saveexec_b64 s[12:13], vcc
	s_cbranch_execz .LBB251_269
; %bb.266:                              ;   in Loop: Header=BB251_222 Depth=1
	v_and_b32_e32 v9, 0x7f, v1
	v_cmp_ne_u32_e32 vcc, s27, v9
	v_mov_b32_e32 v39, 0x7c010000
	s_and_saveexec_b64 s[16:17], vcc
	s_cbranch_execz .LBB251_268
; %bb.267:                              ;   in Loop: Header=BB251_222 Depth=1
	v_and_b32_e32 v10, 7, v1
	v_ffbh_u32_e32 v39, v10
	v_min_u32_e32 v41, 32, v39
	v_subrev_u32_e32 v39, 28, v41
	v_lshlrev_b64 v[39:40], v39, v[1:2]
	v_lshrrev_b32_e32 v22, 3, v9
	v_sub_u32_e32 v40, 29, v41
	v_cmp_gt_u32_e32 vcc, 8, v9
	v_cndmask_b32_e32 v9, v22, v40, vcc
	v_lshlrev_b32_e32 v1, 8, v1
	v_lshl_add_u32 v9, v9, 10, v21
	v_and_b32_e32 v22, 7, v39
	v_and_or_b32 v1, v1, s28, v9
	v_cndmask_b32_e32 v10, v10, v22, vcc
	v_lshlrev_b32_e32 v1, 16, v1
	v_lshl_or_b32 v39, v10, 23, v1
.LBB251_268:                            ;   in Loop: Header=BB251_222 Depth=1
	s_or_b64 exec, exec, s[16:17]
.LBB251_269:                            ;   in Loop: Header=BB251_222 Depth=1
	s_or_b64 exec, exec, s[12:13]
.LBB251_270:                            ;   in Loop: Header=BB251_222 Depth=1
	s_or_b64 exec, exec, s[2:3]
	s_waitcnt vmcnt(0)
	v_fma_mixlo_f16 v9, v23, v28, 0 op_sel:[0,1,0] op_sel_hi:[0,1,0]
	v_lshlrev_b32_e32 v40, 16, v9
	v_or_b32_e32 v9, v25, v24
	v_fma_mixlo_f16 v10, v23, v25, 0 op_sel:[0,1,0] op_sel_hi:[0,1,0]
	v_fma_mixlo_f16 v24, v23, v38, 0 op_sel:[0,1,0] op_sel_hi:[0,1,0]
	v_or_b32_e32 v1, v28, v26
	v_lshlrev_b32_e32 v42, 16, v10
	v_or_b32_e32 v10, v38, v27
	v_lshlrev_b32_e32 v38, 16, v24
	v_or_b32_e32 v24, v39, v37
	v_fma_mixlo_f16 v1, v23, v1, 0 op_sel_hi:[0,1,0]
	v_fma_mixlo_f16 v9, v23, v9, 0 op_sel_hi:[0,1,0]
	;; [unrolled: 1-line block ×4, first 2 shown]
	v_fma_mixlo_f16 v23, v23, v39, 0 op_sel:[0,1,0] op_sel_hi:[0,1,0]
	v_and_b32_e32 v41, 0xffff, v1
	v_and_b32_e32 v45, 0xffff, v9
	;; [unrolled: 1-line block ×3, first 2 shown]
	v_lshlrev_b32_e32 v39, 16, v23
	v_and_b32_e32 v44, 0xffff, v24
	v_add_u32_e32 v22, -7, v19
	v_cmp_eq_u32_e32 vcc, s30, v11
	v_or_b32_e32 v1, v40, v41
	v_or_b32_e32 v9, v42, v45
	v_or_b32_e32 v10, v38, v43
	v_or_b32_e32 v37, v39, v44
	v_add_u32_e32 v28, -6, v19
	v_add_u32_e32 v27, -5, v19
	;; [unrolled: 1-line block ×6, first 2 shown]
	s_and_saveexec_b64 s[12:13], vcc
	s_cbranch_execz .LBB251_272
; %bb.271:                              ;   in Loop: Header=BB251_222 Depth=1
	v_cmp_gt_i32_e64 s[2:3], s33, v22
	v_cndmask_b32_e64 v1, 0, v45, s[2:3]
	v_cmp_gt_i32_e64 s[2:3], s33, v28
	v_cndmask_b32_e64 v9, 0, v42, s[2:3]
	v_cmp_gt_i32_e64 s[2:3], s33, v27
	v_or_b32_e32 v9, v9, v1
	v_cndmask_b32_e64 v1, 0, v41, s[2:3]
	v_cmp_gt_i32_e64 s[2:3], s33, v26
	v_cndmask_b32_e64 v10, 0, v40, s[2:3]
	v_cmp_gt_i32_e64 s[2:3], s33, v25
	v_or_b32_e32 v1, v10, v1
	;; [unrolled: 5-line block ×3, first 2 shown]
	v_cndmask_b32_e64 v37, 0, v44, s[2:3]
	v_cmp_gt_i32_e64 s[2:3], s33, v19
	v_cndmask_b32_e64 v38, 0, v39, s[2:3]
	v_or_b32_e32 v37, v38, v37
.LBB251_272:                            ;   in Loop: Header=BB251_222 Depth=1
	s_or_b64 exec, exec, s[12:13]
	v_and_b32_e32 v29, 0xffff, v29
	v_lshl_or_b32 v29, v30, 16, v29
	v_and_b32_e32 v30, 0xffff, v31
	v_lshl_or_b32 v30, v32, 16, v30
	v_and_b32_e32 v31, 0xffff, v33
	v_and_b32_e32 v32, 0xffff, v35
	;;#ASMSTART
	v_pk_mul_f16 v9, v29, v9;

	;;#ASMEND
	;;#ASMSTART
	v_pk_mul_f16 v1, v30, v1;

	;;#ASMEND
	v_lshl_or_b32 v31, v34, 16, v31
	v_lshl_or_b32 v32, v36, 16, v32
	;;#ASMSTART
	v_pk_mul_f16 v10, v31, v10;

	;;#ASMEND
	;;#ASMSTART
	v_pk_mul_f16 v33, v32, v37;

	;;#ASMEND
	;;#ASMSTART
	v_pk_add_f16 v1, v9, v1;

	;;#ASMEND
	;;#ASMSTART
	v_pk_add_f16 v1, v1, v10;
	;; [unrolled: 4-line block ×3, first 2 shown]

	;;#ASMEND
	v_lshrrev_b32_e32 v9, 16, v1
	v_and_b32_e32 v1, 0xffff, v1
	;;#ASMSTART
	v_cvt_f32_f16 v33, v1;
	;;#ASMEND
	;;#ASMSTART
	v_cvt_f32_f16 v34, v9;
	;;#ASMEND
	global_load_dwordx2 v[9:10], v[7:8], off offset:512
	v_mov_b32_e32 v36, 0
	global_load_dword v35, v36, s[14:15]
	v_mov_b32_e32 v37, 0
	s_waitcnt vmcnt(1)
	v_cmp_ne_u16_sdwa s[2:3], v9, v2 src0_sel:BYTE_0 src1_sel:DWORD
	s_and_saveexec_b64 s[12:13], s[2:3]
	s_cbranch_execz .LBB251_278
; %bb.273:                              ;   in Loop: Header=BB251_222 Depth=1
	v_cmp_ne_u16_sdwa s[2:3], v9, s26 src0_sel:BYTE_0 src1_sel:DWORD
	v_mov_b32_e32 v37, 0x8000
	s_and_saveexec_b64 s[16:17], s[2:3]
	s_cbranch_execz .LBB251_277
; %bb.274:                              ;   in Loop: Header=BB251_222 Depth=1
	v_and_b32_e32 v1, 0x7f, v9
	v_cmp_ne_u32_e64 s[2:3], s27, v1
	v_mov_b32_e32 v37, 0x7c01
	s_and_saveexec_b64 s[18:19], s[2:3]
	s_cbranch_execz .LBB251_276
; %bb.275:                              ;   in Loop: Header=BB251_222 Depth=1
	v_and_b32_e32 v39, 7, v9
	v_ffbh_u32_e32 v37, v39
	v_min_u32_e32 v41, 32, v37
	v_subrev_u32_e32 v37, 28, v41
	v_lshlrev_b64 v[37:38], v37, v[9:10]
	v_lshrrev_b32_e32 v40, 3, v1
	v_sub_u32_e32 v38, 29, v41
	v_cmp_gt_u32_e64 s[2:3], 8, v1
	v_cndmask_b32_e64 v1, v40, v38, s[2:3]
	v_lshl_add_u32 v1, v1, 10, v21
	v_lshlrev_b32_e32 v38, 8, v9
	v_and_b32_e32 v37, 7, v37
	v_and_b32_e32 v1, 0xfc00, v1
	v_cndmask_b32_e64 v37, v39, v37, s[2:3]
	v_and_or_b32 v1, v38, s28, v1
	v_lshl_or_b32 v37, v37, 7, v1
.LBB251_276:                            ;   in Loop: Header=BB251_222 Depth=1
	s_or_b64 exec, exec, s[18:19]
.LBB251_277:                            ;   in Loop: Header=BB251_222 Depth=1
	s_or_b64 exec, exec, s[16:17]
.LBB251_278:                            ;   in Loop: Header=BB251_222 Depth=1
	s_or_b64 exec, exec, s[12:13]
	v_lshrrev_b16_e32 v1, 8, v9
	v_cmp_ne_u16_e64 s[2:3], 0, v1
	s_and_saveexec_b64 s[12:13], s[2:3]
	s_cbranch_execz .LBB251_284
; %bb.279:                              ;   in Loop: Header=BB251_222 Depth=1
	v_cmp_ne_u16_e64 s[2:3], s26, v1
	v_bfrev_b32_e32 v36, 1
	s_and_saveexec_b64 s[16:17], s[2:3]
	s_cbranch_execz .LBB251_283
; %bb.280:                              ;   in Loop: Header=BB251_222 Depth=1
	v_and_b32_e32 v38, 0x7f, v1
	v_cmp_ne_u32_e64 s[2:3], s27, v38
	v_mov_b32_e32 v36, 0x7c010000
	s_and_saveexec_b64 s[18:19], s[2:3]
	s_cbranch_execz .LBB251_282
; %bb.281:                              ;   in Loop: Header=BB251_222 Depth=1
	v_and_b32_e32 v36, 7, v1
	v_ffbh_u32_e32 v39, v36
	v_min_u32_e32 v42, 32, v39
	v_subrev_u32_e32 v39, 28, v42
	v_lshlrev_b64 v[39:40], v39, v[1:2]
	v_lshrrev_b32_e32 v41, 3, v38
	v_sub_u32_e32 v40, 29, v42
	v_cmp_gt_u32_e64 s[2:3], 8, v38
	v_cndmask_b32_e64 v38, v41, v40, s[2:3]
	v_lshlrev_b32_e32 v1, 8, v1
	v_lshl_add_u32 v38, v38, 10, v21
	v_and_b32_e32 v39, 7, v39
	v_and_or_b32 v1, v1, s28, v38
	v_cndmask_b32_e64 v36, v36, v39, s[2:3]
	v_lshlrev_b32_e32 v1, 16, v1
	v_lshl_or_b32 v36, v36, 23, v1
.LBB251_282:                            ;   in Loop: Header=BB251_222 Depth=1
	s_or_b64 exec, exec, s[18:19]
.LBB251_283:                            ;   in Loop: Header=BB251_222 Depth=1
	s_or_b64 exec, exec, s[16:17]
.LBB251_284:                            ;   in Loop: Header=BB251_222 Depth=1
	s_or_b64 exec, exec, s[12:13]
	v_lshrrev_b32_e32 v1, 16, v9
	v_cmp_ne_u16_sdwa s[2:3], v1, v2 src0_sel:BYTE_0 src1_sel:DWORD
	v_mov_b32_e32 v38, 0
	v_mov_b32_e32 v39, 0
	s_and_saveexec_b64 s[12:13], s[2:3]
	s_cbranch_execz .LBB251_290
; %bb.285:                              ;   in Loop: Header=BB251_222 Depth=1
	v_cmp_ne_u16_sdwa s[2:3], v1, s26 src0_sel:BYTE_0 src1_sel:DWORD
	v_mov_b32_e32 v39, 0x8000
	s_and_saveexec_b64 s[16:17], s[2:3]
	s_cbranch_execz .LBB251_289
; %bb.286:                              ;   in Loop: Header=BB251_222 Depth=1
	v_bfe_u32 v40, v9, 16, 7
	v_cmp_ne_u32_e64 s[2:3], s27, v40
	v_mov_b32_e32 v39, 0x7c01
	s_and_saveexec_b64 s[18:19], s[2:3]
	s_cbranch_execz .LBB251_288
; %bb.287:                              ;   in Loop: Header=BB251_222 Depth=1
	v_and_b32_e32 v39, 7, v1
	v_ffbh_u32_e32 v41, v39
	v_min_u32_e32 v44, 32, v41
	v_subrev_u32_e32 v41, 28, v44
	v_lshlrev_b64 v[41:42], v41, v[1:2]
	v_lshrrev_b32_e32 v43, 3, v40
	v_sub_u32_e32 v42, 29, v44
	v_cmp_gt_u32_e64 s[2:3], 8, v40
	v_cndmask_b32_e64 v40, v43, v42, s[2:3]
	v_lshl_add_u32 v40, v40, 10, v21
	v_lshlrev_b32_e32 v1, 8, v1
	v_and_b32_e32 v41, 7, v41
	v_and_b32_e32 v40, 0xfc00, v40
	v_cndmask_b32_e64 v39, v39, v41, s[2:3]
	v_and_or_b32 v1, v1, s28, v40
	v_lshl_or_b32 v39, v39, 7, v1
.LBB251_288:                            ;   in Loop: Header=BB251_222 Depth=1
	s_or_b64 exec, exec, s[18:19]
.LBB251_289:                            ;   in Loop: Header=BB251_222 Depth=1
	s_or_b64 exec, exec, s[16:17]
.LBB251_290:                            ;   in Loop: Header=BB251_222 Depth=1
	s_or_b64 exec, exec, s[12:13]
	v_cmp_lt_u32_e64 s[2:3], s7, v9
	s_and_saveexec_b64 s[12:13], s[2:3]
	s_cbranch_execz .LBB251_296
; %bb.291:                              ;   in Loop: Header=BB251_222 Depth=1
	v_lshrrev_b32_e32 v1, 24, v9
	v_cmp_ne_u32_e64 s[2:3], s26, v1
	v_bfrev_b32_e32 v38, 1
	s_and_saveexec_b64 s[16:17], s[2:3]
	s_cbranch_execz .LBB251_295
; %bb.292:                              ;   in Loop: Header=BB251_222 Depth=1
	v_and_b32_e32 v40, 0x7f, v1
	v_cmp_ne_u32_e64 s[2:3], s27, v40
	v_mov_b32_e32 v38, 0x7c010000
	s_and_saveexec_b64 s[18:19], s[2:3]
	s_cbranch_execz .LBB251_294
; %bb.293:                              ;   in Loop: Header=BB251_222 Depth=1
	v_and_b32_e32 v38, 7, v1
	v_ffbh_u32_e32 v41, v38
	v_min_u32_e32 v44, 32, v41
	v_subrev_u32_e32 v41, 28, v44
	v_lshlrev_b64 v[41:42], v41, v[1:2]
	v_lshrrev_b32_e32 v43, 3, v40
	v_sub_u32_e32 v42, 29, v44
	v_cmp_gt_u32_e64 s[2:3], 8, v40
	v_cndmask_b32_e64 v40, v43, v42, s[2:3]
	v_lshlrev_b32_e32 v1, 8, v1
	v_lshl_add_u32 v40, v40, 10, v21
	v_and_b32_e32 v41, 7, v41
	v_and_or_b32 v1, v1, s28, v40
	v_cndmask_b32_e64 v38, v38, v41, s[2:3]
	v_lshlrev_b32_e32 v1, 16, v1
	v_lshl_or_b32 v38, v38, 23, v1
.LBB251_294:                            ;   in Loop: Header=BB251_222 Depth=1
	s_or_b64 exec, exec, s[18:19]
.LBB251_295:                            ;   in Loop: Header=BB251_222 Depth=1
	s_or_b64 exec, exec, s[16:17]
.LBB251_296:                            ;   in Loop: Header=BB251_222 Depth=1
	s_or_b64 exec, exec, s[12:13]
	v_mov_b32_e32 v1, v10
	v_cmp_ne_u16_sdwa s[2:3], v10, v2 src0_sel:BYTE_0 src1_sel:DWORD
	v_mov_b32_e32 v40, 0
	v_mov_b32_e32 v41, 0
	s_and_saveexec_b64 s[12:13], s[2:3]
	s_cbranch_execz .LBB251_302
; %bb.297:                              ;   in Loop: Header=BB251_222 Depth=1
	v_cmp_ne_u16_sdwa s[2:3], v10, s26 src0_sel:BYTE_0 src1_sel:DWORD
	v_mov_b32_e32 v41, 0x8000
	s_and_saveexec_b64 s[16:17], s[2:3]
	s_cbranch_execz .LBB251_301
; %bb.298:                              ;   in Loop: Header=BB251_222 Depth=1
	v_and_b32_e32 v42, 0x7f, v10
	v_cmp_ne_u32_e64 s[2:3], s27, v42
	v_mov_b32_e32 v41, 0x7c01
	s_and_saveexec_b64 s[18:19], s[2:3]
	s_cbranch_execz .LBB251_300
; %bb.299:                              ;   in Loop: Header=BB251_222 Depth=1
	v_and_b32_e32 v41, 7, v10
	v_ffbh_u32_e32 v43, v41
	v_min_u32_e32 v46, 32, v43
	v_subrev_u32_e32 v43, 28, v46
	v_lshlrev_b64 v[43:44], v43, v[1:2]
	v_lshrrev_b32_e32 v45, 3, v42
	v_sub_u32_e32 v44, 29, v46
	v_cmp_gt_u32_e64 s[2:3], 8, v42
	v_cndmask_b32_e64 v42, v45, v44, s[2:3]
	v_lshl_add_u32 v42, v42, 10, v21
	v_lshlrev_b32_e32 v44, 8, v10
	v_and_b32_e32 v43, 7, v43
	v_and_b32_e32 v42, 0xfc00, v42
	v_cndmask_b32_e64 v41, v41, v43, s[2:3]
	v_and_or_b32 v42, v44, s28, v42
	v_lshl_or_b32 v41, v41, 7, v42
.LBB251_300:                            ;   in Loop: Header=BB251_222 Depth=1
	s_or_b64 exec, exec, s[18:19]
.LBB251_301:                            ;   in Loop: Header=BB251_222 Depth=1
	s_or_b64 exec, exec, s[16:17]
.LBB251_302:                            ;   in Loop: Header=BB251_222 Depth=1
	s_or_b64 exec, exec, s[12:13]
	v_lshrrev_b16_e32 v1, 8, v1
	v_cmp_ne_u16_e64 s[2:3], 0, v1
	v_mov_b32_e32 v42, 0
	s_and_saveexec_b64 s[12:13], s[2:3]
	s_cbranch_execz .LBB251_308
; %bb.303:                              ;   in Loop: Header=BB251_222 Depth=1
	v_cmp_ne_u16_e64 s[2:3], s26, v1
	v_bfrev_b32_e32 v42, 1
	s_and_saveexec_b64 s[16:17], s[2:3]
	s_cbranch_execz .LBB251_307
; %bb.304:                              ;   in Loop: Header=BB251_222 Depth=1
	v_and_b32_e32 v43, 0x7f, v1
	v_cmp_ne_u32_e64 s[2:3], s27, v43
	v_mov_b32_e32 v42, 0x7c010000
	s_and_saveexec_b64 s[18:19], s[2:3]
	s_cbranch_execz .LBB251_306
; %bb.305:                              ;   in Loop: Header=BB251_222 Depth=1
	v_and_b32_e32 v42, 7, v1
	v_ffbh_u32_e32 v44, v42
	v_min_u32_e32 v47, 32, v44
	v_subrev_u32_e32 v44, 28, v47
	v_lshlrev_b64 v[44:45], v44, v[1:2]
	v_lshrrev_b32_e32 v46, 3, v43
	v_sub_u32_e32 v45, 29, v47
	v_cmp_gt_u32_e64 s[2:3], 8, v43
	v_cndmask_b32_e64 v43, v46, v45, s[2:3]
	v_lshlrev_b32_e32 v1, 8, v1
	v_lshl_add_u32 v43, v43, 10, v21
	v_and_b32_e32 v44, 7, v44
	v_and_or_b32 v1, v1, s28, v43
	v_cndmask_b32_e64 v42, v42, v44, s[2:3]
	v_lshlrev_b32_e32 v1, 16, v1
	v_lshl_or_b32 v42, v42, 23, v1
.LBB251_306:                            ;   in Loop: Header=BB251_222 Depth=1
	s_or_b64 exec, exec, s[18:19]
.LBB251_307:                            ;   in Loop: Header=BB251_222 Depth=1
	s_or_b64 exec, exec, s[16:17]
.LBB251_308:                            ;   in Loop: Header=BB251_222 Depth=1
	s_or_b64 exec, exec, s[12:13]
	v_lshrrev_b32_e32 v1, 16, v10
	v_cmp_ne_u16_sdwa s[2:3], v1, v2 src0_sel:BYTE_0 src1_sel:DWORD
	s_and_saveexec_b64 s[12:13], s[2:3]
	s_cbranch_execz .LBB251_314
; %bb.309:                              ;   in Loop: Header=BB251_222 Depth=1
	v_cmp_ne_u16_sdwa s[2:3], v1, s26 src0_sel:BYTE_0 src1_sel:DWORD
	v_mov_b32_e32 v40, 0x8000
	s_and_saveexec_b64 s[16:17], s[2:3]
	s_cbranch_execz .LBB251_313
; %bb.310:                              ;   in Loop: Header=BB251_222 Depth=1
	v_bfe_u32 v43, v10, 16, 7
	v_cmp_ne_u32_e64 s[2:3], s27, v43
	v_mov_b32_e32 v40, 0x7c01
	s_and_saveexec_b64 s[18:19], s[2:3]
	s_cbranch_execz .LBB251_312
; %bb.311:                              ;   in Loop: Header=BB251_222 Depth=1
	v_and_b32_e32 v40, 7, v1
	v_ffbh_u32_e32 v44, v40
	v_min_u32_e32 v47, 32, v44
	v_subrev_u32_e32 v44, 28, v47
	v_lshlrev_b64 v[44:45], v44, v[1:2]
	v_lshrrev_b32_e32 v46, 3, v43
	v_sub_u32_e32 v45, 29, v47
	v_cmp_gt_u32_e64 s[2:3], 8, v43
	v_cndmask_b32_e64 v43, v46, v45, s[2:3]
	v_lshl_add_u32 v43, v43, 10, v21
	v_lshlrev_b32_e32 v1, 8, v1
	v_and_b32_e32 v44, 7, v44
	v_and_b32_e32 v43, 0xfc00, v43
	v_cndmask_b32_e64 v40, v40, v44, s[2:3]
	v_and_or_b32 v1, v1, s28, v43
	v_lshl_or_b32 v40, v40, 7, v1
.LBB251_312:                            ;   in Loop: Header=BB251_222 Depth=1
	s_or_b64 exec, exec, s[18:19]
.LBB251_313:                            ;   in Loop: Header=BB251_222 Depth=1
	s_or_b64 exec, exec, s[16:17]
.LBB251_314:                            ;   in Loop: Header=BB251_222 Depth=1
	s_or_b64 exec, exec, s[12:13]
	v_cmp_lt_u64_e64 s[2:3], s[6:7], v[9:10]
	v_mov_b32_e32 v9, 0
	s_and_saveexec_b64 s[12:13], s[2:3]
	s_cbranch_execz .LBB251_320
; %bb.315:                              ;   in Loop: Header=BB251_222 Depth=1
	v_lshrrev_b32_e32 v1, 24, v10
	v_cmp_ne_u32_e64 s[2:3], s26, v1
	v_bfrev_b32_e32 v9, 1
	s_and_saveexec_b64 s[16:17], s[2:3]
	s_cbranch_execz .LBB251_319
; %bb.316:                              ;   in Loop: Header=BB251_222 Depth=1
	v_and_b32_e32 v10, 0x7f, v1
	v_cmp_ne_u32_e64 s[2:3], s27, v10
	v_mov_b32_e32 v9, 0x7c010000
	s_and_saveexec_b64 s[18:19], s[2:3]
	s_cbranch_execz .LBB251_318
; %bb.317:                              ;   in Loop: Header=BB251_222 Depth=1
	v_and_b32_e32 v9, 7, v1
	v_ffbh_u32_e32 v43, v9
	v_min_u32_e32 v46, 32, v43
	v_subrev_u32_e32 v43, 28, v46
	v_lshlrev_b64 v[43:44], v43, v[1:2]
	v_lshrrev_b32_e32 v45, 3, v10
	v_sub_u32_e32 v44, 29, v46
	v_cmp_gt_u32_e64 s[2:3], 8, v10
	v_cndmask_b32_e64 v10, v45, v44, s[2:3]
	v_lshlrev_b32_e32 v1, 8, v1
	v_lshl_add_u32 v10, v10, 10, v21
	v_and_b32_e32 v43, 7, v43
	v_and_or_b32 v1, v1, s28, v10
	v_cndmask_b32_e64 v9, v9, v43, s[2:3]
	v_lshlrev_b32_e32 v1, 16, v1
	v_lshl_or_b32 v9, v9, 23, v1
.LBB251_318:                            ;   in Loop: Header=BB251_222 Depth=1
	s_or_b64 exec, exec, s[18:19]
.LBB251_319:                            ;   in Loop: Header=BB251_222 Depth=1
	s_or_b64 exec, exec, s[16:17]
.LBB251_320:                            ;   in Loop: Header=BB251_222 Depth=1
	s_or_b64 exec, exec, s[12:13]
	s_waitcnt vmcnt(0)
	v_fma_mixlo_f16 v10, v35, v38, 0 op_sel:[0,1,0] op_sel_hi:[0,1,0]
	v_or_b32_e32 v1, v38, v39
	v_lshlrev_b32_e32 v38, 16, v10
	v_or_b32_e32 v10, v36, v37
	v_fma_mixlo_f16 v36, v35, v36, 0 op_sel:[0,1,0] op_sel_hi:[0,1,0]
	v_lshlrev_b32_e32 v43, 16, v36
	v_or_b32_e32 v36, v42, v41
	v_or_b32_e32 v40, v9, v40
	v_fma_mixlo_f16 v1, v35, v1, 0 op_sel_hi:[0,1,0]
	v_fma_mixlo_f16 v10, v35, v10, 0 op_sel_hi:[0,1,0]
	v_fma_mixlo_f16 v37, v35, v42, 0 op_sel:[0,1,0] op_sel_hi:[0,1,0]
	v_fma_mixlo_f16 v36, v35, v36, 0 op_sel_hi:[0,1,0]
	v_fma_mixlo_f16 v40, v35, v40, 0 op_sel_hi:[0,1,0]
	v_fma_mixlo_f16 v9, v35, v9, 0 op_sel:[0,1,0] op_sel_hi:[0,1,0]
	v_and_b32_e32 v39, 0xffff, v1
	v_and_b32_e32 v44, 0xffff, v10
	v_lshlrev_b32_e32 v37, 16, v37
	v_and_b32_e32 v41, 0xffff, v36
	v_lshlrev_b32_e32 v9, 16, v9
	v_and_b32_e32 v35, 0xffff, v40
	v_or_b32_e32 v1, v38, v39
	v_or_b32_e32 v10, v43, v44
	;; [unrolled: 1-line block ×4, first 2 shown]
	s_and_saveexec_b64 s[12:13], vcc
	s_cbranch_execz .LBB251_322
; %bb.321:                              ;   in Loop: Header=BB251_222 Depth=1
	v_cmp_gt_i32_e64 s[2:3], s33, v22
	v_cndmask_b32_e64 v1, 0, v44, s[2:3]
	v_cmp_gt_i32_e64 s[2:3], s33, v28
	v_cndmask_b32_e64 v10, 0, v43, s[2:3]
	v_cmp_gt_i32_e64 s[2:3], s33, v27
	v_or_b32_e32 v10, v10, v1
	v_cndmask_b32_e64 v1, 0, v39, s[2:3]
	v_cmp_gt_i32_e64 s[2:3], s33, v26
	v_cndmask_b32_e64 v36, 0, v38, s[2:3]
	v_cmp_gt_i32_e64 s[2:3], s33, v25
	v_or_b32_e32 v1, v36, v1
	v_cndmask_b32_e64 v36, 0, v41, s[2:3]
	v_cmp_gt_i32_e64 s[2:3], s33, v24
	v_cndmask_b32_e64 v37, 0, v37, s[2:3]
	v_cmp_gt_i32_e64 s[2:3], s33, v23
	v_cndmask_b32_e64 v35, 0, v35, s[2:3]
	v_cmp_gt_i32_e64 s[2:3], s33, v19
	v_cndmask_b32_e64 v9, 0, v9, s[2:3]
	v_or_b32_e32 v36, v37, v36
	v_or_b32_e32 v40, v9, v35
.LBB251_322:                            ;   in Loop: Header=BB251_222 Depth=1
	s_or_b64 exec, exec, s[12:13]
	;;#ASMSTART
	v_pk_mul_f16 v9, v29, v10;

	;;#ASMEND
	;;#ASMSTART
	v_pk_mul_f16 v1, v30, v1;

	;;#ASMEND
	;; [unrolled: 4-line block ×4, first 2 shown]
	;;#ASMSTART
	v_pk_add_f16 v1, v9, v1;

	;;#ASMEND
	;;#ASMSTART
	v_pk_add_f16 v1, v1, v10;

	;;#ASMEND
	;; [unrolled: 4-line block ×3, first 2 shown]
	v_lshrrev_b32_e32 v9, 16, v1
	v_and_b32_e32 v1, 0xffff, v1
	;;#ASMSTART
	v_cvt_f32_f16 v35, v1;
	;;#ASMEND
	;;#ASMSTART
	v_cvt_f32_f16 v36, v9;
	;;#ASMEND
	global_load_dwordx2 v[9:10], v[7:8], off offset:1024
	v_mov_b32_e32 v38, 0
	global_load_dword v37, v38, s[14:15]
	v_mov_b32_e32 v39, 0
	s_waitcnt vmcnt(1)
	v_cmp_ne_u16_sdwa s[2:3], v9, v2 src0_sel:BYTE_0 src1_sel:DWORD
	s_and_saveexec_b64 s[12:13], s[2:3]
	s_cbranch_execz .LBB251_328
; %bb.323:                              ;   in Loop: Header=BB251_222 Depth=1
	v_cmp_ne_u16_sdwa s[2:3], v9, s26 src0_sel:BYTE_0 src1_sel:DWORD
	v_mov_b32_e32 v39, 0x8000
	s_and_saveexec_b64 s[16:17], s[2:3]
	s_cbranch_execz .LBB251_327
; %bb.324:                              ;   in Loop: Header=BB251_222 Depth=1
	v_and_b32_e32 v1, 0x7f, v9
	v_cmp_ne_u32_e64 s[2:3], s27, v1
	v_mov_b32_e32 v39, 0x7c01
	s_and_saveexec_b64 s[18:19], s[2:3]
	s_cbranch_execz .LBB251_326
; %bb.325:                              ;   in Loop: Header=BB251_222 Depth=1
	v_and_b32_e32 v41, 7, v9
	v_ffbh_u32_e32 v39, v41
	v_min_u32_e32 v43, 32, v39
	v_subrev_u32_e32 v39, 28, v43
	v_lshlrev_b64 v[39:40], v39, v[9:10]
	v_lshrrev_b32_e32 v42, 3, v1
	v_sub_u32_e32 v40, 29, v43
	v_cmp_gt_u32_e64 s[2:3], 8, v1
	v_cndmask_b32_e64 v1, v42, v40, s[2:3]
	v_lshl_add_u32 v1, v1, 10, v21
	v_lshlrev_b32_e32 v40, 8, v9
	v_and_b32_e32 v39, 7, v39
	v_and_b32_e32 v1, 0xfc00, v1
	v_cndmask_b32_e64 v39, v41, v39, s[2:3]
	v_and_or_b32 v1, v40, s28, v1
	v_lshl_or_b32 v39, v39, 7, v1
.LBB251_326:                            ;   in Loop: Header=BB251_222 Depth=1
	s_or_b64 exec, exec, s[18:19]
.LBB251_327:                            ;   in Loop: Header=BB251_222 Depth=1
	s_or_b64 exec, exec, s[16:17]
.LBB251_328:                            ;   in Loop: Header=BB251_222 Depth=1
	s_or_b64 exec, exec, s[12:13]
	v_lshrrev_b16_e32 v1, 8, v9
	v_cmp_ne_u16_e64 s[2:3], 0, v1
	s_and_saveexec_b64 s[12:13], s[2:3]
	s_cbranch_execz .LBB251_334
; %bb.329:                              ;   in Loop: Header=BB251_222 Depth=1
	v_cmp_ne_u16_e64 s[2:3], s26, v1
	v_bfrev_b32_e32 v38, 1
	s_and_saveexec_b64 s[16:17], s[2:3]
	s_cbranch_execz .LBB251_333
; %bb.330:                              ;   in Loop: Header=BB251_222 Depth=1
	v_and_b32_e32 v40, 0x7f, v1
	v_cmp_ne_u32_e64 s[2:3], s27, v40
	v_mov_b32_e32 v38, 0x7c010000
	s_and_saveexec_b64 s[18:19], s[2:3]
	s_cbranch_execz .LBB251_332
; %bb.331:                              ;   in Loop: Header=BB251_222 Depth=1
	v_and_b32_e32 v38, 7, v1
	v_ffbh_u32_e32 v41, v38
	v_min_u32_e32 v44, 32, v41
	v_subrev_u32_e32 v41, 28, v44
	v_lshlrev_b64 v[41:42], v41, v[1:2]
	v_lshrrev_b32_e32 v43, 3, v40
	v_sub_u32_e32 v42, 29, v44
	v_cmp_gt_u32_e64 s[2:3], 8, v40
	v_cndmask_b32_e64 v40, v43, v42, s[2:3]
	v_lshlrev_b32_e32 v1, 8, v1
	v_lshl_add_u32 v40, v40, 10, v21
	v_and_b32_e32 v41, 7, v41
	v_and_or_b32 v1, v1, s28, v40
	v_cndmask_b32_e64 v38, v38, v41, s[2:3]
	v_lshlrev_b32_e32 v1, 16, v1
	v_lshl_or_b32 v38, v38, 23, v1
.LBB251_332:                            ;   in Loop: Header=BB251_222 Depth=1
	s_or_b64 exec, exec, s[18:19]
.LBB251_333:                            ;   in Loop: Header=BB251_222 Depth=1
	s_or_b64 exec, exec, s[16:17]
.LBB251_334:                            ;   in Loop: Header=BB251_222 Depth=1
	s_or_b64 exec, exec, s[12:13]
	v_lshrrev_b32_e32 v1, 16, v9
	v_cmp_ne_u16_sdwa s[2:3], v1, v2 src0_sel:BYTE_0 src1_sel:DWORD
	v_mov_b32_e32 v40, 0
	v_mov_b32_e32 v41, 0
	s_and_saveexec_b64 s[12:13], s[2:3]
	s_cbranch_execz .LBB251_340
; %bb.335:                              ;   in Loop: Header=BB251_222 Depth=1
	v_cmp_ne_u16_sdwa s[2:3], v1, s26 src0_sel:BYTE_0 src1_sel:DWORD
	v_mov_b32_e32 v41, 0x8000
	s_and_saveexec_b64 s[16:17], s[2:3]
	s_cbranch_execz .LBB251_339
; %bb.336:                              ;   in Loop: Header=BB251_222 Depth=1
	v_bfe_u32 v42, v9, 16, 7
	v_cmp_ne_u32_e64 s[2:3], s27, v42
	v_mov_b32_e32 v41, 0x7c01
	s_and_saveexec_b64 s[18:19], s[2:3]
	s_cbranch_execz .LBB251_338
; %bb.337:                              ;   in Loop: Header=BB251_222 Depth=1
	v_and_b32_e32 v41, 7, v1
	v_ffbh_u32_e32 v43, v41
	v_min_u32_e32 v46, 32, v43
	v_subrev_u32_e32 v43, 28, v46
	v_lshlrev_b64 v[43:44], v43, v[1:2]
	v_lshrrev_b32_e32 v45, 3, v42
	v_sub_u32_e32 v44, 29, v46
	v_cmp_gt_u32_e64 s[2:3], 8, v42
	v_cndmask_b32_e64 v42, v45, v44, s[2:3]
	v_lshl_add_u32 v42, v42, 10, v21
	v_lshlrev_b32_e32 v1, 8, v1
	v_and_b32_e32 v43, 7, v43
	v_and_b32_e32 v42, 0xfc00, v42
	v_cndmask_b32_e64 v41, v41, v43, s[2:3]
	v_and_or_b32 v1, v1, s28, v42
	v_lshl_or_b32 v41, v41, 7, v1
.LBB251_338:                            ;   in Loop: Header=BB251_222 Depth=1
	s_or_b64 exec, exec, s[18:19]
.LBB251_339:                            ;   in Loop: Header=BB251_222 Depth=1
	s_or_b64 exec, exec, s[16:17]
.LBB251_340:                            ;   in Loop: Header=BB251_222 Depth=1
	s_or_b64 exec, exec, s[12:13]
	v_cmp_lt_u32_e64 s[2:3], s7, v9
	s_and_saveexec_b64 s[12:13], s[2:3]
	s_cbranch_execz .LBB251_346
; %bb.341:                              ;   in Loop: Header=BB251_222 Depth=1
	v_lshrrev_b32_e32 v1, 24, v9
	v_cmp_ne_u32_e64 s[2:3], s26, v1
	v_bfrev_b32_e32 v40, 1
	s_and_saveexec_b64 s[16:17], s[2:3]
	s_cbranch_execz .LBB251_345
; %bb.342:                              ;   in Loop: Header=BB251_222 Depth=1
	v_and_b32_e32 v42, 0x7f, v1
	v_cmp_ne_u32_e64 s[2:3], s27, v42
	v_mov_b32_e32 v40, 0x7c010000
	s_and_saveexec_b64 s[18:19], s[2:3]
	s_cbranch_execz .LBB251_344
; %bb.343:                              ;   in Loop: Header=BB251_222 Depth=1
	v_and_b32_e32 v40, 7, v1
	v_ffbh_u32_e32 v43, v40
	v_min_u32_e32 v46, 32, v43
	v_subrev_u32_e32 v43, 28, v46
	v_lshlrev_b64 v[43:44], v43, v[1:2]
	v_lshrrev_b32_e32 v45, 3, v42
	v_sub_u32_e32 v44, 29, v46
	v_cmp_gt_u32_e64 s[2:3], 8, v42
	v_cndmask_b32_e64 v42, v45, v44, s[2:3]
	v_lshlrev_b32_e32 v1, 8, v1
	v_lshl_add_u32 v42, v42, 10, v21
	v_and_b32_e32 v43, 7, v43
	v_and_or_b32 v1, v1, s28, v42
	v_cndmask_b32_e64 v40, v40, v43, s[2:3]
	v_lshlrev_b32_e32 v1, 16, v1
	v_lshl_or_b32 v40, v40, 23, v1
.LBB251_344:                            ;   in Loop: Header=BB251_222 Depth=1
	s_or_b64 exec, exec, s[18:19]
.LBB251_345:                            ;   in Loop: Header=BB251_222 Depth=1
	s_or_b64 exec, exec, s[16:17]
.LBB251_346:                            ;   in Loop: Header=BB251_222 Depth=1
	s_or_b64 exec, exec, s[12:13]
	v_mov_b32_e32 v1, v10
	v_cmp_ne_u16_sdwa s[2:3], v10, v2 src0_sel:BYTE_0 src1_sel:DWORD
	v_mov_b32_e32 v42, 0
	v_mov_b32_e32 v43, 0
	s_and_saveexec_b64 s[12:13], s[2:3]
	s_cbranch_execz .LBB251_352
; %bb.347:                              ;   in Loop: Header=BB251_222 Depth=1
	v_cmp_ne_u16_sdwa s[2:3], v10, s26 src0_sel:BYTE_0 src1_sel:DWORD
	v_mov_b32_e32 v43, 0x8000
	s_and_saveexec_b64 s[16:17], s[2:3]
	s_cbranch_execz .LBB251_351
; %bb.348:                              ;   in Loop: Header=BB251_222 Depth=1
	v_and_b32_e32 v44, 0x7f, v10
	v_cmp_ne_u32_e64 s[2:3], s27, v44
	v_mov_b32_e32 v43, 0x7c01
	s_and_saveexec_b64 s[18:19], s[2:3]
	s_cbranch_execz .LBB251_350
; %bb.349:                              ;   in Loop: Header=BB251_222 Depth=1
	v_and_b32_e32 v43, 7, v10
	v_ffbh_u32_e32 v45, v43
	v_min_u32_e32 v48, 32, v45
	v_subrev_u32_e32 v45, 28, v48
	v_lshlrev_b64 v[45:46], v45, v[1:2]
	v_lshrrev_b32_e32 v47, 3, v44
	v_sub_u32_e32 v46, 29, v48
	v_cmp_gt_u32_e64 s[2:3], 8, v44
	v_cndmask_b32_e64 v44, v47, v46, s[2:3]
	v_lshl_add_u32 v44, v44, 10, v21
	v_lshlrev_b32_e32 v46, 8, v10
	v_and_b32_e32 v45, 7, v45
	v_and_b32_e32 v44, 0xfc00, v44
	v_cndmask_b32_e64 v43, v43, v45, s[2:3]
	v_and_or_b32 v44, v46, s28, v44
	v_lshl_or_b32 v43, v43, 7, v44
.LBB251_350:                            ;   in Loop: Header=BB251_222 Depth=1
	s_or_b64 exec, exec, s[18:19]
.LBB251_351:                            ;   in Loop: Header=BB251_222 Depth=1
	s_or_b64 exec, exec, s[16:17]
.LBB251_352:                            ;   in Loop: Header=BB251_222 Depth=1
	s_or_b64 exec, exec, s[12:13]
	v_lshrrev_b16_e32 v1, 8, v1
	v_cmp_ne_u16_e64 s[2:3], 0, v1
	v_mov_b32_e32 v44, 0
	s_and_saveexec_b64 s[12:13], s[2:3]
	s_cbranch_execz .LBB251_358
; %bb.353:                              ;   in Loop: Header=BB251_222 Depth=1
	v_cmp_ne_u16_e64 s[2:3], s26, v1
	v_bfrev_b32_e32 v44, 1
	s_and_saveexec_b64 s[16:17], s[2:3]
	s_cbranch_execz .LBB251_357
; %bb.354:                              ;   in Loop: Header=BB251_222 Depth=1
	v_and_b32_e32 v45, 0x7f, v1
	v_cmp_ne_u32_e64 s[2:3], s27, v45
	v_mov_b32_e32 v44, 0x7c010000
	s_and_saveexec_b64 s[18:19], s[2:3]
	s_cbranch_execz .LBB251_356
; %bb.355:                              ;   in Loop: Header=BB251_222 Depth=1
	v_and_b32_e32 v44, 7, v1
	v_ffbh_u32_e32 v46, v44
	v_min_u32_e32 v49, 32, v46
	v_subrev_u32_e32 v46, 28, v49
	v_lshlrev_b64 v[46:47], v46, v[1:2]
	v_lshrrev_b32_e32 v48, 3, v45
	v_sub_u32_e32 v47, 29, v49
	v_cmp_gt_u32_e64 s[2:3], 8, v45
	v_cndmask_b32_e64 v45, v48, v47, s[2:3]
	v_lshlrev_b32_e32 v1, 8, v1
	v_lshl_add_u32 v45, v45, 10, v21
	v_and_b32_e32 v46, 7, v46
	v_and_or_b32 v1, v1, s28, v45
	v_cndmask_b32_e64 v44, v44, v46, s[2:3]
	v_lshlrev_b32_e32 v1, 16, v1
	v_lshl_or_b32 v44, v44, 23, v1
.LBB251_356:                            ;   in Loop: Header=BB251_222 Depth=1
	s_or_b64 exec, exec, s[18:19]
.LBB251_357:                            ;   in Loop: Header=BB251_222 Depth=1
	s_or_b64 exec, exec, s[16:17]
.LBB251_358:                            ;   in Loop: Header=BB251_222 Depth=1
	s_or_b64 exec, exec, s[12:13]
	v_lshrrev_b32_e32 v1, 16, v10
	v_cmp_ne_u16_sdwa s[2:3], v1, v2 src0_sel:BYTE_0 src1_sel:DWORD
	s_and_saveexec_b64 s[12:13], s[2:3]
	s_cbranch_execz .LBB251_364
; %bb.359:                              ;   in Loop: Header=BB251_222 Depth=1
	v_cmp_ne_u16_sdwa s[2:3], v1, s26 src0_sel:BYTE_0 src1_sel:DWORD
	v_mov_b32_e32 v42, 0x8000
	s_and_saveexec_b64 s[16:17], s[2:3]
	s_cbranch_execz .LBB251_363
; %bb.360:                              ;   in Loop: Header=BB251_222 Depth=1
	v_bfe_u32 v45, v10, 16, 7
	v_cmp_ne_u32_e64 s[2:3], s27, v45
	v_mov_b32_e32 v42, 0x7c01
	s_and_saveexec_b64 s[18:19], s[2:3]
	s_cbranch_execz .LBB251_362
; %bb.361:                              ;   in Loop: Header=BB251_222 Depth=1
	v_and_b32_e32 v42, 7, v1
	v_ffbh_u32_e32 v46, v42
	v_min_u32_e32 v49, 32, v46
	v_subrev_u32_e32 v46, 28, v49
	v_lshlrev_b64 v[46:47], v46, v[1:2]
	v_lshrrev_b32_e32 v48, 3, v45
	v_sub_u32_e32 v47, 29, v49
	v_cmp_gt_u32_e64 s[2:3], 8, v45
	v_cndmask_b32_e64 v45, v48, v47, s[2:3]
	v_lshl_add_u32 v45, v45, 10, v21
	v_lshlrev_b32_e32 v1, 8, v1
	v_and_b32_e32 v46, 7, v46
	v_and_b32_e32 v45, 0xfc00, v45
	v_cndmask_b32_e64 v42, v42, v46, s[2:3]
	v_and_or_b32 v1, v1, s28, v45
	v_lshl_or_b32 v42, v42, 7, v1
.LBB251_362:                            ;   in Loop: Header=BB251_222 Depth=1
	s_or_b64 exec, exec, s[18:19]
.LBB251_363:                            ;   in Loop: Header=BB251_222 Depth=1
	s_or_b64 exec, exec, s[16:17]
.LBB251_364:                            ;   in Loop: Header=BB251_222 Depth=1
	s_or_b64 exec, exec, s[12:13]
	v_cmp_lt_u64_e64 s[2:3], s[6:7], v[9:10]
	v_mov_b32_e32 v9, 0
	s_and_saveexec_b64 s[12:13], s[2:3]
	s_cbranch_execz .LBB251_370
; %bb.365:                              ;   in Loop: Header=BB251_222 Depth=1
	v_lshrrev_b32_e32 v1, 24, v10
	v_cmp_ne_u32_e64 s[2:3], s26, v1
	v_bfrev_b32_e32 v9, 1
	s_and_saveexec_b64 s[16:17], s[2:3]
	s_cbranch_execz .LBB251_369
; %bb.366:                              ;   in Loop: Header=BB251_222 Depth=1
	v_and_b32_e32 v10, 0x7f, v1
	v_cmp_ne_u32_e64 s[2:3], s27, v10
	v_mov_b32_e32 v9, 0x7c010000
	s_and_saveexec_b64 s[18:19], s[2:3]
	s_cbranch_execz .LBB251_368
; %bb.367:                              ;   in Loop: Header=BB251_222 Depth=1
	v_and_b32_e32 v9, 7, v1
	v_ffbh_u32_e32 v45, v9
	v_min_u32_e32 v48, 32, v45
	v_subrev_u32_e32 v45, 28, v48
	v_lshlrev_b64 v[45:46], v45, v[1:2]
	v_lshrrev_b32_e32 v47, 3, v10
	v_sub_u32_e32 v46, 29, v48
	v_cmp_gt_u32_e64 s[2:3], 8, v10
	v_cndmask_b32_e64 v10, v47, v46, s[2:3]
	v_lshlrev_b32_e32 v1, 8, v1
	v_lshl_add_u32 v10, v10, 10, v21
	v_and_b32_e32 v45, 7, v45
	v_and_or_b32 v1, v1, s28, v10
	v_cndmask_b32_e64 v9, v9, v45, s[2:3]
	v_lshlrev_b32_e32 v1, 16, v1
	v_lshl_or_b32 v9, v9, 23, v1
.LBB251_368:                            ;   in Loop: Header=BB251_222 Depth=1
	s_or_b64 exec, exec, s[18:19]
.LBB251_369:                            ;   in Loop: Header=BB251_222 Depth=1
	s_or_b64 exec, exec, s[16:17]
.LBB251_370:                            ;   in Loop: Header=BB251_222 Depth=1
	s_or_b64 exec, exec, s[12:13]
	s_waitcnt vmcnt(0)
	v_fma_mixlo_f16 v10, v37, v40, 0 op_sel:[0,1,0] op_sel_hi:[0,1,0]
	v_or_b32_e32 v1, v40, v41
	v_lshlrev_b32_e32 v40, 16, v10
	v_or_b32_e32 v10, v38, v39
	v_fma_mixlo_f16 v38, v37, v38, 0 op_sel:[0,1,0] op_sel_hi:[0,1,0]
	v_lshlrev_b32_e32 v45, 16, v38
	v_or_b32_e32 v38, v44, v43
	v_or_b32_e32 v42, v9, v42
	v_fma_mixlo_f16 v1, v37, v1, 0 op_sel_hi:[0,1,0]
	v_fma_mixlo_f16 v10, v37, v10, 0 op_sel_hi:[0,1,0]
	v_fma_mixlo_f16 v39, v37, v44, 0 op_sel:[0,1,0] op_sel_hi:[0,1,0]
	v_fma_mixlo_f16 v38, v37, v38, 0 op_sel_hi:[0,1,0]
	v_fma_mixlo_f16 v42, v37, v42, 0 op_sel_hi:[0,1,0]
	v_fma_mixlo_f16 v9, v37, v9, 0 op_sel:[0,1,0] op_sel_hi:[0,1,0]
	v_and_b32_e32 v41, 0xffff, v1
	v_and_b32_e32 v46, 0xffff, v10
	v_lshlrev_b32_e32 v39, 16, v39
	v_and_b32_e32 v43, 0xffff, v38
	v_lshlrev_b32_e32 v9, 16, v9
	v_and_b32_e32 v37, 0xffff, v42
	v_or_b32_e32 v1, v40, v41
	v_or_b32_e32 v10, v45, v46
	;; [unrolled: 1-line block ×4, first 2 shown]
	s_and_saveexec_b64 s[12:13], vcc
	s_cbranch_execz .LBB251_372
; %bb.371:                              ;   in Loop: Header=BB251_222 Depth=1
	v_cmp_gt_i32_e64 s[2:3], s33, v22
	v_cndmask_b32_e64 v1, 0, v46, s[2:3]
	v_cmp_gt_i32_e64 s[2:3], s33, v28
	v_cndmask_b32_e64 v10, 0, v45, s[2:3]
	v_cmp_gt_i32_e64 s[2:3], s33, v27
	v_or_b32_e32 v10, v10, v1
	v_cndmask_b32_e64 v1, 0, v41, s[2:3]
	v_cmp_gt_i32_e64 s[2:3], s33, v26
	v_cndmask_b32_e64 v38, 0, v40, s[2:3]
	v_cmp_gt_i32_e64 s[2:3], s33, v25
	v_or_b32_e32 v1, v38, v1
	v_cndmask_b32_e64 v38, 0, v43, s[2:3]
	v_cmp_gt_i32_e64 s[2:3], s33, v24
	v_cndmask_b32_e64 v39, 0, v39, s[2:3]
	v_cmp_gt_i32_e64 s[2:3], s33, v23
	;; [unrolled: 2-line block ×3, first 2 shown]
	v_cndmask_b32_e64 v9, 0, v9, s[2:3]
	v_or_b32_e32 v38, v39, v38
	v_or_b32_e32 v42, v9, v37
.LBB251_372:                            ;   in Loop: Header=BB251_222 Depth=1
	s_or_b64 exec, exec, s[12:13]
	;;#ASMSTART
	v_pk_mul_f16 v9, v29, v10;

	;;#ASMEND
	;;#ASMSTART
	v_pk_mul_f16 v1, v30, v1;

	;;#ASMEND
	;; [unrolled: 4-line block ×4, first 2 shown]
	;;#ASMSTART
	v_pk_add_f16 v1, v9, v1;

	;;#ASMEND
	;;#ASMSTART
	v_pk_add_f16 v1, v1, v10;

	;;#ASMEND
	;;#ASMSTART
	v_pk_add_f16 v1, v1, v37;

	;;#ASMEND
	v_lshrrev_b32_e32 v10, 16, v1
	v_and_b32_e32 v1, 0xffff, v1
	;;#ASMSTART
	v_cvt_f32_f16 v9, v1;
	;;#ASMEND
	;;#ASMSTART
	v_cvt_f32_f16 v10, v10;
	;;#ASMEND
	global_load_dwordx2 v[7:8], v[7:8], off offset:1536
	v_mov_b32_e32 v38, 0
	global_load_dword v37, v38, s[14:15]
	v_mov_b32_e32 v39, 0
	s_waitcnt vmcnt(1)
	v_cmp_ne_u16_sdwa s[2:3], v7, v2 src0_sel:BYTE_0 src1_sel:DWORD
	s_and_saveexec_b64 s[12:13], s[2:3]
	s_cbranch_execz .LBB251_378
; %bb.373:                              ;   in Loop: Header=BB251_222 Depth=1
	v_cmp_ne_u16_sdwa s[2:3], v7, s26 src0_sel:BYTE_0 src1_sel:DWORD
	v_mov_b32_e32 v39, 0x8000
	s_and_saveexec_b64 s[16:17], s[2:3]
	s_cbranch_execz .LBB251_377
; %bb.374:                              ;   in Loop: Header=BB251_222 Depth=1
	v_and_b32_e32 v1, 0x7f, v7
	v_cmp_ne_u32_e64 s[2:3], s27, v1
	v_mov_b32_e32 v39, 0x7c01
	s_and_saveexec_b64 s[18:19], s[2:3]
	s_cbranch_execz .LBB251_376
; %bb.375:                              ;   in Loop: Header=BB251_222 Depth=1
	v_and_b32_e32 v41, 7, v7
	v_ffbh_u32_e32 v39, v41
	v_min_u32_e32 v43, 32, v39
	v_subrev_u32_e32 v39, 28, v43
	v_lshlrev_b64 v[39:40], v39, v[7:8]
	v_lshrrev_b32_e32 v42, 3, v1
	v_sub_u32_e32 v40, 29, v43
	v_cmp_gt_u32_e64 s[2:3], 8, v1
	v_cndmask_b32_e64 v1, v42, v40, s[2:3]
	v_lshl_add_u32 v1, v1, 10, v21
	v_lshlrev_b32_e32 v40, 8, v7
	v_and_b32_e32 v39, 7, v39
	v_and_b32_e32 v1, 0xfc00, v1
	v_cndmask_b32_e64 v39, v41, v39, s[2:3]
	v_and_or_b32 v1, v40, s28, v1
	v_lshl_or_b32 v39, v39, 7, v1
.LBB251_376:                            ;   in Loop: Header=BB251_222 Depth=1
	s_or_b64 exec, exec, s[18:19]
.LBB251_377:                            ;   in Loop: Header=BB251_222 Depth=1
	s_or_b64 exec, exec, s[16:17]
.LBB251_378:                            ;   in Loop: Header=BB251_222 Depth=1
	s_or_b64 exec, exec, s[12:13]
	v_lshrrev_b16_e32 v1, 8, v7
	v_cmp_ne_u16_e64 s[2:3], 0, v1
	s_and_saveexec_b64 s[12:13], s[2:3]
	s_cbranch_execz .LBB251_384
; %bb.379:                              ;   in Loop: Header=BB251_222 Depth=1
	v_cmp_ne_u16_e64 s[2:3], s26, v1
	v_bfrev_b32_e32 v38, 1
	s_and_saveexec_b64 s[16:17], s[2:3]
	s_cbranch_execz .LBB251_383
; %bb.380:                              ;   in Loop: Header=BB251_222 Depth=1
	v_and_b32_e32 v40, 0x7f, v1
	v_cmp_ne_u32_e64 s[2:3], s27, v40
	v_mov_b32_e32 v38, 0x7c010000
	s_and_saveexec_b64 s[18:19], s[2:3]
	s_cbranch_execz .LBB251_382
; %bb.381:                              ;   in Loop: Header=BB251_222 Depth=1
	v_and_b32_e32 v38, 7, v1
	v_ffbh_u32_e32 v41, v38
	v_min_u32_e32 v44, 32, v41
	v_subrev_u32_e32 v41, 28, v44
	v_lshlrev_b64 v[41:42], v41, v[1:2]
	v_lshrrev_b32_e32 v43, 3, v40
	v_sub_u32_e32 v42, 29, v44
	v_cmp_gt_u32_e64 s[2:3], 8, v40
	v_cndmask_b32_e64 v40, v43, v42, s[2:3]
	v_lshlrev_b32_e32 v1, 8, v1
	v_lshl_add_u32 v40, v40, 10, v21
	v_and_b32_e32 v41, 7, v41
	v_and_or_b32 v1, v1, s28, v40
	v_cndmask_b32_e64 v38, v38, v41, s[2:3]
	v_lshlrev_b32_e32 v1, 16, v1
	v_lshl_or_b32 v38, v38, 23, v1
.LBB251_382:                            ;   in Loop: Header=BB251_222 Depth=1
	s_or_b64 exec, exec, s[18:19]
.LBB251_383:                            ;   in Loop: Header=BB251_222 Depth=1
	s_or_b64 exec, exec, s[16:17]
.LBB251_384:                            ;   in Loop: Header=BB251_222 Depth=1
	s_or_b64 exec, exec, s[12:13]
	v_lshrrev_b32_e32 v1, 16, v7
	v_cmp_ne_u16_sdwa s[2:3], v1, v2 src0_sel:BYTE_0 src1_sel:DWORD
	v_mov_b32_e32 v40, 0
	v_mov_b32_e32 v41, 0
	s_and_saveexec_b64 s[12:13], s[2:3]
	s_cbranch_execz .LBB251_390
; %bb.385:                              ;   in Loop: Header=BB251_222 Depth=1
	v_cmp_ne_u16_sdwa s[2:3], v1, s26 src0_sel:BYTE_0 src1_sel:DWORD
	v_mov_b32_e32 v41, 0x8000
	s_and_saveexec_b64 s[16:17], s[2:3]
	s_cbranch_execz .LBB251_389
; %bb.386:                              ;   in Loop: Header=BB251_222 Depth=1
	v_bfe_u32 v42, v7, 16, 7
	v_cmp_ne_u32_e64 s[2:3], s27, v42
	v_mov_b32_e32 v41, 0x7c01
	s_and_saveexec_b64 s[18:19], s[2:3]
	s_cbranch_execz .LBB251_388
; %bb.387:                              ;   in Loop: Header=BB251_222 Depth=1
	v_and_b32_e32 v41, 7, v1
	v_ffbh_u32_e32 v43, v41
	v_min_u32_e32 v46, 32, v43
	v_subrev_u32_e32 v43, 28, v46
	v_lshlrev_b64 v[43:44], v43, v[1:2]
	v_lshrrev_b32_e32 v45, 3, v42
	v_sub_u32_e32 v44, 29, v46
	v_cmp_gt_u32_e64 s[2:3], 8, v42
	v_cndmask_b32_e64 v42, v45, v44, s[2:3]
	v_lshl_add_u32 v42, v42, 10, v21
	v_lshlrev_b32_e32 v1, 8, v1
	v_and_b32_e32 v43, 7, v43
	v_and_b32_e32 v42, 0xfc00, v42
	v_cndmask_b32_e64 v41, v41, v43, s[2:3]
	v_and_or_b32 v1, v1, s28, v42
	v_lshl_or_b32 v41, v41, 7, v1
.LBB251_388:                            ;   in Loop: Header=BB251_222 Depth=1
	s_or_b64 exec, exec, s[18:19]
.LBB251_389:                            ;   in Loop: Header=BB251_222 Depth=1
	s_or_b64 exec, exec, s[16:17]
.LBB251_390:                            ;   in Loop: Header=BB251_222 Depth=1
	s_or_b64 exec, exec, s[12:13]
	v_cmp_lt_u32_e64 s[2:3], s7, v7
	s_and_saveexec_b64 s[12:13], s[2:3]
	s_cbranch_execz .LBB251_396
; %bb.391:                              ;   in Loop: Header=BB251_222 Depth=1
	v_lshrrev_b32_e32 v1, 24, v7
	v_cmp_ne_u32_e64 s[2:3], s26, v1
	v_bfrev_b32_e32 v40, 1
	s_and_saveexec_b64 s[16:17], s[2:3]
	s_cbranch_execz .LBB251_395
; %bb.392:                              ;   in Loop: Header=BB251_222 Depth=1
	v_and_b32_e32 v42, 0x7f, v1
	v_cmp_ne_u32_e64 s[2:3], s27, v42
	v_mov_b32_e32 v40, 0x7c010000
	s_and_saveexec_b64 s[18:19], s[2:3]
	s_cbranch_execz .LBB251_394
; %bb.393:                              ;   in Loop: Header=BB251_222 Depth=1
	v_and_b32_e32 v40, 7, v1
	v_ffbh_u32_e32 v43, v40
	v_min_u32_e32 v46, 32, v43
	v_subrev_u32_e32 v43, 28, v46
	v_lshlrev_b64 v[43:44], v43, v[1:2]
	v_lshrrev_b32_e32 v45, 3, v42
	v_sub_u32_e32 v44, 29, v46
	v_cmp_gt_u32_e64 s[2:3], 8, v42
	v_cndmask_b32_e64 v42, v45, v44, s[2:3]
	v_lshlrev_b32_e32 v1, 8, v1
	v_lshl_add_u32 v42, v42, 10, v21
	v_and_b32_e32 v43, 7, v43
	v_and_or_b32 v1, v1, s28, v42
	v_cndmask_b32_e64 v40, v40, v43, s[2:3]
	v_lshlrev_b32_e32 v1, 16, v1
	v_lshl_or_b32 v40, v40, 23, v1
.LBB251_394:                            ;   in Loop: Header=BB251_222 Depth=1
	s_or_b64 exec, exec, s[18:19]
.LBB251_395:                            ;   in Loop: Header=BB251_222 Depth=1
	s_or_b64 exec, exec, s[16:17]
.LBB251_396:                            ;   in Loop: Header=BB251_222 Depth=1
	s_or_b64 exec, exec, s[12:13]
	v_mov_b32_e32 v1, v8
	v_cmp_ne_u16_sdwa s[2:3], v8, v2 src0_sel:BYTE_0 src1_sel:DWORD
	v_mov_b32_e32 v42, 0
	v_mov_b32_e32 v43, 0
	s_and_saveexec_b64 s[12:13], s[2:3]
	s_cbranch_execz .LBB251_402
; %bb.397:                              ;   in Loop: Header=BB251_222 Depth=1
	v_cmp_ne_u16_sdwa s[2:3], v8, s26 src0_sel:BYTE_0 src1_sel:DWORD
	v_mov_b32_e32 v43, 0x8000
	s_and_saveexec_b64 s[16:17], s[2:3]
	s_cbranch_execz .LBB251_401
; %bb.398:                              ;   in Loop: Header=BB251_222 Depth=1
	v_and_b32_e32 v44, 0x7f, v8
	v_cmp_ne_u32_e64 s[2:3], s27, v44
	v_mov_b32_e32 v43, 0x7c01
	s_and_saveexec_b64 s[18:19], s[2:3]
	s_cbranch_execz .LBB251_400
; %bb.399:                              ;   in Loop: Header=BB251_222 Depth=1
	v_and_b32_e32 v43, 7, v8
	v_ffbh_u32_e32 v45, v43
	v_min_u32_e32 v48, 32, v45
	v_subrev_u32_e32 v45, 28, v48
	v_lshlrev_b64 v[45:46], v45, v[1:2]
	v_lshrrev_b32_e32 v47, 3, v44
	v_sub_u32_e32 v46, 29, v48
	v_cmp_gt_u32_e64 s[2:3], 8, v44
	v_cndmask_b32_e64 v44, v47, v46, s[2:3]
	v_lshl_add_u32 v44, v44, 10, v21
	v_lshlrev_b32_e32 v46, 8, v8
	v_and_b32_e32 v45, 7, v45
	v_and_b32_e32 v44, 0xfc00, v44
	v_cndmask_b32_e64 v43, v43, v45, s[2:3]
	v_and_or_b32 v44, v46, s28, v44
	v_lshl_or_b32 v43, v43, 7, v44
.LBB251_400:                            ;   in Loop: Header=BB251_222 Depth=1
	s_or_b64 exec, exec, s[18:19]
.LBB251_401:                            ;   in Loop: Header=BB251_222 Depth=1
	s_or_b64 exec, exec, s[16:17]
.LBB251_402:                            ;   in Loop: Header=BB251_222 Depth=1
	s_or_b64 exec, exec, s[12:13]
	v_lshrrev_b16_e32 v1, 8, v1
	v_cmp_ne_u16_e64 s[2:3], 0, v1
	v_mov_b32_e32 v44, 0
	s_and_saveexec_b64 s[12:13], s[2:3]
	s_cbranch_execz .LBB251_408
; %bb.403:                              ;   in Loop: Header=BB251_222 Depth=1
	v_cmp_ne_u16_e64 s[2:3], s26, v1
	v_bfrev_b32_e32 v44, 1
	s_and_saveexec_b64 s[16:17], s[2:3]
	s_cbranch_execz .LBB251_407
; %bb.404:                              ;   in Loop: Header=BB251_222 Depth=1
	v_and_b32_e32 v45, 0x7f, v1
	v_cmp_ne_u32_e64 s[2:3], s27, v45
	v_mov_b32_e32 v44, 0x7c010000
	s_and_saveexec_b64 s[18:19], s[2:3]
	s_cbranch_execz .LBB251_406
; %bb.405:                              ;   in Loop: Header=BB251_222 Depth=1
	v_and_b32_e32 v44, 7, v1
	v_ffbh_u32_e32 v46, v44
	v_min_u32_e32 v49, 32, v46
	v_subrev_u32_e32 v46, 28, v49
	v_lshlrev_b64 v[46:47], v46, v[1:2]
	v_lshrrev_b32_e32 v48, 3, v45
	v_sub_u32_e32 v47, 29, v49
	v_cmp_gt_u32_e64 s[2:3], 8, v45
	v_cndmask_b32_e64 v45, v48, v47, s[2:3]
	v_lshlrev_b32_e32 v1, 8, v1
	v_lshl_add_u32 v45, v45, 10, v21
	v_and_b32_e32 v46, 7, v46
	v_and_or_b32 v1, v1, s28, v45
	v_cndmask_b32_e64 v44, v44, v46, s[2:3]
	v_lshlrev_b32_e32 v1, 16, v1
	v_lshl_or_b32 v44, v44, 23, v1
.LBB251_406:                            ;   in Loop: Header=BB251_222 Depth=1
	s_or_b64 exec, exec, s[18:19]
.LBB251_407:                            ;   in Loop: Header=BB251_222 Depth=1
	s_or_b64 exec, exec, s[16:17]
.LBB251_408:                            ;   in Loop: Header=BB251_222 Depth=1
	s_or_b64 exec, exec, s[12:13]
	v_lshrrev_b32_e32 v1, 16, v8
	v_cmp_ne_u16_sdwa s[2:3], v1, v2 src0_sel:BYTE_0 src1_sel:DWORD
	s_and_saveexec_b64 s[12:13], s[2:3]
	s_cbranch_execz .LBB251_414
; %bb.409:                              ;   in Loop: Header=BB251_222 Depth=1
	v_cmp_ne_u16_sdwa s[2:3], v1, s26 src0_sel:BYTE_0 src1_sel:DWORD
	v_mov_b32_e32 v42, 0x8000
	s_and_saveexec_b64 s[16:17], s[2:3]
	s_cbranch_execz .LBB251_413
; %bb.410:                              ;   in Loop: Header=BB251_222 Depth=1
	v_bfe_u32 v45, v8, 16, 7
	v_cmp_ne_u32_e64 s[2:3], s27, v45
	v_mov_b32_e32 v42, 0x7c01
	s_and_saveexec_b64 s[18:19], s[2:3]
	s_cbranch_execz .LBB251_412
; %bb.411:                              ;   in Loop: Header=BB251_222 Depth=1
	v_and_b32_e32 v42, 7, v1
	v_ffbh_u32_e32 v46, v42
	v_min_u32_e32 v49, 32, v46
	v_subrev_u32_e32 v46, 28, v49
	v_lshlrev_b64 v[46:47], v46, v[1:2]
	v_lshrrev_b32_e32 v48, 3, v45
	v_sub_u32_e32 v47, 29, v49
	v_cmp_gt_u32_e64 s[2:3], 8, v45
	v_cndmask_b32_e64 v45, v48, v47, s[2:3]
	v_lshl_add_u32 v45, v45, 10, v21
	v_lshlrev_b32_e32 v1, 8, v1
	v_and_b32_e32 v46, 7, v46
	v_and_b32_e32 v45, 0xfc00, v45
	v_cndmask_b32_e64 v42, v42, v46, s[2:3]
	v_and_or_b32 v1, v1, s28, v45
	v_lshl_or_b32 v42, v42, 7, v1
.LBB251_412:                            ;   in Loop: Header=BB251_222 Depth=1
	s_or_b64 exec, exec, s[18:19]
.LBB251_413:                            ;   in Loop: Header=BB251_222 Depth=1
	s_or_b64 exec, exec, s[16:17]
.LBB251_414:                            ;   in Loop: Header=BB251_222 Depth=1
	s_or_b64 exec, exec, s[12:13]
	v_cmp_lt_u64_e64 s[2:3], s[6:7], v[7:8]
	v_mov_b32_e32 v45, 0
	s_and_saveexec_b64 s[12:13], s[2:3]
	s_cbranch_execz .LBB251_420
; %bb.415:                              ;   in Loop: Header=BB251_222 Depth=1
	v_lshrrev_b32_e32 v1, 24, v8
	v_cmp_ne_u32_e64 s[2:3], s26, v1
	v_bfrev_b32_e32 v45, 1
	s_and_saveexec_b64 s[16:17], s[2:3]
	s_cbranch_execz .LBB251_419
; %bb.416:                              ;   in Loop: Header=BB251_222 Depth=1
	v_and_b32_e32 v7, 0x7f, v1
	v_cmp_ne_u32_e64 s[2:3], s27, v7
	v_mov_b32_e32 v45, 0x7c010000
	s_and_saveexec_b64 s[18:19], s[2:3]
	s_cbranch_execz .LBB251_418
; %bb.417:                              ;   in Loop: Header=BB251_222 Depth=1
	v_and_b32_e32 v8, 7, v1
	v_ffbh_u32_e32 v45, v8
	v_min_u32_e32 v48, 32, v45
	v_subrev_u32_e32 v45, 28, v48
	v_lshlrev_b64 v[45:46], v45, v[1:2]
	v_lshrrev_b32_e32 v47, 3, v7
	v_sub_u32_e32 v46, 29, v48
	v_cmp_gt_u32_e64 s[2:3], 8, v7
	v_cndmask_b32_e64 v7, v47, v46, s[2:3]
	v_lshlrev_b32_e32 v1, 8, v1
	v_lshl_add_u32 v7, v7, 10, v21
	v_and_b32_e32 v45, 7, v45
	v_and_or_b32 v1, v1, s28, v7
	v_cndmask_b32_e64 v8, v8, v45, s[2:3]
	v_lshlrev_b32_e32 v1, 16, v1
	v_lshl_or_b32 v45, v8, 23, v1
.LBB251_418:                            ;   in Loop: Header=BB251_222 Depth=1
	s_or_b64 exec, exec, s[18:19]
.LBB251_419:                            ;   in Loop: Header=BB251_222 Depth=1
	s_or_b64 exec, exec, s[16:17]
.LBB251_420:                            ;   in Loop: Header=BB251_222 Depth=1
	s_or_b64 exec, exec, s[12:13]
	s_waitcnt vmcnt(0)
	v_fma_mixlo_f16 v7, v37, v40, 0 op_sel:[0,1,0] op_sel_hi:[0,1,0]
	v_fma_mixlo_f16 v8, v37, v38, 0 op_sel:[0,1,0] op_sel_hi:[0,1,0]
	v_or_b32_e32 v1, v40, v41
	v_lshlrev_b32_e32 v40, 16, v7
	v_or_b32_e32 v7, v38, v39
	v_lshlrev_b32_e32 v46, 16, v8
	v_or_b32_e32 v8, v44, v43
	v_or_b32_e32 v39, v45, v42
	v_fma_mixlo_f16 v1, v37, v1, 0 op_sel_hi:[0,1,0]
	v_fma_mixlo_f16 v7, v37, v7, 0 op_sel_hi:[0,1,0]
	v_fma_mixlo_f16 v38, v37, v44, 0 op_sel:[0,1,0] op_sel_hi:[0,1,0]
	v_fma_mixlo_f16 v8, v37, v8, 0 op_sel_hi:[0,1,0]
	v_fma_mixlo_f16 v42, v37, v39, 0 op_sel_hi:[0,1,0]
	v_fma_mixlo_f16 v37, v37, v45, 0 op_sel:[0,1,0] op_sel_hi:[0,1,0]
	v_and_b32_e32 v41, 0xffff, v1
	v_and_b32_e32 v47, 0xffff, v7
	v_lshlrev_b32_e32 v38, 16, v38
	v_and_b32_e32 v43, 0xffff, v8
	v_lshlrev_b32_e32 v39, 16, v37
	v_and_b32_e32 v42, 0xffff, v42
	v_or_b32_e32 v1, v40, v41
	v_or_b32_e32 v7, v46, v47
	;; [unrolled: 1-line block ×4, first 2 shown]
	s_and_saveexec_b64 s[2:3], vcc
	s_cbranch_execz .LBB251_221
; %bb.421:                              ;   in Loop: Header=BB251_222 Depth=1
	v_cmp_gt_i32_e32 vcc, s33, v22
	v_cndmask_b32_e32 v1, 0, v47, vcc
	v_cmp_gt_i32_e32 vcc, s33, v28
	v_cndmask_b32_e32 v7, 0, v46, vcc
	v_cmp_gt_i32_e32 vcc, s33, v27
	v_or_b32_e32 v7, v7, v1
	v_cndmask_b32_e32 v1, 0, v41, vcc
	v_cmp_gt_i32_e32 vcc, s33, v26
	v_cndmask_b32_e32 v8, 0, v40, vcc
	v_cmp_gt_i32_e32 vcc, s33, v25
	v_or_b32_e32 v1, v8, v1
	;; [unrolled: 5-line block ×3, first 2 shown]
	v_cndmask_b32_e32 v22, 0, v42, vcc
	v_cmp_gt_i32_e32 vcc, s33, v19
	v_cndmask_b32_e32 v23, 0, v39, vcc
	v_or_b32_e32 v37, v23, v22
	s_branch .LBB251_221
.LBB251_422:
	s_or_b64 exec, exec, s[10:11]
.LBB251_423:
	s_or_b64 exec, exec, s[4:5]
	ds_bpermute_b32 v2, v13, v18
	ds_bpermute_b32 v5, v13, v17
	;; [unrolled: 1-line block ×4, first 2 shown]
	s_waitcnt lgkmcnt(0)
	v_add_f32_e32 v3, v18, v2
	v_add_f32_e32 v2, v17, v5
	v_and_b32_e32 v5, 0x3c1, v0
	v_add_f32_e32 v4, v16, v1
	v_add_f32_e32 v1, v15, v6
	v_cmp_eq_u32_e32 vcc, 64, v5
	s_barrier
	s_and_saveexec_b64 s[2:3], vcc
	s_cbranch_execz .LBB251_425
; %bb.424:
	v_mov_b32_e32 v6, 0x110
	v_lshl_add_u32 v6, v12, 1, v6
	ds_write2_b32 v6, v4, v3 offset1:32
	ds_write2_b32 v6, v2, v1 offset0:64 offset1:96
.LBB251_425:
	s_or_b64 exec, exec, s[2:3]
	v_lshrrev_b32_e32 v0, 1, v0
	s_waitcnt lgkmcnt(0)
	s_barrier
	s_and_saveexec_b64 s[2:3], s[0:1]
	s_cbranch_execz .LBB251_432
; %bb.426:
	v_mov_b32_e32 v6, 0x110
	v_cmp_eq_u32_e32 vcc, 0, v14
	v_lshl_add_u32 v6, v0, 2, v6
	s_and_saveexec_b64 s[0:1], vcc
	s_cbranch_execnz .LBB251_435
; %bb.427:
	s_or_b64 exec, exec, s[0:1]
	s_and_saveexec_b64 s[0:1], vcc
	s_cbranch_execnz .LBB251_436
.LBB251_428:
	s_or_b64 exec, exec, s[0:1]
	s_and_saveexec_b64 s[0:1], vcc
	s_cbranch_execnz .LBB251_437
.LBB251_429:
	s_or_b64 exec, exec, s[0:1]
	s_and_saveexec_b64 s[0:1], vcc
	s_cbranch_execz .LBB251_431
.LBB251_430:
	ds_read_b32 v6, v6 offset:384
	s_waitcnt lgkmcnt(0)
	v_add_f32_e32 v1, v1, v6
.LBB251_431:
	s_or_b64 exec, exec, s[0:1]
.LBB251_432:
	s_or_b64 exec, exec, s[2:3]
	v_cmp_eq_u32_e32 vcc, 0, v5
	s_barrier
	s_and_saveexec_b64 s[0:1], vcc
	s_cbranch_execz .LBB251_434
; %bb.433:
	s_mul_i32 s0, s20, s21
	s_mul_i32 s0, s0, s9
	s_lshl_b32 s0, s0, 7
	s_ashr_i32 s1, s0, 31
	s_lshl_b64 s[0:1], s[0:1], 1
	s_add_u32 s2, s24, s0
	s_mul_i32 s0, s21, s22
	s_addc_u32 s3, s25, s1
	s_ashr_i32 s1, s0, 31
	s_lshl_b64 s[0:1], s[0:1], 1
	s_add_u32 s2, s2, s0
	s_addc_u32 s3, s3, s1
	s_lshl_b32 s0, s8, 7
	s_ashr_i32 s1, s0, 31
	s_lshl_b64 s[0:1], s[0:1], 1
	s_add_u32 s0, s2, s0
	s_addc_u32 s1, s3, s1
	v_lshlrev_b32_e32 v0, 1, v0
	;;#ASMSTART
	v_cvt_f16_f32 v4, v4;

	;;#ASMEND
	global_store_short v0, v4, s[0:1]
	;;#ASMSTART
	v_cvt_f16_f32 v3, v3;

	;;#ASMEND
	global_store_short v0, v3, s[0:1] offset:64
	;;#ASMSTART
	v_cvt_f16_f32 v2, v2;

	;;#ASMEND
	global_store_short v0, v2, s[0:1] offset:128
	;; [unrolled: 5-line block ×3, first 2 shown]
.LBB251_434:
	s_endpgm
.LBB251_435:
	ds_read_b32 v7, v6
	s_waitcnt lgkmcnt(0)
	v_add_f32_e32 v4, v4, v7
	s_or_b64 exec, exec, s[0:1]
	s_and_saveexec_b64 s[0:1], vcc
	s_cbranch_execz .LBB251_428
.LBB251_436:
	ds_read_b32 v7, v6 offset:128
	s_waitcnt lgkmcnt(0)
	v_add_f32_e32 v3, v3, v7
	s_or_b64 exec, exec, s[0:1]
	s_and_saveexec_b64 s[0:1], vcc
	s_cbranch_execz .LBB251_429
.LBB251_437:
	ds_read_b32 v7, v6 offset:256
	s_waitcnt lgkmcnt(0)
	v_add_f32_e32 v2, v2, v7
	s_or_b64 exec, exec, s[0:1]
	s_and_saveexec_b64 s[0:1], vcc
	s_cbranch_execnz .LBB251_430
	s_branch .LBB251_431
	.section	.rodata,"a",@progbits
	.p2align	6, 0x0
	.amdhsa_kernel _ZN4vllm25paged_attention_v1_kernelIthLi128ELi16ELi128ELNS_18Fp8KVCacheDataTypeE1ELb0EEEvPT_PKS2_PKT0_S8_ifPKiSA_iPKfiiiSC_SC_iiiii
		.amdhsa_group_segment_fixed_size 272
		.amdhsa_private_segment_fixed_size 0
		.amdhsa_kernarg_size 384
		.amdhsa_user_sgpr_count 6
		.amdhsa_user_sgpr_private_segment_buffer 1
		.amdhsa_user_sgpr_dispatch_ptr 0
		.amdhsa_user_sgpr_queue_ptr 0
		.amdhsa_user_sgpr_kernarg_segment_ptr 1
		.amdhsa_user_sgpr_dispatch_id 0
		.amdhsa_user_sgpr_flat_scratch_init 0
		.amdhsa_user_sgpr_private_segment_size 0
		.amdhsa_uses_dynamic_stack 0
		.amdhsa_system_sgpr_private_segment_wavefront_offset 0
		.amdhsa_system_sgpr_workgroup_id_x 1
		.amdhsa_system_sgpr_workgroup_id_y 1
		.amdhsa_system_sgpr_workgroup_id_z 1
		.amdhsa_system_sgpr_workgroup_info 0
		.amdhsa_system_vgpr_workitem_id 0
		.amdhsa_next_free_vgpr 55
		.amdhsa_next_free_sgpr 47
		.amdhsa_reserve_vcc 1
		.amdhsa_reserve_flat_scratch 0
		.amdhsa_float_round_mode_32 0
		.amdhsa_float_round_mode_16_64 0
		.amdhsa_float_denorm_mode_32 3
		.amdhsa_float_denorm_mode_16_64 3
		.amdhsa_dx10_clamp 1
		.amdhsa_ieee_mode 1
		.amdhsa_fp16_overflow 0
		.amdhsa_exception_fp_ieee_invalid_op 0
		.amdhsa_exception_fp_denorm_src 0
		.amdhsa_exception_fp_ieee_div_zero 0
		.amdhsa_exception_fp_ieee_overflow 0
		.amdhsa_exception_fp_ieee_underflow 0
		.amdhsa_exception_fp_ieee_inexact 0
		.amdhsa_exception_int_div_zero 0
	.end_amdhsa_kernel
	.section	.text._ZN4vllm25paged_attention_v1_kernelIthLi128ELi16ELi128ELNS_18Fp8KVCacheDataTypeE1ELb0EEEvPT_PKS2_PKT0_S8_ifPKiSA_iPKfiiiSC_SC_iiiii,"axG",@progbits,_ZN4vllm25paged_attention_v1_kernelIthLi128ELi16ELi128ELNS_18Fp8KVCacheDataTypeE1ELb0EEEvPT_PKS2_PKT0_S8_ifPKiSA_iPKfiiiSC_SC_iiiii,comdat
.Lfunc_end251:
	.size	_ZN4vllm25paged_attention_v1_kernelIthLi128ELi16ELi128ELNS_18Fp8KVCacheDataTypeE1ELb0EEEvPT_PKS2_PKT0_S8_ifPKiSA_iPKfiiiSC_SC_iiiii, .Lfunc_end251-_ZN4vllm25paged_attention_v1_kernelIthLi128ELi16ELi128ELNS_18Fp8KVCacheDataTypeE1ELb0EEEvPT_PKS2_PKT0_S8_ifPKiSA_iPKfiiiSC_SC_iiiii
                                        ; -- End function
	.set _ZN4vllm25paged_attention_v1_kernelIthLi128ELi16ELi128ELNS_18Fp8KVCacheDataTypeE1ELb0EEEvPT_PKS2_PKT0_S8_ifPKiSA_iPKfiiiSC_SC_iiiii.num_vgpr, 55
	.set _ZN4vllm25paged_attention_v1_kernelIthLi128ELi16ELi128ELNS_18Fp8KVCacheDataTypeE1ELb0EEEvPT_PKS2_PKT0_S8_ifPKiSA_iPKfiiiSC_SC_iiiii.num_agpr, 0
	.set _ZN4vllm25paged_attention_v1_kernelIthLi128ELi16ELi128ELNS_18Fp8KVCacheDataTypeE1ELb0EEEvPT_PKS2_PKT0_S8_ifPKiSA_iPKfiiiSC_SC_iiiii.numbered_sgpr, 47
	.set _ZN4vllm25paged_attention_v1_kernelIthLi128ELi16ELi128ELNS_18Fp8KVCacheDataTypeE1ELb0EEEvPT_PKS2_PKT0_S8_ifPKiSA_iPKfiiiSC_SC_iiiii.num_named_barrier, 0
	.set _ZN4vllm25paged_attention_v1_kernelIthLi128ELi16ELi128ELNS_18Fp8KVCacheDataTypeE1ELb0EEEvPT_PKS2_PKT0_S8_ifPKiSA_iPKfiiiSC_SC_iiiii.private_seg_size, 0
	.set _ZN4vllm25paged_attention_v1_kernelIthLi128ELi16ELi128ELNS_18Fp8KVCacheDataTypeE1ELb0EEEvPT_PKS2_PKT0_S8_ifPKiSA_iPKfiiiSC_SC_iiiii.uses_vcc, 1
	.set _ZN4vllm25paged_attention_v1_kernelIthLi128ELi16ELi128ELNS_18Fp8KVCacheDataTypeE1ELb0EEEvPT_PKS2_PKT0_S8_ifPKiSA_iPKfiiiSC_SC_iiiii.uses_flat_scratch, 0
	.set _ZN4vllm25paged_attention_v1_kernelIthLi128ELi16ELi128ELNS_18Fp8KVCacheDataTypeE1ELb0EEEvPT_PKS2_PKT0_S8_ifPKiSA_iPKfiiiSC_SC_iiiii.has_dyn_sized_stack, 0
	.set _ZN4vllm25paged_attention_v1_kernelIthLi128ELi16ELi128ELNS_18Fp8KVCacheDataTypeE1ELb0EEEvPT_PKS2_PKT0_S8_ifPKiSA_iPKfiiiSC_SC_iiiii.has_recursion, 0
	.set _ZN4vllm25paged_attention_v1_kernelIthLi128ELi16ELi128ELNS_18Fp8KVCacheDataTypeE1ELb0EEEvPT_PKS2_PKT0_S8_ifPKiSA_iPKfiiiSC_SC_iiiii.has_indirect_call, 0
	.section	.AMDGPU.csdata,"",@progbits
; Kernel info:
; codeLenInByte = 17880
; TotalNumSgprs: 51
; NumVgprs: 55
; ScratchSize: 0
; MemoryBound: 0
; FloatMode: 240
; IeeeMode: 1
; LDSByteSize: 272 bytes/workgroup (compile time only)
; SGPRBlocks: 6
; VGPRBlocks: 13
; NumSGPRsForWavesPerEU: 51
; NumVGPRsForWavesPerEU: 55
; Occupancy: 4
; WaveLimiterHint : 1
; COMPUTE_PGM_RSRC2:SCRATCH_EN: 0
; COMPUTE_PGM_RSRC2:USER_SGPR: 6
; COMPUTE_PGM_RSRC2:TRAP_HANDLER: 0
; COMPUTE_PGM_RSRC2:TGID_X_EN: 1
; COMPUTE_PGM_RSRC2:TGID_Y_EN: 1
; COMPUTE_PGM_RSRC2:TGID_Z_EN: 1
; COMPUTE_PGM_RSRC2:TIDIG_COMP_CNT: 0
	.section	.text._ZN4vllm25paged_attention_v1_kernelIthLi192ELi16ELi128ELNS_18Fp8KVCacheDataTypeE1ELb0EEEvPT_PKS2_PKT0_S8_ifPKiSA_iPKfiiiSC_SC_iiiii,"axG",@progbits,_ZN4vllm25paged_attention_v1_kernelIthLi192ELi16ELi128ELNS_18Fp8KVCacheDataTypeE1ELb0EEEvPT_PKS2_PKT0_S8_ifPKiSA_iPKfiiiSC_SC_iiiii,comdat
	.protected	_ZN4vllm25paged_attention_v1_kernelIthLi192ELi16ELi128ELNS_18Fp8KVCacheDataTypeE1ELb0EEEvPT_PKS2_PKT0_S8_ifPKiSA_iPKfiiiSC_SC_iiiii ; -- Begin function _ZN4vllm25paged_attention_v1_kernelIthLi192ELi16ELi128ELNS_18Fp8KVCacheDataTypeE1ELb0EEEvPT_PKS2_PKT0_S8_ifPKiSA_iPKfiiiSC_SC_iiiii
	.globl	_ZN4vllm25paged_attention_v1_kernelIthLi192ELi16ELi128ELNS_18Fp8KVCacheDataTypeE1ELb0EEEvPT_PKS2_PKT0_S8_ifPKiSA_iPKfiiiSC_SC_iiiii
	.p2align	8
	.type	_ZN4vllm25paged_attention_v1_kernelIthLi192ELi16ELi128ELNS_18Fp8KVCacheDataTypeE1ELb0EEEvPT_PKS2_PKT0_S8_ifPKiSA_iPKfiiiSC_SC_iiiii,@function
_ZN4vllm25paged_attention_v1_kernelIthLi192ELi16ELi128ELNS_18Fp8KVCacheDataTypeE1ELb0EEEvPT_PKS2_PKT0_S8_ifPKiSA_iPKfiiiSC_SC_iiiii: ; @_ZN4vllm25paged_attention_v1_kernelIthLi192ELi16ELi128ELNS_18Fp8KVCacheDataTypeE1ELb0EEEvPT_PKS2_PKT0_S8_ifPKiSA_iPKfiiiSC_SC_iiiii
; %bb.0:
	s_mov_b64 s[50:51], s[2:3]
	s_mov_b64 s[48:49], s[0:1]
	s_add_u32 s48, s48, s9
	s_load_dword s9, s[4:5], 0x80
	s_load_dwordx2 s[0:1], s[4:5], 0x30
	s_load_dwordx2 s[30:31], s[4:5], 0x20
	s_addc_u32 s49, s49, 0
	s_mov_b32 s10, s7
	s_ashr_i32 s11, s7, 31
	s_lshl_b64 s[2:3], s[10:11], 2
	s_waitcnt lgkmcnt(0)
	s_add_u32 s0, s0, s2
	s_addc_u32 s1, s1, s3
	s_abs_i32 s2, s30
	v_cvt_f32_u32_e32 v1, s2
	s_sub_i32 s11, 0, s2
	s_abs_i32 s7, s9
	s_xor_b32 s3, s9, s30
	v_rcp_iflag_f32_e32 v1, v1
	s_ashr_i32 s3, s3, 31
	v_mov_b32_e32 v16, v0
	s_mov_b32 s33, 0
	v_mul_f32_e32 v1, 0x4f7ffffe, v1
	v_cvt_u32_f32_e32 v1, v1
	v_readfirstlane_b32 s12, v1
	s_mul_i32 s11, s11, s12
	s_mul_hi_u32 s11, s12, s11
	s_add_i32 s12, s12, s11
	s_mul_hi_u32 s11, s7, s12
	s_mul_i32 s12, s11, s2
	s_sub_i32 s7, s7, s12
	s_add_i32 s12, s11, 1
	s_sub_i32 s13, s7, s2
	s_cmp_ge_u32 s7, s2
	s_cselect_b32 s11, s12, s11
	s_cselect_b32 s7, s13, s7
	s_add_i32 s12, s11, 1
	s_cmp_ge_u32 s7, s2
	s_cselect_b32 s2, s12, s11
	s_xor_b32 s2, s2, s3
	s_sub_i32 s14, s2, s3
	s_abs_i32 s11, s14
	v_cvt_f32_u32_e32 v1, s11
	s_load_dwordx2 s[2:3], s[4:5], 0x40
	s_sub_i32 s7, 0, s11
	s_abs_i32 s12, s6
	v_rcp_iflag_f32_e32 v1, v1
	v_mul_f32_e32 v1, 0x4f7ffffe, v1
	v_cvt_u32_f32_e32 v1, v1
	v_readfirstlane_b32 s13, v1
	s_mul_i32 s7, s7, s13
	s_mul_hi_u32 s7, s13, s7
	s_add_i32 s13, s13, s7
	s_waitcnt lgkmcnt(0)
	s_cmp_eq_u64 s[2:3], 0
	s_mul_hi_u32 s13, s12, s13
	s_cbranch_scc1 .LBB252_2
; %bb.1:
	s_ashr_i32 s7, s6, 31
	s_lshl_b64 s[16:17], s[6:7], 2
	s_add_u32 s2, s2, s16
	s_addc_u32 s3, s3, s17
	s_load_dword s33, s[2:3], 0x0
.LBB252_2:
	s_load_dword s30, s[0:1], 0x0
	s_load_dwordx4 s[16:19], s[4:5], 0x48
	s_ashr_i32 s2, s6, 31
	s_mul_i32 s20, s6, 0xc0
	s_movk_i32 s6, 0x60
	s_ashr_i32 s3, s14, 31
	v_and_b32_e32 v3, 3, v16
	v_cmp_gt_u32_e32 vcc, s6, v16
	s_and_saveexec_b64 s[0:1], vcc
	s_cbranch_execz .LBB252_4
; %bb.3:
	s_load_dwordx2 s[14:15], s[4:5], 0x8
	s_waitcnt lgkmcnt(0)
	s_mul_i32 s22, s16, s10
	s_ashr_i32 s23, s22, 31
	s_lshl_b64 s[22:23], s[22:23], 1
	v_lshlrev_b32_e32 v1, 2, v16
	s_add_u32 s7, s14, s22
	s_addc_u32 s16, s15, s23
	s_ashr_i32 s21, s20, 31
	s_lshl_b64 s[14:15], s[20:21], 1
	s_add_u32 s14, s7, s14
	s_addc_u32 s15, s16, s15
	global_load_dword v1, v1, s[14:15]
	v_and_b32_e32 v2, 0x3fc, v16
	v_mad_u32_u24 v2, v3, s6, v2
	s_waitcnt vmcnt(0)
	ds_write_b32 v2, v1
.LBB252_4:
	s_or_b64 exec, exec, s[0:1]
	s_waitcnt lgkmcnt(0)
	s_add_i32 s1, s30, 15
	s_ashr_i32 s6, s1, 31
	s_lshr_b32 s6, s6, 28
	s_add_i32 s1, s1, s6
	s_ashr_i32 s21, s1, 4
	s_xor_b32 s1, s2, s3
	s_mul_i32 s2, s13, s11
	s_sub_i32 s2, s12, s2
	s_add_i32 s3, s13, 1
	s_sub_i32 s6, s2, s11
	s_load_dwordx2 s[24:25], s[4:5], 0x28
	s_load_dword s0, s[4:5], 0x38
	s_cmp_ge_u32 s2, s11
	s_cselect_b32 s3, s3, s13
	s_cselect_b32 s2, s6, s2
	s_add_i32 s6, s3, 1
	s_cmp_ge_u32 s2, s11
	s_cselect_b32 s2, s6, s3
	v_lshrrev_b32_e32 v11, 6, v16
	s_xor_b32 s2, s2, s1
	s_waitcnt lgkmcnt(0)
	s_mul_i32 s26, s0, s10
	s_sub_i32 s16, s2, s1
	s_ashr_i32 s27, s26, 31
	v_cmp_gt_i32_e64 s[0:1], s21, v11
	v_cmp_le_i32_e32 vcc, s21, v11
	v_mbcnt_lo_u32_b32 v4, -1, 0
	s_barrier
                                        ; implicit-def: $vgpr10
                                        ; implicit-def: $vgpr7
                                        ; implicit-def: $vgpr1
	s_and_saveexec_b64 s[2:3], vcc
	s_xor_b64 s[2:3], exec, s[2:3]
; %bb.5:
	v_mbcnt_hi_u32_b32 v10, -1, v4
	v_and_b32_e32 v7, 64, v10
	v_add_u32_e32 v1, 64, v7
                                        ; implicit-def: $vgpr3
                                        ; implicit-def: $vgpr4
; %bb.6:
	s_or_saveexec_b64 s[6:7], s[2:3]
	s_load_dwordx2 s[22:23], s[4:5], 0x0
	s_load_dwordx2 s[28:29], s[4:5], 0x18
	s_load_dword s11, s[4:5], 0x88
	s_load_dwordx4 s[12:15], s[4:5], 0x58
	v_mov_b32_e32 v5, 0xff7fffff
	s_mul_i32 s16, s16, s18
	v_lshrrev_b32_e32 v0, 4, v16
	buffer_store_dword v0, off, s[48:51], 0 offset:16 ; 4-byte Folded Spill
	buffer_store_dword v16, off, s[48:51], 0 offset:12 ; 4-byte Folded Spill
	s_xor_b64 exec, exec, s[6:7]
	s_cbranch_execz .LBB252_300
; %bb.7:
	s_load_dwordx2 s[2:3], s[4:5], 0x10
	s_ashr_i32 s4, s16, 31
	v_bfe_u32 v1, v16, 2, 4
	v_lshlrev_b32_e32 v5, 4, v1
	v_lshlrev_b32_e32 v7, 1, v3
	s_waitcnt lgkmcnt(0)
	s_add_u32 s2, s2, s16
	s_addc_u32 s3, s3, s4
	v_mov_b32_e32 v6, s3
	v_add_co_u32_e32 v5, vcc, s2, v5
	v_addc_co_u32_e32 v6, vcc, 0, v6, vcc
	v_add_co_u32_e64 v5, s[4:5], v5, v7
	v_addc_co_u32_e64 v6, s[4:5], 0, v6, s[4:5]
	buffer_store_dword v5, off, s[48:51], 0 offset:4 ; 4-byte Folded Spill
	s_nop 0
	buffer_store_dword v6, off, s[48:51], 0 offset:8 ; 4-byte Folded Spill
	buffer_load_dword v0, off, s[48:51], 0 offset:16 ; 4-byte Folded Reload
	s_sub_i32 s41, 1, s30
	v_lshl_or_b32 v14, v11, 4, v1
	v_lshlrev_b32_e32 v1, 2, v1
	s_lshl_b64 s[4:5], s[26:27], 2
	v_lshl_or_b32 v1, v11, 6, v1
	s_add_u32 s4, s24, s4
	v_add_u32_e32 v15, 0x190, v1
	s_addc_u32 s5, s25, s5
	v_mul_u32_u24_e32 v13, 0x60, v3
	v_cmp_eq_u32_e32 vcc, 0, v3
	v_mov_b32_e32 v3, s5
	s_mov_b32 s40, s17
	v_mov_b32_e32 v2, 0
	v_cmp_neq_f32_e64 s[2:3], s33, 0
	s_mov_b64 s[18:19], 0
	s_movk_i32 s42, 0x80
	s_movk_i32 s43, 0x7f
	s_mov_b32 s44, 0x8000
	v_mbcnt_hi_u32_b32 v10, -1, v4
	v_mov_b32_e32 v17, v11
	s_waitcnt vmcnt(0)
	v_and_b32_e32 v1, 60, v0
	v_add_co_u32_e64 v5, s[4:5], s4, v1
	v_addc_co_u32_e64 v6, s[4:5], 0, v3, s[4:5]
	v_mov_b32_e32 v0, 0xff7fffff
	buffer_store_dword v0, off, s[48:51], 0 ; 4-byte Folded Spill
	s_branch .LBB252_9
.LBB252_8:                              ;   in Loop: Header=BB252_9 Depth=1
	s_or_b64 exec, exec, s[34:35]
	v_add_u32_e32 v17, 2, v17
	v_cmp_le_i32_e64 s[4:5], s21, v17
	s_or_b64 s[18:19], s[4:5], s[18:19]
	v_add_co_u32_e64 v5, s[4:5], 8, v5
	v_add_u32_e32 v14, 32, v14
	v_add_u32_e32 v15, 0x80, v15
	v_addc_co_u32_e64 v6, s[4:5], 0, v6, s[4:5]
	s_andn2_b64 exec, exec, s[18:19]
	s_cbranch_execz .LBB252_299
.LBB252_9:                              ; =>This Inner Loop Header: Depth=1
	global_load_dword v1, v[5:6], off
	buffer_load_dword v3, off, s[48:51], 0 offset:4 ; 4-byte Folded Reload
	s_waitcnt lgkmcnt(0)
	buffer_load_dword v4, off, s[48:51], 0 offset:8 ; 4-byte Folded Reload
	v_mov_b32_e32 v19, 0
	s_waitcnt vmcnt(0)
	v_mad_i64_i32 v[7:8], s[4:5], v1, s40, v[3:4]
	global_load_ushort v3, v[7:8], off
	global_load_dword v18, v2, s[12:13]
	s_waitcnt vmcnt(1)
	v_and_b32_e32 v1, 0xffff, v3
	v_cmp_ne_u16_sdwa s[4:5], v3, v2 src0_sel:BYTE_0 src1_sel:DWORD
	s_and_saveexec_b64 s[34:35], s[4:5]
	s_cbranch_execz .LBB252_15
; %bb.10:                               ;   in Loop: Header=BB252_9 Depth=1
	v_cmp_ne_u16_sdwa s[4:5], v1, s42 src0_sel:BYTE_0 src1_sel:DWORD
	v_mov_b32_e32 v19, 0x8000
	s_and_saveexec_b64 s[36:37], s[4:5]
	s_cbranch_execz .LBB252_14
; %bb.11:                               ;   in Loop: Header=BB252_9 Depth=1
	v_and_b32_e32 v3, 0x7f, v1
	v_cmp_ne_u32_e64 s[4:5], s43, v3
	v_mov_b32_e32 v19, 0x7c01
	s_and_saveexec_b64 s[38:39], s[4:5]
	s_cbranch_execz .LBB252_13
; %bb.12:                               ;   in Loop: Header=BB252_9 Depth=1
	v_and_b32_e32 v4, 7, v1
	v_ffbh_u32_e32 v19, v4
	v_min_u32_e32 v21, 32, v19
	v_subrev_u32_e32 v19, 28, v21
	v_lshlrev_b64 v[19:20], v19, v[1:2]
	v_lshrrev_b32_e32 v9, 3, v3
	v_sub_u32_e32 v20, 29, v21
	v_cmp_gt_u32_e64 s[4:5], 8, v3
	v_cndmask_b32_e64 v3, v9, v20, s[4:5]
	v_mov_b32_e32 v0, 0x2000
	v_lshl_add_u32 v3, v3, 10, v0
	v_lshlrev_b32_e32 v9, 8, v1
	v_and_b32_e32 v19, 7, v19
	v_and_b32_e32 v3, 0xfc00, v3
	v_cndmask_b32_e64 v4, v4, v19, s[4:5]
	v_and_or_b32 v3, v9, s44, v3
	v_lshl_or_b32 v19, v4, 7, v3
.LBB252_13:                             ;   in Loop: Header=BB252_9 Depth=1
	s_or_b64 exec, exec, s[38:39]
.LBB252_14:                             ;   in Loop: Header=BB252_9 Depth=1
	s_or_b64 exec, exec, s[36:37]
.LBB252_15:                             ;   in Loop: Header=BB252_9 Depth=1
	s_or_b64 exec, exec, s[34:35]
	v_lshrrev_b16_e32 v1, 8, v1
	v_cmp_ne_u16_e64 s[4:5], 0, v1
	v_mov_b32_e32 v21, 0
	v_mov_b32_e32 v20, 0
	s_and_saveexec_b64 s[34:35], s[4:5]
	s_cbranch_execz .LBB252_21
; %bb.16:                               ;   in Loop: Header=BB252_9 Depth=1
	v_cmp_ne_u16_e64 s[4:5], s42, v1
	v_bfrev_b32_e32 v20, 1
	s_and_saveexec_b64 s[36:37], s[4:5]
	s_cbranch_execz .LBB252_20
; %bb.17:                               ;   in Loop: Header=BB252_9 Depth=1
	v_and_b32_e32 v3, 0x7f, v1
	v_cmp_ne_u32_e64 s[4:5], s43, v3
	v_mov_b32_e32 v20, 0x7c010000
	s_and_saveexec_b64 s[38:39], s[4:5]
	s_cbranch_execz .LBB252_19
; %bb.18:                               ;   in Loop: Header=BB252_9 Depth=1
	v_and_b32_e32 v4, 7, v1
	v_ffbh_u32_e32 v20, v4
	v_min_u32_e32 v20, 32, v20
	v_lshrrev_b32_e32 v9, 3, v3
	v_subrev_u32_e32 v22, 28, v20
	v_sub_u32_e32 v20, 29, v20
	v_cmp_gt_u32_e64 s[4:5], 8, v3
	v_lshlrev_b64 v[22:23], v22, v[1:2]
	v_cndmask_b32_e64 v3, v9, v20, s[4:5]
	v_mov_b32_e32 v0, 0x2000
	v_lshlrev_b32_e32 v1, 8, v1
	v_lshl_add_u32 v3, v3, 10, v0
	v_and_b32_e32 v9, 7, v22
	v_and_or_b32 v1, v1, s44, v3
	v_cndmask_b32_e64 v4, v4, v9, s[4:5]
	v_lshlrev_b32_e32 v1, 16, v1
	v_lshl_or_b32 v20, v4, 23, v1
.LBB252_19:                             ;   in Loop: Header=BB252_9 Depth=1
	s_or_b64 exec, exec, s[38:39]
.LBB252_20:                             ;   in Loop: Header=BB252_9 Depth=1
	s_or_b64 exec, exec, s[36:37]
.LBB252_21:                             ;   in Loop: Header=BB252_9 Depth=1
	s_or_b64 exec, exec, s[34:35]
	global_load_ushort v3, v[7:8], off offset:8
	s_waitcnt vmcnt(0)
	v_and_b32_e32 v1, 0xffff, v3
	v_cmp_ne_u16_sdwa s[4:5], v3, v2 src0_sel:BYTE_0 src1_sel:DWORD
	s_and_saveexec_b64 s[34:35], s[4:5]
	s_cbranch_execz .LBB252_27
; %bb.22:                               ;   in Loop: Header=BB252_9 Depth=1
	v_cmp_ne_u16_sdwa s[4:5], v1, s42 src0_sel:BYTE_0 src1_sel:DWORD
	v_mov_b32_e32 v21, 0x8000
	s_and_saveexec_b64 s[36:37], s[4:5]
	s_cbranch_execz .LBB252_26
; %bb.23:                               ;   in Loop: Header=BB252_9 Depth=1
	v_and_b32_e32 v3, 0x7f, v1
	v_cmp_ne_u32_e64 s[4:5], s43, v3
	v_mov_b32_e32 v21, 0x7c01
	s_and_saveexec_b64 s[38:39], s[4:5]
	s_cbranch_execz .LBB252_25
; %bb.24:                               ;   in Loop: Header=BB252_9 Depth=1
	v_and_b32_e32 v4, 7, v1
	v_ffbh_u32_e32 v21, v4
	v_min_u32_e32 v23, 32, v21
	v_subrev_u32_e32 v21, 28, v23
	v_lshlrev_b64 v[21:22], v21, v[1:2]
	v_lshrrev_b32_e32 v9, 3, v3
	v_sub_u32_e32 v22, 29, v23
	v_cmp_gt_u32_e64 s[4:5], 8, v3
	v_cndmask_b32_e64 v3, v9, v22, s[4:5]
	v_mov_b32_e32 v0, 0x2000
	v_lshl_add_u32 v3, v3, 10, v0
	v_lshlrev_b32_e32 v9, 8, v1
	v_and_b32_e32 v21, 7, v21
	v_and_b32_e32 v3, 0xfc00, v3
	v_cndmask_b32_e64 v4, v4, v21, s[4:5]
	v_and_or_b32 v3, v9, s44, v3
	v_lshl_or_b32 v21, v4, 7, v3
.LBB252_25:                             ;   in Loop: Header=BB252_9 Depth=1
	s_or_b64 exec, exec, s[38:39]
.LBB252_26:                             ;   in Loop: Header=BB252_9 Depth=1
	s_or_b64 exec, exec, s[36:37]
.LBB252_27:                             ;   in Loop: Header=BB252_9 Depth=1
	s_or_b64 exec, exec, s[34:35]
	v_lshrrev_b16_e32 v1, 8, v1
	v_cmp_ne_u16_e64 s[4:5], 0, v1
	v_mov_b32_e32 v23, 0
	v_mov_b32_e32 v22, 0
	s_and_saveexec_b64 s[34:35], s[4:5]
	s_cbranch_execz .LBB252_33
; %bb.28:                               ;   in Loop: Header=BB252_9 Depth=1
	v_cmp_ne_u16_e64 s[4:5], s42, v1
	v_bfrev_b32_e32 v22, 1
	s_and_saveexec_b64 s[36:37], s[4:5]
	s_cbranch_execz .LBB252_32
; %bb.29:                               ;   in Loop: Header=BB252_9 Depth=1
	v_and_b32_e32 v3, 0x7f, v1
	v_cmp_ne_u32_e64 s[4:5], s43, v3
	v_mov_b32_e32 v22, 0x7c010000
	s_and_saveexec_b64 s[38:39], s[4:5]
	s_cbranch_execz .LBB252_31
; %bb.30:                               ;   in Loop: Header=BB252_9 Depth=1
	v_and_b32_e32 v4, 7, v1
	v_ffbh_u32_e32 v22, v4
	v_min_u32_e32 v22, 32, v22
	v_lshrrev_b32_e32 v9, 3, v3
	v_subrev_u32_e32 v24, 28, v22
	v_sub_u32_e32 v22, 29, v22
	v_cmp_gt_u32_e64 s[4:5], 8, v3
	v_lshlrev_b64 v[24:25], v24, v[1:2]
	v_cndmask_b32_e64 v3, v9, v22, s[4:5]
	v_mov_b32_e32 v0, 0x2000
	v_lshlrev_b32_e32 v1, 8, v1
	v_lshl_add_u32 v3, v3, 10, v0
	v_and_b32_e32 v9, 7, v24
	v_and_or_b32 v1, v1, s44, v3
	v_cndmask_b32_e64 v4, v4, v9, s[4:5]
	v_lshlrev_b32_e32 v1, 16, v1
	v_lshl_or_b32 v22, v4, 23, v1
.LBB252_31:                             ;   in Loop: Header=BB252_9 Depth=1
	s_or_b64 exec, exec, s[38:39]
.LBB252_32:                             ;   in Loop: Header=BB252_9 Depth=1
	s_or_b64 exec, exec, s[36:37]
.LBB252_33:                             ;   in Loop: Header=BB252_9 Depth=1
	s_or_b64 exec, exec, s[34:35]
	global_load_ushort v3, v[7:8], off offset:256
	s_waitcnt vmcnt(0)
	v_and_b32_e32 v1, 0xffff, v3
	v_cmp_ne_u16_sdwa s[4:5], v3, v2 src0_sel:BYTE_0 src1_sel:DWORD
	s_and_saveexec_b64 s[34:35], s[4:5]
	s_cbranch_execz .LBB252_39
; %bb.34:                               ;   in Loop: Header=BB252_9 Depth=1
	v_cmp_ne_u16_sdwa s[4:5], v1, s42 src0_sel:BYTE_0 src1_sel:DWORD
	v_mov_b32_e32 v23, 0x8000
	s_and_saveexec_b64 s[36:37], s[4:5]
	s_cbranch_execz .LBB252_38
; %bb.35:                               ;   in Loop: Header=BB252_9 Depth=1
	v_and_b32_e32 v3, 0x7f, v1
	v_cmp_ne_u32_e64 s[4:5], s43, v3
	v_mov_b32_e32 v23, 0x7c01
	s_and_saveexec_b64 s[38:39], s[4:5]
	s_cbranch_execz .LBB252_37
; %bb.36:                               ;   in Loop: Header=BB252_9 Depth=1
	v_and_b32_e32 v4, 7, v1
	v_ffbh_u32_e32 v23, v4
	v_min_u32_e32 v25, 32, v23
	v_subrev_u32_e32 v23, 28, v25
	v_lshlrev_b64 v[23:24], v23, v[1:2]
	v_lshrrev_b32_e32 v9, 3, v3
	v_sub_u32_e32 v24, 29, v25
	v_cmp_gt_u32_e64 s[4:5], 8, v3
	v_cndmask_b32_e64 v3, v9, v24, s[4:5]
	v_mov_b32_e32 v0, 0x2000
	v_lshl_add_u32 v3, v3, 10, v0
	v_lshlrev_b32_e32 v9, 8, v1
	v_and_b32_e32 v23, 7, v23
	v_and_b32_e32 v3, 0xfc00, v3
	v_cndmask_b32_e64 v4, v4, v23, s[4:5]
	v_and_or_b32 v3, v9, s44, v3
	v_lshl_or_b32 v23, v4, 7, v3
.LBB252_37:                             ;   in Loop: Header=BB252_9 Depth=1
	s_or_b64 exec, exec, s[38:39]
.LBB252_38:                             ;   in Loop: Header=BB252_9 Depth=1
	s_or_b64 exec, exec, s[36:37]
.LBB252_39:                             ;   in Loop: Header=BB252_9 Depth=1
	s_or_b64 exec, exec, s[34:35]
	v_lshrrev_b16_e32 v1, 8, v1
	v_cmp_ne_u16_e64 s[4:5], 0, v1
	v_mov_b32_e32 v25, 0
	v_mov_b32_e32 v24, 0
	s_and_saveexec_b64 s[34:35], s[4:5]
	s_cbranch_execz .LBB252_45
; %bb.40:                               ;   in Loop: Header=BB252_9 Depth=1
	v_cmp_ne_u16_e64 s[4:5], s42, v1
	v_bfrev_b32_e32 v24, 1
	s_and_saveexec_b64 s[36:37], s[4:5]
	s_cbranch_execz .LBB252_44
; %bb.41:                               ;   in Loop: Header=BB252_9 Depth=1
	v_and_b32_e32 v3, 0x7f, v1
	v_cmp_ne_u32_e64 s[4:5], s43, v3
	v_mov_b32_e32 v24, 0x7c010000
	s_and_saveexec_b64 s[38:39], s[4:5]
	s_cbranch_execz .LBB252_43
; %bb.42:                               ;   in Loop: Header=BB252_9 Depth=1
	v_and_b32_e32 v4, 7, v1
	v_ffbh_u32_e32 v24, v4
	v_min_u32_e32 v24, 32, v24
	v_lshrrev_b32_e32 v9, 3, v3
	v_subrev_u32_e32 v26, 28, v24
	v_sub_u32_e32 v24, 29, v24
	v_cmp_gt_u32_e64 s[4:5], 8, v3
	v_lshlrev_b64 v[26:27], v26, v[1:2]
	v_cndmask_b32_e64 v3, v9, v24, s[4:5]
	v_mov_b32_e32 v0, 0x2000
	v_lshlrev_b32_e32 v1, 8, v1
	v_lshl_add_u32 v3, v3, 10, v0
	v_and_b32_e32 v9, 7, v26
	v_and_or_b32 v1, v1, s44, v3
	v_cndmask_b32_e64 v4, v4, v9, s[4:5]
	v_lshlrev_b32_e32 v1, 16, v1
	v_lshl_or_b32 v24, v4, 23, v1
.LBB252_43:                             ;   in Loop: Header=BB252_9 Depth=1
	s_or_b64 exec, exec, s[38:39]
.LBB252_44:                             ;   in Loop: Header=BB252_9 Depth=1
	s_or_b64 exec, exec, s[36:37]
.LBB252_45:                             ;   in Loop: Header=BB252_9 Depth=1
	s_or_b64 exec, exec, s[34:35]
	global_load_ushort v3, v[7:8], off offset:264
	s_waitcnt vmcnt(0)
	v_and_b32_e32 v1, 0xffff, v3
	v_cmp_ne_u16_sdwa s[4:5], v3, v2 src0_sel:BYTE_0 src1_sel:DWORD
	s_and_saveexec_b64 s[34:35], s[4:5]
	s_cbranch_execz .LBB252_51
; %bb.46:                               ;   in Loop: Header=BB252_9 Depth=1
	v_cmp_ne_u16_sdwa s[4:5], v1, s42 src0_sel:BYTE_0 src1_sel:DWORD
	v_mov_b32_e32 v25, 0x8000
	s_and_saveexec_b64 s[36:37], s[4:5]
	s_cbranch_execz .LBB252_50
; %bb.47:                               ;   in Loop: Header=BB252_9 Depth=1
	v_and_b32_e32 v3, 0x7f, v1
	v_cmp_ne_u32_e64 s[4:5], s43, v3
	v_mov_b32_e32 v25, 0x7c01
	s_and_saveexec_b64 s[38:39], s[4:5]
	s_cbranch_execz .LBB252_49
; %bb.48:                               ;   in Loop: Header=BB252_9 Depth=1
	v_and_b32_e32 v4, 7, v1
	v_ffbh_u32_e32 v25, v4
	v_min_u32_e32 v27, 32, v25
	v_subrev_u32_e32 v25, 28, v27
	v_lshlrev_b64 v[25:26], v25, v[1:2]
	v_lshrrev_b32_e32 v9, 3, v3
	v_sub_u32_e32 v26, 29, v27
	v_cmp_gt_u32_e64 s[4:5], 8, v3
	v_cndmask_b32_e64 v3, v9, v26, s[4:5]
	v_mov_b32_e32 v0, 0x2000
	v_lshl_add_u32 v3, v3, 10, v0
	v_lshlrev_b32_e32 v9, 8, v1
	v_and_b32_e32 v25, 7, v25
	v_and_b32_e32 v3, 0xfc00, v3
	v_cndmask_b32_e64 v4, v4, v25, s[4:5]
	v_and_or_b32 v3, v9, s44, v3
	v_lshl_or_b32 v25, v4, 7, v3
.LBB252_49:                             ;   in Loop: Header=BB252_9 Depth=1
	s_or_b64 exec, exec, s[38:39]
.LBB252_50:                             ;   in Loop: Header=BB252_9 Depth=1
	s_or_b64 exec, exec, s[36:37]
.LBB252_51:                             ;   in Loop: Header=BB252_9 Depth=1
	s_or_b64 exec, exec, s[34:35]
	v_lshrrev_b16_e32 v1, 8, v1
	v_cmp_ne_u16_e64 s[4:5], 0, v1
	v_mov_b32_e32 v27, 0
	v_mov_b32_e32 v26, 0
	s_and_saveexec_b64 s[34:35], s[4:5]
	s_cbranch_execz .LBB252_57
; %bb.52:                               ;   in Loop: Header=BB252_9 Depth=1
	v_cmp_ne_u16_e64 s[4:5], s42, v1
	v_bfrev_b32_e32 v26, 1
	s_and_saveexec_b64 s[36:37], s[4:5]
	s_cbranch_execz .LBB252_56
; %bb.53:                               ;   in Loop: Header=BB252_9 Depth=1
	v_and_b32_e32 v3, 0x7f, v1
	v_cmp_ne_u32_e64 s[4:5], s43, v3
	v_mov_b32_e32 v26, 0x7c010000
	s_and_saveexec_b64 s[38:39], s[4:5]
	s_cbranch_execz .LBB252_55
; %bb.54:                               ;   in Loop: Header=BB252_9 Depth=1
	v_and_b32_e32 v4, 7, v1
	v_ffbh_u32_e32 v26, v4
	v_min_u32_e32 v26, 32, v26
	v_lshrrev_b32_e32 v9, 3, v3
	v_subrev_u32_e32 v28, 28, v26
	v_sub_u32_e32 v26, 29, v26
	v_cmp_gt_u32_e64 s[4:5], 8, v3
	v_lshlrev_b64 v[28:29], v28, v[1:2]
	v_cndmask_b32_e64 v3, v9, v26, s[4:5]
	v_mov_b32_e32 v0, 0x2000
	v_lshlrev_b32_e32 v1, 8, v1
	v_lshl_add_u32 v3, v3, 10, v0
	v_and_b32_e32 v9, 7, v28
	v_and_or_b32 v1, v1, s44, v3
	v_cndmask_b32_e64 v4, v4, v9, s[4:5]
	v_lshlrev_b32_e32 v1, 16, v1
	v_lshl_or_b32 v26, v4, 23, v1
.LBB252_55:                             ;   in Loop: Header=BB252_9 Depth=1
	s_or_b64 exec, exec, s[38:39]
.LBB252_56:                             ;   in Loop: Header=BB252_9 Depth=1
	s_or_b64 exec, exec, s[36:37]
.LBB252_57:                             ;   in Loop: Header=BB252_9 Depth=1
	s_or_b64 exec, exec, s[34:35]
	global_load_ushort v3, v[7:8], off offset:512
	s_waitcnt vmcnt(0)
	v_and_b32_e32 v1, 0xffff, v3
	v_cmp_ne_u16_sdwa s[4:5], v3, v2 src0_sel:BYTE_0 src1_sel:DWORD
	s_and_saveexec_b64 s[34:35], s[4:5]
	s_cbranch_execz .LBB252_63
; %bb.58:                               ;   in Loop: Header=BB252_9 Depth=1
	v_cmp_ne_u16_sdwa s[4:5], v1, s42 src0_sel:BYTE_0 src1_sel:DWORD
	v_mov_b32_e32 v27, 0x8000
	s_and_saveexec_b64 s[36:37], s[4:5]
	s_cbranch_execz .LBB252_62
; %bb.59:                               ;   in Loop: Header=BB252_9 Depth=1
	v_and_b32_e32 v3, 0x7f, v1
	v_cmp_ne_u32_e64 s[4:5], s43, v3
	v_mov_b32_e32 v27, 0x7c01
	s_and_saveexec_b64 s[38:39], s[4:5]
	s_cbranch_execz .LBB252_61
; %bb.60:                               ;   in Loop: Header=BB252_9 Depth=1
	v_and_b32_e32 v4, 7, v1
	v_ffbh_u32_e32 v27, v4
	v_min_u32_e32 v29, 32, v27
	v_subrev_u32_e32 v27, 28, v29
	v_lshlrev_b64 v[27:28], v27, v[1:2]
	v_lshrrev_b32_e32 v9, 3, v3
	v_sub_u32_e32 v28, 29, v29
	v_cmp_gt_u32_e64 s[4:5], 8, v3
	v_cndmask_b32_e64 v3, v9, v28, s[4:5]
	v_mov_b32_e32 v0, 0x2000
	v_lshl_add_u32 v3, v3, 10, v0
	v_lshlrev_b32_e32 v9, 8, v1
	v_and_b32_e32 v27, 7, v27
	v_and_b32_e32 v3, 0xfc00, v3
	v_cndmask_b32_e64 v4, v4, v27, s[4:5]
	v_and_or_b32 v3, v9, s44, v3
	v_lshl_or_b32 v27, v4, 7, v3
.LBB252_61:                             ;   in Loop: Header=BB252_9 Depth=1
	s_or_b64 exec, exec, s[38:39]
.LBB252_62:                             ;   in Loop: Header=BB252_9 Depth=1
	s_or_b64 exec, exec, s[36:37]
.LBB252_63:                             ;   in Loop: Header=BB252_9 Depth=1
	s_or_b64 exec, exec, s[34:35]
	v_lshrrev_b16_e32 v1, 8, v1
	v_cmp_ne_u16_e64 s[4:5], 0, v1
	v_mov_b32_e32 v29, 0
	v_mov_b32_e32 v28, 0
	s_and_saveexec_b64 s[34:35], s[4:5]
	s_cbranch_execz .LBB252_69
; %bb.64:                               ;   in Loop: Header=BB252_9 Depth=1
	v_cmp_ne_u16_e64 s[4:5], s42, v1
	v_bfrev_b32_e32 v28, 1
	s_and_saveexec_b64 s[36:37], s[4:5]
	s_cbranch_execz .LBB252_68
; %bb.65:                               ;   in Loop: Header=BB252_9 Depth=1
	v_and_b32_e32 v3, 0x7f, v1
	v_cmp_ne_u32_e64 s[4:5], s43, v3
	v_mov_b32_e32 v28, 0x7c010000
	s_and_saveexec_b64 s[38:39], s[4:5]
	s_cbranch_execz .LBB252_67
; %bb.66:                               ;   in Loop: Header=BB252_9 Depth=1
	v_and_b32_e32 v4, 7, v1
	v_ffbh_u32_e32 v28, v4
	v_min_u32_e32 v28, 32, v28
	v_lshrrev_b32_e32 v9, 3, v3
	v_subrev_u32_e32 v30, 28, v28
	v_sub_u32_e32 v28, 29, v28
	v_cmp_gt_u32_e64 s[4:5], 8, v3
	v_lshlrev_b64 v[30:31], v30, v[1:2]
	v_cndmask_b32_e64 v3, v9, v28, s[4:5]
	v_mov_b32_e32 v0, 0x2000
	v_lshlrev_b32_e32 v1, 8, v1
	v_lshl_add_u32 v3, v3, 10, v0
	v_and_b32_e32 v9, 7, v30
	v_and_or_b32 v1, v1, s44, v3
	v_cndmask_b32_e64 v4, v4, v9, s[4:5]
	v_lshlrev_b32_e32 v1, 16, v1
	v_lshl_or_b32 v28, v4, 23, v1
.LBB252_67:                             ;   in Loop: Header=BB252_9 Depth=1
	s_or_b64 exec, exec, s[38:39]
.LBB252_68:                             ;   in Loop: Header=BB252_9 Depth=1
	s_or_b64 exec, exec, s[36:37]
.LBB252_69:                             ;   in Loop: Header=BB252_9 Depth=1
	s_or_b64 exec, exec, s[34:35]
	global_load_ushort v3, v[7:8], off offset:520
	s_waitcnt vmcnt(0)
	v_and_b32_e32 v1, 0xffff, v3
	v_cmp_ne_u16_sdwa s[4:5], v3, v2 src0_sel:BYTE_0 src1_sel:DWORD
	s_and_saveexec_b64 s[34:35], s[4:5]
	s_cbranch_execz .LBB252_75
; %bb.70:                               ;   in Loop: Header=BB252_9 Depth=1
	v_cmp_ne_u16_sdwa s[4:5], v1, s42 src0_sel:BYTE_0 src1_sel:DWORD
	v_mov_b32_e32 v29, 0x8000
	s_and_saveexec_b64 s[36:37], s[4:5]
	s_cbranch_execz .LBB252_74
; %bb.71:                               ;   in Loop: Header=BB252_9 Depth=1
	v_and_b32_e32 v3, 0x7f, v1
	v_cmp_ne_u32_e64 s[4:5], s43, v3
	v_mov_b32_e32 v29, 0x7c01
	s_and_saveexec_b64 s[38:39], s[4:5]
	s_cbranch_execz .LBB252_73
; %bb.72:                               ;   in Loop: Header=BB252_9 Depth=1
	v_and_b32_e32 v4, 7, v1
	v_ffbh_u32_e32 v29, v4
	v_min_u32_e32 v31, 32, v29
	v_subrev_u32_e32 v29, 28, v31
	v_lshlrev_b64 v[29:30], v29, v[1:2]
	v_lshrrev_b32_e32 v9, 3, v3
	v_sub_u32_e32 v30, 29, v31
	v_cmp_gt_u32_e64 s[4:5], 8, v3
	v_cndmask_b32_e64 v3, v9, v30, s[4:5]
	v_mov_b32_e32 v0, 0x2000
	v_lshl_add_u32 v3, v3, 10, v0
	v_lshlrev_b32_e32 v9, 8, v1
	v_and_b32_e32 v29, 7, v29
	v_and_b32_e32 v3, 0xfc00, v3
	v_cndmask_b32_e64 v4, v4, v29, s[4:5]
	v_and_or_b32 v3, v9, s44, v3
	v_lshl_or_b32 v29, v4, 7, v3
.LBB252_73:                             ;   in Loop: Header=BB252_9 Depth=1
	s_or_b64 exec, exec, s[38:39]
.LBB252_74:                             ;   in Loop: Header=BB252_9 Depth=1
	s_or_b64 exec, exec, s[36:37]
.LBB252_75:                             ;   in Loop: Header=BB252_9 Depth=1
	s_or_b64 exec, exec, s[34:35]
	v_lshrrev_b16_e32 v1, 8, v1
	v_cmp_ne_u16_e64 s[4:5], 0, v1
	v_mov_b32_e32 v31, 0
	v_mov_b32_e32 v30, 0
	s_and_saveexec_b64 s[34:35], s[4:5]
	s_cbranch_execz .LBB252_81
; %bb.76:                               ;   in Loop: Header=BB252_9 Depth=1
	v_cmp_ne_u16_e64 s[4:5], s42, v1
	v_bfrev_b32_e32 v30, 1
	s_and_saveexec_b64 s[36:37], s[4:5]
	s_cbranch_execz .LBB252_80
; %bb.77:                               ;   in Loop: Header=BB252_9 Depth=1
	v_and_b32_e32 v3, 0x7f, v1
	v_cmp_ne_u32_e64 s[4:5], s43, v3
	v_mov_b32_e32 v30, 0x7c010000
	s_and_saveexec_b64 s[38:39], s[4:5]
	s_cbranch_execz .LBB252_79
; %bb.78:                               ;   in Loop: Header=BB252_9 Depth=1
	v_and_b32_e32 v4, 7, v1
	v_ffbh_u32_e32 v30, v4
	v_min_u32_e32 v30, 32, v30
	v_lshrrev_b32_e32 v9, 3, v3
	v_subrev_u32_e32 v32, 28, v30
	v_sub_u32_e32 v30, 29, v30
	v_cmp_gt_u32_e64 s[4:5], 8, v3
	v_lshlrev_b64 v[32:33], v32, v[1:2]
	v_cndmask_b32_e64 v3, v9, v30, s[4:5]
	v_mov_b32_e32 v0, 0x2000
	v_lshlrev_b32_e32 v1, 8, v1
	v_lshl_add_u32 v3, v3, 10, v0
	v_and_b32_e32 v9, 7, v32
	v_and_or_b32 v1, v1, s44, v3
	v_cndmask_b32_e64 v4, v4, v9, s[4:5]
	v_lshlrev_b32_e32 v1, 16, v1
	v_lshl_or_b32 v30, v4, 23, v1
.LBB252_79:                             ;   in Loop: Header=BB252_9 Depth=1
	s_or_b64 exec, exec, s[38:39]
.LBB252_80:                             ;   in Loop: Header=BB252_9 Depth=1
	s_or_b64 exec, exec, s[36:37]
.LBB252_81:                             ;   in Loop: Header=BB252_9 Depth=1
	s_or_b64 exec, exec, s[34:35]
	global_load_ushort v3, v[7:8], off offset:768
	s_waitcnt vmcnt(0)
	v_and_b32_e32 v1, 0xffff, v3
	v_cmp_ne_u16_sdwa s[4:5], v3, v2 src0_sel:BYTE_0 src1_sel:DWORD
	s_and_saveexec_b64 s[34:35], s[4:5]
	s_cbranch_execz .LBB252_87
; %bb.82:                               ;   in Loop: Header=BB252_9 Depth=1
	v_cmp_ne_u16_sdwa s[4:5], v1, s42 src0_sel:BYTE_0 src1_sel:DWORD
	v_mov_b32_e32 v31, 0x8000
	s_and_saveexec_b64 s[36:37], s[4:5]
	s_cbranch_execz .LBB252_86
; %bb.83:                               ;   in Loop: Header=BB252_9 Depth=1
	v_and_b32_e32 v3, 0x7f, v1
	v_cmp_ne_u32_e64 s[4:5], s43, v3
	v_mov_b32_e32 v31, 0x7c01
	s_and_saveexec_b64 s[38:39], s[4:5]
	s_cbranch_execz .LBB252_85
; %bb.84:                               ;   in Loop: Header=BB252_9 Depth=1
	v_and_b32_e32 v4, 7, v1
	v_ffbh_u32_e32 v31, v4
	v_min_u32_e32 v33, 32, v31
	v_subrev_u32_e32 v31, 28, v33
	v_lshlrev_b64 v[31:32], v31, v[1:2]
	v_lshrrev_b32_e32 v9, 3, v3
	v_sub_u32_e32 v32, 29, v33
	v_cmp_gt_u32_e64 s[4:5], 8, v3
	v_cndmask_b32_e64 v3, v9, v32, s[4:5]
	v_mov_b32_e32 v0, 0x2000
	v_lshl_add_u32 v3, v3, 10, v0
	v_lshlrev_b32_e32 v9, 8, v1
	v_and_b32_e32 v31, 7, v31
	v_and_b32_e32 v3, 0xfc00, v3
	v_cndmask_b32_e64 v4, v4, v31, s[4:5]
	v_and_or_b32 v3, v9, s44, v3
	v_lshl_or_b32 v31, v4, 7, v3
.LBB252_85:                             ;   in Loop: Header=BB252_9 Depth=1
	s_or_b64 exec, exec, s[38:39]
.LBB252_86:                             ;   in Loop: Header=BB252_9 Depth=1
	s_or_b64 exec, exec, s[36:37]
.LBB252_87:                             ;   in Loop: Header=BB252_9 Depth=1
	s_or_b64 exec, exec, s[34:35]
	v_lshrrev_b16_e32 v1, 8, v1
	v_cmp_ne_u16_e64 s[4:5], 0, v1
	v_mov_b32_e32 v33, 0
	v_mov_b32_e32 v32, 0
	s_and_saveexec_b64 s[34:35], s[4:5]
	s_cbranch_execz .LBB252_93
; %bb.88:                               ;   in Loop: Header=BB252_9 Depth=1
	v_cmp_ne_u16_e64 s[4:5], s42, v1
	v_bfrev_b32_e32 v32, 1
	s_and_saveexec_b64 s[36:37], s[4:5]
	s_cbranch_execz .LBB252_92
; %bb.89:                               ;   in Loop: Header=BB252_9 Depth=1
	v_and_b32_e32 v3, 0x7f, v1
	v_cmp_ne_u32_e64 s[4:5], s43, v3
	v_mov_b32_e32 v32, 0x7c010000
	s_and_saveexec_b64 s[38:39], s[4:5]
	s_cbranch_execz .LBB252_91
; %bb.90:                               ;   in Loop: Header=BB252_9 Depth=1
	v_and_b32_e32 v4, 7, v1
	v_ffbh_u32_e32 v32, v4
	v_min_u32_e32 v32, 32, v32
	v_lshrrev_b32_e32 v9, 3, v3
	v_subrev_u32_e32 v34, 28, v32
	v_sub_u32_e32 v32, 29, v32
	v_cmp_gt_u32_e64 s[4:5], 8, v3
	v_lshlrev_b64 v[34:35], v34, v[1:2]
	v_cndmask_b32_e64 v3, v9, v32, s[4:5]
	v_mov_b32_e32 v0, 0x2000
	v_lshlrev_b32_e32 v1, 8, v1
	v_lshl_add_u32 v3, v3, 10, v0
	v_and_b32_e32 v9, 7, v34
	v_and_or_b32 v1, v1, s44, v3
	v_cndmask_b32_e64 v4, v4, v9, s[4:5]
	v_lshlrev_b32_e32 v1, 16, v1
	v_lshl_or_b32 v32, v4, 23, v1
.LBB252_91:                             ;   in Loop: Header=BB252_9 Depth=1
	s_or_b64 exec, exec, s[38:39]
.LBB252_92:                             ;   in Loop: Header=BB252_9 Depth=1
	s_or_b64 exec, exec, s[36:37]
.LBB252_93:                             ;   in Loop: Header=BB252_9 Depth=1
	s_or_b64 exec, exec, s[34:35]
	global_load_ushort v3, v[7:8], off offset:776
	s_waitcnt vmcnt(0)
	v_and_b32_e32 v1, 0xffff, v3
	v_cmp_ne_u16_sdwa s[4:5], v3, v2 src0_sel:BYTE_0 src1_sel:DWORD
	s_and_saveexec_b64 s[34:35], s[4:5]
	s_cbranch_execz .LBB252_99
; %bb.94:                               ;   in Loop: Header=BB252_9 Depth=1
	v_cmp_ne_u16_sdwa s[4:5], v1, s42 src0_sel:BYTE_0 src1_sel:DWORD
	v_mov_b32_e32 v33, 0x8000
	s_and_saveexec_b64 s[36:37], s[4:5]
	s_cbranch_execz .LBB252_98
; %bb.95:                               ;   in Loop: Header=BB252_9 Depth=1
	v_and_b32_e32 v3, 0x7f, v1
	v_cmp_ne_u32_e64 s[4:5], s43, v3
	v_mov_b32_e32 v33, 0x7c01
	s_and_saveexec_b64 s[38:39], s[4:5]
	s_cbranch_execz .LBB252_97
; %bb.96:                               ;   in Loop: Header=BB252_9 Depth=1
	v_and_b32_e32 v4, 7, v1
	v_ffbh_u32_e32 v33, v4
	v_min_u32_e32 v35, 32, v33
	v_subrev_u32_e32 v33, 28, v35
	v_lshlrev_b64 v[33:34], v33, v[1:2]
	v_lshrrev_b32_e32 v9, 3, v3
	v_sub_u32_e32 v34, 29, v35
	v_cmp_gt_u32_e64 s[4:5], 8, v3
	v_cndmask_b32_e64 v3, v9, v34, s[4:5]
	v_mov_b32_e32 v0, 0x2000
	v_lshl_add_u32 v3, v3, 10, v0
	v_lshlrev_b32_e32 v9, 8, v1
	v_and_b32_e32 v33, 7, v33
	v_and_b32_e32 v3, 0xfc00, v3
	v_cndmask_b32_e64 v4, v4, v33, s[4:5]
	v_and_or_b32 v3, v9, s44, v3
	v_lshl_or_b32 v33, v4, 7, v3
.LBB252_97:                             ;   in Loop: Header=BB252_9 Depth=1
	s_or_b64 exec, exec, s[38:39]
.LBB252_98:                             ;   in Loop: Header=BB252_9 Depth=1
	s_or_b64 exec, exec, s[36:37]
.LBB252_99:                             ;   in Loop: Header=BB252_9 Depth=1
	s_or_b64 exec, exec, s[34:35]
	v_lshrrev_b16_e32 v1, 8, v1
	v_cmp_ne_u16_e64 s[4:5], 0, v1
	v_mov_b32_e32 v35, 0
	v_mov_b32_e32 v34, 0
	s_and_saveexec_b64 s[34:35], s[4:5]
	s_cbranch_execz .LBB252_105
; %bb.100:                              ;   in Loop: Header=BB252_9 Depth=1
	v_cmp_ne_u16_e64 s[4:5], s42, v1
	v_bfrev_b32_e32 v34, 1
	s_and_saveexec_b64 s[36:37], s[4:5]
	s_cbranch_execz .LBB252_104
; %bb.101:                              ;   in Loop: Header=BB252_9 Depth=1
	v_and_b32_e32 v3, 0x7f, v1
	v_cmp_ne_u32_e64 s[4:5], s43, v3
	v_mov_b32_e32 v34, 0x7c010000
	s_and_saveexec_b64 s[38:39], s[4:5]
	s_cbranch_execz .LBB252_103
; %bb.102:                              ;   in Loop: Header=BB252_9 Depth=1
	v_and_b32_e32 v4, 7, v1
	v_ffbh_u32_e32 v34, v4
	v_min_u32_e32 v34, 32, v34
	v_lshrrev_b32_e32 v9, 3, v3
	v_subrev_u32_e32 v36, 28, v34
	v_sub_u32_e32 v34, 29, v34
	v_cmp_gt_u32_e64 s[4:5], 8, v3
	v_lshlrev_b64 v[36:37], v36, v[1:2]
	v_cndmask_b32_e64 v3, v9, v34, s[4:5]
	v_mov_b32_e32 v0, 0x2000
	v_lshlrev_b32_e32 v1, 8, v1
	v_lshl_add_u32 v3, v3, 10, v0
	v_and_b32_e32 v9, 7, v36
	v_and_or_b32 v1, v1, s44, v3
	v_cndmask_b32_e64 v4, v4, v9, s[4:5]
	v_lshlrev_b32_e32 v1, 16, v1
	v_lshl_or_b32 v34, v4, 23, v1
.LBB252_103:                            ;   in Loop: Header=BB252_9 Depth=1
	s_or_b64 exec, exec, s[38:39]
.LBB252_104:                            ;   in Loop: Header=BB252_9 Depth=1
	s_or_b64 exec, exec, s[36:37]
.LBB252_105:                            ;   in Loop: Header=BB252_9 Depth=1
	s_or_b64 exec, exec, s[34:35]
	global_load_ushort v3, v[7:8], off offset:1024
	s_waitcnt vmcnt(0)
	v_and_b32_e32 v1, 0xffff, v3
	v_cmp_ne_u16_sdwa s[4:5], v3, v2 src0_sel:BYTE_0 src1_sel:DWORD
	s_and_saveexec_b64 s[34:35], s[4:5]
	s_cbranch_execz .LBB252_111
; %bb.106:                              ;   in Loop: Header=BB252_9 Depth=1
	v_cmp_ne_u16_sdwa s[4:5], v1, s42 src0_sel:BYTE_0 src1_sel:DWORD
	v_mov_b32_e32 v35, 0x8000
	s_and_saveexec_b64 s[36:37], s[4:5]
	s_cbranch_execz .LBB252_110
; %bb.107:                              ;   in Loop: Header=BB252_9 Depth=1
	v_and_b32_e32 v3, 0x7f, v1
	v_cmp_ne_u32_e64 s[4:5], s43, v3
	v_mov_b32_e32 v35, 0x7c01
	s_and_saveexec_b64 s[38:39], s[4:5]
	s_cbranch_execz .LBB252_109
; %bb.108:                              ;   in Loop: Header=BB252_9 Depth=1
	v_and_b32_e32 v4, 7, v1
	v_ffbh_u32_e32 v35, v4
	v_min_u32_e32 v37, 32, v35
	v_subrev_u32_e32 v35, 28, v37
	v_lshlrev_b64 v[35:36], v35, v[1:2]
	v_lshrrev_b32_e32 v9, 3, v3
	v_sub_u32_e32 v36, 29, v37
	v_cmp_gt_u32_e64 s[4:5], 8, v3
	v_cndmask_b32_e64 v3, v9, v36, s[4:5]
	v_mov_b32_e32 v0, 0x2000
	v_lshl_add_u32 v3, v3, 10, v0
	v_lshlrev_b32_e32 v9, 8, v1
	v_and_b32_e32 v35, 7, v35
	v_and_b32_e32 v3, 0xfc00, v3
	v_cndmask_b32_e64 v4, v4, v35, s[4:5]
	v_and_or_b32 v3, v9, s44, v3
	v_lshl_or_b32 v35, v4, 7, v3
.LBB252_109:                            ;   in Loop: Header=BB252_9 Depth=1
	s_or_b64 exec, exec, s[38:39]
.LBB252_110:                            ;   in Loop: Header=BB252_9 Depth=1
	s_or_b64 exec, exec, s[36:37]
.LBB252_111:                            ;   in Loop: Header=BB252_9 Depth=1
	s_or_b64 exec, exec, s[34:35]
	v_lshrrev_b16_e32 v1, 8, v1
	v_cmp_ne_u16_e64 s[4:5], 0, v1
	v_mov_b32_e32 v37, 0
	v_mov_b32_e32 v36, 0
	s_and_saveexec_b64 s[34:35], s[4:5]
	s_cbranch_execz .LBB252_117
; %bb.112:                              ;   in Loop: Header=BB252_9 Depth=1
	v_cmp_ne_u16_e64 s[4:5], s42, v1
	v_bfrev_b32_e32 v36, 1
	s_and_saveexec_b64 s[36:37], s[4:5]
	s_cbranch_execz .LBB252_116
; %bb.113:                              ;   in Loop: Header=BB252_9 Depth=1
	v_and_b32_e32 v3, 0x7f, v1
	v_cmp_ne_u32_e64 s[4:5], s43, v3
	v_mov_b32_e32 v36, 0x7c010000
	s_and_saveexec_b64 s[38:39], s[4:5]
	s_cbranch_execz .LBB252_115
; %bb.114:                              ;   in Loop: Header=BB252_9 Depth=1
	v_and_b32_e32 v4, 7, v1
	v_ffbh_u32_e32 v36, v4
	v_min_u32_e32 v36, 32, v36
	v_lshrrev_b32_e32 v9, 3, v3
	v_subrev_u32_e32 v38, 28, v36
	v_sub_u32_e32 v36, 29, v36
	v_cmp_gt_u32_e64 s[4:5], 8, v3
	v_lshlrev_b64 v[38:39], v38, v[1:2]
	v_cndmask_b32_e64 v3, v9, v36, s[4:5]
	v_mov_b32_e32 v0, 0x2000
	v_lshlrev_b32_e32 v1, 8, v1
	v_lshl_add_u32 v3, v3, 10, v0
	v_and_b32_e32 v9, 7, v38
	v_and_or_b32 v1, v1, s44, v3
	v_cndmask_b32_e64 v4, v4, v9, s[4:5]
	v_lshlrev_b32_e32 v1, 16, v1
	v_lshl_or_b32 v36, v4, 23, v1
.LBB252_115:                            ;   in Loop: Header=BB252_9 Depth=1
	s_or_b64 exec, exec, s[38:39]
.LBB252_116:                            ;   in Loop: Header=BB252_9 Depth=1
	s_or_b64 exec, exec, s[36:37]
.LBB252_117:                            ;   in Loop: Header=BB252_9 Depth=1
	s_or_b64 exec, exec, s[34:35]
	global_load_ushort v3, v[7:8], off offset:1032
	s_waitcnt vmcnt(0)
	v_and_b32_e32 v1, 0xffff, v3
	v_cmp_ne_u16_sdwa s[4:5], v3, v2 src0_sel:BYTE_0 src1_sel:DWORD
	s_and_saveexec_b64 s[34:35], s[4:5]
	s_cbranch_execz .LBB252_123
; %bb.118:                              ;   in Loop: Header=BB252_9 Depth=1
	v_cmp_ne_u16_sdwa s[4:5], v1, s42 src0_sel:BYTE_0 src1_sel:DWORD
	v_mov_b32_e32 v37, 0x8000
	s_and_saveexec_b64 s[36:37], s[4:5]
	s_cbranch_execz .LBB252_122
; %bb.119:                              ;   in Loop: Header=BB252_9 Depth=1
	v_and_b32_e32 v3, 0x7f, v1
	v_cmp_ne_u32_e64 s[4:5], s43, v3
	v_mov_b32_e32 v37, 0x7c01
	s_and_saveexec_b64 s[38:39], s[4:5]
	s_cbranch_execz .LBB252_121
; %bb.120:                              ;   in Loop: Header=BB252_9 Depth=1
	v_and_b32_e32 v4, 7, v1
	v_ffbh_u32_e32 v37, v4
	v_min_u32_e32 v39, 32, v37
	v_subrev_u32_e32 v37, 28, v39
	v_lshlrev_b64 v[37:38], v37, v[1:2]
	v_lshrrev_b32_e32 v9, 3, v3
	v_sub_u32_e32 v38, 29, v39
	v_cmp_gt_u32_e64 s[4:5], 8, v3
	v_cndmask_b32_e64 v3, v9, v38, s[4:5]
	v_mov_b32_e32 v0, 0x2000
	v_lshl_add_u32 v3, v3, 10, v0
	v_lshlrev_b32_e32 v9, 8, v1
	v_and_b32_e32 v37, 7, v37
	v_and_b32_e32 v3, 0xfc00, v3
	v_cndmask_b32_e64 v4, v4, v37, s[4:5]
	v_and_or_b32 v3, v9, s44, v3
	v_lshl_or_b32 v37, v4, 7, v3
.LBB252_121:                            ;   in Loop: Header=BB252_9 Depth=1
	s_or_b64 exec, exec, s[38:39]
.LBB252_122:                            ;   in Loop: Header=BB252_9 Depth=1
	s_or_b64 exec, exec, s[36:37]
.LBB252_123:                            ;   in Loop: Header=BB252_9 Depth=1
	s_or_b64 exec, exec, s[34:35]
	v_lshrrev_b16_e32 v1, 8, v1
	v_cmp_ne_u16_e64 s[4:5], 0, v1
	v_mov_b32_e32 v39, 0
	v_mov_b32_e32 v38, 0
	s_and_saveexec_b64 s[34:35], s[4:5]
	s_cbranch_execz .LBB252_129
; %bb.124:                              ;   in Loop: Header=BB252_9 Depth=1
	v_cmp_ne_u16_e64 s[4:5], s42, v1
	v_bfrev_b32_e32 v38, 1
	s_and_saveexec_b64 s[36:37], s[4:5]
	s_cbranch_execz .LBB252_128
; %bb.125:                              ;   in Loop: Header=BB252_9 Depth=1
	v_and_b32_e32 v3, 0x7f, v1
	v_cmp_ne_u32_e64 s[4:5], s43, v3
	v_mov_b32_e32 v38, 0x7c010000
	s_and_saveexec_b64 s[38:39], s[4:5]
	s_cbranch_execz .LBB252_127
; %bb.126:                              ;   in Loop: Header=BB252_9 Depth=1
	v_and_b32_e32 v4, 7, v1
	v_ffbh_u32_e32 v38, v4
	v_min_u32_e32 v38, 32, v38
	v_lshrrev_b32_e32 v9, 3, v3
	v_subrev_u32_e32 v40, 28, v38
	v_sub_u32_e32 v38, 29, v38
	v_cmp_gt_u32_e64 s[4:5], 8, v3
	v_lshlrev_b64 v[40:41], v40, v[1:2]
	v_cndmask_b32_e64 v3, v9, v38, s[4:5]
	v_mov_b32_e32 v0, 0x2000
	v_lshlrev_b32_e32 v1, 8, v1
	v_lshl_add_u32 v3, v3, 10, v0
	v_and_b32_e32 v9, 7, v40
	v_and_or_b32 v1, v1, s44, v3
	v_cndmask_b32_e64 v4, v4, v9, s[4:5]
	v_lshlrev_b32_e32 v1, 16, v1
	v_lshl_or_b32 v38, v4, 23, v1
.LBB252_127:                            ;   in Loop: Header=BB252_9 Depth=1
	s_or_b64 exec, exec, s[38:39]
.LBB252_128:                            ;   in Loop: Header=BB252_9 Depth=1
	s_or_b64 exec, exec, s[36:37]
.LBB252_129:                            ;   in Loop: Header=BB252_9 Depth=1
	s_or_b64 exec, exec, s[34:35]
	global_load_ushort v3, v[7:8], off offset:1280
	s_waitcnt vmcnt(0)
	v_and_b32_e32 v1, 0xffff, v3
	v_cmp_ne_u16_sdwa s[4:5], v3, v2 src0_sel:BYTE_0 src1_sel:DWORD
	s_and_saveexec_b64 s[34:35], s[4:5]
	s_cbranch_execz .LBB252_135
; %bb.130:                              ;   in Loop: Header=BB252_9 Depth=1
	v_cmp_ne_u16_sdwa s[4:5], v1, s42 src0_sel:BYTE_0 src1_sel:DWORD
	v_mov_b32_e32 v39, 0x8000
	s_and_saveexec_b64 s[36:37], s[4:5]
	s_cbranch_execz .LBB252_134
; %bb.131:                              ;   in Loop: Header=BB252_9 Depth=1
	v_and_b32_e32 v3, 0x7f, v1
	v_cmp_ne_u32_e64 s[4:5], s43, v3
	v_mov_b32_e32 v39, 0x7c01
	s_and_saveexec_b64 s[38:39], s[4:5]
	s_cbranch_execz .LBB252_133
; %bb.132:                              ;   in Loop: Header=BB252_9 Depth=1
	v_and_b32_e32 v4, 7, v1
	v_ffbh_u32_e32 v39, v4
	v_min_u32_e32 v41, 32, v39
	v_subrev_u32_e32 v39, 28, v41
	v_lshlrev_b64 v[39:40], v39, v[1:2]
	v_lshrrev_b32_e32 v9, 3, v3
	v_sub_u32_e32 v40, 29, v41
	v_cmp_gt_u32_e64 s[4:5], 8, v3
	v_cndmask_b32_e64 v3, v9, v40, s[4:5]
	v_mov_b32_e32 v0, 0x2000
	v_lshl_add_u32 v3, v3, 10, v0
	v_lshlrev_b32_e32 v9, 8, v1
	v_and_b32_e32 v39, 7, v39
	v_and_b32_e32 v3, 0xfc00, v3
	v_cndmask_b32_e64 v4, v4, v39, s[4:5]
	v_and_or_b32 v3, v9, s44, v3
	v_lshl_or_b32 v39, v4, 7, v3
.LBB252_133:                            ;   in Loop: Header=BB252_9 Depth=1
	s_or_b64 exec, exec, s[38:39]
.LBB252_134:                            ;   in Loop: Header=BB252_9 Depth=1
	s_or_b64 exec, exec, s[36:37]
.LBB252_135:                            ;   in Loop: Header=BB252_9 Depth=1
	s_or_b64 exec, exec, s[34:35]
	v_lshrrev_b16_e32 v1, 8, v1
	v_cmp_ne_u16_e64 s[4:5], 0, v1
	v_mov_b32_e32 v41, 0
	v_mov_b32_e32 v40, 0
	s_and_saveexec_b64 s[34:35], s[4:5]
	s_cbranch_execz .LBB252_141
; %bb.136:                              ;   in Loop: Header=BB252_9 Depth=1
	v_cmp_ne_u16_e64 s[4:5], s42, v1
	v_bfrev_b32_e32 v40, 1
	s_and_saveexec_b64 s[36:37], s[4:5]
	s_cbranch_execz .LBB252_140
; %bb.137:                              ;   in Loop: Header=BB252_9 Depth=1
	v_and_b32_e32 v3, 0x7f, v1
	v_cmp_ne_u32_e64 s[4:5], s43, v3
	v_mov_b32_e32 v40, 0x7c010000
	s_and_saveexec_b64 s[38:39], s[4:5]
	s_cbranch_execz .LBB252_139
; %bb.138:                              ;   in Loop: Header=BB252_9 Depth=1
	v_and_b32_e32 v4, 7, v1
	v_ffbh_u32_e32 v40, v4
	v_min_u32_e32 v40, 32, v40
	v_lshrrev_b32_e32 v9, 3, v3
	v_subrev_u32_e32 v42, 28, v40
	v_sub_u32_e32 v40, 29, v40
	v_cmp_gt_u32_e64 s[4:5], 8, v3
	v_lshlrev_b64 v[42:43], v42, v[1:2]
	v_cndmask_b32_e64 v3, v9, v40, s[4:5]
	v_mov_b32_e32 v0, 0x2000
	v_lshlrev_b32_e32 v1, 8, v1
	v_lshl_add_u32 v3, v3, 10, v0
	v_and_b32_e32 v9, 7, v42
	v_and_or_b32 v1, v1, s44, v3
	v_cndmask_b32_e64 v4, v4, v9, s[4:5]
	v_lshlrev_b32_e32 v1, 16, v1
	v_lshl_or_b32 v40, v4, 23, v1
.LBB252_139:                            ;   in Loop: Header=BB252_9 Depth=1
	s_or_b64 exec, exec, s[38:39]
.LBB252_140:                            ;   in Loop: Header=BB252_9 Depth=1
	s_or_b64 exec, exec, s[36:37]
.LBB252_141:                            ;   in Loop: Header=BB252_9 Depth=1
	s_or_b64 exec, exec, s[34:35]
	global_load_ushort v3, v[7:8], off offset:1288
	s_waitcnt vmcnt(0)
	v_and_b32_e32 v1, 0xffff, v3
	v_cmp_ne_u16_sdwa s[4:5], v3, v2 src0_sel:BYTE_0 src1_sel:DWORD
	s_and_saveexec_b64 s[34:35], s[4:5]
	s_cbranch_execz .LBB252_147
; %bb.142:                              ;   in Loop: Header=BB252_9 Depth=1
	v_cmp_ne_u16_sdwa s[4:5], v1, s42 src0_sel:BYTE_0 src1_sel:DWORD
	v_mov_b32_e32 v41, 0x8000
	s_and_saveexec_b64 s[36:37], s[4:5]
	s_cbranch_execz .LBB252_146
; %bb.143:                              ;   in Loop: Header=BB252_9 Depth=1
	v_and_b32_e32 v3, 0x7f, v1
	v_cmp_ne_u32_e64 s[4:5], s43, v3
	v_mov_b32_e32 v41, 0x7c01
	s_and_saveexec_b64 s[38:39], s[4:5]
	s_cbranch_execz .LBB252_145
; %bb.144:                              ;   in Loop: Header=BB252_9 Depth=1
	v_and_b32_e32 v4, 7, v1
	v_ffbh_u32_e32 v41, v4
	v_min_u32_e32 v43, 32, v41
	v_subrev_u32_e32 v41, 28, v43
	v_lshlrev_b64 v[41:42], v41, v[1:2]
	v_lshrrev_b32_e32 v9, 3, v3
	v_sub_u32_e32 v42, 29, v43
	v_cmp_gt_u32_e64 s[4:5], 8, v3
	v_cndmask_b32_e64 v3, v9, v42, s[4:5]
	v_mov_b32_e32 v0, 0x2000
	v_lshl_add_u32 v3, v3, 10, v0
	v_lshlrev_b32_e32 v9, 8, v1
	v_and_b32_e32 v41, 7, v41
	v_and_b32_e32 v3, 0xfc00, v3
	v_cndmask_b32_e64 v4, v4, v41, s[4:5]
	v_and_or_b32 v3, v9, s44, v3
	v_lshl_or_b32 v41, v4, 7, v3
.LBB252_145:                            ;   in Loop: Header=BB252_9 Depth=1
	s_or_b64 exec, exec, s[38:39]
.LBB252_146:                            ;   in Loop: Header=BB252_9 Depth=1
	s_or_b64 exec, exec, s[36:37]
.LBB252_147:                            ;   in Loop: Header=BB252_9 Depth=1
	s_or_b64 exec, exec, s[34:35]
	v_lshrrev_b16_e32 v1, 8, v1
	v_cmp_ne_u16_e64 s[4:5], 0, v1
	v_mov_b32_e32 v43, 0
	v_mov_b32_e32 v42, 0
	s_and_saveexec_b64 s[34:35], s[4:5]
	s_cbranch_execz .LBB252_153
; %bb.148:                              ;   in Loop: Header=BB252_9 Depth=1
	v_cmp_ne_u16_e64 s[4:5], s42, v1
	v_bfrev_b32_e32 v42, 1
	s_and_saveexec_b64 s[36:37], s[4:5]
	s_cbranch_execz .LBB252_152
; %bb.149:                              ;   in Loop: Header=BB252_9 Depth=1
	v_and_b32_e32 v3, 0x7f, v1
	v_cmp_ne_u32_e64 s[4:5], s43, v3
	v_mov_b32_e32 v42, 0x7c010000
	s_and_saveexec_b64 s[38:39], s[4:5]
	s_cbranch_execz .LBB252_151
; %bb.150:                              ;   in Loop: Header=BB252_9 Depth=1
	v_and_b32_e32 v4, 7, v1
	v_ffbh_u32_e32 v42, v4
	v_min_u32_e32 v42, 32, v42
	v_lshrrev_b32_e32 v9, 3, v3
	v_subrev_u32_e32 v44, 28, v42
	v_sub_u32_e32 v42, 29, v42
	v_cmp_gt_u32_e64 s[4:5], 8, v3
	v_lshlrev_b64 v[44:45], v44, v[1:2]
	v_cndmask_b32_e64 v3, v9, v42, s[4:5]
	v_mov_b32_e32 v0, 0x2000
	v_lshlrev_b32_e32 v1, 8, v1
	v_lshl_add_u32 v3, v3, 10, v0
	v_and_b32_e32 v9, 7, v44
	v_and_or_b32 v1, v1, s44, v3
	v_cndmask_b32_e64 v4, v4, v9, s[4:5]
	v_lshlrev_b32_e32 v1, 16, v1
	v_lshl_or_b32 v42, v4, 23, v1
.LBB252_151:                            ;   in Loop: Header=BB252_9 Depth=1
	s_or_b64 exec, exec, s[38:39]
.LBB252_152:                            ;   in Loop: Header=BB252_9 Depth=1
	s_or_b64 exec, exec, s[36:37]
.LBB252_153:                            ;   in Loop: Header=BB252_9 Depth=1
	s_or_b64 exec, exec, s[34:35]
	global_load_ushort v3, v[7:8], off offset:1536
	s_waitcnt vmcnt(0)
	v_and_b32_e32 v1, 0xffff, v3
	v_cmp_ne_u16_sdwa s[4:5], v3, v2 src0_sel:BYTE_0 src1_sel:DWORD
	s_and_saveexec_b64 s[34:35], s[4:5]
	s_cbranch_execz .LBB252_159
; %bb.154:                              ;   in Loop: Header=BB252_9 Depth=1
	v_cmp_ne_u16_sdwa s[4:5], v1, s42 src0_sel:BYTE_0 src1_sel:DWORD
	v_mov_b32_e32 v43, 0x8000
	s_and_saveexec_b64 s[36:37], s[4:5]
	s_cbranch_execz .LBB252_158
; %bb.155:                              ;   in Loop: Header=BB252_9 Depth=1
	v_and_b32_e32 v3, 0x7f, v1
	v_cmp_ne_u32_e64 s[4:5], s43, v3
	v_mov_b32_e32 v43, 0x7c01
	s_and_saveexec_b64 s[38:39], s[4:5]
	s_cbranch_execz .LBB252_157
; %bb.156:                              ;   in Loop: Header=BB252_9 Depth=1
	v_and_b32_e32 v4, 7, v1
	v_ffbh_u32_e32 v43, v4
	v_min_u32_e32 v45, 32, v43
	v_subrev_u32_e32 v43, 28, v45
	v_lshlrev_b64 v[43:44], v43, v[1:2]
	v_lshrrev_b32_e32 v9, 3, v3
	v_sub_u32_e32 v44, 29, v45
	v_cmp_gt_u32_e64 s[4:5], 8, v3
	v_cndmask_b32_e64 v3, v9, v44, s[4:5]
	v_mov_b32_e32 v0, 0x2000
	v_lshl_add_u32 v3, v3, 10, v0
	v_lshlrev_b32_e32 v9, 8, v1
	v_and_b32_e32 v43, 7, v43
	v_and_b32_e32 v3, 0xfc00, v3
	v_cndmask_b32_e64 v4, v4, v43, s[4:5]
	v_and_or_b32 v3, v9, s44, v3
	v_lshl_or_b32 v43, v4, 7, v3
.LBB252_157:                            ;   in Loop: Header=BB252_9 Depth=1
	s_or_b64 exec, exec, s[38:39]
.LBB252_158:                            ;   in Loop: Header=BB252_9 Depth=1
	s_or_b64 exec, exec, s[36:37]
.LBB252_159:                            ;   in Loop: Header=BB252_9 Depth=1
	s_or_b64 exec, exec, s[34:35]
	v_lshrrev_b16_e32 v1, 8, v1
	v_cmp_ne_u16_e64 s[4:5], 0, v1
	v_mov_b32_e32 v45, 0
	v_mov_b32_e32 v44, 0
	s_and_saveexec_b64 s[34:35], s[4:5]
	s_cbranch_execz .LBB252_165
; %bb.160:                              ;   in Loop: Header=BB252_9 Depth=1
	v_cmp_ne_u16_e64 s[4:5], s42, v1
	v_bfrev_b32_e32 v44, 1
	s_and_saveexec_b64 s[36:37], s[4:5]
	s_cbranch_execz .LBB252_164
; %bb.161:                              ;   in Loop: Header=BB252_9 Depth=1
	v_and_b32_e32 v3, 0x7f, v1
	v_cmp_ne_u32_e64 s[4:5], s43, v3
	v_mov_b32_e32 v44, 0x7c010000
	s_and_saveexec_b64 s[38:39], s[4:5]
	s_cbranch_execz .LBB252_163
; %bb.162:                              ;   in Loop: Header=BB252_9 Depth=1
	v_and_b32_e32 v4, 7, v1
	v_ffbh_u32_e32 v44, v4
	v_min_u32_e32 v44, 32, v44
	v_lshrrev_b32_e32 v9, 3, v3
	v_subrev_u32_e32 v46, 28, v44
	v_sub_u32_e32 v44, 29, v44
	v_cmp_gt_u32_e64 s[4:5], 8, v3
	v_lshlrev_b64 v[46:47], v46, v[1:2]
	v_cndmask_b32_e64 v3, v9, v44, s[4:5]
	v_mov_b32_e32 v0, 0x2000
	v_lshlrev_b32_e32 v1, 8, v1
	v_lshl_add_u32 v3, v3, 10, v0
	v_and_b32_e32 v9, 7, v46
	v_and_or_b32 v1, v1, s44, v3
	v_cndmask_b32_e64 v4, v4, v9, s[4:5]
	v_lshlrev_b32_e32 v1, 16, v1
	v_lshl_or_b32 v44, v4, 23, v1
.LBB252_163:                            ;   in Loop: Header=BB252_9 Depth=1
	s_or_b64 exec, exec, s[38:39]
.LBB252_164:                            ;   in Loop: Header=BB252_9 Depth=1
	s_or_b64 exec, exec, s[36:37]
.LBB252_165:                            ;   in Loop: Header=BB252_9 Depth=1
	s_or_b64 exec, exec, s[34:35]
	global_load_ushort v3, v[7:8], off offset:1544
	s_waitcnt vmcnt(0)
	v_and_b32_e32 v1, 0xffff, v3
	v_cmp_ne_u16_sdwa s[4:5], v3, v2 src0_sel:BYTE_0 src1_sel:DWORD
	s_and_saveexec_b64 s[34:35], s[4:5]
	s_cbranch_execz .LBB252_171
; %bb.166:                              ;   in Loop: Header=BB252_9 Depth=1
	v_cmp_ne_u16_sdwa s[4:5], v1, s42 src0_sel:BYTE_0 src1_sel:DWORD
	v_mov_b32_e32 v45, 0x8000
	s_and_saveexec_b64 s[36:37], s[4:5]
	s_cbranch_execz .LBB252_170
; %bb.167:                              ;   in Loop: Header=BB252_9 Depth=1
	v_and_b32_e32 v3, 0x7f, v1
	v_cmp_ne_u32_e64 s[4:5], s43, v3
	v_mov_b32_e32 v45, 0x7c01
	s_and_saveexec_b64 s[38:39], s[4:5]
	s_cbranch_execz .LBB252_169
; %bb.168:                              ;   in Loop: Header=BB252_9 Depth=1
	v_and_b32_e32 v4, 7, v1
	v_ffbh_u32_e32 v45, v4
	v_min_u32_e32 v47, 32, v45
	v_subrev_u32_e32 v45, 28, v47
	v_lshlrev_b64 v[45:46], v45, v[1:2]
	v_lshrrev_b32_e32 v9, 3, v3
	v_sub_u32_e32 v46, 29, v47
	v_cmp_gt_u32_e64 s[4:5], 8, v3
	v_cndmask_b32_e64 v3, v9, v46, s[4:5]
	v_mov_b32_e32 v0, 0x2000
	v_lshl_add_u32 v3, v3, 10, v0
	v_lshlrev_b32_e32 v9, 8, v1
	v_and_b32_e32 v45, 7, v45
	v_and_b32_e32 v3, 0xfc00, v3
	v_cndmask_b32_e64 v4, v4, v45, s[4:5]
	v_and_or_b32 v3, v9, s44, v3
	v_lshl_or_b32 v45, v4, 7, v3
.LBB252_169:                            ;   in Loop: Header=BB252_9 Depth=1
	s_or_b64 exec, exec, s[38:39]
.LBB252_170:                            ;   in Loop: Header=BB252_9 Depth=1
	s_or_b64 exec, exec, s[36:37]
.LBB252_171:                            ;   in Loop: Header=BB252_9 Depth=1
	s_or_b64 exec, exec, s[34:35]
	v_lshrrev_b16_e32 v1, 8, v1
	v_cmp_ne_u16_e64 s[4:5], 0, v1
	v_mov_b32_e32 v47, 0
	v_mov_b32_e32 v46, 0
	s_and_saveexec_b64 s[34:35], s[4:5]
	s_cbranch_execz .LBB252_177
; %bb.172:                              ;   in Loop: Header=BB252_9 Depth=1
	v_cmp_ne_u16_e64 s[4:5], s42, v1
	v_bfrev_b32_e32 v46, 1
	s_and_saveexec_b64 s[36:37], s[4:5]
	s_cbranch_execz .LBB252_176
; %bb.173:                              ;   in Loop: Header=BB252_9 Depth=1
	v_and_b32_e32 v3, 0x7f, v1
	v_cmp_ne_u32_e64 s[4:5], s43, v3
	v_mov_b32_e32 v46, 0x7c010000
	s_and_saveexec_b64 s[38:39], s[4:5]
	s_cbranch_execz .LBB252_175
; %bb.174:                              ;   in Loop: Header=BB252_9 Depth=1
	v_and_b32_e32 v4, 7, v1
	v_ffbh_u32_e32 v46, v4
	v_min_u32_e32 v46, 32, v46
	v_lshrrev_b32_e32 v9, 3, v3
	v_subrev_u32_e32 v48, 28, v46
	v_sub_u32_e32 v46, 29, v46
	v_cmp_gt_u32_e64 s[4:5], 8, v3
	v_lshlrev_b64 v[48:49], v48, v[1:2]
	v_cndmask_b32_e64 v3, v9, v46, s[4:5]
	v_mov_b32_e32 v0, 0x2000
	v_lshlrev_b32_e32 v1, 8, v1
	v_lshl_add_u32 v3, v3, 10, v0
	v_and_b32_e32 v9, 7, v48
	v_and_or_b32 v1, v1, s44, v3
	v_cndmask_b32_e64 v4, v4, v9, s[4:5]
	v_lshlrev_b32_e32 v1, 16, v1
	v_lshl_or_b32 v46, v4, 23, v1
.LBB252_175:                            ;   in Loop: Header=BB252_9 Depth=1
	s_or_b64 exec, exec, s[38:39]
.LBB252_176:                            ;   in Loop: Header=BB252_9 Depth=1
	s_or_b64 exec, exec, s[36:37]
.LBB252_177:                            ;   in Loop: Header=BB252_9 Depth=1
	s_or_b64 exec, exec, s[34:35]
	global_load_ushort v3, v[7:8], off offset:1792
	s_waitcnt vmcnt(0)
	v_and_b32_e32 v1, 0xffff, v3
	v_cmp_ne_u16_sdwa s[4:5], v3, v2 src0_sel:BYTE_0 src1_sel:DWORD
	s_and_saveexec_b64 s[34:35], s[4:5]
	s_cbranch_execz .LBB252_183
; %bb.178:                              ;   in Loop: Header=BB252_9 Depth=1
	v_cmp_ne_u16_sdwa s[4:5], v1, s42 src0_sel:BYTE_0 src1_sel:DWORD
	v_mov_b32_e32 v47, 0x8000
	s_and_saveexec_b64 s[36:37], s[4:5]
	s_cbranch_execz .LBB252_182
; %bb.179:                              ;   in Loop: Header=BB252_9 Depth=1
	v_and_b32_e32 v3, 0x7f, v1
	v_cmp_ne_u32_e64 s[4:5], s43, v3
	v_mov_b32_e32 v47, 0x7c01
	s_and_saveexec_b64 s[38:39], s[4:5]
	s_cbranch_execz .LBB252_181
; %bb.180:                              ;   in Loop: Header=BB252_9 Depth=1
	v_and_b32_e32 v4, 7, v1
	v_ffbh_u32_e32 v47, v4
	v_min_u32_e32 v49, 32, v47
	v_subrev_u32_e32 v47, 28, v49
	v_lshlrev_b64 v[47:48], v47, v[1:2]
	v_lshrrev_b32_e32 v9, 3, v3
	v_sub_u32_e32 v48, 29, v49
	v_cmp_gt_u32_e64 s[4:5], 8, v3
	v_cndmask_b32_e64 v3, v9, v48, s[4:5]
	v_mov_b32_e32 v0, 0x2000
	v_lshl_add_u32 v3, v3, 10, v0
	v_lshlrev_b32_e32 v9, 8, v1
	v_and_b32_e32 v47, 7, v47
	v_and_b32_e32 v3, 0xfc00, v3
	v_cndmask_b32_e64 v4, v4, v47, s[4:5]
	v_and_or_b32 v3, v9, s44, v3
	v_lshl_or_b32 v47, v4, 7, v3
.LBB252_181:                            ;   in Loop: Header=BB252_9 Depth=1
	s_or_b64 exec, exec, s[38:39]
.LBB252_182:                            ;   in Loop: Header=BB252_9 Depth=1
	s_or_b64 exec, exec, s[36:37]
.LBB252_183:                            ;   in Loop: Header=BB252_9 Depth=1
	s_or_b64 exec, exec, s[34:35]
	v_lshrrev_b16_e32 v1, 8, v1
	v_cmp_ne_u16_e64 s[4:5], 0, v1
	v_mov_b32_e32 v49, 0
	v_mov_b32_e32 v48, 0
	s_and_saveexec_b64 s[34:35], s[4:5]
	s_cbranch_execz .LBB252_189
; %bb.184:                              ;   in Loop: Header=BB252_9 Depth=1
	v_cmp_ne_u16_e64 s[4:5], s42, v1
	v_bfrev_b32_e32 v48, 1
	s_and_saveexec_b64 s[36:37], s[4:5]
	s_cbranch_execz .LBB252_188
; %bb.185:                              ;   in Loop: Header=BB252_9 Depth=1
	v_and_b32_e32 v3, 0x7f, v1
	v_cmp_ne_u32_e64 s[4:5], s43, v3
	v_mov_b32_e32 v48, 0x7c010000
	s_and_saveexec_b64 s[38:39], s[4:5]
	s_cbranch_execz .LBB252_187
; %bb.186:                              ;   in Loop: Header=BB252_9 Depth=1
	v_and_b32_e32 v4, 7, v1
	v_ffbh_u32_e32 v48, v4
	v_min_u32_e32 v48, 32, v48
	v_lshrrev_b32_e32 v9, 3, v3
	v_subrev_u32_e32 v50, 28, v48
	v_sub_u32_e32 v48, 29, v48
	v_cmp_gt_u32_e64 s[4:5], 8, v3
	v_lshlrev_b64 v[50:51], v50, v[1:2]
	v_cndmask_b32_e64 v3, v9, v48, s[4:5]
	v_mov_b32_e32 v0, 0x2000
	v_lshlrev_b32_e32 v1, 8, v1
	v_lshl_add_u32 v3, v3, 10, v0
	v_and_b32_e32 v9, 7, v50
	v_and_or_b32 v1, v1, s44, v3
	v_cndmask_b32_e64 v4, v4, v9, s[4:5]
	v_lshlrev_b32_e32 v1, 16, v1
	v_lshl_or_b32 v48, v4, 23, v1
.LBB252_187:                            ;   in Loop: Header=BB252_9 Depth=1
	s_or_b64 exec, exec, s[38:39]
.LBB252_188:                            ;   in Loop: Header=BB252_9 Depth=1
	s_or_b64 exec, exec, s[36:37]
.LBB252_189:                            ;   in Loop: Header=BB252_9 Depth=1
	s_or_b64 exec, exec, s[34:35]
	global_load_ushort v3, v[7:8], off offset:1800
	s_waitcnt vmcnt(0)
	v_and_b32_e32 v1, 0xffff, v3
	v_cmp_ne_u16_sdwa s[4:5], v3, v2 src0_sel:BYTE_0 src1_sel:DWORD
	s_and_saveexec_b64 s[34:35], s[4:5]
	s_cbranch_execz .LBB252_195
; %bb.190:                              ;   in Loop: Header=BB252_9 Depth=1
	v_cmp_ne_u16_sdwa s[4:5], v1, s42 src0_sel:BYTE_0 src1_sel:DWORD
	v_mov_b32_e32 v49, 0x8000
	s_and_saveexec_b64 s[36:37], s[4:5]
	s_cbranch_execz .LBB252_194
; %bb.191:                              ;   in Loop: Header=BB252_9 Depth=1
	v_and_b32_e32 v3, 0x7f, v1
	v_cmp_ne_u32_e64 s[4:5], s43, v3
	v_mov_b32_e32 v49, 0x7c01
	s_and_saveexec_b64 s[38:39], s[4:5]
	s_cbranch_execz .LBB252_193
; %bb.192:                              ;   in Loop: Header=BB252_9 Depth=1
	v_and_b32_e32 v4, 7, v1
	v_ffbh_u32_e32 v49, v4
	v_min_u32_e32 v51, 32, v49
	v_subrev_u32_e32 v49, 28, v51
	v_lshlrev_b64 v[49:50], v49, v[1:2]
	v_lshrrev_b32_e32 v9, 3, v3
	v_sub_u32_e32 v50, 29, v51
	v_cmp_gt_u32_e64 s[4:5], 8, v3
	v_cndmask_b32_e64 v3, v9, v50, s[4:5]
	v_mov_b32_e32 v0, 0x2000
	v_lshl_add_u32 v3, v3, 10, v0
	v_lshlrev_b32_e32 v9, 8, v1
	v_and_b32_e32 v49, 7, v49
	v_and_b32_e32 v3, 0xfc00, v3
	v_cndmask_b32_e64 v4, v4, v49, s[4:5]
	v_and_or_b32 v3, v9, s44, v3
	v_lshl_or_b32 v49, v4, 7, v3
.LBB252_193:                            ;   in Loop: Header=BB252_9 Depth=1
	s_or_b64 exec, exec, s[38:39]
.LBB252_194:                            ;   in Loop: Header=BB252_9 Depth=1
	s_or_b64 exec, exec, s[36:37]
.LBB252_195:                            ;   in Loop: Header=BB252_9 Depth=1
	s_or_b64 exec, exec, s[34:35]
	v_lshrrev_b16_e32 v1, 8, v1
	v_cmp_ne_u16_e64 s[4:5], 0, v1
	v_mov_b32_e32 v51, 0
	v_mov_b32_e32 v50, 0
	s_and_saveexec_b64 s[34:35], s[4:5]
	s_cbranch_execz .LBB252_201
; %bb.196:                              ;   in Loop: Header=BB252_9 Depth=1
	v_cmp_ne_u16_e64 s[4:5], s42, v1
	v_bfrev_b32_e32 v50, 1
	s_and_saveexec_b64 s[36:37], s[4:5]
	s_cbranch_execz .LBB252_200
; %bb.197:                              ;   in Loop: Header=BB252_9 Depth=1
	v_and_b32_e32 v3, 0x7f, v1
	v_cmp_ne_u32_e64 s[4:5], s43, v3
	v_mov_b32_e32 v50, 0x7c010000
	s_and_saveexec_b64 s[38:39], s[4:5]
	s_cbranch_execz .LBB252_199
; %bb.198:                              ;   in Loop: Header=BB252_9 Depth=1
	v_and_b32_e32 v4, 7, v1
	v_ffbh_u32_e32 v50, v4
	v_min_u32_e32 v50, 32, v50
	v_lshrrev_b32_e32 v9, 3, v3
	v_subrev_u32_e32 v52, 28, v50
	v_sub_u32_e32 v50, 29, v50
	v_cmp_gt_u32_e64 s[4:5], 8, v3
	v_lshlrev_b64 v[52:53], v52, v[1:2]
	v_cndmask_b32_e64 v3, v9, v50, s[4:5]
	v_mov_b32_e32 v0, 0x2000
	v_lshlrev_b32_e32 v1, 8, v1
	v_lshl_add_u32 v3, v3, 10, v0
	v_and_b32_e32 v9, 7, v52
	v_and_or_b32 v1, v1, s44, v3
	v_cndmask_b32_e64 v4, v4, v9, s[4:5]
	v_lshlrev_b32_e32 v1, 16, v1
	v_lshl_or_b32 v50, v4, 23, v1
.LBB252_199:                            ;   in Loop: Header=BB252_9 Depth=1
	s_or_b64 exec, exec, s[38:39]
.LBB252_200:                            ;   in Loop: Header=BB252_9 Depth=1
	s_or_b64 exec, exec, s[36:37]
.LBB252_201:                            ;   in Loop: Header=BB252_9 Depth=1
	s_or_b64 exec, exec, s[34:35]
	global_load_ushort v3, v[7:8], off offset:2048
	s_waitcnt vmcnt(0)
	v_and_b32_e32 v1, 0xffff, v3
	v_cmp_ne_u16_sdwa s[4:5], v3, v2 src0_sel:BYTE_0 src1_sel:DWORD
	s_and_saveexec_b64 s[34:35], s[4:5]
	s_cbranch_execz .LBB252_207
; %bb.202:                              ;   in Loop: Header=BB252_9 Depth=1
	v_cmp_ne_u16_sdwa s[4:5], v1, s42 src0_sel:BYTE_0 src1_sel:DWORD
	v_mov_b32_e32 v51, 0x8000
	s_and_saveexec_b64 s[36:37], s[4:5]
	s_cbranch_execz .LBB252_206
; %bb.203:                              ;   in Loop: Header=BB252_9 Depth=1
	v_and_b32_e32 v3, 0x7f, v1
	v_cmp_ne_u32_e64 s[4:5], s43, v3
	v_mov_b32_e32 v51, 0x7c01
	s_and_saveexec_b64 s[38:39], s[4:5]
	s_cbranch_execz .LBB252_205
; %bb.204:                              ;   in Loop: Header=BB252_9 Depth=1
	v_and_b32_e32 v4, 7, v1
	v_ffbh_u32_e32 v51, v4
	v_min_u32_e32 v53, 32, v51
	v_subrev_u32_e32 v51, 28, v53
	v_lshlrev_b64 v[51:52], v51, v[1:2]
	v_lshrrev_b32_e32 v9, 3, v3
	v_sub_u32_e32 v52, 29, v53
	v_cmp_gt_u32_e64 s[4:5], 8, v3
	v_cndmask_b32_e64 v3, v9, v52, s[4:5]
	v_mov_b32_e32 v0, 0x2000
	v_lshl_add_u32 v3, v3, 10, v0
	v_lshlrev_b32_e32 v9, 8, v1
	v_and_b32_e32 v51, 7, v51
	v_and_b32_e32 v3, 0xfc00, v3
	v_cndmask_b32_e64 v4, v4, v51, s[4:5]
	v_and_or_b32 v3, v9, s44, v3
	v_lshl_or_b32 v51, v4, 7, v3
.LBB252_205:                            ;   in Loop: Header=BB252_9 Depth=1
	s_or_b64 exec, exec, s[38:39]
.LBB252_206:                            ;   in Loop: Header=BB252_9 Depth=1
	s_or_b64 exec, exec, s[36:37]
.LBB252_207:                            ;   in Loop: Header=BB252_9 Depth=1
	s_or_b64 exec, exec, s[34:35]
	v_lshrrev_b16_e32 v1, 8, v1
	v_cmp_ne_u16_e64 s[4:5], 0, v1
	v_mov_b32_e32 v59, 0
	v_mov_b32_e32 v58, 0
	s_and_saveexec_b64 s[34:35], s[4:5]
	s_cbranch_execz .LBB252_213
; %bb.208:                              ;   in Loop: Header=BB252_9 Depth=1
	v_cmp_ne_u16_e64 s[4:5], s42, v1
	v_bfrev_b32_e32 v58, 1
	s_and_saveexec_b64 s[36:37], s[4:5]
	s_cbranch_execz .LBB252_212
; %bb.209:                              ;   in Loop: Header=BB252_9 Depth=1
	v_and_b32_e32 v3, 0x7f, v1
	v_cmp_ne_u32_e64 s[4:5], s43, v3
	v_mov_b32_e32 v58, 0x7c010000
	s_and_saveexec_b64 s[38:39], s[4:5]
	s_cbranch_execz .LBB252_211
; %bb.210:                              ;   in Loop: Header=BB252_9 Depth=1
	v_and_b32_e32 v4, 7, v1
	v_ffbh_u32_e32 v52, v4
	v_min_u32_e32 v54, 32, v52
	v_subrev_u32_e32 v52, 28, v54
	v_lshlrev_b64 v[52:53], v52, v[1:2]
	v_lshrrev_b32_e32 v9, 3, v3
	v_sub_u32_e32 v53, 29, v54
	v_cmp_gt_u32_e64 s[4:5], 8, v3
	v_cndmask_b32_e64 v3, v9, v53, s[4:5]
	v_mov_b32_e32 v0, 0x2000
	v_lshlrev_b32_e32 v1, 8, v1
	v_lshl_add_u32 v3, v3, 10, v0
	v_and_b32_e32 v9, 7, v52
	v_and_or_b32 v1, v1, s44, v3
	v_cndmask_b32_e64 v4, v4, v9, s[4:5]
	v_lshlrev_b32_e32 v1, 16, v1
	v_lshl_or_b32 v58, v4, 23, v1
.LBB252_211:                            ;   in Loop: Header=BB252_9 Depth=1
	s_or_b64 exec, exec, s[38:39]
.LBB252_212:                            ;   in Loop: Header=BB252_9 Depth=1
	s_or_b64 exec, exec, s[36:37]
.LBB252_213:                            ;   in Loop: Header=BB252_9 Depth=1
	s_or_b64 exec, exec, s[34:35]
	global_load_ushort v3, v[7:8], off offset:2056
	s_waitcnt vmcnt(0)
	v_and_b32_e32 v1, 0xffff, v3
	v_cmp_ne_u16_sdwa s[4:5], v3, v2 src0_sel:BYTE_0 src1_sel:DWORD
	s_and_saveexec_b64 s[34:35], s[4:5]
	s_cbranch_execz .LBB252_219
; %bb.214:                              ;   in Loop: Header=BB252_9 Depth=1
	v_cmp_ne_u16_sdwa s[4:5], v1, s42 src0_sel:BYTE_0 src1_sel:DWORD
	v_mov_b32_e32 v59, 0x8000
	s_and_saveexec_b64 s[36:37], s[4:5]
	s_cbranch_execz .LBB252_218
; %bb.215:                              ;   in Loop: Header=BB252_9 Depth=1
	v_and_b32_e32 v3, 0x7f, v1
	v_cmp_ne_u32_e64 s[4:5], s43, v3
	v_mov_b32_e32 v59, 0x7c01
	s_and_saveexec_b64 s[38:39], s[4:5]
	s_cbranch_execz .LBB252_217
; %bb.216:                              ;   in Loop: Header=BB252_9 Depth=1
	v_and_b32_e32 v4, 7, v1
	v_ffbh_u32_e32 v52, v4
	v_min_u32_e32 v54, 32, v52
	v_subrev_u32_e32 v52, 28, v54
	v_lshlrev_b64 v[52:53], v52, v[1:2]
	v_lshrrev_b32_e32 v9, 3, v3
	v_sub_u32_e32 v53, 29, v54
	v_cmp_gt_u32_e64 s[4:5], 8, v3
	v_cndmask_b32_e64 v3, v9, v53, s[4:5]
	v_mov_b32_e32 v0, 0x2000
	v_lshl_add_u32 v3, v3, 10, v0
	v_lshlrev_b32_e32 v9, 8, v1
	v_and_b32_e32 v52, 7, v52
	v_and_b32_e32 v3, 0xfc00, v3
	v_cndmask_b32_e64 v4, v4, v52, s[4:5]
	v_and_or_b32 v3, v9, s44, v3
	v_lshl_or_b32 v59, v4, 7, v3
.LBB252_217:                            ;   in Loop: Header=BB252_9 Depth=1
	s_or_b64 exec, exec, s[38:39]
.LBB252_218:                            ;   in Loop: Header=BB252_9 Depth=1
	s_or_b64 exec, exec, s[36:37]
.LBB252_219:                            ;   in Loop: Header=BB252_9 Depth=1
	s_or_b64 exec, exec, s[34:35]
	v_lshrrev_b16_e32 v1, 8, v1
	v_cmp_ne_u16_e64 s[4:5], 0, v1
	v_mov_b32_e32 v60, 0
	v_mov_b32_e32 v63, 0
	s_and_saveexec_b64 s[34:35], s[4:5]
	s_cbranch_execz .LBB252_225
; %bb.220:                              ;   in Loop: Header=BB252_9 Depth=1
	v_cmp_ne_u16_e64 s[4:5], s42, v1
	v_bfrev_b32_e32 v63, 1
	s_and_saveexec_b64 s[36:37], s[4:5]
	s_cbranch_execz .LBB252_224
; %bb.221:                              ;   in Loop: Header=BB252_9 Depth=1
	v_and_b32_e32 v3, 0x7f, v1
	v_cmp_ne_u32_e64 s[4:5], s43, v3
	v_mov_b32_e32 v63, 0x7c010000
	s_and_saveexec_b64 s[38:39], s[4:5]
	s_cbranch_execz .LBB252_223
; %bb.222:                              ;   in Loop: Header=BB252_9 Depth=1
	v_and_b32_e32 v4, 7, v1
	v_ffbh_u32_e32 v52, v4
	v_min_u32_e32 v54, 32, v52
	v_subrev_u32_e32 v52, 28, v54
	v_lshlrev_b64 v[52:53], v52, v[1:2]
	v_lshrrev_b32_e32 v9, 3, v3
	v_sub_u32_e32 v53, 29, v54
	v_cmp_gt_u32_e64 s[4:5], 8, v3
	v_cndmask_b32_e64 v3, v9, v53, s[4:5]
	v_mov_b32_e32 v0, 0x2000
	v_lshlrev_b32_e32 v1, 8, v1
	v_lshl_add_u32 v3, v3, 10, v0
	v_and_b32_e32 v9, 7, v52
	v_and_or_b32 v1, v1, s44, v3
	v_cndmask_b32_e64 v4, v4, v9, s[4:5]
	v_lshlrev_b32_e32 v1, 16, v1
	v_lshl_or_b32 v63, v4, 23, v1
.LBB252_223:                            ;   in Loop: Header=BB252_9 Depth=1
	s_or_b64 exec, exec, s[38:39]
.LBB252_224:                            ;   in Loop: Header=BB252_9 Depth=1
	s_or_b64 exec, exec, s[36:37]
.LBB252_225:                            ;   in Loop: Header=BB252_9 Depth=1
	s_or_b64 exec, exec, s[34:35]
	global_load_ushort v3, v[7:8], off offset:2304
	s_waitcnt vmcnt(0)
	v_and_b32_e32 v1, 0xffff, v3
	v_cmp_ne_u16_sdwa s[4:5], v3, v2 src0_sel:BYTE_0 src1_sel:DWORD
	s_and_saveexec_b64 s[34:35], s[4:5]
	s_cbranch_execz .LBB252_231
; %bb.226:                              ;   in Loop: Header=BB252_9 Depth=1
	v_cmp_ne_u16_sdwa s[4:5], v1, s42 src0_sel:BYTE_0 src1_sel:DWORD
	v_mov_b32_e32 v60, 0x8000
	s_and_saveexec_b64 s[36:37], s[4:5]
	s_cbranch_execz .LBB252_230
; %bb.227:                              ;   in Loop: Header=BB252_9 Depth=1
	v_and_b32_e32 v3, 0x7f, v1
	v_cmp_ne_u32_e64 s[4:5], s43, v3
	v_mov_b32_e32 v60, 0x7c01
	s_and_saveexec_b64 s[38:39], s[4:5]
	s_cbranch_execz .LBB252_229
; %bb.228:                              ;   in Loop: Header=BB252_9 Depth=1
	v_and_b32_e32 v4, 7, v1
	v_ffbh_u32_e32 v52, v4
	v_min_u32_e32 v54, 32, v52
	v_subrev_u32_e32 v52, 28, v54
	v_lshlrev_b64 v[52:53], v52, v[1:2]
	v_lshrrev_b32_e32 v9, 3, v3
	v_sub_u32_e32 v53, 29, v54
	v_cmp_gt_u32_e64 s[4:5], 8, v3
	v_cndmask_b32_e64 v3, v9, v53, s[4:5]
	v_mov_b32_e32 v0, 0x2000
	v_lshl_add_u32 v3, v3, 10, v0
	v_lshlrev_b32_e32 v9, 8, v1
	v_and_b32_e32 v52, 7, v52
	v_and_b32_e32 v3, 0xfc00, v3
	v_cndmask_b32_e64 v4, v4, v52, s[4:5]
	v_and_or_b32 v3, v9, s44, v3
	v_lshl_or_b32 v60, v4, 7, v3
.LBB252_229:                            ;   in Loop: Header=BB252_9 Depth=1
	s_or_b64 exec, exec, s[38:39]
.LBB252_230:                            ;   in Loop: Header=BB252_9 Depth=1
	s_or_b64 exec, exec, s[36:37]
.LBB252_231:                            ;   in Loop: Header=BB252_9 Depth=1
	s_or_b64 exec, exec, s[34:35]
	v_lshrrev_b16_e32 v1, 8, v1
	v_cmp_ne_u16_e64 s[4:5], 0, v1
	v_mov_b32_e32 v56, 0
	v_mov_b32_e32 v62, 0
	s_and_saveexec_b64 s[34:35], s[4:5]
	s_cbranch_execz .LBB252_237
; %bb.232:                              ;   in Loop: Header=BB252_9 Depth=1
	v_cmp_ne_u16_e64 s[4:5], s42, v1
	v_bfrev_b32_e32 v62, 1
	s_and_saveexec_b64 s[36:37], s[4:5]
	s_cbranch_execz .LBB252_236
; %bb.233:                              ;   in Loop: Header=BB252_9 Depth=1
	v_and_b32_e32 v3, 0x7f, v1
	v_cmp_ne_u32_e64 s[4:5], s43, v3
	v_mov_b32_e32 v62, 0x7c010000
	s_and_saveexec_b64 s[38:39], s[4:5]
	s_cbranch_execz .LBB252_235
; %bb.234:                              ;   in Loop: Header=BB252_9 Depth=1
	v_and_b32_e32 v4, 7, v1
	v_ffbh_u32_e32 v52, v4
	v_min_u32_e32 v54, 32, v52
	v_subrev_u32_e32 v52, 28, v54
	v_lshlrev_b64 v[52:53], v52, v[1:2]
	v_lshrrev_b32_e32 v9, 3, v3
	v_sub_u32_e32 v53, 29, v54
	v_cmp_gt_u32_e64 s[4:5], 8, v3
	v_cndmask_b32_e64 v3, v9, v53, s[4:5]
	v_mov_b32_e32 v0, 0x2000
	v_lshlrev_b32_e32 v1, 8, v1
	v_lshl_add_u32 v3, v3, 10, v0
	v_and_b32_e32 v9, 7, v52
	v_and_or_b32 v1, v1, s44, v3
	v_cndmask_b32_e64 v4, v4, v9, s[4:5]
	v_lshlrev_b32_e32 v1, 16, v1
	v_lshl_or_b32 v62, v4, 23, v1
.LBB252_235:                            ;   in Loop: Header=BB252_9 Depth=1
	s_or_b64 exec, exec, s[38:39]
.LBB252_236:                            ;   in Loop: Header=BB252_9 Depth=1
	s_or_b64 exec, exec, s[36:37]
.LBB252_237:                            ;   in Loop: Header=BB252_9 Depth=1
	s_or_b64 exec, exec, s[34:35]
	global_load_ushort v3, v[7:8], off offset:2312
	s_waitcnt vmcnt(0)
	v_and_b32_e32 v1, 0xffff, v3
	v_cmp_ne_u16_sdwa s[4:5], v3, v2 src0_sel:BYTE_0 src1_sel:DWORD
	s_and_saveexec_b64 s[34:35], s[4:5]
	s_cbranch_execz .LBB252_243
; %bb.238:                              ;   in Loop: Header=BB252_9 Depth=1
	v_cmp_ne_u16_sdwa s[4:5], v1, s42 src0_sel:BYTE_0 src1_sel:DWORD
	v_mov_b32_e32 v56, 0x8000
	s_and_saveexec_b64 s[36:37], s[4:5]
	s_cbranch_execz .LBB252_242
; %bb.239:                              ;   in Loop: Header=BB252_9 Depth=1
	v_and_b32_e32 v3, 0x7f, v1
	v_cmp_ne_u32_e64 s[4:5], s43, v3
	v_mov_b32_e32 v56, 0x7c01
	s_and_saveexec_b64 s[38:39], s[4:5]
	s_cbranch_execz .LBB252_241
; %bb.240:                              ;   in Loop: Header=BB252_9 Depth=1
	v_and_b32_e32 v4, 7, v1
	v_ffbh_u32_e32 v52, v4
	v_min_u32_e32 v54, 32, v52
	v_subrev_u32_e32 v52, 28, v54
	v_lshlrev_b64 v[52:53], v52, v[1:2]
	v_lshrrev_b32_e32 v9, 3, v3
	v_sub_u32_e32 v53, 29, v54
	v_cmp_gt_u32_e64 s[4:5], 8, v3
	v_cndmask_b32_e64 v3, v9, v53, s[4:5]
	v_mov_b32_e32 v0, 0x2000
	v_lshl_add_u32 v3, v3, 10, v0
	v_lshlrev_b32_e32 v9, 8, v1
	v_and_b32_e32 v52, 7, v52
	v_and_b32_e32 v3, 0xfc00, v3
	v_cndmask_b32_e64 v4, v4, v52, s[4:5]
	v_and_or_b32 v3, v9, s44, v3
	v_lshl_or_b32 v56, v4, 7, v3
.LBB252_241:                            ;   in Loop: Header=BB252_9 Depth=1
	s_or_b64 exec, exec, s[38:39]
.LBB252_242:                            ;   in Loop: Header=BB252_9 Depth=1
	s_or_b64 exec, exec, s[36:37]
.LBB252_243:                            ;   in Loop: Header=BB252_9 Depth=1
	s_or_b64 exec, exec, s[34:35]
	v_lshrrev_b16_e32 v1, 8, v1
	v_cmp_ne_u16_e64 s[4:5], 0, v1
	v_mov_b32_e32 v54, 0
	v_mov_b32_e32 v61, 0
	s_and_saveexec_b64 s[34:35], s[4:5]
	s_cbranch_execz .LBB252_249
; %bb.244:                              ;   in Loop: Header=BB252_9 Depth=1
	v_cmp_ne_u16_e64 s[4:5], s42, v1
	v_bfrev_b32_e32 v61, 1
	s_and_saveexec_b64 s[36:37], s[4:5]
	s_cbranch_execz .LBB252_248
; %bb.245:                              ;   in Loop: Header=BB252_9 Depth=1
	v_and_b32_e32 v3, 0x7f, v1
	v_cmp_ne_u32_e64 s[4:5], s43, v3
	v_mov_b32_e32 v61, 0x7c010000
	s_and_saveexec_b64 s[38:39], s[4:5]
	s_cbranch_execz .LBB252_247
; %bb.246:                              ;   in Loop: Header=BB252_9 Depth=1
	v_and_b32_e32 v9, 7, v1
	v_lshrrev_b32_e32 v52, 3, v3
	v_cmp_gt_u32_e64 s[4:5], 8, v3
	v_ffbh_u32_e32 v3, v9
	v_min_u32_e32 v53, 32, v3
	v_subrev_u32_e32 v3, 28, v53
	v_lshlrev_b64 v[3:4], v3, v[1:2]
	v_sub_u32_e32 v4, 29, v53
	v_cndmask_b32_e64 v4, v52, v4, s[4:5]
	v_mov_b32_e32 v0, 0x2000
	v_lshlrev_b32_e32 v1, 8, v1
	v_lshl_add_u32 v4, v4, 10, v0
	v_and_b32_e32 v3, 7, v3
	v_and_or_b32 v1, v1, s44, v4
	v_cndmask_b32_e64 v3, v9, v3, s[4:5]
	v_lshlrev_b32_e32 v1, 16, v1
	v_lshl_or_b32 v61, v3, 23, v1
.LBB252_247:                            ;   in Loop: Header=BB252_9 Depth=1
	s_or_b64 exec, exec, s[38:39]
.LBB252_248:                            ;   in Loop: Header=BB252_9 Depth=1
	s_or_b64 exec, exec, s[36:37]
.LBB252_249:                            ;   in Loop: Header=BB252_9 Depth=1
	s_or_b64 exec, exec, s[34:35]
	global_load_ushort v3, v[7:8], off offset:2560
	s_waitcnt vmcnt(0)
	v_and_b32_e32 v1, 0xffff, v3
	v_cmp_ne_u16_sdwa s[4:5], v3, v2 src0_sel:BYTE_0 src1_sel:DWORD
	s_and_saveexec_b64 s[34:35], s[4:5]
	s_cbranch_execz .LBB252_255
; %bb.250:                              ;   in Loop: Header=BB252_9 Depth=1
	v_cmp_ne_u16_sdwa s[4:5], v1, s42 src0_sel:BYTE_0 src1_sel:DWORD
	v_mov_b32_e32 v54, 0x8000
	s_and_saveexec_b64 s[36:37], s[4:5]
	s_cbranch_execz .LBB252_254
; %bb.251:                              ;   in Loop: Header=BB252_9 Depth=1
	v_and_b32_e32 v3, 0x7f, v1
	v_cmp_ne_u32_e64 s[4:5], s43, v3
	v_mov_b32_e32 v54, 0x7c01
	s_and_saveexec_b64 s[38:39], s[4:5]
	s_cbranch_execz .LBB252_253
; %bb.252:                              ;   in Loop: Header=BB252_9 Depth=1
	v_and_b32_e32 v9, 7, v1
	v_lshrrev_b32_e32 v52, 3, v3
	v_cmp_gt_u32_e64 s[4:5], 8, v3
	v_ffbh_u32_e32 v3, v9
	v_min_u32_e32 v53, 32, v3
	v_subrev_u32_e32 v3, 28, v53
	v_lshlrev_b64 v[3:4], v3, v[1:2]
	v_sub_u32_e32 v4, 29, v53
	v_cndmask_b32_e64 v4, v52, v4, s[4:5]
	v_mov_b32_e32 v0, 0x2000
	v_lshl_add_u32 v4, v4, 10, v0
	v_lshlrev_b32_e32 v52, 8, v1
	v_and_b32_e32 v3, 7, v3
	v_and_b32_e32 v4, 0xfc00, v4
	v_cndmask_b32_e64 v3, v9, v3, s[4:5]
	v_and_or_b32 v4, v52, s44, v4
	v_lshl_or_b32 v54, v3, 7, v4
.LBB252_253:                            ;   in Loop: Header=BB252_9 Depth=1
	s_or_b64 exec, exec, s[38:39]
.LBB252_254:                            ;   in Loop: Header=BB252_9 Depth=1
	s_or_b64 exec, exec, s[36:37]
.LBB252_255:                            ;   in Loop: Header=BB252_9 Depth=1
	s_or_b64 exec, exec, s[34:35]
	v_lshrrev_b16_e32 v1, 8, v1
	v_cmp_ne_u16_e64 s[4:5], 0, v1
	v_mov_b32_e32 v52, 0
	v_mov_b32_e32 v57, 0
	s_and_saveexec_b64 s[34:35], s[4:5]
	s_cbranch_execz .LBB252_261
; %bb.256:                              ;   in Loop: Header=BB252_9 Depth=1
	v_cmp_ne_u16_e64 s[4:5], s42, v1
	v_bfrev_b32_e32 v57, 1
	s_and_saveexec_b64 s[36:37], s[4:5]
	s_cbranch_execz .LBB252_260
; %bb.257:                              ;   in Loop: Header=BB252_9 Depth=1
	v_and_b32_e32 v3, 0x7f, v1
	v_cmp_ne_u32_e64 s[4:5], s43, v3
	v_mov_b32_e32 v57, 0x7c010000
	s_and_saveexec_b64 s[38:39], s[4:5]
	s_cbranch_execz .LBB252_259
; %bb.258:                              ;   in Loop: Header=BB252_9 Depth=1
	v_and_b32_e32 v9, 7, v1
	v_lshrrev_b32_e32 v53, 3, v3
	v_cmp_gt_u32_e64 s[4:5], 8, v3
	v_ffbh_u32_e32 v3, v9
	v_min_u32_e32 v55, 32, v3
	v_subrev_u32_e32 v3, 28, v55
	v_lshlrev_b64 v[3:4], v3, v[1:2]
	v_sub_u32_e32 v4, 29, v55
	v_cndmask_b32_e64 v4, v53, v4, s[4:5]
	v_mov_b32_e32 v0, 0x2000
	v_lshlrev_b32_e32 v1, 8, v1
	v_lshl_add_u32 v4, v4, 10, v0
	v_and_b32_e32 v3, 7, v3
	v_and_or_b32 v1, v1, s44, v4
	v_cndmask_b32_e64 v3, v9, v3, s[4:5]
	v_lshlrev_b32_e32 v1, 16, v1
	v_lshl_or_b32 v57, v3, 23, v1
.LBB252_259:                            ;   in Loop: Header=BB252_9 Depth=1
	s_or_b64 exec, exec, s[38:39]
.LBB252_260:                            ;   in Loop: Header=BB252_9 Depth=1
	s_or_b64 exec, exec, s[36:37]
.LBB252_261:                            ;   in Loop: Header=BB252_9 Depth=1
	s_or_b64 exec, exec, s[34:35]
	global_load_ushort v3, v[7:8], off offset:2568
	s_waitcnt vmcnt(0)
	v_and_b32_e32 v1, 0xffff, v3
	v_cmp_ne_u16_sdwa s[4:5], v3, v2 src0_sel:BYTE_0 src1_sel:DWORD
	s_and_saveexec_b64 s[34:35], s[4:5]
	s_cbranch_execz .LBB252_267
; %bb.262:                              ;   in Loop: Header=BB252_9 Depth=1
	v_cmp_ne_u16_sdwa s[4:5], v1, s42 src0_sel:BYTE_0 src1_sel:DWORD
	v_mov_b32_e32 v52, 0x8000
	s_and_saveexec_b64 s[36:37], s[4:5]
	s_cbranch_execz .LBB252_266
; %bb.263:                              ;   in Loop: Header=BB252_9 Depth=1
	v_and_b32_e32 v3, 0x7f, v1
	v_cmp_ne_u32_e64 s[4:5], s43, v3
	v_mov_b32_e32 v52, 0x7c01
	s_and_saveexec_b64 s[38:39], s[4:5]
	s_cbranch_execz .LBB252_265
; %bb.264:                              ;   in Loop: Header=BB252_9 Depth=1
	v_and_b32_e32 v9, 7, v1
	v_lshrrev_b32_e32 v52, 3, v3
	v_cmp_gt_u32_e64 s[4:5], 8, v3
	v_ffbh_u32_e32 v3, v9
	v_min_u32_e32 v53, 32, v3
	v_subrev_u32_e32 v3, 28, v53
	v_lshlrev_b64 v[3:4], v3, v[1:2]
	v_sub_u32_e32 v4, 29, v53
	v_cndmask_b32_e64 v4, v52, v4, s[4:5]
	v_mov_b32_e32 v0, 0x2000
	v_lshl_add_u32 v4, v4, 10, v0
	v_lshlrev_b32_e32 v52, 8, v1
	v_and_b32_e32 v3, 7, v3
	v_and_b32_e32 v4, 0xfc00, v4
	v_cndmask_b32_e64 v3, v9, v3, s[4:5]
	v_and_or_b32 v4, v52, s44, v4
	v_lshl_or_b32 v52, v3, 7, v4
.LBB252_265:                            ;   in Loop: Header=BB252_9 Depth=1
	s_or_b64 exec, exec, s[38:39]
.LBB252_266:                            ;   in Loop: Header=BB252_9 Depth=1
	s_or_b64 exec, exec, s[36:37]
.LBB252_267:                            ;   in Loop: Header=BB252_9 Depth=1
	s_or_b64 exec, exec, s[34:35]
	v_lshrrev_b16_e32 v1, 8, v1
	v_cmp_ne_u16_e64 s[4:5], 0, v1
	v_mov_b32_e32 v53, 0
	v_mov_b32_e32 v55, 0
	s_and_saveexec_b64 s[34:35], s[4:5]
	s_cbranch_execz .LBB252_273
; %bb.268:                              ;   in Loop: Header=BB252_9 Depth=1
	v_cmp_ne_u16_e64 s[4:5], s42, v1
	v_bfrev_b32_e32 v55, 1
	s_and_saveexec_b64 s[36:37], s[4:5]
	s_cbranch_execz .LBB252_272
; %bb.269:                              ;   in Loop: Header=BB252_9 Depth=1
	v_and_b32_e32 v3, 0x7f, v1
	v_cmp_ne_u32_e64 s[4:5], s43, v3
	v_mov_b32_e32 v55, 0x7c010000
	s_and_saveexec_b64 s[38:39], s[4:5]
	s_cbranch_execz .LBB252_271
; %bb.270:                              ;   in Loop: Header=BB252_9 Depth=1
	v_and_b32_e32 v9, 7, v1
	v_lshrrev_b32_e32 v55, 3, v3
	v_cmp_gt_u32_e64 s[4:5], 8, v3
	v_ffbh_u32_e32 v3, v9
	v_min_u32_e32 v12, 32, v3
	v_subrev_u32_e32 v3, 28, v12
	v_lshlrev_b64 v[3:4], v3, v[1:2]
	v_sub_u32_e32 v4, 29, v12
	v_cndmask_b32_e64 v4, v55, v4, s[4:5]
	v_mov_b32_e32 v0, 0x2000
	v_lshlrev_b32_e32 v1, 8, v1
	v_lshl_add_u32 v4, v4, 10, v0
	v_and_b32_e32 v3, 7, v3
	v_and_or_b32 v1, v1, s44, v4
	v_cndmask_b32_e64 v3, v9, v3, s[4:5]
	v_lshlrev_b32_e32 v1, 16, v1
	v_lshl_or_b32 v55, v3, 23, v1
.LBB252_271:                            ;   in Loop: Header=BB252_9 Depth=1
	s_or_b64 exec, exec, s[38:39]
.LBB252_272:                            ;   in Loop: Header=BB252_9 Depth=1
	s_or_b64 exec, exec, s[36:37]
.LBB252_273:                            ;   in Loop: Header=BB252_9 Depth=1
	s_or_b64 exec, exec, s[34:35]
	global_load_ushort v3, v[7:8], off offset:2816
	s_waitcnt vmcnt(0)
	v_and_b32_e32 v1, 0xffff, v3
	v_cmp_ne_u16_sdwa s[4:5], v3, v2 src0_sel:BYTE_0 src1_sel:DWORD
	s_and_saveexec_b64 s[34:35], s[4:5]
	s_cbranch_execz .LBB252_279
; %bb.274:                              ;   in Loop: Header=BB252_9 Depth=1
	v_cmp_ne_u16_sdwa s[4:5], v1, s42 src0_sel:BYTE_0 src1_sel:DWORD
	v_mov_b32_e32 v53, 0x8000
	s_and_saveexec_b64 s[36:37], s[4:5]
	s_cbranch_execz .LBB252_278
; %bb.275:                              ;   in Loop: Header=BB252_9 Depth=1
	v_and_b32_e32 v3, 0x7f, v1
	v_cmp_ne_u32_e64 s[4:5], s43, v3
	v_mov_b32_e32 v53, 0x7c01
	s_and_saveexec_b64 s[38:39], s[4:5]
	s_cbranch_execz .LBB252_277
; %bb.276:                              ;   in Loop: Header=BB252_9 Depth=1
	v_and_b32_e32 v9, 7, v1
	v_lshrrev_b32_e32 v12, 3, v3
	v_cmp_gt_u32_e64 s[4:5], 8, v3
	v_ffbh_u32_e32 v3, v9
	v_min_u32_e32 v53, 32, v3
	v_subrev_u32_e32 v3, 28, v53
	v_lshlrev_b64 v[3:4], v3, v[1:2]
	v_sub_u32_e32 v4, 29, v53
	v_cndmask_b32_e64 v4, v12, v4, s[4:5]
	v_mov_b32_e32 v0, 0x2000
	v_lshl_add_u32 v4, v4, 10, v0
	v_lshlrev_b32_e32 v12, 8, v1
	v_and_b32_e32 v3, 7, v3
	v_and_b32_e32 v4, 0xfc00, v4
	v_cndmask_b32_e64 v3, v9, v3, s[4:5]
	v_and_or_b32 v4, v12, s44, v4
	v_lshl_or_b32 v53, v3, 7, v4
.LBB252_277:                            ;   in Loop: Header=BB252_9 Depth=1
	s_or_b64 exec, exec, s[38:39]
.LBB252_278:                            ;   in Loop: Header=BB252_9 Depth=1
	s_or_b64 exec, exec, s[36:37]
.LBB252_279:                            ;   in Loop: Header=BB252_9 Depth=1
	s_or_b64 exec, exec, s[34:35]
	v_lshrrev_b16_e32 v1, 8, v1
	v_cmp_ne_u16_e64 s[4:5], 0, v1
	v_mov_b32_e32 v9, 0
	v_mov_b32_e32 v3, 0
	s_and_saveexec_b64 s[34:35], s[4:5]
	s_cbranch_execz .LBB252_285
; %bb.280:                              ;   in Loop: Header=BB252_9 Depth=1
	v_cmp_ne_u16_e64 s[4:5], s42, v1
	v_bfrev_b32_e32 v3, 1
	s_and_saveexec_b64 s[36:37], s[4:5]
	s_cbranch_execz .LBB252_284
; %bb.281:                              ;   in Loop: Header=BB252_9 Depth=1
	v_and_b32_e32 v4, 0x7f, v1
	v_cmp_ne_u32_e64 s[4:5], s43, v4
	v_mov_b32_e32 v3, 0x7c010000
	s_and_saveexec_b64 s[38:39], s[4:5]
	s_cbranch_execz .LBB252_283
; %bb.282:                              ;   in Loop: Header=BB252_9 Depth=1
	v_and_b32_e32 v12, 7, v1
	v_ffbh_u32_e32 v3, v12
	v_min_u32_e32 v16, 32, v3
	v_subrev_u32_e32 v3, 28, v16
	v_lshrrev_b32_e32 v0, 3, v4
	v_cmp_gt_u32_e64 s[4:5], 8, v4
	v_lshlrev_b64 v[3:4], v3, v[1:2]
	v_sub_u32_e32 v4, 29, v16
	v_cndmask_b32_e64 v0, v0, v4, s[4:5]
	v_mov_b32_e32 v4, 0x2000
	v_lshlrev_b32_e32 v1, 8, v1
	v_lshl_add_u32 v0, v0, 10, v4
	v_and_b32_e32 v3, 7, v3
	v_and_or_b32 v0, v1, s44, v0
	v_cndmask_b32_e64 v3, v12, v3, s[4:5]
	v_lshlrev_b32_e32 v0, 16, v0
	v_lshl_or_b32 v3, v3, 23, v0
.LBB252_283:                            ;   in Loop: Header=BB252_9 Depth=1
	s_or_b64 exec, exec, s[38:39]
.LBB252_284:                            ;   in Loop: Header=BB252_9 Depth=1
	s_or_b64 exec, exec, s[36:37]
.LBB252_285:                            ;   in Loop: Header=BB252_9 Depth=1
	s_or_b64 exec, exec, s[34:35]
	global_load_ushort v0, v[7:8], off offset:2824
	s_waitcnt vmcnt(0)
	v_and_b32_e32 v1, 0xffff, v0
	v_cmp_ne_u16_sdwa s[4:5], v0, v2 src0_sel:BYTE_0 src1_sel:DWORD
	s_and_saveexec_b64 s[34:35], s[4:5]
	s_cbranch_execz .LBB252_291
; %bb.286:                              ;   in Loop: Header=BB252_9 Depth=1
	v_cmp_ne_u16_sdwa s[4:5], v1, s42 src0_sel:BYTE_0 src1_sel:DWORD
	v_mov_b32_e32 v9, 0x8000
	s_and_saveexec_b64 s[36:37], s[4:5]
	s_cbranch_execz .LBB252_290
; %bb.287:                              ;   in Loop: Header=BB252_9 Depth=1
	v_and_b32_e32 v4, 0x7f, v1
	v_cmp_ne_u32_e64 s[4:5], s43, v4
	v_mov_b32_e32 v9, 0x7c01
	s_and_saveexec_b64 s[38:39], s[4:5]
	s_cbranch_execz .LBB252_289
; %bb.288:                              ;   in Loop: Header=BB252_9 Depth=1
	v_and_b32_e32 v0, 7, v1
	v_lshrrev_b32_e32 v9, 3, v4
	v_cmp_gt_u32_e64 s[4:5], 8, v4
	v_ffbh_u32_e32 v4, v0
	v_min_u32_e32 v4, 32, v4
	v_subrev_u32_e32 v7, 28, v4
	v_sub_u32_e32 v4, 29, v4
	v_lshlrev_b64 v[7:8], v7, v[1:2]
	v_cndmask_b32_e64 v4, v9, v4, s[4:5]
	v_mov_b32_e32 v9, 0x2000
	v_lshl_add_u32 v4, v4, 10, v9
	v_lshlrev_b32_e32 v8, 8, v1
	v_and_b32_e32 v7, 7, v7
	v_and_b32_e32 v4, 0xfc00, v4
	v_cndmask_b32_e64 v0, v0, v7, s[4:5]
	v_and_or_b32 v4, v8, s44, v4
	v_lshl_or_b32 v9, v0, 7, v4
.LBB252_289:                            ;   in Loop: Header=BB252_9 Depth=1
	s_or_b64 exec, exec, s[38:39]
.LBB252_290:                            ;   in Loop: Header=BB252_9 Depth=1
	s_or_b64 exec, exec, s[36:37]
.LBB252_291:                            ;   in Loop: Header=BB252_9 Depth=1
	s_or_b64 exec, exec, s[34:35]
	v_lshrrev_b16_e32 v1, 8, v1
	v_cmp_ne_u16_e64 s[4:5], 0, v1
	v_mov_b32_e32 v4, 0
	s_and_saveexec_b64 s[34:35], s[4:5]
	s_cbranch_execz .LBB252_297
; %bb.292:                              ;   in Loop: Header=BB252_9 Depth=1
	v_cmp_ne_u16_e64 s[4:5], s42, v1
	v_bfrev_b32_e32 v4, 1
	s_and_saveexec_b64 s[36:37], s[4:5]
	s_cbranch_execz .LBB252_296
; %bb.293:                              ;   in Loop: Header=BB252_9 Depth=1
	v_and_b32_e32 v7, 0x7f, v1
	v_cmp_ne_u32_e64 s[4:5], s43, v7
	v_mov_b32_e32 v4, 0x7c010000
	s_and_saveexec_b64 s[38:39], s[4:5]
	s_cbranch_execz .LBB252_295
; %bb.294:                              ;   in Loop: Header=BB252_9 Depth=1
	v_and_b32_e32 v0, 7, v1
	v_lshrrev_b32_e32 v4, 3, v7
	v_cmp_gt_u32_e64 s[4:5], 8, v7
	v_ffbh_u32_e32 v7, v0
	v_min_u32_e32 v12, 32, v7
	v_subrev_u32_e32 v7, 28, v12
	v_lshlrev_b64 v[7:8], v7, v[1:2]
	v_sub_u32_e32 v8, 29, v12
	v_cndmask_b32_e64 v4, v4, v8, s[4:5]
	v_mov_b32_e32 v8, 0x2000
	v_lshlrev_b32_e32 v1, 8, v1
	v_lshl_add_u32 v4, v4, 10, v8
	v_and_b32_e32 v7, 7, v7
	v_and_or_b32 v1, v1, s44, v4
	v_cndmask_b32_e64 v0, v0, v7, s[4:5]
	v_lshlrev_b32_e32 v1, 16, v1
	v_lshl_or_b32 v4, v0, 23, v1
.LBB252_295:                            ;   in Loop: Header=BB252_9 Depth=1
	s_or_b64 exec, exec, s[38:39]
.LBB252_296:                            ;   in Loop: Header=BB252_9 Depth=1
	s_or_b64 exec, exec, s[36:37]
.LBB252_297:                            ;   in Loop: Header=BB252_9 Depth=1
	s_or_b64 exec, exec, s[34:35]
	v_or_b32_e32 v0, v3, v53
	v_fma_mixlo_f16 v7, v18, v0, 0 op_sel_hi:[0,1,0]
	v_or_b32_e32 v0, v55, v52
	v_fma_mixlo_f16 v53, v18, v0, 0 op_sel_hi:[0,1,0]
	v_or_b32_e32 v0, v57, v54
	v_fma_mixlo_f16 v52, v18, v55, 0 op_sel:[0,1,0] op_sel_hi:[0,1,0]
	v_fma_mixlo_f16 v55, v18, v0, 0 op_sel_hi:[0,1,0]
	v_or_b32_e32 v0, v61, v56
	v_fma_mixlo_f16 v54, v18, v57, 0 op_sel:[0,1,0] op_sel_hi:[0,1,0]
	;; [unrolled: 3-line block ×21, first 2 shown]
	v_fma_mixlo_f16 v22, v18, v0, 0 op_sel_hi:[0,1,0]
	v_or_b32_e32 v0, v4, v9
	v_fma_mixlo_f16 v19, v18, v0, 0 op_sel_hi:[0,1,0]
	ds_read_b32 v0, v13
	v_fma_mixlo_f16 v20, v18, v20, 0 op_sel:[0,1,0] op_sel_hi:[0,1,0]
	v_fma_mixlo_f16 v1, v18, v3, 0 op_sel:[0,1,0] op_sel_hi:[0,1,0]
	;; [unrolled: 1-line block ×3, first 2 shown]
	v_and_b32_e32 v4, 0xffff, v22
	s_waitcnt lgkmcnt(0)
	v_lshrrev_b32_e32 v3, 16, v0
	v_and_b32_e32 v0, 0xffff, v0
	v_and_b32_e32 v9, 0xffff, v20
	;;#ASMSTART
	v_cvt_f32_f16 v0, v0;
	;;#ASMEND
	;;#ASMSTART
	v_cvt_f32_f16 v3, v3;
	;;#ASMEND
	;; [unrolled: 3-line block ×4, first 2 shown]
	ds_read_b32 v12, v13 offset:4
	v_and_b32_e32 v18, 0xffff, v24
	v_and_b32_e32 v20, 0xffff, v21
	;; [unrolled: 1-line block ×3, first 2 shown]
	s_waitcnt lgkmcnt(0)
	v_lshrrev_b32_e32 v16, 16, v12
	v_and_b32_e32 v12, 0xffff, v12
	;;#ASMSTART
	v_cvt_f32_f16 v12, v12;
	;;#ASMEND
	;;#ASMSTART
	v_cvt_f32_f16 v16, v16;
	;;#ASMEND
	;; [unrolled: 3-line block ×3, first 2 shown]
	v_mul_f32_e32 v18, v12, v18
	;;#ASMSTART
	v_cvt_f32_f16 v20, v20;
	;;#ASMEND
	v_fmac_f32_e32 v18, v0, v4
	ds_read_b32 v0, v13 offset:8
	v_mul_f32_e32 v20, v16, v20
	v_fmac_f32_e32 v20, v3, v9
	v_and_b32_e32 v4, 0xffff, v26
	v_and_b32_e32 v9, 0xffff, v23
	s_waitcnt lgkmcnt(0)
	v_lshrrev_b32_e32 v3, 16, v0
	v_and_b32_e32 v0, 0xffff, v0
	;;#ASMSTART
	v_cvt_f32_f16 v0, v0;
	;;#ASMEND
	;;#ASMSTART
	v_cvt_f32_f16 v3, v3;
	;;#ASMEND
	;;#ASMSTART
	v_cvt_f32_f16 v4, v4;
	;;#ASMEND
	;;#ASMSTART
	v_cvt_f32_f16 v9, v9;
	;;#ASMEND
	v_fmac_f32_e32 v18, v0, v4
	ds_read_b32 v0, v13 offset:12
	v_fmac_f32_e32 v20, v3, v9
	v_and_b32_e32 v4, 0xffff, v28
	v_and_b32_e32 v9, 0xffff, v25
	s_waitcnt lgkmcnt(0)
	v_lshrrev_b32_e32 v3, 16, v0
	v_and_b32_e32 v0, 0xffff, v0
	;;#ASMSTART
	v_cvt_f32_f16 v0, v0;
	;;#ASMEND
	;;#ASMSTART
	v_cvt_f32_f16 v3, v3;
	;;#ASMEND
	;;#ASMSTART
	v_cvt_f32_f16 v4, v4;
	;;#ASMEND
	;;#ASMSTART
	v_cvt_f32_f16 v9, v9;
	;;#ASMEND
	v_fmac_f32_e32 v18, v0, v4
	ds_read_b32 v0, v13 offset:16
	;; [unrolled: 20-line block ×21, first 2 shown]
	v_fmac_f32_e32 v20, v3, v1
	v_and_b32_e32 v3, 0xffff, v19
	v_and_b32_e32 v4, 0xffff, v8
	s_waitcnt lgkmcnt(0)
	v_lshrrev_b32_e32 v1, 16, v0
	v_and_b32_e32 v0, 0xffff, v0
	;;#ASMSTART
	v_cvt_f32_f16 v0, v0;
	;;#ASMEND
	;;#ASMSTART
	v_cvt_f32_f16 v1, v1;
	;;#ASMEND
	;; [unrolled: 3-line block ×4, first 2 shown]
	v_fmac_f32_e32 v18, v0, v3
	v_fmac_f32_e32 v20, v1, v4
	v_add_u32_e32 v1, 64, v7
	v_xor_b32_e32 v3, 2, v10
	v_cmp_lt_i32_e64 s[4:5], v3, v1
	v_cndmask_b32_e64 v3, v10, v3, s[4:5]
	v_add_f32_e32 v0, v18, v20
	v_lshlrev_b32_e32 v3, 2, v3
	ds_bpermute_b32 v3, v3, v0
	s_waitcnt lgkmcnt(0)
	v_add_f32_e32 v3, v0, v3
	v_xor_b32_e32 v0, 1, v10
	v_cmp_lt_i32_e64 s[4:5], v0, v1
	v_cndmask_b32_e64 v0, v10, v0, s[4:5]
	v_lshlrev_b32_e32 v0, 2, v0
	ds_bpermute_b32 v4, v0, v3
	s_and_saveexec_b64 s[34:35], vcc
	s_cbranch_execz .LBB252_8
; %bb.298:                              ;   in Loop: Header=BB252_9 Depth=1
	buffer_load_dword v8, off, s[48:51], 0  ; 4-byte Folded Reload
	v_add_u32_e32 v0, s41, v14
	v_cvt_f32_i32_e32 v0, v0
	s_waitcnt lgkmcnt(0)
	v_add_f32_e32 v3, v3, v4
	v_cmp_gt_i32_e64 s[4:5], s30, v14
	v_mul_f32_e32 v0, s33, v0
	v_cndmask_b32_e64 v0, 0, v0, s[2:3]
	v_fmac_f32_e32 v0, s31, v3
	v_cndmask_b32_e64 v3, 0, v0, s[4:5]
	ds_write_b32 v15, v3
	s_waitcnt vmcnt(0)
	v_max_f32_e32 v4, v8, v8
	v_max_f32_e32 v0, v4, v0
	v_cndmask_b32_e64 v8, v8, v0, s[4:5]
	buffer_store_dword v8, off, s[48:51], 0 ; 4-byte Folded Spill
	s_branch .LBB252_8
.LBB252_299:
	s_or_b64 exec, exec, s[18:19]
	buffer_load_dword v16, off, s[48:51], 0 offset:12 ; 4-byte Folded Reload
	buffer_load_dword v5, off, s[48:51], 0  ; 4-byte Folded Reload
.LBB252_300:
	s_or_b64 exec, exec, s[6:7]
	v_xor_b32_e32 v2, 32, v10
	v_cmp_lt_i32_e32 vcc, v2, v1
	v_cndmask_b32_e32 v2, v10, v2, vcc
	v_lshlrev_b32_e32 v2, 2, v2
	s_waitcnt vmcnt(0)
	ds_bpermute_b32 v3, v2, v5
	s_waitcnt lgkmcnt(0)
	v_max_f32_e32 v4, v5, v5
	v_xor_b32_e32 v5, 16, v10
	v_cmp_lt_i32_e32 vcc, v5, v1
	v_xor_b32_e32 v6, 8, v10
	v_max_f32_e32 v3, v3, v3
	v_max_f32_e32 v4, v4, v3
	v_cndmask_b32_e32 v3, v10, v5, vcc
	v_lshlrev_b32_e32 v3, 2, v3
	ds_bpermute_b32 v5, v3, v4
	v_cmp_lt_i32_e32 vcc, v6, v1
	v_xor_b32_e32 v8, 4, v10
	v_and_b32_e32 v12, 63, v16
	s_waitcnt lgkmcnt(0)
	v_max_f32_e32 v5, v5, v5
	v_max_f32_e32 v4, v4, v5
	v_cndmask_b32_e32 v5, v10, v6, vcc
	v_lshlrev_b32_e32 v6, 2, v5
	ds_bpermute_b32 v5, v6, v4
	v_cmp_lt_i32_e32 vcc, v8, v1
	s_waitcnt lgkmcnt(0)
	v_max_f32_e32 v5, v5, v5
	v_max_f32_e32 v5, v4, v5
	v_cndmask_b32_e32 v4, v10, v8, vcc
	v_lshlrev_b32_e32 v8, 2, v4
	ds_bpermute_b32 v9, v8, v5
	v_cmp_eq_u32_e32 vcc, 0, v12
	v_lshlrev_b32_e32 v4, 2, v11
	s_and_saveexec_b64 s[2:3], vcc
	s_cbranch_execz .LBB252_302
; %bb.301:
	s_waitcnt lgkmcnt(0)
	v_max_f32_e32 v0, v9, v9
	v_max_f32_e32 v5, v5, v5
	;; [unrolled: 1-line block ×3, first 2 shown]
	ds_write_b32 v4, v0 offset:384
.LBB252_302:
	s_or_b64 exec, exec, s[2:3]
	v_cmp_gt_u32_e64 s[2:3], 2, v12
	s_waitcnt lgkmcnt(0)
	v_mov_b32_e32 v9, 0xff7fffff
	v_lshlrev_b32_e32 v5, 2, v12
	s_barrier
	s_and_saveexec_b64 s[4:5], s[2:3]
; %bb.303:
	ds_read_b32 v9, v5 offset:384
; %bb.304:
	s_or_b64 exec, exec, s[4:5]
	v_xor_b32_e32 v0, 1, v10
	v_cmp_lt_i32_e64 s[4:5], v0, v1
	v_cndmask_b32_e64 v0, v10, v0, s[4:5]
	v_lshlrev_b32_e32 v13, 2, v0
	s_waitcnt lgkmcnt(0)
	ds_bpermute_b32 v0, v13, v9
	v_max_f32_e32 v9, v9, v9
	v_lshlrev_b32_e32 v7, 2, v7
	s_lshl_b32 s4, s21, 4
	s_min_i32 s31, s4, s30
	s_waitcnt lgkmcnt(0)
	v_max_f32_e32 v0, v0, v0
	v_max_f32_e32 v0, v9, v0
	ds_bpermute_b32 v9, v7, v0
	v_cmp_gt_i32_e64 s[4:5], s31, v16
	v_mov_b32_e32 v7, 0
	s_and_saveexec_b64 s[12:13], s[4:5]
	s_cbranch_execz .LBB252_308
; %bb.305:
	v_mov_b32_e32 v0, 0x190
	v_lshl_add_u32 v14, v16, 2, v0
	v_mov_b32_e32 v7, 0
	s_mov_b64 s[18:19], 0
	v_mov_b32_e32 v15, v16
.LBB252_306:                            ; =>This Inner Loop Header: Depth=1
	ds_read_b32 v0, v14
	v_add_u32_e32 v15, 0x80, v15
	v_cmp_le_i32_e64 s[6:7], s31, v15
	s_or_b64 s[18:19], s[6:7], s[18:19]
	s_waitcnt lgkmcnt(0)
	v_sub_f32_e32 v0, v0, v9
	v_mul_f32_e32 v0, 0x3fb8aa3b, v0
	v_exp_f32_e32 v0, v0
	ds_write_b32 v14, v0
	v_add_f32_e32 v7, v7, v0
	v_add_u32_e32 v14, 0x200, v14
	s_andn2_b64 exec, exec, s[18:19]
	s_cbranch_execnz .LBB252_306
; %bb.307:
	s_or_b64 exec, exec, s[18:19]
.LBB252_308:
	s_or_b64 exec, exec, s[12:13]
	ds_bpermute_b32 v0, v2, v7
	s_waitcnt lgkmcnt(0)
	v_add_f32_e32 v0, v7, v0
	ds_bpermute_b32 v2, v3, v0
	v_xor_b32_e32 v3, 2, v10
	v_cmp_lt_i32_e64 s[6:7], v3, v1
	v_cndmask_b32_e64 v1, v10, v3, s[6:7]
	v_lshlrev_b32_e32 v1, 2, v1
	s_waitcnt lgkmcnt(0)
	v_add_f32_e32 v0, v0, v2
	ds_bpermute_b32 v2, v6, v0
	s_waitcnt lgkmcnt(0)
	v_add_f32_e32 v0, v0, v2
	ds_bpermute_b32 v2, v8, v0
	;; [unrolled: 3-line block ×4, first 2 shown]
	s_waitcnt lgkmcnt(0)
	v_add_f32_e32 v1, v0, v1
	s_and_saveexec_b64 s[6:7], vcc
; %bb.309:
	ds_write_b32 v4, v1 offset:392
; %bb.310:
	s_or_b64 exec, exec, s[6:7]
	s_waitcnt lgkmcnt(0)
	s_barrier
	s_and_saveexec_b64 s[6:7], s[2:3]
; %bb.311:
	ds_read_b32 v1, v5 offset:392
; %bb.312:
	s_or_b64 exec, exec, s[6:7]
	s_waitcnt lgkmcnt(0)
	ds_bpermute_b32 v0, v13, v1
	v_lshlrev_b32_e32 v2, 2, v10
	s_waitcnt lgkmcnt(0)
	v_add_f32_e32 v0, v1, v0
	v_and_b32_e32 v1, 0xffffff00, v2
	ds_bpermute_b32 v1, v1, v0
	s_and_saveexec_b64 s[2:3], s[4:5]
	s_cbranch_execz .LBB252_315
; %bb.313:
	s_waitcnt lgkmcnt(0)
	v_add_f32_e32 v0, 0x358637bd, v1
	v_div_scale_f32 v1, s[4:5], v0, v0, 1.0
	v_div_scale_f32 v2, vcc, 1.0, v0, 1.0
	s_mov_b64 s[4:5], 0
	v_rcp_f32_e32 v3, v1
	v_fma_f32 v4, -v1, v3, 1.0
	v_fmac_f32_e32 v3, v4, v3
	v_mul_f32_e32 v4, v2, v3
	v_fma_f32 v5, -v1, v4, v2
	v_fmac_f32_e32 v4, v5, v3
	v_fma_f32 v1, -v1, v4, v2
	v_div_fmas_f32 v2, v1, v3, v4
	v_mov_b32_e32 v1, 0x190
	v_lshl_add_u32 v1, v16, 2, v1
	v_mov_b32_e32 v3, v16
	v_div_fixup_f32 v2, v2, v0, 1.0
.LBB252_314:                            ; =>This Inner Loop Header: Depth=1
	ds_read_b32 v0, v1
	v_add_u32_e32 v3, 0x80, v3
	v_cmp_le_i32_e32 vcc, s31, v3
	s_or_b64 s[4:5], vcc, s[4:5]
	s_waitcnt lgkmcnt(0)
	v_mul_f32_e32 v0, v2, v0
	ds_write_b32 v1, v0
	v_add_u32_e32 v1, 0x200, v1
	s_andn2_b64 exec, exec, s[4:5]
	s_cbranch_execnz .LBB252_314
.LBB252_315:
	s_or_b64 exec, exec, s[2:3]
	v_mov_b32_e32 v20, 0
	v_and_b32_e32 v14, 1, v16
	v_mov_b32_e32 v19, 0
	v_mov_b32_e32 v18, 0
	;; [unrolled: 1-line block ×5, first 2 shown]
	s_waitcnt lgkmcnt(0)
	s_barrier
	s_and_saveexec_b64 s[2:3], s[0:1]
	s_cbranch_execz .LBB252_619
; %bb.316:
	buffer_load_dword v0, off, s[48:51], 0 offset:12 ; 4-byte Folded Reload
	s_ashr_i32 s0, s16, 31
	s_add_u32 s1, s28, s16
	s_addc_u32 s0, s29, s0
	s_add_i32 s28, s21, -1
	v_mov_b32_e32 v4, s0
	s_mov_b32 s4, -1
	s_mov_b32 s31, s17
	s_mov_b32 s5, 0xffffff
	v_mov_b32_e32 v2, 0
	s_mov_b64 s[6:7], 0
	v_mov_b32_e32 v23, 0x2000
	v_mov_b32_e32 v15, 0
	;; [unrolled: 1-line block ×7, first 2 shown]
	s_waitcnt vmcnt(0)
	v_lshlrev_b32_e32 v0, 3, v0
	v_and_b32_e32 v1, 8, v0
	v_and_b32_e32 v0, 0x1f8, v0
	v_add_co_u32_e32 v3, vcc, s1, v0
	v_lshlrev_b32_e32 v0, 4, v11
	v_or3_b32 v21, v0, v1, 7
	v_lshlrev_b32_e32 v0, 5, v14
	v_lshl_or_b32 v0, v11, 6, v0
	v_add_u32_e32 v22, 0x190, v0
	buffer_load_dword v0, off, s[48:51], 0 offset:16 ; 4-byte Folded Reload
	s_lshl_b64 s[0:1], s[26:27], 2
	s_add_u32 s0, s24, s0
	v_addc_co_u32_e32 v4, vcc, 0, v4, vcc
	s_addc_u32 s1, s25, s1
	v_mov_b32_e32 v1, s1
	s_movk_i32 s24, 0x80
	s_movk_i32 s25, 0x7f
	s_mov_b32 s26, 0x8000
	s_waitcnt vmcnt(0)
	v_and_b32_e32 v0, 60, v0
	v_add_co_u32_e32 v5, vcc, s0, v0
	v_addc_co_u32_e32 v6, vcc, 0, v1, vcc
	s_branch .LBB252_318
.LBB252_317:                            ;   in Loop: Header=BB252_318 Depth=1
	s_or_b64 exec, exec, s[0:1]
	v_add_f32_e32 v0, v9, v10
	v_add_f32_e32 v16, v16, v0
	;; [unrolled: 1-line block ×10, first 2 shown]
	;;#ASMSTART
	v_pk_mul_f16 v0, v31, v7;

	;;#ASMEND
	;;#ASMSTART
	v_pk_mul_f16 v1, v32, v1;

	;;#ASMEND
	;; [unrolled: 4-line block ×4, first 2 shown]
	;;#ASMSTART
	v_pk_add_f16 v0, v0, v1;

	;;#ASMEND
	;;#ASMSTART
	v_pk_add_f16 v0, v0, v7;

	;;#ASMEND
	;; [unrolled: 4-line block ×3, first 2 shown]
	v_lshrrev_b32_e32 v1, 16, v0
	v_and_b32_e32 v0, 0xffff, v0
	v_add_u32_e32 v11, 2, v11
	;;#ASMSTART
	v_cvt_f32_f16 v0, v0;
	;;#ASMEND
	v_cmp_le_i32_e32 vcc, s21, v11
	;;#ASMSTART
	v_cvt_f32_f16 v1, v1;
	;;#ASMEND
	v_add_f32_e32 v0, v0, v1
	s_or_b64 s[6:7], vcc, s[6:7]
	v_add_co_u32_e32 v5, vcc, 8, v5
	v_add_f32_e32 v15, v15, v0
	v_add_u32_e32 v21, 32, v21
	v_add_u32_e32 v22, 0x80, v22
	v_addc_co_u32_e32 v6, vcc, 0, v6, vcc
	s_andn2_b64 exec, exec, s[6:7]
	s_cbranch_execz .LBB252_618
.LBB252_318:                            ; =>This Inner Loop Header: Depth=1
	global_load_dword v0, v[5:6], off
	ds_read2_b64 v[7:10], v22 offset1:1
	ds_read2_b64 v[24:27], v22 offset0:2 offset1:3
	s_waitcnt lgkmcnt(1)
	;;#ASMSTART
	v_cvt_f16_f32 v31, v7;

	;;#ASMEND
	;;#ASMSTART
	v_cvt_f16_f32 v32, v8;

	;;#ASMEND
	;; [unrolled: 4-line block ×4, first 2 shown]
	s_waitcnt lgkmcnt(0)
	;;#ASMSTART
	v_cvt_f16_f32 v35, v24;

	;;#ASMEND
	;;#ASMSTART
	v_cvt_f16_f32 v36, v25;

	;;#ASMEND
	;; [unrolled: 4-line block ×4, first 2 shown]
	v_mov_b32_e32 v26, 0
	s_waitcnt vmcnt(0)
	v_mad_i64_i32 v[7:8], s[0:1], v0, s31, v[3:4]
	global_load_dwordx2 v[9:10], v[7:8], off
	global_load_dword v25, v2, s[14:15]
	s_waitcnt vmcnt(1)
	v_cmp_ne_u16_sdwa s[12:13], v9, v2 src0_sel:BYTE_0 src1_sel:DWORD
	s_and_saveexec_b64 s[0:1], s[12:13]
	s_cbranch_execz .LBB252_324
; %bb.319:                              ;   in Loop: Header=BB252_318 Depth=1
	v_cmp_ne_u16_sdwa s[16:17], v9, s24 src0_sel:BYTE_0 src1_sel:DWORD
	v_mov_b32_e32 v26, 0x8000
	s_and_saveexec_b64 s[12:13], s[16:17]
	s_cbranch_execz .LBB252_323
; %bb.320:                              ;   in Loop: Header=BB252_318 Depth=1
	v_and_b32_e32 v1, 0x7f, v9
	v_cmp_ne_u32_e32 vcc, s25, v1
	v_mov_b32_e32 v26, 0x7c01
	s_and_saveexec_b64 s[16:17], vcc
	s_cbranch_execz .LBB252_322
; %bb.321:                              ;   in Loop: Header=BB252_318 Depth=1
	v_and_b32_e32 v0, 7, v9
	v_ffbh_u32_e32 v26, v0
	v_min_u32_e32 v28, 32, v26
	v_subrev_u32_e32 v26, 28, v28
	v_lshlrev_b64 v[26:27], v26, v[9:10]
	v_lshrrev_b32_e32 v24, 3, v1
	v_sub_u32_e32 v27, 29, v28
	v_cmp_gt_u32_e32 vcc, 8, v1
	v_cndmask_b32_e32 v1, v24, v27, vcc
	v_lshl_add_u32 v1, v1, 10, v23
	v_lshlrev_b32_e32 v24, 8, v9
	v_and_b32_e32 v26, 7, v26
	v_and_b32_e32 v1, 0xfc00, v1
	v_cndmask_b32_e32 v0, v0, v26, vcc
	v_and_or_b32 v1, v24, s26, v1
	v_lshl_or_b32 v26, v0, 7, v1
.LBB252_322:                            ;   in Loop: Header=BB252_318 Depth=1
	s_or_b64 exec, exec, s[16:17]
.LBB252_323:                            ;   in Loop: Header=BB252_318 Depth=1
	s_or_b64 exec, exec, s[12:13]
.LBB252_324:                            ;   in Loop: Header=BB252_318 Depth=1
	s_or_b64 exec, exec, s[0:1]
	v_lshrrev_b16_e32 v1, 8, v9
	v_cmp_ne_u16_e32 vcc, 0, v1
	v_mov_b32_e32 v28, 0
	v_mov_b32_e32 v27, 0
	s_and_saveexec_b64 s[0:1], vcc
	s_cbranch_execz .LBB252_330
; %bb.325:                              ;   in Loop: Header=BB252_318 Depth=1
	v_cmp_ne_u16_e32 vcc, s24, v1
	v_bfrev_b32_e32 v27, 1
	s_and_saveexec_b64 s[12:13], vcc
	s_cbranch_execz .LBB252_329
; %bb.326:                              ;   in Loop: Header=BB252_318 Depth=1
	v_and_b32_e32 v24, 0x7f, v1
	v_cmp_ne_u32_e32 vcc, s25, v24
	v_mov_b32_e32 v27, 0x7c010000
	s_and_saveexec_b64 s[16:17], vcc
	s_cbranch_execz .LBB252_328
; %bb.327:                              ;   in Loop: Header=BB252_318 Depth=1
	v_and_b32_e32 v0, 7, v1
	v_ffbh_u32_e32 v29, v0
	v_min_u32_e32 v39, 32, v29
	v_subrev_u32_e32 v29, 28, v39
	v_lshlrev_b64 v[29:30], v29, v[1:2]
	v_lshrrev_b32_e32 v27, 3, v24
	v_sub_u32_e32 v30, 29, v39
	v_cmp_gt_u32_e32 vcc, 8, v24
	v_cndmask_b32_e32 v24, v27, v30, vcc
	v_lshlrev_b32_e32 v1, 8, v1
	v_lshl_add_u32 v24, v24, 10, v23
	v_and_b32_e32 v27, 7, v29
	v_and_or_b32 v1, v1, s26, v24
	v_cndmask_b32_e32 v0, v0, v27, vcc
	v_lshlrev_b32_e32 v1, 16, v1
	v_lshl_or_b32 v27, v0, 23, v1
.LBB252_328:                            ;   in Loop: Header=BB252_318 Depth=1
	s_or_b64 exec, exec, s[16:17]
.LBB252_329:                            ;   in Loop: Header=BB252_318 Depth=1
	s_or_b64 exec, exec, s[12:13]
.LBB252_330:                            ;   in Loop: Header=BB252_318 Depth=1
	s_or_b64 exec, exec, s[0:1]
	v_lshrrev_b32_e32 v1, 16, v9
	v_cmp_ne_u16_sdwa s[12:13], v1, v2 src0_sel:BYTE_0 src1_sel:DWORD
	s_and_saveexec_b64 s[0:1], s[12:13]
	s_cbranch_execz .LBB252_336
; %bb.331:                              ;   in Loop: Header=BB252_318 Depth=1
	v_cmp_ne_u16_sdwa s[16:17], v1, s24 src0_sel:BYTE_0 src1_sel:DWORD
	v_mov_b32_e32 v28, 0x8000
	s_and_saveexec_b64 s[12:13], s[16:17]
	s_cbranch_execz .LBB252_335
; %bb.332:                              ;   in Loop: Header=BB252_318 Depth=1
	v_bfe_u32 v24, v9, 16, 7
	v_cmp_ne_u32_e32 vcc, s25, v24
	v_mov_b32_e32 v28, 0x7c01
	s_and_saveexec_b64 s[16:17], vcc
	s_cbranch_execz .LBB252_334
; %bb.333:                              ;   in Loop: Header=BB252_318 Depth=1
	v_and_b32_e32 v0, 7, v1
	v_ffbh_u32_e32 v28, v0
	v_min_u32_e32 v39, 32, v28
	v_subrev_u32_e32 v28, 28, v39
	v_lshlrev_b64 v[28:29], v28, v[1:2]
	v_lshrrev_b32_e32 v30, 3, v24
	v_sub_u32_e32 v29, 29, v39
	v_cmp_gt_u32_e32 vcc, 8, v24
	v_cndmask_b32_e32 v24, v30, v29, vcc
	v_lshl_add_u32 v24, v24, 10, v23
	v_lshlrev_b32_e32 v1, 8, v1
	v_and_b32_e32 v28, 7, v28
	v_and_b32_e32 v24, 0xfc00, v24
	v_cndmask_b32_e32 v0, v0, v28, vcc
	v_and_or_b32 v1, v1, s26, v24
	v_lshl_or_b32 v28, v0, 7, v1
.LBB252_334:                            ;   in Loop: Header=BB252_318 Depth=1
	s_or_b64 exec, exec, s[16:17]
.LBB252_335:                            ;   in Loop: Header=BB252_318 Depth=1
	s_or_b64 exec, exec, s[12:13]
.LBB252_336:                            ;   in Loop: Header=BB252_318 Depth=1
	s_or_b64 exec, exec, s[0:1]
	v_cmp_lt_u32_e32 vcc, s5, v9
	v_mov_b32_e32 v29, 0
	v_mov_b32_e32 v30, 0
	s_and_saveexec_b64 s[0:1], vcc
	s_cbranch_execz .LBB252_342
; %bb.337:                              ;   in Loop: Header=BB252_318 Depth=1
	v_lshrrev_b32_e32 v1, 24, v9
	v_cmp_ne_u32_e32 vcc, s24, v1
	v_bfrev_b32_e32 v30, 1
	s_and_saveexec_b64 s[12:13], vcc
	s_cbranch_execz .LBB252_341
; %bb.338:                              ;   in Loop: Header=BB252_318 Depth=1
	v_and_b32_e32 v24, 0x7f, v1
	v_cmp_ne_u32_e32 vcc, s25, v24
	v_mov_b32_e32 v30, 0x7c010000
	s_and_saveexec_b64 s[16:17], vcc
	s_cbranch_execz .LBB252_340
; %bb.339:                              ;   in Loop: Header=BB252_318 Depth=1
	v_and_b32_e32 v0, 7, v1
	v_ffbh_u32_e32 v39, v0
	v_min_u32_e32 v41, 32, v39
	v_subrev_u32_e32 v39, 28, v41
	v_lshlrev_b64 v[39:40], v39, v[1:2]
	v_lshrrev_b32_e32 v30, 3, v24
	v_sub_u32_e32 v40, 29, v41
	v_cmp_gt_u32_e32 vcc, 8, v24
	v_cndmask_b32_e32 v24, v30, v40, vcc
	v_lshlrev_b32_e32 v1, 8, v1
	v_lshl_add_u32 v24, v24, 10, v23
	v_and_b32_e32 v30, 7, v39
	v_and_or_b32 v1, v1, s26, v24
	v_cndmask_b32_e32 v0, v0, v30, vcc
	v_lshlrev_b32_e32 v1, 16, v1
	v_lshl_or_b32 v30, v0, 23, v1
.LBB252_340:                            ;   in Loop: Header=BB252_318 Depth=1
	s_or_b64 exec, exec, s[16:17]
.LBB252_341:                            ;   in Loop: Header=BB252_318 Depth=1
	s_or_b64 exec, exec, s[12:13]
.LBB252_342:                            ;   in Loop: Header=BB252_318 Depth=1
	s_or_b64 exec, exec, s[0:1]
	v_mov_b32_e32 v1, v10
	v_cmp_ne_u16_sdwa s[12:13], v10, v2 src0_sel:BYTE_0 src1_sel:DWORD
	s_and_saveexec_b64 s[0:1], s[12:13]
	s_cbranch_execz .LBB252_348
; %bb.343:                              ;   in Loop: Header=BB252_318 Depth=1
	v_cmp_ne_u16_sdwa s[16:17], v10, s24 src0_sel:BYTE_0 src1_sel:DWORD
	v_mov_b32_e32 v29, 0x8000
	s_and_saveexec_b64 s[12:13], s[16:17]
	s_cbranch_execz .LBB252_347
; %bb.344:                              ;   in Loop: Header=BB252_318 Depth=1
	v_and_b32_e32 v24, 0x7f, v10
	v_cmp_ne_u32_e32 vcc, s25, v24
	v_mov_b32_e32 v29, 0x7c01
	s_and_saveexec_b64 s[16:17], vcc
	s_cbranch_execz .LBB252_346
; %bb.345:                              ;   in Loop: Header=BB252_318 Depth=1
	v_and_b32_e32 v0, 7, v10
	v_ffbh_u32_e32 v39, v0
	v_min_u32_e32 v41, 32, v39
	v_subrev_u32_e32 v39, 28, v41
	v_lshlrev_b64 v[39:40], v39, v[1:2]
	v_lshrrev_b32_e32 v29, 3, v24
	v_sub_u32_e32 v40, 29, v41
	v_cmp_gt_u32_e32 vcc, 8, v24
	v_cndmask_b32_e32 v24, v29, v40, vcc
	v_lshl_add_u32 v24, v24, 10, v23
	v_lshlrev_b32_e32 v29, 8, v10
	v_and_b32_e32 v39, 7, v39
	v_and_b32_e32 v24, 0xfc00, v24
	v_cndmask_b32_e32 v0, v0, v39, vcc
	v_and_or_b32 v24, v29, s26, v24
	v_lshl_or_b32 v29, v0, 7, v24
.LBB252_346:                            ;   in Loop: Header=BB252_318 Depth=1
	s_or_b64 exec, exec, s[16:17]
.LBB252_347:                            ;   in Loop: Header=BB252_318 Depth=1
	s_or_b64 exec, exec, s[12:13]
.LBB252_348:                            ;   in Loop: Header=BB252_318 Depth=1
	s_or_b64 exec, exec, s[0:1]
	v_lshrrev_b16_e32 v1, 8, v1
	v_cmp_ne_u16_e32 vcc, 0, v1
	v_mov_b32_e32 v39, 0
	v_mov_b32_e32 v40, 0
	s_and_saveexec_b64 s[0:1], vcc
	s_cbranch_execz .LBB252_354
; %bb.349:                              ;   in Loop: Header=BB252_318 Depth=1
	v_cmp_ne_u16_e32 vcc, s24, v1
	v_bfrev_b32_e32 v40, 1
	s_and_saveexec_b64 s[12:13], vcc
	s_cbranch_execz .LBB252_353
; %bb.350:                              ;   in Loop: Header=BB252_318 Depth=1
	v_and_b32_e32 v24, 0x7f, v1
	v_cmp_ne_u32_e32 vcc, s25, v24
	v_mov_b32_e32 v40, 0x7c010000
	s_and_saveexec_b64 s[16:17], vcc
	s_cbranch_execz .LBB252_352
; %bb.351:                              ;   in Loop: Header=BB252_318 Depth=1
	v_and_b32_e32 v0, 7, v1
	v_ffbh_u32_e32 v40, v0
	v_min_u32_e32 v43, 32, v40
	v_subrev_u32_e32 v40, 28, v43
	v_lshlrev_b64 v[40:41], v40, v[1:2]
	v_lshrrev_b32_e32 v42, 3, v24
	v_sub_u32_e32 v41, 29, v43
	v_cmp_gt_u32_e32 vcc, 8, v24
	v_cndmask_b32_e32 v24, v42, v41, vcc
	v_lshlrev_b32_e32 v1, 8, v1
	v_lshl_add_u32 v24, v24, 10, v23
	v_and_b32_e32 v40, 7, v40
	v_and_or_b32 v1, v1, s26, v24
	v_cndmask_b32_e32 v0, v0, v40, vcc
	v_lshlrev_b32_e32 v1, 16, v1
	v_lshl_or_b32 v40, v0, 23, v1
.LBB252_352:                            ;   in Loop: Header=BB252_318 Depth=1
	s_or_b64 exec, exec, s[16:17]
.LBB252_353:                            ;   in Loop: Header=BB252_318 Depth=1
	s_or_b64 exec, exec, s[12:13]
.LBB252_354:                            ;   in Loop: Header=BB252_318 Depth=1
	s_or_b64 exec, exec, s[0:1]
	v_lshrrev_b32_e32 v1, 16, v10
	v_cmp_ne_u16_sdwa s[12:13], v1, v2 src0_sel:BYTE_0 src1_sel:DWORD
	s_and_saveexec_b64 s[0:1], s[12:13]
	s_cbranch_execz .LBB252_360
; %bb.355:                              ;   in Loop: Header=BB252_318 Depth=1
	v_cmp_ne_u16_sdwa s[16:17], v1, s24 src0_sel:BYTE_0 src1_sel:DWORD
	v_mov_b32_e32 v39, 0x8000
	s_and_saveexec_b64 s[12:13], s[16:17]
	s_cbranch_execz .LBB252_359
; %bb.356:                              ;   in Loop: Header=BB252_318 Depth=1
	v_bfe_u32 v24, v10, 16, 7
	v_cmp_ne_u32_e32 vcc, s25, v24
	v_mov_b32_e32 v39, 0x7c01
	s_and_saveexec_b64 s[16:17], vcc
	s_cbranch_execz .LBB252_358
; %bb.357:                              ;   in Loop: Header=BB252_318 Depth=1
	v_and_b32_e32 v0, 7, v1
	v_ffbh_u32_e32 v41, v0
	v_min_u32_e32 v43, 32, v41
	v_subrev_u32_e32 v41, 28, v43
	v_lshlrev_b64 v[41:42], v41, v[1:2]
	v_lshrrev_b32_e32 v39, 3, v24
	v_sub_u32_e32 v42, 29, v43
	v_cmp_gt_u32_e32 vcc, 8, v24
	v_cndmask_b32_e32 v24, v39, v42, vcc
	v_lshl_add_u32 v24, v24, 10, v23
	v_lshlrev_b32_e32 v1, 8, v1
	v_and_b32_e32 v39, 7, v41
	v_and_b32_e32 v24, 0xfc00, v24
	v_cndmask_b32_e32 v0, v0, v39, vcc
	v_and_or_b32 v1, v1, s26, v24
	v_lshl_or_b32 v39, v0, 7, v1
.LBB252_358:                            ;   in Loop: Header=BB252_318 Depth=1
	s_or_b64 exec, exec, s[16:17]
.LBB252_359:                            ;   in Loop: Header=BB252_318 Depth=1
	s_or_b64 exec, exec, s[12:13]
.LBB252_360:                            ;   in Loop: Header=BB252_318 Depth=1
	s_or_b64 exec, exec, s[0:1]
	v_cmp_lt_u64_e32 vcc, s[4:5], v[9:10]
	v_mov_b32_e32 v41, 0
	s_and_saveexec_b64 s[0:1], vcc
	s_cbranch_execz .LBB252_366
; %bb.361:                              ;   in Loop: Header=BB252_318 Depth=1
	v_lshrrev_b32_e32 v1, 24, v10
	v_cmp_ne_u32_e32 vcc, s24, v1
	v_bfrev_b32_e32 v41, 1
	s_and_saveexec_b64 s[12:13], vcc
	s_cbranch_execz .LBB252_365
; %bb.362:                              ;   in Loop: Header=BB252_318 Depth=1
	v_and_b32_e32 v9, 0x7f, v1
	v_cmp_ne_u32_e32 vcc, s25, v9
	v_mov_b32_e32 v41, 0x7c010000
	s_and_saveexec_b64 s[16:17], vcc
	s_cbranch_execz .LBB252_364
; %bb.363:                              ;   in Loop: Header=BB252_318 Depth=1
	v_and_b32_e32 v0, 7, v1
	v_ffbh_u32_e32 v24, v0
	v_min_u32_e32 v24, 32, v24
	v_lshrrev_b32_e32 v10, 3, v9
	v_subrev_u32_e32 v41, 28, v24
	v_sub_u32_e32 v24, 29, v24
	v_cmp_gt_u32_e32 vcc, 8, v9
	v_lshlrev_b64 v[41:42], v41, v[1:2]
	v_cndmask_b32_e32 v9, v10, v24, vcc
	v_lshlrev_b32_e32 v1, 8, v1
	v_lshl_add_u32 v9, v9, 10, v23
	v_and_b32_e32 v10, 7, v41
	v_and_or_b32 v1, v1, s26, v9
	v_cndmask_b32_e32 v0, v0, v10, vcc
	v_lshlrev_b32_e32 v1, 16, v1
	v_lshl_or_b32 v41, v0, 23, v1
.LBB252_364:                            ;   in Loop: Header=BB252_318 Depth=1
	s_or_b64 exec, exec, s[16:17]
.LBB252_365:                            ;   in Loop: Header=BB252_318 Depth=1
	s_or_b64 exec, exec, s[12:13]
.LBB252_366:                            ;   in Loop: Header=BB252_318 Depth=1
	s_or_b64 exec, exec, s[0:1]
	v_or_b32_e32 v0, v30, v28
	s_waitcnt vmcnt(0)
	v_fma_mixlo_f16 v0, v25, v0, 0 op_sel_hi:[0,1,0]
	v_and_b32_e32 v43, 0xffff, v0
	v_or_b32_e32 v0, v27, v26
	v_fma_mixlo_f16 v0, v25, v0, 0 op_sel_hi:[0,1,0]
	v_and_b32_e32 v47, 0xffff, v0
	v_or_b32_e32 v0, v40, v29
	;; [unrolled: 3-line block ×3, first 2 shown]
	v_fma_mixlo_f16 v1, v25, v30, 0 op_sel:[0,1,0] op_sel_hi:[0,1,0]
	v_fma_mixlo_f16 v9, v25, v27, 0 op_sel:[0,1,0] op_sel_hi:[0,1,0]
	;; [unrolled: 1-line block ×3, first 2 shown]
	v_fma_mixlo_f16 v0, v25, v0, 0 op_sel_hi:[0,1,0]
	v_fma_mixlo_f16 v25, v25, v41, 0 op_sel:[0,1,0] op_sel_hi:[0,1,0]
	v_lshlrev_b32_e32 v42, 16, v1
	v_lshlrev_b32_e32 v44, 16, v9
	v_lshlrev_b32_e32 v40, 16, v10
	v_lshlrev_b32_e32 v41, 16, v25
	v_and_b32_e32 v46, 0xffff, v0
	v_add_u32_e32 v24, -7, v21
	v_cmp_eq_u32_e32 vcc, s28, v11
	v_or_b32_e32 v1, v42, v43
	v_or_b32_e32 v9, v44, v47
	;; [unrolled: 1-line block ×4, first 2 shown]
	v_add_u32_e32 v30, -6, v21
	v_add_u32_e32 v29, -5, v21
	v_add_u32_e32 v28, -4, v21
	v_add_u32_e32 v27, -3, v21
	v_add_u32_e32 v26, -2, v21
	v_add_u32_e32 v25, -1, v21
	s_and_saveexec_b64 s[12:13], vcc
	s_cbranch_execz .LBB252_368
; %bb.367:                              ;   in Loop: Header=BB252_318 Depth=1
	v_cmp_gt_i32_e64 s[0:1], s30, v24
	v_cndmask_b32_e64 v0, 0, v47, s[0:1]
	v_cmp_gt_i32_e64 s[0:1], s30, v30
	v_cndmask_b32_e64 v1, 0, v44, s[0:1]
	v_cmp_gt_i32_e64 s[0:1], s30, v29
	v_or_b32_e32 v9, v1, v0
	v_cndmask_b32_e64 v0, 0, v43, s[0:1]
	v_cmp_gt_i32_e64 s[0:1], s30, v28
	v_cndmask_b32_e64 v1, 0, v42, s[0:1]
	v_cmp_gt_i32_e64 s[0:1], s30, v27
	v_or_b32_e32 v1, v1, v0
	;; [unrolled: 5-line block ×3, first 2 shown]
	v_cndmask_b32_e64 v0, 0, v46, s[0:1]
	v_cmp_gt_i32_e64 s[0:1], s30, v21
	v_cndmask_b32_e64 v39, 0, v41, s[0:1]
	v_or_b32_e32 v39, v39, v0
.LBB252_368:                            ;   in Loop: Header=BB252_318 Depth=1
	s_or_b64 exec, exec, s[12:13]
	v_and_b32_e32 v0, 0xffff, v31
	v_lshl_or_b32 v31, v32, 16, v0
	v_and_b32_e32 v0, 0xffff, v33
	v_lshl_or_b32 v32, v34, 16, v0
	;; [unrolled: 2-line block ×4, first 2 shown]
	;;#ASMSTART
	v_pk_mul_f16 v0, v31, v9;

	;;#ASMEND
	;;#ASMSTART
	v_pk_mul_f16 v1, v32, v1;

	;;#ASMEND
	;;#ASMSTART
	v_pk_mul_f16 v9, v33, v10;

	;;#ASMEND
	;;#ASMSTART
	v_pk_mul_f16 v10, v34, v39;

	;;#ASMEND
	;;#ASMSTART
	v_pk_add_f16 v0, v0, v1;

	;;#ASMEND
	;;#ASMSTART
	v_pk_add_f16 v0, v0, v9;

	;;#ASMEND
	;;#ASMSTART
	v_pk_add_f16 v0, v0, v10;

	;;#ASMEND
	v_lshrrev_b32_e32 v1, 16, v0
	v_and_b32_e32 v0, 0xffff, v0
	;;#ASMSTART
	v_cvt_f32_f16 v35, v0;
	;;#ASMEND
	;;#ASMSTART
	v_cvt_f32_f16 v36, v1;
	;;#ASMEND
	global_load_dwordx2 v[9:10], v[7:8], off offset:512
	v_mov_b32_e32 v38, 0
	global_load_dword v37, v38, s[14:15]
	v_mov_b32_e32 v39, 0
	s_waitcnt vmcnt(1)
	v_cmp_ne_u16_sdwa s[0:1], v9, v2 src0_sel:BYTE_0 src1_sel:DWORD
	s_and_saveexec_b64 s[12:13], s[0:1]
	s_cbranch_execz .LBB252_374
; %bb.369:                              ;   in Loop: Header=BB252_318 Depth=1
	v_cmp_ne_u16_sdwa s[0:1], v9, s24 src0_sel:BYTE_0 src1_sel:DWORD
	v_mov_b32_e32 v39, 0x8000
	s_and_saveexec_b64 s[16:17], s[0:1]
	s_cbranch_execz .LBB252_373
; %bb.370:                              ;   in Loop: Header=BB252_318 Depth=1
	v_and_b32_e32 v1, 0x7f, v9
	v_cmp_ne_u32_e64 s[0:1], s25, v1
	v_mov_b32_e32 v39, 0x7c01
	s_and_saveexec_b64 s[18:19], s[0:1]
	s_cbranch_execz .LBB252_372
; %bb.371:                              ;   in Loop: Header=BB252_318 Depth=1
	v_and_b32_e32 v0, 7, v9
	v_ffbh_u32_e32 v39, v0
	v_min_u32_e32 v42, 32, v39
	v_subrev_u32_e32 v39, 28, v42
	v_lshlrev_b64 v[39:40], v39, v[9:10]
	v_lshrrev_b32_e32 v41, 3, v1
	v_sub_u32_e32 v40, 29, v42
	v_cmp_gt_u32_e64 s[0:1], 8, v1
	v_cndmask_b32_e64 v1, v41, v40, s[0:1]
	v_lshl_add_u32 v1, v1, 10, v23
	v_lshlrev_b32_e32 v40, 8, v9
	v_and_b32_e32 v39, 7, v39
	v_and_b32_e32 v1, 0xfc00, v1
	v_cndmask_b32_e64 v0, v0, v39, s[0:1]
	v_and_or_b32 v1, v40, s26, v1
	v_lshl_or_b32 v39, v0, 7, v1
.LBB252_372:                            ;   in Loop: Header=BB252_318 Depth=1
	s_or_b64 exec, exec, s[18:19]
.LBB252_373:                            ;   in Loop: Header=BB252_318 Depth=1
	s_or_b64 exec, exec, s[16:17]
.LBB252_374:                            ;   in Loop: Header=BB252_318 Depth=1
	s_or_b64 exec, exec, s[12:13]
	v_lshrrev_b16_e32 v1, 8, v9
	v_cmp_ne_u16_e64 s[0:1], 0, v1
	s_and_saveexec_b64 s[12:13], s[0:1]
	s_cbranch_execz .LBB252_380
; %bb.375:                              ;   in Loop: Header=BB252_318 Depth=1
	v_cmp_ne_u16_e64 s[0:1], s24, v1
	v_bfrev_b32_e32 v38, 1
	s_and_saveexec_b64 s[16:17], s[0:1]
	s_cbranch_execz .LBB252_379
; %bb.376:                              ;   in Loop: Header=BB252_318 Depth=1
	v_and_b32_e32 v40, 0x7f, v1
	v_cmp_ne_u32_e64 s[0:1], s25, v40
	v_mov_b32_e32 v38, 0x7c010000
	s_and_saveexec_b64 s[18:19], s[0:1]
	s_cbranch_execz .LBB252_378
; %bb.377:                              ;   in Loop: Header=BB252_318 Depth=1
	v_and_b32_e32 v0, 7, v1
	v_ffbh_u32_e32 v41, v0
	v_min_u32_e32 v43, 32, v41
	v_subrev_u32_e32 v41, 28, v43
	v_lshlrev_b64 v[41:42], v41, v[1:2]
	v_lshrrev_b32_e32 v38, 3, v40
	v_sub_u32_e32 v42, 29, v43
	v_cmp_gt_u32_e64 s[0:1], 8, v40
	v_cndmask_b32_e64 v38, v38, v42, s[0:1]
	v_lshlrev_b32_e32 v1, 8, v1
	v_lshl_add_u32 v38, v38, 10, v23
	v_and_b32_e32 v40, 7, v41
	v_and_or_b32 v1, v1, s26, v38
	v_cndmask_b32_e64 v0, v0, v40, s[0:1]
	v_lshlrev_b32_e32 v1, 16, v1
	v_lshl_or_b32 v38, v0, 23, v1
.LBB252_378:                            ;   in Loop: Header=BB252_318 Depth=1
	s_or_b64 exec, exec, s[18:19]
.LBB252_379:                            ;   in Loop: Header=BB252_318 Depth=1
	s_or_b64 exec, exec, s[16:17]
.LBB252_380:                            ;   in Loop: Header=BB252_318 Depth=1
	s_or_b64 exec, exec, s[12:13]
	v_lshrrev_b32_e32 v1, 16, v9
	v_cmp_ne_u16_sdwa s[0:1], v1, v2 src0_sel:BYTE_0 src1_sel:DWORD
	v_mov_b32_e32 v40, 0
	v_mov_b32_e32 v41, 0
	s_and_saveexec_b64 s[12:13], s[0:1]
	s_cbranch_execz .LBB252_386
; %bb.381:                              ;   in Loop: Header=BB252_318 Depth=1
	v_cmp_ne_u16_sdwa s[0:1], v1, s24 src0_sel:BYTE_0 src1_sel:DWORD
	v_mov_b32_e32 v41, 0x8000
	s_and_saveexec_b64 s[16:17], s[0:1]
	s_cbranch_execz .LBB252_385
; %bb.382:                              ;   in Loop: Header=BB252_318 Depth=1
	v_bfe_u32 v42, v9, 16, 7
	v_cmp_ne_u32_e64 s[0:1], s25, v42
	v_mov_b32_e32 v41, 0x7c01
	s_and_saveexec_b64 s[18:19], s[0:1]
	s_cbranch_execz .LBB252_384
; %bb.383:                              ;   in Loop: Header=BB252_318 Depth=1
	v_and_b32_e32 v0, 7, v1
	v_ffbh_u32_e32 v43, v0
	v_min_u32_e32 v45, 32, v43
	v_subrev_u32_e32 v43, 28, v45
	v_lshlrev_b64 v[43:44], v43, v[1:2]
	v_lshrrev_b32_e32 v41, 3, v42
	v_sub_u32_e32 v44, 29, v45
	v_cmp_gt_u32_e64 s[0:1], 8, v42
	v_cndmask_b32_e64 v41, v41, v44, s[0:1]
	v_lshl_add_u32 v41, v41, 10, v23
	v_lshlrev_b32_e32 v1, 8, v1
	v_and_b32_e32 v42, 7, v43
	v_and_b32_e32 v41, 0xfc00, v41
	v_cndmask_b32_e64 v0, v0, v42, s[0:1]
	v_and_or_b32 v1, v1, s26, v41
	v_lshl_or_b32 v41, v0, 7, v1
.LBB252_384:                            ;   in Loop: Header=BB252_318 Depth=1
	s_or_b64 exec, exec, s[18:19]
.LBB252_385:                            ;   in Loop: Header=BB252_318 Depth=1
	s_or_b64 exec, exec, s[16:17]
.LBB252_386:                            ;   in Loop: Header=BB252_318 Depth=1
	s_or_b64 exec, exec, s[12:13]
	v_cmp_lt_u32_e64 s[0:1], s5, v9
	s_and_saveexec_b64 s[12:13], s[0:1]
	s_cbranch_execz .LBB252_392
; %bb.387:                              ;   in Loop: Header=BB252_318 Depth=1
	v_lshrrev_b32_e32 v1, 24, v9
	v_cmp_ne_u32_e64 s[0:1], s24, v1
	v_bfrev_b32_e32 v40, 1
	s_and_saveexec_b64 s[16:17], s[0:1]
	s_cbranch_execz .LBB252_391
; %bb.388:                              ;   in Loop: Header=BB252_318 Depth=1
	v_and_b32_e32 v42, 0x7f, v1
	v_cmp_ne_u32_e64 s[0:1], s25, v42
	v_mov_b32_e32 v40, 0x7c010000
	s_and_saveexec_b64 s[18:19], s[0:1]
	s_cbranch_execz .LBB252_390
; %bb.389:                              ;   in Loop: Header=BB252_318 Depth=1
	v_and_b32_e32 v0, 7, v1
	v_ffbh_u32_e32 v43, v0
	v_min_u32_e32 v45, 32, v43
	v_subrev_u32_e32 v43, 28, v45
	v_lshlrev_b64 v[43:44], v43, v[1:2]
	v_lshrrev_b32_e32 v40, 3, v42
	v_sub_u32_e32 v44, 29, v45
	v_cmp_gt_u32_e64 s[0:1], 8, v42
	v_cndmask_b32_e64 v40, v40, v44, s[0:1]
	v_lshlrev_b32_e32 v1, 8, v1
	v_lshl_add_u32 v40, v40, 10, v23
	v_and_b32_e32 v42, 7, v43
	v_and_or_b32 v1, v1, s26, v40
	v_cndmask_b32_e64 v0, v0, v42, s[0:1]
	v_lshlrev_b32_e32 v1, 16, v1
	v_lshl_or_b32 v40, v0, 23, v1
.LBB252_390:                            ;   in Loop: Header=BB252_318 Depth=1
	s_or_b64 exec, exec, s[18:19]
.LBB252_391:                            ;   in Loop: Header=BB252_318 Depth=1
	s_or_b64 exec, exec, s[16:17]
.LBB252_392:                            ;   in Loop: Header=BB252_318 Depth=1
	s_or_b64 exec, exec, s[12:13]
	v_mov_b32_e32 v1, v10
	v_cmp_ne_u16_sdwa s[0:1], v10, v2 src0_sel:BYTE_0 src1_sel:DWORD
	v_mov_b32_e32 v42, 0
	v_mov_b32_e32 v43, 0
	s_and_saveexec_b64 s[12:13], s[0:1]
	s_cbranch_execz .LBB252_398
; %bb.393:                              ;   in Loop: Header=BB252_318 Depth=1
	v_cmp_ne_u16_sdwa s[0:1], v10, s24 src0_sel:BYTE_0 src1_sel:DWORD
	v_mov_b32_e32 v43, 0x8000
	s_and_saveexec_b64 s[16:17], s[0:1]
	s_cbranch_execz .LBB252_397
; %bb.394:                              ;   in Loop: Header=BB252_318 Depth=1
	v_and_b32_e32 v44, 0x7f, v10
	v_cmp_ne_u32_e64 s[0:1], s25, v44
	v_mov_b32_e32 v43, 0x7c01
	s_and_saveexec_b64 s[18:19], s[0:1]
	s_cbranch_execz .LBB252_396
; %bb.395:                              ;   in Loop: Header=BB252_318 Depth=1
	v_and_b32_e32 v0, 7, v10
	v_ffbh_u32_e32 v45, v0
	v_min_u32_e32 v47, 32, v45
	v_subrev_u32_e32 v45, 28, v47
	v_lshlrev_b64 v[45:46], v45, v[1:2]
	v_lshrrev_b32_e32 v43, 3, v44
	v_sub_u32_e32 v46, 29, v47
	v_cmp_gt_u32_e64 s[0:1], 8, v44
	v_cndmask_b32_e64 v43, v43, v46, s[0:1]
	v_lshl_add_u32 v43, v43, 10, v23
	v_lshlrev_b32_e32 v44, 8, v10
	v_and_b32_e32 v45, 7, v45
	v_and_b32_e32 v43, 0xfc00, v43
	v_cndmask_b32_e64 v0, v0, v45, s[0:1]
	v_and_or_b32 v43, v44, s26, v43
	v_lshl_or_b32 v43, v0, 7, v43
.LBB252_396:                            ;   in Loop: Header=BB252_318 Depth=1
	s_or_b64 exec, exec, s[18:19]
.LBB252_397:                            ;   in Loop: Header=BB252_318 Depth=1
	s_or_b64 exec, exec, s[16:17]
.LBB252_398:                            ;   in Loop: Header=BB252_318 Depth=1
	s_or_b64 exec, exec, s[12:13]
	v_lshrrev_b16_e32 v1, 8, v1
	v_cmp_ne_u16_e64 s[0:1], 0, v1
	v_mov_b32_e32 v44, 0
	s_and_saveexec_b64 s[12:13], s[0:1]
	s_cbranch_execz .LBB252_404
; %bb.399:                              ;   in Loop: Header=BB252_318 Depth=1
	v_cmp_ne_u16_e64 s[0:1], s24, v1
	v_bfrev_b32_e32 v44, 1
	s_and_saveexec_b64 s[16:17], s[0:1]
	s_cbranch_execz .LBB252_403
; %bb.400:                              ;   in Loop: Header=BB252_318 Depth=1
	v_and_b32_e32 v45, 0x7f, v1
	v_cmp_ne_u32_e64 s[0:1], s25, v45
	v_mov_b32_e32 v44, 0x7c010000
	s_and_saveexec_b64 s[18:19], s[0:1]
	s_cbranch_execz .LBB252_402
; %bb.401:                              ;   in Loop: Header=BB252_318 Depth=1
	v_and_b32_e32 v0, 7, v1
	v_ffbh_u32_e32 v46, v0
	v_min_u32_e32 v48, 32, v46
	v_subrev_u32_e32 v46, 28, v48
	v_lshlrev_b64 v[46:47], v46, v[1:2]
	v_lshrrev_b32_e32 v44, 3, v45
	v_sub_u32_e32 v47, 29, v48
	v_cmp_gt_u32_e64 s[0:1], 8, v45
	v_cndmask_b32_e64 v44, v44, v47, s[0:1]
	v_lshlrev_b32_e32 v1, 8, v1
	v_lshl_add_u32 v44, v44, 10, v23
	v_and_b32_e32 v45, 7, v46
	v_and_or_b32 v1, v1, s26, v44
	v_cndmask_b32_e64 v0, v0, v45, s[0:1]
	v_lshlrev_b32_e32 v1, 16, v1
	v_lshl_or_b32 v44, v0, 23, v1
.LBB252_402:                            ;   in Loop: Header=BB252_318 Depth=1
	s_or_b64 exec, exec, s[18:19]
.LBB252_403:                            ;   in Loop: Header=BB252_318 Depth=1
	s_or_b64 exec, exec, s[16:17]
.LBB252_404:                            ;   in Loop: Header=BB252_318 Depth=1
	s_or_b64 exec, exec, s[12:13]
	v_lshrrev_b32_e32 v1, 16, v10
	v_cmp_ne_u16_sdwa s[0:1], v1, v2 src0_sel:BYTE_0 src1_sel:DWORD
	s_and_saveexec_b64 s[12:13], s[0:1]
	s_cbranch_execz .LBB252_410
; %bb.405:                              ;   in Loop: Header=BB252_318 Depth=1
	v_cmp_ne_u16_sdwa s[0:1], v1, s24 src0_sel:BYTE_0 src1_sel:DWORD
	v_mov_b32_e32 v42, 0x8000
	s_and_saveexec_b64 s[16:17], s[0:1]
	s_cbranch_execz .LBB252_409
; %bb.406:                              ;   in Loop: Header=BB252_318 Depth=1
	v_bfe_u32 v45, v10, 16, 7
	v_cmp_ne_u32_e64 s[0:1], s25, v45
	v_mov_b32_e32 v42, 0x7c01
	s_and_saveexec_b64 s[18:19], s[0:1]
	s_cbranch_execz .LBB252_408
; %bb.407:                              ;   in Loop: Header=BB252_318 Depth=1
	v_and_b32_e32 v0, 7, v1
	v_ffbh_u32_e32 v46, v0
	v_min_u32_e32 v48, 32, v46
	v_subrev_u32_e32 v46, 28, v48
	v_lshlrev_b64 v[46:47], v46, v[1:2]
	v_lshrrev_b32_e32 v42, 3, v45
	v_sub_u32_e32 v47, 29, v48
	v_cmp_gt_u32_e64 s[0:1], 8, v45
	v_cndmask_b32_e64 v42, v42, v47, s[0:1]
	v_lshl_add_u32 v42, v42, 10, v23
	v_lshlrev_b32_e32 v1, 8, v1
	v_and_b32_e32 v45, 7, v46
	v_and_b32_e32 v42, 0xfc00, v42
	v_cndmask_b32_e64 v0, v0, v45, s[0:1]
	v_and_or_b32 v1, v1, s26, v42
	v_lshl_or_b32 v42, v0, 7, v1
.LBB252_408:                            ;   in Loop: Header=BB252_318 Depth=1
	s_or_b64 exec, exec, s[18:19]
.LBB252_409:                            ;   in Loop: Header=BB252_318 Depth=1
	s_or_b64 exec, exec, s[16:17]
.LBB252_410:                            ;   in Loop: Header=BB252_318 Depth=1
	s_or_b64 exec, exec, s[12:13]
	v_cmp_lt_u64_e64 s[0:1], s[4:5], v[9:10]
	v_mov_b32_e32 v9, 0
	s_and_saveexec_b64 s[12:13], s[0:1]
	s_cbranch_execz .LBB252_416
; %bb.411:                              ;   in Loop: Header=BB252_318 Depth=1
	v_lshrrev_b32_e32 v1, 24, v10
	v_cmp_ne_u32_e64 s[0:1], s24, v1
	v_bfrev_b32_e32 v9, 1
	s_and_saveexec_b64 s[16:17], s[0:1]
	s_cbranch_execz .LBB252_415
; %bb.412:                              ;   in Loop: Header=BB252_318 Depth=1
	v_and_b32_e32 v10, 0x7f, v1
	v_cmp_ne_u32_e64 s[0:1], s25, v10
	v_mov_b32_e32 v9, 0x7c010000
	s_and_saveexec_b64 s[18:19], s[0:1]
	s_cbranch_execz .LBB252_414
; %bb.413:                              ;   in Loop: Header=BB252_318 Depth=1
	v_and_b32_e32 v0, 7, v1
	v_ffbh_u32_e32 v45, v0
	v_min_u32_e32 v47, 32, v45
	v_subrev_u32_e32 v45, 28, v47
	v_lshlrev_b64 v[45:46], v45, v[1:2]
	v_lshrrev_b32_e32 v9, 3, v10
	v_sub_u32_e32 v46, 29, v47
	v_cmp_gt_u32_e64 s[0:1], 8, v10
	v_cndmask_b32_e64 v9, v9, v46, s[0:1]
	v_lshlrev_b32_e32 v1, 8, v1
	v_lshl_add_u32 v9, v9, 10, v23
	v_and_b32_e32 v10, 7, v45
	v_and_or_b32 v1, v1, s26, v9
	v_cndmask_b32_e64 v0, v0, v10, s[0:1]
	v_lshlrev_b32_e32 v1, 16, v1
	v_lshl_or_b32 v9, v0, 23, v1
.LBB252_414:                            ;   in Loop: Header=BB252_318 Depth=1
	s_or_b64 exec, exec, s[18:19]
.LBB252_415:                            ;   in Loop: Header=BB252_318 Depth=1
	s_or_b64 exec, exec, s[16:17]
.LBB252_416:                            ;   in Loop: Header=BB252_318 Depth=1
	s_or_b64 exec, exec, s[12:13]
	v_or_b32_e32 v0, v40, v41
	s_waitcnt vmcnt(0)
	v_fma_mixlo_f16 v0, v37, v0, 0 op_sel_hi:[0,1,0]
	v_and_b32_e32 v41, 0xffff, v0
	v_or_b32_e32 v0, v38, v39
	v_fma_mixlo_f16 v0, v37, v0, 0 op_sel_hi:[0,1,0]
	v_and_b32_e32 v46, 0xffff, v0
	v_or_b32_e32 v0, v44, v43
	;; [unrolled: 3-line block ×3, first 2 shown]
	v_fma_mixlo_f16 v1, v37, v40, 0 op_sel:[0,1,0] op_sel_hi:[0,1,0]
	v_fma_mixlo_f16 v10, v37, v38, 0 op_sel:[0,1,0] op_sel_hi:[0,1,0]
	;; [unrolled: 1-line block ×3, first 2 shown]
	v_fma_mixlo_f16 v0, v37, v0, 0 op_sel_hi:[0,1,0]
	v_fma_mixlo_f16 v9, v37, v9, 0 op_sel:[0,1,0] op_sel_hi:[0,1,0]
	v_lshlrev_b32_e32 v40, 16, v1
	v_lshlrev_b32_e32 v45, 16, v10
	;; [unrolled: 1-line block ×4, first 2 shown]
	v_and_b32_e32 v37, 0xffff, v0
	v_or_b32_e32 v1, v40, v41
	v_or_b32_e32 v10, v45, v46
	;; [unrolled: 1-line block ×4, first 2 shown]
	s_and_saveexec_b64 s[12:13], vcc
	s_cbranch_execz .LBB252_418
; %bb.417:                              ;   in Loop: Header=BB252_318 Depth=1
	v_cmp_gt_i32_e64 s[0:1], s30, v24
	v_cndmask_b32_e64 v0, 0, v46, s[0:1]
	v_cmp_gt_i32_e64 s[0:1], s30, v30
	v_cndmask_b32_e64 v1, 0, v45, s[0:1]
	v_cmp_gt_i32_e64 s[0:1], s30, v29
	v_or_b32_e32 v10, v1, v0
	v_cndmask_b32_e64 v0, 0, v41, s[0:1]
	v_cmp_gt_i32_e64 s[0:1], s30, v28
	v_cndmask_b32_e64 v1, 0, v40, s[0:1]
	v_cmp_gt_i32_e64 s[0:1], s30, v27
	v_or_b32_e32 v1, v1, v0
	;; [unrolled: 5-line block ×3, first 2 shown]
	v_cndmask_b32_e64 v0, 0, v37, s[0:1]
	v_cmp_gt_i32_e64 s[0:1], s30, v21
	v_cndmask_b32_e64 v9, 0, v9, s[0:1]
	v_or_b32_e32 v42, v9, v0
.LBB252_418:                            ;   in Loop: Header=BB252_318 Depth=1
	s_or_b64 exec, exec, s[12:13]
	;;#ASMSTART
	v_pk_mul_f16 v0, v31, v10;

	;;#ASMEND
	;;#ASMSTART
	v_pk_mul_f16 v1, v32, v1;

	;;#ASMEND
	;; [unrolled: 4-line block ×4, first 2 shown]
	;;#ASMSTART
	v_pk_add_f16 v0, v0, v1;

	;;#ASMEND
	;;#ASMSTART
	v_pk_add_f16 v0, v0, v9;

	;;#ASMEND
	;; [unrolled: 4-line block ×3, first 2 shown]
	v_lshrrev_b32_e32 v1, 16, v0
	v_and_b32_e32 v0, 0xffff, v0
	;;#ASMSTART
	v_cvt_f32_f16 v37, v0;
	;;#ASMEND
	;;#ASMSTART
	v_cvt_f32_f16 v38, v1;
	;;#ASMEND
	global_load_dwordx2 v[9:10], v[7:8], off offset:1024
	v_mov_b32_e32 v40, 0
	global_load_dword v39, v40, s[14:15]
	v_mov_b32_e32 v41, 0
	s_waitcnt vmcnt(1)
	v_cmp_ne_u16_sdwa s[0:1], v9, v2 src0_sel:BYTE_0 src1_sel:DWORD
	s_and_saveexec_b64 s[12:13], s[0:1]
	s_cbranch_execz .LBB252_424
; %bb.419:                              ;   in Loop: Header=BB252_318 Depth=1
	v_cmp_ne_u16_sdwa s[0:1], v9, s24 src0_sel:BYTE_0 src1_sel:DWORD
	v_mov_b32_e32 v41, 0x8000
	s_and_saveexec_b64 s[16:17], s[0:1]
	s_cbranch_execz .LBB252_423
; %bb.420:                              ;   in Loop: Header=BB252_318 Depth=1
	v_and_b32_e32 v1, 0x7f, v9
	v_cmp_ne_u32_e64 s[0:1], s25, v1
	v_mov_b32_e32 v41, 0x7c01
	s_and_saveexec_b64 s[18:19], s[0:1]
	s_cbranch_execz .LBB252_422
; %bb.421:                              ;   in Loop: Header=BB252_318 Depth=1
	v_and_b32_e32 v0, 7, v9
	v_ffbh_u32_e32 v41, v0
	v_min_u32_e32 v44, 32, v41
	v_subrev_u32_e32 v41, 28, v44
	v_lshlrev_b64 v[41:42], v41, v[9:10]
	v_lshrrev_b32_e32 v43, 3, v1
	v_sub_u32_e32 v42, 29, v44
	v_cmp_gt_u32_e64 s[0:1], 8, v1
	v_cndmask_b32_e64 v1, v43, v42, s[0:1]
	v_lshl_add_u32 v1, v1, 10, v23
	v_lshlrev_b32_e32 v42, 8, v9
	v_and_b32_e32 v41, 7, v41
	v_and_b32_e32 v1, 0xfc00, v1
	v_cndmask_b32_e64 v0, v0, v41, s[0:1]
	v_and_or_b32 v1, v42, s26, v1
	v_lshl_or_b32 v41, v0, 7, v1
.LBB252_422:                            ;   in Loop: Header=BB252_318 Depth=1
	s_or_b64 exec, exec, s[18:19]
.LBB252_423:                            ;   in Loop: Header=BB252_318 Depth=1
	s_or_b64 exec, exec, s[16:17]
.LBB252_424:                            ;   in Loop: Header=BB252_318 Depth=1
	s_or_b64 exec, exec, s[12:13]
	v_lshrrev_b16_e32 v1, 8, v9
	v_cmp_ne_u16_e64 s[0:1], 0, v1
	s_and_saveexec_b64 s[12:13], s[0:1]
	s_cbranch_execz .LBB252_430
; %bb.425:                              ;   in Loop: Header=BB252_318 Depth=1
	v_cmp_ne_u16_e64 s[0:1], s24, v1
	v_bfrev_b32_e32 v40, 1
	s_and_saveexec_b64 s[16:17], s[0:1]
	s_cbranch_execz .LBB252_429
; %bb.426:                              ;   in Loop: Header=BB252_318 Depth=1
	v_and_b32_e32 v42, 0x7f, v1
	v_cmp_ne_u32_e64 s[0:1], s25, v42
	v_mov_b32_e32 v40, 0x7c010000
	s_and_saveexec_b64 s[18:19], s[0:1]
	s_cbranch_execz .LBB252_428
; %bb.427:                              ;   in Loop: Header=BB252_318 Depth=1
	v_and_b32_e32 v0, 7, v1
	v_ffbh_u32_e32 v43, v0
	v_min_u32_e32 v45, 32, v43
	v_subrev_u32_e32 v43, 28, v45
	v_lshlrev_b64 v[43:44], v43, v[1:2]
	v_lshrrev_b32_e32 v40, 3, v42
	v_sub_u32_e32 v44, 29, v45
	v_cmp_gt_u32_e64 s[0:1], 8, v42
	v_cndmask_b32_e64 v40, v40, v44, s[0:1]
	v_lshlrev_b32_e32 v1, 8, v1
	v_lshl_add_u32 v40, v40, 10, v23
	v_and_b32_e32 v42, 7, v43
	v_and_or_b32 v1, v1, s26, v40
	v_cndmask_b32_e64 v0, v0, v42, s[0:1]
	v_lshlrev_b32_e32 v1, 16, v1
	v_lshl_or_b32 v40, v0, 23, v1
.LBB252_428:                            ;   in Loop: Header=BB252_318 Depth=1
	s_or_b64 exec, exec, s[18:19]
.LBB252_429:                            ;   in Loop: Header=BB252_318 Depth=1
	s_or_b64 exec, exec, s[16:17]
.LBB252_430:                            ;   in Loop: Header=BB252_318 Depth=1
	s_or_b64 exec, exec, s[12:13]
	v_lshrrev_b32_e32 v1, 16, v9
	v_cmp_ne_u16_sdwa s[0:1], v1, v2 src0_sel:BYTE_0 src1_sel:DWORD
	v_mov_b32_e32 v42, 0
	v_mov_b32_e32 v43, 0
	s_and_saveexec_b64 s[12:13], s[0:1]
	s_cbranch_execz .LBB252_436
; %bb.431:                              ;   in Loop: Header=BB252_318 Depth=1
	v_cmp_ne_u16_sdwa s[0:1], v1, s24 src0_sel:BYTE_0 src1_sel:DWORD
	v_mov_b32_e32 v43, 0x8000
	s_and_saveexec_b64 s[16:17], s[0:1]
	s_cbranch_execz .LBB252_435
; %bb.432:                              ;   in Loop: Header=BB252_318 Depth=1
	v_bfe_u32 v44, v9, 16, 7
	v_cmp_ne_u32_e64 s[0:1], s25, v44
	v_mov_b32_e32 v43, 0x7c01
	s_and_saveexec_b64 s[18:19], s[0:1]
	s_cbranch_execz .LBB252_434
; %bb.433:                              ;   in Loop: Header=BB252_318 Depth=1
	v_and_b32_e32 v0, 7, v1
	v_ffbh_u32_e32 v45, v0
	v_min_u32_e32 v47, 32, v45
	v_subrev_u32_e32 v45, 28, v47
	v_lshlrev_b64 v[45:46], v45, v[1:2]
	v_lshrrev_b32_e32 v43, 3, v44
	v_sub_u32_e32 v46, 29, v47
	v_cmp_gt_u32_e64 s[0:1], 8, v44
	v_cndmask_b32_e64 v43, v43, v46, s[0:1]
	v_lshl_add_u32 v43, v43, 10, v23
	v_lshlrev_b32_e32 v1, 8, v1
	v_and_b32_e32 v44, 7, v45
	v_and_b32_e32 v43, 0xfc00, v43
	v_cndmask_b32_e64 v0, v0, v44, s[0:1]
	v_and_or_b32 v1, v1, s26, v43
	v_lshl_or_b32 v43, v0, 7, v1
.LBB252_434:                            ;   in Loop: Header=BB252_318 Depth=1
	s_or_b64 exec, exec, s[18:19]
.LBB252_435:                            ;   in Loop: Header=BB252_318 Depth=1
	s_or_b64 exec, exec, s[16:17]
.LBB252_436:                            ;   in Loop: Header=BB252_318 Depth=1
	s_or_b64 exec, exec, s[12:13]
	v_cmp_lt_u32_e64 s[0:1], s5, v9
	s_and_saveexec_b64 s[12:13], s[0:1]
	s_cbranch_execz .LBB252_442
; %bb.437:                              ;   in Loop: Header=BB252_318 Depth=1
	v_lshrrev_b32_e32 v1, 24, v9
	v_cmp_ne_u32_e64 s[0:1], s24, v1
	v_bfrev_b32_e32 v42, 1
	s_and_saveexec_b64 s[16:17], s[0:1]
	s_cbranch_execz .LBB252_441
; %bb.438:                              ;   in Loop: Header=BB252_318 Depth=1
	v_and_b32_e32 v44, 0x7f, v1
	v_cmp_ne_u32_e64 s[0:1], s25, v44
	v_mov_b32_e32 v42, 0x7c010000
	s_and_saveexec_b64 s[18:19], s[0:1]
	s_cbranch_execz .LBB252_440
; %bb.439:                              ;   in Loop: Header=BB252_318 Depth=1
	v_and_b32_e32 v0, 7, v1
	v_ffbh_u32_e32 v45, v0
	v_min_u32_e32 v47, 32, v45
	v_subrev_u32_e32 v45, 28, v47
	v_lshlrev_b64 v[45:46], v45, v[1:2]
	v_lshrrev_b32_e32 v42, 3, v44
	v_sub_u32_e32 v46, 29, v47
	v_cmp_gt_u32_e64 s[0:1], 8, v44
	v_cndmask_b32_e64 v42, v42, v46, s[0:1]
	v_lshlrev_b32_e32 v1, 8, v1
	v_lshl_add_u32 v42, v42, 10, v23
	v_and_b32_e32 v44, 7, v45
	v_and_or_b32 v1, v1, s26, v42
	v_cndmask_b32_e64 v0, v0, v44, s[0:1]
	v_lshlrev_b32_e32 v1, 16, v1
	v_lshl_or_b32 v42, v0, 23, v1
.LBB252_440:                            ;   in Loop: Header=BB252_318 Depth=1
	s_or_b64 exec, exec, s[18:19]
.LBB252_441:                            ;   in Loop: Header=BB252_318 Depth=1
	s_or_b64 exec, exec, s[16:17]
.LBB252_442:                            ;   in Loop: Header=BB252_318 Depth=1
	s_or_b64 exec, exec, s[12:13]
	v_mov_b32_e32 v1, v10
	v_cmp_ne_u16_sdwa s[0:1], v10, v2 src0_sel:BYTE_0 src1_sel:DWORD
	v_mov_b32_e32 v44, 0
	v_mov_b32_e32 v45, 0
	s_and_saveexec_b64 s[12:13], s[0:1]
	s_cbranch_execz .LBB252_448
; %bb.443:                              ;   in Loop: Header=BB252_318 Depth=1
	v_cmp_ne_u16_sdwa s[0:1], v10, s24 src0_sel:BYTE_0 src1_sel:DWORD
	v_mov_b32_e32 v45, 0x8000
	s_and_saveexec_b64 s[16:17], s[0:1]
	s_cbranch_execz .LBB252_447
; %bb.444:                              ;   in Loop: Header=BB252_318 Depth=1
	v_and_b32_e32 v46, 0x7f, v10
	v_cmp_ne_u32_e64 s[0:1], s25, v46
	v_mov_b32_e32 v45, 0x7c01
	s_and_saveexec_b64 s[18:19], s[0:1]
	s_cbranch_execz .LBB252_446
; %bb.445:                              ;   in Loop: Header=BB252_318 Depth=1
	v_and_b32_e32 v0, 7, v10
	v_ffbh_u32_e32 v47, v0
	v_min_u32_e32 v49, 32, v47
	v_subrev_u32_e32 v47, 28, v49
	v_lshlrev_b64 v[47:48], v47, v[1:2]
	v_lshrrev_b32_e32 v45, 3, v46
	v_sub_u32_e32 v48, 29, v49
	v_cmp_gt_u32_e64 s[0:1], 8, v46
	v_cndmask_b32_e64 v45, v45, v48, s[0:1]
	v_lshl_add_u32 v45, v45, 10, v23
	v_lshlrev_b32_e32 v46, 8, v10
	v_and_b32_e32 v47, 7, v47
	v_and_b32_e32 v45, 0xfc00, v45
	v_cndmask_b32_e64 v0, v0, v47, s[0:1]
	v_and_or_b32 v45, v46, s26, v45
	v_lshl_or_b32 v45, v0, 7, v45
.LBB252_446:                            ;   in Loop: Header=BB252_318 Depth=1
	s_or_b64 exec, exec, s[18:19]
.LBB252_447:                            ;   in Loop: Header=BB252_318 Depth=1
	s_or_b64 exec, exec, s[16:17]
.LBB252_448:                            ;   in Loop: Header=BB252_318 Depth=1
	s_or_b64 exec, exec, s[12:13]
	v_lshrrev_b16_e32 v1, 8, v1
	v_cmp_ne_u16_e64 s[0:1], 0, v1
	v_mov_b32_e32 v46, 0
	s_and_saveexec_b64 s[12:13], s[0:1]
	s_cbranch_execz .LBB252_454
; %bb.449:                              ;   in Loop: Header=BB252_318 Depth=1
	v_cmp_ne_u16_e64 s[0:1], s24, v1
	v_bfrev_b32_e32 v46, 1
	s_and_saveexec_b64 s[16:17], s[0:1]
	s_cbranch_execz .LBB252_453
; %bb.450:                              ;   in Loop: Header=BB252_318 Depth=1
	v_and_b32_e32 v47, 0x7f, v1
	v_cmp_ne_u32_e64 s[0:1], s25, v47
	v_mov_b32_e32 v46, 0x7c010000
	s_and_saveexec_b64 s[18:19], s[0:1]
	s_cbranch_execz .LBB252_452
; %bb.451:                              ;   in Loop: Header=BB252_318 Depth=1
	v_and_b32_e32 v0, 7, v1
	v_ffbh_u32_e32 v48, v0
	v_min_u32_e32 v50, 32, v48
	v_subrev_u32_e32 v48, 28, v50
	v_lshlrev_b64 v[48:49], v48, v[1:2]
	v_lshrrev_b32_e32 v46, 3, v47
	v_sub_u32_e32 v49, 29, v50
	v_cmp_gt_u32_e64 s[0:1], 8, v47
	v_cndmask_b32_e64 v46, v46, v49, s[0:1]
	v_lshlrev_b32_e32 v1, 8, v1
	v_lshl_add_u32 v46, v46, 10, v23
	v_and_b32_e32 v47, 7, v48
	v_and_or_b32 v1, v1, s26, v46
	v_cndmask_b32_e64 v0, v0, v47, s[0:1]
	v_lshlrev_b32_e32 v1, 16, v1
	v_lshl_or_b32 v46, v0, 23, v1
.LBB252_452:                            ;   in Loop: Header=BB252_318 Depth=1
	s_or_b64 exec, exec, s[18:19]
.LBB252_453:                            ;   in Loop: Header=BB252_318 Depth=1
	s_or_b64 exec, exec, s[16:17]
.LBB252_454:                            ;   in Loop: Header=BB252_318 Depth=1
	s_or_b64 exec, exec, s[12:13]
	v_lshrrev_b32_e32 v1, 16, v10
	v_cmp_ne_u16_sdwa s[0:1], v1, v2 src0_sel:BYTE_0 src1_sel:DWORD
	s_and_saveexec_b64 s[12:13], s[0:1]
	s_cbranch_execz .LBB252_460
; %bb.455:                              ;   in Loop: Header=BB252_318 Depth=1
	v_cmp_ne_u16_sdwa s[0:1], v1, s24 src0_sel:BYTE_0 src1_sel:DWORD
	v_mov_b32_e32 v44, 0x8000
	s_and_saveexec_b64 s[16:17], s[0:1]
	s_cbranch_execz .LBB252_459
; %bb.456:                              ;   in Loop: Header=BB252_318 Depth=1
	v_bfe_u32 v47, v10, 16, 7
	v_cmp_ne_u32_e64 s[0:1], s25, v47
	v_mov_b32_e32 v44, 0x7c01
	s_and_saveexec_b64 s[18:19], s[0:1]
	s_cbranch_execz .LBB252_458
; %bb.457:                              ;   in Loop: Header=BB252_318 Depth=1
	v_and_b32_e32 v0, 7, v1
	v_ffbh_u32_e32 v48, v0
	v_min_u32_e32 v50, 32, v48
	v_subrev_u32_e32 v48, 28, v50
	v_lshlrev_b64 v[48:49], v48, v[1:2]
	v_lshrrev_b32_e32 v44, 3, v47
	v_sub_u32_e32 v49, 29, v50
	v_cmp_gt_u32_e64 s[0:1], 8, v47
	v_cndmask_b32_e64 v44, v44, v49, s[0:1]
	v_lshl_add_u32 v44, v44, 10, v23
	v_lshlrev_b32_e32 v1, 8, v1
	v_and_b32_e32 v47, 7, v48
	v_and_b32_e32 v44, 0xfc00, v44
	v_cndmask_b32_e64 v0, v0, v47, s[0:1]
	v_and_or_b32 v1, v1, s26, v44
	v_lshl_or_b32 v44, v0, 7, v1
.LBB252_458:                            ;   in Loop: Header=BB252_318 Depth=1
	s_or_b64 exec, exec, s[18:19]
.LBB252_459:                            ;   in Loop: Header=BB252_318 Depth=1
	s_or_b64 exec, exec, s[16:17]
.LBB252_460:                            ;   in Loop: Header=BB252_318 Depth=1
	s_or_b64 exec, exec, s[12:13]
	v_cmp_lt_u64_e64 s[0:1], s[4:5], v[9:10]
	v_mov_b32_e32 v9, 0
	s_and_saveexec_b64 s[12:13], s[0:1]
	s_cbranch_execz .LBB252_466
; %bb.461:                              ;   in Loop: Header=BB252_318 Depth=1
	v_lshrrev_b32_e32 v1, 24, v10
	v_cmp_ne_u32_e64 s[0:1], s24, v1
	v_bfrev_b32_e32 v9, 1
	s_and_saveexec_b64 s[16:17], s[0:1]
	s_cbranch_execz .LBB252_465
; %bb.462:                              ;   in Loop: Header=BB252_318 Depth=1
	v_and_b32_e32 v10, 0x7f, v1
	v_cmp_ne_u32_e64 s[0:1], s25, v10
	v_mov_b32_e32 v9, 0x7c010000
	s_and_saveexec_b64 s[18:19], s[0:1]
	s_cbranch_execz .LBB252_464
; %bb.463:                              ;   in Loop: Header=BB252_318 Depth=1
	v_and_b32_e32 v0, 7, v1
	v_ffbh_u32_e32 v47, v0
	v_min_u32_e32 v49, 32, v47
	v_subrev_u32_e32 v47, 28, v49
	v_lshlrev_b64 v[47:48], v47, v[1:2]
	v_lshrrev_b32_e32 v9, 3, v10
	v_sub_u32_e32 v48, 29, v49
	v_cmp_gt_u32_e64 s[0:1], 8, v10
	v_cndmask_b32_e64 v9, v9, v48, s[0:1]
	v_lshlrev_b32_e32 v1, 8, v1
	v_lshl_add_u32 v9, v9, 10, v23
	v_and_b32_e32 v10, 7, v47
	v_and_or_b32 v1, v1, s26, v9
	v_cndmask_b32_e64 v0, v0, v10, s[0:1]
	v_lshlrev_b32_e32 v1, 16, v1
	v_lshl_or_b32 v9, v0, 23, v1
.LBB252_464:                            ;   in Loop: Header=BB252_318 Depth=1
	s_or_b64 exec, exec, s[18:19]
.LBB252_465:                            ;   in Loop: Header=BB252_318 Depth=1
	s_or_b64 exec, exec, s[16:17]
.LBB252_466:                            ;   in Loop: Header=BB252_318 Depth=1
	s_or_b64 exec, exec, s[12:13]
	v_or_b32_e32 v0, v42, v43
	s_waitcnt vmcnt(0)
	v_fma_mixlo_f16 v0, v39, v0, 0 op_sel_hi:[0,1,0]
	v_and_b32_e32 v43, 0xffff, v0
	v_or_b32_e32 v0, v40, v41
	v_fma_mixlo_f16 v0, v39, v0, 0 op_sel_hi:[0,1,0]
	v_and_b32_e32 v48, 0xffff, v0
	v_or_b32_e32 v0, v46, v45
	;; [unrolled: 3-line block ×3, first 2 shown]
	v_fma_mixlo_f16 v1, v39, v42, 0 op_sel:[0,1,0] op_sel_hi:[0,1,0]
	v_fma_mixlo_f16 v10, v39, v40, 0 op_sel:[0,1,0] op_sel_hi:[0,1,0]
	;; [unrolled: 1-line block ×3, first 2 shown]
	v_fma_mixlo_f16 v0, v39, v0, 0 op_sel_hi:[0,1,0]
	v_fma_mixlo_f16 v9, v39, v9, 0 op_sel:[0,1,0] op_sel_hi:[0,1,0]
	v_lshlrev_b32_e32 v42, 16, v1
	v_lshlrev_b32_e32 v47, 16, v10
	;; [unrolled: 1-line block ×4, first 2 shown]
	v_and_b32_e32 v39, 0xffff, v0
	v_or_b32_e32 v1, v42, v43
	v_or_b32_e32 v10, v47, v48
	;; [unrolled: 1-line block ×4, first 2 shown]
	s_and_saveexec_b64 s[12:13], vcc
	s_cbranch_execz .LBB252_468
; %bb.467:                              ;   in Loop: Header=BB252_318 Depth=1
	v_cmp_gt_i32_e64 s[0:1], s30, v24
	v_cndmask_b32_e64 v0, 0, v48, s[0:1]
	v_cmp_gt_i32_e64 s[0:1], s30, v30
	v_cndmask_b32_e64 v1, 0, v47, s[0:1]
	v_cmp_gt_i32_e64 s[0:1], s30, v29
	v_or_b32_e32 v10, v1, v0
	v_cndmask_b32_e64 v0, 0, v43, s[0:1]
	v_cmp_gt_i32_e64 s[0:1], s30, v28
	v_cndmask_b32_e64 v1, 0, v42, s[0:1]
	v_cmp_gt_i32_e64 s[0:1], s30, v27
	v_or_b32_e32 v1, v1, v0
	;; [unrolled: 5-line block ×3, first 2 shown]
	v_cndmask_b32_e64 v0, 0, v39, s[0:1]
	v_cmp_gt_i32_e64 s[0:1], s30, v21
	v_cndmask_b32_e64 v9, 0, v9, s[0:1]
	v_or_b32_e32 v44, v9, v0
.LBB252_468:                            ;   in Loop: Header=BB252_318 Depth=1
	s_or_b64 exec, exec, s[12:13]
	;;#ASMSTART
	v_pk_mul_f16 v0, v31, v10;

	;;#ASMEND
	;;#ASMSTART
	v_pk_mul_f16 v1, v32, v1;

	;;#ASMEND
	;; [unrolled: 4-line block ×4, first 2 shown]
	;;#ASMSTART
	v_pk_add_f16 v0, v0, v1;

	;;#ASMEND
	;;#ASMSTART
	v_pk_add_f16 v0, v0, v9;

	;;#ASMEND
	;;#ASMSTART
	v_pk_add_f16 v0, v0, v10;

	;;#ASMEND
	v_lshrrev_b32_e32 v1, 16, v0
	v_and_b32_e32 v0, 0xffff, v0
	;;#ASMSTART
	v_cvt_f32_f16 v39, v0;
	;;#ASMEND
	;;#ASMSTART
	v_cvt_f32_f16 v40, v1;
	;;#ASMEND
	global_load_dwordx2 v[9:10], v[7:8], off offset:1536
	v_mov_b32_e32 v42, 0
	global_load_dword v41, v42, s[14:15]
	v_mov_b32_e32 v43, 0
	s_waitcnt vmcnt(1)
	v_cmp_ne_u16_sdwa s[0:1], v9, v2 src0_sel:BYTE_0 src1_sel:DWORD
	s_and_saveexec_b64 s[12:13], s[0:1]
	s_cbranch_execz .LBB252_474
; %bb.469:                              ;   in Loop: Header=BB252_318 Depth=1
	v_cmp_ne_u16_sdwa s[0:1], v9, s24 src0_sel:BYTE_0 src1_sel:DWORD
	v_mov_b32_e32 v43, 0x8000
	s_and_saveexec_b64 s[16:17], s[0:1]
	s_cbranch_execz .LBB252_473
; %bb.470:                              ;   in Loop: Header=BB252_318 Depth=1
	v_and_b32_e32 v1, 0x7f, v9
	v_cmp_ne_u32_e64 s[0:1], s25, v1
	v_mov_b32_e32 v43, 0x7c01
	s_and_saveexec_b64 s[18:19], s[0:1]
	s_cbranch_execz .LBB252_472
; %bb.471:                              ;   in Loop: Header=BB252_318 Depth=1
	v_and_b32_e32 v0, 7, v9
	v_ffbh_u32_e32 v43, v0
	v_min_u32_e32 v46, 32, v43
	v_subrev_u32_e32 v43, 28, v46
	v_lshlrev_b64 v[43:44], v43, v[9:10]
	v_lshrrev_b32_e32 v45, 3, v1
	v_sub_u32_e32 v44, 29, v46
	v_cmp_gt_u32_e64 s[0:1], 8, v1
	v_cndmask_b32_e64 v1, v45, v44, s[0:1]
	v_lshl_add_u32 v1, v1, 10, v23
	v_lshlrev_b32_e32 v44, 8, v9
	v_and_b32_e32 v43, 7, v43
	v_and_b32_e32 v1, 0xfc00, v1
	v_cndmask_b32_e64 v0, v0, v43, s[0:1]
	v_and_or_b32 v1, v44, s26, v1
	v_lshl_or_b32 v43, v0, 7, v1
.LBB252_472:                            ;   in Loop: Header=BB252_318 Depth=1
	s_or_b64 exec, exec, s[18:19]
.LBB252_473:                            ;   in Loop: Header=BB252_318 Depth=1
	s_or_b64 exec, exec, s[16:17]
.LBB252_474:                            ;   in Loop: Header=BB252_318 Depth=1
	s_or_b64 exec, exec, s[12:13]
	v_lshrrev_b16_e32 v1, 8, v9
	v_cmp_ne_u16_e64 s[0:1], 0, v1
	s_and_saveexec_b64 s[12:13], s[0:1]
	s_cbranch_execz .LBB252_480
; %bb.475:                              ;   in Loop: Header=BB252_318 Depth=1
	v_cmp_ne_u16_e64 s[0:1], s24, v1
	v_bfrev_b32_e32 v42, 1
	s_and_saveexec_b64 s[16:17], s[0:1]
	s_cbranch_execz .LBB252_479
; %bb.476:                              ;   in Loop: Header=BB252_318 Depth=1
	v_and_b32_e32 v44, 0x7f, v1
	v_cmp_ne_u32_e64 s[0:1], s25, v44
	v_mov_b32_e32 v42, 0x7c010000
	s_and_saveexec_b64 s[18:19], s[0:1]
	s_cbranch_execz .LBB252_478
; %bb.477:                              ;   in Loop: Header=BB252_318 Depth=1
	v_and_b32_e32 v0, 7, v1
	v_ffbh_u32_e32 v45, v0
	v_min_u32_e32 v47, 32, v45
	v_subrev_u32_e32 v45, 28, v47
	v_lshlrev_b64 v[45:46], v45, v[1:2]
	v_lshrrev_b32_e32 v42, 3, v44
	v_sub_u32_e32 v46, 29, v47
	v_cmp_gt_u32_e64 s[0:1], 8, v44
	v_cndmask_b32_e64 v42, v42, v46, s[0:1]
	v_lshlrev_b32_e32 v1, 8, v1
	v_lshl_add_u32 v42, v42, 10, v23
	v_and_b32_e32 v44, 7, v45
	v_and_or_b32 v1, v1, s26, v42
	v_cndmask_b32_e64 v0, v0, v44, s[0:1]
	v_lshlrev_b32_e32 v1, 16, v1
	v_lshl_or_b32 v42, v0, 23, v1
.LBB252_478:                            ;   in Loop: Header=BB252_318 Depth=1
	s_or_b64 exec, exec, s[18:19]
.LBB252_479:                            ;   in Loop: Header=BB252_318 Depth=1
	s_or_b64 exec, exec, s[16:17]
.LBB252_480:                            ;   in Loop: Header=BB252_318 Depth=1
	s_or_b64 exec, exec, s[12:13]
	v_lshrrev_b32_e32 v1, 16, v9
	v_cmp_ne_u16_sdwa s[0:1], v1, v2 src0_sel:BYTE_0 src1_sel:DWORD
	v_mov_b32_e32 v44, 0
	v_mov_b32_e32 v45, 0
	s_and_saveexec_b64 s[12:13], s[0:1]
	s_cbranch_execz .LBB252_486
; %bb.481:                              ;   in Loop: Header=BB252_318 Depth=1
	v_cmp_ne_u16_sdwa s[0:1], v1, s24 src0_sel:BYTE_0 src1_sel:DWORD
	v_mov_b32_e32 v45, 0x8000
	s_and_saveexec_b64 s[16:17], s[0:1]
	s_cbranch_execz .LBB252_485
; %bb.482:                              ;   in Loop: Header=BB252_318 Depth=1
	v_bfe_u32 v46, v9, 16, 7
	v_cmp_ne_u32_e64 s[0:1], s25, v46
	v_mov_b32_e32 v45, 0x7c01
	s_and_saveexec_b64 s[18:19], s[0:1]
	s_cbranch_execz .LBB252_484
; %bb.483:                              ;   in Loop: Header=BB252_318 Depth=1
	v_and_b32_e32 v0, 7, v1
	v_ffbh_u32_e32 v47, v0
	v_min_u32_e32 v49, 32, v47
	v_subrev_u32_e32 v47, 28, v49
	v_lshlrev_b64 v[47:48], v47, v[1:2]
	v_lshrrev_b32_e32 v45, 3, v46
	v_sub_u32_e32 v48, 29, v49
	v_cmp_gt_u32_e64 s[0:1], 8, v46
	v_cndmask_b32_e64 v45, v45, v48, s[0:1]
	v_lshl_add_u32 v45, v45, 10, v23
	v_lshlrev_b32_e32 v1, 8, v1
	v_and_b32_e32 v46, 7, v47
	v_and_b32_e32 v45, 0xfc00, v45
	v_cndmask_b32_e64 v0, v0, v46, s[0:1]
	v_and_or_b32 v1, v1, s26, v45
	v_lshl_or_b32 v45, v0, 7, v1
.LBB252_484:                            ;   in Loop: Header=BB252_318 Depth=1
	s_or_b64 exec, exec, s[18:19]
.LBB252_485:                            ;   in Loop: Header=BB252_318 Depth=1
	s_or_b64 exec, exec, s[16:17]
.LBB252_486:                            ;   in Loop: Header=BB252_318 Depth=1
	s_or_b64 exec, exec, s[12:13]
	v_cmp_lt_u32_e64 s[0:1], s5, v9
	s_and_saveexec_b64 s[12:13], s[0:1]
	s_cbranch_execz .LBB252_492
; %bb.487:                              ;   in Loop: Header=BB252_318 Depth=1
	v_lshrrev_b32_e32 v1, 24, v9
	v_cmp_ne_u32_e64 s[0:1], s24, v1
	v_bfrev_b32_e32 v44, 1
	s_and_saveexec_b64 s[16:17], s[0:1]
	s_cbranch_execz .LBB252_491
; %bb.488:                              ;   in Loop: Header=BB252_318 Depth=1
	v_and_b32_e32 v46, 0x7f, v1
	v_cmp_ne_u32_e64 s[0:1], s25, v46
	v_mov_b32_e32 v44, 0x7c010000
	s_and_saveexec_b64 s[18:19], s[0:1]
	s_cbranch_execz .LBB252_490
; %bb.489:                              ;   in Loop: Header=BB252_318 Depth=1
	v_and_b32_e32 v0, 7, v1
	v_ffbh_u32_e32 v47, v0
	v_min_u32_e32 v49, 32, v47
	v_subrev_u32_e32 v47, 28, v49
	v_lshlrev_b64 v[47:48], v47, v[1:2]
	v_lshrrev_b32_e32 v44, 3, v46
	v_sub_u32_e32 v48, 29, v49
	v_cmp_gt_u32_e64 s[0:1], 8, v46
	v_cndmask_b32_e64 v44, v44, v48, s[0:1]
	v_lshlrev_b32_e32 v1, 8, v1
	v_lshl_add_u32 v44, v44, 10, v23
	v_and_b32_e32 v46, 7, v47
	v_and_or_b32 v1, v1, s26, v44
	v_cndmask_b32_e64 v0, v0, v46, s[0:1]
	v_lshlrev_b32_e32 v1, 16, v1
	v_lshl_or_b32 v44, v0, 23, v1
.LBB252_490:                            ;   in Loop: Header=BB252_318 Depth=1
	s_or_b64 exec, exec, s[18:19]
.LBB252_491:                            ;   in Loop: Header=BB252_318 Depth=1
	s_or_b64 exec, exec, s[16:17]
.LBB252_492:                            ;   in Loop: Header=BB252_318 Depth=1
	s_or_b64 exec, exec, s[12:13]
	v_mov_b32_e32 v1, v10
	v_cmp_ne_u16_sdwa s[0:1], v10, v2 src0_sel:BYTE_0 src1_sel:DWORD
	v_mov_b32_e32 v46, 0
	v_mov_b32_e32 v47, 0
	s_and_saveexec_b64 s[12:13], s[0:1]
	s_cbranch_execz .LBB252_498
; %bb.493:                              ;   in Loop: Header=BB252_318 Depth=1
	v_cmp_ne_u16_sdwa s[0:1], v10, s24 src0_sel:BYTE_0 src1_sel:DWORD
	v_mov_b32_e32 v47, 0x8000
	s_and_saveexec_b64 s[16:17], s[0:1]
	s_cbranch_execz .LBB252_497
; %bb.494:                              ;   in Loop: Header=BB252_318 Depth=1
	v_and_b32_e32 v48, 0x7f, v10
	v_cmp_ne_u32_e64 s[0:1], s25, v48
	v_mov_b32_e32 v47, 0x7c01
	s_and_saveexec_b64 s[18:19], s[0:1]
	s_cbranch_execz .LBB252_496
; %bb.495:                              ;   in Loop: Header=BB252_318 Depth=1
	v_and_b32_e32 v0, 7, v10
	v_ffbh_u32_e32 v49, v0
	v_min_u32_e32 v51, 32, v49
	v_subrev_u32_e32 v49, 28, v51
	v_lshlrev_b64 v[49:50], v49, v[1:2]
	v_lshrrev_b32_e32 v47, 3, v48
	v_sub_u32_e32 v50, 29, v51
	v_cmp_gt_u32_e64 s[0:1], 8, v48
	v_cndmask_b32_e64 v47, v47, v50, s[0:1]
	v_lshl_add_u32 v47, v47, 10, v23
	v_lshlrev_b32_e32 v48, 8, v10
	v_and_b32_e32 v49, 7, v49
	v_and_b32_e32 v47, 0xfc00, v47
	v_cndmask_b32_e64 v0, v0, v49, s[0:1]
	v_and_or_b32 v47, v48, s26, v47
	v_lshl_or_b32 v47, v0, 7, v47
.LBB252_496:                            ;   in Loop: Header=BB252_318 Depth=1
	s_or_b64 exec, exec, s[18:19]
.LBB252_497:                            ;   in Loop: Header=BB252_318 Depth=1
	s_or_b64 exec, exec, s[16:17]
.LBB252_498:                            ;   in Loop: Header=BB252_318 Depth=1
	s_or_b64 exec, exec, s[12:13]
	v_lshrrev_b16_e32 v1, 8, v1
	v_cmp_ne_u16_e64 s[0:1], 0, v1
	v_mov_b32_e32 v48, 0
	s_and_saveexec_b64 s[12:13], s[0:1]
	s_cbranch_execz .LBB252_504
; %bb.499:                              ;   in Loop: Header=BB252_318 Depth=1
	v_cmp_ne_u16_e64 s[0:1], s24, v1
	v_bfrev_b32_e32 v48, 1
	s_and_saveexec_b64 s[16:17], s[0:1]
	s_cbranch_execz .LBB252_503
; %bb.500:                              ;   in Loop: Header=BB252_318 Depth=1
	v_and_b32_e32 v49, 0x7f, v1
	v_cmp_ne_u32_e64 s[0:1], s25, v49
	v_mov_b32_e32 v48, 0x7c010000
	s_and_saveexec_b64 s[18:19], s[0:1]
	s_cbranch_execz .LBB252_502
; %bb.501:                              ;   in Loop: Header=BB252_318 Depth=1
	v_and_b32_e32 v0, 7, v1
	v_ffbh_u32_e32 v50, v0
	v_min_u32_e32 v52, 32, v50
	v_subrev_u32_e32 v50, 28, v52
	v_lshlrev_b64 v[50:51], v50, v[1:2]
	v_lshrrev_b32_e32 v48, 3, v49
	v_sub_u32_e32 v51, 29, v52
	v_cmp_gt_u32_e64 s[0:1], 8, v49
	v_cndmask_b32_e64 v48, v48, v51, s[0:1]
	v_lshlrev_b32_e32 v1, 8, v1
	v_lshl_add_u32 v48, v48, 10, v23
	v_and_b32_e32 v49, 7, v50
	v_and_or_b32 v1, v1, s26, v48
	v_cndmask_b32_e64 v0, v0, v49, s[0:1]
	v_lshlrev_b32_e32 v1, 16, v1
	v_lshl_or_b32 v48, v0, 23, v1
.LBB252_502:                            ;   in Loop: Header=BB252_318 Depth=1
	s_or_b64 exec, exec, s[18:19]
.LBB252_503:                            ;   in Loop: Header=BB252_318 Depth=1
	s_or_b64 exec, exec, s[16:17]
.LBB252_504:                            ;   in Loop: Header=BB252_318 Depth=1
	s_or_b64 exec, exec, s[12:13]
	v_lshrrev_b32_e32 v1, 16, v10
	v_cmp_ne_u16_sdwa s[0:1], v1, v2 src0_sel:BYTE_0 src1_sel:DWORD
	s_and_saveexec_b64 s[12:13], s[0:1]
	s_cbranch_execz .LBB252_510
; %bb.505:                              ;   in Loop: Header=BB252_318 Depth=1
	v_cmp_ne_u16_sdwa s[0:1], v1, s24 src0_sel:BYTE_0 src1_sel:DWORD
	v_mov_b32_e32 v46, 0x8000
	s_and_saveexec_b64 s[16:17], s[0:1]
	s_cbranch_execz .LBB252_509
; %bb.506:                              ;   in Loop: Header=BB252_318 Depth=1
	v_bfe_u32 v49, v10, 16, 7
	v_cmp_ne_u32_e64 s[0:1], s25, v49
	v_mov_b32_e32 v46, 0x7c01
	s_and_saveexec_b64 s[18:19], s[0:1]
	s_cbranch_execz .LBB252_508
; %bb.507:                              ;   in Loop: Header=BB252_318 Depth=1
	v_and_b32_e32 v0, 7, v1
	v_ffbh_u32_e32 v50, v0
	v_min_u32_e32 v52, 32, v50
	v_subrev_u32_e32 v50, 28, v52
	v_lshlrev_b64 v[50:51], v50, v[1:2]
	v_lshrrev_b32_e32 v46, 3, v49
	v_sub_u32_e32 v51, 29, v52
	v_cmp_gt_u32_e64 s[0:1], 8, v49
	v_cndmask_b32_e64 v46, v46, v51, s[0:1]
	v_lshl_add_u32 v46, v46, 10, v23
	v_lshlrev_b32_e32 v1, 8, v1
	v_and_b32_e32 v49, 7, v50
	v_and_b32_e32 v46, 0xfc00, v46
	v_cndmask_b32_e64 v0, v0, v49, s[0:1]
	v_and_or_b32 v1, v1, s26, v46
	v_lshl_or_b32 v46, v0, 7, v1
.LBB252_508:                            ;   in Loop: Header=BB252_318 Depth=1
	s_or_b64 exec, exec, s[18:19]
.LBB252_509:                            ;   in Loop: Header=BB252_318 Depth=1
	s_or_b64 exec, exec, s[16:17]
.LBB252_510:                            ;   in Loop: Header=BB252_318 Depth=1
	s_or_b64 exec, exec, s[12:13]
	v_cmp_lt_u64_e64 s[0:1], s[4:5], v[9:10]
	v_mov_b32_e32 v9, 0
	s_and_saveexec_b64 s[12:13], s[0:1]
	s_cbranch_execz .LBB252_516
; %bb.511:                              ;   in Loop: Header=BB252_318 Depth=1
	v_lshrrev_b32_e32 v1, 24, v10
	v_cmp_ne_u32_e64 s[0:1], s24, v1
	v_bfrev_b32_e32 v9, 1
	s_and_saveexec_b64 s[16:17], s[0:1]
	s_cbranch_execz .LBB252_515
; %bb.512:                              ;   in Loop: Header=BB252_318 Depth=1
	v_and_b32_e32 v10, 0x7f, v1
	v_cmp_ne_u32_e64 s[0:1], s25, v10
	v_mov_b32_e32 v9, 0x7c010000
	s_and_saveexec_b64 s[18:19], s[0:1]
	s_cbranch_execz .LBB252_514
; %bb.513:                              ;   in Loop: Header=BB252_318 Depth=1
	v_and_b32_e32 v0, 7, v1
	v_ffbh_u32_e32 v49, v0
	v_min_u32_e32 v51, 32, v49
	v_subrev_u32_e32 v49, 28, v51
	v_lshlrev_b64 v[49:50], v49, v[1:2]
	v_lshrrev_b32_e32 v9, 3, v10
	v_sub_u32_e32 v50, 29, v51
	v_cmp_gt_u32_e64 s[0:1], 8, v10
	v_cndmask_b32_e64 v9, v9, v50, s[0:1]
	v_lshlrev_b32_e32 v1, 8, v1
	v_lshl_add_u32 v9, v9, 10, v23
	v_and_b32_e32 v10, 7, v49
	v_and_or_b32 v1, v1, s26, v9
	v_cndmask_b32_e64 v0, v0, v10, s[0:1]
	v_lshlrev_b32_e32 v1, 16, v1
	v_lshl_or_b32 v9, v0, 23, v1
.LBB252_514:                            ;   in Loop: Header=BB252_318 Depth=1
	s_or_b64 exec, exec, s[18:19]
.LBB252_515:                            ;   in Loop: Header=BB252_318 Depth=1
	s_or_b64 exec, exec, s[16:17]
.LBB252_516:                            ;   in Loop: Header=BB252_318 Depth=1
	s_or_b64 exec, exec, s[12:13]
	v_or_b32_e32 v0, v44, v45
	s_waitcnt vmcnt(0)
	v_fma_mixlo_f16 v0, v41, v0, 0 op_sel_hi:[0,1,0]
	v_and_b32_e32 v45, 0xffff, v0
	v_or_b32_e32 v0, v42, v43
	v_fma_mixlo_f16 v0, v41, v0, 0 op_sel_hi:[0,1,0]
	v_and_b32_e32 v50, 0xffff, v0
	v_or_b32_e32 v0, v48, v47
	;; [unrolled: 3-line block ×3, first 2 shown]
	v_fma_mixlo_f16 v1, v41, v44, 0 op_sel:[0,1,0] op_sel_hi:[0,1,0]
	v_fma_mixlo_f16 v10, v41, v42, 0 op_sel:[0,1,0] op_sel_hi:[0,1,0]
	;; [unrolled: 1-line block ×3, first 2 shown]
	v_fma_mixlo_f16 v0, v41, v0, 0 op_sel_hi:[0,1,0]
	v_fma_mixlo_f16 v9, v41, v9, 0 op_sel:[0,1,0] op_sel_hi:[0,1,0]
	v_lshlrev_b32_e32 v44, 16, v1
	v_lshlrev_b32_e32 v49, 16, v10
	;; [unrolled: 1-line block ×4, first 2 shown]
	v_and_b32_e32 v41, 0xffff, v0
	v_or_b32_e32 v1, v44, v45
	v_or_b32_e32 v10, v49, v50
	;; [unrolled: 1-line block ×4, first 2 shown]
	s_and_saveexec_b64 s[12:13], vcc
	s_cbranch_execz .LBB252_518
; %bb.517:                              ;   in Loop: Header=BB252_318 Depth=1
	v_cmp_gt_i32_e64 s[0:1], s30, v24
	v_cndmask_b32_e64 v0, 0, v50, s[0:1]
	v_cmp_gt_i32_e64 s[0:1], s30, v30
	v_cndmask_b32_e64 v1, 0, v49, s[0:1]
	v_cmp_gt_i32_e64 s[0:1], s30, v29
	v_or_b32_e32 v10, v1, v0
	v_cndmask_b32_e64 v0, 0, v45, s[0:1]
	v_cmp_gt_i32_e64 s[0:1], s30, v28
	v_cndmask_b32_e64 v1, 0, v44, s[0:1]
	v_cmp_gt_i32_e64 s[0:1], s30, v27
	v_or_b32_e32 v1, v1, v0
	;; [unrolled: 5-line block ×3, first 2 shown]
	v_cndmask_b32_e64 v0, 0, v41, s[0:1]
	v_cmp_gt_i32_e64 s[0:1], s30, v21
	v_cndmask_b32_e64 v9, 0, v9, s[0:1]
	v_or_b32_e32 v46, v9, v0
.LBB252_518:                            ;   in Loop: Header=BB252_318 Depth=1
	s_or_b64 exec, exec, s[12:13]
	;;#ASMSTART
	v_pk_mul_f16 v0, v31, v10;

	;;#ASMEND
	;;#ASMSTART
	v_pk_mul_f16 v1, v32, v1;

	;;#ASMEND
	;; [unrolled: 4-line block ×4, first 2 shown]
	;;#ASMSTART
	v_pk_add_f16 v0, v0, v1;

	;;#ASMEND
	;;#ASMSTART
	v_pk_add_f16 v0, v0, v9;

	;;#ASMEND
	;;#ASMSTART
	v_pk_add_f16 v0, v0, v10;

	;;#ASMEND
	v_lshrrev_b32_e32 v1, 16, v0
	v_and_b32_e32 v0, 0xffff, v0
	;;#ASMSTART
	v_cvt_f32_f16 v41, v0;
	;;#ASMEND
	;;#ASMSTART
	v_cvt_f32_f16 v42, v1;
	;;#ASMEND
	global_load_dwordx2 v[9:10], v[7:8], off offset:2048
	v_mov_b32_e32 v44, 0
	global_load_dword v43, v44, s[14:15]
	v_mov_b32_e32 v45, 0
	s_waitcnt vmcnt(1)
	v_cmp_ne_u16_sdwa s[0:1], v9, v2 src0_sel:BYTE_0 src1_sel:DWORD
	s_and_saveexec_b64 s[12:13], s[0:1]
	s_cbranch_execz .LBB252_524
; %bb.519:                              ;   in Loop: Header=BB252_318 Depth=1
	v_cmp_ne_u16_sdwa s[0:1], v9, s24 src0_sel:BYTE_0 src1_sel:DWORD
	v_mov_b32_e32 v45, 0x8000
	s_and_saveexec_b64 s[16:17], s[0:1]
	s_cbranch_execz .LBB252_523
; %bb.520:                              ;   in Loop: Header=BB252_318 Depth=1
	v_and_b32_e32 v1, 0x7f, v9
	v_cmp_ne_u32_e64 s[0:1], s25, v1
	v_mov_b32_e32 v45, 0x7c01
	s_and_saveexec_b64 s[18:19], s[0:1]
	s_cbranch_execz .LBB252_522
; %bb.521:                              ;   in Loop: Header=BB252_318 Depth=1
	v_and_b32_e32 v0, 7, v9
	v_ffbh_u32_e32 v45, v0
	v_min_u32_e32 v48, 32, v45
	v_subrev_u32_e32 v45, 28, v48
	v_lshlrev_b64 v[45:46], v45, v[9:10]
	v_lshrrev_b32_e32 v47, 3, v1
	v_sub_u32_e32 v46, 29, v48
	v_cmp_gt_u32_e64 s[0:1], 8, v1
	v_cndmask_b32_e64 v1, v47, v46, s[0:1]
	v_lshl_add_u32 v1, v1, 10, v23
	v_lshlrev_b32_e32 v46, 8, v9
	v_and_b32_e32 v45, 7, v45
	v_and_b32_e32 v1, 0xfc00, v1
	v_cndmask_b32_e64 v0, v0, v45, s[0:1]
	v_and_or_b32 v1, v46, s26, v1
	v_lshl_or_b32 v45, v0, 7, v1
.LBB252_522:                            ;   in Loop: Header=BB252_318 Depth=1
	s_or_b64 exec, exec, s[18:19]
.LBB252_523:                            ;   in Loop: Header=BB252_318 Depth=1
	s_or_b64 exec, exec, s[16:17]
.LBB252_524:                            ;   in Loop: Header=BB252_318 Depth=1
	s_or_b64 exec, exec, s[12:13]
	v_lshrrev_b16_e32 v1, 8, v9
	v_cmp_ne_u16_e64 s[0:1], 0, v1
	s_and_saveexec_b64 s[12:13], s[0:1]
	s_cbranch_execz .LBB252_530
; %bb.525:                              ;   in Loop: Header=BB252_318 Depth=1
	v_cmp_ne_u16_e64 s[0:1], s24, v1
	v_bfrev_b32_e32 v44, 1
	s_and_saveexec_b64 s[16:17], s[0:1]
	s_cbranch_execz .LBB252_529
; %bb.526:                              ;   in Loop: Header=BB252_318 Depth=1
	v_and_b32_e32 v46, 0x7f, v1
	v_cmp_ne_u32_e64 s[0:1], s25, v46
	v_mov_b32_e32 v44, 0x7c010000
	s_and_saveexec_b64 s[18:19], s[0:1]
	s_cbranch_execz .LBB252_528
; %bb.527:                              ;   in Loop: Header=BB252_318 Depth=1
	v_and_b32_e32 v0, 7, v1
	v_ffbh_u32_e32 v47, v0
	v_min_u32_e32 v49, 32, v47
	v_subrev_u32_e32 v47, 28, v49
	v_lshlrev_b64 v[47:48], v47, v[1:2]
	v_lshrrev_b32_e32 v44, 3, v46
	v_sub_u32_e32 v48, 29, v49
	v_cmp_gt_u32_e64 s[0:1], 8, v46
	v_cndmask_b32_e64 v44, v44, v48, s[0:1]
	v_lshlrev_b32_e32 v1, 8, v1
	v_lshl_add_u32 v44, v44, 10, v23
	v_and_b32_e32 v46, 7, v47
	v_and_or_b32 v1, v1, s26, v44
	v_cndmask_b32_e64 v0, v0, v46, s[0:1]
	v_lshlrev_b32_e32 v1, 16, v1
	v_lshl_or_b32 v44, v0, 23, v1
.LBB252_528:                            ;   in Loop: Header=BB252_318 Depth=1
	s_or_b64 exec, exec, s[18:19]
.LBB252_529:                            ;   in Loop: Header=BB252_318 Depth=1
	s_or_b64 exec, exec, s[16:17]
.LBB252_530:                            ;   in Loop: Header=BB252_318 Depth=1
	s_or_b64 exec, exec, s[12:13]
	v_lshrrev_b32_e32 v1, 16, v9
	v_cmp_ne_u16_sdwa s[0:1], v1, v2 src0_sel:BYTE_0 src1_sel:DWORD
	v_mov_b32_e32 v46, 0
	v_mov_b32_e32 v47, 0
	s_and_saveexec_b64 s[12:13], s[0:1]
	s_cbranch_execz .LBB252_536
; %bb.531:                              ;   in Loop: Header=BB252_318 Depth=1
	v_cmp_ne_u16_sdwa s[0:1], v1, s24 src0_sel:BYTE_0 src1_sel:DWORD
	v_mov_b32_e32 v47, 0x8000
	s_and_saveexec_b64 s[16:17], s[0:1]
	s_cbranch_execz .LBB252_535
; %bb.532:                              ;   in Loop: Header=BB252_318 Depth=1
	v_bfe_u32 v48, v9, 16, 7
	v_cmp_ne_u32_e64 s[0:1], s25, v48
	v_mov_b32_e32 v47, 0x7c01
	s_and_saveexec_b64 s[18:19], s[0:1]
	s_cbranch_execz .LBB252_534
; %bb.533:                              ;   in Loop: Header=BB252_318 Depth=1
	v_and_b32_e32 v0, 7, v1
	v_ffbh_u32_e32 v49, v0
	v_min_u32_e32 v51, 32, v49
	v_subrev_u32_e32 v49, 28, v51
	v_lshlrev_b64 v[49:50], v49, v[1:2]
	v_lshrrev_b32_e32 v47, 3, v48
	v_sub_u32_e32 v50, 29, v51
	v_cmp_gt_u32_e64 s[0:1], 8, v48
	v_cndmask_b32_e64 v47, v47, v50, s[0:1]
	v_lshl_add_u32 v47, v47, 10, v23
	v_lshlrev_b32_e32 v1, 8, v1
	v_and_b32_e32 v48, 7, v49
	v_and_b32_e32 v47, 0xfc00, v47
	v_cndmask_b32_e64 v0, v0, v48, s[0:1]
	v_and_or_b32 v1, v1, s26, v47
	v_lshl_or_b32 v47, v0, 7, v1
.LBB252_534:                            ;   in Loop: Header=BB252_318 Depth=1
	s_or_b64 exec, exec, s[18:19]
.LBB252_535:                            ;   in Loop: Header=BB252_318 Depth=1
	s_or_b64 exec, exec, s[16:17]
.LBB252_536:                            ;   in Loop: Header=BB252_318 Depth=1
	s_or_b64 exec, exec, s[12:13]
	v_cmp_lt_u32_e64 s[0:1], s5, v9
	s_and_saveexec_b64 s[12:13], s[0:1]
	s_cbranch_execz .LBB252_542
; %bb.537:                              ;   in Loop: Header=BB252_318 Depth=1
	v_lshrrev_b32_e32 v1, 24, v9
	v_cmp_ne_u32_e64 s[0:1], s24, v1
	v_bfrev_b32_e32 v46, 1
	s_and_saveexec_b64 s[16:17], s[0:1]
	s_cbranch_execz .LBB252_541
; %bb.538:                              ;   in Loop: Header=BB252_318 Depth=1
	v_and_b32_e32 v48, 0x7f, v1
	v_cmp_ne_u32_e64 s[0:1], s25, v48
	v_mov_b32_e32 v46, 0x7c010000
	s_and_saveexec_b64 s[18:19], s[0:1]
	s_cbranch_execz .LBB252_540
; %bb.539:                              ;   in Loop: Header=BB252_318 Depth=1
	v_and_b32_e32 v0, 7, v1
	v_ffbh_u32_e32 v49, v0
	v_min_u32_e32 v51, 32, v49
	v_subrev_u32_e32 v49, 28, v51
	v_lshlrev_b64 v[49:50], v49, v[1:2]
	v_lshrrev_b32_e32 v46, 3, v48
	v_sub_u32_e32 v50, 29, v51
	v_cmp_gt_u32_e64 s[0:1], 8, v48
	v_cndmask_b32_e64 v46, v46, v50, s[0:1]
	v_lshlrev_b32_e32 v1, 8, v1
	v_lshl_add_u32 v46, v46, 10, v23
	v_and_b32_e32 v48, 7, v49
	v_and_or_b32 v1, v1, s26, v46
	v_cndmask_b32_e64 v0, v0, v48, s[0:1]
	v_lshlrev_b32_e32 v1, 16, v1
	v_lshl_or_b32 v46, v0, 23, v1
.LBB252_540:                            ;   in Loop: Header=BB252_318 Depth=1
	s_or_b64 exec, exec, s[18:19]
.LBB252_541:                            ;   in Loop: Header=BB252_318 Depth=1
	s_or_b64 exec, exec, s[16:17]
.LBB252_542:                            ;   in Loop: Header=BB252_318 Depth=1
	s_or_b64 exec, exec, s[12:13]
	v_mov_b32_e32 v1, v10
	v_cmp_ne_u16_sdwa s[0:1], v10, v2 src0_sel:BYTE_0 src1_sel:DWORD
	v_mov_b32_e32 v48, 0
	v_mov_b32_e32 v49, 0
	s_and_saveexec_b64 s[12:13], s[0:1]
	s_cbranch_execz .LBB252_548
; %bb.543:                              ;   in Loop: Header=BB252_318 Depth=1
	v_cmp_ne_u16_sdwa s[0:1], v10, s24 src0_sel:BYTE_0 src1_sel:DWORD
	v_mov_b32_e32 v49, 0x8000
	s_and_saveexec_b64 s[16:17], s[0:1]
	s_cbranch_execz .LBB252_547
; %bb.544:                              ;   in Loop: Header=BB252_318 Depth=1
	v_and_b32_e32 v50, 0x7f, v10
	v_cmp_ne_u32_e64 s[0:1], s25, v50
	v_mov_b32_e32 v49, 0x7c01
	s_and_saveexec_b64 s[18:19], s[0:1]
	s_cbranch_execz .LBB252_546
; %bb.545:                              ;   in Loop: Header=BB252_318 Depth=1
	v_and_b32_e32 v0, 7, v10
	v_ffbh_u32_e32 v51, v0
	v_min_u32_e32 v53, 32, v51
	v_subrev_u32_e32 v51, 28, v53
	v_lshlrev_b64 v[51:52], v51, v[1:2]
	v_lshrrev_b32_e32 v49, 3, v50
	v_sub_u32_e32 v52, 29, v53
	v_cmp_gt_u32_e64 s[0:1], 8, v50
	v_cndmask_b32_e64 v49, v49, v52, s[0:1]
	v_lshl_add_u32 v49, v49, 10, v23
	v_lshlrev_b32_e32 v50, 8, v10
	v_and_b32_e32 v51, 7, v51
	v_and_b32_e32 v49, 0xfc00, v49
	v_cndmask_b32_e64 v0, v0, v51, s[0:1]
	v_and_or_b32 v49, v50, s26, v49
	v_lshl_or_b32 v49, v0, 7, v49
.LBB252_546:                            ;   in Loop: Header=BB252_318 Depth=1
	s_or_b64 exec, exec, s[18:19]
.LBB252_547:                            ;   in Loop: Header=BB252_318 Depth=1
	s_or_b64 exec, exec, s[16:17]
.LBB252_548:                            ;   in Loop: Header=BB252_318 Depth=1
	s_or_b64 exec, exec, s[12:13]
	v_lshrrev_b16_e32 v1, 8, v1
	v_cmp_ne_u16_e64 s[0:1], 0, v1
	v_mov_b32_e32 v50, 0
	s_and_saveexec_b64 s[12:13], s[0:1]
	s_cbranch_execz .LBB252_554
; %bb.549:                              ;   in Loop: Header=BB252_318 Depth=1
	v_cmp_ne_u16_e64 s[0:1], s24, v1
	v_bfrev_b32_e32 v50, 1
	s_and_saveexec_b64 s[16:17], s[0:1]
	s_cbranch_execz .LBB252_553
; %bb.550:                              ;   in Loop: Header=BB252_318 Depth=1
	v_and_b32_e32 v51, 0x7f, v1
	v_cmp_ne_u32_e64 s[0:1], s25, v51
	v_mov_b32_e32 v50, 0x7c010000
	s_and_saveexec_b64 s[18:19], s[0:1]
	s_cbranch_execz .LBB252_552
; %bb.551:                              ;   in Loop: Header=BB252_318 Depth=1
	v_and_b32_e32 v0, 7, v1
	v_ffbh_u32_e32 v52, v0
	v_min_u32_e32 v54, 32, v52
	v_subrev_u32_e32 v52, 28, v54
	v_lshlrev_b64 v[52:53], v52, v[1:2]
	v_lshrrev_b32_e32 v50, 3, v51
	v_sub_u32_e32 v53, 29, v54
	v_cmp_gt_u32_e64 s[0:1], 8, v51
	v_cndmask_b32_e64 v50, v50, v53, s[0:1]
	v_lshlrev_b32_e32 v1, 8, v1
	v_lshl_add_u32 v50, v50, 10, v23
	v_and_b32_e32 v51, 7, v52
	v_and_or_b32 v1, v1, s26, v50
	v_cndmask_b32_e64 v0, v0, v51, s[0:1]
	v_lshlrev_b32_e32 v1, 16, v1
	v_lshl_or_b32 v50, v0, 23, v1
.LBB252_552:                            ;   in Loop: Header=BB252_318 Depth=1
	s_or_b64 exec, exec, s[18:19]
.LBB252_553:                            ;   in Loop: Header=BB252_318 Depth=1
	s_or_b64 exec, exec, s[16:17]
.LBB252_554:                            ;   in Loop: Header=BB252_318 Depth=1
	s_or_b64 exec, exec, s[12:13]
	v_lshrrev_b32_e32 v1, 16, v10
	v_cmp_ne_u16_sdwa s[0:1], v1, v2 src0_sel:BYTE_0 src1_sel:DWORD
	s_and_saveexec_b64 s[12:13], s[0:1]
	s_cbranch_execz .LBB252_560
; %bb.555:                              ;   in Loop: Header=BB252_318 Depth=1
	v_cmp_ne_u16_sdwa s[0:1], v1, s24 src0_sel:BYTE_0 src1_sel:DWORD
	v_mov_b32_e32 v48, 0x8000
	s_and_saveexec_b64 s[16:17], s[0:1]
	s_cbranch_execz .LBB252_559
; %bb.556:                              ;   in Loop: Header=BB252_318 Depth=1
	v_bfe_u32 v51, v10, 16, 7
	v_cmp_ne_u32_e64 s[0:1], s25, v51
	v_mov_b32_e32 v48, 0x7c01
	s_and_saveexec_b64 s[18:19], s[0:1]
	s_cbranch_execz .LBB252_558
; %bb.557:                              ;   in Loop: Header=BB252_318 Depth=1
	v_and_b32_e32 v0, 7, v1
	v_ffbh_u32_e32 v52, v0
	v_min_u32_e32 v54, 32, v52
	v_subrev_u32_e32 v52, 28, v54
	v_lshlrev_b64 v[52:53], v52, v[1:2]
	v_lshrrev_b32_e32 v48, 3, v51
	v_sub_u32_e32 v53, 29, v54
	v_cmp_gt_u32_e64 s[0:1], 8, v51
	v_cndmask_b32_e64 v48, v48, v53, s[0:1]
	v_lshl_add_u32 v48, v48, 10, v23
	v_lshlrev_b32_e32 v1, 8, v1
	v_and_b32_e32 v51, 7, v52
	v_and_b32_e32 v48, 0xfc00, v48
	v_cndmask_b32_e64 v0, v0, v51, s[0:1]
	v_and_or_b32 v1, v1, s26, v48
	v_lshl_or_b32 v48, v0, 7, v1
.LBB252_558:                            ;   in Loop: Header=BB252_318 Depth=1
	s_or_b64 exec, exec, s[18:19]
.LBB252_559:                            ;   in Loop: Header=BB252_318 Depth=1
	s_or_b64 exec, exec, s[16:17]
.LBB252_560:                            ;   in Loop: Header=BB252_318 Depth=1
	s_or_b64 exec, exec, s[12:13]
	v_cmp_lt_u64_e64 s[0:1], s[4:5], v[9:10]
	v_mov_b32_e32 v9, 0
	s_and_saveexec_b64 s[12:13], s[0:1]
	s_cbranch_execz .LBB252_566
; %bb.561:                              ;   in Loop: Header=BB252_318 Depth=1
	v_lshrrev_b32_e32 v1, 24, v10
	v_cmp_ne_u32_e64 s[0:1], s24, v1
	v_bfrev_b32_e32 v9, 1
	s_and_saveexec_b64 s[16:17], s[0:1]
	s_cbranch_execz .LBB252_565
; %bb.562:                              ;   in Loop: Header=BB252_318 Depth=1
	v_and_b32_e32 v10, 0x7f, v1
	v_cmp_ne_u32_e64 s[0:1], s25, v10
	v_mov_b32_e32 v9, 0x7c010000
	s_and_saveexec_b64 s[18:19], s[0:1]
	s_cbranch_execz .LBB252_564
; %bb.563:                              ;   in Loop: Header=BB252_318 Depth=1
	v_and_b32_e32 v0, 7, v1
	v_ffbh_u32_e32 v51, v0
	v_min_u32_e32 v53, 32, v51
	v_subrev_u32_e32 v51, 28, v53
	v_lshlrev_b64 v[51:52], v51, v[1:2]
	v_lshrrev_b32_e32 v9, 3, v10
	v_sub_u32_e32 v52, 29, v53
	v_cmp_gt_u32_e64 s[0:1], 8, v10
	v_cndmask_b32_e64 v9, v9, v52, s[0:1]
	v_lshlrev_b32_e32 v1, 8, v1
	v_lshl_add_u32 v9, v9, 10, v23
	v_and_b32_e32 v10, 7, v51
	v_and_or_b32 v1, v1, s26, v9
	v_cndmask_b32_e64 v0, v0, v10, s[0:1]
	v_lshlrev_b32_e32 v1, 16, v1
	v_lshl_or_b32 v9, v0, 23, v1
.LBB252_564:                            ;   in Loop: Header=BB252_318 Depth=1
	s_or_b64 exec, exec, s[18:19]
.LBB252_565:                            ;   in Loop: Header=BB252_318 Depth=1
	s_or_b64 exec, exec, s[16:17]
.LBB252_566:                            ;   in Loop: Header=BB252_318 Depth=1
	s_or_b64 exec, exec, s[12:13]
	v_or_b32_e32 v0, v46, v47
	s_waitcnt vmcnt(0)
	v_fma_mixlo_f16 v0, v43, v0, 0 op_sel_hi:[0,1,0]
	v_and_b32_e32 v47, 0xffff, v0
	v_or_b32_e32 v0, v44, v45
	v_fma_mixlo_f16 v0, v43, v0, 0 op_sel_hi:[0,1,0]
	v_and_b32_e32 v52, 0xffff, v0
	v_or_b32_e32 v0, v50, v49
	;; [unrolled: 3-line block ×3, first 2 shown]
	v_fma_mixlo_f16 v1, v43, v46, 0 op_sel:[0,1,0] op_sel_hi:[0,1,0]
	v_fma_mixlo_f16 v10, v43, v44, 0 op_sel:[0,1,0] op_sel_hi:[0,1,0]
	;; [unrolled: 1-line block ×3, first 2 shown]
	v_fma_mixlo_f16 v0, v43, v0, 0 op_sel_hi:[0,1,0]
	v_fma_mixlo_f16 v9, v43, v9, 0 op_sel:[0,1,0] op_sel_hi:[0,1,0]
	v_lshlrev_b32_e32 v46, 16, v1
	v_lshlrev_b32_e32 v51, 16, v10
	;; [unrolled: 1-line block ×4, first 2 shown]
	v_and_b32_e32 v43, 0xffff, v0
	v_or_b32_e32 v1, v46, v47
	v_or_b32_e32 v10, v51, v52
	;; [unrolled: 1-line block ×4, first 2 shown]
	s_and_saveexec_b64 s[12:13], vcc
	s_cbranch_execz .LBB252_568
; %bb.567:                              ;   in Loop: Header=BB252_318 Depth=1
	v_cmp_gt_i32_e64 s[0:1], s30, v24
	v_cndmask_b32_e64 v0, 0, v52, s[0:1]
	v_cmp_gt_i32_e64 s[0:1], s30, v30
	v_cndmask_b32_e64 v1, 0, v51, s[0:1]
	v_cmp_gt_i32_e64 s[0:1], s30, v29
	v_or_b32_e32 v10, v1, v0
	v_cndmask_b32_e64 v0, 0, v47, s[0:1]
	v_cmp_gt_i32_e64 s[0:1], s30, v28
	v_cndmask_b32_e64 v1, 0, v46, s[0:1]
	v_cmp_gt_i32_e64 s[0:1], s30, v27
	v_or_b32_e32 v1, v1, v0
	;; [unrolled: 5-line block ×3, first 2 shown]
	v_cndmask_b32_e64 v0, 0, v43, s[0:1]
	v_cmp_gt_i32_e64 s[0:1], s30, v21
	v_cndmask_b32_e64 v9, 0, v9, s[0:1]
	v_or_b32_e32 v48, v9, v0
.LBB252_568:                            ;   in Loop: Header=BB252_318 Depth=1
	s_or_b64 exec, exec, s[12:13]
	;;#ASMSTART
	v_pk_mul_f16 v0, v31, v10;

	;;#ASMEND
	;;#ASMSTART
	v_pk_mul_f16 v1, v32, v1;

	;;#ASMEND
	;; [unrolled: 4-line block ×4, first 2 shown]
	;;#ASMSTART
	v_pk_add_f16 v0, v0, v1;

	;;#ASMEND
	;;#ASMSTART
	v_pk_add_f16 v0, v0, v9;

	;;#ASMEND
	;;#ASMSTART
	v_pk_add_f16 v0, v0, v10;

	;;#ASMEND
	v_lshrrev_b32_e32 v1, 16, v0
	v_and_b32_e32 v0, 0xffff, v0
	;;#ASMSTART
	v_cvt_f32_f16 v9, v0;
	;;#ASMEND
	;;#ASMSTART
	v_cvt_f32_f16 v10, v1;
	;;#ASMEND
	global_load_dwordx2 v[7:8], v[7:8], off offset:2560
	v_mov_b32_e32 v44, 0
	global_load_dword v43, v44, s[14:15]
	v_mov_b32_e32 v45, 0
	s_waitcnt vmcnt(1)
	v_cmp_ne_u16_sdwa s[0:1], v7, v2 src0_sel:BYTE_0 src1_sel:DWORD
	s_and_saveexec_b64 s[12:13], s[0:1]
	s_cbranch_execz .LBB252_574
; %bb.569:                              ;   in Loop: Header=BB252_318 Depth=1
	v_cmp_ne_u16_sdwa s[0:1], v7, s24 src0_sel:BYTE_0 src1_sel:DWORD
	v_mov_b32_e32 v45, 0x8000
	s_and_saveexec_b64 s[16:17], s[0:1]
	s_cbranch_execz .LBB252_573
; %bb.570:                              ;   in Loop: Header=BB252_318 Depth=1
	v_and_b32_e32 v1, 0x7f, v7
	v_cmp_ne_u32_e64 s[0:1], s25, v1
	v_mov_b32_e32 v45, 0x7c01
	s_and_saveexec_b64 s[18:19], s[0:1]
	s_cbranch_execz .LBB252_572
; %bb.571:                              ;   in Loop: Header=BB252_318 Depth=1
	v_and_b32_e32 v0, 7, v7
	v_ffbh_u32_e32 v45, v0
	v_min_u32_e32 v48, 32, v45
	v_subrev_u32_e32 v45, 28, v48
	v_lshlrev_b64 v[45:46], v45, v[7:8]
	v_lshrrev_b32_e32 v47, 3, v1
	v_sub_u32_e32 v46, 29, v48
	v_cmp_gt_u32_e64 s[0:1], 8, v1
	v_cndmask_b32_e64 v1, v47, v46, s[0:1]
	v_lshl_add_u32 v1, v1, 10, v23
	v_lshlrev_b32_e32 v46, 8, v7
	v_and_b32_e32 v45, 7, v45
	v_and_b32_e32 v1, 0xfc00, v1
	v_cndmask_b32_e64 v0, v0, v45, s[0:1]
	v_and_or_b32 v1, v46, s26, v1
	v_lshl_or_b32 v45, v0, 7, v1
.LBB252_572:                            ;   in Loop: Header=BB252_318 Depth=1
	s_or_b64 exec, exec, s[18:19]
.LBB252_573:                            ;   in Loop: Header=BB252_318 Depth=1
	s_or_b64 exec, exec, s[16:17]
.LBB252_574:                            ;   in Loop: Header=BB252_318 Depth=1
	s_or_b64 exec, exec, s[12:13]
	v_lshrrev_b16_e32 v1, 8, v7
	v_cmp_ne_u16_e64 s[0:1], 0, v1
	s_and_saveexec_b64 s[12:13], s[0:1]
	s_cbranch_execz .LBB252_580
; %bb.575:                              ;   in Loop: Header=BB252_318 Depth=1
	v_cmp_ne_u16_e64 s[0:1], s24, v1
	v_bfrev_b32_e32 v44, 1
	s_and_saveexec_b64 s[16:17], s[0:1]
	s_cbranch_execz .LBB252_579
; %bb.576:                              ;   in Loop: Header=BB252_318 Depth=1
	v_and_b32_e32 v46, 0x7f, v1
	v_cmp_ne_u32_e64 s[0:1], s25, v46
	v_mov_b32_e32 v44, 0x7c010000
	s_and_saveexec_b64 s[18:19], s[0:1]
	s_cbranch_execz .LBB252_578
; %bb.577:                              ;   in Loop: Header=BB252_318 Depth=1
	v_and_b32_e32 v0, 7, v1
	v_ffbh_u32_e32 v47, v0
	v_min_u32_e32 v49, 32, v47
	v_subrev_u32_e32 v47, 28, v49
	v_lshlrev_b64 v[47:48], v47, v[1:2]
	v_lshrrev_b32_e32 v44, 3, v46
	v_sub_u32_e32 v48, 29, v49
	v_cmp_gt_u32_e64 s[0:1], 8, v46
	v_cndmask_b32_e64 v44, v44, v48, s[0:1]
	v_lshlrev_b32_e32 v1, 8, v1
	v_lshl_add_u32 v44, v44, 10, v23
	v_and_b32_e32 v46, 7, v47
	v_and_or_b32 v1, v1, s26, v44
	v_cndmask_b32_e64 v0, v0, v46, s[0:1]
	v_lshlrev_b32_e32 v1, 16, v1
	v_lshl_or_b32 v44, v0, 23, v1
.LBB252_578:                            ;   in Loop: Header=BB252_318 Depth=1
	s_or_b64 exec, exec, s[18:19]
.LBB252_579:                            ;   in Loop: Header=BB252_318 Depth=1
	s_or_b64 exec, exec, s[16:17]
.LBB252_580:                            ;   in Loop: Header=BB252_318 Depth=1
	s_or_b64 exec, exec, s[12:13]
	v_lshrrev_b32_e32 v1, 16, v7
	v_cmp_ne_u16_sdwa s[0:1], v1, v2 src0_sel:BYTE_0 src1_sel:DWORD
	v_mov_b32_e32 v46, 0
	v_mov_b32_e32 v47, 0
	s_and_saveexec_b64 s[12:13], s[0:1]
	s_cbranch_execz .LBB252_586
; %bb.581:                              ;   in Loop: Header=BB252_318 Depth=1
	v_cmp_ne_u16_sdwa s[0:1], v1, s24 src0_sel:BYTE_0 src1_sel:DWORD
	v_mov_b32_e32 v47, 0x8000
	s_and_saveexec_b64 s[16:17], s[0:1]
	s_cbranch_execz .LBB252_585
; %bb.582:                              ;   in Loop: Header=BB252_318 Depth=1
	v_bfe_u32 v48, v7, 16, 7
	v_cmp_ne_u32_e64 s[0:1], s25, v48
	v_mov_b32_e32 v47, 0x7c01
	s_and_saveexec_b64 s[18:19], s[0:1]
	s_cbranch_execz .LBB252_584
; %bb.583:                              ;   in Loop: Header=BB252_318 Depth=1
	v_and_b32_e32 v0, 7, v1
	v_ffbh_u32_e32 v49, v0
	v_min_u32_e32 v51, 32, v49
	v_subrev_u32_e32 v49, 28, v51
	v_lshlrev_b64 v[49:50], v49, v[1:2]
	v_lshrrev_b32_e32 v47, 3, v48
	v_sub_u32_e32 v50, 29, v51
	v_cmp_gt_u32_e64 s[0:1], 8, v48
	v_cndmask_b32_e64 v47, v47, v50, s[0:1]
	v_lshl_add_u32 v47, v47, 10, v23
	v_lshlrev_b32_e32 v1, 8, v1
	v_and_b32_e32 v48, 7, v49
	v_and_b32_e32 v47, 0xfc00, v47
	v_cndmask_b32_e64 v0, v0, v48, s[0:1]
	v_and_or_b32 v1, v1, s26, v47
	v_lshl_or_b32 v47, v0, 7, v1
.LBB252_584:                            ;   in Loop: Header=BB252_318 Depth=1
	s_or_b64 exec, exec, s[18:19]
.LBB252_585:                            ;   in Loop: Header=BB252_318 Depth=1
	s_or_b64 exec, exec, s[16:17]
.LBB252_586:                            ;   in Loop: Header=BB252_318 Depth=1
	s_or_b64 exec, exec, s[12:13]
	v_cmp_lt_u32_e64 s[0:1], s5, v7
	s_and_saveexec_b64 s[12:13], s[0:1]
	s_cbranch_execz .LBB252_592
; %bb.587:                              ;   in Loop: Header=BB252_318 Depth=1
	v_lshrrev_b32_e32 v1, 24, v7
	v_cmp_ne_u32_e64 s[0:1], s24, v1
	v_bfrev_b32_e32 v46, 1
	s_and_saveexec_b64 s[16:17], s[0:1]
	s_cbranch_execz .LBB252_591
; %bb.588:                              ;   in Loop: Header=BB252_318 Depth=1
	v_and_b32_e32 v48, 0x7f, v1
	v_cmp_ne_u32_e64 s[0:1], s25, v48
	v_mov_b32_e32 v46, 0x7c010000
	s_and_saveexec_b64 s[18:19], s[0:1]
	s_cbranch_execz .LBB252_590
; %bb.589:                              ;   in Loop: Header=BB252_318 Depth=1
	v_and_b32_e32 v0, 7, v1
	v_ffbh_u32_e32 v49, v0
	v_min_u32_e32 v51, 32, v49
	v_subrev_u32_e32 v49, 28, v51
	v_lshlrev_b64 v[49:50], v49, v[1:2]
	v_lshrrev_b32_e32 v46, 3, v48
	v_sub_u32_e32 v50, 29, v51
	v_cmp_gt_u32_e64 s[0:1], 8, v48
	v_cndmask_b32_e64 v46, v46, v50, s[0:1]
	v_lshlrev_b32_e32 v1, 8, v1
	v_lshl_add_u32 v46, v46, 10, v23
	v_and_b32_e32 v48, 7, v49
	v_and_or_b32 v1, v1, s26, v46
	v_cndmask_b32_e64 v0, v0, v48, s[0:1]
	v_lshlrev_b32_e32 v1, 16, v1
	v_lshl_or_b32 v46, v0, 23, v1
.LBB252_590:                            ;   in Loop: Header=BB252_318 Depth=1
	s_or_b64 exec, exec, s[18:19]
.LBB252_591:                            ;   in Loop: Header=BB252_318 Depth=1
	s_or_b64 exec, exec, s[16:17]
.LBB252_592:                            ;   in Loop: Header=BB252_318 Depth=1
	s_or_b64 exec, exec, s[12:13]
	v_mov_b32_e32 v1, v8
	v_cmp_ne_u16_sdwa s[0:1], v8, v2 src0_sel:BYTE_0 src1_sel:DWORD
	v_mov_b32_e32 v48, 0
	v_mov_b32_e32 v49, 0
	s_and_saveexec_b64 s[12:13], s[0:1]
	s_cbranch_execz .LBB252_598
; %bb.593:                              ;   in Loop: Header=BB252_318 Depth=1
	v_cmp_ne_u16_sdwa s[0:1], v8, s24 src0_sel:BYTE_0 src1_sel:DWORD
	v_mov_b32_e32 v49, 0x8000
	s_and_saveexec_b64 s[16:17], s[0:1]
	s_cbranch_execz .LBB252_597
; %bb.594:                              ;   in Loop: Header=BB252_318 Depth=1
	v_and_b32_e32 v50, 0x7f, v8
	v_cmp_ne_u32_e64 s[0:1], s25, v50
	v_mov_b32_e32 v49, 0x7c01
	s_and_saveexec_b64 s[18:19], s[0:1]
	s_cbranch_execz .LBB252_596
; %bb.595:                              ;   in Loop: Header=BB252_318 Depth=1
	v_and_b32_e32 v0, 7, v8
	v_ffbh_u32_e32 v51, v0
	v_min_u32_e32 v53, 32, v51
	v_subrev_u32_e32 v51, 28, v53
	v_lshlrev_b64 v[51:52], v51, v[1:2]
	v_lshrrev_b32_e32 v49, 3, v50
	v_sub_u32_e32 v52, 29, v53
	v_cmp_gt_u32_e64 s[0:1], 8, v50
	v_cndmask_b32_e64 v49, v49, v52, s[0:1]
	v_lshl_add_u32 v49, v49, 10, v23
	v_lshlrev_b32_e32 v50, 8, v8
	v_and_b32_e32 v51, 7, v51
	v_and_b32_e32 v49, 0xfc00, v49
	v_cndmask_b32_e64 v0, v0, v51, s[0:1]
	v_and_or_b32 v49, v50, s26, v49
	v_lshl_or_b32 v49, v0, 7, v49
.LBB252_596:                            ;   in Loop: Header=BB252_318 Depth=1
	s_or_b64 exec, exec, s[18:19]
.LBB252_597:                            ;   in Loop: Header=BB252_318 Depth=1
	s_or_b64 exec, exec, s[16:17]
.LBB252_598:                            ;   in Loop: Header=BB252_318 Depth=1
	s_or_b64 exec, exec, s[12:13]
	v_lshrrev_b16_e32 v1, 8, v1
	v_cmp_ne_u16_e64 s[0:1], 0, v1
	v_mov_b32_e32 v50, 0
	s_and_saveexec_b64 s[12:13], s[0:1]
	s_cbranch_execz .LBB252_604
; %bb.599:                              ;   in Loop: Header=BB252_318 Depth=1
	v_cmp_ne_u16_e64 s[0:1], s24, v1
	v_bfrev_b32_e32 v50, 1
	s_and_saveexec_b64 s[16:17], s[0:1]
	s_cbranch_execz .LBB252_603
; %bb.600:                              ;   in Loop: Header=BB252_318 Depth=1
	v_and_b32_e32 v51, 0x7f, v1
	v_cmp_ne_u32_e64 s[0:1], s25, v51
	v_mov_b32_e32 v50, 0x7c010000
	s_and_saveexec_b64 s[18:19], s[0:1]
	s_cbranch_execz .LBB252_602
; %bb.601:                              ;   in Loop: Header=BB252_318 Depth=1
	v_and_b32_e32 v0, 7, v1
	v_ffbh_u32_e32 v52, v0
	v_min_u32_e32 v54, 32, v52
	v_subrev_u32_e32 v52, 28, v54
	v_lshlrev_b64 v[52:53], v52, v[1:2]
	v_lshrrev_b32_e32 v50, 3, v51
	v_sub_u32_e32 v53, 29, v54
	v_cmp_gt_u32_e64 s[0:1], 8, v51
	v_cndmask_b32_e64 v50, v50, v53, s[0:1]
	v_lshlrev_b32_e32 v1, 8, v1
	v_lshl_add_u32 v50, v50, 10, v23
	v_and_b32_e32 v51, 7, v52
	v_and_or_b32 v1, v1, s26, v50
	v_cndmask_b32_e64 v0, v0, v51, s[0:1]
	v_lshlrev_b32_e32 v1, 16, v1
	v_lshl_or_b32 v50, v0, 23, v1
.LBB252_602:                            ;   in Loop: Header=BB252_318 Depth=1
	s_or_b64 exec, exec, s[18:19]
.LBB252_603:                            ;   in Loop: Header=BB252_318 Depth=1
	s_or_b64 exec, exec, s[16:17]
.LBB252_604:                            ;   in Loop: Header=BB252_318 Depth=1
	s_or_b64 exec, exec, s[12:13]
	v_lshrrev_b32_e32 v1, 16, v8
	v_cmp_ne_u16_sdwa s[0:1], v1, v2 src0_sel:BYTE_0 src1_sel:DWORD
	s_and_saveexec_b64 s[12:13], s[0:1]
	s_cbranch_execz .LBB252_610
; %bb.605:                              ;   in Loop: Header=BB252_318 Depth=1
	v_cmp_ne_u16_sdwa s[0:1], v1, s24 src0_sel:BYTE_0 src1_sel:DWORD
	v_mov_b32_e32 v48, 0x8000
	s_and_saveexec_b64 s[16:17], s[0:1]
	s_cbranch_execz .LBB252_609
; %bb.606:                              ;   in Loop: Header=BB252_318 Depth=1
	v_bfe_u32 v51, v8, 16, 7
	v_cmp_ne_u32_e64 s[0:1], s25, v51
	v_mov_b32_e32 v48, 0x7c01
	s_and_saveexec_b64 s[18:19], s[0:1]
	s_cbranch_execz .LBB252_608
; %bb.607:                              ;   in Loop: Header=BB252_318 Depth=1
	v_and_b32_e32 v0, 7, v1
	v_ffbh_u32_e32 v52, v0
	v_min_u32_e32 v54, 32, v52
	v_subrev_u32_e32 v52, 28, v54
	v_lshlrev_b64 v[52:53], v52, v[1:2]
	v_lshrrev_b32_e32 v48, 3, v51
	v_sub_u32_e32 v53, 29, v54
	v_cmp_gt_u32_e64 s[0:1], 8, v51
	v_cndmask_b32_e64 v48, v48, v53, s[0:1]
	v_lshl_add_u32 v48, v48, 10, v23
	v_lshlrev_b32_e32 v1, 8, v1
	v_and_b32_e32 v51, 7, v52
	v_and_b32_e32 v48, 0xfc00, v48
	v_cndmask_b32_e64 v0, v0, v51, s[0:1]
	v_and_or_b32 v1, v1, s26, v48
	v_lshl_or_b32 v48, v0, 7, v1
.LBB252_608:                            ;   in Loop: Header=BB252_318 Depth=1
	s_or_b64 exec, exec, s[18:19]
.LBB252_609:                            ;   in Loop: Header=BB252_318 Depth=1
	s_or_b64 exec, exec, s[16:17]
.LBB252_610:                            ;   in Loop: Header=BB252_318 Depth=1
	s_or_b64 exec, exec, s[12:13]
	v_cmp_lt_u64_e64 s[0:1], s[4:5], v[7:8]
	v_mov_b32_e32 v51, 0
	s_and_saveexec_b64 s[12:13], s[0:1]
	s_cbranch_execz .LBB252_616
; %bb.611:                              ;   in Loop: Header=BB252_318 Depth=1
	v_lshrrev_b32_e32 v1, 24, v8
	v_cmp_ne_u32_e64 s[0:1], s24, v1
	v_bfrev_b32_e32 v51, 1
	s_and_saveexec_b64 s[16:17], s[0:1]
	s_cbranch_execz .LBB252_615
; %bb.612:                              ;   in Loop: Header=BB252_318 Depth=1
	v_and_b32_e32 v7, 0x7f, v1
	v_cmp_ne_u32_e64 s[0:1], s25, v7
	v_mov_b32_e32 v51, 0x7c010000
	s_and_saveexec_b64 s[18:19], s[0:1]
	s_cbranch_execz .LBB252_614
; %bb.613:                              ;   in Loop: Header=BB252_318 Depth=1
	v_and_b32_e32 v0, 7, v1
	v_ffbh_u32_e32 v51, v0
	v_min_u32_e32 v53, 32, v51
	v_subrev_u32_e32 v51, 28, v53
	v_lshlrev_b64 v[51:52], v51, v[1:2]
	v_lshrrev_b32_e32 v8, 3, v7
	v_sub_u32_e32 v52, 29, v53
	v_cmp_gt_u32_e64 s[0:1], 8, v7
	v_cndmask_b32_e64 v7, v8, v52, s[0:1]
	v_lshlrev_b32_e32 v1, 8, v1
	v_lshl_add_u32 v7, v7, 10, v23
	v_and_b32_e32 v8, 7, v51
	v_and_or_b32 v1, v1, s26, v7
	v_cndmask_b32_e64 v0, v0, v8, s[0:1]
	v_lshlrev_b32_e32 v1, 16, v1
	v_lshl_or_b32 v51, v0, 23, v1
.LBB252_614:                            ;   in Loop: Header=BB252_318 Depth=1
	s_or_b64 exec, exec, s[18:19]
.LBB252_615:                            ;   in Loop: Header=BB252_318 Depth=1
	s_or_b64 exec, exec, s[16:17]
.LBB252_616:                            ;   in Loop: Header=BB252_318 Depth=1
	s_or_b64 exec, exec, s[12:13]
	v_or_b32_e32 v0, v46, v47
	s_waitcnt vmcnt(0)
	v_fma_mixlo_f16 v0, v43, v0, 0 op_sel_hi:[0,1,0]
	v_and_b32_e32 v47, 0xffff, v0
	v_or_b32_e32 v0, v44, v45
	v_fma_mixlo_f16 v0, v43, v0, 0 op_sel_hi:[0,1,0]
	v_and_b32_e32 v53, 0xffff, v0
	v_or_b32_e32 v0, v50, v49
	v_fma_mixlo_f16 v0, v43, v0, 0 op_sel_hi:[0,1,0]
	v_and_b32_e32 v49, 0xffff, v0
	v_or_b32_e32 v0, v51, v48
	v_fma_mixlo_f16 v1, v43, v46, 0 op_sel:[0,1,0] op_sel_hi:[0,1,0]
	v_fma_mixlo_f16 v7, v43, v44, 0 op_sel:[0,1,0] op_sel_hi:[0,1,0]
	;; [unrolled: 1-line block ×3, first 2 shown]
	v_fma_mixlo_f16 v0, v43, v0, 0 op_sel_hi:[0,1,0]
	v_fma_mixlo_f16 v43, v43, v51, 0 op_sel:[0,1,0] op_sel_hi:[0,1,0]
	v_lshlrev_b32_e32 v46, 16, v1
	v_lshlrev_b32_e32 v52, 16, v7
	;; [unrolled: 1-line block ×4, first 2 shown]
	v_and_b32_e32 v48, 0xffff, v0
	v_or_b32_e32 v1, v46, v47
	v_or_b32_e32 v7, v52, v53
	;; [unrolled: 1-line block ×4, first 2 shown]
	s_and_saveexec_b64 s[0:1], vcc
	s_cbranch_execz .LBB252_317
; %bb.617:                              ;   in Loop: Header=BB252_318 Depth=1
	v_cmp_gt_i32_e32 vcc, s30, v24
	v_cndmask_b32_e32 v0, 0, v53, vcc
	v_cmp_gt_i32_e32 vcc, s30, v30
	v_cndmask_b32_e32 v1, 0, v52, vcc
	v_cmp_gt_i32_e32 vcc, s30, v29
	v_or_b32_e32 v7, v1, v0
	v_cndmask_b32_e32 v0, 0, v47, vcc
	v_cmp_gt_i32_e32 vcc, s30, v28
	v_cndmask_b32_e32 v1, 0, v46, vcc
	v_cmp_gt_i32_e32 vcc, s30, v27
	v_or_b32_e32 v1, v1, v0
	;; [unrolled: 5-line block ×3, first 2 shown]
	v_cndmask_b32_e32 v0, 0, v48, vcc
	v_cmp_gt_i32_e32 vcc, s30, v21
	v_cndmask_b32_e32 v24, 0, v45, vcc
	v_or_b32_e32 v43, v24, v0
	s_branch .LBB252_317
.LBB252_618:
	s_or_b64 exec, exec, s[6:7]
.LBB252_619:
	s_or_b64 exec, exec, s[2:3]
	s_barrier
	buffer_load_dword v8, off, s[48:51], 0 offset:12 ; 4-byte Folded Reload
	ds_bpermute_b32 v0, v13, v20
	ds_bpermute_b32 v2, v13, v18
	;; [unrolled: 1-line block ×5, first 2 shown]
	s_waitcnt lgkmcnt(4)
	v_add_f32_e32 v5, v20, v0
	ds_bpermute_b32 v0, v13, v15
	s_waitcnt lgkmcnt(4)
	v_add_f32_e32 v4, v18, v2
	s_waitcnt lgkmcnt(3)
	v_add_f32_e32 v2, v16, v7
	s_waitcnt lgkmcnt(2)
	v_add_f32_e32 v6, v19, v1
	s_waitcnt lgkmcnt(1)
	v_add_f32_e32 v3, v17, v3
	s_waitcnt lgkmcnt(0)
	v_add_f32_e32 v1, v15, v0
	s_waitcnt vmcnt(0)
	v_and_b32_e32 v7, 0x3c1, v8
	v_cmp_eq_u32_e32 vcc, 64, v7
	s_and_saveexec_b64 s[0:1], vcc
	s_cbranch_execz .LBB252_621
; %bb.620:
	v_mov_b32_e32 v0, 0x190
	v_lshl_add_u32 v0, v12, 1, v0
	ds_write2_b32 v0, v5, v6 offset1:32
	ds_write2_b32 v0, v4, v3 offset0:64 offset1:96
	ds_write2_b32 v0, v2, v1 offset0:128 offset1:160
.LBB252_621:
	s_or_b64 exec, exec, s[0:1]
	v_cmp_gt_u32_e32 vcc, 64, v8
	v_lshrrev_b32_e32 v0, 1, v8
	s_waitcnt lgkmcnt(0)
	s_barrier
	s_and_saveexec_b64 s[0:1], vcc
	s_cbranch_execz .LBB252_630
; %bb.622:
	v_mov_b32_e32 v8, 0x190
	v_cmp_eq_u32_e32 vcc, 0, v14
	v_lshl_add_u32 v8, v0, 2, v8
	s_and_saveexec_b64 s[2:3], vcc
	s_cbranch_execnz .LBB252_633
; %bb.623:
	s_or_b64 exec, exec, s[2:3]
	s_and_saveexec_b64 s[2:3], vcc
	s_cbranch_execnz .LBB252_634
.LBB252_624:
	s_or_b64 exec, exec, s[2:3]
	s_and_saveexec_b64 s[2:3], vcc
	s_cbranch_execnz .LBB252_635
.LBB252_625:
	s_or_b64 exec, exec, s[2:3]
	s_and_saveexec_b64 s[2:3], vcc
	s_cbranch_execnz .LBB252_636
.LBB252_626:
	s_or_b64 exec, exec, s[2:3]
	s_and_saveexec_b64 s[2:3], vcc
	s_cbranch_execnz .LBB252_637
.LBB252_627:
	s_or_b64 exec, exec, s[2:3]
	s_and_saveexec_b64 s[2:3], vcc
	s_cbranch_execz .LBB252_629
.LBB252_628:
	ds_read_b32 v8, v8 offset:640
	s_waitcnt lgkmcnt(0)
	v_add_f32_e32 v1, v1, v8
.LBB252_629:
	s_or_b64 exec, exec, s[2:3]
.LBB252_630:
	s_or_b64 exec, exec, s[0:1]
	v_cmp_eq_u32_e32 vcc, 0, v7
	s_barrier
	s_and_saveexec_b64 s[0:1], vcc
	s_cbranch_execz .LBB252_632
; %bb.631:
	s_mul_i32 s0, s10, s11
	s_mul_i32 s0, s0, s9
	s_mulk_i32 s0, 0xc0
	s_ashr_i32 s1, s0, 31
	s_lshl_b64 s[0:1], s[0:1], 1
	s_add_u32 s2, s22, s0
	s_mul_i32 s0, s11, s20
	s_addc_u32 s3, s23, s1
	s_ashr_i32 s1, s0, 31
	s_lshl_b64 s[0:1], s[0:1], 1
	s_add_u32 s2, s2, s0
	s_mul_i32 s0, s8, 0xc0
	s_addc_u32 s3, s3, s1
	s_ashr_i32 s1, s0, 31
	s_lshl_b64 s[0:1], s[0:1], 1
	s_add_u32 s0, s2, s0
	s_addc_u32 s1, s3, s1
	v_lshlrev_b32_e32 v0, 1, v0
	;;#ASMSTART
	v_cvt_f16_f32 v5, v5;

	;;#ASMEND
	global_store_short v0, v5, s[0:1]
	;;#ASMSTART
	v_cvt_f16_f32 v5, v6;

	;;#ASMEND
	global_store_short v0, v5, s[0:1] offset:64
	;;#ASMSTART
	v_cvt_f16_f32 v4, v4;

	;;#ASMEND
	global_store_short v0, v4, s[0:1] offset:128
	;;#ASMSTART
	v_cvt_f16_f32 v3, v3;

	;;#ASMEND
	global_store_short v0, v3, s[0:1] offset:192
	;;#ASMSTART
	v_cvt_f16_f32 v2, v2;

	;;#ASMEND
	global_store_short v0, v2, s[0:1] offset:256
	;;#ASMSTART
	v_cvt_f16_f32 v1, v1;

	;;#ASMEND
	global_store_short v0, v1, s[0:1] offset:320
.LBB252_632:
	s_endpgm
.LBB252_633:
	ds_read_b32 v9, v8
	s_waitcnt lgkmcnt(0)
	v_add_f32_e32 v5, v5, v9
	s_or_b64 exec, exec, s[2:3]
	s_and_saveexec_b64 s[2:3], vcc
	s_cbranch_execz .LBB252_624
.LBB252_634:
	ds_read_b32 v9, v8 offset:128
	s_waitcnt lgkmcnt(0)
	v_add_f32_e32 v6, v6, v9
	s_or_b64 exec, exec, s[2:3]
	s_and_saveexec_b64 s[2:3], vcc
	s_cbranch_execz .LBB252_625
.LBB252_635:
	ds_read_b32 v9, v8 offset:256
	s_waitcnt lgkmcnt(0)
	v_add_f32_e32 v4, v4, v9
	s_or_b64 exec, exec, s[2:3]
	s_and_saveexec_b64 s[2:3], vcc
	s_cbranch_execz .LBB252_626
.LBB252_636:
	ds_read_b32 v9, v8 offset:384
	s_waitcnt lgkmcnt(0)
	v_add_f32_e32 v3, v3, v9
	s_or_b64 exec, exec, s[2:3]
	s_and_saveexec_b64 s[2:3], vcc
	s_cbranch_execz .LBB252_627
.LBB252_637:
	ds_read_b32 v9, v8 offset:512
	s_waitcnt lgkmcnt(0)
	v_add_f32_e32 v2, v2, v9
	s_or_b64 exec, exec, s[2:3]
	s_and_saveexec_b64 s[2:3], vcc
	s_cbranch_execnz .LBB252_628
	s_branch .LBB252_629
	.section	.rodata,"a",@progbits
	.p2align	6, 0x0
	.amdhsa_kernel _ZN4vllm25paged_attention_v1_kernelIthLi192ELi16ELi128ELNS_18Fp8KVCacheDataTypeE1ELb0EEEvPT_PKS2_PKT0_S8_ifPKiSA_iPKfiiiSC_SC_iiiii
		.amdhsa_group_segment_fixed_size 400
		.amdhsa_private_segment_fixed_size 24
		.amdhsa_kernarg_size 384
		.amdhsa_user_sgpr_count 6
		.amdhsa_user_sgpr_private_segment_buffer 1
		.amdhsa_user_sgpr_dispatch_ptr 0
		.amdhsa_user_sgpr_queue_ptr 0
		.amdhsa_user_sgpr_kernarg_segment_ptr 1
		.amdhsa_user_sgpr_dispatch_id 0
		.amdhsa_user_sgpr_flat_scratch_init 0
		.amdhsa_user_sgpr_private_segment_size 0
		.amdhsa_uses_dynamic_stack 0
		.amdhsa_system_sgpr_private_segment_wavefront_offset 1
		.amdhsa_system_sgpr_workgroup_id_x 1
		.amdhsa_system_sgpr_workgroup_id_y 1
		.amdhsa_system_sgpr_workgroup_id_z 1
		.amdhsa_system_sgpr_workgroup_info 0
		.amdhsa_system_vgpr_workitem_id 0
		.amdhsa_next_free_vgpr 64
		.amdhsa_next_free_sgpr 52
		.amdhsa_reserve_vcc 1
		.amdhsa_reserve_flat_scratch 0
		.amdhsa_float_round_mode_32 0
		.amdhsa_float_round_mode_16_64 0
		.amdhsa_float_denorm_mode_32 3
		.amdhsa_float_denorm_mode_16_64 3
		.amdhsa_dx10_clamp 1
		.amdhsa_ieee_mode 1
		.amdhsa_fp16_overflow 0
		.amdhsa_exception_fp_ieee_invalid_op 0
		.amdhsa_exception_fp_denorm_src 0
		.amdhsa_exception_fp_ieee_div_zero 0
		.amdhsa_exception_fp_ieee_overflow 0
		.amdhsa_exception_fp_ieee_underflow 0
		.amdhsa_exception_fp_ieee_inexact 0
		.amdhsa_exception_int_div_zero 0
	.end_amdhsa_kernel
	.section	.text._ZN4vllm25paged_attention_v1_kernelIthLi192ELi16ELi128ELNS_18Fp8KVCacheDataTypeE1ELb0EEEvPT_PKS2_PKT0_S8_ifPKiSA_iPKfiiiSC_SC_iiiii,"axG",@progbits,_ZN4vllm25paged_attention_v1_kernelIthLi192ELi16ELi128ELNS_18Fp8KVCacheDataTypeE1ELb0EEEvPT_PKS2_PKT0_S8_ifPKiSA_iPKfiiiSC_SC_iiiii,comdat
.Lfunc_end252:
	.size	_ZN4vllm25paged_attention_v1_kernelIthLi192ELi16ELi128ELNS_18Fp8KVCacheDataTypeE1ELb0EEEvPT_PKS2_PKT0_S8_ifPKiSA_iPKfiiiSC_SC_iiiii, .Lfunc_end252-_ZN4vllm25paged_attention_v1_kernelIthLi192ELi16ELi128ELNS_18Fp8KVCacheDataTypeE1ELb0EEEvPT_PKS2_PKT0_S8_ifPKiSA_iPKfiiiSC_SC_iiiii
                                        ; -- End function
	.set _ZN4vllm25paged_attention_v1_kernelIthLi192ELi16ELi128ELNS_18Fp8KVCacheDataTypeE1ELb0EEEvPT_PKS2_PKT0_S8_ifPKiSA_iPKfiiiSC_SC_iiiii.num_vgpr, 64
	.set _ZN4vllm25paged_attention_v1_kernelIthLi192ELi16ELi128ELNS_18Fp8KVCacheDataTypeE1ELb0EEEvPT_PKS2_PKT0_S8_ifPKiSA_iPKfiiiSC_SC_iiiii.num_agpr, 0
	.set _ZN4vllm25paged_attention_v1_kernelIthLi192ELi16ELi128ELNS_18Fp8KVCacheDataTypeE1ELb0EEEvPT_PKS2_PKT0_S8_ifPKiSA_iPKfiiiSC_SC_iiiii.numbered_sgpr, 52
	.set _ZN4vllm25paged_attention_v1_kernelIthLi192ELi16ELi128ELNS_18Fp8KVCacheDataTypeE1ELb0EEEvPT_PKS2_PKT0_S8_ifPKiSA_iPKfiiiSC_SC_iiiii.num_named_barrier, 0
	.set _ZN4vllm25paged_attention_v1_kernelIthLi192ELi16ELi128ELNS_18Fp8KVCacheDataTypeE1ELb0EEEvPT_PKS2_PKT0_S8_ifPKiSA_iPKfiiiSC_SC_iiiii.private_seg_size, 24
	.set _ZN4vllm25paged_attention_v1_kernelIthLi192ELi16ELi128ELNS_18Fp8KVCacheDataTypeE1ELb0EEEvPT_PKS2_PKT0_S8_ifPKiSA_iPKfiiiSC_SC_iiiii.uses_vcc, 1
	.set _ZN4vllm25paged_attention_v1_kernelIthLi192ELi16ELi128ELNS_18Fp8KVCacheDataTypeE1ELb0EEEvPT_PKS2_PKT0_S8_ifPKiSA_iPKfiiiSC_SC_iiiii.uses_flat_scratch, 0
	.set _ZN4vllm25paged_attention_v1_kernelIthLi192ELi16ELi128ELNS_18Fp8KVCacheDataTypeE1ELb0EEEvPT_PKS2_PKT0_S8_ifPKiSA_iPKfiiiSC_SC_iiiii.has_dyn_sized_stack, 0
	.set _ZN4vllm25paged_attention_v1_kernelIthLi192ELi16ELi128ELNS_18Fp8KVCacheDataTypeE1ELb0EEEvPT_PKS2_PKT0_S8_ifPKiSA_iPKfiiiSC_SC_iiiii.has_recursion, 0
	.set _ZN4vllm25paged_attention_v1_kernelIthLi192ELi16ELi128ELNS_18Fp8KVCacheDataTypeE1ELb0EEEvPT_PKS2_PKT0_S8_ifPKiSA_iPKfiiiSC_SC_iiiii.has_indirect_call, 0
	.section	.AMDGPU.csdata,"",@progbits
; Kernel info:
; codeLenInByte = 26260
; TotalNumSgprs: 56
; NumVgprs: 64
; ScratchSize: 24
; MemoryBound: 0
; FloatMode: 240
; IeeeMode: 1
; LDSByteSize: 400 bytes/workgroup (compile time only)
; SGPRBlocks: 6
; VGPRBlocks: 15
; NumSGPRsForWavesPerEU: 56
; NumVGPRsForWavesPerEU: 64
; Occupancy: 4
; WaveLimiterHint : 1
; COMPUTE_PGM_RSRC2:SCRATCH_EN: 1
; COMPUTE_PGM_RSRC2:USER_SGPR: 6
; COMPUTE_PGM_RSRC2:TRAP_HANDLER: 0
; COMPUTE_PGM_RSRC2:TGID_X_EN: 1
; COMPUTE_PGM_RSRC2:TGID_Y_EN: 1
; COMPUTE_PGM_RSRC2:TGID_Z_EN: 1
; COMPUTE_PGM_RSRC2:TIDIG_COMP_CNT: 0
	.section	.text._ZN4vllm25paged_attention_v1_kernelIthLi256ELi16ELi128ELNS_18Fp8KVCacheDataTypeE1ELb0EEEvPT_PKS2_PKT0_S8_ifPKiSA_iPKfiiiSC_SC_iiiii,"axG",@progbits,_ZN4vllm25paged_attention_v1_kernelIthLi256ELi16ELi128ELNS_18Fp8KVCacheDataTypeE1ELb0EEEvPT_PKS2_PKT0_S8_ifPKiSA_iPKfiiiSC_SC_iiiii,comdat
	.protected	_ZN4vllm25paged_attention_v1_kernelIthLi256ELi16ELi128ELNS_18Fp8KVCacheDataTypeE1ELb0EEEvPT_PKS2_PKT0_S8_ifPKiSA_iPKfiiiSC_SC_iiiii ; -- Begin function _ZN4vllm25paged_attention_v1_kernelIthLi256ELi16ELi128ELNS_18Fp8KVCacheDataTypeE1ELb0EEEvPT_PKS2_PKT0_S8_ifPKiSA_iPKfiiiSC_SC_iiiii
	.globl	_ZN4vllm25paged_attention_v1_kernelIthLi256ELi16ELi128ELNS_18Fp8KVCacheDataTypeE1ELb0EEEvPT_PKS2_PKT0_S8_ifPKiSA_iPKfiiiSC_SC_iiiii
	.p2align	8
	.type	_ZN4vllm25paged_attention_v1_kernelIthLi256ELi16ELi128ELNS_18Fp8KVCacheDataTypeE1ELb0EEEvPT_PKS2_PKT0_S8_ifPKiSA_iPKfiiiSC_SC_iiiii,@function
_ZN4vllm25paged_attention_v1_kernelIthLi256ELi16ELi128ELNS_18Fp8KVCacheDataTypeE1ELb0EEEvPT_PKS2_PKT0_S8_ifPKiSA_iPKfiiiSC_SC_iiiii: ; @_ZN4vllm25paged_attention_v1_kernelIthLi256ELi16ELi128ELNS_18Fp8KVCacheDataTypeE1ELb0EEEvPT_PKS2_PKT0_S8_ifPKiSA_iPKfiiiSC_SC_iiiii
; %bb.0:
	s_mov_b64 s[50:51], s[2:3]
	s_mov_b64 s[48:49], s[0:1]
	s_add_u32 s48, s48, s9
	s_load_dword s9, s[4:5], 0x80
	s_load_dwordx2 s[0:1], s[4:5], 0x30
	s_load_dwordx2 s[30:31], s[4:5], 0x20
	s_addc_u32 s49, s49, 0
	s_mov_b32 s10, s7
	s_ashr_i32 s11, s7, 31
	s_lshl_b64 s[2:3], s[10:11], 2
	s_waitcnt lgkmcnt(0)
	s_add_u32 s0, s0, s2
	s_addc_u32 s1, s1, s3
	s_abs_i32 s2, s30
	v_mov_b32_e32 v9, v0
	v_cvt_f32_u32_e32 v0, s2
	s_sub_i32 s11, 0, s2
	s_abs_i32 s7, s9
	s_xor_b32 s3, s9, s30
	v_rcp_iflag_f32_e32 v0, v0
	s_ashr_i32 s3, s3, 31
	s_mov_b32 s33, 0
	v_mul_f32_e32 v0, 0x4f7ffffe, v0
	v_cvt_u32_f32_e32 v0, v0
	v_readfirstlane_b32 s12, v0
	s_mul_i32 s11, s11, s12
	s_mul_hi_u32 s11, s12, s11
	s_add_i32 s12, s12, s11
	s_mul_hi_u32 s11, s7, s12
	s_mul_i32 s12, s11, s2
	s_sub_i32 s7, s7, s12
	s_add_i32 s12, s11, 1
	s_sub_i32 s13, s7, s2
	s_cmp_ge_u32 s7, s2
	s_cselect_b32 s11, s12, s11
	s_cselect_b32 s7, s13, s7
	s_add_i32 s12, s11, 1
	s_cmp_ge_u32 s7, s2
	s_cselect_b32 s2, s12, s11
	s_xor_b32 s2, s2, s3
	s_sub_i32 s14, s2, s3
	s_abs_i32 s11, s14
	v_cvt_f32_u32_e32 v0, s11
	s_load_dwordx2 s[2:3], s[4:5], 0x40
	s_sub_i32 s7, 0, s11
	s_abs_i32 s12, s6
	v_rcp_iflag_f32_e32 v0, v0
	v_mul_f32_e32 v0, 0x4f7ffffe, v0
	v_cvt_u32_f32_e32 v0, v0
	v_readfirstlane_b32 s13, v0
	s_mul_i32 s7, s7, s13
	s_mul_hi_u32 s7, s13, s7
	s_add_i32 s13, s13, s7
	s_waitcnt lgkmcnt(0)
	s_cmp_eq_u64 s[2:3], 0
	s_mul_hi_u32 s13, s12, s13
	s_cbranch_scc1 .LBB253_2
; %bb.1:
	s_ashr_i32 s7, s6, 31
	s_lshl_b64 s[16:17], s[6:7], 2
	s_add_u32 s2, s2, s16
	s_addc_u32 s3, s3, s17
	s_load_dword s33, s[2:3], 0x0
.LBB253_2:
	s_load_dword s30, s[0:1], 0x0
	s_load_dwordx4 s[16:19], s[4:5], 0x48
	s_movk_i32 s0, 0x80
	s_ashr_i32 s2, s6, 31
	s_ashr_i32 s3, s14, 31
	v_and_b32_e32 v3, 3, v9
	s_lshl_b32 s20, s6, 8
	v_cmp_gt_u32_e32 vcc, s0, v9
	s_and_saveexec_b64 s[0:1], vcc
	s_cbranch_execz .LBB253_4
; %bb.3:
	s_load_dwordx2 s[6:7], s[4:5], 0x8
	s_waitcnt lgkmcnt(0)
	s_mul_i32 s14, s16, s10
	s_ashr_i32 s15, s14, 31
	s_lshl_b64 s[14:15], s[14:15], 1
	v_lshlrev_b32_e32 v0, 2, v9
	s_add_u32 s14, s6, s14
	s_addc_u32 s15, s7, s15
	s_ashr_i32 s21, s20, 31
	s_lshl_b64 s[6:7], s[20:21], 1
	s_add_u32 s6, s14, s6
	s_addc_u32 s7, s15, s7
	global_load_dword v0, v0, s[6:7]
	v_and_b32_e32 v1, 0x3fc, v9
	v_lshl_add_u32 v1, v3, 7, v1
	s_waitcnt vmcnt(0)
	ds_write_b32 v1, v0
.LBB253_4:
	s_or_b64 exec, exec, s[0:1]
	s_waitcnt lgkmcnt(0)
	s_add_i32 s1, s30, 15
	s_ashr_i32 s6, s1, 31
	s_lshr_b32 s6, s6, 28
	s_add_i32 s1, s1, s6
	s_ashr_i32 s21, s1, 4
	s_xor_b32 s1, s2, s3
	s_mul_i32 s2, s13, s11
	s_sub_i32 s2, s12, s2
	s_add_i32 s3, s13, 1
	s_sub_i32 s6, s2, s11
	s_load_dwordx2 s[24:25], s[4:5], 0x28
	s_load_dword s0, s[4:5], 0x38
	s_cmp_ge_u32 s2, s11
	s_cselect_b32 s3, s3, s13
	s_cselect_b32 s2, s6, s2
	s_add_i32 s6, s3, 1
	s_cmp_ge_u32 s2, s11
	s_cselect_b32 s2, s6, s3
	v_lshrrev_b32_e32 v0, 6, v9
	s_xor_b32 s2, s2, s1
	s_waitcnt lgkmcnt(0)
	s_mul_i32 s26, s0, s10
	s_sub_i32 s16, s2, s1
	s_barrier
	s_ashr_i32 s27, s26, 31
	v_cmp_gt_i32_e64 s[0:1], s21, v0
	buffer_store_dword v0, off, s[48:51], 0 ; 4-byte Folded Spill
	v_cmp_le_i32_e32 vcc, s21, v0
	v_mbcnt_lo_u32_b32 v4, -1, 0
                                        ; implicit-def: $vgpr0
                                        ; kill: killed $vgpr0
                                        ; implicit-def: $vgpr1
                                        ; implicit-def: $vgpr0
	s_and_saveexec_b64 s[2:3], vcc
	s_xor_b64 s[2:3], exec, s[2:3]
	s_cbranch_execz .LBB253_6
; %bb.5:
	v_mbcnt_hi_u32_b32 v0, -1, v4
	v_and_b32_e32 v1, 64, v0
	buffer_store_dword v0, off, s[48:51], 0 offset:96 ; 4-byte Folded Spill
	v_add_u32_e32 v0, 64, v1
                                        ; implicit-def: $vgpr3
                                        ; implicit-def: $vgpr4
.LBB253_6:
	s_or_saveexec_b64 s[6:7], s[2:3]
	s_load_dwordx2 s[22:23], s[4:5], 0x0
	s_load_dwordx2 s[28:29], s[4:5], 0x18
	s_load_dword s11, s[4:5], 0x88
	s_load_dwordx4 s[12:15], s[4:5], 0x58
	v_mov_b32_e32 v5, 0xff7fffff
	s_mul_i32 s16, s16, s18
	v_lshrrev_b32_e32 v25, 4, v9
	buffer_store_dword v9, off, s[48:51], 0 offset:112 ; 4-byte Folded Spill
	s_xor_b64 exec, exec, s[6:7]
	s_cbranch_execz .LBB253_396
; %bb.7:
	s_load_dwordx2 s[2:3], s[4:5], 0x10
	s_ashr_i32 s4, s16, 31
	v_bfe_u32 v0, v9, 2, 4
	v_lshlrev_b32_e32 v1, 4, v0
	v_lshlrev_b32_e32 v6, 1, v3
	s_waitcnt lgkmcnt(0)
	s_add_u32 s2, s2, s16
	s_addc_u32 s3, s3, s4
	v_mov_b32_e32 v5, s3
	v_add_co_u32_e32 v1, vcc, s2, v1
	v_addc_co_u32_e32 v5, vcc, 0, v5, vcc
	v_add_co_u32_e64 v6, s[4:5], v1, v6
	v_addc_co_u32_e64 v7, s[4:5], 0, v5, s[4:5]
	buffer_store_dword v6, off, s[48:51], 0 offset:104 ; 4-byte Folded Spill
	s_nop 0
	buffer_store_dword v7, off, s[48:51], 0 offset:108 ; 4-byte Folded Spill
	v_lshlrev_b32_e32 v13, 7, v3
	v_cmp_eq_u32_e32 vcc, 0, v3
	buffer_load_dword v3, off, s[48:51], 0  ; 4-byte Folded Reload
	s_sub_i32 s41, 1, s30
	s_lshl_b64 s[4:5], s[26:27], 2
	s_add_u32 s4, s24, s4
	s_addc_u32 s5, s25, s5
	s_mov_b32 s40, s17
	v_mov_b32_e32 v2, 0
	v_cmp_neq_f32_e64 s[2:3], s33, 0
	s_mov_b64 s[18:19], 0
	s_movk_i32 s42, 0x80
	s_movk_i32 s43, 0x7f
	s_mov_b32 s44, 0x8000
	s_waitcnt vmcnt(0)
	v_lshl_or_b32 v1, v3, 4, v0
	v_lshlrev_b32_e32 v0, 2, v0
	v_lshl_or_b32 v0, v3, 6, v0
	v_add_u32_e32 v0, 0x210, v0
	buffer_store_dword v1, off, s[48:51], 0 offset:48 ; 4-byte Folded Spill
	buffer_store_dword v0, off, s[48:51], 0 offset:52 ; 4-byte Folded Spill
	;; [unrolled: 1-line block ×3, first 2 shown]
	v_and_b32_e32 v0, 60, v25
	v_mov_b32_e32 v1, s5
	v_add_co_u32_e64 v54, s[4:5], s4, v0
	v_mov_b32_e32 v0, 0xff7fffff
	v_addc_co_u32_e64 v55, s[4:5], 0, v1, s[4:5]
	buffer_store_dword v0, off, s[48:51], 0 offset:100 ; 4-byte Folded Spill
	v_mbcnt_hi_u32_b32 v0, -1, v4
	v_mov_b32_e32 v8, v3
	buffer_store_dword v0, off, s[48:51], 0 offset:96 ; 4-byte Folded Spill
	s_branch .LBB253_9
.LBB253_8:                              ;   in Loop: Header=BB253_9 Depth=1
	s_or_b64 exec, exec, s[34:35]
	buffer_load_dword v3, off, s[48:51], 0 offset:48 ; 4-byte Folded Reload
	s_waitcnt vmcnt(1)
	v_add_u32_e32 v8, 2, v8
	v_cmp_le_i32_e64 s[4:5], s21, v8
	s_or_b64 s[18:19], s[4:5], s[18:19]
	v_add_co_u32_e64 v54, s[4:5], 8, v54
	v_addc_co_u32_e64 v55, s[4:5], 0, v55, s[4:5]
	s_waitcnt vmcnt(0)
	v_add_u32_e32 v3, 32, v3
	buffer_store_dword v3, off, s[48:51], 0 offset:48 ; 4-byte Folded Spill
	buffer_load_dword v3, off, s[48:51], 0 offset:52 ; 4-byte Folded Reload
	s_waitcnt vmcnt(0)
	v_add_u32_e32 v3, 0x80, v3
	buffer_store_dword v3, off, s[48:51], 0 offset:52 ; 4-byte Folded Spill
	s_andn2_b64 exec, exec, s[18:19]
	s_cbranch_execz .LBB253_395
.LBB253_9:                              ; =>This Inner Loop Header: Depth=1
	buffer_store_dword v8, off, s[48:51], 0 offset:56 ; 4-byte Folded Spill
	global_load_dword v0, v[54:55], off
	buffer_load_dword v3, off, s[48:51], 0 offset:104 ; 4-byte Folded Reload
	s_waitcnt lgkmcnt(0)
	buffer_load_dword v4, off, s[48:51], 0 offset:108 ; 4-byte Folded Reload
	v_mov_b32_e32 v60, 0
	s_waitcnt vmcnt(0)
	v_mad_i64_i32 v[7:8], s[4:5], v0, s40, v[3:4]
	global_load_ushort v0, v[7:8], off
	global_load_dword v18, v2, s[12:13]
	s_waitcnt vmcnt(1)
	v_and_b32_e32 v1, 0xffff, v0
	v_cmp_ne_u16_sdwa s[4:5], v0, v2 src0_sel:BYTE_0 src1_sel:DWORD
	s_and_saveexec_b64 s[34:35], s[4:5]
	s_cbranch_execz .LBB253_15
; %bb.10:                               ;   in Loop: Header=BB253_9 Depth=1
	v_cmp_ne_u16_sdwa s[4:5], v1, s42 src0_sel:BYTE_0 src1_sel:DWORD
	v_mov_b32_e32 v60, 0x8000
	s_and_saveexec_b64 s[36:37], s[4:5]
	s_cbranch_execz .LBB253_14
; %bb.11:                               ;   in Loop: Header=BB253_9 Depth=1
	v_and_b32_e32 v0, 0x7f, v1
	v_cmp_ne_u32_e64 s[4:5], s43, v0
	v_mov_b32_e32 v60, 0x7c01
	s_and_saveexec_b64 s[38:39], s[4:5]
	s_cbranch_execz .LBB253_13
; %bb.12:                               ;   in Loop: Header=BB253_9 Depth=1
	v_and_b32_e32 v5, 7, v1
	v_ffbh_u32_e32 v3, v5
	v_min_u32_e32 v9, 32, v3
	v_subrev_u32_e32 v3, 28, v9
	v_lshlrev_b64 v[3:4], v3, v[1:2]
	v_lshrrev_b32_e32 v6, 3, v0
	v_sub_u32_e32 v4, 29, v9
	v_cmp_gt_u32_e64 s[4:5], 8, v0
	v_cndmask_b32_e64 v0, v6, v4, s[4:5]
	v_mov_b32_e32 v6, 0x2000
	v_lshl_add_u32 v0, v0, 10, v6
	v_lshlrev_b32_e32 v4, 8, v1
	v_and_b32_e32 v3, 7, v3
	v_and_b32_e32 v0, 0xfc00, v0
	v_cndmask_b32_e64 v3, v5, v3, s[4:5]
	v_and_or_b32 v0, v4, s44, v0
	v_lshl_or_b32 v60, v3, 7, v0
.LBB253_13:                             ;   in Loop: Header=BB253_9 Depth=1
	s_or_b64 exec, exec, s[38:39]
.LBB253_14:                             ;   in Loop: Header=BB253_9 Depth=1
	s_or_b64 exec, exec, s[36:37]
.LBB253_15:                             ;   in Loop: Header=BB253_9 Depth=1
	s_or_b64 exec, exec, s[34:35]
	v_lshrrev_b16_e32 v1, 8, v1
	v_cmp_ne_u16_e64 s[4:5], 0, v1
	v_mov_b32_e32 v20, 0
	v_mov_b32_e32 v52, 0
	s_and_saveexec_b64 s[34:35], s[4:5]
	s_cbranch_execz .LBB253_21
; %bb.16:                               ;   in Loop: Header=BB253_9 Depth=1
	v_cmp_ne_u16_e64 s[4:5], s42, v1
	v_bfrev_b32_e32 v52, 1
	s_and_saveexec_b64 s[36:37], s[4:5]
	s_cbranch_execz .LBB253_20
; %bb.17:                               ;   in Loop: Header=BB253_9 Depth=1
	v_and_b32_e32 v0, 0x7f, v1
	v_cmp_ne_u32_e64 s[4:5], s43, v0
	v_mov_b32_e32 v52, 0x7c010000
	s_and_saveexec_b64 s[38:39], s[4:5]
	s_cbranch_execz .LBB253_19
; %bb.18:                               ;   in Loop: Header=BB253_9 Depth=1
	v_and_b32_e32 v5, 7, v1
	v_ffbh_u32_e32 v3, v5
	v_min_u32_e32 v9, 32, v3
	v_subrev_u32_e32 v3, 28, v9
	v_lshlrev_b64 v[3:4], v3, v[1:2]
	v_lshrrev_b32_e32 v6, 3, v0
	v_sub_u32_e32 v4, 29, v9
	v_cmp_gt_u32_e64 s[4:5], 8, v0
	v_cndmask_b32_e64 v0, v6, v4, s[4:5]
	v_mov_b32_e32 v4, 0x2000
	v_lshlrev_b32_e32 v1, 8, v1
	v_lshl_add_u32 v0, v0, 10, v4
	v_and_b32_e32 v3, 7, v3
	v_and_or_b32 v0, v1, s44, v0
	v_cndmask_b32_e64 v3, v5, v3, s[4:5]
	v_lshlrev_b32_e32 v0, 16, v0
	v_lshl_or_b32 v52, v3, 23, v0
.LBB253_19:                             ;   in Loop: Header=BB253_9 Depth=1
	s_or_b64 exec, exec, s[38:39]
.LBB253_20:                             ;   in Loop: Header=BB253_9 Depth=1
	s_or_b64 exec, exec, s[36:37]
.LBB253_21:                             ;   in Loop: Header=BB253_9 Depth=1
	s_or_b64 exec, exec, s[34:35]
	global_load_ushort v0, v[7:8], off offset:8
	s_waitcnt vmcnt(0)
	v_and_b32_e32 v1, 0xffff, v0
	v_cmp_ne_u16_sdwa s[4:5], v0, v2 src0_sel:BYTE_0 src1_sel:DWORD
	s_and_saveexec_b64 s[34:35], s[4:5]
	s_cbranch_execz .LBB253_27
; %bb.22:                               ;   in Loop: Header=BB253_9 Depth=1
	v_cmp_ne_u16_sdwa s[4:5], v1, s42 src0_sel:BYTE_0 src1_sel:DWORD
	v_mov_b32_e32 v20, 0x8000
	s_and_saveexec_b64 s[36:37], s[4:5]
	s_cbranch_execz .LBB253_26
; %bb.23:                               ;   in Loop: Header=BB253_9 Depth=1
	v_and_b32_e32 v0, 0x7f, v1
	v_cmp_ne_u32_e64 s[4:5], s43, v0
	v_mov_b32_e32 v20, 0x7c01
	s_and_saveexec_b64 s[38:39], s[4:5]
	s_cbranch_execz .LBB253_25
; %bb.24:                               ;   in Loop: Header=BB253_9 Depth=1
	v_and_b32_e32 v5, 7, v1
	v_ffbh_u32_e32 v3, v5
	v_min_u32_e32 v9, 32, v3
	v_subrev_u32_e32 v3, 28, v9
	v_lshlrev_b64 v[3:4], v3, v[1:2]
	v_lshrrev_b32_e32 v6, 3, v0
	v_sub_u32_e32 v4, 29, v9
	v_cmp_gt_u32_e64 s[4:5], 8, v0
	v_cndmask_b32_e64 v0, v6, v4, s[4:5]
	v_mov_b32_e32 v6, 0x2000
	v_lshl_add_u32 v0, v0, 10, v6
	v_lshlrev_b32_e32 v4, 8, v1
	v_and_b32_e32 v3, 7, v3
	v_and_b32_e32 v0, 0xfc00, v0
	v_cndmask_b32_e64 v3, v5, v3, s[4:5]
	v_and_or_b32 v0, v4, s44, v0
	v_lshl_or_b32 v20, v3, 7, v0
.LBB253_25:                             ;   in Loop: Header=BB253_9 Depth=1
	s_or_b64 exec, exec, s[38:39]
.LBB253_26:                             ;   in Loop: Header=BB253_9 Depth=1
	s_or_b64 exec, exec, s[36:37]
.LBB253_27:                             ;   in Loop: Header=BB253_9 Depth=1
	s_or_b64 exec, exec, s[34:35]
	v_lshrrev_b16_e32 v1, 8, v1
	v_cmp_ne_u16_e64 s[4:5], 0, v1
	v_mov_b32_e32 v51, 0
	v_mov_b32_e32 v62, 0
	s_and_saveexec_b64 s[34:35], s[4:5]
	s_cbranch_execz .LBB253_33
; %bb.28:                               ;   in Loop: Header=BB253_9 Depth=1
	v_cmp_ne_u16_e64 s[4:5], s42, v1
	v_bfrev_b32_e32 v62, 1
	s_and_saveexec_b64 s[36:37], s[4:5]
	s_cbranch_execz .LBB253_32
; %bb.29:                               ;   in Loop: Header=BB253_9 Depth=1
	v_and_b32_e32 v0, 0x7f, v1
	v_cmp_ne_u32_e64 s[4:5], s43, v0
	v_mov_b32_e32 v62, 0x7c010000
	s_and_saveexec_b64 s[38:39], s[4:5]
	s_cbranch_execz .LBB253_31
; %bb.30:                               ;   in Loop: Header=BB253_9 Depth=1
	v_and_b32_e32 v5, 7, v1
	v_ffbh_u32_e32 v3, v5
	v_min_u32_e32 v9, 32, v3
	v_subrev_u32_e32 v3, 28, v9
	v_lshlrev_b64 v[3:4], v3, v[1:2]
	v_lshrrev_b32_e32 v6, 3, v0
	v_sub_u32_e32 v4, 29, v9
	v_cmp_gt_u32_e64 s[4:5], 8, v0
	v_cndmask_b32_e64 v0, v6, v4, s[4:5]
	v_mov_b32_e32 v4, 0x2000
	v_lshlrev_b32_e32 v1, 8, v1
	v_lshl_add_u32 v0, v0, 10, v4
	v_and_b32_e32 v3, 7, v3
	v_and_or_b32 v0, v1, s44, v0
	v_cndmask_b32_e64 v3, v5, v3, s[4:5]
	v_lshlrev_b32_e32 v0, 16, v0
	v_lshl_or_b32 v62, v3, 23, v0
.LBB253_31:                             ;   in Loop: Header=BB253_9 Depth=1
	s_or_b64 exec, exec, s[38:39]
.LBB253_32:                             ;   in Loop: Header=BB253_9 Depth=1
	s_or_b64 exec, exec, s[36:37]
.LBB253_33:                             ;   in Loop: Header=BB253_9 Depth=1
	s_or_b64 exec, exec, s[34:35]
	global_load_ushort v0, v[7:8], off offset:256
	s_waitcnt vmcnt(0)
	v_and_b32_e32 v1, 0xffff, v0
	v_cmp_ne_u16_sdwa s[4:5], v0, v2 src0_sel:BYTE_0 src1_sel:DWORD
	s_and_saveexec_b64 s[34:35], s[4:5]
	s_cbranch_execz .LBB253_39
; %bb.34:                               ;   in Loop: Header=BB253_9 Depth=1
	v_cmp_ne_u16_sdwa s[4:5], v1, s42 src0_sel:BYTE_0 src1_sel:DWORD
	v_mov_b32_e32 v51, 0x8000
	s_and_saveexec_b64 s[36:37], s[4:5]
	s_cbranch_execz .LBB253_38
; %bb.35:                               ;   in Loop: Header=BB253_9 Depth=1
	v_and_b32_e32 v0, 0x7f, v1
	v_cmp_ne_u32_e64 s[4:5], s43, v0
	v_mov_b32_e32 v51, 0x7c01
	s_and_saveexec_b64 s[38:39], s[4:5]
	s_cbranch_execz .LBB253_37
; %bb.36:                               ;   in Loop: Header=BB253_9 Depth=1
	v_and_b32_e32 v5, 7, v1
	v_ffbh_u32_e32 v3, v5
	v_min_u32_e32 v9, 32, v3
	v_subrev_u32_e32 v3, 28, v9
	v_lshlrev_b64 v[3:4], v3, v[1:2]
	v_lshrrev_b32_e32 v6, 3, v0
	v_sub_u32_e32 v4, 29, v9
	v_cmp_gt_u32_e64 s[4:5], 8, v0
	v_cndmask_b32_e64 v0, v6, v4, s[4:5]
	v_mov_b32_e32 v6, 0x2000
	v_lshl_add_u32 v0, v0, 10, v6
	v_lshlrev_b32_e32 v4, 8, v1
	v_and_b32_e32 v3, 7, v3
	v_and_b32_e32 v0, 0xfc00, v0
	v_cndmask_b32_e64 v3, v5, v3, s[4:5]
	v_and_or_b32 v0, v4, s44, v0
	v_lshl_or_b32 v51, v3, 7, v0
.LBB253_37:                             ;   in Loop: Header=BB253_9 Depth=1
	s_or_b64 exec, exec, s[38:39]
.LBB253_38:                             ;   in Loop: Header=BB253_9 Depth=1
	s_or_b64 exec, exec, s[36:37]
.LBB253_39:                             ;   in Loop: Header=BB253_9 Depth=1
	s_or_b64 exec, exec, s[34:35]
	v_lshrrev_b16_e32 v1, 8, v1
	v_mov_b32_e32 v0, 0
	v_cmp_ne_u16_e64 s[4:5], 0, v1
	buffer_store_dword v0, off, s[48:51], 0 offset:8 ; 4-byte Folded Spill
	v_mov_b32_e32 v0, 0
	buffer_store_dword v0, off, s[48:51], 0 offset:4 ; 4-byte Folded Spill
	s_and_saveexec_b64 s[34:35], s[4:5]
	s_cbranch_execz .LBB253_45
; %bb.40:                               ;   in Loop: Header=BB253_9 Depth=1
	v_cmp_ne_u16_e64 s[4:5], s42, v1
	v_bfrev_b32_e32 v0, 1
	buffer_store_dword v0, off, s[48:51], 0 offset:4 ; 4-byte Folded Spill
	s_and_saveexec_b64 s[36:37], s[4:5]
	s_cbranch_execz .LBB253_44
; %bb.41:                               ;   in Loop: Header=BB253_9 Depth=1
	v_and_b32_e32 v0, 0x7f, v1
	v_cmp_ne_u32_e64 s[4:5], s43, v0
	v_mov_b32_e32 v3, 0x7c010000
	buffer_store_dword v3, off, s[48:51], 0 offset:4 ; 4-byte Folded Spill
	s_and_saveexec_b64 s[38:39], s[4:5]
	s_cbranch_execz .LBB253_43
; %bb.42:                               ;   in Loop: Header=BB253_9 Depth=1
	v_and_b32_e32 v5, 7, v1
	v_ffbh_u32_e32 v3, v5
	v_min_u32_e32 v9, 32, v3
	v_subrev_u32_e32 v3, 28, v9
	v_lshlrev_b64 v[3:4], v3, v[1:2]
	v_lshrrev_b32_e32 v6, 3, v0
	v_sub_u32_e32 v4, 29, v9
	v_cmp_gt_u32_e64 s[4:5], 8, v0
	v_cndmask_b32_e64 v0, v6, v4, s[4:5]
	v_mov_b32_e32 v4, 0x2000
	v_lshlrev_b32_e32 v1, 8, v1
	v_lshl_add_u32 v0, v0, 10, v4
	v_and_b32_e32 v3, 7, v3
	v_and_or_b32 v0, v1, s44, v0
	v_cndmask_b32_e64 v3, v5, v3, s[4:5]
	v_lshlrev_b32_e32 v0, 16, v0
	v_lshl_or_b32 v0, v3, 23, v0
	buffer_store_dword v0, off, s[48:51], 0 offset:4 ; 4-byte Folded Spill
.LBB253_43:                             ;   in Loop: Header=BB253_9 Depth=1
	s_or_b64 exec, exec, s[38:39]
.LBB253_44:                             ;   in Loop: Header=BB253_9 Depth=1
	s_or_b64 exec, exec, s[36:37]
.LBB253_45:                             ;   in Loop: Header=BB253_9 Depth=1
	s_or_b64 exec, exec, s[34:35]
	global_load_ushort v0, v[7:8], off offset:264
	s_waitcnt vmcnt(0)
	v_and_b32_e32 v1, 0xffff, v0
	v_cmp_ne_u16_sdwa s[4:5], v0, v2 src0_sel:BYTE_0 src1_sel:DWORD
	s_and_saveexec_b64 s[34:35], s[4:5]
	s_cbranch_execz .LBB253_51
; %bb.46:                               ;   in Loop: Header=BB253_9 Depth=1
	v_cmp_ne_u16_sdwa s[4:5], v1, s42 src0_sel:BYTE_0 src1_sel:DWORD
	v_mov_b32_e32 v0, 0x8000
	buffer_store_dword v0, off, s[48:51], 0 offset:8 ; 4-byte Folded Spill
	s_and_saveexec_b64 s[36:37], s[4:5]
	s_cbranch_execz .LBB253_50
; %bb.47:                               ;   in Loop: Header=BB253_9 Depth=1
	v_and_b32_e32 v0, 0x7f, v1
	v_cmp_ne_u32_e64 s[4:5], s43, v0
	v_mov_b32_e32 v3, 0x7c01
	buffer_store_dword v3, off, s[48:51], 0 offset:8 ; 4-byte Folded Spill
	s_and_saveexec_b64 s[38:39], s[4:5]
	s_cbranch_execz .LBB253_49
; %bb.48:                               ;   in Loop: Header=BB253_9 Depth=1
	v_and_b32_e32 v5, 7, v1
	v_ffbh_u32_e32 v3, v5
	v_min_u32_e32 v9, 32, v3
	v_subrev_u32_e32 v3, 28, v9
	v_lshlrev_b64 v[3:4], v3, v[1:2]
	v_lshrrev_b32_e32 v6, 3, v0
	v_sub_u32_e32 v4, 29, v9
	v_cmp_gt_u32_e64 s[4:5], 8, v0
	v_cndmask_b32_e64 v0, v6, v4, s[4:5]
	v_mov_b32_e32 v6, 0x2000
	v_lshl_add_u32 v0, v0, 10, v6
	v_lshlrev_b32_e32 v4, 8, v1
	v_and_b32_e32 v3, 7, v3
	v_and_b32_e32 v0, 0xfc00, v0
	v_cndmask_b32_e64 v3, v5, v3, s[4:5]
	v_and_or_b32 v0, v4, s44, v0
	v_lshl_or_b32 v0, v3, 7, v0
	buffer_store_dword v0, off, s[48:51], 0 offset:8 ; 4-byte Folded Spill
.LBB253_49:                             ;   in Loop: Header=BB253_9 Depth=1
	s_or_b64 exec, exec, s[38:39]
.LBB253_50:                             ;   in Loop: Header=BB253_9 Depth=1
	s_or_b64 exec, exec, s[36:37]
.LBB253_51:                             ;   in Loop: Header=BB253_9 Depth=1
	s_or_b64 exec, exec, s[34:35]
	v_lshrrev_b16_e32 v1, 8, v1
	v_mov_b32_e32 v0, 0
	v_cmp_ne_u16_e64 s[4:5], 0, v1
	buffer_store_dword v0, off, s[48:51], 0 offset:16 ; 4-byte Folded Spill
	v_mov_b32_e32 v0, 0
	buffer_store_dword v0, off, s[48:51], 0 offset:12 ; 4-byte Folded Spill
	s_and_saveexec_b64 s[34:35], s[4:5]
	s_cbranch_execz .LBB253_57
; %bb.52:                               ;   in Loop: Header=BB253_9 Depth=1
	v_cmp_ne_u16_e64 s[4:5], s42, v1
	v_bfrev_b32_e32 v0, 1
	buffer_store_dword v0, off, s[48:51], 0 offset:12 ; 4-byte Folded Spill
	s_and_saveexec_b64 s[36:37], s[4:5]
	s_cbranch_execz .LBB253_56
; %bb.53:                               ;   in Loop: Header=BB253_9 Depth=1
	v_and_b32_e32 v0, 0x7f, v1
	v_cmp_ne_u32_e64 s[4:5], s43, v0
	v_mov_b32_e32 v3, 0x7c010000
	buffer_store_dword v3, off, s[48:51], 0 offset:12 ; 4-byte Folded Spill
	s_and_saveexec_b64 s[38:39], s[4:5]
	s_cbranch_execz .LBB253_55
; %bb.54:                               ;   in Loop: Header=BB253_9 Depth=1
	v_and_b32_e32 v5, 7, v1
	v_ffbh_u32_e32 v3, v5
	v_min_u32_e32 v9, 32, v3
	v_subrev_u32_e32 v3, 28, v9
	v_lshlrev_b64 v[3:4], v3, v[1:2]
	v_lshrrev_b32_e32 v6, 3, v0
	v_sub_u32_e32 v4, 29, v9
	v_cmp_gt_u32_e64 s[4:5], 8, v0
	v_cndmask_b32_e64 v0, v6, v4, s[4:5]
	v_mov_b32_e32 v4, 0x2000
	v_lshlrev_b32_e32 v1, 8, v1
	v_lshl_add_u32 v0, v0, 10, v4
	v_and_b32_e32 v3, 7, v3
	v_and_or_b32 v0, v1, s44, v0
	v_cndmask_b32_e64 v3, v5, v3, s[4:5]
	v_lshlrev_b32_e32 v0, 16, v0
	v_lshl_or_b32 v0, v3, 23, v0
	buffer_store_dword v0, off, s[48:51], 0 offset:12 ; 4-byte Folded Spill
.LBB253_55:                             ;   in Loop: Header=BB253_9 Depth=1
	s_or_b64 exec, exec, s[38:39]
.LBB253_56:                             ;   in Loop: Header=BB253_9 Depth=1
	s_or_b64 exec, exec, s[36:37]
.LBB253_57:                             ;   in Loop: Header=BB253_9 Depth=1
	s_or_b64 exec, exec, s[34:35]
	global_load_ushort v0, v[7:8], off offset:512
	s_waitcnt vmcnt(0)
	v_and_b32_e32 v1, 0xffff, v0
	v_cmp_ne_u16_sdwa s[4:5], v0, v2 src0_sel:BYTE_0 src1_sel:DWORD
	s_and_saveexec_b64 s[34:35], s[4:5]
	s_cbranch_execz .LBB253_63
; %bb.58:                               ;   in Loop: Header=BB253_9 Depth=1
	v_cmp_ne_u16_sdwa s[4:5], v1, s42 src0_sel:BYTE_0 src1_sel:DWORD
	v_mov_b32_e32 v0, 0x8000
	buffer_store_dword v0, off, s[48:51], 0 offset:16 ; 4-byte Folded Spill
	s_and_saveexec_b64 s[36:37], s[4:5]
	s_cbranch_execz .LBB253_62
; %bb.59:                               ;   in Loop: Header=BB253_9 Depth=1
	v_and_b32_e32 v0, 0x7f, v1
	v_cmp_ne_u32_e64 s[4:5], s43, v0
	v_mov_b32_e32 v3, 0x7c01
	buffer_store_dword v3, off, s[48:51], 0 offset:16 ; 4-byte Folded Spill
	s_and_saveexec_b64 s[38:39], s[4:5]
	s_cbranch_execz .LBB253_61
; %bb.60:                               ;   in Loop: Header=BB253_9 Depth=1
	v_and_b32_e32 v5, 7, v1
	v_ffbh_u32_e32 v3, v5
	v_min_u32_e32 v9, 32, v3
	v_subrev_u32_e32 v3, 28, v9
	v_lshlrev_b64 v[3:4], v3, v[1:2]
	v_lshrrev_b32_e32 v6, 3, v0
	v_sub_u32_e32 v4, 29, v9
	v_cmp_gt_u32_e64 s[4:5], 8, v0
	v_cndmask_b32_e64 v0, v6, v4, s[4:5]
	v_mov_b32_e32 v6, 0x2000
	v_lshl_add_u32 v0, v0, 10, v6
	v_lshlrev_b32_e32 v4, 8, v1
	v_and_b32_e32 v3, 7, v3
	v_and_b32_e32 v0, 0xfc00, v0
	v_cndmask_b32_e64 v3, v5, v3, s[4:5]
	v_and_or_b32 v0, v4, s44, v0
	v_lshl_or_b32 v0, v3, 7, v0
	buffer_store_dword v0, off, s[48:51], 0 offset:16 ; 4-byte Folded Spill
.LBB253_61:                             ;   in Loop: Header=BB253_9 Depth=1
	s_or_b64 exec, exec, s[38:39]
.LBB253_62:                             ;   in Loop: Header=BB253_9 Depth=1
	s_or_b64 exec, exec, s[36:37]
.LBB253_63:                             ;   in Loop: Header=BB253_9 Depth=1
	s_or_b64 exec, exec, s[34:35]
	v_lshrrev_b16_e32 v1, 8, v1
	v_cmp_ne_u16_e64 s[4:5], 0, v1
	v_mov_b32_e32 v0, 0
	v_mov_b32_e32 v28, 0
	buffer_store_dword v0, off, s[48:51], 0 offset:20 ; 4-byte Folded Spill
	s_and_saveexec_b64 s[34:35], s[4:5]
	s_cbranch_execz .LBB253_69
; %bb.64:                               ;   in Loop: Header=BB253_9 Depth=1
	v_cmp_ne_u16_e64 s[4:5], s42, v1
	v_bfrev_b32_e32 v28, 1
	s_and_saveexec_b64 s[36:37], s[4:5]
	s_cbranch_execz .LBB253_68
; %bb.65:                               ;   in Loop: Header=BB253_9 Depth=1
	v_and_b32_e32 v0, 0x7f, v1
	v_cmp_ne_u32_e64 s[4:5], s43, v0
	v_mov_b32_e32 v28, 0x7c010000
	s_and_saveexec_b64 s[38:39], s[4:5]
	s_cbranch_execz .LBB253_67
; %bb.66:                               ;   in Loop: Header=BB253_9 Depth=1
	v_and_b32_e32 v5, 7, v1
	v_ffbh_u32_e32 v3, v5
	v_min_u32_e32 v9, 32, v3
	v_subrev_u32_e32 v3, 28, v9
	v_lshlrev_b64 v[3:4], v3, v[1:2]
	v_lshrrev_b32_e32 v6, 3, v0
	v_sub_u32_e32 v4, 29, v9
	v_cmp_gt_u32_e64 s[4:5], 8, v0
	v_cndmask_b32_e64 v0, v6, v4, s[4:5]
	v_mov_b32_e32 v4, 0x2000
	v_lshlrev_b32_e32 v1, 8, v1
	v_lshl_add_u32 v0, v0, 10, v4
	v_and_b32_e32 v3, 7, v3
	v_and_or_b32 v0, v1, s44, v0
	v_cndmask_b32_e64 v3, v5, v3, s[4:5]
	v_lshlrev_b32_e32 v0, 16, v0
	v_lshl_or_b32 v28, v3, 23, v0
.LBB253_67:                             ;   in Loop: Header=BB253_9 Depth=1
	s_or_b64 exec, exec, s[38:39]
.LBB253_68:                             ;   in Loop: Header=BB253_9 Depth=1
	s_or_b64 exec, exec, s[36:37]
.LBB253_69:                             ;   in Loop: Header=BB253_9 Depth=1
	s_or_b64 exec, exec, s[34:35]
	global_load_ushort v0, v[7:8], off offset:520
	s_waitcnt vmcnt(0)
	v_and_b32_e32 v1, 0xffff, v0
	v_cmp_ne_u16_sdwa s[4:5], v0, v2 src0_sel:BYTE_0 src1_sel:DWORD
	s_and_saveexec_b64 s[34:35], s[4:5]
	s_cbranch_execz .LBB253_75
; %bb.70:                               ;   in Loop: Header=BB253_9 Depth=1
	v_cmp_ne_u16_sdwa s[4:5], v1, s42 src0_sel:BYTE_0 src1_sel:DWORD
	v_mov_b32_e32 v0, 0x8000
	buffer_store_dword v0, off, s[48:51], 0 offset:20 ; 4-byte Folded Spill
	s_and_saveexec_b64 s[36:37], s[4:5]
	s_cbranch_execz .LBB253_74
; %bb.71:                               ;   in Loop: Header=BB253_9 Depth=1
	v_and_b32_e32 v0, 0x7f, v1
	v_cmp_ne_u32_e64 s[4:5], s43, v0
	v_mov_b32_e32 v3, 0x7c01
	buffer_store_dword v3, off, s[48:51], 0 offset:20 ; 4-byte Folded Spill
	s_and_saveexec_b64 s[38:39], s[4:5]
	s_cbranch_execz .LBB253_73
; %bb.72:                               ;   in Loop: Header=BB253_9 Depth=1
	v_and_b32_e32 v5, 7, v1
	v_ffbh_u32_e32 v3, v5
	v_min_u32_e32 v9, 32, v3
	v_subrev_u32_e32 v3, 28, v9
	v_lshlrev_b64 v[3:4], v3, v[1:2]
	v_lshrrev_b32_e32 v6, 3, v0
	v_sub_u32_e32 v4, 29, v9
	v_cmp_gt_u32_e64 s[4:5], 8, v0
	v_cndmask_b32_e64 v0, v6, v4, s[4:5]
	v_mov_b32_e32 v6, 0x2000
	v_lshl_add_u32 v0, v0, 10, v6
	v_lshlrev_b32_e32 v4, 8, v1
	v_and_b32_e32 v3, 7, v3
	v_and_b32_e32 v0, 0xfc00, v0
	v_cndmask_b32_e64 v3, v5, v3, s[4:5]
	v_and_or_b32 v0, v4, s44, v0
	v_lshl_or_b32 v0, v3, 7, v0
	buffer_store_dword v0, off, s[48:51], 0 offset:20 ; 4-byte Folded Spill
.LBB253_73:                             ;   in Loop: Header=BB253_9 Depth=1
	s_or_b64 exec, exec, s[38:39]
.LBB253_74:                             ;   in Loop: Header=BB253_9 Depth=1
	s_or_b64 exec, exec, s[36:37]
.LBB253_75:                             ;   in Loop: Header=BB253_9 Depth=1
	s_or_b64 exec, exec, s[34:35]
	v_lshrrev_b16_e32 v1, 8, v1
	v_cmp_ne_u16_e64 s[4:5], 0, v1
	v_mov_b32_e32 v0, 0
	v_mov_b32_e32 v30, 0
	buffer_store_dword v0, off, s[48:51], 0 offset:24 ; 4-byte Folded Spill
	s_and_saveexec_b64 s[34:35], s[4:5]
	s_cbranch_execz .LBB253_81
; %bb.76:                               ;   in Loop: Header=BB253_9 Depth=1
	v_cmp_ne_u16_e64 s[4:5], s42, v1
	v_bfrev_b32_e32 v30, 1
	s_and_saveexec_b64 s[36:37], s[4:5]
	s_cbranch_execz .LBB253_80
; %bb.77:                               ;   in Loop: Header=BB253_9 Depth=1
	v_and_b32_e32 v0, 0x7f, v1
	v_cmp_ne_u32_e64 s[4:5], s43, v0
	v_mov_b32_e32 v30, 0x7c010000
	s_and_saveexec_b64 s[38:39], s[4:5]
	s_cbranch_execz .LBB253_79
; %bb.78:                               ;   in Loop: Header=BB253_9 Depth=1
	v_and_b32_e32 v5, 7, v1
	v_ffbh_u32_e32 v3, v5
	v_min_u32_e32 v9, 32, v3
	v_subrev_u32_e32 v3, 28, v9
	v_lshlrev_b64 v[3:4], v3, v[1:2]
	v_lshrrev_b32_e32 v6, 3, v0
	v_sub_u32_e32 v4, 29, v9
	v_cmp_gt_u32_e64 s[4:5], 8, v0
	v_cndmask_b32_e64 v0, v6, v4, s[4:5]
	v_mov_b32_e32 v4, 0x2000
	v_lshlrev_b32_e32 v1, 8, v1
	v_lshl_add_u32 v0, v0, 10, v4
	v_and_b32_e32 v3, 7, v3
	v_and_or_b32 v0, v1, s44, v0
	v_cndmask_b32_e64 v3, v5, v3, s[4:5]
	v_lshlrev_b32_e32 v0, 16, v0
	v_lshl_or_b32 v30, v3, 23, v0
.LBB253_79:                             ;   in Loop: Header=BB253_9 Depth=1
	s_or_b64 exec, exec, s[38:39]
.LBB253_80:                             ;   in Loop: Header=BB253_9 Depth=1
	s_or_b64 exec, exec, s[36:37]
.LBB253_81:                             ;   in Loop: Header=BB253_9 Depth=1
	s_or_b64 exec, exec, s[34:35]
	global_load_ushort v0, v[7:8], off offset:768
	s_waitcnt vmcnt(0)
	v_and_b32_e32 v1, 0xffff, v0
	v_cmp_ne_u16_sdwa s[4:5], v0, v2 src0_sel:BYTE_0 src1_sel:DWORD
	s_and_saveexec_b64 s[34:35], s[4:5]
	s_cbranch_execz .LBB253_87
; %bb.82:                               ;   in Loop: Header=BB253_9 Depth=1
	v_cmp_ne_u16_sdwa s[4:5], v1, s42 src0_sel:BYTE_0 src1_sel:DWORD
	v_mov_b32_e32 v0, 0x8000
	buffer_store_dword v0, off, s[48:51], 0 offset:24 ; 4-byte Folded Spill
	s_and_saveexec_b64 s[36:37], s[4:5]
	s_cbranch_execz .LBB253_86
; %bb.83:                               ;   in Loop: Header=BB253_9 Depth=1
	v_and_b32_e32 v0, 0x7f, v1
	v_cmp_ne_u32_e64 s[4:5], s43, v0
	v_mov_b32_e32 v3, 0x7c01
	buffer_store_dword v3, off, s[48:51], 0 offset:24 ; 4-byte Folded Spill
	s_and_saveexec_b64 s[38:39], s[4:5]
	s_cbranch_execz .LBB253_85
; %bb.84:                               ;   in Loop: Header=BB253_9 Depth=1
	v_and_b32_e32 v5, 7, v1
	v_ffbh_u32_e32 v3, v5
	v_min_u32_e32 v9, 32, v3
	v_subrev_u32_e32 v3, 28, v9
	v_lshlrev_b64 v[3:4], v3, v[1:2]
	v_lshrrev_b32_e32 v6, 3, v0
	v_sub_u32_e32 v4, 29, v9
	v_cmp_gt_u32_e64 s[4:5], 8, v0
	v_cndmask_b32_e64 v0, v6, v4, s[4:5]
	v_mov_b32_e32 v6, 0x2000
	v_lshl_add_u32 v0, v0, 10, v6
	v_lshlrev_b32_e32 v4, 8, v1
	v_and_b32_e32 v3, 7, v3
	v_and_b32_e32 v0, 0xfc00, v0
	v_cndmask_b32_e64 v3, v5, v3, s[4:5]
	v_and_or_b32 v0, v4, s44, v0
	v_lshl_or_b32 v0, v3, 7, v0
	buffer_store_dword v0, off, s[48:51], 0 offset:24 ; 4-byte Folded Spill
.LBB253_85:                             ;   in Loop: Header=BB253_9 Depth=1
	s_or_b64 exec, exec, s[38:39]
.LBB253_86:                             ;   in Loop: Header=BB253_9 Depth=1
	s_or_b64 exec, exec, s[36:37]
.LBB253_87:                             ;   in Loop: Header=BB253_9 Depth=1
	s_or_b64 exec, exec, s[34:35]
	v_lshrrev_b16_e32 v1, 8, v1
	v_cmp_ne_u16_e64 s[4:5], 0, v1
	v_mov_b32_e32 v0, 0
	v_mov_b32_e32 v32, 0
	buffer_store_dword v0, off, s[48:51], 0 offset:28 ; 4-byte Folded Spill
	s_and_saveexec_b64 s[34:35], s[4:5]
	s_cbranch_execz .LBB253_93
; %bb.88:                               ;   in Loop: Header=BB253_9 Depth=1
	v_cmp_ne_u16_e64 s[4:5], s42, v1
	v_bfrev_b32_e32 v32, 1
	s_and_saveexec_b64 s[36:37], s[4:5]
	s_cbranch_execz .LBB253_92
; %bb.89:                               ;   in Loop: Header=BB253_9 Depth=1
	v_and_b32_e32 v0, 0x7f, v1
	v_cmp_ne_u32_e64 s[4:5], s43, v0
	v_mov_b32_e32 v32, 0x7c010000
	s_and_saveexec_b64 s[38:39], s[4:5]
	s_cbranch_execz .LBB253_91
; %bb.90:                               ;   in Loop: Header=BB253_9 Depth=1
	v_and_b32_e32 v5, 7, v1
	v_ffbh_u32_e32 v3, v5
	v_min_u32_e32 v9, 32, v3
	v_subrev_u32_e32 v3, 28, v9
	v_lshlrev_b64 v[3:4], v3, v[1:2]
	v_lshrrev_b32_e32 v6, 3, v0
	v_sub_u32_e32 v4, 29, v9
	v_cmp_gt_u32_e64 s[4:5], 8, v0
	v_cndmask_b32_e64 v0, v6, v4, s[4:5]
	v_mov_b32_e32 v4, 0x2000
	v_lshlrev_b32_e32 v1, 8, v1
	v_lshl_add_u32 v0, v0, 10, v4
	v_and_b32_e32 v3, 7, v3
	v_and_or_b32 v0, v1, s44, v0
	v_cndmask_b32_e64 v3, v5, v3, s[4:5]
	v_lshlrev_b32_e32 v0, 16, v0
	v_lshl_or_b32 v32, v3, 23, v0
.LBB253_91:                             ;   in Loop: Header=BB253_9 Depth=1
	s_or_b64 exec, exec, s[38:39]
.LBB253_92:                             ;   in Loop: Header=BB253_9 Depth=1
	s_or_b64 exec, exec, s[36:37]
.LBB253_93:                             ;   in Loop: Header=BB253_9 Depth=1
	s_or_b64 exec, exec, s[34:35]
	global_load_ushort v0, v[7:8], off offset:776
	s_waitcnt vmcnt(0)
	v_and_b32_e32 v1, 0xffff, v0
	v_cmp_ne_u16_sdwa s[4:5], v0, v2 src0_sel:BYTE_0 src1_sel:DWORD
	s_and_saveexec_b64 s[34:35], s[4:5]
	s_cbranch_execz .LBB253_99
; %bb.94:                               ;   in Loop: Header=BB253_9 Depth=1
	v_cmp_ne_u16_sdwa s[4:5], v1, s42 src0_sel:BYTE_0 src1_sel:DWORD
	v_mov_b32_e32 v0, 0x8000
	buffer_store_dword v0, off, s[48:51], 0 offset:28 ; 4-byte Folded Spill
	s_and_saveexec_b64 s[36:37], s[4:5]
	s_cbranch_execz .LBB253_98
; %bb.95:                               ;   in Loop: Header=BB253_9 Depth=1
	v_and_b32_e32 v0, 0x7f, v1
	v_cmp_ne_u32_e64 s[4:5], s43, v0
	v_mov_b32_e32 v3, 0x7c01
	buffer_store_dword v3, off, s[48:51], 0 offset:28 ; 4-byte Folded Spill
	s_and_saveexec_b64 s[38:39], s[4:5]
	s_cbranch_execz .LBB253_97
; %bb.96:                               ;   in Loop: Header=BB253_9 Depth=1
	v_and_b32_e32 v5, 7, v1
	v_ffbh_u32_e32 v3, v5
	v_min_u32_e32 v9, 32, v3
	v_subrev_u32_e32 v3, 28, v9
	v_lshlrev_b64 v[3:4], v3, v[1:2]
	v_lshrrev_b32_e32 v6, 3, v0
	v_sub_u32_e32 v4, 29, v9
	v_cmp_gt_u32_e64 s[4:5], 8, v0
	v_cndmask_b32_e64 v0, v6, v4, s[4:5]
	v_mov_b32_e32 v6, 0x2000
	v_lshl_add_u32 v0, v0, 10, v6
	v_lshlrev_b32_e32 v4, 8, v1
	v_and_b32_e32 v3, 7, v3
	v_and_b32_e32 v0, 0xfc00, v0
	v_cndmask_b32_e64 v3, v5, v3, s[4:5]
	v_and_or_b32 v0, v4, s44, v0
	v_lshl_or_b32 v0, v3, 7, v0
	buffer_store_dword v0, off, s[48:51], 0 offset:28 ; 4-byte Folded Spill
.LBB253_97:                             ;   in Loop: Header=BB253_9 Depth=1
	s_or_b64 exec, exec, s[38:39]
.LBB253_98:                             ;   in Loop: Header=BB253_9 Depth=1
	s_or_b64 exec, exec, s[36:37]
.LBB253_99:                             ;   in Loop: Header=BB253_9 Depth=1
	s_or_b64 exec, exec, s[34:35]
	v_lshrrev_b16_e32 v1, 8, v1
	v_cmp_ne_u16_e64 s[4:5], 0, v1
	v_mov_b32_e32 v0, 0
	v_mov_b32_e32 v26, 0
	buffer_store_dword v0, off, s[48:51], 0 offset:32 ; 4-byte Folded Spill
	s_and_saveexec_b64 s[34:35], s[4:5]
	s_cbranch_execz .LBB253_105
; %bb.100:                              ;   in Loop: Header=BB253_9 Depth=1
	v_cmp_ne_u16_e64 s[4:5], s42, v1
	v_bfrev_b32_e32 v26, 1
	s_and_saveexec_b64 s[36:37], s[4:5]
	s_cbranch_execz .LBB253_104
; %bb.101:                              ;   in Loop: Header=BB253_9 Depth=1
	v_and_b32_e32 v0, 0x7f, v1
	v_cmp_ne_u32_e64 s[4:5], s43, v0
	v_mov_b32_e32 v26, 0x7c010000
	s_and_saveexec_b64 s[38:39], s[4:5]
	s_cbranch_execz .LBB253_103
; %bb.102:                              ;   in Loop: Header=BB253_9 Depth=1
	v_and_b32_e32 v5, 7, v1
	v_ffbh_u32_e32 v3, v5
	v_min_u32_e32 v9, 32, v3
	v_subrev_u32_e32 v3, 28, v9
	v_lshlrev_b64 v[3:4], v3, v[1:2]
	v_lshrrev_b32_e32 v6, 3, v0
	v_sub_u32_e32 v4, 29, v9
	v_cmp_gt_u32_e64 s[4:5], 8, v0
	v_cndmask_b32_e64 v0, v6, v4, s[4:5]
	v_mov_b32_e32 v4, 0x2000
	v_lshlrev_b32_e32 v1, 8, v1
	v_lshl_add_u32 v0, v0, 10, v4
	v_and_b32_e32 v3, 7, v3
	v_and_or_b32 v0, v1, s44, v0
	v_cndmask_b32_e64 v3, v5, v3, s[4:5]
	v_lshlrev_b32_e32 v0, 16, v0
	v_lshl_or_b32 v26, v3, 23, v0
.LBB253_103:                            ;   in Loop: Header=BB253_9 Depth=1
	s_or_b64 exec, exec, s[38:39]
.LBB253_104:                            ;   in Loop: Header=BB253_9 Depth=1
	s_or_b64 exec, exec, s[36:37]
.LBB253_105:                            ;   in Loop: Header=BB253_9 Depth=1
	s_or_b64 exec, exec, s[34:35]
	global_load_ushort v0, v[7:8], off offset:1024
	s_waitcnt vmcnt(0)
	v_and_b32_e32 v1, 0xffff, v0
	v_cmp_ne_u16_sdwa s[4:5], v0, v2 src0_sel:BYTE_0 src1_sel:DWORD
	s_and_saveexec_b64 s[34:35], s[4:5]
	s_cbranch_execz .LBB253_111
; %bb.106:                              ;   in Loop: Header=BB253_9 Depth=1
	v_cmp_ne_u16_sdwa s[4:5], v1, s42 src0_sel:BYTE_0 src1_sel:DWORD
	v_mov_b32_e32 v0, 0x8000
	buffer_store_dword v0, off, s[48:51], 0 offset:32 ; 4-byte Folded Spill
	s_and_saveexec_b64 s[36:37], s[4:5]
	s_cbranch_execz .LBB253_110
; %bb.107:                              ;   in Loop: Header=BB253_9 Depth=1
	v_and_b32_e32 v0, 0x7f, v1
	v_cmp_ne_u32_e64 s[4:5], s43, v0
	v_mov_b32_e32 v3, 0x7c01
	buffer_store_dword v3, off, s[48:51], 0 offset:32 ; 4-byte Folded Spill
	s_and_saveexec_b64 s[38:39], s[4:5]
	s_cbranch_execz .LBB253_109
; %bb.108:                              ;   in Loop: Header=BB253_9 Depth=1
	v_and_b32_e32 v5, 7, v1
	v_ffbh_u32_e32 v3, v5
	v_min_u32_e32 v9, 32, v3
	v_subrev_u32_e32 v3, 28, v9
	v_lshlrev_b64 v[3:4], v3, v[1:2]
	v_lshrrev_b32_e32 v6, 3, v0
	v_sub_u32_e32 v4, 29, v9
	v_cmp_gt_u32_e64 s[4:5], 8, v0
	v_cndmask_b32_e64 v0, v6, v4, s[4:5]
	v_mov_b32_e32 v6, 0x2000
	v_lshl_add_u32 v0, v0, 10, v6
	v_lshlrev_b32_e32 v4, 8, v1
	v_and_b32_e32 v3, 7, v3
	v_and_b32_e32 v0, 0xfc00, v0
	v_cndmask_b32_e64 v3, v5, v3, s[4:5]
	v_and_or_b32 v0, v4, s44, v0
	v_lshl_or_b32 v0, v3, 7, v0
	buffer_store_dword v0, off, s[48:51], 0 offset:32 ; 4-byte Folded Spill
.LBB253_109:                            ;   in Loop: Header=BB253_9 Depth=1
	s_or_b64 exec, exec, s[38:39]
.LBB253_110:                            ;   in Loop: Header=BB253_9 Depth=1
	s_or_b64 exec, exec, s[36:37]
.LBB253_111:                            ;   in Loop: Header=BB253_9 Depth=1
	s_or_b64 exec, exec, s[34:35]
	v_lshrrev_b16_e32 v1, 8, v1
	v_cmp_ne_u16_e64 s[4:5], 0, v1
	v_mov_b32_e32 v0, 0
	v_mov_b32_e32 v36, 0
	buffer_store_dword v0, off, s[48:51], 0 offset:36 ; 4-byte Folded Spill
	s_and_saveexec_b64 s[34:35], s[4:5]
	s_cbranch_execz .LBB253_117
; %bb.112:                              ;   in Loop: Header=BB253_9 Depth=1
	v_cmp_ne_u16_e64 s[4:5], s42, v1
	v_bfrev_b32_e32 v36, 1
	s_and_saveexec_b64 s[36:37], s[4:5]
	s_cbranch_execz .LBB253_116
; %bb.113:                              ;   in Loop: Header=BB253_9 Depth=1
	v_and_b32_e32 v0, 0x7f, v1
	v_cmp_ne_u32_e64 s[4:5], s43, v0
	v_mov_b32_e32 v36, 0x7c010000
	s_and_saveexec_b64 s[38:39], s[4:5]
	s_cbranch_execz .LBB253_115
; %bb.114:                              ;   in Loop: Header=BB253_9 Depth=1
	v_and_b32_e32 v5, 7, v1
	v_ffbh_u32_e32 v3, v5
	v_min_u32_e32 v9, 32, v3
	v_subrev_u32_e32 v3, 28, v9
	v_lshlrev_b64 v[3:4], v3, v[1:2]
	v_lshrrev_b32_e32 v6, 3, v0
	v_sub_u32_e32 v4, 29, v9
	v_cmp_gt_u32_e64 s[4:5], 8, v0
	v_cndmask_b32_e64 v0, v6, v4, s[4:5]
	v_mov_b32_e32 v4, 0x2000
	v_lshlrev_b32_e32 v1, 8, v1
	v_lshl_add_u32 v0, v0, 10, v4
	v_and_b32_e32 v3, 7, v3
	v_and_or_b32 v0, v1, s44, v0
	v_cndmask_b32_e64 v3, v5, v3, s[4:5]
	v_lshlrev_b32_e32 v0, 16, v0
	v_lshl_or_b32 v36, v3, 23, v0
.LBB253_115:                            ;   in Loop: Header=BB253_9 Depth=1
	s_or_b64 exec, exec, s[38:39]
.LBB253_116:                            ;   in Loop: Header=BB253_9 Depth=1
	s_or_b64 exec, exec, s[36:37]
.LBB253_117:                            ;   in Loop: Header=BB253_9 Depth=1
	s_or_b64 exec, exec, s[34:35]
	global_load_ushort v0, v[7:8], off offset:1032
	s_waitcnt vmcnt(0)
	v_and_b32_e32 v1, 0xffff, v0
	v_cmp_ne_u16_sdwa s[4:5], v0, v2 src0_sel:BYTE_0 src1_sel:DWORD
	s_and_saveexec_b64 s[34:35], s[4:5]
	s_cbranch_execz .LBB253_123
; %bb.118:                              ;   in Loop: Header=BB253_9 Depth=1
	v_cmp_ne_u16_sdwa s[4:5], v1, s42 src0_sel:BYTE_0 src1_sel:DWORD
	v_mov_b32_e32 v0, 0x8000
	buffer_store_dword v0, off, s[48:51], 0 offset:36 ; 4-byte Folded Spill
	s_and_saveexec_b64 s[36:37], s[4:5]
	s_cbranch_execz .LBB253_122
; %bb.119:                              ;   in Loop: Header=BB253_9 Depth=1
	v_and_b32_e32 v0, 0x7f, v1
	v_cmp_ne_u32_e64 s[4:5], s43, v0
	v_mov_b32_e32 v3, 0x7c01
	buffer_store_dword v3, off, s[48:51], 0 offset:36 ; 4-byte Folded Spill
	s_and_saveexec_b64 s[38:39], s[4:5]
	s_cbranch_execz .LBB253_121
; %bb.120:                              ;   in Loop: Header=BB253_9 Depth=1
	v_and_b32_e32 v5, 7, v1
	v_ffbh_u32_e32 v3, v5
	v_min_u32_e32 v9, 32, v3
	v_subrev_u32_e32 v3, 28, v9
	v_lshlrev_b64 v[3:4], v3, v[1:2]
	v_lshrrev_b32_e32 v6, 3, v0
	v_sub_u32_e32 v4, 29, v9
	v_cmp_gt_u32_e64 s[4:5], 8, v0
	v_cndmask_b32_e64 v0, v6, v4, s[4:5]
	v_mov_b32_e32 v6, 0x2000
	v_lshl_add_u32 v0, v0, 10, v6
	v_lshlrev_b32_e32 v4, 8, v1
	v_and_b32_e32 v3, 7, v3
	v_and_b32_e32 v0, 0xfc00, v0
	v_cndmask_b32_e64 v3, v5, v3, s[4:5]
	v_and_or_b32 v0, v4, s44, v0
	v_lshl_or_b32 v0, v3, 7, v0
	buffer_store_dword v0, off, s[48:51], 0 offset:36 ; 4-byte Folded Spill
.LBB253_121:                            ;   in Loop: Header=BB253_9 Depth=1
	s_or_b64 exec, exec, s[38:39]
.LBB253_122:                            ;   in Loop: Header=BB253_9 Depth=1
	s_or_b64 exec, exec, s[36:37]
.LBB253_123:                            ;   in Loop: Header=BB253_9 Depth=1
	s_or_b64 exec, exec, s[34:35]
	v_lshrrev_b16_e32 v1, 8, v1
	v_cmp_ne_u16_e64 s[4:5], 0, v1
	v_mov_b32_e32 v0, 0
	v_mov_b32_e32 v38, 0
	buffer_store_dword v0, off, s[48:51], 0 offset:40 ; 4-byte Folded Spill
	s_and_saveexec_b64 s[34:35], s[4:5]
	s_cbranch_execz .LBB253_129
; %bb.124:                              ;   in Loop: Header=BB253_9 Depth=1
	v_cmp_ne_u16_e64 s[4:5], s42, v1
	v_bfrev_b32_e32 v38, 1
	s_and_saveexec_b64 s[36:37], s[4:5]
	s_cbranch_execz .LBB253_128
; %bb.125:                              ;   in Loop: Header=BB253_9 Depth=1
	v_and_b32_e32 v0, 0x7f, v1
	v_cmp_ne_u32_e64 s[4:5], s43, v0
	v_mov_b32_e32 v38, 0x7c010000
	s_and_saveexec_b64 s[38:39], s[4:5]
	s_cbranch_execz .LBB253_127
; %bb.126:                              ;   in Loop: Header=BB253_9 Depth=1
	v_and_b32_e32 v5, 7, v1
	v_ffbh_u32_e32 v3, v5
	v_min_u32_e32 v9, 32, v3
	v_subrev_u32_e32 v3, 28, v9
	v_lshlrev_b64 v[3:4], v3, v[1:2]
	v_lshrrev_b32_e32 v6, 3, v0
	v_sub_u32_e32 v4, 29, v9
	v_cmp_gt_u32_e64 s[4:5], 8, v0
	v_cndmask_b32_e64 v0, v6, v4, s[4:5]
	v_mov_b32_e32 v4, 0x2000
	v_lshlrev_b32_e32 v1, 8, v1
	v_lshl_add_u32 v0, v0, 10, v4
	v_and_b32_e32 v3, 7, v3
	v_and_or_b32 v0, v1, s44, v0
	v_cndmask_b32_e64 v3, v5, v3, s[4:5]
	v_lshlrev_b32_e32 v0, 16, v0
	v_lshl_or_b32 v38, v3, 23, v0
.LBB253_127:                            ;   in Loop: Header=BB253_9 Depth=1
	s_or_b64 exec, exec, s[38:39]
.LBB253_128:                            ;   in Loop: Header=BB253_9 Depth=1
	s_or_b64 exec, exec, s[36:37]
.LBB253_129:                            ;   in Loop: Header=BB253_9 Depth=1
	s_or_b64 exec, exec, s[34:35]
	global_load_ushort v0, v[7:8], off offset:1280
	s_waitcnt vmcnt(0)
	v_and_b32_e32 v1, 0xffff, v0
	v_cmp_ne_u16_sdwa s[4:5], v0, v2 src0_sel:BYTE_0 src1_sel:DWORD
	s_and_saveexec_b64 s[34:35], s[4:5]
	s_cbranch_execz .LBB253_135
; %bb.130:                              ;   in Loop: Header=BB253_9 Depth=1
	v_cmp_ne_u16_sdwa s[4:5], v1, s42 src0_sel:BYTE_0 src1_sel:DWORD
	v_mov_b32_e32 v0, 0x8000
	buffer_store_dword v0, off, s[48:51], 0 offset:40 ; 4-byte Folded Spill
	s_and_saveexec_b64 s[36:37], s[4:5]
	s_cbranch_execz .LBB253_134
; %bb.131:                              ;   in Loop: Header=BB253_9 Depth=1
	v_and_b32_e32 v0, 0x7f, v1
	v_cmp_ne_u32_e64 s[4:5], s43, v0
	v_mov_b32_e32 v3, 0x7c01
	buffer_store_dword v3, off, s[48:51], 0 offset:40 ; 4-byte Folded Spill
	s_and_saveexec_b64 s[38:39], s[4:5]
	s_cbranch_execz .LBB253_133
; %bb.132:                              ;   in Loop: Header=BB253_9 Depth=1
	v_and_b32_e32 v5, 7, v1
	v_ffbh_u32_e32 v3, v5
	v_min_u32_e32 v9, 32, v3
	v_subrev_u32_e32 v3, 28, v9
	v_lshlrev_b64 v[3:4], v3, v[1:2]
	v_lshrrev_b32_e32 v6, 3, v0
	v_sub_u32_e32 v4, 29, v9
	v_cmp_gt_u32_e64 s[4:5], 8, v0
	v_cndmask_b32_e64 v0, v6, v4, s[4:5]
	v_mov_b32_e32 v6, 0x2000
	v_lshl_add_u32 v0, v0, 10, v6
	v_lshlrev_b32_e32 v4, 8, v1
	v_and_b32_e32 v3, 7, v3
	v_and_b32_e32 v0, 0xfc00, v0
	v_cndmask_b32_e64 v3, v5, v3, s[4:5]
	v_and_or_b32 v0, v4, s44, v0
	v_lshl_or_b32 v0, v3, 7, v0
	buffer_store_dword v0, off, s[48:51], 0 offset:40 ; 4-byte Folded Spill
.LBB253_133:                            ;   in Loop: Header=BB253_9 Depth=1
	s_or_b64 exec, exec, s[38:39]
.LBB253_134:                            ;   in Loop: Header=BB253_9 Depth=1
	s_or_b64 exec, exec, s[36:37]
.LBB253_135:                            ;   in Loop: Header=BB253_9 Depth=1
	s_or_b64 exec, exec, s[34:35]
	v_lshrrev_b16_e32 v1, 8, v1
	v_cmp_ne_u16_e64 s[4:5], 0, v1
	v_mov_b32_e32 v0, 0
	v_mov_b32_e32 v40, 0
	buffer_store_dword v0, off, s[48:51], 0 offset:44 ; 4-byte Folded Spill
	s_and_saveexec_b64 s[34:35], s[4:5]
	s_cbranch_execz .LBB253_141
; %bb.136:                              ;   in Loop: Header=BB253_9 Depth=1
	v_cmp_ne_u16_e64 s[4:5], s42, v1
	v_bfrev_b32_e32 v40, 1
	s_and_saveexec_b64 s[36:37], s[4:5]
	s_cbranch_execz .LBB253_140
; %bb.137:                              ;   in Loop: Header=BB253_9 Depth=1
	v_and_b32_e32 v0, 0x7f, v1
	v_cmp_ne_u32_e64 s[4:5], s43, v0
	v_mov_b32_e32 v40, 0x7c010000
	s_and_saveexec_b64 s[38:39], s[4:5]
	s_cbranch_execz .LBB253_139
; %bb.138:                              ;   in Loop: Header=BB253_9 Depth=1
	v_and_b32_e32 v5, 7, v1
	v_ffbh_u32_e32 v3, v5
	v_min_u32_e32 v9, 32, v3
	v_subrev_u32_e32 v3, 28, v9
	v_lshlrev_b64 v[3:4], v3, v[1:2]
	v_lshrrev_b32_e32 v6, 3, v0
	v_sub_u32_e32 v4, 29, v9
	v_cmp_gt_u32_e64 s[4:5], 8, v0
	v_cndmask_b32_e64 v0, v6, v4, s[4:5]
	v_mov_b32_e32 v4, 0x2000
	v_lshlrev_b32_e32 v1, 8, v1
	v_lshl_add_u32 v0, v0, 10, v4
	v_and_b32_e32 v3, 7, v3
	v_and_or_b32 v0, v1, s44, v0
	v_cndmask_b32_e64 v3, v5, v3, s[4:5]
	v_lshlrev_b32_e32 v0, 16, v0
	v_lshl_or_b32 v40, v3, 23, v0
.LBB253_139:                            ;   in Loop: Header=BB253_9 Depth=1
	s_or_b64 exec, exec, s[38:39]
.LBB253_140:                            ;   in Loop: Header=BB253_9 Depth=1
	s_or_b64 exec, exec, s[36:37]
.LBB253_141:                            ;   in Loop: Header=BB253_9 Depth=1
	s_or_b64 exec, exec, s[34:35]
	global_load_ushort v0, v[7:8], off offset:1288
	s_waitcnt vmcnt(0)
	v_and_b32_e32 v1, 0xffff, v0
	v_cmp_ne_u16_sdwa s[4:5], v0, v2 src0_sel:BYTE_0 src1_sel:DWORD
	s_and_saveexec_b64 s[34:35], s[4:5]
	s_cbranch_execz .LBB253_147
; %bb.142:                              ;   in Loop: Header=BB253_9 Depth=1
	v_cmp_ne_u16_sdwa s[4:5], v1, s42 src0_sel:BYTE_0 src1_sel:DWORD
	v_mov_b32_e32 v0, 0x8000
	buffer_store_dword v0, off, s[48:51], 0 offset:44 ; 4-byte Folded Spill
	s_and_saveexec_b64 s[36:37], s[4:5]
	s_cbranch_execz .LBB253_146
; %bb.143:                              ;   in Loop: Header=BB253_9 Depth=1
	v_and_b32_e32 v0, 0x7f, v1
	v_cmp_ne_u32_e64 s[4:5], s43, v0
	v_mov_b32_e32 v3, 0x7c01
	buffer_store_dword v3, off, s[48:51], 0 offset:44 ; 4-byte Folded Spill
	s_and_saveexec_b64 s[38:39], s[4:5]
	s_cbranch_execz .LBB253_145
; %bb.144:                              ;   in Loop: Header=BB253_9 Depth=1
	v_and_b32_e32 v5, 7, v1
	v_ffbh_u32_e32 v3, v5
	v_min_u32_e32 v9, 32, v3
	v_subrev_u32_e32 v3, 28, v9
	v_lshlrev_b64 v[3:4], v3, v[1:2]
	v_lshrrev_b32_e32 v6, 3, v0
	v_sub_u32_e32 v4, 29, v9
	v_cmp_gt_u32_e64 s[4:5], 8, v0
	v_cndmask_b32_e64 v0, v6, v4, s[4:5]
	v_mov_b32_e32 v6, 0x2000
	v_lshl_add_u32 v0, v0, 10, v6
	v_lshlrev_b32_e32 v4, 8, v1
	v_and_b32_e32 v3, 7, v3
	v_and_b32_e32 v0, 0xfc00, v0
	v_cndmask_b32_e64 v3, v5, v3, s[4:5]
	v_and_or_b32 v0, v4, s44, v0
	v_lshl_or_b32 v0, v3, 7, v0
	buffer_store_dword v0, off, s[48:51], 0 offset:44 ; 4-byte Folded Spill
.LBB253_145:                            ;   in Loop: Header=BB253_9 Depth=1
	s_or_b64 exec, exec, s[38:39]
.LBB253_146:                            ;   in Loop: Header=BB253_9 Depth=1
	s_or_b64 exec, exec, s[36:37]
.LBB253_147:                            ;   in Loop: Header=BB253_9 Depth=1
	s_or_b64 exec, exec, s[34:35]
	v_lshrrev_b16_e32 v1, 8, v1
	v_cmp_ne_u16_e64 s[4:5], 0, v1
	v_mov_b32_e32 v43, 0
	v_mov_b32_e32 v42, 0
	s_and_saveexec_b64 s[34:35], s[4:5]
	s_cbranch_execz .LBB253_153
; %bb.148:                              ;   in Loop: Header=BB253_9 Depth=1
	v_cmp_ne_u16_e64 s[4:5], s42, v1
	v_bfrev_b32_e32 v42, 1
	s_and_saveexec_b64 s[36:37], s[4:5]
	s_cbranch_execz .LBB253_152
; %bb.149:                              ;   in Loop: Header=BB253_9 Depth=1
	v_and_b32_e32 v0, 0x7f, v1
	v_cmp_ne_u32_e64 s[4:5], s43, v0
	v_mov_b32_e32 v42, 0x7c010000
	s_and_saveexec_b64 s[38:39], s[4:5]
	s_cbranch_execz .LBB253_151
; %bb.150:                              ;   in Loop: Header=BB253_9 Depth=1
	v_and_b32_e32 v5, 7, v1
	v_ffbh_u32_e32 v3, v5
	v_min_u32_e32 v9, 32, v3
	v_subrev_u32_e32 v3, 28, v9
	v_lshlrev_b64 v[3:4], v3, v[1:2]
	v_lshrrev_b32_e32 v6, 3, v0
	v_sub_u32_e32 v4, 29, v9
	v_cmp_gt_u32_e64 s[4:5], 8, v0
	v_cndmask_b32_e64 v0, v6, v4, s[4:5]
	v_mov_b32_e32 v4, 0x2000
	v_lshlrev_b32_e32 v1, 8, v1
	v_lshl_add_u32 v0, v0, 10, v4
	v_and_b32_e32 v3, 7, v3
	v_and_or_b32 v0, v1, s44, v0
	v_cndmask_b32_e64 v3, v5, v3, s[4:5]
	v_lshlrev_b32_e32 v0, 16, v0
	v_lshl_or_b32 v42, v3, 23, v0
.LBB253_151:                            ;   in Loop: Header=BB253_9 Depth=1
	s_or_b64 exec, exec, s[38:39]
.LBB253_152:                            ;   in Loop: Header=BB253_9 Depth=1
	s_or_b64 exec, exec, s[36:37]
.LBB253_153:                            ;   in Loop: Header=BB253_9 Depth=1
	s_or_b64 exec, exec, s[34:35]
	global_load_ushort v0, v[7:8], off offset:1536
	s_waitcnt vmcnt(0)
	v_and_b32_e32 v1, 0xffff, v0
	v_cmp_ne_u16_sdwa s[4:5], v0, v2 src0_sel:BYTE_0 src1_sel:DWORD
	s_and_saveexec_b64 s[34:35], s[4:5]
	s_cbranch_execz .LBB253_159
; %bb.154:                              ;   in Loop: Header=BB253_9 Depth=1
	v_cmp_ne_u16_sdwa s[4:5], v1, s42 src0_sel:BYTE_0 src1_sel:DWORD
	v_mov_b32_e32 v43, 0x8000
	s_and_saveexec_b64 s[36:37], s[4:5]
	s_cbranch_execz .LBB253_158
; %bb.155:                              ;   in Loop: Header=BB253_9 Depth=1
	v_and_b32_e32 v0, 0x7f, v1
	v_cmp_ne_u32_e64 s[4:5], s43, v0
	v_mov_b32_e32 v43, 0x7c01
	s_and_saveexec_b64 s[38:39], s[4:5]
	s_cbranch_execz .LBB253_157
; %bb.156:                              ;   in Loop: Header=BB253_9 Depth=1
	v_and_b32_e32 v5, 7, v1
	v_ffbh_u32_e32 v3, v5
	v_min_u32_e32 v9, 32, v3
	v_subrev_u32_e32 v3, 28, v9
	v_lshlrev_b64 v[3:4], v3, v[1:2]
	v_lshrrev_b32_e32 v6, 3, v0
	v_sub_u32_e32 v4, 29, v9
	v_cmp_gt_u32_e64 s[4:5], 8, v0
	v_cndmask_b32_e64 v0, v6, v4, s[4:5]
	v_mov_b32_e32 v6, 0x2000
	v_lshl_add_u32 v0, v0, 10, v6
	v_lshlrev_b32_e32 v4, 8, v1
	v_and_b32_e32 v3, 7, v3
	v_and_b32_e32 v0, 0xfc00, v0
	v_cndmask_b32_e64 v3, v5, v3, s[4:5]
	v_and_or_b32 v0, v4, s44, v0
	v_lshl_or_b32 v43, v3, 7, v0
.LBB253_157:                            ;   in Loop: Header=BB253_9 Depth=1
	s_or_b64 exec, exec, s[38:39]
.LBB253_158:                            ;   in Loop: Header=BB253_9 Depth=1
	s_or_b64 exec, exec, s[36:37]
.LBB253_159:                            ;   in Loop: Header=BB253_9 Depth=1
	s_or_b64 exec, exec, s[34:35]
	v_lshrrev_b16_e32 v1, 8, v1
	v_cmp_ne_u16_e64 s[4:5], 0, v1
	v_mov_b32_e32 v45, 0
	v_mov_b32_e32 v44, 0
	s_and_saveexec_b64 s[34:35], s[4:5]
	s_cbranch_execz .LBB253_165
; %bb.160:                              ;   in Loop: Header=BB253_9 Depth=1
	v_cmp_ne_u16_e64 s[4:5], s42, v1
	v_bfrev_b32_e32 v44, 1
	s_and_saveexec_b64 s[36:37], s[4:5]
	s_cbranch_execz .LBB253_164
; %bb.161:                              ;   in Loop: Header=BB253_9 Depth=1
	v_and_b32_e32 v0, 0x7f, v1
	v_cmp_ne_u32_e64 s[4:5], s43, v0
	v_mov_b32_e32 v44, 0x7c010000
	s_and_saveexec_b64 s[38:39], s[4:5]
	s_cbranch_execz .LBB253_163
; %bb.162:                              ;   in Loop: Header=BB253_9 Depth=1
	v_and_b32_e32 v5, 7, v1
	v_ffbh_u32_e32 v3, v5
	v_min_u32_e32 v9, 32, v3
	v_subrev_u32_e32 v3, 28, v9
	v_lshlrev_b64 v[3:4], v3, v[1:2]
	v_lshrrev_b32_e32 v6, 3, v0
	v_sub_u32_e32 v4, 29, v9
	v_cmp_gt_u32_e64 s[4:5], 8, v0
	v_cndmask_b32_e64 v0, v6, v4, s[4:5]
	v_mov_b32_e32 v4, 0x2000
	v_lshlrev_b32_e32 v1, 8, v1
	v_lshl_add_u32 v0, v0, 10, v4
	v_and_b32_e32 v3, 7, v3
	v_and_or_b32 v0, v1, s44, v0
	v_cndmask_b32_e64 v3, v5, v3, s[4:5]
	v_lshlrev_b32_e32 v0, 16, v0
	v_lshl_or_b32 v44, v3, 23, v0
.LBB253_163:                            ;   in Loop: Header=BB253_9 Depth=1
	s_or_b64 exec, exec, s[38:39]
.LBB253_164:                            ;   in Loop: Header=BB253_9 Depth=1
	s_or_b64 exec, exec, s[36:37]
.LBB253_165:                            ;   in Loop: Header=BB253_9 Depth=1
	s_or_b64 exec, exec, s[34:35]
	global_load_ushort v0, v[7:8], off offset:1544
	s_waitcnt vmcnt(0)
	v_and_b32_e32 v1, 0xffff, v0
	v_cmp_ne_u16_sdwa s[4:5], v0, v2 src0_sel:BYTE_0 src1_sel:DWORD
	s_and_saveexec_b64 s[34:35], s[4:5]
	s_cbranch_execz .LBB253_171
; %bb.166:                              ;   in Loop: Header=BB253_9 Depth=1
	v_cmp_ne_u16_sdwa s[4:5], v1, s42 src0_sel:BYTE_0 src1_sel:DWORD
	v_mov_b32_e32 v45, 0x8000
	s_and_saveexec_b64 s[36:37], s[4:5]
	s_cbranch_execz .LBB253_170
; %bb.167:                              ;   in Loop: Header=BB253_9 Depth=1
	v_and_b32_e32 v0, 0x7f, v1
	v_cmp_ne_u32_e64 s[4:5], s43, v0
	v_mov_b32_e32 v45, 0x7c01
	s_and_saveexec_b64 s[38:39], s[4:5]
	s_cbranch_execz .LBB253_169
; %bb.168:                              ;   in Loop: Header=BB253_9 Depth=1
	v_and_b32_e32 v5, 7, v1
	v_ffbh_u32_e32 v3, v5
	v_min_u32_e32 v9, 32, v3
	v_subrev_u32_e32 v3, 28, v9
	v_lshlrev_b64 v[3:4], v3, v[1:2]
	v_lshrrev_b32_e32 v6, 3, v0
	v_sub_u32_e32 v4, 29, v9
	v_cmp_gt_u32_e64 s[4:5], 8, v0
	v_cndmask_b32_e64 v0, v6, v4, s[4:5]
	v_mov_b32_e32 v6, 0x2000
	v_lshl_add_u32 v0, v0, 10, v6
	v_lshlrev_b32_e32 v4, 8, v1
	v_and_b32_e32 v3, 7, v3
	v_and_b32_e32 v0, 0xfc00, v0
	v_cndmask_b32_e64 v3, v5, v3, s[4:5]
	v_and_or_b32 v0, v4, s44, v0
	v_lshl_or_b32 v45, v3, 7, v0
.LBB253_169:                            ;   in Loop: Header=BB253_9 Depth=1
	s_or_b64 exec, exec, s[38:39]
.LBB253_170:                            ;   in Loop: Header=BB253_9 Depth=1
	s_or_b64 exec, exec, s[36:37]
.LBB253_171:                            ;   in Loop: Header=BB253_9 Depth=1
	s_or_b64 exec, exec, s[34:35]
	v_lshrrev_b16_e32 v1, 8, v1
	v_cmp_ne_u16_e64 s[4:5], 0, v1
	v_mov_b32_e32 v47, 0
	v_mov_b32_e32 v46, 0
	s_and_saveexec_b64 s[34:35], s[4:5]
	s_cbranch_execz .LBB253_177
; %bb.172:                              ;   in Loop: Header=BB253_9 Depth=1
	v_cmp_ne_u16_e64 s[4:5], s42, v1
	v_bfrev_b32_e32 v46, 1
	s_and_saveexec_b64 s[36:37], s[4:5]
	s_cbranch_execz .LBB253_176
; %bb.173:                              ;   in Loop: Header=BB253_9 Depth=1
	v_and_b32_e32 v0, 0x7f, v1
	v_cmp_ne_u32_e64 s[4:5], s43, v0
	v_mov_b32_e32 v46, 0x7c010000
	s_and_saveexec_b64 s[38:39], s[4:5]
	s_cbranch_execz .LBB253_175
; %bb.174:                              ;   in Loop: Header=BB253_9 Depth=1
	v_and_b32_e32 v5, 7, v1
	v_ffbh_u32_e32 v3, v5
	v_min_u32_e32 v9, 32, v3
	v_subrev_u32_e32 v3, 28, v9
	v_lshlrev_b64 v[3:4], v3, v[1:2]
	v_lshrrev_b32_e32 v6, 3, v0
	v_sub_u32_e32 v4, 29, v9
	v_cmp_gt_u32_e64 s[4:5], 8, v0
	v_cndmask_b32_e64 v0, v6, v4, s[4:5]
	v_mov_b32_e32 v4, 0x2000
	v_lshlrev_b32_e32 v1, 8, v1
	v_lshl_add_u32 v0, v0, 10, v4
	v_and_b32_e32 v3, 7, v3
	v_and_or_b32 v0, v1, s44, v0
	v_cndmask_b32_e64 v3, v5, v3, s[4:5]
	v_lshlrev_b32_e32 v0, 16, v0
	v_lshl_or_b32 v46, v3, 23, v0
.LBB253_175:                            ;   in Loop: Header=BB253_9 Depth=1
	s_or_b64 exec, exec, s[38:39]
.LBB253_176:                            ;   in Loop: Header=BB253_9 Depth=1
	s_or_b64 exec, exec, s[36:37]
.LBB253_177:                            ;   in Loop: Header=BB253_9 Depth=1
	s_or_b64 exec, exec, s[34:35]
	global_load_ushort v0, v[7:8], off offset:1792
	s_waitcnt vmcnt(0)
	v_and_b32_e32 v1, 0xffff, v0
	v_cmp_ne_u16_sdwa s[4:5], v0, v2 src0_sel:BYTE_0 src1_sel:DWORD
	s_and_saveexec_b64 s[34:35], s[4:5]
	s_cbranch_execz .LBB253_183
; %bb.178:                              ;   in Loop: Header=BB253_9 Depth=1
	v_cmp_ne_u16_sdwa s[4:5], v1, s42 src0_sel:BYTE_0 src1_sel:DWORD
	v_mov_b32_e32 v47, 0x8000
	s_and_saveexec_b64 s[36:37], s[4:5]
	s_cbranch_execz .LBB253_182
; %bb.179:                              ;   in Loop: Header=BB253_9 Depth=1
	v_and_b32_e32 v0, 0x7f, v1
	v_cmp_ne_u32_e64 s[4:5], s43, v0
	v_mov_b32_e32 v47, 0x7c01
	s_and_saveexec_b64 s[38:39], s[4:5]
	s_cbranch_execz .LBB253_181
; %bb.180:                              ;   in Loop: Header=BB253_9 Depth=1
	v_and_b32_e32 v5, 7, v1
	v_ffbh_u32_e32 v3, v5
	v_min_u32_e32 v9, 32, v3
	v_subrev_u32_e32 v3, 28, v9
	v_lshlrev_b64 v[3:4], v3, v[1:2]
	v_lshrrev_b32_e32 v6, 3, v0
	v_sub_u32_e32 v4, 29, v9
	v_cmp_gt_u32_e64 s[4:5], 8, v0
	v_cndmask_b32_e64 v0, v6, v4, s[4:5]
	v_mov_b32_e32 v6, 0x2000
	v_lshl_add_u32 v0, v0, 10, v6
	v_lshlrev_b32_e32 v4, 8, v1
	v_and_b32_e32 v3, 7, v3
	v_and_b32_e32 v0, 0xfc00, v0
	v_cndmask_b32_e64 v3, v5, v3, s[4:5]
	v_and_or_b32 v0, v4, s44, v0
	v_lshl_or_b32 v47, v3, 7, v0
.LBB253_181:                            ;   in Loop: Header=BB253_9 Depth=1
	s_or_b64 exec, exec, s[38:39]
.LBB253_182:                            ;   in Loop: Header=BB253_9 Depth=1
	s_or_b64 exec, exec, s[36:37]
.LBB253_183:                            ;   in Loop: Header=BB253_9 Depth=1
	s_or_b64 exec, exec, s[34:35]
	v_lshrrev_b16_e32 v1, 8, v1
	v_cmp_ne_u16_e64 s[4:5], 0, v1
	v_mov_b32_e32 v37, 0
	v_mov_b32_e32 v48, 0
	s_and_saveexec_b64 s[34:35], s[4:5]
	s_cbranch_execz .LBB253_189
; %bb.184:                              ;   in Loop: Header=BB253_9 Depth=1
	v_cmp_ne_u16_e64 s[4:5], s42, v1
	v_bfrev_b32_e32 v48, 1
	s_and_saveexec_b64 s[36:37], s[4:5]
	s_cbranch_execz .LBB253_188
; %bb.185:                              ;   in Loop: Header=BB253_9 Depth=1
	v_and_b32_e32 v0, 0x7f, v1
	v_cmp_ne_u32_e64 s[4:5], s43, v0
	v_mov_b32_e32 v48, 0x7c010000
	s_and_saveexec_b64 s[38:39], s[4:5]
	s_cbranch_execz .LBB253_187
; %bb.186:                              ;   in Loop: Header=BB253_9 Depth=1
	v_and_b32_e32 v5, 7, v1
	v_ffbh_u32_e32 v3, v5
	v_min_u32_e32 v9, 32, v3
	v_subrev_u32_e32 v3, 28, v9
	v_lshlrev_b64 v[3:4], v3, v[1:2]
	v_lshrrev_b32_e32 v6, 3, v0
	v_sub_u32_e32 v4, 29, v9
	v_cmp_gt_u32_e64 s[4:5], 8, v0
	v_cndmask_b32_e64 v0, v6, v4, s[4:5]
	v_mov_b32_e32 v4, 0x2000
	v_lshlrev_b32_e32 v1, 8, v1
	v_lshl_add_u32 v0, v0, 10, v4
	v_and_b32_e32 v3, 7, v3
	v_and_or_b32 v0, v1, s44, v0
	v_cndmask_b32_e64 v3, v5, v3, s[4:5]
	v_lshlrev_b32_e32 v0, 16, v0
	v_lshl_or_b32 v48, v3, 23, v0
.LBB253_187:                            ;   in Loop: Header=BB253_9 Depth=1
	s_or_b64 exec, exec, s[38:39]
.LBB253_188:                            ;   in Loop: Header=BB253_9 Depth=1
	s_or_b64 exec, exec, s[36:37]
.LBB253_189:                            ;   in Loop: Header=BB253_9 Depth=1
	s_or_b64 exec, exec, s[34:35]
	global_load_ushort v0, v[7:8], off offset:1800
	s_waitcnt vmcnt(0)
	v_and_b32_e32 v1, 0xffff, v0
	v_cmp_ne_u16_sdwa s[4:5], v0, v2 src0_sel:BYTE_0 src1_sel:DWORD
	s_and_saveexec_b64 s[34:35], s[4:5]
	s_cbranch_execz .LBB253_195
; %bb.190:                              ;   in Loop: Header=BB253_9 Depth=1
	v_cmp_ne_u16_sdwa s[4:5], v1, s42 src0_sel:BYTE_0 src1_sel:DWORD
	v_mov_b32_e32 v37, 0x8000
	s_and_saveexec_b64 s[36:37], s[4:5]
	s_cbranch_execz .LBB253_194
; %bb.191:                              ;   in Loop: Header=BB253_9 Depth=1
	v_and_b32_e32 v0, 0x7f, v1
	v_cmp_ne_u32_e64 s[4:5], s43, v0
	v_mov_b32_e32 v37, 0x7c01
	s_and_saveexec_b64 s[38:39], s[4:5]
	s_cbranch_execz .LBB253_193
; %bb.192:                              ;   in Loop: Header=BB253_9 Depth=1
	v_and_b32_e32 v5, 7, v1
	v_ffbh_u32_e32 v3, v5
	v_min_u32_e32 v9, 32, v3
	v_subrev_u32_e32 v3, 28, v9
	v_lshlrev_b64 v[3:4], v3, v[1:2]
	v_lshrrev_b32_e32 v6, 3, v0
	v_sub_u32_e32 v4, 29, v9
	v_cmp_gt_u32_e64 s[4:5], 8, v0
	v_cndmask_b32_e64 v0, v6, v4, s[4:5]
	v_mov_b32_e32 v6, 0x2000
	v_lshl_add_u32 v0, v0, 10, v6
	v_lshlrev_b32_e32 v4, 8, v1
	v_and_b32_e32 v3, 7, v3
	v_and_b32_e32 v0, 0xfc00, v0
	v_cndmask_b32_e64 v3, v5, v3, s[4:5]
	v_and_or_b32 v0, v4, s44, v0
	v_lshl_or_b32 v37, v3, 7, v0
.LBB253_193:                            ;   in Loop: Header=BB253_9 Depth=1
	s_or_b64 exec, exec, s[38:39]
.LBB253_194:                            ;   in Loop: Header=BB253_9 Depth=1
	s_or_b64 exec, exec, s[36:37]
.LBB253_195:                            ;   in Loop: Header=BB253_9 Depth=1
	s_or_b64 exec, exec, s[34:35]
	v_lshrrev_b16_e32 v1, 8, v1
	v_cmp_ne_u16_e64 s[4:5], 0, v1
	v_mov_b32_e32 v39, 0
	v_mov_b32_e32 v49, 0
	s_and_saveexec_b64 s[34:35], s[4:5]
	s_cbranch_execz .LBB253_201
; %bb.196:                              ;   in Loop: Header=BB253_9 Depth=1
	v_cmp_ne_u16_e64 s[4:5], s42, v1
	v_bfrev_b32_e32 v49, 1
	s_and_saveexec_b64 s[36:37], s[4:5]
	s_cbranch_execz .LBB253_200
; %bb.197:                              ;   in Loop: Header=BB253_9 Depth=1
	v_and_b32_e32 v0, 0x7f, v1
	v_cmp_ne_u32_e64 s[4:5], s43, v0
	v_mov_b32_e32 v49, 0x7c010000
	s_and_saveexec_b64 s[38:39], s[4:5]
	s_cbranch_execz .LBB253_199
; %bb.198:                              ;   in Loop: Header=BB253_9 Depth=1
	v_and_b32_e32 v5, 7, v1
	v_ffbh_u32_e32 v3, v5
	v_min_u32_e32 v9, 32, v3
	v_subrev_u32_e32 v3, 28, v9
	v_lshlrev_b64 v[3:4], v3, v[1:2]
	v_lshrrev_b32_e32 v6, 3, v0
	v_sub_u32_e32 v4, 29, v9
	v_cmp_gt_u32_e64 s[4:5], 8, v0
	v_cndmask_b32_e64 v0, v6, v4, s[4:5]
	v_mov_b32_e32 v4, 0x2000
	v_lshlrev_b32_e32 v1, 8, v1
	v_lshl_add_u32 v0, v0, 10, v4
	v_and_b32_e32 v3, 7, v3
	v_and_or_b32 v0, v1, s44, v0
	v_cndmask_b32_e64 v3, v5, v3, s[4:5]
	v_lshlrev_b32_e32 v0, 16, v0
	v_lshl_or_b32 v49, v3, 23, v0
.LBB253_199:                            ;   in Loop: Header=BB253_9 Depth=1
	s_or_b64 exec, exec, s[38:39]
.LBB253_200:                            ;   in Loop: Header=BB253_9 Depth=1
	s_or_b64 exec, exec, s[36:37]
.LBB253_201:                            ;   in Loop: Header=BB253_9 Depth=1
	s_or_b64 exec, exec, s[34:35]
	global_load_ushort v0, v[7:8], off offset:2048
	s_waitcnt vmcnt(0)
	v_and_b32_e32 v1, 0xffff, v0
	v_cmp_ne_u16_sdwa s[4:5], v0, v2 src0_sel:BYTE_0 src1_sel:DWORD
	s_and_saveexec_b64 s[34:35], s[4:5]
	s_cbranch_execz .LBB253_207
; %bb.202:                              ;   in Loop: Header=BB253_9 Depth=1
	v_cmp_ne_u16_sdwa s[4:5], v1, s42 src0_sel:BYTE_0 src1_sel:DWORD
	v_mov_b32_e32 v39, 0x8000
	s_and_saveexec_b64 s[36:37], s[4:5]
	s_cbranch_execz .LBB253_206
; %bb.203:                              ;   in Loop: Header=BB253_9 Depth=1
	v_and_b32_e32 v0, 0x7f, v1
	v_cmp_ne_u32_e64 s[4:5], s43, v0
	v_mov_b32_e32 v39, 0x7c01
	s_and_saveexec_b64 s[38:39], s[4:5]
	s_cbranch_execz .LBB253_205
; %bb.204:                              ;   in Loop: Header=BB253_9 Depth=1
	v_and_b32_e32 v5, 7, v1
	v_ffbh_u32_e32 v3, v5
	v_min_u32_e32 v9, 32, v3
	v_subrev_u32_e32 v3, 28, v9
	v_lshlrev_b64 v[3:4], v3, v[1:2]
	v_lshrrev_b32_e32 v6, 3, v0
	v_sub_u32_e32 v4, 29, v9
	v_cmp_gt_u32_e64 s[4:5], 8, v0
	v_cndmask_b32_e64 v0, v6, v4, s[4:5]
	v_mov_b32_e32 v6, 0x2000
	v_lshl_add_u32 v0, v0, 10, v6
	v_lshlrev_b32_e32 v4, 8, v1
	v_and_b32_e32 v3, 7, v3
	v_and_b32_e32 v0, 0xfc00, v0
	v_cndmask_b32_e64 v3, v5, v3, s[4:5]
	v_and_or_b32 v0, v4, s44, v0
	v_lshl_or_b32 v39, v3, 7, v0
.LBB253_205:                            ;   in Loop: Header=BB253_9 Depth=1
	s_or_b64 exec, exec, s[38:39]
.LBB253_206:                            ;   in Loop: Header=BB253_9 Depth=1
	s_or_b64 exec, exec, s[36:37]
.LBB253_207:                            ;   in Loop: Header=BB253_9 Depth=1
	s_or_b64 exec, exec, s[34:35]
	v_lshrrev_b16_e32 v1, 8, v1
	v_cmp_ne_u16_e64 s[4:5], 0, v1
	v_mov_b32_e32 v41, 0
	v_mov_b32_e32 v63, 0
	s_and_saveexec_b64 s[34:35], s[4:5]
	s_cbranch_execz .LBB253_213
; %bb.208:                              ;   in Loop: Header=BB253_9 Depth=1
	v_cmp_ne_u16_e64 s[4:5], s42, v1
	v_bfrev_b32_e32 v63, 1
	s_and_saveexec_b64 s[36:37], s[4:5]
	s_cbranch_execz .LBB253_212
; %bb.209:                              ;   in Loop: Header=BB253_9 Depth=1
	v_and_b32_e32 v0, 0x7f, v1
	v_cmp_ne_u32_e64 s[4:5], s43, v0
	v_mov_b32_e32 v63, 0x7c010000
	s_and_saveexec_b64 s[38:39], s[4:5]
	s_cbranch_execz .LBB253_211
; %bb.210:                              ;   in Loop: Header=BB253_9 Depth=1
	v_and_b32_e32 v5, 7, v1
	v_ffbh_u32_e32 v3, v5
	v_min_u32_e32 v9, 32, v3
	v_subrev_u32_e32 v3, 28, v9
	v_lshlrev_b64 v[3:4], v3, v[1:2]
	v_lshrrev_b32_e32 v6, 3, v0
	v_sub_u32_e32 v4, 29, v9
	v_cmp_gt_u32_e64 s[4:5], 8, v0
	v_cndmask_b32_e64 v0, v6, v4, s[4:5]
	v_mov_b32_e32 v4, 0x2000
	v_lshlrev_b32_e32 v1, 8, v1
	v_lshl_add_u32 v0, v0, 10, v4
	v_and_b32_e32 v3, 7, v3
	v_and_or_b32 v0, v1, s44, v0
	v_cndmask_b32_e64 v3, v5, v3, s[4:5]
	v_lshlrev_b32_e32 v0, 16, v0
	v_lshl_or_b32 v63, v3, 23, v0
.LBB253_211:                            ;   in Loop: Header=BB253_9 Depth=1
	s_or_b64 exec, exec, s[38:39]
.LBB253_212:                            ;   in Loop: Header=BB253_9 Depth=1
	s_or_b64 exec, exec, s[36:37]
.LBB253_213:                            ;   in Loop: Header=BB253_9 Depth=1
	s_or_b64 exec, exec, s[34:35]
	global_load_ushort v0, v[7:8], off offset:2056
	s_waitcnt vmcnt(0)
	v_and_b32_e32 v1, 0xffff, v0
	v_cmp_ne_u16_sdwa s[4:5], v0, v2 src0_sel:BYTE_0 src1_sel:DWORD
	s_and_saveexec_b64 s[34:35], s[4:5]
	s_cbranch_execz .LBB253_219
; %bb.214:                              ;   in Loop: Header=BB253_9 Depth=1
	v_cmp_ne_u16_sdwa s[4:5], v1, s42 src0_sel:BYTE_0 src1_sel:DWORD
	v_mov_b32_e32 v41, 0x8000
	s_and_saveexec_b64 s[36:37], s[4:5]
	s_cbranch_execz .LBB253_218
; %bb.215:                              ;   in Loop: Header=BB253_9 Depth=1
	v_and_b32_e32 v0, 0x7f, v1
	v_cmp_ne_u32_e64 s[4:5], s43, v0
	v_mov_b32_e32 v41, 0x7c01
	s_and_saveexec_b64 s[38:39], s[4:5]
	s_cbranch_execz .LBB253_217
; %bb.216:                              ;   in Loop: Header=BB253_9 Depth=1
	v_and_b32_e32 v5, 7, v1
	v_ffbh_u32_e32 v3, v5
	v_min_u32_e32 v9, 32, v3
	v_subrev_u32_e32 v3, 28, v9
	v_lshlrev_b64 v[3:4], v3, v[1:2]
	v_lshrrev_b32_e32 v6, 3, v0
	v_sub_u32_e32 v4, 29, v9
	v_cmp_gt_u32_e64 s[4:5], 8, v0
	v_cndmask_b32_e64 v0, v6, v4, s[4:5]
	v_mov_b32_e32 v6, 0x2000
	v_lshl_add_u32 v0, v0, 10, v6
	v_lshlrev_b32_e32 v4, 8, v1
	v_and_b32_e32 v3, 7, v3
	v_and_b32_e32 v0, 0xfc00, v0
	v_cndmask_b32_e64 v3, v5, v3, s[4:5]
	v_and_or_b32 v0, v4, s44, v0
	v_lshl_or_b32 v41, v3, 7, v0
.LBB253_217:                            ;   in Loop: Header=BB253_9 Depth=1
	s_or_b64 exec, exec, s[38:39]
.LBB253_218:                            ;   in Loop: Header=BB253_9 Depth=1
	s_or_b64 exec, exec, s[36:37]
.LBB253_219:                            ;   in Loop: Header=BB253_9 Depth=1
	s_or_b64 exec, exec, s[34:35]
	v_lshrrev_b16_e32 v1, 8, v1
	v_cmp_ne_u16_e64 s[4:5], 0, v1
	v_mov_b32_e32 v53, 0
	v_mov_b32_e32 v50, 0
	s_and_saveexec_b64 s[34:35], s[4:5]
	s_cbranch_execz .LBB253_225
; %bb.220:                              ;   in Loop: Header=BB253_9 Depth=1
	v_cmp_ne_u16_e64 s[4:5], s42, v1
	v_bfrev_b32_e32 v50, 1
	s_and_saveexec_b64 s[36:37], s[4:5]
	s_cbranch_execz .LBB253_224
; %bb.221:                              ;   in Loop: Header=BB253_9 Depth=1
	v_and_b32_e32 v0, 0x7f, v1
	v_cmp_ne_u32_e64 s[4:5], s43, v0
	v_mov_b32_e32 v50, 0x7c010000
	s_and_saveexec_b64 s[38:39], s[4:5]
	s_cbranch_execz .LBB253_223
; %bb.222:                              ;   in Loop: Header=BB253_9 Depth=1
	v_and_b32_e32 v5, 7, v1
	v_ffbh_u32_e32 v3, v5
	v_min_u32_e32 v9, 32, v3
	v_subrev_u32_e32 v3, 28, v9
	v_lshlrev_b64 v[3:4], v3, v[1:2]
	v_lshrrev_b32_e32 v6, 3, v0
	v_sub_u32_e32 v4, 29, v9
	v_cmp_gt_u32_e64 s[4:5], 8, v0
	v_cndmask_b32_e64 v0, v6, v4, s[4:5]
	v_mov_b32_e32 v4, 0x2000
	v_lshlrev_b32_e32 v1, 8, v1
	v_lshl_add_u32 v0, v0, 10, v4
	v_and_b32_e32 v3, 7, v3
	v_and_or_b32 v0, v1, s44, v0
	v_cndmask_b32_e64 v3, v5, v3, s[4:5]
	v_lshlrev_b32_e32 v0, 16, v0
	v_lshl_or_b32 v50, v3, 23, v0
.LBB253_223:                            ;   in Loop: Header=BB253_9 Depth=1
	s_or_b64 exec, exec, s[38:39]
.LBB253_224:                            ;   in Loop: Header=BB253_9 Depth=1
	s_or_b64 exec, exec, s[36:37]
.LBB253_225:                            ;   in Loop: Header=BB253_9 Depth=1
	s_or_b64 exec, exec, s[34:35]
	global_load_ushort v0, v[7:8], off offset:2304
	s_waitcnt vmcnt(0)
	v_and_b32_e32 v1, 0xffff, v0
	v_cmp_ne_u16_sdwa s[4:5], v0, v2 src0_sel:BYTE_0 src1_sel:DWORD
	s_and_saveexec_b64 s[34:35], s[4:5]
	s_cbranch_execz .LBB253_231
; %bb.226:                              ;   in Loop: Header=BB253_9 Depth=1
	v_cmp_ne_u16_sdwa s[4:5], v1, s42 src0_sel:BYTE_0 src1_sel:DWORD
	v_mov_b32_e32 v53, 0x8000
	s_and_saveexec_b64 s[36:37], s[4:5]
	s_cbranch_execz .LBB253_230
; %bb.227:                              ;   in Loop: Header=BB253_9 Depth=1
	v_and_b32_e32 v0, 0x7f, v1
	v_cmp_ne_u32_e64 s[4:5], s43, v0
	v_mov_b32_e32 v53, 0x7c01
	s_and_saveexec_b64 s[38:39], s[4:5]
	s_cbranch_execz .LBB253_229
; %bb.228:                              ;   in Loop: Header=BB253_9 Depth=1
	v_and_b32_e32 v5, 7, v1
	v_ffbh_u32_e32 v3, v5
	v_min_u32_e32 v9, 32, v3
	v_subrev_u32_e32 v3, 28, v9
	v_lshlrev_b64 v[3:4], v3, v[1:2]
	v_lshrrev_b32_e32 v6, 3, v0
	v_sub_u32_e32 v4, 29, v9
	v_cmp_gt_u32_e64 s[4:5], 8, v0
	v_cndmask_b32_e64 v0, v6, v4, s[4:5]
	v_mov_b32_e32 v6, 0x2000
	v_lshl_add_u32 v0, v0, 10, v6
	v_lshlrev_b32_e32 v4, 8, v1
	v_and_b32_e32 v3, 7, v3
	v_and_b32_e32 v0, 0xfc00, v0
	v_cndmask_b32_e64 v3, v5, v3, s[4:5]
	v_and_or_b32 v0, v4, s44, v0
	v_lshl_or_b32 v53, v3, 7, v0
.LBB253_229:                            ;   in Loop: Header=BB253_9 Depth=1
	s_or_b64 exec, exec, s[38:39]
.LBB253_230:                            ;   in Loop: Header=BB253_9 Depth=1
	s_or_b64 exec, exec, s[36:37]
.LBB253_231:                            ;   in Loop: Header=BB253_9 Depth=1
	s_or_b64 exec, exec, s[34:35]
	v_lshrrev_b16_e32 v1, 8, v1
	v_cmp_ne_u16_e64 s[4:5], 0, v1
	v_mov_b32_e32 v57, 0
	v_mov_b32_e32 v56, 0
	s_and_saveexec_b64 s[34:35], s[4:5]
	s_cbranch_execz .LBB253_237
; %bb.232:                              ;   in Loop: Header=BB253_9 Depth=1
	v_cmp_ne_u16_e64 s[4:5], s42, v1
	v_bfrev_b32_e32 v56, 1
	s_and_saveexec_b64 s[36:37], s[4:5]
	s_cbranch_execz .LBB253_236
; %bb.233:                              ;   in Loop: Header=BB253_9 Depth=1
	v_and_b32_e32 v0, 0x7f, v1
	v_cmp_ne_u32_e64 s[4:5], s43, v0
	v_mov_b32_e32 v56, 0x7c010000
	s_and_saveexec_b64 s[38:39], s[4:5]
	s_cbranch_execz .LBB253_235
; %bb.234:                              ;   in Loop: Header=BB253_9 Depth=1
	v_and_b32_e32 v5, 7, v1
	v_ffbh_u32_e32 v3, v5
	v_min_u32_e32 v9, 32, v3
	v_subrev_u32_e32 v3, 28, v9
	v_lshlrev_b64 v[3:4], v3, v[1:2]
	v_lshrrev_b32_e32 v6, 3, v0
	v_sub_u32_e32 v4, 29, v9
	v_cmp_gt_u32_e64 s[4:5], 8, v0
	v_cndmask_b32_e64 v0, v6, v4, s[4:5]
	v_mov_b32_e32 v4, 0x2000
	v_lshlrev_b32_e32 v1, 8, v1
	v_lshl_add_u32 v0, v0, 10, v4
	v_and_b32_e32 v3, 7, v3
	v_and_or_b32 v0, v1, s44, v0
	v_cndmask_b32_e64 v3, v5, v3, s[4:5]
	v_lshlrev_b32_e32 v0, 16, v0
	v_lshl_or_b32 v56, v3, 23, v0
.LBB253_235:                            ;   in Loop: Header=BB253_9 Depth=1
	s_or_b64 exec, exec, s[38:39]
.LBB253_236:                            ;   in Loop: Header=BB253_9 Depth=1
	s_or_b64 exec, exec, s[36:37]
.LBB253_237:                            ;   in Loop: Header=BB253_9 Depth=1
	s_or_b64 exec, exec, s[34:35]
	global_load_ushort v0, v[7:8], off offset:2312
	s_waitcnt vmcnt(0)
	v_and_b32_e32 v1, 0xffff, v0
	v_cmp_ne_u16_sdwa s[4:5], v0, v2 src0_sel:BYTE_0 src1_sel:DWORD
	s_and_saveexec_b64 s[34:35], s[4:5]
	s_cbranch_execz .LBB253_243
; %bb.238:                              ;   in Loop: Header=BB253_9 Depth=1
	v_cmp_ne_u16_sdwa s[4:5], v1, s42 src0_sel:BYTE_0 src1_sel:DWORD
	v_mov_b32_e32 v57, 0x8000
	s_and_saveexec_b64 s[36:37], s[4:5]
	s_cbranch_execz .LBB253_242
; %bb.239:                              ;   in Loop: Header=BB253_9 Depth=1
	v_and_b32_e32 v0, 0x7f, v1
	v_cmp_ne_u32_e64 s[4:5], s43, v0
	v_mov_b32_e32 v57, 0x7c01
	s_and_saveexec_b64 s[38:39], s[4:5]
	s_cbranch_execz .LBB253_241
; %bb.240:                              ;   in Loop: Header=BB253_9 Depth=1
	v_and_b32_e32 v5, 7, v1
	v_ffbh_u32_e32 v3, v5
	v_min_u32_e32 v9, 32, v3
	v_subrev_u32_e32 v3, 28, v9
	v_lshlrev_b64 v[3:4], v3, v[1:2]
	v_lshrrev_b32_e32 v6, 3, v0
	v_sub_u32_e32 v4, 29, v9
	v_cmp_gt_u32_e64 s[4:5], 8, v0
	v_cndmask_b32_e64 v0, v6, v4, s[4:5]
	v_mov_b32_e32 v6, 0x2000
	v_lshl_add_u32 v0, v0, 10, v6
	v_lshlrev_b32_e32 v4, 8, v1
	v_and_b32_e32 v3, 7, v3
	v_and_b32_e32 v0, 0xfc00, v0
	v_cndmask_b32_e64 v3, v5, v3, s[4:5]
	v_and_or_b32 v0, v4, s44, v0
	v_lshl_or_b32 v57, v3, 7, v0
.LBB253_241:                            ;   in Loop: Header=BB253_9 Depth=1
	s_or_b64 exec, exec, s[38:39]
.LBB253_242:                            ;   in Loop: Header=BB253_9 Depth=1
	s_or_b64 exec, exec, s[36:37]
.LBB253_243:                            ;   in Loop: Header=BB253_9 Depth=1
	s_or_b64 exec, exec, s[34:35]
	v_lshrrev_b16_e32 v1, 8, v1
	v_cmp_ne_u16_e64 s[4:5], 0, v1
	v_mov_b32_e32 v5, 0
	v_mov_b32_e32 v58, 0
	s_and_saveexec_b64 s[34:35], s[4:5]
	s_cbranch_execz .LBB253_249
; %bb.244:                              ;   in Loop: Header=BB253_9 Depth=1
	v_cmp_ne_u16_e64 s[4:5], s42, v1
	v_bfrev_b32_e32 v58, 1
	s_and_saveexec_b64 s[36:37], s[4:5]
	s_cbranch_execz .LBB253_248
; %bb.245:                              ;   in Loop: Header=BB253_9 Depth=1
	v_and_b32_e32 v0, 0x7f, v1
	v_cmp_ne_u32_e64 s[4:5], s43, v0
	v_mov_b32_e32 v58, 0x7c010000
	s_and_saveexec_b64 s[38:39], s[4:5]
	s_cbranch_execz .LBB253_247
; %bb.246:                              ;   in Loop: Header=BB253_9 Depth=1
	v_and_b32_e32 v6, 7, v1
	v_lshrrev_b32_e32 v9, 3, v0
	v_cmp_gt_u32_e64 s[4:5], 8, v0
	v_ffbh_u32_e32 v0, v6
	v_min_u32_e32 v0, 32, v0
	v_subrev_u32_e32 v3, 28, v0
	v_lshlrev_b64 v[3:4], v3, v[1:2]
	v_sub_u32_e32 v0, 29, v0
	v_cndmask_b32_e64 v0, v9, v0, s[4:5]
	v_mov_b32_e32 v4, 0x2000
	v_lshlrev_b32_e32 v1, 8, v1
	v_lshl_add_u32 v0, v0, 10, v4
	v_and_b32_e32 v3, 7, v3
	v_and_or_b32 v0, v1, s44, v0
	v_cndmask_b32_e64 v3, v6, v3, s[4:5]
	v_lshlrev_b32_e32 v0, 16, v0
	v_lshl_or_b32 v58, v3, 23, v0
.LBB253_247:                            ;   in Loop: Header=BB253_9 Depth=1
	s_or_b64 exec, exec, s[38:39]
.LBB253_248:                            ;   in Loop: Header=BB253_9 Depth=1
	s_or_b64 exec, exec, s[36:37]
.LBB253_249:                            ;   in Loop: Header=BB253_9 Depth=1
	s_or_b64 exec, exec, s[34:35]
	global_load_ushort v0, v[7:8], off offset:2560
	s_waitcnt vmcnt(0)
	v_and_b32_e32 v1, 0xffff, v0
	v_cmp_ne_u16_sdwa s[4:5], v0, v2 src0_sel:BYTE_0 src1_sel:DWORD
	s_and_saveexec_b64 s[34:35], s[4:5]
	s_cbranch_execz .LBB253_255
; %bb.250:                              ;   in Loop: Header=BB253_9 Depth=1
	v_cmp_ne_u16_sdwa s[4:5], v1, s42 src0_sel:BYTE_0 src1_sel:DWORD
	v_mov_b32_e32 v5, 0x8000
	s_and_saveexec_b64 s[36:37], s[4:5]
	s_cbranch_execz .LBB253_254
; %bb.251:                              ;   in Loop: Header=BB253_9 Depth=1
	v_and_b32_e32 v0, 0x7f, v1
	v_cmp_ne_u32_e64 s[4:5], s43, v0
	v_mov_b32_e32 v5, 0x7c01
	s_and_saveexec_b64 s[38:39], s[4:5]
	s_cbranch_execz .LBB253_253
; %bb.252:                              ;   in Loop: Header=BB253_9 Depth=1
	v_and_b32_e32 v5, 7, v1
	v_lshrrev_b32_e32 v6, 3, v0
	v_cmp_gt_u32_e64 s[4:5], 8, v0
	v_ffbh_u32_e32 v0, v5
	v_min_u32_e32 v0, 32, v0
	v_subrev_u32_e32 v3, 28, v0
	v_sub_u32_e32 v0, 29, v0
	v_lshlrev_b64 v[3:4], v3, v[1:2]
	v_cndmask_b32_e64 v0, v6, v0, s[4:5]
	v_mov_b32_e32 v6, 0x2000
	v_lshl_add_u32 v0, v0, 10, v6
	v_lshlrev_b32_e32 v4, 8, v1
	v_and_b32_e32 v3, 7, v3
	v_and_b32_e32 v0, 0xfc00, v0
	v_cndmask_b32_e64 v3, v5, v3, s[4:5]
	v_and_or_b32 v0, v4, s44, v0
	v_lshl_or_b32 v5, v3, 7, v0
.LBB253_253:                            ;   in Loop: Header=BB253_9 Depth=1
	s_or_b64 exec, exec, s[38:39]
.LBB253_254:                            ;   in Loop: Header=BB253_9 Depth=1
	s_or_b64 exec, exec, s[36:37]
.LBB253_255:                            ;   in Loop: Header=BB253_9 Depth=1
	s_or_b64 exec, exec, s[34:35]
	v_lshrrev_b16_e32 v1, 8, v1
	v_cmp_ne_u16_e64 s[4:5], 0, v1
	v_mov_b32_e32 v59, 0
	v_mov_b32_e32 v61, 0
	s_and_saveexec_b64 s[34:35], s[4:5]
	s_cbranch_execz .LBB253_261
; %bb.256:                              ;   in Loop: Header=BB253_9 Depth=1
	v_cmp_ne_u16_e64 s[4:5], s42, v1
	v_bfrev_b32_e32 v61, 1
	s_and_saveexec_b64 s[36:37], s[4:5]
	s_cbranch_execz .LBB253_260
; %bb.257:                              ;   in Loop: Header=BB253_9 Depth=1
	v_and_b32_e32 v0, 0x7f, v1
	v_cmp_ne_u32_e64 s[4:5], s43, v0
	v_mov_b32_e32 v61, 0x7c010000
	s_and_saveexec_b64 s[38:39], s[4:5]
	s_cbranch_execz .LBB253_259
; %bb.258:                              ;   in Loop: Header=BB253_9 Depth=1
	v_and_b32_e32 v6, 7, v1
	v_lshrrev_b32_e32 v9, 3, v0
	v_cmp_gt_u32_e64 s[4:5], 8, v0
	v_ffbh_u32_e32 v0, v6
	v_min_u32_e32 v0, 32, v0
	v_subrev_u32_e32 v3, 28, v0
	v_lshlrev_b64 v[3:4], v3, v[1:2]
	v_sub_u32_e32 v0, 29, v0
	v_cndmask_b32_e64 v0, v9, v0, s[4:5]
	v_mov_b32_e32 v4, 0x2000
	v_lshlrev_b32_e32 v1, 8, v1
	v_lshl_add_u32 v0, v0, 10, v4
	v_and_b32_e32 v3, 7, v3
	v_and_or_b32 v0, v1, s44, v0
	v_cndmask_b32_e64 v3, v6, v3, s[4:5]
	v_lshlrev_b32_e32 v0, 16, v0
	v_lshl_or_b32 v61, v3, 23, v0
.LBB253_259:                            ;   in Loop: Header=BB253_9 Depth=1
	s_or_b64 exec, exec, s[38:39]
.LBB253_260:                            ;   in Loop: Header=BB253_9 Depth=1
	s_or_b64 exec, exec, s[36:37]
.LBB253_261:                            ;   in Loop: Header=BB253_9 Depth=1
	s_or_b64 exec, exec, s[34:35]
	global_load_ushort v0, v[7:8], off offset:2568
	s_waitcnt vmcnt(0)
	v_and_b32_e32 v1, 0xffff, v0
	v_cmp_ne_u16_sdwa s[4:5], v0, v2 src0_sel:BYTE_0 src1_sel:DWORD
	s_and_saveexec_b64 s[34:35], s[4:5]
	s_cbranch_execz .LBB253_267
; %bb.262:                              ;   in Loop: Header=BB253_9 Depth=1
	v_cmp_ne_u16_sdwa s[4:5], v1, s42 src0_sel:BYTE_0 src1_sel:DWORD
	v_mov_b32_e32 v59, 0x8000
	s_and_saveexec_b64 s[36:37], s[4:5]
	s_cbranch_execz .LBB253_266
; %bb.263:                              ;   in Loop: Header=BB253_9 Depth=1
	v_and_b32_e32 v0, 0x7f, v1
	v_cmp_ne_u32_e64 s[4:5], s43, v0
	v_mov_b32_e32 v59, 0x7c01
	s_and_saveexec_b64 s[38:39], s[4:5]
	s_cbranch_execz .LBB253_265
; %bb.264:                              ;   in Loop: Header=BB253_9 Depth=1
	v_and_b32_e32 v6, 7, v1
	v_lshrrev_b32_e32 v9, 3, v0
	v_cmp_gt_u32_e64 s[4:5], 8, v0
	v_ffbh_u32_e32 v0, v6
	v_min_u32_e32 v0, 32, v0
	v_subrev_u32_e32 v3, 28, v0
	v_sub_u32_e32 v0, 29, v0
	v_lshlrev_b64 v[3:4], v3, v[1:2]
	v_cndmask_b32_e64 v0, v9, v0, s[4:5]
	v_mov_b32_e32 v9, 0x2000
	v_lshl_add_u32 v0, v0, 10, v9
	v_lshlrev_b32_e32 v4, 8, v1
	v_and_b32_e32 v3, 7, v3
	v_and_b32_e32 v0, 0xfc00, v0
	v_cndmask_b32_e64 v3, v6, v3, s[4:5]
	v_and_or_b32 v0, v4, s44, v0
	v_lshl_or_b32 v59, v3, 7, v0
.LBB253_265:                            ;   in Loop: Header=BB253_9 Depth=1
	s_or_b64 exec, exec, s[38:39]
.LBB253_266:                            ;   in Loop: Header=BB253_9 Depth=1
	s_or_b64 exec, exec, s[36:37]
.LBB253_267:                            ;   in Loop: Header=BB253_9 Depth=1
	s_or_b64 exec, exec, s[34:35]
	v_lshrrev_b16_e32 v1, 8, v1
	v_cmp_ne_u16_e64 s[4:5], 0, v1
	v_mov_b32_e32 v23, 0
	v_mov_b32_e32 v16, 0
	s_and_saveexec_b64 s[34:35], s[4:5]
	s_cbranch_execz .LBB253_273
; %bb.268:                              ;   in Loop: Header=BB253_9 Depth=1
	v_cmp_ne_u16_e64 s[4:5], s42, v1
	v_bfrev_b32_e32 v16, 1
	s_and_saveexec_b64 s[36:37], s[4:5]
	s_cbranch_execz .LBB253_272
; %bb.269:                              ;   in Loop: Header=BB253_9 Depth=1
	v_and_b32_e32 v0, 0x7f, v1
	v_cmp_ne_u32_e64 s[4:5], s43, v0
	v_mov_b32_e32 v16, 0x7c010000
	s_and_saveexec_b64 s[38:39], s[4:5]
	s_cbranch_execz .LBB253_271
; %bb.270:                              ;   in Loop: Header=BB253_9 Depth=1
	v_and_b32_e32 v6, 7, v1
	v_lshrrev_b32_e32 v9, 3, v0
	v_cmp_gt_u32_e64 s[4:5], 8, v0
	v_ffbh_u32_e32 v0, v6
	v_min_u32_e32 v0, 32, v0
	v_subrev_u32_e32 v3, 28, v0
	v_lshlrev_b64 v[3:4], v3, v[1:2]
	v_sub_u32_e32 v0, 29, v0
	v_cndmask_b32_e64 v0, v9, v0, s[4:5]
	v_mov_b32_e32 v4, 0x2000
	v_lshlrev_b32_e32 v1, 8, v1
	v_lshl_add_u32 v0, v0, 10, v4
	v_and_b32_e32 v3, 7, v3
	v_and_or_b32 v0, v1, s44, v0
	v_cndmask_b32_e64 v3, v6, v3, s[4:5]
	v_lshlrev_b32_e32 v0, 16, v0
	v_lshl_or_b32 v16, v3, 23, v0
.LBB253_271:                            ;   in Loop: Header=BB253_9 Depth=1
	s_or_b64 exec, exec, s[38:39]
.LBB253_272:                            ;   in Loop: Header=BB253_9 Depth=1
	s_or_b64 exec, exec, s[36:37]
.LBB253_273:                            ;   in Loop: Header=BB253_9 Depth=1
	s_or_b64 exec, exec, s[34:35]
	global_load_ushort v0, v[7:8], off offset:2816
	s_waitcnt vmcnt(0)
	v_and_b32_e32 v1, 0xffff, v0
	v_cmp_ne_u16_sdwa s[4:5], v0, v2 src0_sel:BYTE_0 src1_sel:DWORD
	s_and_saveexec_b64 s[34:35], s[4:5]
	s_cbranch_execz .LBB253_279
; %bb.274:                              ;   in Loop: Header=BB253_9 Depth=1
	v_cmp_ne_u16_sdwa s[4:5], v1, s42 src0_sel:BYTE_0 src1_sel:DWORD
	v_mov_b32_e32 v23, 0x8000
	s_and_saveexec_b64 s[36:37], s[4:5]
	s_cbranch_execz .LBB253_278
; %bb.275:                              ;   in Loop: Header=BB253_9 Depth=1
	v_and_b32_e32 v0, 0x7f, v1
	v_cmp_ne_u32_e64 s[4:5], s43, v0
	v_mov_b32_e32 v23, 0x7c01
	s_and_saveexec_b64 s[38:39], s[4:5]
	s_cbranch_execz .LBB253_277
; %bb.276:                              ;   in Loop: Header=BB253_9 Depth=1
	v_and_b32_e32 v6, 7, v1
	v_lshrrev_b32_e32 v9, 3, v0
	v_cmp_gt_u32_e64 s[4:5], 8, v0
	v_ffbh_u32_e32 v0, v6
	v_min_u32_e32 v0, 32, v0
	v_subrev_u32_e32 v3, 28, v0
	v_sub_u32_e32 v0, 29, v0
	v_lshlrev_b64 v[3:4], v3, v[1:2]
	v_cndmask_b32_e64 v0, v9, v0, s[4:5]
	v_mov_b32_e32 v9, 0x2000
	v_lshl_add_u32 v0, v0, 10, v9
	v_lshlrev_b32_e32 v4, 8, v1
	v_and_b32_e32 v3, 7, v3
	v_and_b32_e32 v0, 0xfc00, v0
	v_cndmask_b32_e64 v3, v6, v3, s[4:5]
	v_and_or_b32 v0, v4, s44, v0
	v_lshl_or_b32 v23, v3, 7, v0
.LBB253_277:                            ;   in Loop: Header=BB253_9 Depth=1
	s_or_b64 exec, exec, s[38:39]
.LBB253_278:                            ;   in Loop: Header=BB253_9 Depth=1
	s_or_b64 exec, exec, s[36:37]
.LBB253_279:                            ;   in Loop: Header=BB253_9 Depth=1
	s_or_b64 exec, exec, s[34:35]
	v_lshrrev_b16_e32 v1, 8, v1
	v_cmp_ne_u16_e64 s[4:5], 0, v1
	v_mov_b32_e32 v27, 0
	v_mov_b32_e32 v33, 0
	s_and_saveexec_b64 s[34:35], s[4:5]
	s_cbranch_execz .LBB253_285
; %bb.280:                              ;   in Loop: Header=BB253_9 Depth=1
	v_cmp_ne_u16_e64 s[4:5], s42, v1
	v_bfrev_b32_e32 v33, 1
	s_and_saveexec_b64 s[36:37], s[4:5]
	s_cbranch_execz .LBB253_284
; %bb.281:                              ;   in Loop: Header=BB253_9 Depth=1
	v_and_b32_e32 v0, 0x7f, v1
	v_cmp_ne_u32_e64 s[4:5], s43, v0
	v_mov_b32_e32 v33, 0x7c010000
	s_and_saveexec_b64 s[38:39], s[4:5]
	s_cbranch_execz .LBB253_283
; %bb.282:                              ;   in Loop: Header=BB253_9 Depth=1
	v_and_b32_e32 v6, 7, v1
	v_lshrrev_b32_e32 v9, 3, v0
	v_cmp_gt_u32_e64 s[4:5], 8, v0
	v_ffbh_u32_e32 v0, v6
	v_min_u32_e32 v0, 32, v0
	v_subrev_u32_e32 v3, 28, v0
	v_lshlrev_b64 v[3:4], v3, v[1:2]
	v_sub_u32_e32 v0, 29, v0
	v_cndmask_b32_e64 v0, v9, v0, s[4:5]
	v_mov_b32_e32 v4, 0x2000
	v_lshlrev_b32_e32 v1, 8, v1
	v_lshl_add_u32 v0, v0, 10, v4
	v_and_b32_e32 v3, 7, v3
	v_and_or_b32 v0, v1, s44, v0
	v_cndmask_b32_e64 v3, v6, v3, s[4:5]
	v_lshlrev_b32_e32 v0, 16, v0
	v_lshl_or_b32 v33, v3, 23, v0
.LBB253_283:                            ;   in Loop: Header=BB253_9 Depth=1
	s_or_b64 exec, exec, s[38:39]
.LBB253_284:                            ;   in Loop: Header=BB253_9 Depth=1
	s_or_b64 exec, exec, s[36:37]
.LBB253_285:                            ;   in Loop: Header=BB253_9 Depth=1
	s_or_b64 exec, exec, s[34:35]
	global_load_ushort v0, v[7:8], off offset:2824
	s_waitcnt vmcnt(0)
	v_and_b32_e32 v1, 0xffff, v0
	v_cmp_ne_u16_sdwa s[4:5], v0, v2 src0_sel:BYTE_0 src1_sel:DWORD
	s_and_saveexec_b64 s[34:35], s[4:5]
	s_cbranch_execz .LBB253_291
; %bb.286:                              ;   in Loop: Header=BB253_9 Depth=1
	v_cmp_ne_u16_sdwa s[4:5], v1, s42 src0_sel:BYTE_0 src1_sel:DWORD
	v_mov_b32_e32 v27, 0x8000
	s_and_saveexec_b64 s[36:37], s[4:5]
	s_cbranch_execz .LBB253_290
; %bb.287:                              ;   in Loop: Header=BB253_9 Depth=1
	v_and_b32_e32 v0, 0x7f, v1
	v_cmp_ne_u32_e64 s[4:5], s43, v0
	v_mov_b32_e32 v27, 0x7c01
	s_and_saveexec_b64 s[38:39], s[4:5]
	s_cbranch_execz .LBB253_289
; %bb.288:                              ;   in Loop: Header=BB253_9 Depth=1
	v_and_b32_e32 v6, 7, v1
	v_lshrrev_b32_e32 v9, 3, v0
	v_cmp_gt_u32_e64 s[4:5], 8, v0
	v_ffbh_u32_e32 v0, v6
	v_min_u32_e32 v0, 32, v0
	v_subrev_u32_e32 v3, 28, v0
	v_sub_u32_e32 v0, 29, v0
	v_lshlrev_b64 v[3:4], v3, v[1:2]
	v_cndmask_b32_e64 v0, v9, v0, s[4:5]
	v_mov_b32_e32 v9, 0x2000
	v_lshl_add_u32 v0, v0, 10, v9
	v_lshlrev_b32_e32 v4, 8, v1
	v_and_b32_e32 v3, 7, v3
	v_and_b32_e32 v0, 0xfc00, v0
	v_cndmask_b32_e64 v3, v6, v3, s[4:5]
	v_and_or_b32 v0, v4, s44, v0
	v_lshl_or_b32 v27, v3, 7, v0
.LBB253_289:                            ;   in Loop: Header=BB253_9 Depth=1
	s_or_b64 exec, exec, s[38:39]
.LBB253_290:                            ;   in Loop: Header=BB253_9 Depth=1
	s_or_b64 exec, exec, s[36:37]
.LBB253_291:                            ;   in Loop: Header=BB253_9 Depth=1
	s_or_b64 exec, exec, s[34:35]
	v_lshrrev_b16_e32 v1, 8, v1
	v_cmp_ne_u16_e64 s[4:5], 0, v1
	v_mov_b32_e32 v11, 0
	v_mov_b32_e32 v31, 0
	s_and_saveexec_b64 s[34:35], s[4:5]
	s_cbranch_execz .LBB253_297
; %bb.292:                              ;   in Loop: Header=BB253_9 Depth=1
	v_cmp_ne_u16_e64 s[4:5], s42, v1
	v_bfrev_b32_e32 v31, 1
	s_and_saveexec_b64 s[36:37], s[4:5]
	s_cbranch_execz .LBB253_296
; %bb.293:                              ;   in Loop: Header=BB253_9 Depth=1
	v_and_b32_e32 v0, 0x7f, v1
	v_cmp_ne_u32_e64 s[4:5], s43, v0
	v_mov_b32_e32 v31, 0x7c010000
	s_and_saveexec_b64 s[38:39], s[4:5]
	s_cbranch_execz .LBB253_295
; %bb.294:                              ;   in Loop: Header=BB253_9 Depth=1
	v_and_b32_e32 v6, 7, v1
	v_lshrrev_b32_e32 v9, 3, v0
	v_cmp_gt_u32_e64 s[4:5], 8, v0
	v_ffbh_u32_e32 v0, v6
	v_min_u32_e32 v0, 32, v0
	v_subrev_u32_e32 v3, 28, v0
	v_lshlrev_b64 v[3:4], v3, v[1:2]
	v_sub_u32_e32 v0, 29, v0
	v_cndmask_b32_e64 v0, v9, v0, s[4:5]
	v_mov_b32_e32 v4, 0x2000
	v_lshlrev_b32_e32 v1, 8, v1
	v_lshl_add_u32 v0, v0, 10, v4
	v_and_b32_e32 v3, 7, v3
	v_and_or_b32 v0, v1, s44, v0
	v_cndmask_b32_e64 v3, v6, v3, s[4:5]
	v_lshlrev_b32_e32 v0, 16, v0
	v_lshl_or_b32 v31, v3, 23, v0
.LBB253_295:                            ;   in Loop: Header=BB253_9 Depth=1
	s_or_b64 exec, exec, s[38:39]
.LBB253_296:                            ;   in Loop: Header=BB253_9 Depth=1
	s_or_b64 exec, exec, s[36:37]
.LBB253_297:                            ;   in Loop: Header=BB253_9 Depth=1
	s_or_b64 exec, exec, s[34:35]
	global_load_ushort v0, v[7:8], off offset:3072
	s_waitcnt vmcnt(0)
	v_and_b32_e32 v1, 0xffff, v0
	v_cmp_ne_u16_sdwa s[4:5], v0, v2 src0_sel:BYTE_0 src1_sel:DWORD
	s_and_saveexec_b64 s[34:35], s[4:5]
	s_cbranch_execz .LBB253_303
; %bb.298:                              ;   in Loop: Header=BB253_9 Depth=1
	v_cmp_ne_u16_sdwa s[4:5], v1, s42 src0_sel:BYTE_0 src1_sel:DWORD
	v_mov_b32_e32 v11, 0x8000
	s_and_saveexec_b64 s[36:37], s[4:5]
	s_cbranch_execz .LBB253_302
; %bb.299:                              ;   in Loop: Header=BB253_9 Depth=1
	v_and_b32_e32 v0, 0x7f, v1
	v_cmp_ne_u32_e64 s[4:5], s43, v0
	v_mov_b32_e32 v11, 0x7c01
	s_and_saveexec_b64 s[38:39], s[4:5]
	s_cbranch_execz .LBB253_301
; %bb.300:                              ;   in Loop: Header=BB253_9 Depth=1
	v_and_b32_e32 v6, 7, v1
	v_lshrrev_b32_e32 v9, 3, v0
	v_cmp_gt_u32_e64 s[4:5], 8, v0
	v_ffbh_u32_e32 v0, v6
	v_min_u32_e32 v0, 32, v0
	v_subrev_u32_e32 v3, 28, v0
	v_sub_u32_e32 v0, 29, v0
	v_lshlrev_b64 v[3:4], v3, v[1:2]
	v_cndmask_b32_e64 v0, v9, v0, s[4:5]
	v_mov_b32_e32 v9, 0x2000
	v_lshl_add_u32 v0, v0, 10, v9
	v_lshlrev_b32_e32 v4, 8, v1
	v_and_b32_e32 v3, 7, v3
	v_and_b32_e32 v0, 0xfc00, v0
	v_cndmask_b32_e64 v3, v6, v3, s[4:5]
	v_and_or_b32 v0, v4, s44, v0
	v_lshl_or_b32 v11, v3, 7, v0
.LBB253_301:                            ;   in Loop: Header=BB253_9 Depth=1
	s_or_b64 exec, exec, s[38:39]
.LBB253_302:                            ;   in Loop: Header=BB253_9 Depth=1
	s_or_b64 exec, exec, s[36:37]
.LBB253_303:                            ;   in Loop: Header=BB253_9 Depth=1
	s_or_b64 exec, exec, s[34:35]
	v_lshrrev_b16_e32 v1, 8, v1
	v_cmp_ne_u16_e64 s[4:5], 0, v1
	v_mov_b32_e32 v19, 0
	v_mov_b32_e32 v25, 0
	s_and_saveexec_b64 s[34:35], s[4:5]
	s_cbranch_execz .LBB253_309
; %bb.304:                              ;   in Loop: Header=BB253_9 Depth=1
	v_cmp_ne_u16_e64 s[4:5], s42, v1
	v_bfrev_b32_e32 v25, 1
	s_and_saveexec_b64 s[36:37], s[4:5]
	s_cbranch_execz .LBB253_308
; %bb.305:                              ;   in Loop: Header=BB253_9 Depth=1
	v_and_b32_e32 v0, 0x7f, v1
	v_cmp_ne_u32_e64 s[4:5], s43, v0
	v_mov_b32_e32 v25, 0x7c010000
	s_and_saveexec_b64 s[38:39], s[4:5]
	s_cbranch_execz .LBB253_307
; %bb.306:                              ;   in Loop: Header=BB253_9 Depth=1
	v_and_b32_e32 v6, 7, v1
	v_lshrrev_b32_e32 v9, 3, v0
	v_cmp_gt_u32_e64 s[4:5], 8, v0
	v_ffbh_u32_e32 v0, v6
	v_min_u32_e32 v0, 32, v0
	v_subrev_u32_e32 v3, 28, v0
	v_lshlrev_b64 v[3:4], v3, v[1:2]
	v_sub_u32_e32 v0, 29, v0
	v_cndmask_b32_e64 v0, v9, v0, s[4:5]
	v_mov_b32_e32 v4, 0x2000
	v_lshlrev_b32_e32 v1, 8, v1
	v_lshl_add_u32 v0, v0, 10, v4
	v_and_b32_e32 v3, 7, v3
	v_and_or_b32 v0, v1, s44, v0
	v_cndmask_b32_e64 v3, v6, v3, s[4:5]
	v_lshlrev_b32_e32 v0, 16, v0
	v_lshl_or_b32 v25, v3, 23, v0
.LBB253_307:                            ;   in Loop: Header=BB253_9 Depth=1
	s_or_b64 exec, exec, s[38:39]
.LBB253_308:                            ;   in Loop: Header=BB253_9 Depth=1
	s_or_b64 exec, exec, s[36:37]
.LBB253_309:                            ;   in Loop: Header=BB253_9 Depth=1
	s_or_b64 exec, exec, s[34:35]
	global_load_ushort v0, v[7:8], off offset:3080
	s_waitcnt vmcnt(0)
	v_and_b32_e32 v1, 0xffff, v0
	v_cmp_ne_u16_sdwa s[4:5], v0, v2 src0_sel:BYTE_0 src1_sel:DWORD
	s_and_saveexec_b64 s[34:35], s[4:5]
	s_cbranch_execz .LBB253_315
; %bb.310:                              ;   in Loop: Header=BB253_9 Depth=1
	v_cmp_ne_u16_sdwa s[4:5], v1, s42 src0_sel:BYTE_0 src1_sel:DWORD
	v_mov_b32_e32 v19, 0x8000
	s_and_saveexec_b64 s[36:37], s[4:5]
	s_cbranch_execz .LBB253_314
; %bb.311:                              ;   in Loop: Header=BB253_9 Depth=1
	v_and_b32_e32 v0, 0x7f, v1
	v_cmp_ne_u32_e64 s[4:5], s43, v0
	v_mov_b32_e32 v19, 0x7c01
	s_and_saveexec_b64 s[38:39], s[4:5]
	s_cbranch_execz .LBB253_313
; %bb.312:                              ;   in Loop: Header=BB253_9 Depth=1
	v_and_b32_e32 v6, 7, v1
	v_lshrrev_b32_e32 v9, 3, v0
	v_cmp_gt_u32_e64 s[4:5], 8, v0
	v_ffbh_u32_e32 v0, v6
	v_min_u32_e32 v0, 32, v0
	v_subrev_u32_e32 v3, 28, v0
	v_sub_u32_e32 v0, 29, v0
	v_lshlrev_b64 v[3:4], v3, v[1:2]
	v_cndmask_b32_e64 v0, v9, v0, s[4:5]
	v_mov_b32_e32 v9, 0x2000
	v_lshl_add_u32 v0, v0, 10, v9
	v_lshlrev_b32_e32 v4, 8, v1
	v_and_b32_e32 v3, 7, v3
	v_and_b32_e32 v0, 0xfc00, v0
	v_cndmask_b32_e64 v3, v6, v3, s[4:5]
	v_and_or_b32 v0, v4, s44, v0
	v_lshl_or_b32 v19, v3, 7, v0
.LBB253_313:                            ;   in Loop: Header=BB253_9 Depth=1
	s_or_b64 exec, exec, s[38:39]
.LBB253_314:                            ;   in Loop: Header=BB253_9 Depth=1
	s_or_b64 exec, exec, s[36:37]
.LBB253_315:                            ;   in Loop: Header=BB253_9 Depth=1
	s_or_b64 exec, exec, s[34:35]
	v_lshrrev_b16_e32 v1, 8, v1
	v_cmp_ne_u16_e64 s[4:5], 0, v1
	v_mov_b32_e32 v0, 0
	v_mov_b32_e32 v29, 0
	s_and_saveexec_b64 s[34:35], s[4:5]
	s_cbranch_execz .LBB253_321
; %bb.316:                              ;   in Loop: Header=BB253_9 Depth=1
	v_cmp_ne_u16_e64 s[4:5], s42, v1
	v_bfrev_b32_e32 v29, 1
	s_and_saveexec_b64 s[36:37], s[4:5]
	s_cbranch_execz .LBB253_320
; %bb.317:                              ;   in Loop: Header=BB253_9 Depth=1
	v_and_b32_e32 v3, 0x7f, v1
	v_cmp_ne_u32_e64 s[4:5], s43, v3
	v_mov_b32_e32 v29, 0x7c010000
	s_and_saveexec_b64 s[38:39], s[4:5]
	s_cbranch_execz .LBB253_319
; %bb.318:                              ;   in Loop: Header=BB253_9 Depth=1
	v_and_b32_e32 v6, 7, v1
	v_lshrrev_b32_e32 v9, 3, v3
	v_cmp_gt_u32_e64 s[4:5], 8, v3
	v_ffbh_u32_e32 v3, v6
	v_min_u32_e32 v10, 32, v3
	v_subrev_u32_e32 v3, 28, v10
	v_lshlrev_b64 v[3:4], v3, v[1:2]
	v_sub_u32_e32 v4, 29, v10
	v_cndmask_b32_e64 v4, v9, v4, s[4:5]
	v_mov_b32_e32 v9, 0x2000
	v_lshlrev_b32_e32 v1, 8, v1
	v_lshl_add_u32 v4, v4, 10, v9
	v_and_b32_e32 v3, 7, v3
	v_and_or_b32 v1, v1, s44, v4
	v_cndmask_b32_e64 v3, v6, v3, s[4:5]
	v_lshlrev_b32_e32 v1, 16, v1
	v_lshl_or_b32 v29, v3, 23, v1
.LBB253_319:                            ;   in Loop: Header=BB253_9 Depth=1
	s_or_b64 exec, exec, s[38:39]
.LBB253_320:                            ;   in Loop: Header=BB253_9 Depth=1
	s_or_b64 exec, exec, s[36:37]
.LBB253_321:                            ;   in Loop: Header=BB253_9 Depth=1
	s_or_b64 exec, exec, s[34:35]
	global_load_ushort v3, v[7:8], off offset:3328
	s_waitcnt vmcnt(0)
	v_and_b32_e32 v1, 0xffff, v3
	v_cmp_ne_u16_sdwa s[4:5], v3, v2 src0_sel:BYTE_0 src1_sel:DWORD
	s_and_saveexec_b64 s[34:35], s[4:5]
	s_cbranch_execz .LBB253_327
; %bb.322:                              ;   in Loop: Header=BB253_9 Depth=1
	v_cmp_ne_u16_sdwa s[4:5], v1, s42 src0_sel:BYTE_0 src1_sel:DWORD
	v_mov_b32_e32 v0, 0x8000
	s_and_saveexec_b64 s[36:37], s[4:5]
	s_cbranch_execz .LBB253_326
; %bb.323:                              ;   in Loop: Header=BB253_9 Depth=1
	v_and_b32_e32 v3, 0x7f, v1
	v_cmp_ne_u32_e64 s[4:5], s43, v3
	v_mov_b32_e32 v0, 0x7c01
	s_and_saveexec_b64 s[38:39], s[4:5]
	s_cbranch_execz .LBB253_325
; %bb.324:                              ;   in Loop: Header=BB253_9 Depth=1
	v_and_b32_e32 v0, 7, v1
	v_lshrrev_b32_e32 v6, 3, v3
	v_cmp_gt_u32_e64 s[4:5], 8, v3
	v_ffbh_u32_e32 v3, v0
	v_min_u32_e32 v9, 32, v3
	v_subrev_u32_e32 v3, 28, v9
	v_lshlrev_b64 v[3:4], v3, v[1:2]
	v_sub_u32_e32 v4, 29, v9
	v_cndmask_b32_e64 v4, v6, v4, s[4:5]
	v_mov_b32_e32 v9, 0x2000
	v_lshl_add_u32 v4, v4, 10, v9
	v_and_b32_e32 v3, 7, v3
	v_lshlrev_b32_e32 v6, 8, v1
	v_cndmask_b32_e64 v0, v0, v3, s[4:5]
	v_and_b32_e32 v3, 0xfc00, v4
	v_and_or_b32 v3, v6, s44, v3
	v_lshl_or_b32 v0, v0, 7, v3
.LBB253_325:                            ;   in Loop: Header=BB253_9 Depth=1
	s_or_b64 exec, exec, s[38:39]
.LBB253_326:                            ;   in Loop: Header=BB253_9 Depth=1
	s_or_b64 exec, exec, s[36:37]
.LBB253_327:                            ;   in Loop: Header=BB253_9 Depth=1
	s_or_b64 exec, exec, s[34:35]
	v_lshrrev_b16_e32 v1, 8, v1
	v_cmp_ne_u16_e64 s[4:5], 0, v1
	v_mov_b32_e32 v3, 0
	v_mov_b32_e32 v12, 0
	s_and_saveexec_b64 s[34:35], s[4:5]
	s_cbranch_execz .LBB253_333
; %bb.328:                              ;   in Loop: Header=BB253_9 Depth=1
	v_cmp_ne_u16_e64 s[4:5], s42, v1
	v_bfrev_b32_e32 v12, 1
	s_and_saveexec_b64 s[36:37], s[4:5]
	s_cbranch_execz .LBB253_332
; %bb.329:                              ;   in Loop: Header=BB253_9 Depth=1
	v_and_b32_e32 v4, 0x7f, v1
	v_cmp_ne_u32_e64 s[4:5], s43, v4
	v_mov_b32_e32 v12, 0x7c010000
	s_and_saveexec_b64 s[38:39], s[4:5]
	s_cbranch_execz .LBB253_331
; %bb.330:                              ;   in Loop: Header=BB253_9 Depth=1
	v_and_b32_e32 v6, 7, v1
	v_lshrrev_b32_e32 v9, 3, v4
	v_cmp_gt_u32_e64 s[4:5], 8, v4
	v_ffbh_u32_e32 v4, v6
	v_min_u32_e32 v4, 32, v4
	v_subrev_u32_e32 v10, 28, v4
	v_sub_u32_e32 v4, 29, v4
	v_lshlrev_b64 v[14:15], v10, v[1:2]
	v_cndmask_b32_e64 v4, v9, v4, s[4:5]
	v_mov_b32_e32 v9, 0x2000
	v_lshlrev_b32_e32 v1, 8, v1
	v_lshl_add_u32 v4, v4, 10, v9
	v_and_b32_e32 v9, 7, v14
	v_and_or_b32 v1, v1, s44, v4
	v_cndmask_b32_e64 v6, v6, v9, s[4:5]
	v_lshlrev_b32_e32 v1, 16, v1
	v_lshl_or_b32 v12, v6, 23, v1
.LBB253_331:                            ;   in Loop: Header=BB253_9 Depth=1
	s_or_b64 exec, exec, s[38:39]
.LBB253_332:                            ;   in Loop: Header=BB253_9 Depth=1
	s_or_b64 exec, exec, s[36:37]
.LBB253_333:                            ;   in Loop: Header=BB253_9 Depth=1
	s_or_b64 exec, exec, s[34:35]
	global_load_ushort v4, v[7:8], off offset:3336
	s_waitcnt vmcnt(0)
	v_and_b32_e32 v1, 0xffff, v4
	v_cmp_ne_u16_sdwa s[4:5], v4, v2 src0_sel:BYTE_0 src1_sel:DWORD
	s_and_saveexec_b64 s[34:35], s[4:5]
	s_cbranch_execz .LBB253_339
; %bb.334:                              ;   in Loop: Header=BB253_9 Depth=1
	v_cmp_ne_u16_sdwa s[4:5], v1, s42 src0_sel:BYTE_0 src1_sel:DWORD
	v_mov_b32_e32 v3, 0x8000
	s_and_saveexec_b64 s[36:37], s[4:5]
	s_cbranch_execz .LBB253_338
; %bb.335:                              ;   in Loop: Header=BB253_9 Depth=1
	v_and_b32_e32 v4, 0x7f, v1
	v_cmp_ne_u32_e64 s[4:5], s43, v4
	v_mov_b32_e32 v3, 0x7c01
	s_and_saveexec_b64 s[38:39], s[4:5]
	s_cbranch_execz .LBB253_337
; %bb.336:                              ;   in Loop: Header=BB253_9 Depth=1
	v_and_b32_e32 v6, 7, v1
	v_ffbh_u32_e32 v3, v6
	v_min_u32_e32 v10, 32, v3
	v_subrev_u32_e32 v3, 28, v10
	v_lshrrev_b32_e32 v9, 3, v4
	v_cmp_gt_u32_e64 s[4:5], 8, v4
	v_lshlrev_b64 v[3:4], v3, v[1:2]
	v_sub_u32_e32 v4, 29, v10
	v_cndmask_b32_e64 v4, v9, v4, s[4:5]
	v_mov_b32_e32 v10, 0x2000
	v_lshl_add_u32 v4, v4, 10, v10
	v_lshlrev_b32_e32 v9, 8, v1
	v_and_b32_e32 v3, 7, v3
	v_and_b32_e32 v4, 0xfc00, v4
	v_cndmask_b32_e64 v3, v6, v3, s[4:5]
	v_and_or_b32 v4, v9, s44, v4
	v_lshl_or_b32 v3, v3, 7, v4
.LBB253_337:                            ;   in Loop: Header=BB253_9 Depth=1
	s_or_b64 exec, exec, s[38:39]
.LBB253_338:                            ;   in Loop: Header=BB253_9 Depth=1
	s_or_b64 exec, exec, s[36:37]
.LBB253_339:                            ;   in Loop: Header=BB253_9 Depth=1
	s_or_b64 exec, exec, s[34:35]
	v_lshrrev_b16_e32 v1, 8, v1
	v_cmp_ne_u16_e64 s[4:5], 0, v1
	v_mov_b32_e32 v4, 0
	v_mov_b32_e32 v21, 0
	s_and_saveexec_b64 s[34:35], s[4:5]
	s_cbranch_execz .LBB253_345
; %bb.340:                              ;   in Loop: Header=BB253_9 Depth=1
	v_cmp_ne_u16_e64 s[4:5], s42, v1
	v_bfrev_b32_e32 v21, 1
	s_and_saveexec_b64 s[36:37], s[4:5]
	s_cbranch_execz .LBB253_344
; %bb.341:                              ;   in Loop: Header=BB253_9 Depth=1
	v_and_b32_e32 v6, 0x7f, v1
	v_cmp_ne_u32_e64 s[4:5], s43, v6
	v_mov_b32_e32 v21, 0x7c010000
	s_and_saveexec_b64 s[38:39], s[4:5]
	s_cbranch_execz .LBB253_343
; %bb.342:                              ;   in Loop: Header=BB253_9 Depth=1
	v_and_b32_e32 v9, 7, v1
	v_lshrrev_b32_e32 v10, 3, v6
	v_cmp_gt_u32_e64 s[4:5], 8, v6
	v_ffbh_u32_e32 v6, v9
	v_min_u32_e32 v6, 32, v6
	v_subrev_u32_e32 v14, 28, v6
	v_sub_u32_e32 v6, 29, v6
	v_lshlrev_b64 v[14:15], v14, v[1:2]
	v_cndmask_b32_e64 v6, v10, v6, s[4:5]
	v_mov_b32_e32 v10, 0x2000
	v_lshlrev_b32_e32 v1, 8, v1
	v_lshl_add_u32 v6, v6, 10, v10
	v_and_b32_e32 v10, 7, v14
	v_and_or_b32 v1, v1, s44, v6
	v_cndmask_b32_e64 v9, v9, v10, s[4:5]
	v_lshlrev_b32_e32 v1, 16, v1
	v_lshl_or_b32 v21, v9, 23, v1
.LBB253_343:                            ;   in Loop: Header=BB253_9 Depth=1
	s_or_b64 exec, exec, s[38:39]
.LBB253_344:                            ;   in Loop: Header=BB253_9 Depth=1
	s_or_b64 exec, exec, s[36:37]
.LBB253_345:                            ;   in Loop: Header=BB253_9 Depth=1
	s_or_b64 exec, exec, s[34:35]
	global_load_ushort v6, v[7:8], off offset:3584
	s_waitcnt vmcnt(0)
	v_and_b32_e32 v1, 0xffff, v6
	v_cmp_ne_u16_sdwa s[4:5], v6, v2 src0_sel:BYTE_0 src1_sel:DWORD
	s_and_saveexec_b64 s[34:35], s[4:5]
	s_cbranch_execz .LBB253_351
; %bb.346:                              ;   in Loop: Header=BB253_9 Depth=1
	v_cmp_ne_u16_sdwa s[4:5], v1, s42 src0_sel:BYTE_0 src1_sel:DWORD
	v_mov_b32_e32 v4, 0x8000
	s_and_saveexec_b64 s[36:37], s[4:5]
	s_cbranch_execz .LBB253_350
; %bb.347:                              ;   in Loop: Header=BB253_9 Depth=1
	v_and_b32_e32 v6, 0x7f, v1
	v_cmp_ne_u32_e64 s[4:5], s43, v6
	v_mov_b32_e32 v4, 0x7c01
	s_and_saveexec_b64 s[38:39], s[4:5]
	s_cbranch_execz .LBB253_349
; %bb.348:                              ;   in Loop: Header=BB253_9 Depth=1
	v_and_b32_e32 v4, 7, v1
	v_lshrrev_b32_e32 v9, 3, v6
	v_cmp_gt_u32_e64 s[4:5], 8, v6
	v_ffbh_u32_e32 v6, v4
	v_min_u32_e32 v6, 32, v6
	v_subrev_u32_e32 v10, 28, v6
	v_sub_u32_e32 v6, 29, v6
	v_lshlrev_b64 v[14:15], v10, v[1:2]
	v_cndmask_b32_e64 v6, v9, v6, s[4:5]
	v_mov_b32_e32 v10, 0x2000
	v_lshl_add_u32 v6, v6, 10, v10
	v_lshlrev_b32_e32 v9, 8, v1
	v_and_b32_e32 v10, 7, v14
	v_and_b32_e32 v6, 0xfc00, v6
	v_cndmask_b32_e64 v4, v4, v10, s[4:5]
	v_and_or_b32 v6, v9, s44, v6
	v_lshl_or_b32 v4, v4, 7, v6
.LBB253_349:                            ;   in Loop: Header=BB253_9 Depth=1
	s_or_b64 exec, exec, s[38:39]
.LBB253_350:                            ;   in Loop: Header=BB253_9 Depth=1
	s_or_b64 exec, exec, s[36:37]
.LBB253_351:                            ;   in Loop: Header=BB253_9 Depth=1
	s_or_b64 exec, exec, s[34:35]
	v_lshrrev_b16_e32 v1, 8, v1
	v_cmp_ne_u16_e64 s[4:5], 0, v1
	v_mov_b32_e32 v9, 0
	v_mov_b32_e32 v15, 0
	s_and_saveexec_b64 s[34:35], s[4:5]
	s_cbranch_execz .LBB253_357
; %bb.352:                              ;   in Loop: Header=BB253_9 Depth=1
	v_cmp_ne_u16_e64 s[4:5], s42, v1
	v_bfrev_b32_e32 v15, 1
	s_and_saveexec_b64 s[36:37], s[4:5]
	s_cbranch_execz .LBB253_356
; %bb.353:                              ;   in Loop: Header=BB253_9 Depth=1
	v_and_b32_e32 v6, 0x7f, v1
	v_cmp_ne_u32_e64 s[4:5], s43, v6
	v_mov_b32_e32 v15, 0x7c010000
	s_and_saveexec_b64 s[38:39], s[4:5]
	s_cbranch_execz .LBB253_355
; %bb.354:                              ;   in Loop: Header=BB253_9 Depth=1
	v_and_b32_e32 v10, 7, v1
	v_lshrrev_b32_e32 v17, 3, v6
	v_cmp_gt_u32_e64 s[4:5], 8, v6
	v_ffbh_u32_e32 v6, v10
	v_min_u32_e32 v6, 32, v6
	v_subrev_u32_e32 v14, 28, v6
	v_lshlrev_b64 v[14:15], v14, v[1:2]
	v_sub_u32_e32 v6, 29, v6
	v_cndmask_b32_e64 v6, v17, v6, s[4:5]
	v_mov_b32_e32 v15, 0x2000
	v_lshlrev_b32_e32 v1, 8, v1
	v_lshl_add_u32 v6, v6, 10, v15
	v_and_b32_e32 v14, 7, v14
	v_and_or_b32 v1, v1, s44, v6
	v_cndmask_b32_e64 v10, v10, v14, s[4:5]
	v_lshlrev_b32_e32 v1, 16, v1
	v_lshl_or_b32 v15, v10, 23, v1
.LBB253_355:                            ;   in Loop: Header=BB253_9 Depth=1
	s_or_b64 exec, exec, s[38:39]
.LBB253_356:                            ;   in Loop: Header=BB253_9 Depth=1
	s_or_b64 exec, exec, s[36:37]
.LBB253_357:                            ;   in Loop: Header=BB253_9 Depth=1
	s_or_b64 exec, exec, s[34:35]
	global_load_ushort v6, v[7:8], off offset:3592
	s_waitcnt vmcnt(0)
	v_and_b32_e32 v1, 0xffff, v6
	v_cmp_ne_u16_sdwa s[4:5], v6, v2 src0_sel:BYTE_0 src1_sel:DWORD
	s_and_saveexec_b64 s[34:35], s[4:5]
	s_cbranch_execz .LBB253_363
; %bb.358:                              ;   in Loop: Header=BB253_9 Depth=1
	v_cmp_ne_u16_sdwa s[4:5], v1, s42 src0_sel:BYTE_0 src1_sel:DWORD
	v_mov_b32_e32 v9, 0x8000
	s_and_saveexec_b64 s[36:37], s[4:5]
	s_cbranch_execz .LBB253_362
; %bb.359:                              ;   in Loop: Header=BB253_9 Depth=1
	v_and_b32_e32 v6, 0x7f, v1
	v_cmp_ne_u32_e64 s[4:5], s43, v6
	v_mov_b32_e32 v9, 0x7c01
	s_and_saveexec_b64 s[38:39], s[4:5]
	s_cbranch_execz .LBB253_361
; %bb.360:                              ;   in Loop: Header=BB253_9 Depth=1
	v_and_b32_e32 v14, 7, v1
	v_lshrrev_b32_e32 v17, 3, v6
	v_cmp_gt_u32_e64 s[4:5], 8, v6
	v_ffbh_u32_e32 v6, v14
	v_min_u32_e32 v6, 32, v6
	v_subrev_u32_e32 v9, 28, v6
	v_sub_u32_e32 v6, 29, v6
	v_lshlrev_b64 v[9:10], v9, v[1:2]
	v_cndmask_b32_e64 v6, v17, v6, s[4:5]
	v_mov_b32_e32 v17, 0x2000
	v_lshl_add_u32 v6, v6, 10, v17
	v_lshlrev_b32_e32 v10, 8, v1
	v_and_b32_e32 v9, 7, v9
	v_and_b32_e32 v6, 0xfc00, v6
	v_cndmask_b32_e64 v9, v14, v9, s[4:5]
	v_and_or_b32 v6, v10, s44, v6
	v_lshl_or_b32 v9, v9, 7, v6
.LBB253_361:                            ;   in Loop: Header=BB253_9 Depth=1
	s_or_b64 exec, exec, s[38:39]
.LBB253_362:                            ;   in Loop: Header=BB253_9 Depth=1
	s_or_b64 exec, exec, s[36:37]
.LBB253_363:                            ;   in Loop: Header=BB253_9 Depth=1
	s_or_b64 exec, exec, s[34:35]
	v_lshrrev_b16_e32 v1, 8, v1
	v_cmp_ne_u16_e64 s[4:5], 0, v1
	v_mov_b32_e32 v6, 0
	v_mov_b32_e32 v17, 0
	s_and_saveexec_b64 s[34:35], s[4:5]
	s_cbranch_execz .LBB253_369
; %bb.364:                              ;   in Loop: Header=BB253_9 Depth=1
	v_cmp_ne_u16_e64 s[4:5], s42, v1
	v_bfrev_b32_e32 v17, 1
	s_and_saveexec_b64 s[36:37], s[4:5]
	s_cbranch_execz .LBB253_368
; %bb.365:                              ;   in Loop: Header=BB253_9 Depth=1
	v_and_b32_e32 v14, 0x7f, v1
	v_cmp_ne_u32_e64 s[4:5], s43, v14
	v_mov_b32_e32 v17, 0x7c010000
	s_and_saveexec_b64 s[38:39], s[4:5]
	s_cbranch_execz .LBB253_367
; %bb.366:                              ;   in Loop: Header=BB253_9 Depth=1
	v_and_b32_e32 v10, 7, v1
	v_lshrrev_b32_e32 v17, 3, v14
	v_cmp_gt_u32_e64 s[4:5], 8, v14
	v_ffbh_u32_e32 v14, v10
	v_min_u32_e32 v14, 32, v14
	v_subrev_u32_e32 v22, 28, v14
	v_sub_u32_e32 v14, 29, v14
	v_lshlrev_b64 v[34:35], v22, v[1:2]
	v_cndmask_b32_e64 v14, v17, v14, s[4:5]
	v_mov_b32_e32 v17, 0x2000
	v_lshlrev_b32_e32 v1, 8, v1
	v_lshl_add_u32 v14, v14, 10, v17
	v_and_b32_e32 v17, 7, v34
	v_and_or_b32 v1, v1, s44, v14
	v_cndmask_b32_e64 v10, v10, v17, s[4:5]
	v_lshlrev_b32_e32 v1, 16, v1
	v_lshl_or_b32 v17, v10, 23, v1
.LBB253_367:                            ;   in Loop: Header=BB253_9 Depth=1
	s_or_b64 exec, exec, s[38:39]
.LBB253_368:                            ;   in Loop: Header=BB253_9 Depth=1
	s_or_b64 exec, exec, s[36:37]
.LBB253_369:                            ;   in Loop: Header=BB253_9 Depth=1
	s_or_b64 exec, exec, s[34:35]
	global_load_ushort v10, v[7:8], off offset:3840
	s_waitcnt vmcnt(0)
	v_and_b32_e32 v1, 0xffff, v10
	v_cmp_ne_u16_sdwa s[4:5], v10, v2 src0_sel:BYTE_0 src1_sel:DWORD
	s_and_saveexec_b64 s[34:35], s[4:5]
	s_cbranch_execz .LBB253_375
; %bb.370:                              ;   in Loop: Header=BB253_9 Depth=1
	v_cmp_ne_u16_sdwa s[4:5], v1, s42 src0_sel:BYTE_0 src1_sel:DWORD
	v_mov_b32_e32 v6, 0x8000
	s_and_saveexec_b64 s[36:37], s[4:5]
	s_cbranch_execz .LBB253_374
; %bb.371:                              ;   in Loop: Header=BB253_9 Depth=1
	v_and_b32_e32 v14, 0x7f, v1
	v_cmp_ne_u32_e64 s[4:5], s43, v14
	v_mov_b32_e32 v6, 0x7c01
	s_and_saveexec_b64 s[38:39], s[4:5]
	s_cbranch_execz .LBB253_373
; %bb.372:                              ;   in Loop: Header=BB253_9 Depth=1
	v_and_b32_e32 v6, 7, v1
	v_lshrrev_b32_e32 v10, 3, v14
	v_cmp_gt_u32_e64 s[4:5], 8, v14
	v_ffbh_u32_e32 v14, v6
	v_min_u32_e32 v14, 32, v14
	v_subrev_u32_e32 v22, 28, v14
	v_sub_u32_e32 v14, 29, v14
	v_lshlrev_b64 v[34:35], v22, v[1:2]
	v_cndmask_b32_e64 v10, v10, v14, s[4:5]
	v_mov_b32_e32 v22, 0x2000
	v_lshl_add_u32 v10, v10, 10, v22
	v_lshlrev_b32_e32 v14, 8, v1
	v_and_b32_e32 v22, 7, v34
	v_and_b32_e32 v10, 0xfc00, v10
	v_cndmask_b32_e64 v6, v6, v22, s[4:5]
	v_and_or_b32 v10, v14, s44, v10
	v_lshl_or_b32 v6, v6, 7, v10
.LBB253_373:                            ;   in Loop: Header=BB253_9 Depth=1
	s_or_b64 exec, exec, s[38:39]
.LBB253_374:                            ;   in Loop: Header=BB253_9 Depth=1
	s_or_b64 exec, exec, s[36:37]
.LBB253_375:                            ;   in Loop: Header=BB253_9 Depth=1
	s_or_b64 exec, exec, s[34:35]
	v_lshrrev_b16_e32 v1, 8, v1
	v_cmp_ne_u16_e64 s[4:5], 0, v1
	v_mov_b32_e32 v22, 0
	v_mov_b32_e32 v24, 0
	s_and_saveexec_b64 s[34:35], s[4:5]
	s_cbranch_execz .LBB253_381
; %bb.376:                              ;   in Loop: Header=BB253_9 Depth=1
	v_cmp_ne_u16_e64 s[4:5], s42, v1
	v_bfrev_b32_e32 v24, 1
	s_and_saveexec_b64 s[36:37], s[4:5]
	s_cbranch_execz .LBB253_380
; %bb.377:                              ;   in Loop: Header=BB253_9 Depth=1
	v_and_b32_e32 v14, 0x7f, v1
	v_cmp_ne_u32_e64 s[4:5], s43, v14
	v_mov_b32_e32 v24, 0x7c010000
	s_and_saveexec_b64 s[38:39], s[4:5]
	s_cbranch_execz .LBB253_379
; %bb.378:                              ;   in Loop: Header=BB253_9 Depth=1
	v_and_b32_e32 v10, 7, v1
	v_lshrrev_b32_e32 v24, 3, v14
	v_cmp_gt_u32_e64 s[4:5], 8, v14
	v_ffbh_u32_e32 v14, v10
	v_min_u32_e32 v14, 32, v14
	v_subrev_u32_e32 v34, 28, v14
	v_sub_u32_e32 v14, 29, v14
	v_lshlrev_b64 v[34:35], v34, v[1:2]
	v_cndmask_b32_e64 v14, v24, v14, s[4:5]
	v_mov_b32_e32 v24, 0x2000
	v_lshlrev_b32_e32 v1, 8, v1
	v_lshl_add_u32 v14, v14, 10, v24
	v_and_b32_e32 v24, 7, v34
	v_and_or_b32 v1, v1, s44, v14
	v_cndmask_b32_e64 v10, v10, v24, s[4:5]
	v_lshlrev_b32_e32 v1, 16, v1
	v_lshl_or_b32 v24, v10, 23, v1
.LBB253_379:                            ;   in Loop: Header=BB253_9 Depth=1
	s_or_b64 exec, exec, s[38:39]
.LBB253_380:                            ;   in Loop: Header=BB253_9 Depth=1
	s_or_b64 exec, exec, s[36:37]
.LBB253_381:                            ;   in Loop: Header=BB253_9 Depth=1
	s_or_b64 exec, exec, s[34:35]
	global_load_ushort v7, v[7:8], off offset:3848
	s_waitcnt vmcnt(0)
	v_and_b32_e32 v1, 0xffff, v7
	v_cmp_ne_u16_sdwa s[4:5], v7, v2 src0_sel:BYTE_0 src1_sel:DWORD
	s_and_saveexec_b64 s[34:35], s[4:5]
	s_cbranch_execz .LBB253_387
; %bb.382:                              ;   in Loop: Header=BB253_9 Depth=1
	v_cmp_ne_u16_sdwa s[4:5], v1, s42 src0_sel:BYTE_0 src1_sel:DWORD
	v_mov_b32_e32 v22, 0x8000
	s_and_saveexec_b64 s[36:37], s[4:5]
	s_cbranch_execz .LBB253_386
; %bb.383:                              ;   in Loop: Header=BB253_9 Depth=1
	v_and_b32_e32 v7, 0x7f, v1
	v_cmp_ne_u32_e64 s[4:5], s43, v7
	v_mov_b32_e32 v22, 0x7c01
	s_and_saveexec_b64 s[38:39], s[4:5]
	s_cbranch_execz .LBB253_385
; %bb.384:                              ;   in Loop: Header=BB253_9 Depth=1
	v_and_b32_e32 v10, 7, v1
	v_lshrrev_b32_e32 v14, 3, v7
	v_cmp_gt_u32_e64 s[4:5], 8, v7
	v_ffbh_u32_e32 v7, v10
	v_min_u32_e32 v22, 32, v7
	v_subrev_u32_e32 v7, 28, v22
	v_lshlrev_b64 v[7:8], v7, v[1:2]
	v_sub_u32_e32 v8, 29, v22
	v_cndmask_b32_e64 v8, v14, v8, s[4:5]
	v_mov_b32_e32 v22, 0x2000
	v_lshl_add_u32 v8, v8, 10, v22
	v_lshlrev_b32_e32 v14, 8, v1
	v_and_b32_e32 v7, 7, v7
	v_and_b32_e32 v8, 0xfc00, v8
	v_cndmask_b32_e64 v7, v10, v7, s[4:5]
	v_and_or_b32 v8, v14, s44, v8
	v_lshl_or_b32 v22, v7, 7, v8
.LBB253_385:                            ;   in Loop: Header=BB253_9 Depth=1
	s_or_b64 exec, exec, s[38:39]
.LBB253_386:                            ;   in Loop: Header=BB253_9 Depth=1
	s_or_b64 exec, exec, s[36:37]
.LBB253_387:                            ;   in Loop: Header=BB253_9 Depth=1
	s_or_b64 exec, exec, s[34:35]
	v_lshrrev_b16_e32 v1, 8, v1
	v_cmp_ne_u16_e64 s[4:5], 0, v1
	v_mov_b32_e32 v14, 0
	s_and_saveexec_b64 s[34:35], s[4:5]
	s_cbranch_execz .LBB253_393
; %bb.388:                              ;   in Loop: Header=BB253_9 Depth=1
	v_cmp_ne_u16_e64 s[4:5], s42, v1
	v_bfrev_b32_e32 v14, 1
	s_and_saveexec_b64 s[36:37], s[4:5]
	s_cbranch_execz .LBB253_392
; %bb.389:                              ;   in Loop: Header=BB253_9 Depth=1
	v_and_b32_e32 v7, 0x7f, v1
	v_cmp_ne_u32_e64 s[4:5], s43, v7
	v_mov_b32_e32 v14, 0x7c010000
	s_and_saveexec_b64 s[38:39], s[4:5]
	s_cbranch_execz .LBB253_391
; %bb.390:                              ;   in Loop: Header=BB253_9 Depth=1
	v_and_b32_e32 v10, 7, v1
	v_lshrrev_b32_e32 v14, 3, v7
	v_cmp_gt_u32_e64 s[4:5], 8, v7
	v_ffbh_u32_e32 v7, v10
	v_min_u32_e32 v34, 32, v7
	v_subrev_u32_e32 v7, 28, v34
	v_lshlrev_b64 v[7:8], v7, v[1:2]
	v_sub_u32_e32 v8, 29, v34
	v_cndmask_b32_e64 v8, v14, v8, s[4:5]
	v_mov_b32_e32 v14, 0x2000
	v_lshlrev_b32_e32 v1, 8, v1
	v_lshl_add_u32 v8, v8, 10, v14
	v_and_b32_e32 v7, 7, v7
	v_and_or_b32 v1, v1, s44, v8
	v_cndmask_b32_e64 v7, v10, v7, s[4:5]
	v_lshlrev_b32_e32 v1, 16, v1
	v_lshl_or_b32 v14, v7, 23, v1
.LBB253_391:                            ;   in Loop: Header=BB253_9 Depth=1
	s_or_b64 exec, exec, s[38:39]
.LBB253_392:                            ;   in Loop: Header=BB253_9 Depth=1
	s_or_b64 exec, exec, s[36:37]
.LBB253_393:                            ;   in Loop: Header=BB253_9 Depth=1
	s_or_b64 exec, exec, s[34:35]
	v_or_b32_e32 v1, v24, v6
	v_fma_mixlo_f16 v1, v18, v1, 0 op_sel_hi:[0,1,0]
	buffer_store_dword v1, off, s[48:51], 0 offset:64 ; 4-byte Folded Spill
	v_fma_mixlo_f16 v1, v18, v24, 0 op_sel:[0,1,0] op_sel_hi:[0,1,0]
	buffer_store_dword v1, off, s[48:51], 0 offset:60 ; 4-byte Folded Spill
	v_or_b32_e32 v1, v17, v9
	v_fma_mixlo_f16 v1, v18, v1, 0 op_sel_hi:[0,1,0]
	buffer_store_dword v1, off, s[48:51], 0 offset:72 ; 4-byte Folded Spill
	v_fma_mixlo_f16 v1, v18, v17, 0 op_sel:[0,1,0] op_sel_hi:[0,1,0]
	buffer_store_dword v1, off, s[48:51], 0 offset:68 ; 4-byte Folded Spill
	v_or_b32_e32 v1, v15, v4
	v_fma_mixlo_f16 v1, v18, v1, 0 op_sel_hi:[0,1,0]
	buffer_store_dword v1, off, s[48:51], 0 offset:80 ; 4-byte Folded Spill
	v_fma_mixlo_f16 v1, v18, v15, 0 op_sel:[0,1,0] op_sel_hi:[0,1,0]
	v_or_b32_e32 v0, v12, v0
	buffer_store_dword v1, off, s[48:51], 0 offset:76 ; 4-byte Folded Spill
	v_or_b32_e32 v1, v21, v3
	v_fma_mixlo_f16 v0, v18, v0, 0 op_sel_hi:[0,1,0]
	v_fma_mixlo_f16 v1, v18, v1, 0 op_sel_hi:[0,1,0]
	buffer_store_dword v0, off, s[48:51], 0 offset:92 ; 4-byte Folded Spill
	v_or_b32_e32 v0, v29, v19
	buffer_store_dword v1, off, s[48:51], 0 offset:88 ; 4-byte Folded Spill
	v_fma_mixlo_f16 v1, v18, v21, 0 op_sel:[0,1,0] op_sel_hi:[0,1,0]
	v_fma_mixlo_f16 v21, v18, v0, 0 op_sel_hi:[0,1,0]
	v_or_b32_e32 v0, v25, v11
	v_fma_mixlo_f16 v11, v18, v0, 0 op_sel_hi:[0,1,0]
	v_or_b32_e32 v0, v31, v27
	v_fma_mixlo_f16 v19, v18, v29, 0 op_sel:[0,1,0] op_sel_hi:[0,1,0]
	v_fma_mixlo_f16 v29, v18, v0, 0 op_sel_hi:[0,1,0]
	v_or_b32_e32 v0, v33, v23
	v_fma_mixlo_f16 v27, v18, v31, 0 op_sel:[0,1,0] op_sel_hi:[0,1,0]
	v_fma_mixlo_f16 v31, v18, v0, 0 op_sel_hi:[0,1,0]
	v_or_b32_e32 v0, v16, v59
	v_fma_mixlo_f16 v9, v18, v0, 0 op_sel_hi:[0,1,0]
	v_or_b32_e32 v0, v61, v5
	v_fma_mixlo_f16 v35, v18, v0, 0 op_sel_hi:[0,1,0]
	v_or_b32_e32 v0, v58, v57
	v_fma_mixlo_f16 v8, v18, v61, 0 op_sel:[0,1,0] op_sel_hi:[0,1,0]
	v_fma_mixlo_f16 v61, v18, v0, 0 op_sel_hi:[0,1,0]
	v_or_b32_e32 v0, v56, v53
	v_fma_mixlo_f16 v57, v18, v58, 0 op_sel:[0,1,0] op_sel_hi:[0,1,0]
	v_fma_mixlo_f16 v58, v18, v0, 0 op_sel_hi:[0,1,0]
	v_or_b32_e32 v0, v50, v41
	;; [unrolled: 3-line block ×4, first 2 shown]
	v_fma_mixlo_f16 v3, v18, v0, 0 op_sel_hi:[0,1,0]
	v_or_b32_e32 v0, v48, v47
	buffer_store_dword v1, off, s[48:51], 0 offset:84 ; 4-byte Folded Spill
	v_fma_mixlo_f16 v1, v18, v0, 0 op_sel_hi:[0,1,0]
	v_or_b32_e32 v0, v46, v45
	v_fma_mixlo_f16 v47, v18, v48, 0 op_sel:[0,1,0] op_sel_hi:[0,1,0]
	v_fma_mixlo_f16 v48, v18, v0, 0 op_sel_hi:[0,1,0]
	v_or_b32_e32 v0, v44, v43
	v_fma_mixlo_f16 v45, v18, v46, 0 op_sel:[0,1,0] op_sel_hi:[0,1,0]
	v_fma_mixlo_f16 v46, v18, v0, 0 op_sel_hi:[0,1,0]
	buffer_load_dword v0, off, s[48:51], 0 offset:44 ; 4-byte Folded Reload
	v_fma_mixlo_f16 v43, v18, v44, 0 op_sel:[0,1,0] op_sel_hi:[0,1,0]
	v_fma_mixlo_f16 v41, v18, v42, 0 op_sel:[0,1,0] op_sel_hi:[0,1,0]
	;; [unrolled: 1-line block ×7, first 2 shown]
	v_or_b32_e32 v20, v62, v20
	v_fma_mixlo_f16 v59, v18, v20, 0 op_sel_hi:[0,1,0]
	v_or_b32_e32 v20, v52, v60
	v_fma_mixlo_f16 v12, v18, v12, 0 op_sel:[0,1,0] op_sel_hi:[0,1,0]
	v_fma_mixlo_f16 v25, v18, v25, 0 op_sel:[0,1,0] op_sel_hi:[0,1,0]
	;; [unrolled: 1-line block ×6, first 2 shown]
	v_and_b32_e32 v59, 0xffff, v59
	v_and_b32_e32 v62, 0xffff, v62
	;; [unrolled: 1-line block ×5, first 2 shown]
	s_waitcnt vmcnt(0)
	v_or_b32_e32 v0, v42, v0
	v_fma_mixlo_f16 v44, v18, v0, 0 op_sel_hi:[0,1,0]
	buffer_load_dword v0, off, s[48:51], 0 offset:40 ; 4-byte Folded Reload
	s_waitcnt vmcnt(0)
	v_or_b32_e32 v0, v40, v0
	v_fma_mixlo_f16 v42, v18, v0, 0 op_sel_hi:[0,1,0]
	buffer_load_dword v0, off, s[48:51], 0 offset:36 ; 4-byte Folded Reload
	;; [unrolled: 4-line block ×4, first 2 shown]
	v_fma_mixlo_f16 v36, v18, v36, 0 op_sel:[0,1,0] op_sel_hi:[0,1,0]
	s_waitcnt vmcnt(0)
	v_or_b32_e32 v0, v26, v0
	v_fma_mixlo_f16 v10, v18, v0, 0 op_sel_hi:[0,1,0]
	buffer_load_dword v0, off, s[48:51], 0 offset:24 ; 4-byte Folded Reload
	v_and_b32_e32 v10, 0xffff, v10
	s_waitcnt vmcnt(0)
	v_or_b32_e32 v0, v32, v0
	v_fma_mixlo_f16 v24, v18, v0, 0 op_sel_hi:[0,1,0]
	buffer_load_dword v0, off, s[48:51], 0 offset:20 ; 4-byte Folded Reload
	v_fma_mixlo_f16 v32, v18, v32, 0 op_sel:[0,1,0] op_sel_hi:[0,1,0]
	s_waitcnt vmcnt(0)
	v_or_b32_e32 v0, v30, v0
	v_fma_mixlo_f16 v26, v18, v0, 0 op_sel_hi:[0,1,0]
	buffer_load_dword v0, off, s[48:51], 0 offset:16 ; 4-byte Folded Reload
	v_fma_mixlo_f16 v30, v18, v30, 0 op_sel:[0,1,0] op_sel_hi:[0,1,0]
	s_waitcnt vmcnt(0)
	v_or_b32_e32 v0, v28, v0
	v_fma_mixlo_f16 v15, v18, v0, 0 op_sel_hi:[0,1,0]
	buffer_load_dword v0, off, s[48:51], 0 offset:8 ; 4-byte Folded Reload
	buffer_load_dword v5, off, s[48:51], 0 offset:12 ; 4-byte Folded Reload
	;; [unrolled: 1-line block ×3, first 2 shown]
	v_fma_mixlo_f16 v28, v18, v28, 0 op_sel:[0,1,0] op_sel_hi:[0,1,0]
	v_and_b32_e32 v15, 0xffff, v15
	s_waitcnt vmcnt(1)
	v_or_b32_e32 v0, v5, v0
	v_fma_mixlo_f16 v17, v18, v5, 0 op_sel:[0,1,0] op_sel_hi:[0,1,0]
	s_waitcnt vmcnt(0)
	v_or_b32_e32 v5, v16, v51
	v_fma_mixlo_f16 v51, v18, v20, 0 op_sel_hi:[0,1,0]
	v_or_b32_e32 v20, v14, v22
	v_fma_mixlo_f16 v0, v18, v0, 0 op_sel_hi:[0,1,0]
	v_fma_mixlo_f16 v5, v18, v5, 0 op_sel_hi:[0,1,0]
	v_fma_mixlo_f16 v16, v18, v16, 0 op_sel:[0,1,0] op_sel_hi:[0,1,0]
	v_fma_mixlo_f16 v20, v18, v20, 0 op_sel_hi:[0,1,0]
	v_fma_mixlo_f16 v14, v18, v14, 0 op_sel:[0,1,0] op_sel_hi:[0,1,0]
	ds_read_b32 v18, v13
	v_and_b32_e32 v5, 0xffff, v5
	v_and_b32_e32 v16, 0xffff, v16
	;; [unrolled: 1-line block ×4, first 2 shown]
	s_waitcnt lgkmcnt(0)
	v_lshrrev_b32_e32 v49, 16, v18
	v_and_b32_e32 v18, 0xffff, v18
	;;#ASMSTART
	v_cvt_f32_f16 v22, v18;
	;;#ASMEND
	v_and_b32_e32 v18, 0xffff, v51
	;;#ASMSTART
	v_cvt_f32_f16 v49, v49;
	;;#ASMEND
	;;#ASMSTART
	v_cvt_f32_f16 v51, v18;
	;;#ASMEND
	v_and_b32_e32 v18, 0xffff, v52
	;;#ASMSTART
	v_cvt_f32_f16 v52, v18;
	;;#ASMEND
	ds_read_b32 v18, v13 offset:4
	s_waitcnt lgkmcnt(0)
	v_lshrrev_b32_e32 v53, 16, v18
	v_and_b32_e32 v18, 0xffff, v18
	;;#ASMSTART
	v_cvt_f32_f16 v18, v18;
	;;#ASMEND
	;;#ASMSTART
	v_cvt_f32_f16 v53, v53;
	;;#ASMEND
	;; [unrolled: 3-line block ×3, first 2 shown]
	v_mul_f32_e32 v18, v18, v59
	;;#ASMSTART
	v_cvt_f32_f16 v62, v62;
	;;#ASMEND
	v_fmac_f32_e32 v18, v22, v51
	v_mul_f32_e32 v22, v53, v62
	v_fmac_f32_e32 v22, v49, v52
	ds_read_b32 v49, v13 offset:8
	s_waitcnt lgkmcnt(0)
	v_lshrrev_b32_e32 v51, 16, v49
	v_and_b32_e32 v49, 0xffff, v49
	;;#ASMSTART
	v_cvt_f32_f16 v49, v49;
	;;#ASMEND
	;;#ASMSTART
	v_cvt_f32_f16 v51, v51;
	;;#ASMEND
	;; [unrolled: 3-line block ×4, first 2 shown]
	v_fmac_f32_e32 v18, v49, v5
	ds_read_b32 v5, v13 offset:12
	v_fmac_f32_e32 v22, v51, v16
	s_waitcnt lgkmcnt(0)
	v_lshrrev_b32_e32 v16, 16, v5
	v_and_b32_e32 v5, 0xffff, v5
	;;#ASMSTART
	v_cvt_f32_f16 v5, v5;
	;;#ASMEND
	;;#ASMSTART
	v_cvt_f32_f16 v16, v16;
	;;#ASMEND
	;; [unrolled: 3-line block ×4, first 2 shown]
	v_fmac_f32_e32 v18, v5, v0
	ds_read_b32 v0, v13 offset:16
	v_fmac_f32_e32 v22, v16, v17
	v_and_b32_e32 v16, 0xffff, v28
	s_waitcnt lgkmcnt(0)
	v_lshrrev_b32_e32 v5, 16, v0
	v_and_b32_e32 v0, 0xffff, v0
	;;#ASMSTART
	v_cvt_f32_f16 v0, v0;
	;;#ASMEND
	;;#ASMSTART
	v_cvt_f32_f16 v5, v5;
	;;#ASMEND
	;;#ASMSTART
	v_cvt_f32_f16 v15, v15;
	;;#ASMEND
	;;#ASMSTART
	v_cvt_f32_f16 v16, v16;
	;;#ASMEND
	v_fmac_f32_e32 v18, v0, v15
	ds_read_b32 v0, v13 offset:20
	v_fmac_f32_e32 v22, v5, v16
	v_and_b32_e32 v15, 0xffff, v26
	v_and_b32_e32 v16, 0xffff, v30
	s_waitcnt lgkmcnt(0)
	v_lshrrev_b32_e32 v5, 16, v0
	v_and_b32_e32 v0, 0xffff, v0
	;;#ASMSTART
	v_cvt_f32_f16 v0, v0;
	;;#ASMEND
	;;#ASMSTART
	v_cvt_f32_f16 v5, v5;
	;;#ASMEND
	;;#ASMSTART
	v_cvt_f32_f16 v15, v15;
	;;#ASMEND
	;;#ASMSTART
	v_cvt_f32_f16 v16, v16;
	;;#ASMEND
	v_fmac_f32_e32 v18, v0, v15
	ds_read_b32 v0, v13 offset:24
	v_fmac_f32_e32 v22, v5, v16
	v_and_b32_e32 v15, 0xffff, v24
	;; [unrolled: 20-line block ×3, first 2 shown]
	s_waitcnt lgkmcnt(0)
	v_lshrrev_b32_e32 v5, 16, v0
	v_and_b32_e32 v0, 0xffff, v0
	;;#ASMSTART
	v_cvt_f32_f16 v0, v0;
	;;#ASMEND
	;;#ASMSTART
	v_cvt_f32_f16 v5, v5;
	;;#ASMEND
	;;#ASMSTART
	v_cvt_f32_f16 v10, v10;
	;;#ASMEND
	;;#ASMSTART
	v_cvt_f32_f16 v15, v15;
	;;#ASMEND
	v_fmac_f32_e32 v18, v0, v10
	ds_read_b32 v0, v13 offset:32
	v_fmac_f32_e32 v22, v5, v15
	v_and_b32_e32 v10, 0xffff, v38
	v_and_b32_e32 v15, 0xffff, v36
	s_waitcnt lgkmcnt(0)
	v_lshrrev_b32_e32 v5, 16, v0
	v_and_b32_e32 v0, 0xffff, v0
	;;#ASMSTART
	v_cvt_f32_f16 v0, v0;
	;;#ASMEND
	;;#ASMSTART
	v_cvt_f32_f16 v5, v5;
	;;#ASMEND
	;;#ASMSTART
	v_cvt_f32_f16 v10, v10;
	;;#ASMEND
	;;#ASMSTART
	v_cvt_f32_f16 v15, v15;
	;;#ASMEND
	v_fmac_f32_e32 v18, v0, v10
	ds_read_b32 v0, v13 offset:36
	v_fmac_f32_e32 v22, v5, v15
	v_and_b32_e32 v10, 0xffff, v40
	v_and_b32_e32 v15, 0xffff, v37
	;; [unrolled: 20-line block ×6, first 2 shown]
	s_waitcnt lgkmcnt(0)
	v_lshrrev_b32_e32 v5, 16, v0
	v_and_b32_e32 v0, 0xffff, v0
	;;#ASMSTART
	v_cvt_f32_f16 v0, v0;
	;;#ASMEND
	;;#ASMSTART
	v_cvt_f32_f16 v5, v5;
	;;#ASMEND
	;;#ASMSTART
	v_cvt_f32_f16 v10, v10;
	;;#ASMEND
	;;#ASMSTART
	v_cvt_f32_f16 v15, v15;
	;;#ASMEND
	v_fmac_f32_e32 v18, v0, v10
	ds_read_b32 v0, v13 offset:56
	v_fmac_f32_e32 v22, v5, v15
	v_and_b32_e32 v10, 0xffff, v47
	s_waitcnt lgkmcnt(0)
	v_lshrrev_b32_e32 v5, 16, v0
	v_and_b32_e32 v0, 0xffff, v0
	;;#ASMSTART
	v_cvt_f32_f16 v0, v0;
	;;#ASMEND
	;;#ASMSTART
	v_cvt_f32_f16 v5, v5;
	;;#ASMEND
	;; [unrolled: 3-line block ×4, first 2 shown]
	v_fmac_f32_e32 v18, v0, v1
	ds_read_b32 v0, v13 offset:60
	v_fmac_f32_e32 v22, v5, v10
	s_waitcnt lgkmcnt(0)
	v_lshrrev_b32_e32 v1, 16, v0
	v_and_b32_e32 v0, 0xffff, v0
	;;#ASMSTART
	v_cvt_f32_f16 v0, v0;
	;;#ASMEND
	;;#ASMSTART
	v_cvt_f32_f16 v1, v1;
	;;#ASMEND
	;;#ASMSTART
	v_cvt_f32_f16 v3, v3;
	;;#ASMEND
	;;#ASMSTART
	v_cvt_f32_f16 v4, v4;
	;;#ASMEND
	v_fmac_f32_e32 v18, v0, v3
	ds_read_b32 v0, v13 offset:64
	v_fmac_f32_e32 v22, v1, v4
	v_and_b32_e32 v3, 0xffff, v50
	v_and_b32_e32 v4, 0xffff, v63
	s_waitcnt lgkmcnt(0)
	v_lshrrev_b32_e32 v1, 16, v0
	v_and_b32_e32 v0, 0xffff, v0
	;;#ASMSTART
	v_cvt_f32_f16 v0, v0;
	;;#ASMEND
	;;#ASMSTART
	v_cvt_f32_f16 v1, v1;
	;;#ASMEND
	;;#ASMSTART
	v_cvt_f32_f16 v3, v3;
	;;#ASMEND
	;;#ASMSTART
	v_cvt_f32_f16 v4, v4;
	;;#ASMEND
	v_fmac_f32_e32 v18, v0, v3
	ds_read_b32 v0, v13 offset:68
	v_fmac_f32_e32 v22, v1, v4
	v_and_b32_e32 v3, 0xffff, v56
	v_and_b32_e32 v4, 0xffff, v6
	;; [unrolled: 20-line block ×10, first 2 shown]
	s_waitcnt lgkmcnt(0)
	v_lshrrev_b32_e32 v1, 16, v0
	v_and_b32_e32 v0, 0xffff, v0
	;;#ASMSTART
	v_cvt_f32_f16 v0, v0;
	;;#ASMEND
	;;#ASMSTART
	v_cvt_f32_f16 v1, v1;
	;;#ASMEND
	;; [unrolled: 3-line block ×4, first 2 shown]
	v_fmac_f32_e32 v18, v0, v3
	ds_read_b32 v0, v13 offset:104
	v_fmac_f32_e32 v22, v1, v4
	v_and_b32_e32 v4, 0xffff, v12
	s_waitcnt lgkmcnt(0)
	v_lshrrev_b32_e32 v1, 16, v0
	v_and_b32_e32 v0, 0xffff, v0
	;;#ASMSTART
	v_cvt_f32_f16 v0, v0;
	;;#ASMEND
	;;#ASMSTART
	v_cvt_f32_f16 v1, v1;
	;;#ASMEND
	buffer_load_dword v3, off, s[48:51], 0 offset:92 ; 4-byte Folded Reload
	s_waitcnt vmcnt(0)
	v_and_b32_e32 v3, 0xffff, v3
	;;#ASMSTART
	v_cvt_f32_f16 v3, v3;
	;;#ASMEND
	;;#ASMSTART
	v_cvt_f32_f16 v4, v4;
	;;#ASMEND
	v_fmac_f32_e32 v18, v0, v3
	ds_read_b32 v0, v13 offset:108
	v_fmac_f32_e32 v22, v1, v4
	s_waitcnt lgkmcnt(0)
	v_lshrrev_b32_e32 v1, 16, v0
	v_and_b32_e32 v0, 0xffff, v0
	;;#ASMSTART
	v_cvt_f32_f16 v0, v0;
	;;#ASMEND
	;;#ASMSTART
	v_cvt_f32_f16 v1, v1;
	;;#ASMEND
	buffer_load_dword v3, off, s[48:51], 0 offset:88 ; 4-byte Folded Reload
	s_waitcnt vmcnt(0)
	v_and_b32_e32 v3, 0xffff, v3
	;;#ASMSTART
	v_cvt_f32_f16 v3, v3;
	;;#ASMEND
	buffer_load_dword v4, off, s[48:51], 0 offset:84 ; 4-byte Folded Reload
	v_fmac_f32_e32 v18, v0, v3
	s_waitcnt vmcnt(0)
	v_and_b32_e32 v4, 0xffff, v4
	;;#ASMSTART
	v_cvt_f32_f16 v4, v4;
	;;#ASMEND
	ds_read_b32 v0, v13 offset:112
	v_fmac_f32_e32 v22, v1, v4
	s_waitcnt lgkmcnt(0)
	v_lshrrev_b32_e32 v1, 16, v0
	v_and_b32_e32 v0, 0xffff, v0
	;;#ASMSTART
	v_cvt_f32_f16 v0, v0;
	;;#ASMEND
	;;#ASMSTART
	v_cvt_f32_f16 v1, v1;
	;;#ASMEND
	buffer_load_dword v3, off, s[48:51], 0 offset:80 ; 4-byte Folded Reload
	s_waitcnt vmcnt(0)
	v_and_b32_e32 v3, 0xffff, v3
	;;#ASMSTART
	v_cvt_f32_f16 v3, v3;
	;;#ASMEND
	buffer_load_dword v4, off, s[48:51], 0 offset:76 ; 4-byte Folded Reload
	v_fmac_f32_e32 v18, v0, v3
	s_waitcnt vmcnt(0)
	v_and_b32_e32 v4, 0xffff, v4
	;;#ASMSTART
	v_cvt_f32_f16 v4, v4;
	;;#ASMEND
	;; [unrolled: 24-line block ×3, first 2 shown]
	ds_read_b32 v0, v13 offset:120
	v_fmac_f32_e32 v22, v1, v4
	s_waitcnt lgkmcnt(0)
	v_lshrrev_b32_e32 v1, 16, v0
	v_and_b32_e32 v0, 0xffff, v0
	;;#ASMSTART
	v_cvt_f32_f16 v0, v0;
	;;#ASMEND
	;;#ASMSTART
	v_cvt_f32_f16 v1, v1;
	;;#ASMEND
	buffer_load_dword v3, off, s[48:51], 0 offset:64 ; 4-byte Folded Reload
	s_waitcnt vmcnt(0)
	v_and_b32_e32 v3, 0xffff, v3
	;;#ASMSTART
	v_cvt_f32_f16 v3, v3;
	;;#ASMEND
	buffer_load_dword v4, off, s[48:51], 0 offset:60 ; 4-byte Folded Reload
	v_fmac_f32_e32 v18, v0, v3
	v_and_b32_e32 v3, 0xffff, v20
	s_waitcnt vmcnt(0)
	v_and_b32_e32 v4, 0xffff, v4
	;;#ASMSTART
	v_cvt_f32_f16 v4, v4;
	;;#ASMEND
	ds_read_b32 v0, v13 offset:124
	v_fmac_f32_e32 v22, v1, v4
	v_and_b32_e32 v4, 0xffff, v14
	s_waitcnt lgkmcnt(0)
	v_lshrrev_b32_e32 v1, 16, v0
	v_and_b32_e32 v0, 0xffff, v0
	;;#ASMSTART
	v_cvt_f32_f16 v0, v0;
	;;#ASMEND
	;;#ASMSTART
	v_cvt_f32_f16 v1, v1;
	;;#ASMEND
	;; [unrolled: 3-line block ×4, first 2 shown]
	buffer_load_dword v5, off, s[48:51], 0 offset:96 ; 4-byte Folded Reload
	v_fmac_f32_e32 v22, v1, v4
	v_fmac_f32_e32 v18, v0, v3
	v_add_f32_e32 v3, v18, v22
	s_waitcnt vmcnt(0)
	v_and_b32_e32 v1, 64, v5
	v_add_u32_e32 v0, 64, v1
	v_xor_b32_e32 v4, 2, v5
	v_cmp_lt_i32_e64 s[4:5], v4, v0
	v_cndmask_b32_e64 v4, v5, v4, s[4:5]
	v_lshlrev_b32_e32 v4, 2, v4
	ds_bpermute_b32 v4, v4, v3
	s_waitcnt lgkmcnt(0)
	v_add_f32_e32 v3, v3, v4
	v_xor_b32_e32 v4, 1, v5
	v_cmp_lt_i32_e64 s[4:5], v4, v0
	v_cndmask_b32_e64 v4, v5, v4, s[4:5]
	v_lshlrev_b32_e32 v4, 2, v4
	ds_bpermute_b32 v4, v4, v3
	s_mov_b64 s[34:35], exec
	buffer_load_dword v8, off, s[48:51], 0 offset:56 ; 4-byte Folded Reload
	s_and_b64 s[4:5], s[34:35], vcc
	s_mov_b64 exec, s[4:5]
	s_cbranch_execz .LBB253_8
; %bb.394:                              ;   in Loop: Header=BB253_9 Depth=1
	buffer_load_dword v7, off, s[48:51], 0 offset:48 ; 4-byte Folded Reload
	buffer_load_dword v6, off, s[48:51], 0 offset:100 ; 4-byte Folded Reload
	s_waitcnt lgkmcnt(0)
	v_add_f32_e32 v3, v3, v4
	s_waitcnt vmcnt(1)
	v_add_u32_e32 v5, s41, v7
	v_cmp_gt_i32_e64 s[4:5], s30, v7
	buffer_load_dword v7, off, s[48:51], 0 offset:52 ; 4-byte Folded Reload
	v_cvt_f32_i32_e32 v5, v5
	s_waitcnt vmcnt(1)
	v_max_f32_e32 v4, v6, v6
	v_mul_f32_e32 v5, s33, v5
	v_cndmask_b32_e64 v5, 0, v5, s[2:3]
	v_fmac_f32_e32 v5, s31, v3
	v_cndmask_b32_e64 v3, 0, v5, s[4:5]
	s_waitcnt vmcnt(0)
	ds_write_b32 v7, v3
	v_max_f32_e32 v3, v4, v5
	v_cndmask_b32_e64 v6, v6, v3, s[4:5]
	buffer_store_dword v6, off, s[48:51], 0 offset:100 ; 4-byte Folded Spill
	s_branch .LBB253_8
.LBB253_395:
	s_or_b64 exec, exec, s[18:19]
	buffer_load_dword v9, off, s[48:51], 0 offset:112 ; 4-byte Folded Reload
	buffer_load_dword v25, off, s[48:51], 0 offset:116 ; 4-byte Folded Reload
	;; [unrolled: 1-line block ×3, first 2 shown]
.LBB253_396:
	s_or_b64 exec, exec, s[6:7]
	buffer_load_dword v8, off, s[48:51], 0 offset:96 ; 4-byte Folded Reload
	s_waitcnt vmcnt(1) lgkmcnt(0)
	v_max_f32_e32 v4, v5, v5
	v_and_b32_e32 v12, 63, v9
	s_waitcnt vmcnt(0)
	v_xor_b32_e32 v2, 32, v8
	v_cmp_lt_i32_e32 vcc, v2, v0
	v_cndmask_b32_e32 v2, v8, v2, vcc
	v_lshlrev_b32_e32 v2, 2, v2
	ds_bpermute_b32 v3, v2, v5
	v_xor_b32_e32 v5, 16, v8
	v_cmp_lt_i32_e32 vcc, v5, v0
	v_xor_b32_e32 v6, 8, v8
	v_xor_b32_e32 v7, 4, v8
	s_waitcnt lgkmcnt(0)
	v_max_f32_e32 v3, v3, v3
	v_max_f32_e32 v4, v4, v3
	v_cndmask_b32_e32 v3, v8, v5, vcc
	v_lshlrev_b32_e32 v3, 2, v3
	ds_bpermute_b32 v5, v3, v4
	v_cmp_lt_i32_e32 vcc, v6, v0
	s_waitcnt lgkmcnt(0)
	v_max_f32_e32 v5, v5, v5
	v_max_f32_e32 v4, v4, v5
	v_cndmask_b32_e32 v5, v8, v6, vcc
	v_lshlrev_b32_e32 v6, 2, v5
	ds_bpermute_b32 v5, v6, v4
	v_cmp_lt_i32_e32 vcc, v7, v0
	s_waitcnt lgkmcnt(0)
	v_max_f32_e32 v5, v5, v5
	v_max_f32_e32 v5, v4, v5
	v_cndmask_b32_e32 v4, v8, v7, vcc
	v_lshlrev_b32_e32 v7, 2, v4
	buffer_load_dword v4, off, s[48:51], 0  ; 4-byte Folded Reload
	ds_bpermute_b32 v8, v7, v5
	v_cmp_eq_u32_e32 vcc, 0, v12
	s_waitcnt vmcnt(0)
	v_lshlrev_b32_e32 v4, 2, v4
	s_and_saveexec_b64 s[2:3], vcc
	s_cbranch_execz .LBB253_398
; %bb.397:
	s_waitcnt lgkmcnt(0)
	v_max_f32_e32 v8, v8, v8
	v_max_f32_e32 v5, v5, v5
	;; [unrolled: 1-line block ×3, first 2 shown]
	ds_write_b32 v4, v5 offset:512
.LBB253_398:
	s_or_b64 exec, exec, s[2:3]
	v_cmp_gt_u32_e64 s[2:3], 2, v12
	s_waitcnt lgkmcnt(0)
	v_mov_b32_e32 v8, 0xff7fffff
	v_lshlrev_b32_e32 v5, 2, v12
	s_barrier
	s_and_saveexec_b64 s[4:5], s[2:3]
; %bb.399:
	ds_read_b32 v8, v5 offset:512
; %bb.400:
	s_or_b64 exec, exec, s[4:5]
	buffer_load_dword v10, off, s[48:51], 0 offset:96 ; 4-byte Folded Reload
	v_lshlrev_b32_e32 v1, 2, v1
	s_waitcnt vmcnt(0)
	v_xor_b32_e32 v9, 1, v10
	v_cmp_lt_i32_e64 s[4:5], v9, v0
	v_cndmask_b32_e64 v9, v10, v9, s[4:5]
	v_lshlrev_b32_e32 v13, 2, v9
	s_waitcnt lgkmcnt(0)
	ds_bpermute_b32 v9, v13, v8
	v_max_f32_e32 v8, v8, v8
	s_lshl_b32 s4, s21, 4
	s_min_i32 s31, s4, s30
	s_waitcnt lgkmcnt(0)
	v_max_f32_e32 v9, v9, v9
	v_max_f32_e32 v8, v8, v9
	ds_bpermute_b32 v8, v1, v8
	buffer_load_dword v1, off, s[48:51], 0 offset:112 ; 4-byte Folded Reload
	s_waitcnt vmcnt(0)
	v_cmp_gt_i32_e64 s[4:5], s31, v1
	v_mov_b32_e32 v1, 0
	s_and_saveexec_b64 s[12:13], s[4:5]
	s_cbranch_execz .LBB253_404
; %bb.401:
	buffer_load_dword v10, off, s[48:51], 0 offset:112 ; 4-byte Folded Reload
	v_mov_b32_e32 v1, 0x210
	s_mov_b64 s[18:19], 0
	s_waitcnt vmcnt(0)
	v_lshl_add_u32 v9, v10, 2, v1
	v_mov_b32_e32 v1, 0
.LBB253_402:                            ; =>This Inner Loop Header: Depth=1
	ds_read_b32 v11, v9
	v_add_u32_e32 v10, 0x80, v10
	v_cmp_le_i32_e64 s[6:7], s31, v10
	s_or_b64 s[18:19], s[6:7], s[18:19]
	s_waitcnt lgkmcnt(0)
	v_sub_f32_e32 v11, v11, v8
	v_mul_f32_e32 v11, 0x3fb8aa3b, v11
	v_exp_f32_e32 v11, v11
	ds_write_b32 v9, v11
	v_add_f32_e32 v1, v1, v11
	v_add_u32_e32 v9, 0x200, v9
	s_andn2_b64 exec, exec, s[18:19]
	s_cbranch_execnz .LBB253_402
; %bb.403:
	s_or_b64 exec, exec, s[18:19]
.LBB253_404:
	s_or_b64 exec, exec, s[12:13]
	ds_bpermute_b32 v2, v2, v1
	s_waitcnt lgkmcnt(0)
	v_add_f32_e32 v1, v1, v2
	ds_bpermute_b32 v2, v3, v1
	s_waitcnt lgkmcnt(0)
	v_add_f32_e32 v1, v1, v2
	ds_bpermute_b32 v2, v6, v1
	buffer_load_dword v6, off, s[48:51], 0 offset:96 ; 4-byte Folded Reload
	s_waitcnt lgkmcnt(0)
	v_add_f32_e32 v1, v1, v2
	ds_bpermute_b32 v2, v7, v1
	s_waitcnt lgkmcnt(0)
	v_add_f32_e32 v1, v1, v2
	s_waitcnt vmcnt(0)
	v_xor_b32_e32 v3, 2, v6
	v_cmp_lt_i32_e64 s[6:7], v3, v0
	v_cndmask_b32_e64 v0, v6, v3, s[6:7]
	v_lshlrev_b32_e32 v0, 2, v0
	ds_bpermute_b32 v0, v0, v1
	s_waitcnt lgkmcnt(0)
	v_add_f32_e32 v0, v1, v0
	ds_bpermute_b32 v1, v13, v0
	s_waitcnt lgkmcnt(0)
	v_add_f32_e32 v0, v0, v1
	s_and_saveexec_b64 s[6:7], vcc
; %bb.405:
	ds_write_b32 v4, v0 offset:520
; %bb.406:
	s_or_b64 exec, exec, s[6:7]
	s_waitcnt lgkmcnt(0)
	s_barrier
	s_and_saveexec_b64 s[6:7], s[2:3]
; %bb.407:
	ds_read_b32 v0, v5 offset:520
; %bb.408:
	s_or_b64 exec, exec, s[6:7]
	buffer_load_dword v2, off, s[48:51], 0 offset:96 ; 4-byte Folded Reload
	s_waitcnt lgkmcnt(0)
	ds_bpermute_b32 v1, v13, v0
	s_waitcnt lgkmcnt(0)
	v_add_f32_e32 v0, v0, v1
	s_waitcnt vmcnt(0)
	v_lshlrev_b32_e32 v2, 2, v2
	v_and_b32_e32 v1, 0xffffff00, v2
	ds_bpermute_b32 v0, v1, v0
	s_and_saveexec_b64 s[2:3], s[4:5]
	s_cbranch_execz .LBB253_411
; %bb.409:
	s_waitcnt lgkmcnt(0)
	v_add_f32_e32 v1, 0x358637bd, v0
	v_div_scale_f32 v0, s[4:5], v1, v1, 1.0
	v_div_scale_f32 v2, vcc, 1.0, v1, 1.0
	s_mov_b64 s[4:5], 0
	v_rcp_f32_e32 v3, v0
	v_fma_f32 v4, -v0, v3, 1.0
	v_fmac_f32_e32 v3, v4, v3
	v_mul_f32_e32 v4, v2, v3
	v_fma_f32 v5, -v0, v4, v2
	v_fmac_f32_e32 v4, v5, v3
	v_fma_f32 v0, -v0, v4, v2
	v_div_fmas_f32 v2, v0, v3, v4
	buffer_load_dword v3, off, s[48:51], 0 offset:112 ; 4-byte Folded Reload
	v_mov_b32_e32 v0, 0x210
	v_div_fixup_f32 v1, v2, v1, 1.0
	s_waitcnt vmcnt(0)
	v_lshl_add_u32 v0, v3, 2, v0
	v_mov_b32_e32 v2, v3
.LBB253_410:                            ; =>This Inner Loop Header: Depth=1
	ds_read_b32 v3, v0
	v_add_u32_e32 v2, 0x80, v2
	v_cmp_le_i32_e32 vcc, s31, v2
	s_or_b64 s[4:5], vcc, s[4:5]
	s_waitcnt lgkmcnt(0)
	v_mul_f32_e32 v3, v1, v3
	ds_write_b32 v0, v3
	v_add_u32_e32 v0, 0x200, v0
	s_andn2_b64 exec, exec, s[4:5]
	s_cbranch_execnz .LBB253_410
.LBB253_411:
	s_or_b64 exec, exec, s[2:3]
	s_waitcnt lgkmcnt(0)
	s_barrier
	buffer_load_dword v0, off, s[48:51], 0 offset:112 ; 4-byte Folded Reload
	v_mov_b32_e32 v20, 0
	v_mov_b32_e32 v22, 0
	;; [unrolled: 1-line block ×8, first 2 shown]
	s_waitcnt vmcnt(0)
	v_and_b32_e32 v14, 1, v0
	s_and_saveexec_b64 s[2:3], s[0:1]
	s_cbranch_execz .LBB253_815
; %bb.412:
	buffer_load_dword v0, off, s[48:51], 0 offset:112 ; 4-byte Folded Reload
	buffer_load_dword v5, off, s[48:51], 0  ; 4-byte Folded Reload
	s_ashr_i32 s0, s16, 31
	s_add_u32 s1, s28, s16
	s_addc_u32 s0, s29, s0
	s_add_i32 s28, s21, -1
	v_mov_b32_e32 v4, s0
	s_mov_b32 s4, -1
	s_mov_b32 s31, s17
	s_mov_b32 s5, 0xffffff
	v_mov_b32_e32 v2, 0
	s_mov_b64 s[6:7], 0
	v_mov_b32_e32 v15, 0
	v_mov_b32_e32 v16, 0
	;; [unrolled: 1-line block ×8, first 2 shown]
	s_waitcnt vmcnt(1)
	v_lshlrev_b32_e32 v0, 3, v0
	v_and_b32_e32 v1, 8, v0
	v_and_b32_e32 v0, 0x1f8, v0
	v_add_co_u32_e32 v3, vcc, s1, v0
	s_waitcnt vmcnt(0)
	v_lshlrev_b32_e32 v0, 4, v5
	v_or3_b32 v23, v0, v1, 7
	v_lshlrev_b32_e32 v0, 5, v14
	s_lshl_b64 s[0:1], s[26:27], 2
	v_lshl_or_b32 v0, v5, 6, v0
	s_add_u32 s0, s24, s0
	v_addc_co_u32_e32 v4, vcc, 0, v4, vcc
	v_add_u32_e32 v24, 0x210, v0
	v_and_b32_e32 v0, 60, v25
	s_addc_u32 s1, s25, s1
	v_mov_b32_e32 v1, s1
	v_add_co_u32_e32 v5, vcc, s0, v0
	v_addc_co_u32_e32 v6, vcc, 0, v1, vcc
	s_movk_i32 s24, 0x80
	s_movk_i32 s25, 0x7f
	s_mov_b32 s26, 0x8000
	v_mov_b32_e32 v25, 0x2000
	s_branch .LBB253_414
.LBB253_413:                            ;   in Loop: Header=BB253_414 Depth=1
	s_or_b64 exec, exec, s[0:1]
	v_add_f32_e32 v0, v0, v11
	v_add_f32_e32 v17, v17, v0
	;; [unrolled: 1-line block ×12, first 2 shown]
	;;#ASMSTART
	v_pk_mul_f16 v0, v33, v7;

	;;#ASMEND
	;;#ASMSTART
	v_pk_mul_f16 v1, v34, v1;

	;;#ASMEND
	;; [unrolled: 4-line block ×4, first 2 shown]
	;;#ASMSTART
	v_pk_add_f16 v0, v0, v1;

	;;#ASMEND
	;;#ASMSTART
	v_pk_add_f16 v0, v0, v7;

	;;#ASMEND
	;; [unrolled: 4-line block ×3, first 2 shown]
	v_lshrrev_b32_e32 v1, 16, v0
	v_and_b32_e32 v0, 0xffff, v0
	;;#ASMSTART
	v_cvt_f32_f16 v0, v0;
	;;#ASMEND
	;;#ASMSTART
	v_cvt_f32_f16 v1, v1;
	;;#ASMEND
	v_add_f32_e32 v0, v0, v1
	v_add_f32_e32 v15, v15, v0
	buffer_load_dword v0, off, s[48:51], 0  ; 4-byte Folded Reload
	v_add_f32_e32 v9, v9, v10
	v_add_f32_e32 v16, v16, v9
	v_add_u32_e32 v23, 32, v23
	v_add_u32_e32 v24, 0x80, v24
	s_waitcnt vmcnt(0)
	v_add_u32_e32 v0, 2, v0
	v_cmp_le_i32_e32 vcc, s21, v0
	s_or_b64 s[6:7], vcc, s[6:7]
	v_add_co_u32_e32 v5, vcc, 8, v5
	v_addc_co_u32_e32 v6, vcc, 0, v6, vcc
	buffer_store_dword v0, off, s[48:51], 0 ; 4-byte Folded Spill
	s_andn2_b64 exec, exec, s[6:7]
	s_cbranch_execz .LBB253_814
.LBB253_414:                            ; =>This Inner Loop Header: Depth=1
	global_load_dword v1, v[5:6], off
	ds_read2_b64 v[7:10], v24 offset1:1
	ds_read2_b64 v[26:29], v24 offset0:2 offset1:3
	s_waitcnt lgkmcnt(1)
	;;#ASMSTART
	v_cvt_f16_f32 v0, v7;

	;;#ASMEND
	;;#ASMSTART
	v_cvt_f16_f32 v11, v8;

	;;#ASMEND
	;; [unrolled: 4-line block ×4, first 2 shown]
	s_waitcnt lgkmcnt(0)
	;;#ASMSTART
	v_cvt_f16_f32 v36, v26;

	;;#ASMEND
	;;#ASMSTART
	v_cvt_f16_f32 v37, v27;

	;;#ASMEND
	;; [unrolled: 4-line block ×4, first 2 shown]
	v_mov_b32_e32 v28, 0
	s_waitcnt vmcnt(0)
	v_mad_i64_i32 v[7:8], s[0:1], v1, s31, v[3:4]
	global_load_dwordx2 v[9:10], v[7:8], off
	global_load_dword v27, v2, s[14:15]
	s_waitcnt vmcnt(1)
	v_cmp_ne_u16_sdwa s[12:13], v9, v2 src0_sel:BYTE_0 src1_sel:DWORD
	s_and_saveexec_b64 s[0:1], s[12:13]
	s_cbranch_execz .LBB253_420
; %bb.415:                              ;   in Loop: Header=BB253_414 Depth=1
	v_cmp_ne_u16_sdwa s[16:17], v9, s24 src0_sel:BYTE_0 src1_sel:DWORD
	v_mov_b32_e32 v28, 0x8000
	s_and_saveexec_b64 s[12:13], s[16:17]
	s_cbranch_execz .LBB253_419
; %bb.416:                              ;   in Loop: Header=BB253_414 Depth=1
	v_and_b32_e32 v1, 0x7f, v9
	v_cmp_ne_u32_e32 vcc, s25, v1
	v_mov_b32_e32 v28, 0x7c01
	s_and_saveexec_b64 s[16:17], vcc
	s_cbranch_execz .LBB253_418
; %bb.417:                              ;   in Loop: Header=BB253_414 Depth=1
	v_and_b32_e32 v26, 7, v9
	v_ffbh_u32_e32 v28, v26
	v_min_u32_e32 v31, 32, v28
	v_subrev_u32_e32 v28, 28, v31
	v_lshlrev_b64 v[28:29], v28, v[9:10]
	v_lshrrev_b32_e32 v30, 3, v1
	v_sub_u32_e32 v29, 29, v31
	v_cmp_gt_u32_e32 vcc, 8, v1
	v_cndmask_b32_e32 v1, v30, v29, vcc
	v_lshl_add_u32 v1, v1, 10, v25
	v_lshlrev_b32_e32 v29, 8, v9
	v_and_b32_e32 v28, 7, v28
	v_and_b32_e32 v1, 0xfc00, v1
	v_cndmask_b32_e32 v26, v26, v28, vcc
	v_and_or_b32 v1, v29, s26, v1
	v_lshl_or_b32 v28, v26, 7, v1
.LBB253_418:                            ;   in Loop: Header=BB253_414 Depth=1
	s_or_b64 exec, exec, s[16:17]
.LBB253_419:                            ;   in Loop: Header=BB253_414 Depth=1
	s_or_b64 exec, exec, s[12:13]
.LBB253_420:                            ;   in Loop: Header=BB253_414 Depth=1
	s_or_b64 exec, exec, s[0:1]
	v_lshrrev_b16_e32 v1, 8, v9
	v_cmp_ne_u16_e32 vcc, 0, v1
	v_mov_b32_e32 v30, 0
	v_mov_b32_e32 v29, 0
	s_and_saveexec_b64 s[0:1], vcc
	s_cbranch_execz .LBB253_426
; %bb.421:                              ;   in Loop: Header=BB253_414 Depth=1
	v_cmp_ne_u16_e32 vcc, s24, v1
	v_bfrev_b32_e32 v29, 1
	s_and_saveexec_b64 s[12:13], vcc
	s_cbranch_execz .LBB253_425
; %bb.422:                              ;   in Loop: Header=BB253_414 Depth=1
	v_and_b32_e32 v26, 0x7f, v1
	v_cmp_ne_u32_e32 vcc, s25, v26
	v_mov_b32_e32 v29, 0x7c010000
	s_and_saveexec_b64 s[16:17], vcc
	s_cbranch_execz .LBB253_424
; %bb.423:                              ;   in Loop: Header=BB253_414 Depth=1
	v_and_b32_e32 v29, 7, v1
	v_ffbh_u32_e32 v31, v29
	v_min_u32_e32 v40, 32, v31
	v_subrev_u32_e32 v31, 28, v40
	v_lshlrev_b64 v[31:32], v31, v[1:2]
	v_lshrrev_b32_e32 v33, 3, v26
	v_sub_u32_e32 v32, 29, v40
	v_cmp_gt_u32_e32 vcc, 8, v26
	v_cndmask_b32_e32 v26, v33, v32, vcc
	v_lshlrev_b32_e32 v1, 8, v1
	v_lshl_add_u32 v26, v26, 10, v25
	v_and_b32_e32 v31, 7, v31
	v_and_or_b32 v1, v1, s26, v26
	v_cndmask_b32_e32 v29, v29, v31, vcc
	v_lshlrev_b32_e32 v1, 16, v1
	v_lshl_or_b32 v29, v29, 23, v1
.LBB253_424:                            ;   in Loop: Header=BB253_414 Depth=1
	s_or_b64 exec, exec, s[16:17]
.LBB253_425:                            ;   in Loop: Header=BB253_414 Depth=1
	s_or_b64 exec, exec, s[12:13]
.LBB253_426:                            ;   in Loop: Header=BB253_414 Depth=1
	s_or_b64 exec, exec, s[0:1]
	v_lshrrev_b32_e32 v1, 16, v9
	v_cmp_ne_u16_sdwa s[12:13], v1, v2 src0_sel:BYTE_0 src1_sel:DWORD
	s_and_saveexec_b64 s[0:1], s[12:13]
	s_cbranch_execz .LBB253_432
; %bb.427:                              ;   in Loop: Header=BB253_414 Depth=1
	v_cmp_ne_u16_sdwa s[16:17], v1, s24 src0_sel:BYTE_0 src1_sel:DWORD
	v_mov_b32_e32 v30, 0x8000
	s_and_saveexec_b64 s[12:13], s[16:17]
	s_cbranch_execz .LBB253_431
; %bb.428:                              ;   in Loop: Header=BB253_414 Depth=1
	v_bfe_u32 v26, v9, 16, 7
	v_cmp_ne_u32_e32 vcc, s25, v26
	v_mov_b32_e32 v30, 0x7c01
	s_and_saveexec_b64 s[16:17], vcc
	s_cbranch_execz .LBB253_430
; %bb.429:                              ;   in Loop: Header=BB253_414 Depth=1
	v_and_b32_e32 v32, 7, v1
	v_ffbh_u32_e32 v30, v32
	v_min_u32_e32 v40, 32, v30
	v_subrev_u32_e32 v30, 28, v40
	v_lshlrev_b64 v[30:31], v30, v[1:2]
	v_lshrrev_b32_e32 v33, 3, v26
	v_sub_u32_e32 v31, 29, v40
	v_cmp_gt_u32_e32 vcc, 8, v26
	v_cndmask_b32_e32 v26, v33, v31, vcc
	v_lshl_add_u32 v26, v26, 10, v25
	v_lshlrev_b32_e32 v1, 8, v1
	v_and_b32_e32 v30, 7, v30
	v_and_b32_e32 v26, 0xfc00, v26
	v_cndmask_b32_e32 v30, v32, v30, vcc
	v_and_or_b32 v1, v1, s26, v26
	v_lshl_or_b32 v30, v30, 7, v1
.LBB253_430:                            ;   in Loop: Header=BB253_414 Depth=1
	s_or_b64 exec, exec, s[16:17]
.LBB253_431:                            ;   in Loop: Header=BB253_414 Depth=1
	s_or_b64 exec, exec, s[12:13]
.LBB253_432:                            ;   in Loop: Header=BB253_414 Depth=1
	s_or_b64 exec, exec, s[0:1]
	v_cmp_lt_u32_e32 vcc, s5, v9
	v_mov_b32_e32 v31, 0
	v_mov_b32_e32 v32, 0
	s_and_saveexec_b64 s[0:1], vcc
	s_cbranch_execz .LBB253_438
; %bb.433:                              ;   in Loop: Header=BB253_414 Depth=1
	v_lshrrev_b32_e32 v1, 24, v9
	v_cmp_ne_u32_e32 vcc, s24, v1
	v_bfrev_b32_e32 v32, 1
	s_and_saveexec_b64 s[12:13], vcc
	s_cbranch_execz .LBB253_437
; %bb.434:                              ;   in Loop: Header=BB253_414 Depth=1
	v_and_b32_e32 v26, 0x7f, v1
	v_cmp_ne_u32_e32 vcc, s25, v26
	v_mov_b32_e32 v32, 0x7c010000
	s_and_saveexec_b64 s[16:17], vcc
	s_cbranch_execz .LBB253_436
; %bb.435:                              ;   in Loop: Header=BB253_414 Depth=1
	v_and_b32_e32 v40, 7, v1
	v_ffbh_u32_e32 v32, v40
	v_min_u32_e32 v42, 32, v32
	v_subrev_u32_e32 v32, 28, v42
	v_lshlrev_b64 v[32:33], v32, v[1:2]
	v_lshrrev_b32_e32 v41, 3, v26
	v_sub_u32_e32 v33, 29, v42
	v_cmp_gt_u32_e32 vcc, 8, v26
	v_cndmask_b32_e32 v26, v41, v33, vcc
	v_lshlrev_b32_e32 v1, 8, v1
	v_lshl_add_u32 v26, v26, 10, v25
	v_and_b32_e32 v32, 7, v32
	v_and_or_b32 v1, v1, s26, v26
	v_cndmask_b32_e32 v32, v40, v32, vcc
	v_lshlrev_b32_e32 v1, 16, v1
	v_lshl_or_b32 v32, v32, 23, v1
.LBB253_436:                            ;   in Loop: Header=BB253_414 Depth=1
	s_or_b64 exec, exec, s[16:17]
.LBB253_437:                            ;   in Loop: Header=BB253_414 Depth=1
	s_or_b64 exec, exec, s[12:13]
.LBB253_438:                            ;   in Loop: Header=BB253_414 Depth=1
	s_or_b64 exec, exec, s[0:1]
	v_mov_b32_e32 v1, v10
	v_cmp_ne_u16_sdwa s[12:13], v10, v2 src0_sel:BYTE_0 src1_sel:DWORD
	s_and_saveexec_b64 s[0:1], s[12:13]
	s_cbranch_execz .LBB253_444
; %bb.439:                              ;   in Loop: Header=BB253_414 Depth=1
	v_cmp_ne_u16_sdwa s[16:17], v10, s24 src0_sel:BYTE_0 src1_sel:DWORD
	v_mov_b32_e32 v31, 0x8000
	s_and_saveexec_b64 s[12:13], s[16:17]
	s_cbranch_execz .LBB253_443
; %bb.440:                              ;   in Loop: Header=BB253_414 Depth=1
	v_and_b32_e32 v26, 0x7f, v10
	v_cmp_ne_u32_e32 vcc, s25, v26
	v_mov_b32_e32 v31, 0x7c01
	s_and_saveexec_b64 s[16:17], vcc
	s_cbranch_execz .LBB253_442
; %bb.441:                              ;   in Loop: Header=BB253_414 Depth=1
	v_and_b32_e32 v31, 7, v10
	v_ffbh_u32_e32 v40, v31
	v_min_u32_e32 v42, 32, v40
	v_subrev_u32_e32 v40, 28, v42
	v_lshlrev_b64 v[40:41], v40, v[1:2]
	v_lshrrev_b32_e32 v33, 3, v26
	v_sub_u32_e32 v41, 29, v42
	v_cmp_gt_u32_e32 vcc, 8, v26
	v_cndmask_b32_e32 v26, v33, v41, vcc
	v_lshl_add_u32 v26, v26, 10, v25
	v_lshlrev_b32_e32 v33, 8, v10
	v_and_b32_e32 v40, 7, v40
	v_and_b32_e32 v26, 0xfc00, v26
	v_cndmask_b32_e32 v31, v31, v40, vcc
	v_and_or_b32 v26, v33, s26, v26
	v_lshl_or_b32 v31, v31, 7, v26
.LBB253_442:                            ;   in Loop: Header=BB253_414 Depth=1
	s_or_b64 exec, exec, s[16:17]
.LBB253_443:                            ;   in Loop: Header=BB253_414 Depth=1
	s_or_b64 exec, exec, s[12:13]
.LBB253_444:                            ;   in Loop: Header=BB253_414 Depth=1
	s_or_b64 exec, exec, s[0:1]
	v_lshrrev_b16_e32 v1, 8, v1
	v_cmp_ne_u16_e32 vcc, 0, v1
	v_mov_b32_e32 v33, 0
	v_mov_b32_e32 v40, 0
	s_and_saveexec_b64 s[0:1], vcc
	s_cbranch_execz .LBB253_450
; %bb.445:                              ;   in Loop: Header=BB253_414 Depth=1
	v_cmp_ne_u16_e32 vcc, s24, v1
	v_bfrev_b32_e32 v40, 1
	s_and_saveexec_b64 s[12:13], vcc
	s_cbranch_execz .LBB253_449
; %bb.446:                              ;   in Loop: Header=BB253_414 Depth=1
	v_and_b32_e32 v26, 0x7f, v1
	v_cmp_ne_u32_e32 vcc, s25, v26
	v_mov_b32_e32 v40, 0x7c010000
	s_and_saveexec_b64 s[16:17], vcc
	s_cbranch_execz .LBB253_448
; %bb.447:                              ;   in Loop: Header=BB253_414 Depth=1
	v_and_b32_e32 v42, 7, v1
	v_ffbh_u32_e32 v40, v42
	v_min_u32_e32 v44, 32, v40
	v_subrev_u32_e32 v40, 28, v44
	v_lshlrev_b64 v[40:41], v40, v[1:2]
	v_lshrrev_b32_e32 v43, 3, v26
	v_sub_u32_e32 v41, 29, v44
	v_cmp_gt_u32_e32 vcc, 8, v26
	v_cndmask_b32_e32 v26, v43, v41, vcc
	v_lshlrev_b32_e32 v1, 8, v1
	v_lshl_add_u32 v26, v26, 10, v25
	v_and_b32_e32 v40, 7, v40
	v_and_or_b32 v1, v1, s26, v26
	v_cndmask_b32_e32 v40, v42, v40, vcc
	v_lshlrev_b32_e32 v1, 16, v1
	v_lshl_or_b32 v40, v40, 23, v1
.LBB253_448:                            ;   in Loop: Header=BB253_414 Depth=1
	s_or_b64 exec, exec, s[16:17]
.LBB253_449:                            ;   in Loop: Header=BB253_414 Depth=1
	s_or_b64 exec, exec, s[12:13]
.LBB253_450:                            ;   in Loop: Header=BB253_414 Depth=1
	s_or_b64 exec, exec, s[0:1]
	v_lshrrev_b32_e32 v1, 16, v10
	v_cmp_ne_u16_sdwa s[12:13], v1, v2 src0_sel:BYTE_0 src1_sel:DWORD
	s_and_saveexec_b64 s[0:1], s[12:13]
	s_cbranch_execz .LBB253_456
; %bb.451:                              ;   in Loop: Header=BB253_414 Depth=1
	v_cmp_ne_u16_sdwa s[16:17], v1, s24 src0_sel:BYTE_0 src1_sel:DWORD
	v_mov_b32_e32 v33, 0x8000
	s_and_saveexec_b64 s[12:13], s[16:17]
	s_cbranch_execz .LBB253_455
; %bb.452:                              ;   in Loop: Header=BB253_414 Depth=1
	v_bfe_u32 v26, v10, 16, 7
	v_cmp_ne_u32_e32 vcc, s25, v26
	v_mov_b32_e32 v33, 0x7c01
	s_and_saveexec_b64 s[16:17], vcc
	s_cbranch_execz .LBB253_454
; %bb.453:                              ;   in Loop: Header=BB253_414 Depth=1
	v_and_b32_e32 v33, 7, v1
	v_ffbh_u32_e32 v41, v33
	v_min_u32_e32 v44, 32, v41
	v_subrev_u32_e32 v41, 28, v44
	v_lshlrev_b64 v[41:42], v41, v[1:2]
	v_lshrrev_b32_e32 v43, 3, v26
	v_sub_u32_e32 v42, 29, v44
	v_cmp_gt_u32_e32 vcc, 8, v26
	v_cndmask_b32_e32 v26, v43, v42, vcc
	v_lshl_add_u32 v26, v26, 10, v25
	v_lshlrev_b32_e32 v1, 8, v1
	v_and_b32_e32 v41, 7, v41
	v_and_b32_e32 v26, 0xfc00, v26
	v_cndmask_b32_e32 v33, v33, v41, vcc
	v_and_or_b32 v1, v1, s26, v26
	v_lshl_or_b32 v33, v33, 7, v1
.LBB253_454:                            ;   in Loop: Header=BB253_414 Depth=1
	s_or_b64 exec, exec, s[16:17]
.LBB253_455:                            ;   in Loop: Header=BB253_414 Depth=1
	s_or_b64 exec, exec, s[12:13]
.LBB253_456:                            ;   in Loop: Header=BB253_414 Depth=1
	s_or_b64 exec, exec, s[0:1]
	v_cmp_lt_u64_e32 vcc, s[4:5], v[9:10]
	v_mov_b32_e32 v41, 0
	s_and_saveexec_b64 s[0:1], vcc
	s_cbranch_execz .LBB253_462
; %bb.457:                              ;   in Loop: Header=BB253_414 Depth=1
	v_lshrrev_b32_e32 v1, 24, v10
	v_cmp_ne_u32_e32 vcc, s24, v1
	v_bfrev_b32_e32 v41, 1
	s_and_saveexec_b64 s[12:13], vcc
	s_cbranch_execz .LBB253_461
; %bb.458:                              ;   in Loop: Header=BB253_414 Depth=1
	v_and_b32_e32 v9, 0x7f, v1
	v_cmp_ne_u32_e32 vcc, s25, v9
	v_mov_b32_e32 v41, 0x7c010000
	s_and_saveexec_b64 s[16:17], vcc
	s_cbranch_execz .LBB253_460
; %bb.459:                              ;   in Loop: Header=BB253_414 Depth=1
	v_and_b32_e32 v10, 7, v1
	v_ffbh_u32_e32 v41, v10
	v_min_u32_e32 v43, 32, v41
	v_subrev_u32_e32 v41, 28, v43
	v_lshlrev_b64 v[41:42], v41, v[1:2]
	v_lshrrev_b32_e32 v26, 3, v9
	v_sub_u32_e32 v42, 29, v43
	v_cmp_gt_u32_e32 vcc, 8, v9
	v_cndmask_b32_e32 v9, v26, v42, vcc
	v_lshlrev_b32_e32 v1, 8, v1
	v_lshl_add_u32 v9, v9, 10, v25
	v_and_b32_e32 v26, 7, v41
	v_and_or_b32 v1, v1, s26, v9
	v_cndmask_b32_e32 v10, v10, v26, vcc
	v_lshlrev_b32_e32 v1, 16, v1
	v_lshl_or_b32 v41, v10, 23, v1
.LBB253_460:                            ;   in Loop: Header=BB253_414 Depth=1
	s_or_b64 exec, exec, s[16:17]
.LBB253_461:                            ;   in Loop: Header=BB253_414 Depth=1
	s_or_b64 exec, exec, s[12:13]
.LBB253_462:                            ;   in Loop: Header=BB253_414 Depth=1
	s_or_b64 exec, exec, s[0:1]
	buffer_load_dword v1, off, s[48:51], 0  ; 4-byte Folded Reload
	s_waitcnt vmcnt(1)
	v_fma_mixlo_f16 v9, v27, v32, 0 op_sel:[0,1,0] op_sel_hi:[0,1,0]
	v_lshlrev_b32_e32 v42, 16, v9
	v_or_b32_e32 v9, v29, v28
	v_fma_mixlo_f16 v10, v27, v29, 0 op_sel:[0,1,0] op_sel_hi:[0,1,0]
	v_fma_mixlo_f16 v28, v27, v40, 0 op_sel:[0,1,0] op_sel_hi:[0,1,0]
	v_lshlrev_b32_e32 v44, 16, v10
	v_or_b32_e32 v10, v40, v31
	v_lshlrev_b32_e32 v40, 16, v28
	v_or_b32_e32 v28, v41, v33
	v_fma_mixlo_f16 v9, v27, v9, 0 op_sel_hi:[0,1,0]
	v_fma_mixlo_f16 v10, v27, v10, 0 op_sel_hi:[0,1,0]
	;; [unrolled: 1-line block ×3, first 2 shown]
	v_and_b32_e32 v47, 0xffff, v9
	v_and_b32_e32 v45, 0xffff, v10
	;; [unrolled: 1-line block ×3, first 2 shown]
	v_add_u32_e32 v26, -7, v23
	v_or_b32_e32 v9, v44, v47
	v_or_b32_e32 v10, v40, v45
	v_add_u32_e32 v31, -5, v23
	v_add_u32_e32 v29, -3, v23
	;; [unrolled: 1-line block ×3, first 2 shown]
	s_waitcnt vmcnt(0)
	v_cmp_eq_u32_e32 vcc, s28, v1
	v_or_b32_e32 v1, v32, v30
	v_fma_mixlo_f16 v1, v27, v1, 0 op_sel_hi:[0,1,0]
	v_fma_mixlo_f16 v27, v27, v41, 0 op_sel:[0,1,0] op_sel_hi:[0,1,0]
	v_and_b32_e32 v43, 0xffff, v1
	v_lshlrev_b32_e32 v33, 16, v27
	v_or_b32_e32 v1, v42, v43
	v_or_b32_e32 v41, v33, v46
	v_add_u32_e32 v32, -6, v23
	v_add_u32_e32 v30, -4, v23
	v_add_u32_e32 v27, -1, v23
	s_and_saveexec_b64 s[12:13], vcc
	s_cbranch_execz .LBB253_464
; %bb.463:                              ;   in Loop: Header=BB253_414 Depth=1
	v_cmp_gt_i32_e64 s[0:1], s30, v26
	v_cndmask_b32_e64 v1, 0, v47, s[0:1]
	v_cmp_gt_i32_e64 s[0:1], s30, v32
	v_cndmask_b32_e64 v9, 0, v44, s[0:1]
	v_cmp_gt_i32_e64 s[0:1], s30, v31
	v_or_b32_e32 v9, v9, v1
	v_cndmask_b32_e64 v1, 0, v43, s[0:1]
	v_cmp_gt_i32_e64 s[0:1], s30, v30
	v_cndmask_b32_e64 v10, 0, v42, s[0:1]
	v_cmp_gt_i32_e64 s[0:1], s30, v29
	v_or_b32_e32 v1, v10, v1
	;; [unrolled: 5-line block ×3, first 2 shown]
	v_cndmask_b32_e64 v40, 0, v46, s[0:1]
	v_cmp_gt_i32_e64 s[0:1], s30, v23
	v_cndmask_b32_e64 v33, 0, v33, s[0:1]
	v_or_b32_e32 v41, v33, v40
.LBB253_464:                            ;   in Loop: Header=BB253_414 Depth=1
	s_or_b64 exec, exec, s[12:13]
	v_and_b32_e32 v0, 0xffff, v0
	v_lshl_or_b32 v33, v11, 16, v0
	v_and_b32_e32 v0, 0xffff, v34
	v_lshl_or_b32 v34, v35, 16, v0
	v_and_b32_e32 v0, 0xffff, v36
	v_lshl_or_b32 v35, v37, 16, v0
	v_and_b32_e32 v0, 0xffff, v38
	v_lshl_or_b32 v36, v39, 16, v0
	;;#ASMSTART
	v_pk_mul_f16 v0, v33, v9;

	;;#ASMEND
	;;#ASMSTART
	v_pk_mul_f16 v1, v34, v1;

	;;#ASMEND
	;; [unrolled: 4-line block ×4, first 2 shown]
	;;#ASMSTART
	v_pk_add_f16 v0, v0, v1;

	;;#ASMEND
	;;#ASMSTART
	v_pk_add_f16 v0, v0, v9;

	;;#ASMEND
	;; [unrolled: 4-line block ×3, first 2 shown]
	v_lshrrev_b32_e32 v1, 16, v0
	v_and_b32_e32 v0, 0xffff, v0
	;;#ASMSTART
	v_cvt_f32_f16 v37, v0;
	;;#ASMEND
	;;#ASMSTART
	v_cvt_f32_f16 v38, v1;
	;;#ASMEND
	global_load_dwordx2 v[9:10], v[7:8], off offset:512
	v_mov_b32_e32 v11, 0
	global_load_dword v0, v11, s[14:15]
	v_mov_b32_e32 v39, 0
	s_waitcnt vmcnt(1)
	v_cmp_ne_u16_sdwa s[0:1], v9, v2 src0_sel:BYTE_0 src1_sel:DWORD
	s_and_saveexec_b64 s[12:13], s[0:1]
	s_cbranch_execz .LBB253_470
; %bb.465:                              ;   in Loop: Header=BB253_414 Depth=1
	v_cmp_ne_u16_sdwa s[0:1], v9, s24 src0_sel:BYTE_0 src1_sel:DWORD
	v_mov_b32_e32 v39, 0x8000
	s_and_saveexec_b64 s[16:17], s[0:1]
	s_cbranch_execz .LBB253_469
; %bb.466:                              ;   in Loop: Header=BB253_414 Depth=1
	v_and_b32_e32 v1, 0x7f, v9
	v_cmp_ne_u32_e64 s[0:1], s25, v1
	v_mov_b32_e32 v39, 0x7c01
	s_and_saveexec_b64 s[18:19], s[0:1]
	s_cbranch_execz .LBB253_468
; %bb.467:                              ;   in Loop: Header=BB253_414 Depth=1
	v_and_b32_e32 v41, 7, v9
	v_ffbh_u32_e32 v39, v41
	v_min_u32_e32 v43, 32, v39
	v_subrev_u32_e32 v39, 28, v43
	v_lshlrev_b64 v[39:40], v39, v[9:10]
	v_lshrrev_b32_e32 v42, 3, v1
	v_sub_u32_e32 v40, 29, v43
	v_cmp_gt_u32_e64 s[0:1], 8, v1
	v_cndmask_b32_e64 v1, v42, v40, s[0:1]
	v_lshl_add_u32 v1, v1, 10, v25
	v_lshlrev_b32_e32 v40, 8, v9
	v_and_b32_e32 v39, 7, v39
	v_and_b32_e32 v1, 0xfc00, v1
	v_cndmask_b32_e64 v39, v41, v39, s[0:1]
	v_and_or_b32 v1, v40, s26, v1
	v_lshl_or_b32 v39, v39, 7, v1
.LBB253_468:                            ;   in Loop: Header=BB253_414 Depth=1
	s_or_b64 exec, exec, s[18:19]
.LBB253_469:                            ;   in Loop: Header=BB253_414 Depth=1
	s_or_b64 exec, exec, s[16:17]
.LBB253_470:                            ;   in Loop: Header=BB253_414 Depth=1
	s_or_b64 exec, exec, s[12:13]
	v_lshrrev_b16_e32 v1, 8, v9
	v_cmp_ne_u16_e64 s[0:1], 0, v1
	s_and_saveexec_b64 s[12:13], s[0:1]
	s_cbranch_execz .LBB253_476
; %bb.471:                              ;   in Loop: Header=BB253_414 Depth=1
	v_cmp_ne_u16_e64 s[0:1], s24, v1
	v_bfrev_b32_e32 v11, 1
	s_and_saveexec_b64 s[16:17], s[0:1]
	s_cbranch_execz .LBB253_475
; %bb.472:                              ;   in Loop: Header=BB253_414 Depth=1
	v_and_b32_e32 v40, 0x7f, v1
	v_cmp_ne_u32_e64 s[0:1], s25, v40
	v_mov_b32_e32 v11, 0x7c010000
	s_and_saveexec_b64 s[18:19], s[0:1]
	s_cbranch_execz .LBB253_474
; %bb.473:                              ;   in Loop: Header=BB253_414 Depth=1
	v_and_b32_e32 v11, 7, v1
	v_ffbh_u32_e32 v41, v11
	v_min_u32_e32 v44, 32, v41
	v_subrev_u32_e32 v41, 28, v44
	v_lshlrev_b64 v[41:42], v41, v[1:2]
	v_lshrrev_b32_e32 v43, 3, v40
	v_sub_u32_e32 v42, 29, v44
	v_cmp_gt_u32_e64 s[0:1], 8, v40
	v_cndmask_b32_e64 v40, v43, v42, s[0:1]
	v_lshlrev_b32_e32 v1, 8, v1
	v_lshl_add_u32 v40, v40, 10, v25
	v_and_b32_e32 v41, 7, v41
	v_and_or_b32 v1, v1, s26, v40
	v_cndmask_b32_e64 v11, v11, v41, s[0:1]
	v_lshlrev_b32_e32 v1, 16, v1
	v_lshl_or_b32 v11, v11, 23, v1
.LBB253_474:                            ;   in Loop: Header=BB253_414 Depth=1
	s_or_b64 exec, exec, s[18:19]
.LBB253_475:                            ;   in Loop: Header=BB253_414 Depth=1
	s_or_b64 exec, exec, s[16:17]
.LBB253_476:                            ;   in Loop: Header=BB253_414 Depth=1
	s_or_b64 exec, exec, s[12:13]
	v_lshrrev_b32_e32 v1, 16, v9
	v_cmp_ne_u16_sdwa s[0:1], v1, v2 src0_sel:BYTE_0 src1_sel:DWORD
	v_mov_b32_e32 v40, 0
	v_mov_b32_e32 v41, 0
	s_and_saveexec_b64 s[12:13], s[0:1]
	s_cbranch_execz .LBB253_482
; %bb.477:                              ;   in Loop: Header=BB253_414 Depth=1
	v_cmp_ne_u16_sdwa s[0:1], v1, s24 src0_sel:BYTE_0 src1_sel:DWORD
	v_mov_b32_e32 v41, 0x8000
	s_and_saveexec_b64 s[16:17], s[0:1]
	s_cbranch_execz .LBB253_481
; %bb.478:                              ;   in Loop: Header=BB253_414 Depth=1
	v_bfe_u32 v42, v9, 16, 7
	v_cmp_ne_u32_e64 s[0:1], s25, v42
	v_mov_b32_e32 v41, 0x7c01
	s_and_saveexec_b64 s[18:19], s[0:1]
	s_cbranch_execz .LBB253_480
; %bb.479:                              ;   in Loop: Header=BB253_414 Depth=1
	v_and_b32_e32 v41, 7, v1
	v_ffbh_u32_e32 v43, v41
	v_min_u32_e32 v46, 32, v43
	v_subrev_u32_e32 v43, 28, v46
	v_lshlrev_b64 v[43:44], v43, v[1:2]
	v_lshrrev_b32_e32 v45, 3, v42
	v_sub_u32_e32 v44, 29, v46
	v_cmp_gt_u32_e64 s[0:1], 8, v42
	v_cndmask_b32_e64 v42, v45, v44, s[0:1]
	v_lshl_add_u32 v42, v42, 10, v25
	v_lshlrev_b32_e32 v1, 8, v1
	v_and_b32_e32 v43, 7, v43
	v_and_b32_e32 v42, 0xfc00, v42
	v_cndmask_b32_e64 v41, v41, v43, s[0:1]
	v_and_or_b32 v1, v1, s26, v42
	v_lshl_or_b32 v41, v41, 7, v1
.LBB253_480:                            ;   in Loop: Header=BB253_414 Depth=1
	s_or_b64 exec, exec, s[18:19]
.LBB253_481:                            ;   in Loop: Header=BB253_414 Depth=1
	s_or_b64 exec, exec, s[16:17]
.LBB253_482:                            ;   in Loop: Header=BB253_414 Depth=1
	s_or_b64 exec, exec, s[12:13]
	v_cmp_lt_u32_e64 s[0:1], s5, v9
	s_and_saveexec_b64 s[12:13], s[0:1]
	s_cbranch_execz .LBB253_488
; %bb.483:                              ;   in Loop: Header=BB253_414 Depth=1
	v_lshrrev_b32_e32 v1, 24, v9
	v_cmp_ne_u32_e64 s[0:1], s24, v1
	v_bfrev_b32_e32 v40, 1
	s_and_saveexec_b64 s[16:17], s[0:1]
	s_cbranch_execz .LBB253_487
; %bb.484:                              ;   in Loop: Header=BB253_414 Depth=1
	v_and_b32_e32 v42, 0x7f, v1
	v_cmp_ne_u32_e64 s[0:1], s25, v42
	v_mov_b32_e32 v40, 0x7c010000
	s_and_saveexec_b64 s[18:19], s[0:1]
	s_cbranch_execz .LBB253_486
; %bb.485:                              ;   in Loop: Header=BB253_414 Depth=1
	v_and_b32_e32 v40, 7, v1
	v_ffbh_u32_e32 v43, v40
	v_min_u32_e32 v46, 32, v43
	v_subrev_u32_e32 v43, 28, v46
	v_lshlrev_b64 v[43:44], v43, v[1:2]
	v_lshrrev_b32_e32 v45, 3, v42
	v_sub_u32_e32 v44, 29, v46
	v_cmp_gt_u32_e64 s[0:1], 8, v42
	v_cndmask_b32_e64 v42, v45, v44, s[0:1]
	v_lshlrev_b32_e32 v1, 8, v1
	v_lshl_add_u32 v42, v42, 10, v25
	v_and_b32_e32 v43, 7, v43
	v_and_or_b32 v1, v1, s26, v42
	v_cndmask_b32_e64 v40, v40, v43, s[0:1]
	v_lshlrev_b32_e32 v1, 16, v1
	v_lshl_or_b32 v40, v40, 23, v1
.LBB253_486:                            ;   in Loop: Header=BB253_414 Depth=1
	s_or_b64 exec, exec, s[18:19]
.LBB253_487:                            ;   in Loop: Header=BB253_414 Depth=1
	s_or_b64 exec, exec, s[16:17]
.LBB253_488:                            ;   in Loop: Header=BB253_414 Depth=1
	s_or_b64 exec, exec, s[12:13]
	v_mov_b32_e32 v1, v10
	v_cmp_ne_u16_sdwa s[0:1], v10, v2 src0_sel:BYTE_0 src1_sel:DWORD
	v_mov_b32_e32 v42, 0
	v_mov_b32_e32 v43, 0
	s_and_saveexec_b64 s[12:13], s[0:1]
	s_cbranch_execz .LBB253_494
; %bb.489:                              ;   in Loop: Header=BB253_414 Depth=1
	v_cmp_ne_u16_sdwa s[0:1], v10, s24 src0_sel:BYTE_0 src1_sel:DWORD
	v_mov_b32_e32 v43, 0x8000
	s_and_saveexec_b64 s[16:17], s[0:1]
	s_cbranch_execz .LBB253_493
; %bb.490:                              ;   in Loop: Header=BB253_414 Depth=1
	v_and_b32_e32 v44, 0x7f, v10
	v_cmp_ne_u32_e64 s[0:1], s25, v44
	v_mov_b32_e32 v43, 0x7c01
	s_and_saveexec_b64 s[18:19], s[0:1]
	s_cbranch_execz .LBB253_492
; %bb.491:                              ;   in Loop: Header=BB253_414 Depth=1
	v_and_b32_e32 v43, 7, v10
	v_ffbh_u32_e32 v45, v43
	v_min_u32_e32 v48, 32, v45
	v_subrev_u32_e32 v45, 28, v48
	v_lshlrev_b64 v[45:46], v45, v[1:2]
	v_lshrrev_b32_e32 v47, 3, v44
	v_sub_u32_e32 v46, 29, v48
	v_cmp_gt_u32_e64 s[0:1], 8, v44
	v_cndmask_b32_e64 v44, v47, v46, s[0:1]
	v_lshl_add_u32 v44, v44, 10, v25
	v_lshlrev_b32_e32 v46, 8, v10
	v_and_b32_e32 v45, 7, v45
	v_and_b32_e32 v44, 0xfc00, v44
	v_cndmask_b32_e64 v43, v43, v45, s[0:1]
	v_and_or_b32 v44, v46, s26, v44
	v_lshl_or_b32 v43, v43, 7, v44
.LBB253_492:                            ;   in Loop: Header=BB253_414 Depth=1
	s_or_b64 exec, exec, s[18:19]
.LBB253_493:                            ;   in Loop: Header=BB253_414 Depth=1
	s_or_b64 exec, exec, s[16:17]
.LBB253_494:                            ;   in Loop: Header=BB253_414 Depth=1
	s_or_b64 exec, exec, s[12:13]
	v_lshrrev_b16_e32 v1, 8, v1
	v_cmp_ne_u16_e64 s[0:1], 0, v1
	v_mov_b32_e32 v44, 0
	s_and_saveexec_b64 s[12:13], s[0:1]
	s_cbranch_execz .LBB253_500
; %bb.495:                              ;   in Loop: Header=BB253_414 Depth=1
	v_cmp_ne_u16_e64 s[0:1], s24, v1
	v_bfrev_b32_e32 v44, 1
	s_and_saveexec_b64 s[16:17], s[0:1]
	s_cbranch_execz .LBB253_499
; %bb.496:                              ;   in Loop: Header=BB253_414 Depth=1
	v_and_b32_e32 v45, 0x7f, v1
	v_cmp_ne_u32_e64 s[0:1], s25, v45
	v_mov_b32_e32 v44, 0x7c010000
	s_and_saveexec_b64 s[18:19], s[0:1]
	s_cbranch_execz .LBB253_498
; %bb.497:                              ;   in Loop: Header=BB253_414 Depth=1
	v_and_b32_e32 v44, 7, v1
	v_ffbh_u32_e32 v46, v44
	v_min_u32_e32 v49, 32, v46
	v_subrev_u32_e32 v46, 28, v49
	v_lshlrev_b64 v[46:47], v46, v[1:2]
	v_lshrrev_b32_e32 v48, 3, v45
	v_sub_u32_e32 v47, 29, v49
	v_cmp_gt_u32_e64 s[0:1], 8, v45
	v_cndmask_b32_e64 v45, v48, v47, s[0:1]
	v_lshlrev_b32_e32 v1, 8, v1
	v_lshl_add_u32 v45, v45, 10, v25
	v_and_b32_e32 v46, 7, v46
	v_and_or_b32 v1, v1, s26, v45
	v_cndmask_b32_e64 v44, v44, v46, s[0:1]
	v_lshlrev_b32_e32 v1, 16, v1
	v_lshl_or_b32 v44, v44, 23, v1
.LBB253_498:                            ;   in Loop: Header=BB253_414 Depth=1
	s_or_b64 exec, exec, s[18:19]
.LBB253_499:                            ;   in Loop: Header=BB253_414 Depth=1
	s_or_b64 exec, exec, s[16:17]
.LBB253_500:                            ;   in Loop: Header=BB253_414 Depth=1
	s_or_b64 exec, exec, s[12:13]
	v_lshrrev_b32_e32 v1, 16, v10
	v_cmp_ne_u16_sdwa s[0:1], v1, v2 src0_sel:BYTE_0 src1_sel:DWORD
	s_and_saveexec_b64 s[12:13], s[0:1]
	s_cbranch_execz .LBB253_506
; %bb.501:                              ;   in Loop: Header=BB253_414 Depth=1
	v_cmp_ne_u16_sdwa s[0:1], v1, s24 src0_sel:BYTE_0 src1_sel:DWORD
	v_mov_b32_e32 v42, 0x8000
	s_and_saveexec_b64 s[16:17], s[0:1]
	s_cbranch_execz .LBB253_505
; %bb.502:                              ;   in Loop: Header=BB253_414 Depth=1
	v_bfe_u32 v45, v10, 16, 7
	v_cmp_ne_u32_e64 s[0:1], s25, v45
	v_mov_b32_e32 v42, 0x7c01
	s_and_saveexec_b64 s[18:19], s[0:1]
	s_cbranch_execz .LBB253_504
; %bb.503:                              ;   in Loop: Header=BB253_414 Depth=1
	v_and_b32_e32 v42, 7, v1
	v_ffbh_u32_e32 v46, v42
	v_min_u32_e32 v49, 32, v46
	v_subrev_u32_e32 v46, 28, v49
	v_lshlrev_b64 v[46:47], v46, v[1:2]
	v_lshrrev_b32_e32 v48, 3, v45
	v_sub_u32_e32 v47, 29, v49
	v_cmp_gt_u32_e64 s[0:1], 8, v45
	v_cndmask_b32_e64 v45, v48, v47, s[0:1]
	v_lshl_add_u32 v45, v45, 10, v25
	v_lshlrev_b32_e32 v1, 8, v1
	v_and_b32_e32 v46, 7, v46
	v_and_b32_e32 v45, 0xfc00, v45
	v_cndmask_b32_e64 v42, v42, v46, s[0:1]
	v_and_or_b32 v1, v1, s26, v45
	v_lshl_or_b32 v42, v42, 7, v1
.LBB253_504:                            ;   in Loop: Header=BB253_414 Depth=1
	s_or_b64 exec, exec, s[18:19]
.LBB253_505:                            ;   in Loop: Header=BB253_414 Depth=1
	s_or_b64 exec, exec, s[16:17]
.LBB253_506:                            ;   in Loop: Header=BB253_414 Depth=1
	s_or_b64 exec, exec, s[12:13]
	v_cmp_lt_u64_e64 s[0:1], s[4:5], v[9:10]
	v_mov_b32_e32 v9, 0
	s_and_saveexec_b64 s[12:13], s[0:1]
	s_cbranch_execz .LBB253_512
; %bb.507:                              ;   in Loop: Header=BB253_414 Depth=1
	v_lshrrev_b32_e32 v1, 24, v10
	v_cmp_ne_u32_e64 s[0:1], s24, v1
	v_bfrev_b32_e32 v9, 1
	s_and_saveexec_b64 s[16:17], s[0:1]
	s_cbranch_execz .LBB253_511
; %bb.508:                              ;   in Loop: Header=BB253_414 Depth=1
	v_and_b32_e32 v10, 0x7f, v1
	v_cmp_ne_u32_e64 s[0:1], s25, v10
	v_mov_b32_e32 v9, 0x7c010000
	s_and_saveexec_b64 s[18:19], s[0:1]
	s_cbranch_execz .LBB253_510
; %bb.509:                              ;   in Loop: Header=BB253_414 Depth=1
	v_and_b32_e32 v9, 7, v1
	v_ffbh_u32_e32 v45, v9
	v_min_u32_e32 v48, 32, v45
	v_subrev_u32_e32 v45, 28, v48
	v_lshlrev_b64 v[45:46], v45, v[1:2]
	v_lshrrev_b32_e32 v47, 3, v10
	v_sub_u32_e32 v46, 29, v48
	v_cmp_gt_u32_e64 s[0:1], 8, v10
	v_cndmask_b32_e64 v10, v47, v46, s[0:1]
	v_lshlrev_b32_e32 v1, 8, v1
	v_lshl_add_u32 v10, v10, 10, v25
	v_and_b32_e32 v45, 7, v45
	v_and_or_b32 v1, v1, s26, v10
	v_cndmask_b32_e64 v9, v9, v45, s[0:1]
	v_lshlrev_b32_e32 v1, 16, v1
	v_lshl_or_b32 v9, v9, 23, v1
.LBB253_510:                            ;   in Loop: Header=BB253_414 Depth=1
	s_or_b64 exec, exec, s[18:19]
.LBB253_511:                            ;   in Loop: Header=BB253_414 Depth=1
	s_or_b64 exec, exec, s[16:17]
.LBB253_512:                            ;   in Loop: Header=BB253_414 Depth=1
	s_or_b64 exec, exec, s[12:13]
	s_waitcnt vmcnt(0)
	v_fma_mixlo_f16 v10, v0, v40, 0 op_sel:[0,1,0] op_sel_hi:[0,1,0]
	v_or_b32_e32 v1, v40, v41
	v_lshlrev_b32_e32 v40, 16, v10
	v_or_b32_e32 v10, v11, v39
	v_fma_mixlo_f16 v11, v0, v11, 0 op_sel:[0,1,0] op_sel_hi:[0,1,0]
	v_lshlrev_b32_e32 v45, 16, v11
	v_or_b32_e32 v11, v44, v43
	v_or_b32_e32 v42, v9, v42
	v_fma_mixlo_f16 v1, v0, v1, 0 op_sel_hi:[0,1,0]
	v_fma_mixlo_f16 v10, v0, v10, 0 op_sel_hi:[0,1,0]
	v_fma_mixlo_f16 v39, v0, v44, 0 op_sel:[0,1,0] op_sel_hi:[0,1,0]
	v_fma_mixlo_f16 v11, v0, v11, 0 op_sel_hi:[0,1,0]
	v_fma_mixlo_f16 v42, v0, v42, 0 op_sel_hi:[0,1,0]
	v_fma_mixlo_f16 v0, v0, v9, 0 op_sel:[0,1,0] op_sel_hi:[0,1,0]
	v_and_b32_e32 v41, 0xffff, v1
	v_and_b32_e32 v46, 0xffff, v10
	v_lshlrev_b32_e32 v39, 16, v39
	v_and_b32_e32 v43, 0xffff, v11
	v_lshlrev_b32_e32 v0, 16, v0
	v_and_b32_e32 v9, 0xffff, v42
	v_or_b32_e32 v1, v40, v41
	v_or_b32_e32 v10, v45, v46
	;; [unrolled: 1-line block ×4, first 2 shown]
	s_and_saveexec_b64 s[12:13], vcc
	s_cbranch_execz .LBB253_514
; %bb.513:                              ;   in Loop: Header=BB253_414 Depth=1
	v_cmp_gt_i32_e64 s[0:1], s30, v26
	v_cndmask_b32_e64 v1, 0, v46, s[0:1]
	v_cmp_gt_i32_e64 s[0:1], s30, v32
	v_cndmask_b32_e64 v10, 0, v45, s[0:1]
	v_cmp_gt_i32_e64 s[0:1], s30, v31
	v_or_b32_e32 v10, v10, v1
	v_cndmask_b32_e64 v1, 0, v41, s[0:1]
	v_cmp_gt_i32_e64 s[0:1], s30, v30
	v_cndmask_b32_e64 v11, 0, v40, s[0:1]
	v_cmp_gt_i32_e64 s[0:1], s30, v29
	v_or_b32_e32 v1, v11, v1
	v_cndmask_b32_e64 v11, 0, v43, s[0:1]
	v_cmp_gt_i32_e64 s[0:1], s30, v28
	v_cndmask_b32_e64 v39, 0, v39, s[0:1]
	v_cmp_gt_i32_e64 s[0:1], s30, v27
	;; [unrolled: 2-line block ×3, first 2 shown]
	v_cndmask_b32_e64 v0, 0, v0, s[0:1]
	v_or_b32_e32 v11, v39, v11
	v_or_b32_e32 v42, v0, v9
.LBB253_514:                            ;   in Loop: Header=BB253_414 Depth=1
	s_or_b64 exec, exec, s[12:13]
	;;#ASMSTART
	v_pk_mul_f16 v0, v33, v10;

	;;#ASMEND
	;;#ASMSTART
	v_pk_mul_f16 v1, v34, v1;

	;;#ASMEND
	;; [unrolled: 4-line block ×4, first 2 shown]
	;;#ASMSTART
	v_pk_add_f16 v0, v0, v1;

	;;#ASMEND
	;;#ASMSTART
	v_pk_add_f16 v0, v0, v9;

	;;#ASMEND
	;; [unrolled: 4-line block ×3, first 2 shown]
	v_lshrrev_b32_e32 v1, 16, v0
	v_and_b32_e32 v0, 0xffff, v0
	;;#ASMSTART
	v_cvt_f32_f16 v39, v0;
	;;#ASMEND
	;;#ASMSTART
	v_cvt_f32_f16 v40, v1;
	;;#ASMEND
	global_load_dwordx2 v[9:10], v[7:8], off offset:1024
	v_mov_b32_e32 v11, 0
	global_load_dword v0, v11, s[14:15]
	v_mov_b32_e32 v41, 0
	s_waitcnt vmcnt(1)
	v_cmp_ne_u16_sdwa s[0:1], v9, v2 src0_sel:BYTE_0 src1_sel:DWORD
	s_and_saveexec_b64 s[12:13], s[0:1]
	s_cbranch_execz .LBB253_520
; %bb.515:                              ;   in Loop: Header=BB253_414 Depth=1
	v_cmp_ne_u16_sdwa s[0:1], v9, s24 src0_sel:BYTE_0 src1_sel:DWORD
	v_mov_b32_e32 v41, 0x8000
	s_and_saveexec_b64 s[16:17], s[0:1]
	s_cbranch_execz .LBB253_519
; %bb.516:                              ;   in Loop: Header=BB253_414 Depth=1
	v_and_b32_e32 v1, 0x7f, v9
	v_cmp_ne_u32_e64 s[0:1], s25, v1
	v_mov_b32_e32 v41, 0x7c01
	s_and_saveexec_b64 s[18:19], s[0:1]
	s_cbranch_execz .LBB253_518
; %bb.517:                              ;   in Loop: Header=BB253_414 Depth=1
	v_and_b32_e32 v43, 7, v9
	v_ffbh_u32_e32 v41, v43
	v_min_u32_e32 v45, 32, v41
	v_subrev_u32_e32 v41, 28, v45
	v_lshlrev_b64 v[41:42], v41, v[9:10]
	v_lshrrev_b32_e32 v44, 3, v1
	v_sub_u32_e32 v42, 29, v45
	v_cmp_gt_u32_e64 s[0:1], 8, v1
	v_cndmask_b32_e64 v1, v44, v42, s[0:1]
	v_lshl_add_u32 v1, v1, 10, v25
	v_lshlrev_b32_e32 v42, 8, v9
	v_and_b32_e32 v41, 7, v41
	v_and_b32_e32 v1, 0xfc00, v1
	v_cndmask_b32_e64 v41, v43, v41, s[0:1]
	v_and_or_b32 v1, v42, s26, v1
	v_lshl_or_b32 v41, v41, 7, v1
.LBB253_518:                            ;   in Loop: Header=BB253_414 Depth=1
	s_or_b64 exec, exec, s[18:19]
.LBB253_519:                            ;   in Loop: Header=BB253_414 Depth=1
	s_or_b64 exec, exec, s[16:17]
.LBB253_520:                            ;   in Loop: Header=BB253_414 Depth=1
	s_or_b64 exec, exec, s[12:13]
	v_lshrrev_b16_e32 v1, 8, v9
	v_cmp_ne_u16_e64 s[0:1], 0, v1
	s_and_saveexec_b64 s[12:13], s[0:1]
	s_cbranch_execz .LBB253_526
; %bb.521:                              ;   in Loop: Header=BB253_414 Depth=1
	v_cmp_ne_u16_e64 s[0:1], s24, v1
	v_bfrev_b32_e32 v11, 1
	s_and_saveexec_b64 s[16:17], s[0:1]
	s_cbranch_execz .LBB253_525
; %bb.522:                              ;   in Loop: Header=BB253_414 Depth=1
	v_and_b32_e32 v42, 0x7f, v1
	v_cmp_ne_u32_e64 s[0:1], s25, v42
	v_mov_b32_e32 v11, 0x7c010000
	s_and_saveexec_b64 s[18:19], s[0:1]
	s_cbranch_execz .LBB253_524
; %bb.523:                              ;   in Loop: Header=BB253_414 Depth=1
	v_and_b32_e32 v11, 7, v1
	v_ffbh_u32_e32 v43, v11
	v_min_u32_e32 v46, 32, v43
	v_subrev_u32_e32 v43, 28, v46
	v_lshlrev_b64 v[43:44], v43, v[1:2]
	v_lshrrev_b32_e32 v45, 3, v42
	v_sub_u32_e32 v44, 29, v46
	v_cmp_gt_u32_e64 s[0:1], 8, v42
	v_cndmask_b32_e64 v42, v45, v44, s[0:1]
	v_lshlrev_b32_e32 v1, 8, v1
	v_lshl_add_u32 v42, v42, 10, v25
	v_and_b32_e32 v43, 7, v43
	v_and_or_b32 v1, v1, s26, v42
	v_cndmask_b32_e64 v11, v11, v43, s[0:1]
	v_lshlrev_b32_e32 v1, 16, v1
	v_lshl_or_b32 v11, v11, 23, v1
.LBB253_524:                            ;   in Loop: Header=BB253_414 Depth=1
	s_or_b64 exec, exec, s[18:19]
.LBB253_525:                            ;   in Loop: Header=BB253_414 Depth=1
	s_or_b64 exec, exec, s[16:17]
.LBB253_526:                            ;   in Loop: Header=BB253_414 Depth=1
	s_or_b64 exec, exec, s[12:13]
	v_lshrrev_b32_e32 v1, 16, v9
	v_cmp_ne_u16_sdwa s[0:1], v1, v2 src0_sel:BYTE_0 src1_sel:DWORD
	v_mov_b32_e32 v42, 0
	v_mov_b32_e32 v43, 0
	s_and_saveexec_b64 s[12:13], s[0:1]
	s_cbranch_execz .LBB253_532
; %bb.527:                              ;   in Loop: Header=BB253_414 Depth=1
	v_cmp_ne_u16_sdwa s[0:1], v1, s24 src0_sel:BYTE_0 src1_sel:DWORD
	v_mov_b32_e32 v43, 0x8000
	s_and_saveexec_b64 s[16:17], s[0:1]
	s_cbranch_execz .LBB253_531
; %bb.528:                              ;   in Loop: Header=BB253_414 Depth=1
	v_bfe_u32 v44, v9, 16, 7
	v_cmp_ne_u32_e64 s[0:1], s25, v44
	v_mov_b32_e32 v43, 0x7c01
	s_and_saveexec_b64 s[18:19], s[0:1]
	s_cbranch_execz .LBB253_530
; %bb.529:                              ;   in Loop: Header=BB253_414 Depth=1
	v_and_b32_e32 v43, 7, v1
	v_ffbh_u32_e32 v45, v43
	v_min_u32_e32 v48, 32, v45
	v_subrev_u32_e32 v45, 28, v48
	v_lshlrev_b64 v[45:46], v45, v[1:2]
	v_lshrrev_b32_e32 v47, 3, v44
	v_sub_u32_e32 v46, 29, v48
	v_cmp_gt_u32_e64 s[0:1], 8, v44
	v_cndmask_b32_e64 v44, v47, v46, s[0:1]
	v_lshl_add_u32 v44, v44, 10, v25
	v_lshlrev_b32_e32 v1, 8, v1
	v_and_b32_e32 v45, 7, v45
	v_and_b32_e32 v44, 0xfc00, v44
	v_cndmask_b32_e64 v43, v43, v45, s[0:1]
	v_and_or_b32 v1, v1, s26, v44
	v_lshl_or_b32 v43, v43, 7, v1
.LBB253_530:                            ;   in Loop: Header=BB253_414 Depth=1
	s_or_b64 exec, exec, s[18:19]
.LBB253_531:                            ;   in Loop: Header=BB253_414 Depth=1
	s_or_b64 exec, exec, s[16:17]
.LBB253_532:                            ;   in Loop: Header=BB253_414 Depth=1
	s_or_b64 exec, exec, s[12:13]
	v_cmp_lt_u32_e64 s[0:1], s5, v9
	s_and_saveexec_b64 s[12:13], s[0:1]
	s_cbranch_execz .LBB253_538
; %bb.533:                              ;   in Loop: Header=BB253_414 Depth=1
	v_lshrrev_b32_e32 v1, 24, v9
	v_cmp_ne_u32_e64 s[0:1], s24, v1
	v_bfrev_b32_e32 v42, 1
	s_and_saveexec_b64 s[16:17], s[0:1]
	s_cbranch_execz .LBB253_537
; %bb.534:                              ;   in Loop: Header=BB253_414 Depth=1
	v_and_b32_e32 v44, 0x7f, v1
	v_cmp_ne_u32_e64 s[0:1], s25, v44
	v_mov_b32_e32 v42, 0x7c010000
	s_and_saveexec_b64 s[18:19], s[0:1]
	s_cbranch_execz .LBB253_536
; %bb.535:                              ;   in Loop: Header=BB253_414 Depth=1
	v_and_b32_e32 v42, 7, v1
	v_ffbh_u32_e32 v45, v42
	v_min_u32_e32 v48, 32, v45
	v_subrev_u32_e32 v45, 28, v48
	v_lshlrev_b64 v[45:46], v45, v[1:2]
	v_lshrrev_b32_e32 v47, 3, v44
	v_sub_u32_e32 v46, 29, v48
	v_cmp_gt_u32_e64 s[0:1], 8, v44
	v_cndmask_b32_e64 v44, v47, v46, s[0:1]
	v_lshlrev_b32_e32 v1, 8, v1
	v_lshl_add_u32 v44, v44, 10, v25
	v_and_b32_e32 v45, 7, v45
	v_and_or_b32 v1, v1, s26, v44
	v_cndmask_b32_e64 v42, v42, v45, s[0:1]
	v_lshlrev_b32_e32 v1, 16, v1
	v_lshl_or_b32 v42, v42, 23, v1
.LBB253_536:                            ;   in Loop: Header=BB253_414 Depth=1
	s_or_b64 exec, exec, s[18:19]
.LBB253_537:                            ;   in Loop: Header=BB253_414 Depth=1
	s_or_b64 exec, exec, s[16:17]
.LBB253_538:                            ;   in Loop: Header=BB253_414 Depth=1
	s_or_b64 exec, exec, s[12:13]
	v_mov_b32_e32 v1, v10
	v_cmp_ne_u16_sdwa s[0:1], v10, v2 src0_sel:BYTE_0 src1_sel:DWORD
	v_mov_b32_e32 v44, 0
	v_mov_b32_e32 v45, 0
	s_and_saveexec_b64 s[12:13], s[0:1]
	s_cbranch_execz .LBB253_544
; %bb.539:                              ;   in Loop: Header=BB253_414 Depth=1
	v_cmp_ne_u16_sdwa s[0:1], v10, s24 src0_sel:BYTE_0 src1_sel:DWORD
	v_mov_b32_e32 v45, 0x8000
	s_and_saveexec_b64 s[16:17], s[0:1]
	s_cbranch_execz .LBB253_543
; %bb.540:                              ;   in Loop: Header=BB253_414 Depth=1
	v_and_b32_e32 v46, 0x7f, v10
	v_cmp_ne_u32_e64 s[0:1], s25, v46
	v_mov_b32_e32 v45, 0x7c01
	s_and_saveexec_b64 s[18:19], s[0:1]
	s_cbranch_execz .LBB253_542
; %bb.541:                              ;   in Loop: Header=BB253_414 Depth=1
	v_and_b32_e32 v45, 7, v10
	v_ffbh_u32_e32 v47, v45
	v_min_u32_e32 v50, 32, v47
	v_subrev_u32_e32 v47, 28, v50
	v_lshlrev_b64 v[47:48], v47, v[1:2]
	v_lshrrev_b32_e32 v49, 3, v46
	v_sub_u32_e32 v48, 29, v50
	v_cmp_gt_u32_e64 s[0:1], 8, v46
	v_cndmask_b32_e64 v46, v49, v48, s[0:1]
	v_lshl_add_u32 v46, v46, 10, v25
	v_lshlrev_b32_e32 v48, 8, v10
	v_and_b32_e32 v47, 7, v47
	v_and_b32_e32 v46, 0xfc00, v46
	v_cndmask_b32_e64 v45, v45, v47, s[0:1]
	v_and_or_b32 v46, v48, s26, v46
	v_lshl_or_b32 v45, v45, 7, v46
.LBB253_542:                            ;   in Loop: Header=BB253_414 Depth=1
	s_or_b64 exec, exec, s[18:19]
.LBB253_543:                            ;   in Loop: Header=BB253_414 Depth=1
	s_or_b64 exec, exec, s[16:17]
.LBB253_544:                            ;   in Loop: Header=BB253_414 Depth=1
	s_or_b64 exec, exec, s[12:13]
	v_lshrrev_b16_e32 v1, 8, v1
	v_cmp_ne_u16_e64 s[0:1], 0, v1
	v_mov_b32_e32 v46, 0
	s_and_saveexec_b64 s[12:13], s[0:1]
	s_cbranch_execz .LBB253_550
; %bb.545:                              ;   in Loop: Header=BB253_414 Depth=1
	v_cmp_ne_u16_e64 s[0:1], s24, v1
	v_bfrev_b32_e32 v46, 1
	s_and_saveexec_b64 s[16:17], s[0:1]
	s_cbranch_execz .LBB253_549
; %bb.546:                              ;   in Loop: Header=BB253_414 Depth=1
	v_and_b32_e32 v47, 0x7f, v1
	v_cmp_ne_u32_e64 s[0:1], s25, v47
	v_mov_b32_e32 v46, 0x7c010000
	s_and_saveexec_b64 s[18:19], s[0:1]
	s_cbranch_execz .LBB253_548
; %bb.547:                              ;   in Loop: Header=BB253_414 Depth=1
	v_and_b32_e32 v46, 7, v1
	v_ffbh_u32_e32 v48, v46
	v_min_u32_e32 v51, 32, v48
	v_subrev_u32_e32 v48, 28, v51
	v_lshlrev_b64 v[48:49], v48, v[1:2]
	v_lshrrev_b32_e32 v50, 3, v47
	v_sub_u32_e32 v49, 29, v51
	v_cmp_gt_u32_e64 s[0:1], 8, v47
	v_cndmask_b32_e64 v47, v50, v49, s[0:1]
	v_lshlrev_b32_e32 v1, 8, v1
	v_lshl_add_u32 v47, v47, 10, v25
	v_and_b32_e32 v48, 7, v48
	v_and_or_b32 v1, v1, s26, v47
	v_cndmask_b32_e64 v46, v46, v48, s[0:1]
	v_lshlrev_b32_e32 v1, 16, v1
	v_lshl_or_b32 v46, v46, 23, v1
.LBB253_548:                            ;   in Loop: Header=BB253_414 Depth=1
	s_or_b64 exec, exec, s[18:19]
.LBB253_549:                            ;   in Loop: Header=BB253_414 Depth=1
	s_or_b64 exec, exec, s[16:17]
.LBB253_550:                            ;   in Loop: Header=BB253_414 Depth=1
	s_or_b64 exec, exec, s[12:13]
	v_lshrrev_b32_e32 v1, 16, v10
	v_cmp_ne_u16_sdwa s[0:1], v1, v2 src0_sel:BYTE_0 src1_sel:DWORD
	s_and_saveexec_b64 s[12:13], s[0:1]
	s_cbranch_execz .LBB253_556
; %bb.551:                              ;   in Loop: Header=BB253_414 Depth=1
	v_cmp_ne_u16_sdwa s[0:1], v1, s24 src0_sel:BYTE_0 src1_sel:DWORD
	v_mov_b32_e32 v44, 0x8000
	s_and_saveexec_b64 s[16:17], s[0:1]
	s_cbranch_execz .LBB253_555
; %bb.552:                              ;   in Loop: Header=BB253_414 Depth=1
	v_bfe_u32 v47, v10, 16, 7
	v_cmp_ne_u32_e64 s[0:1], s25, v47
	v_mov_b32_e32 v44, 0x7c01
	s_and_saveexec_b64 s[18:19], s[0:1]
	s_cbranch_execz .LBB253_554
; %bb.553:                              ;   in Loop: Header=BB253_414 Depth=1
	v_and_b32_e32 v44, 7, v1
	v_ffbh_u32_e32 v48, v44
	v_min_u32_e32 v51, 32, v48
	v_subrev_u32_e32 v48, 28, v51
	v_lshlrev_b64 v[48:49], v48, v[1:2]
	v_lshrrev_b32_e32 v50, 3, v47
	v_sub_u32_e32 v49, 29, v51
	v_cmp_gt_u32_e64 s[0:1], 8, v47
	v_cndmask_b32_e64 v47, v50, v49, s[0:1]
	v_lshl_add_u32 v47, v47, 10, v25
	v_lshlrev_b32_e32 v1, 8, v1
	v_and_b32_e32 v48, 7, v48
	v_and_b32_e32 v47, 0xfc00, v47
	v_cndmask_b32_e64 v44, v44, v48, s[0:1]
	v_and_or_b32 v1, v1, s26, v47
	v_lshl_or_b32 v44, v44, 7, v1
.LBB253_554:                            ;   in Loop: Header=BB253_414 Depth=1
	s_or_b64 exec, exec, s[18:19]
.LBB253_555:                            ;   in Loop: Header=BB253_414 Depth=1
	s_or_b64 exec, exec, s[16:17]
.LBB253_556:                            ;   in Loop: Header=BB253_414 Depth=1
	s_or_b64 exec, exec, s[12:13]
	v_cmp_lt_u64_e64 s[0:1], s[4:5], v[9:10]
	v_mov_b32_e32 v9, 0
	s_and_saveexec_b64 s[12:13], s[0:1]
	s_cbranch_execz .LBB253_562
; %bb.557:                              ;   in Loop: Header=BB253_414 Depth=1
	v_lshrrev_b32_e32 v1, 24, v10
	v_cmp_ne_u32_e64 s[0:1], s24, v1
	v_bfrev_b32_e32 v9, 1
	s_and_saveexec_b64 s[16:17], s[0:1]
	s_cbranch_execz .LBB253_561
; %bb.558:                              ;   in Loop: Header=BB253_414 Depth=1
	v_and_b32_e32 v10, 0x7f, v1
	v_cmp_ne_u32_e64 s[0:1], s25, v10
	v_mov_b32_e32 v9, 0x7c010000
	s_and_saveexec_b64 s[18:19], s[0:1]
	s_cbranch_execz .LBB253_560
; %bb.559:                              ;   in Loop: Header=BB253_414 Depth=1
	v_and_b32_e32 v9, 7, v1
	v_ffbh_u32_e32 v47, v9
	v_min_u32_e32 v50, 32, v47
	v_subrev_u32_e32 v47, 28, v50
	v_lshlrev_b64 v[47:48], v47, v[1:2]
	v_lshrrev_b32_e32 v49, 3, v10
	v_sub_u32_e32 v48, 29, v50
	v_cmp_gt_u32_e64 s[0:1], 8, v10
	v_cndmask_b32_e64 v10, v49, v48, s[0:1]
	v_lshlrev_b32_e32 v1, 8, v1
	v_lshl_add_u32 v10, v10, 10, v25
	v_and_b32_e32 v47, 7, v47
	v_and_or_b32 v1, v1, s26, v10
	v_cndmask_b32_e64 v9, v9, v47, s[0:1]
	v_lshlrev_b32_e32 v1, 16, v1
	v_lshl_or_b32 v9, v9, 23, v1
.LBB253_560:                            ;   in Loop: Header=BB253_414 Depth=1
	s_or_b64 exec, exec, s[18:19]
.LBB253_561:                            ;   in Loop: Header=BB253_414 Depth=1
	s_or_b64 exec, exec, s[16:17]
.LBB253_562:                            ;   in Loop: Header=BB253_414 Depth=1
	s_or_b64 exec, exec, s[12:13]
	s_waitcnt vmcnt(0)
	v_fma_mixlo_f16 v10, v0, v42, 0 op_sel:[0,1,0] op_sel_hi:[0,1,0]
	v_or_b32_e32 v1, v42, v43
	v_lshlrev_b32_e32 v42, 16, v10
	v_or_b32_e32 v10, v11, v41
	v_fma_mixlo_f16 v11, v0, v11, 0 op_sel:[0,1,0] op_sel_hi:[0,1,0]
	v_lshlrev_b32_e32 v47, 16, v11
	v_or_b32_e32 v11, v46, v45
	v_or_b32_e32 v44, v9, v44
	v_fma_mixlo_f16 v1, v0, v1, 0 op_sel_hi:[0,1,0]
	v_fma_mixlo_f16 v10, v0, v10, 0 op_sel_hi:[0,1,0]
	v_fma_mixlo_f16 v41, v0, v46, 0 op_sel:[0,1,0] op_sel_hi:[0,1,0]
	v_fma_mixlo_f16 v11, v0, v11, 0 op_sel_hi:[0,1,0]
	v_fma_mixlo_f16 v44, v0, v44, 0 op_sel_hi:[0,1,0]
	v_fma_mixlo_f16 v0, v0, v9, 0 op_sel:[0,1,0] op_sel_hi:[0,1,0]
	v_and_b32_e32 v43, 0xffff, v1
	v_and_b32_e32 v48, 0xffff, v10
	v_lshlrev_b32_e32 v41, 16, v41
	v_and_b32_e32 v45, 0xffff, v11
	v_lshlrev_b32_e32 v0, 16, v0
	v_and_b32_e32 v9, 0xffff, v44
	v_or_b32_e32 v1, v42, v43
	v_or_b32_e32 v10, v47, v48
	;; [unrolled: 1-line block ×4, first 2 shown]
	s_and_saveexec_b64 s[12:13], vcc
	s_cbranch_execz .LBB253_564
; %bb.563:                              ;   in Loop: Header=BB253_414 Depth=1
	v_cmp_gt_i32_e64 s[0:1], s30, v26
	v_cndmask_b32_e64 v1, 0, v48, s[0:1]
	v_cmp_gt_i32_e64 s[0:1], s30, v32
	v_cndmask_b32_e64 v10, 0, v47, s[0:1]
	v_cmp_gt_i32_e64 s[0:1], s30, v31
	v_or_b32_e32 v10, v10, v1
	v_cndmask_b32_e64 v1, 0, v43, s[0:1]
	v_cmp_gt_i32_e64 s[0:1], s30, v30
	v_cndmask_b32_e64 v11, 0, v42, s[0:1]
	v_cmp_gt_i32_e64 s[0:1], s30, v29
	v_or_b32_e32 v1, v11, v1
	v_cndmask_b32_e64 v11, 0, v45, s[0:1]
	v_cmp_gt_i32_e64 s[0:1], s30, v28
	v_cndmask_b32_e64 v41, 0, v41, s[0:1]
	v_cmp_gt_i32_e64 s[0:1], s30, v27
	;; [unrolled: 2-line block ×3, first 2 shown]
	v_cndmask_b32_e64 v0, 0, v0, s[0:1]
	v_or_b32_e32 v11, v41, v11
	v_or_b32_e32 v44, v0, v9
.LBB253_564:                            ;   in Loop: Header=BB253_414 Depth=1
	s_or_b64 exec, exec, s[12:13]
	;;#ASMSTART
	v_pk_mul_f16 v0, v33, v10;

	;;#ASMEND
	;;#ASMSTART
	v_pk_mul_f16 v1, v34, v1;

	;;#ASMEND
	;; [unrolled: 4-line block ×4, first 2 shown]
	;;#ASMSTART
	v_pk_add_f16 v0, v0, v1;

	;;#ASMEND
	;;#ASMSTART
	v_pk_add_f16 v0, v0, v9;

	;;#ASMEND
	;; [unrolled: 4-line block ×3, first 2 shown]
	v_lshrrev_b32_e32 v1, 16, v0
	v_and_b32_e32 v0, 0xffff, v0
	;;#ASMSTART
	v_cvt_f32_f16 v41, v0;
	;;#ASMEND
	;;#ASMSTART
	v_cvt_f32_f16 v42, v1;
	;;#ASMEND
	global_load_dwordx2 v[9:10], v[7:8], off offset:1536
	v_mov_b32_e32 v11, 0
	global_load_dword v0, v11, s[14:15]
	v_mov_b32_e32 v43, 0
	s_waitcnt vmcnt(1)
	v_cmp_ne_u16_sdwa s[0:1], v9, v2 src0_sel:BYTE_0 src1_sel:DWORD
	s_and_saveexec_b64 s[12:13], s[0:1]
	s_cbranch_execz .LBB253_570
; %bb.565:                              ;   in Loop: Header=BB253_414 Depth=1
	v_cmp_ne_u16_sdwa s[0:1], v9, s24 src0_sel:BYTE_0 src1_sel:DWORD
	v_mov_b32_e32 v43, 0x8000
	s_and_saveexec_b64 s[16:17], s[0:1]
	s_cbranch_execz .LBB253_569
; %bb.566:                              ;   in Loop: Header=BB253_414 Depth=1
	v_and_b32_e32 v1, 0x7f, v9
	v_cmp_ne_u32_e64 s[0:1], s25, v1
	v_mov_b32_e32 v43, 0x7c01
	s_and_saveexec_b64 s[18:19], s[0:1]
	s_cbranch_execz .LBB253_568
; %bb.567:                              ;   in Loop: Header=BB253_414 Depth=1
	v_and_b32_e32 v45, 7, v9
	v_ffbh_u32_e32 v43, v45
	v_min_u32_e32 v47, 32, v43
	v_subrev_u32_e32 v43, 28, v47
	v_lshlrev_b64 v[43:44], v43, v[9:10]
	v_lshrrev_b32_e32 v46, 3, v1
	v_sub_u32_e32 v44, 29, v47
	v_cmp_gt_u32_e64 s[0:1], 8, v1
	v_cndmask_b32_e64 v1, v46, v44, s[0:1]
	v_lshl_add_u32 v1, v1, 10, v25
	v_lshlrev_b32_e32 v44, 8, v9
	v_and_b32_e32 v43, 7, v43
	v_and_b32_e32 v1, 0xfc00, v1
	v_cndmask_b32_e64 v43, v45, v43, s[0:1]
	v_and_or_b32 v1, v44, s26, v1
	v_lshl_or_b32 v43, v43, 7, v1
.LBB253_568:                            ;   in Loop: Header=BB253_414 Depth=1
	s_or_b64 exec, exec, s[18:19]
.LBB253_569:                            ;   in Loop: Header=BB253_414 Depth=1
	s_or_b64 exec, exec, s[16:17]
.LBB253_570:                            ;   in Loop: Header=BB253_414 Depth=1
	s_or_b64 exec, exec, s[12:13]
	v_lshrrev_b16_e32 v1, 8, v9
	v_cmp_ne_u16_e64 s[0:1], 0, v1
	s_and_saveexec_b64 s[12:13], s[0:1]
	s_cbranch_execz .LBB253_576
; %bb.571:                              ;   in Loop: Header=BB253_414 Depth=1
	v_cmp_ne_u16_e64 s[0:1], s24, v1
	v_bfrev_b32_e32 v11, 1
	s_and_saveexec_b64 s[16:17], s[0:1]
	s_cbranch_execz .LBB253_575
; %bb.572:                              ;   in Loop: Header=BB253_414 Depth=1
	v_and_b32_e32 v44, 0x7f, v1
	v_cmp_ne_u32_e64 s[0:1], s25, v44
	v_mov_b32_e32 v11, 0x7c010000
	s_and_saveexec_b64 s[18:19], s[0:1]
	s_cbranch_execz .LBB253_574
; %bb.573:                              ;   in Loop: Header=BB253_414 Depth=1
	v_and_b32_e32 v11, 7, v1
	v_ffbh_u32_e32 v45, v11
	v_min_u32_e32 v48, 32, v45
	v_subrev_u32_e32 v45, 28, v48
	v_lshlrev_b64 v[45:46], v45, v[1:2]
	v_lshrrev_b32_e32 v47, 3, v44
	v_sub_u32_e32 v46, 29, v48
	v_cmp_gt_u32_e64 s[0:1], 8, v44
	v_cndmask_b32_e64 v44, v47, v46, s[0:1]
	v_lshlrev_b32_e32 v1, 8, v1
	v_lshl_add_u32 v44, v44, 10, v25
	v_and_b32_e32 v45, 7, v45
	v_and_or_b32 v1, v1, s26, v44
	v_cndmask_b32_e64 v11, v11, v45, s[0:1]
	v_lshlrev_b32_e32 v1, 16, v1
	v_lshl_or_b32 v11, v11, 23, v1
.LBB253_574:                            ;   in Loop: Header=BB253_414 Depth=1
	s_or_b64 exec, exec, s[18:19]
.LBB253_575:                            ;   in Loop: Header=BB253_414 Depth=1
	s_or_b64 exec, exec, s[16:17]
.LBB253_576:                            ;   in Loop: Header=BB253_414 Depth=1
	s_or_b64 exec, exec, s[12:13]
	v_lshrrev_b32_e32 v1, 16, v9
	v_cmp_ne_u16_sdwa s[0:1], v1, v2 src0_sel:BYTE_0 src1_sel:DWORD
	v_mov_b32_e32 v44, 0
	v_mov_b32_e32 v45, 0
	s_and_saveexec_b64 s[12:13], s[0:1]
	s_cbranch_execz .LBB253_582
; %bb.577:                              ;   in Loop: Header=BB253_414 Depth=1
	v_cmp_ne_u16_sdwa s[0:1], v1, s24 src0_sel:BYTE_0 src1_sel:DWORD
	v_mov_b32_e32 v45, 0x8000
	s_and_saveexec_b64 s[16:17], s[0:1]
	s_cbranch_execz .LBB253_581
; %bb.578:                              ;   in Loop: Header=BB253_414 Depth=1
	v_bfe_u32 v46, v9, 16, 7
	v_cmp_ne_u32_e64 s[0:1], s25, v46
	v_mov_b32_e32 v45, 0x7c01
	s_and_saveexec_b64 s[18:19], s[0:1]
	s_cbranch_execz .LBB253_580
; %bb.579:                              ;   in Loop: Header=BB253_414 Depth=1
	v_and_b32_e32 v45, 7, v1
	v_ffbh_u32_e32 v47, v45
	v_min_u32_e32 v50, 32, v47
	v_subrev_u32_e32 v47, 28, v50
	v_lshlrev_b64 v[47:48], v47, v[1:2]
	v_lshrrev_b32_e32 v49, 3, v46
	v_sub_u32_e32 v48, 29, v50
	v_cmp_gt_u32_e64 s[0:1], 8, v46
	v_cndmask_b32_e64 v46, v49, v48, s[0:1]
	v_lshl_add_u32 v46, v46, 10, v25
	v_lshlrev_b32_e32 v1, 8, v1
	v_and_b32_e32 v47, 7, v47
	v_and_b32_e32 v46, 0xfc00, v46
	v_cndmask_b32_e64 v45, v45, v47, s[0:1]
	v_and_or_b32 v1, v1, s26, v46
	v_lshl_or_b32 v45, v45, 7, v1
.LBB253_580:                            ;   in Loop: Header=BB253_414 Depth=1
	s_or_b64 exec, exec, s[18:19]
.LBB253_581:                            ;   in Loop: Header=BB253_414 Depth=1
	s_or_b64 exec, exec, s[16:17]
.LBB253_582:                            ;   in Loop: Header=BB253_414 Depth=1
	s_or_b64 exec, exec, s[12:13]
	v_cmp_lt_u32_e64 s[0:1], s5, v9
	s_and_saveexec_b64 s[12:13], s[0:1]
	s_cbranch_execz .LBB253_588
; %bb.583:                              ;   in Loop: Header=BB253_414 Depth=1
	v_lshrrev_b32_e32 v1, 24, v9
	v_cmp_ne_u32_e64 s[0:1], s24, v1
	v_bfrev_b32_e32 v44, 1
	s_and_saveexec_b64 s[16:17], s[0:1]
	s_cbranch_execz .LBB253_587
; %bb.584:                              ;   in Loop: Header=BB253_414 Depth=1
	v_and_b32_e32 v46, 0x7f, v1
	v_cmp_ne_u32_e64 s[0:1], s25, v46
	v_mov_b32_e32 v44, 0x7c010000
	s_and_saveexec_b64 s[18:19], s[0:1]
	s_cbranch_execz .LBB253_586
; %bb.585:                              ;   in Loop: Header=BB253_414 Depth=1
	v_and_b32_e32 v44, 7, v1
	v_ffbh_u32_e32 v47, v44
	v_min_u32_e32 v50, 32, v47
	v_subrev_u32_e32 v47, 28, v50
	v_lshlrev_b64 v[47:48], v47, v[1:2]
	v_lshrrev_b32_e32 v49, 3, v46
	v_sub_u32_e32 v48, 29, v50
	v_cmp_gt_u32_e64 s[0:1], 8, v46
	v_cndmask_b32_e64 v46, v49, v48, s[0:1]
	v_lshlrev_b32_e32 v1, 8, v1
	v_lshl_add_u32 v46, v46, 10, v25
	v_and_b32_e32 v47, 7, v47
	v_and_or_b32 v1, v1, s26, v46
	v_cndmask_b32_e64 v44, v44, v47, s[0:1]
	v_lshlrev_b32_e32 v1, 16, v1
	v_lshl_or_b32 v44, v44, 23, v1
.LBB253_586:                            ;   in Loop: Header=BB253_414 Depth=1
	s_or_b64 exec, exec, s[18:19]
.LBB253_587:                            ;   in Loop: Header=BB253_414 Depth=1
	s_or_b64 exec, exec, s[16:17]
.LBB253_588:                            ;   in Loop: Header=BB253_414 Depth=1
	s_or_b64 exec, exec, s[12:13]
	v_mov_b32_e32 v1, v10
	v_cmp_ne_u16_sdwa s[0:1], v10, v2 src0_sel:BYTE_0 src1_sel:DWORD
	v_mov_b32_e32 v46, 0
	v_mov_b32_e32 v47, 0
	s_and_saveexec_b64 s[12:13], s[0:1]
	s_cbranch_execz .LBB253_594
; %bb.589:                              ;   in Loop: Header=BB253_414 Depth=1
	v_cmp_ne_u16_sdwa s[0:1], v10, s24 src0_sel:BYTE_0 src1_sel:DWORD
	v_mov_b32_e32 v47, 0x8000
	s_and_saveexec_b64 s[16:17], s[0:1]
	s_cbranch_execz .LBB253_593
; %bb.590:                              ;   in Loop: Header=BB253_414 Depth=1
	v_and_b32_e32 v48, 0x7f, v10
	v_cmp_ne_u32_e64 s[0:1], s25, v48
	v_mov_b32_e32 v47, 0x7c01
	s_and_saveexec_b64 s[18:19], s[0:1]
	s_cbranch_execz .LBB253_592
; %bb.591:                              ;   in Loop: Header=BB253_414 Depth=1
	v_and_b32_e32 v47, 7, v10
	v_ffbh_u32_e32 v49, v47
	v_min_u32_e32 v52, 32, v49
	v_subrev_u32_e32 v49, 28, v52
	v_lshlrev_b64 v[49:50], v49, v[1:2]
	v_lshrrev_b32_e32 v51, 3, v48
	v_sub_u32_e32 v50, 29, v52
	v_cmp_gt_u32_e64 s[0:1], 8, v48
	v_cndmask_b32_e64 v48, v51, v50, s[0:1]
	v_lshl_add_u32 v48, v48, 10, v25
	v_lshlrev_b32_e32 v50, 8, v10
	v_and_b32_e32 v49, 7, v49
	v_and_b32_e32 v48, 0xfc00, v48
	v_cndmask_b32_e64 v47, v47, v49, s[0:1]
	v_and_or_b32 v48, v50, s26, v48
	v_lshl_or_b32 v47, v47, 7, v48
.LBB253_592:                            ;   in Loop: Header=BB253_414 Depth=1
	s_or_b64 exec, exec, s[18:19]
.LBB253_593:                            ;   in Loop: Header=BB253_414 Depth=1
	s_or_b64 exec, exec, s[16:17]
.LBB253_594:                            ;   in Loop: Header=BB253_414 Depth=1
	s_or_b64 exec, exec, s[12:13]
	v_lshrrev_b16_e32 v1, 8, v1
	v_cmp_ne_u16_e64 s[0:1], 0, v1
	v_mov_b32_e32 v48, 0
	s_and_saveexec_b64 s[12:13], s[0:1]
	s_cbranch_execz .LBB253_600
; %bb.595:                              ;   in Loop: Header=BB253_414 Depth=1
	v_cmp_ne_u16_e64 s[0:1], s24, v1
	v_bfrev_b32_e32 v48, 1
	s_and_saveexec_b64 s[16:17], s[0:1]
	s_cbranch_execz .LBB253_599
; %bb.596:                              ;   in Loop: Header=BB253_414 Depth=1
	v_and_b32_e32 v49, 0x7f, v1
	v_cmp_ne_u32_e64 s[0:1], s25, v49
	v_mov_b32_e32 v48, 0x7c010000
	s_and_saveexec_b64 s[18:19], s[0:1]
	s_cbranch_execz .LBB253_598
; %bb.597:                              ;   in Loop: Header=BB253_414 Depth=1
	v_and_b32_e32 v48, 7, v1
	v_ffbh_u32_e32 v50, v48
	v_min_u32_e32 v53, 32, v50
	v_subrev_u32_e32 v50, 28, v53
	v_lshlrev_b64 v[50:51], v50, v[1:2]
	v_lshrrev_b32_e32 v52, 3, v49
	v_sub_u32_e32 v51, 29, v53
	v_cmp_gt_u32_e64 s[0:1], 8, v49
	v_cndmask_b32_e64 v49, v52, v51, s[0:1]
	v_lshlrev_b32_e32 v1, 8, v1
	v_lshl_add_u32 v49, v49, 10, v25
	v_and_b32_e32 v50, 7, v50
	v_and_or_b32 v1, v1, s26, v49
	v_cndmask_b32_e64 v48, v48, v50, s[0:1]
	v_lshlrev_b32_e32 v1, 16, v1
	v_lshl_or_b32 v48, v48, 23, v1
.LBB253_598:                            ;   in Loop: Header=BB253_414 Depth=1
	s_or_b64 exec, exec, s[18:19]
.LBB253_599:                            ;   in Loop: Header=BB253_414 Depth=1
	s_or_b64 exec, exec, s[16:17]
.LBB253_600:                            ;   in Loop: Header=BB253_414 Depth=1
	s_or_b64 exec, exec, s[12:13]
	v_lshrrev_b32_e32 v1, 16, v10
	v_cmp_ne_u16_sdwa s[0:1], v1, v2 src0_sel:BYTE_0 src1_sel:DWORD
	s_and_saveexec_b64 s[12:13], s[0:1]
	s_cbranch_execz .LBB253_606
; %bb.601:                              ;   in Loop: Header=BB253_414 Depth=1
	v_cmp_ne_u16_sdwa s[0:1], v1, s24 src0_sel:BYTE_0 src1_sel:DWORD
	v_mov_b32_e32 v46, 0x8000
	s_and_saveexec_b64 s[16:17], s[0:1]
	s_cbranch_execz .LBB253_605
; %bb.602:                              ;   in Loop: Header=BB253_414 Depth=1
	v_bfe_u32 v49, v10, 16, 7
	v_cmp_ne_u32_e64 s[0:1], s25, v49
	v_mov_b32_e32 v46, 0x7c01
	s_and_saveexec_b64 s[18:19], s[0:1]
	s_cbranch_execz .LBB253_604
; %bb.603:                              ;   in Loop: Header=BB253_414 Depth=1
	v_and_b32_e32 v46, 7, v1
	v_ffbh_u32_e32 v50, v46
	v_min_u32_e32 v53, 32, v50
	v_subrev_u32_e32 v50, 28, v53
	v_lshlrev_b64 v[50:51], v50, v[1:2]
	v_lshrrev_b32_e32 v52, 3, v49
	v_sub_u32_e32 v51, 29, v53
	v_cmp_gt_u32_e64 s[0:1], 8, v49
	v_cndmask_b32_e64 v49, v52, v51, s[0:1]
	v_lshl_add_u32 v49, v49, 10, v25
	v_lshlrev_b32_e32 v1, 8, v1
	v_and_b32_e32 v50, 7, v50
	v_and_b32_e32 v49, 0xfc00, v49
	v_cndmask_b32_e64 v46, v46, v50, s[0:1]
	v_and_or_b32 v1, v1, s26, v49
	v_lshl_or_b32 v46, v46, 7, v1
.LBB253_604:                            ;   in Loop: Header=BB253_414 Depth=1
	s_or_b64 exec, exec, s[18:19]
.LBB253_605:                            ;   in Loop: Header=BB253_414 Depth=1
	s_or_b64 exec, exec, s[16:17]
.LBB253_606:                            ;   in Loop: Header=BB253_414 Depth=1
	s_or_b64 exec, exec, s[12:13]
	v_cmp_lt_u64_e64 s[0:1], s[4:5], v[9:10]
	v_mov_b32_e32 v9, 0
	s_and_saveexec_b64 s[12:13], s[0:1]
	s_cbranch_execz .LBB253_612
; %bb.607:                              ;   in Loop: Header=BB253_414 Depth=1
	v_lshrrev_b32_e32 v1, 24, v10
	v_cmp_ne_u32_e64 s[0:1], s24, v1
	v_bfrev_b32_e32 v9, 1
	s_and_saveexec_b64 s[16:17], s[0:1]
	s_cbranch_execz .LBB253_611
; %bb.608:                              ;   in Loop: Header=BB253_414 Depth=1
	v_and_b32_e32 v10, 0x7f, v1
	v_cmp_ne_u32_e64 s[0:1], s25, v10
	v_mov_b32_e32 v9, 0x7c010000
	s_and_saveexec_b64 s[18:19], s[0:1]
	s_cbranch_execz .LBB253_610
; %bb.609:                              ;   in Loop: Header=BB253_414 Depth=1
	v_and_b32_e32 v9, 7, v1
	v_ffbh_u32_e32 v49, v9
	v_min_u32_e32 v52, 32, v49
	v_subrev_u32_e32 v49, 28, v52
	v_lshlrev_b64 v[49:50], v49, v[1:2]
	v_lshrrev_b32_e32 v51, 3, v10
	v_sub_u32_e32 v50, 29, v52
	v_cmp_gt_u32_e64 s[0:1], 8, v10
	v_cndmask_b32_e64 v10, v51, v50, s[0:1]
	v_lshlrev_b32_e32 v1, 8, v1
	v_lshl_add_u32 v10, v10, 10, v25
	v_and_b32_e32 v49, 7, v49
	v_and_or_b32 v1, v1, s26, v10
	v_cndmask_b32_e64 v9, v9, v49, s[0:1]
	v_lshlrev_b32_e32 v1, 16, v1
	v_lshl_or_b32 v9, v9, 23, v1
.LBB253_610:                            ;   in Loop: Header=BB253_414 Depth=1
	s_or_b64 exec, exec, s[18:19]
.LBB253_611:                            ;   in Loop: Header=BB253_414 Depth=1
	s_or_b64 exec, exec, s[16:17]
.LBB253_612:                            ;   in Loop: Header=BB253_414 Depth=1
	s_or_b64 exec, exec, s[12:13]
	s_waitcnt vmcnt(0)
	v_fma_mixlo_f16 v10, v0, v44, 0 op_sel:[0,1,0] op_sel_hi:[0,1,0]
	v_or_b32_e32 v1, v44, v45
	v_lshlrev_b32_e32 v44, 16, v10
	v_or_b32_e32 v10, v11, v43
	v_fma_mixlo_f16 v11, v0, v11, 0 op_sel:[0,1,0] op_sel_hi:[0,1,0]
	v_lshlrev_b32_e32 v49, 16, v11
	v_or_b32_e32 v11, v48, v47
	v_or_b32_e32 v46, v9, v46
	v_fma_mixlo_f16 v1, v0, v1, 0 op_sel_hi:[0,1,0]
	v_fma_mixlo_f16 v10, v0, v10, 0 op_sel_hi:[0,1,0]
	v_fma_mixlo_f16 v43, v0, v48, 0 op_sel:[0,1,0] op_sel_hi:[0,1,0]
	v_fma_mixlo_f16 v11, v0, v11, 0 op_sel_hi:[0,1,0]
	v_fma_mixlo_f16 v46, v0, v46, 0 op_sel_hi:[0,1,0]
	v_fma_mixlo_f16 v0, v0, v9, 0 op_sel:[0,1,0] op_sel_hi:[0,1,0]
	v_and_b32_e32 v45, 0xffff, v1
	v_and_b32_e32 v50, 0xffff, v10
	v_lshlrev_b32_e32 v43, 16, v43
	v_and_b32_e32 v47, 0xffff, v11
	v_lshlrev_b32_e32 v0, 16, v0
	v_and_b32_e32 v9, 0xffff, v46
	v_or_b32_e32 v1, v44, v45
	v_or_b32_e32 v10, v49, v50
	;; [unrolled: 1-line block ×4, first 2 shown]
	s_and_saveexec_b64 s[12:13], vcc
	s_cbranch_execz .LBB253_614
; %bb.613:                              ;   in Loop: Header=BB253_414 Depth=1
	v_cmp_gt_i32_e64 s[0:1], s30, v26
	v_cndmask_b32_e64 v1, 0, v50, s[0:1]
	v_cmp_gt_i32_e64 s[0:1], s30, v32
	v_cndmask_b32_e64 v10, 0, v49, s[0:1]
	v_cmp_gt_i32_e64 s[0:1], s30, v31
	v_or_b32_e32 v10, v10, v1
	v_cndmask_b32_e64 v1, 0, v45, s[0:1]
	v_cmp_gt_i32_e64 s[0:1], s30, v30
	v_cndmask_b32_e64 v11, 0, v44, s[0:1]
	v_cmp_gt_i32_e64 s[0:1], s30, v29
	v_or_b32_e32 v1, v11, v1
	v_cndmask_b32_e64 v11, 0, v47, s[0:1]
	v_cmp_gt_i32_e64 s[0:1], s30, v28
	v_cndmask_b32_e64 v43, 0, v43, s[0:1]
	v_cmp_gt_i32_e64 s[0:1], s30, v27
	;; [unrolled: 2-line block ×3, first 2 shown]
	v_cndmask_b32_e64 v0, 0, v0, s[0:1]
	v_or_b32_e32 v11, v43, v11
	v_or_b32_e32 v46, v0, v9
.LBB253_614:                            ;   in Loop: Header=BB253_414 Depth=1
	s_or_b64 exec, exec, s[12:13]
	;;#ASMSTART
	v_pk_mul_f16 v0, v33, v10;

	;;#ASMEND
	;;#ASMSTART
	v_pk_mul_f16 v1, v34, v1;

	;;#ASMEND
	;; [unrolled: 4-line block ×4, first 2 shown]
	;;#ASMSTART
	v_pk_add_f16 v0, v0, v1;

	;;#ASMEND
	;;#ASMSTART
	v_pk_add_f16 v0, v0, v9;

	;;#ASMEND
	;; [unrolled: 4-line block ×3, first 2 shown]
	v_lshrrev_b32_e32 v1, 16, v0
	v_and_b32_e32 v0, 0xffff, v0
	;;#ASMSTART
	v_cvt_f32_f16 v43, v0;
	;;#ASMEND
	;;#ASMSTART
	v_cvt_f32_f16 v44, v1;
	;;#ASMEND
	global_load_dwordx2 v[9:10], v[7:8], off offset:2048
	v_mov_b32_e32 v11, 0
	global_load_dword v0, v11, s[14:15]
	v_mov_b32_e32 v45, 0
	s_waitcnt vmcnt(1)
	v_cmp_ne_u16_sdwa s[0:1], v9, v2 src0_sel:BYTE_0 src1_sel:DWORD
	s_and_saveexec_b64 s[12:13], s[0:1]
	s_cbranch_execz .LBB253_620
; %bb.615:                              ;   in Loop: Header=BB253_414 Depth=1
	v_cmp_ne_u16_sdwa s[0:1], v9, s24 src0_sel:BYTE_0 src1_sel:DWORD
	v_mov_b32_e32 v45, 0x8000
	s_and_saveexec_b64 s[16:17], s[0:1]
	s_cbranch_execz .LBB253_619
; %bb.616:                              ;   in Loop: Header=BB253_414 Depth=1
	v_and_b32_e32 v1, 0x7f, v9
	v_cmp_ne_u32_e64 s[0:1], s25, v1
	v_mov_b32_e32 v45, 0x7c01
	s_and_saveexec_b64 s[18:19], s[0:1]
	s_cbranch_execz .LBB253_618
; %bb.617:                              ;   in Loop: Header=BB253_414 Depth=1
	v_and_b32_e32 v47, 7, v9
	v_ffbh_u32_e32 v45, v47
	v_min_u32_e32 v49, 32, v45
	v_subrev_u32_e32 v45, 28, v49
	v_lshlrev_b64 v[45:46], v45, v[9:10]
	v_lshrrev_b32_e32 v48, 3, v1
	v_sub_u32_e32 v46, 29, v49
	v_cmp_gt_u32_e64 s[0:1], 8, v1
	v_cndmask_b32_e64 v1, v48, v46, s[0:1]
	v_lshl_add_u32 v1, v1, 10, v25
	v_lshlrev_b32_e32 v46, 8, v9
	v_and_b32_e32 v45, 7, v45
	v_and_b32_e32 v1, 0xfc00, v1
	v_cndmask_b32_e64 v45, v47, v45, s[0:1]
	v_and_or_b32 v1, v46, s26, v1
	v_lshl_or_b32 v45, v45, 7, v1
.LBB253_618:                            ;   in Loop: Header=BB253_414 Depth=1
	s_or_b64 exec, exec, s[18:19]
.LBB253_619:                            ;   in Loop: Header=BB253_414 Depth=1
	s_or_b64 exec, exec, s[16:17]
.LBB253_620:                            ;   in Loop: Header=BB253_414 Depth=1
	s_or_b64 exec, exec, s[12:13]
	v_lshrrev_b16_e32 v1, 8, v9
	v_cmp_ne_u16_e64 s[0:1], 0, v1
	s_and_saveexec_b64 s[12:13], s[0:1]
	s_cbranch_execz .LBB253_626
; %bb.621:                              ;   in Loop: Header=BB253_414 Depth=1
	v_cmp_ne_u16_e64 s[0:1], s24, v1
	v_bfrev_b32_e32 v11, 1
	s_and_saveexec_b64 s[16:17], s[0:1]
	s_cbranch_execz .LBB253_625
; %bb.622:                              ;   in Loop: Header=BB253_414 Depth=1
	v_and_b32_e32 v46, 0x7f, v1
	v_cmp_ne_u32_e64 s[0:1], s25, v46
	v_mov_b32_e32 v11, 0x7c010000
	s_and_saveexec_b64 s[18:19], s[0:1]
	s_cbranch_execz .LBB253_624
; %bb.623:                              ;   in Loop: Header=BB253_414 Depth=1
	v_and_b32_e32 v11, 7, v1
	v_ffbh_u32_e32 v47, v11
	v_min_u32_e32 v50, 32, v47
	v_subrev_u32_e32 v47, 28, v50
	v_lshlrev_b64 v[47:48], v47, v[1:2]
	v_lshrrev_b32_e32 v49, 3, v46
	v_sub_u32_e32 v48, 29, v50
	v_cmp_gt_u32_e64 s[0:1], 8, v46
	v_cndmask_b32_e64 v46, v49, v48, s[0:1]
	v_lshlrev_b32_e32 v1, 8, v1
	v_lshl_add_u32 v46, v46, 10, v25
	v_and_b32_e32 v47, 7, v47
	v_and_or_b32 v1, v1, s26, v46
	v_cndmask_b32_e64 v11, v11, v47, s[0:1]
	v_lshlrev_b32_e32 v1, 16, v1
	v_lshl_or_b32 v11, v11, 23, v1
.LBB253_624:                            ;   in Loop: Header=BB253_414 Depth=1
	s_or_b64 exec, exec, s[18:19]
.LBB253_625:                            ;   in Loop: Header=BB253_414 Depth=1
	s_or_b64 exec, exec, s[16:17]
.LBB253_626:                            ;   in Loop: Header=BB253_414 Depth=1
	s_or_b64 exec, exec, s[12:13]
	v_lshrrev_b32_e32 v1, 16, v9
	v_cmp_ne_u16_sdwa s[0:1], v1, v2 src0_sel:BYTE_0 src1_sel:DWORD
	v_mov_b32_e32 v46, 0
	v_mov_b32_e32 v47, 0
	s_and_saveexec_b64 s[12:13], s[0:1]
	s_cbranch_execz .LBB253_632
; %bb.627:                              ;   in Loop: Header=BB253_414 Depth=1
	v_cmp_ne_u16_sdwa s[0:1], v1, s24 src0_sel:BYTE_0 src1_sel:DWORD
	v_mov_b32_e32 v47, 0x8000
	s_and_saveexec_b64 s[16:17], s[0:1]
	s_cbranch_execz .LBB253_631
; %bb.628:                              ;   in Loop: Header=BB253_414 Depth=1
	v_bfe_u32 v48, v9, 16, 7
	v_cmp_ne_u32_e64 s[0:1], s25, v48
	v_mov_b32_e32 v47, 0x7c01
	s_and_saveexec_b64 s[18:19], s[0:1]
	s_cbranch_execz .LBB253_630
; %bb.629:                              ;   in Loop: Header=BB253_414 Depth=1
	v_and_b32_e32 v47, 7, v1
	v_ffbh_u32_e32 v49, v47
	v_min_u32_e32 v52, 32, v49
	v_subrev_u32_e32 v49, 28, v52
	v_lshlrev_b64 v[49:50], v49, v[1:2]
	v_lshrrev_b32_e32 v51, 3, v48
	v_sub_u32_e32 v50, 29, v52
	v_cmp_gt_u32_e64 s[0:1], 8, v48
	v_cndmask_b32_e64 v48, v51, v50, s[0:1]
	v_lshl_add_u32 v48, v48, 10, v25
	v_lshlrev_b32_e32 v1, 8, v1
	v_and_b32_e32 v49, 7, v49
	v_and_b32_e32 v48, 0xfc00, v48
	v_cndmask_b32_e64 v47, v47, v49, s[0:1]
	v_and_or_b32 v1, v1, s26, v48
	v_lshl_or_b32 v47, v47, 7, v1
.LBB253_630:                            ;   in Loop: Header=BB253_414 Depth=1
	s_or_b64 exec, exec, s[18:19]
.LBB253_631:                            ;   in Loop: Header=BB253_414 Depth=1
	s_or_b64 exec, exec, s[16:17]
.LBB253_632:                            ;   in Loop: Header=BB253_414 Depth=1
	s_or_b64 exec, exec, s[12:13]
	v_cmp_lt_u32_e64 s[0:1], s5, v9
	s_and_saveexec_b64 s[12:13], s[0:1]
	s_cbranch_execz .LBB253_638
; %bb.633:                              ;   in Loop: Header=BB253_414 Depth=1
	v_lshrrev_b32_e32 v1, 24, v9
	v_cmp_ne_u32_e64 s[0:1], s24, v1
	v_bfrev_b32_e32 v46, 1
	s_and_saveexec_b64 s[16:17], s[0:1]
	s_cbranch_execz .LBB253_637
; %bb.634:                              ;   in Loop: Header=BB253_414 Depth=1
	v_and_b32_e32 v48, 0x7f, v1
	v_cmp_ne_u32_e64 s[0:1], s25, v48
	v_mov_b32_e32 v46, 0x7c010000
	s_and_saveexec_b64 s[18:19], s[0:1]
	s_cbranch_execz .LBB253_636
; %bb.635:                              ;   in Loop: Header=BB253_414 Depth=1
	v_and_b32_e32 v46, 7, v1
	v_ffbh_u32_e32 v49, v46
	v_min_u32_e32 v52, 32, v49
	v_subrev_u32_e32 v49, 28, v52
	v_lshlrev_b64 v[49:50], v49, v[1:2]
	v_lshrrev_b32_e32 v51, 3, v48
	v_sub_u32_e32 v50, 29, v52
	v_cmp_gt_u32_e64 s[0:1], 8, v48
	v_cndmask_b32_e64 v48, v51, v50, s[0:1]
	v_lshlrev_b32_e32 v1, 8, v1
	v_lshl_add_u32 v48, v48, 10, v25
	v_and_b32_e32 v49, 7, v49
	v_and_or_b32 v1, v1, s26, v48
	v_cndmask_b32_e64 v46, v46, v49, s[0:1]
	v_lshlrev_b32_e32 v1, 16, v1
	v_lshl_or_b32 v46, v46, 23, v1
.LBB253_636:                            ;   in Loop: Header=BB253_414 Depth=1
	s_or_b64 exec, exec, s[18:19]
.LBB253_637:                            ;   in Loop: Header=BB253_414 Depth=1
	s_or_b64 exec, exec, s[16:17]
.LBB253_638:                            ;   in Loop: Header=BB253_414 Depth=1
	s_or_b64 exec, exec, s[12:13]
	v_mov_b32_e32 v1, v10
	v_cmp_ne_u16_sdwa s[0:1], v10, v2 src0_sel:BYTE_0 src1_sel:DWORD
	v_mov_b32_e32 v48, 0
	v_mov_b32_e32 v49, 0
	s_and_saveexec_b64 s[12:13], s[0:1]
	s_cbranch_execz .LBB253_644
; %bb.639:                              ;   in Loop: Header=BB253_414 Depth=1
	v_cmp_ne_u16_sdwa s[0:1], v10, s24 src0_sel:BYTE_0 src1_sel:DWORD
	v_mov_b32_e32 v49, 0x8000
	s_and_saveexec_b64 s[16:17], s[0:1]
	s_cbranch_execz .LBB253_643
; %bb.640:                              ;   in Loop: Header=BB253_414 Depth=1
	v_and_b32_e32 v50, 0x7f, v10
	v_cmp_ne_u32_e64 s[0:1], s25, v50
	v_mov_b32_e32 v49, 0x7c01
	s_and_saveexec_b64 s[18:19], s[0:1]
	s_cbranch_execz .LBB253_642
; %bb.641:                              ;   in Loop: Header=BB253_414 Depth=1
	v_and_b32_e32 v49, 7, v10
	v_ffbh_u32_e32 v51, v49
	v_min_u32_e32 v54, 32, v51
	v_subrev_u32_e32 v51, 28, v54
	v_lshlrev_b64 v[51:52], v51, v[1:2]
	v_lshrrev_b32_e32 v53, 3, v50
	v_sub_u32_e32 v52, 29, v54
	v_cmp_gt_u32_e64 s[0:1], 8, v50
	v_cndmask_b32_e64 v50, v53, v52, s[0:1]
	v_lshl_add_u32 v50, v50, 10, v25
	v_lshlrev_b32_e32 v52, 8, v10
	v_and_b32_e32 v51, 7, v51
	v_and_b32_e32 v50, 0xfc00, v50
	v_cndmask_b32_e64 v49, v49, v51, s[0:1]
	v_and_or_b32 v50, v52, s26, v50
	v_lshl_or_b32 v49, v49, 7, v50
.LBB253_642:                            ;   in Loop: Header=BB253_414 Depth=1
	s_or_b64 exec, exec, s[18:19]
.LBB253_643:                            ;   in Loop: Header=BB253_414 Depth=1
	s_or_b64 exec, exec, s[16:17]
.LBB253_644:                            ;   in Loop: Header=BB253_414 Depth=1
	s_or_b64 exec, exec, s[12:13]
	v_lshrrev_b16_e32 v1, 8, v1
	v_cmp_ne_u16_e64 s[0:1], 0, v1
	v_mov_b32_e32 v50, 0
	s_and_saveexec_b64 s[12:13], s[0:1]
	s_cbranch_execz .LBB253_650
; %bb.645:                              ;   in Loop: Header=BB253_414 Depth=1
	v_cmp_ne_u16_e64 s[0:1], s24, v1
	v_bfrev_b32_e32 v50, 1
	s_and_saveexec_b64 s[16:17], s[0:1]
	s_cbranch_execz .LBB253_649
; %bb.646:                              ;   in Loop: Header=BB253_414 Depth=1
	v_and_b32_e32 v51, 0x7f, v1
	v_cmp_ne_u32_e64 s[0:1], s25, v51
	v_mov_b32_e32 v50, 0x7c010000
	s_and_saveexec_b64 s[18:19], s[0:1]
	s_cbranch_execz .LBB253_648
; %bb.647:                              ;   in Loop: Header=BB253_414 Depth=1
	v_and_b32_e32 v50, 7, v1
	v_ffbh_u32_e32 v52, v50
	v_min_u32_e32 v55, 32, v52
	v_subrev_u32_e32 v52, 28, v55
	v_lshlrev_b64 v[52:53], v52, v[1:2]
	v_lshrrev_b32_e32 v54, 3, v51
	v_sub_u32_e32 v53, 29, v55
	v_cmp_gt_u32_e64 s[0:1], 8, v51
	v_cndmask_b32_e64 v51, v54, v53, s[0:1]
	v_lshlrev_b32_e32 v1, 8, v1
	v_lshl_add_u32 v51, v51, 10, v25
	v_and_b32_e32 v52, 7, v52
	v_and_or_b32 v1, v1, s26, v51
	v_cndmask_b32_e64 v50, v50, v52, s[0:1]
	v_lshlrev_b32_e32 v1, 16, v1
	v_lshl_or_b32 v50, v50, 23, v1
.LBB253_648:                            ;   in Loop: Header=BB253_414 Depth=1
	s_or_b64 exec, exec, s[18:19]
.LBB253_649:                            ;   in Loop: Header=BB253_414 Depth=1
	s_or_b64 exec, exec, s[16:17]
.LBB253_650:                            ;   in Loop: Header=BB253_414 Depth=1
	s_or_b64 exec, exec, s[12:13]
	v_lshrrev_b32_e32 v1, 16, v10
	v_cmp_ne_u16_sdwa s[0:1], v1, v2 src0_sel:BYTE_0 src1_sel:DWORD
	s_and_saveexec_b64 s[12:13], s[0:1]
	s_cbranch_execz .LBB253_656
; %bb.651:                              ;   in Loop: Header=BB253_414 Depth=1
	v_cmp_ne_u16_sdwa s[0:1], v1, s24 src0_sel:BYTE_0 src1_sel:DWORD
	v_mov_b32_e32 v48, 0x8000
	s_and_saveexec_b64 s[16:17], s[0:1]
	s_cbranch_execz .LBB253_655
; %bb.652:                              ;   in Loop: Header=BB253_414 Depth=1
	v_bfe_u32 v51, v10, 16, 7
	v_cmp_ne_u32_e64 s[0:1], s25, v51
	v_mov_b32_e32 v48, 0x7c01
	s_and_saveexec_b64 s[18:19], s[0:1]
	s_cbranch_execz .LBB253_654
; %bb.653:                              ;   in Loop: Header=BB253_414 Depth=1
	v_and_b32_e32 v48, 7, v1
	v_ffbh_u32_e32 v52, v48
	v_min_u32_e32 v55, 32, v52
	v_subrev_u32_e32 v52, 28, v55
	v_lshlrev_b64 v[52:53], v52, v[1:2]
	v_lshrrev_b32_e32 v54, 3, v51
	v_sub_u32_e32 v53, 29, v55
	v_cmp_gt_u32_e64 s[0:1], 8, v51
	v_cndmask_b32_e64 v51, v54, v53, s[0:1]
	v_lshl_add_u32 v51, v51, 10, v25
	v_lshlrev_b32_e32 v1, 8, v1
	v_and_b32_e32 v52, 7, v52
	v_and_b32_e32 v51, 0xfc00, v51
	v_cndmask_b32_e64 v48, v48, v52, s[0:1]
	v_and_or_b32 v1, v1, s26, v51
	v_lshl_or_b32 v48, v48, 7, v1
.LBB253_654:                            ;   in Loop: Header=BB253_414 Depth=1
	s_or_b64 exec, exec, s[18:19]
.LBB253_655:                            ;   in Loop: Header=BB253_414 Depth=1
	s_or_b64 exec, exec, s[16:17]
.LBB253_656:                            ;   in Loop: Header=BB253_414 Depth=1
	s_or_b64 exec, exec, s[12:13]
	v_cmp_lt_u64_e64 s[0:1], s[4:5], v[9:10]
	v_mov_b32_e32 v9, 0
	s_and_saveexec_b64 s[12:13], s[0:1]
	s_cbranch_execz .LBB253_662
; %bb.657:                              ;   in Loop: Header=BB253_414 Depth=1
	v_lshrrev_b32_e32 v1, 24, v10
	v_cmp_ne_u32_e64 s[0:1], s24, v1
	v_bfrev_b32_e32 v9, 1
	s_and_saveexec_b64 s[16:17], s[0:1]
	s_cbranch_execz .LBB253_661
; %bb.658:                              ;   in Loop: Header=BB253_414 Depth=1
	v_and_b32_e32 v10, 0x7f, v1
	v_cmp_ne_u32_e64 s[0:1], s25, v10
	v_mov_b32_e32 v9, 0x7c010000
	s_and_saveexec_b64 s[18:19], s[0:1]
	s_cbranch_execz .LBB253_660
; %bb.659:                              ;   in Loop: Header=BB253_414 Depth=1
	v_and_b32_e32 v9, 7, v1
	v_ffbh_u32_e32 v51, v9
	v_min_u32_e32 v54, 32, v51
	v_subrev_u32_e32 v51, 28, v54
	v_lshlrev_b64 v[51:52], v51, v[1:2]
	v_lshrrev_b32_e32 v53, 3, v10
	v_sub_u32_e32 v52, 29, v54
	v_cmp_gt_u32_e64 s[0:1], 8, v10
	v_cndmask_b32_e64 v10, v53, v52, s[0:1]
	v_lshlrev_b32_e32 v1, 8, v1
	v_lshl_add_u32 v10, v10, 10, v25
	v_and_b32_e32 v51, 7, v51
	v_and_or_b32 v1, v1, s26, v10
	v_cndmask_b32_e64 v9, v9, v51, s[0:1]
	v_lshlrev_b32_e32 v1, 16, v1
	v_lshl_or_b32 v9, v9, 23, v1
.LBB253_660:                            ;   in Loop: Header=BB253_414 Depth=1
	s_or_b64 exec, exec, s[18:19]
.LBB253_661:                            ;   in Loop: Header=BB253_414 Depth=1
	s_or_b64 exec, exec, s[16:17]
.LBB253_662:                            ;   in Loop: Header=BB253_414 Depth=1
	s_or_b64 exec, exec, s[12:13]
	s_waitcnt vmcnt(0)
	v_fma_mixlo_f16 v10, v0, v46, 0 op_sel:[0,1,0] op_sel_hi:[0,1,0]
	v_or_b32_e32 v1, v46, v47
	v_lshlrev_b32_e32 v46, 16, v10
	v_or_b32_e32 v10, v11, v45
	v_fma_mixlo_f16 v11, v0, v11, 0 op_sel:[0,1,0] op_sel_hi:[0,1,0]
	v_lshlrev_b32_e32 v51, 16, v11
	v_or_b32_e32 v11, v50, v49
	v_or_b32_e32 v48, v9, v48
	v_fma_mixlo_f16 v1, v0, v1, 0 op_sel_hi:[0,1,0]
	v_fma_mixlo_f16 v10, v0, v10, 0 op_sel_hi:[0,1,0]
	v_fma_mixlo_f16 v45, v0, v50, 0 op_sel:[0,1,0] op_sel_hi:[0,1,0]
	v_fma_mixlo_f16 v11, v0, v11, 0 op_sel_hi:[0,1,0]
	v_fma_mixlo_f16 v48, v0, v48, 0 op_sel_hi:[0,1,0]
	v_fma_mixlo_f16 v0, v0, v9, 0 op_sel:[0,1,0] op_sel_hi:[0,1,0]
	v_and_b32_e32 v47, 0xffff, v1
	v_and_b32_e32 v52, 0xffff, v10
	v_lshlrev_b32_e32 v45, 16, v45
	v_and_b32_e32 v49, 0xffff, v11
	v_lshlrev_b32_e32 v0, 16, v0
	v_and_b32_e32 v9, 0xffff, v48
	v_or_b32_e32 v1, v46, v47
	v_or_b32_e32 v10, v51, v52
	;; [unrolled: 1-line block ×4, first 2 shown]
	s_and_saveexec_b64 s[12:13], vcc
	s_cbranch_execz .LBB253_664
; %bb.663:                              ;   in Loop: Header=BB253_414 Depth=1
	v_cmp_gt_i32_e64 s[0:1], s30, v26
	v_cndmask_b32_e64 v1, 0, v52, s[0:1]
	v_cmp_gt_i32_e64 s[0:1], s30, v32
	v_cndmask_b32_e64 v10, 0, v51, s[0:1]
	v_cmp_gt_i32_e64 s[0:1], s30, v31
	v_or_b32_e32 v10, v10, v1
	v_cndmask_b32_e64 v1, 0, v47, s[0:1]
	v_cmp_gt_i32_e64 s[0:1], s30, v30
	v_cndmask_b32_e64 v11, 0, v46, s[0:1]
	v_cmp_gt_i32_e64 s[0:1], s30, v29
	v_or_b32_e32 v1, v11, v1
	v_cndmask_b32_e64 v11, 0, v49, s[0:1]
	v_cmp_gt_i32_e64 s[0:1], s30, v28
	v_cndmask_b32_e64 v45, 0, v45, s[0:1]
	v_cmp_gt_i32_e64 s[0:1], s30, v27
	;; [unrolled: 2-line block ×3, first 2 shown]
	v_cndmask_b32_e64 v0, 0, v0, s[0:1]
	v_or_b32_e32 v11, v45, v11
	v_or_b32_e32 v48, v0, v9
.LBB253_664:                            ;   in Loop: Header=BB253_414 Depth=1
	s_or_b64 exec, exec, s[12:13]
	;;#ASMSTART
	v_pk_mul_f16 v0, v33, v10;

	;;#ASMEND
	;;#ASMSTART
	v_pk_mul_f16 v1, v34, v1;

	;;#ASMEND
	;; [unrolled: 4-line block ×4, first 2 shown]
	;;#ASMSTART
	v_pk_add_f16 v0, v0, v1;

	;;#ASMEND
	;;#ASMSTART
	v_pk_add_f16 v0, v0, v9;

	;;#ASMEND
	;; [unrolled: 4-line block ×3, first 2 shown]
	v_lshrrev_b32_e32 v1, 16, v0
	v_and_b32_e32 v0, 0xffff, v0
	;;#ASMSTART
	v_cvt_f32_f16 v45, v0;
	;;#ASMEND
	;;#ASMSTART
	v_cvt_f32_f16 v46, v1;
	;;#ASMEND
	global_load_dwordx2 v[9:10], v[7:8], off offset:2560
	v_mov_b32_e32 v11, 0
	global_load_dword v0, v11, s[14:15]
	v_mov_b32_e32 v47, 0
	s_waitcnt vmcnt(1)
	v_cmp_ne_u16_sdwa s[0:1], v9, v2 src0_sel:BYTE_0 src1_sel:DWORD
	s_and_saveexec_b64 s[12:13], s[0:1]
	s_cbranch_execz .LBB253_670
; %bb.665:                              ;   in Loop: Header=BB253_414 Depth=1
	v_cmp_ne_u16_sdwa s[0:1], v9, s24 src0_sel:BYTE_0 src1_sel:DWORD
	v_mov_b32_e32 v47, 0x8000
	s_and_saveexec_b64 s[16:17], s[0:1]
	s_cbranch_execz .LBB253_669
; %bb.666:                              ;   in Loop: Header=BB253_414 Depth=1
	v_and_b32_e32 v1, 0x7f, v9
	v_cmp_ne_u32_e64 s[0:1], s25, v1
	v_mov_b32_e32 v47, 0x7c01
	s_and_saveexec_b64 s[18:19], s[0:1]
	s_cbranch_execz .LBB253_668
; %bb.667:                              ;   in Loop: Header=BB253_414 Depth=1
	v_and_b32_e32 v49, 7, v9
	v_ffbh_u32_e32 v47, v49
	v_min_u32_e32 v51, 32, v47
	v_subrev_u32_e32 v47, 28, v51
	v_lshlrev_b64 v[47:48], v47, v[9:10]
	v_lshrrev_b32_e32 v50, 3, v1
	v_sub_u32_e32 v48, 29, v51
	v_cmp_gt_u32_e64 s[0:1], 8, v1
	v_cndmask_b32_e64 v1, v50, v48, s[0:1]
	v_lshl_add_u32 v1, v1, 10, v25
	v_lshlrev_b32_e32 v48, 8, v9
	v_and_b32_e32 v47, 7, v47
	v_and_b32_e32 v1, 0xfc00, v1
	v_cndmask_b32_e64 v47, v49, v47, s[0:1]
	v_and_or_b32 v1, v48, s26, v1
	v_lshl_or_b32 v47, v47, 7, v1
.LBB253_668:                            ;   in Loop: Header=BB253_414 Depth=1
	s_or_b64 exec, exec, s[18:19]
.LBB253_669:                            ;   in Loop: Header=BB253_414 Depth=1
	s_or_b64 exec, exec, s[16:17]
.LBB253_670:                            ;   in Loop: Header=BB253_414 Depth=1
	s_or_b64 exec, exec, s[12:13]
	v_lshrrev_b16_e32 v1, 8, v9
	v_cmp_ne_u16_e64 s[0:1], 0, v1
	s_and_saveexec_b64 s[12:13], s[0:1]
	s_cbranch_execz .LBB253_676
; %bb.671:                              ;   in Loop: Header=BB253_414 Depth=1
	v_cmp_ne_u16_e64 s[0:1], s24, v1
	v_bfrev_b32_e32 v11, 1
	s_and_saveexec_b64 s[16:17], s[0:1]
	s_cbranch_execz .LBB253_675
; %bb.672:                              ;   in Loop: Header=BB253_414 Depth=1
	v_and_b32_e32 v48, 0x7f, v1
	v_cmp_ne_u32_e64 s[0:1], s25, v48
	v_mov_b32_e32 v11, 0x7c010000
	s_and_saveexec_b64 s[18:19], s[0:1]
	s_cbranch_execz .LBB253_674
; %bb.673:                              ;   in Loop: Header=BB253_414 Depth=1
	v_and_b32_e32 v11, 7, v1
	v_ffbh_u32_e32 v49, v11
	v_min_u32_e32 v52, 32, v49
	v_subrev_u32_e32 v49, 28, v52
	v_lshlrev_b64 v[49:50], v49, v[1:2]
	v_lshrrev_b32_e32 v51, 3, v48
	v_sub_u32_e32 v50, 29, v52
	v_cmp_gt_u32_e64 s[0:1], 8, v48
	v_cndmask_b32_e64 v48, v51, v50, s[0:1]
	v_lshlrev_b32_e32 v1, 8, v1
	v_lshl_add_u32 v48, v48, 10, v25
	v_and_b32_e32 v49, 7, v49
	v_and_or_b32 v1, v1, s26, v48
	v_cndmask_b32_e64 v11, v11, v49, s[0:1]
	v_lshlrev_b32_e32 v1, 16, v1
	v_lshl_or_b32 v11, v11, 23, v1
.LBB253_674:                            ;   in Loop: Header=BB253_414 Depth=1
	s_or_b64 exec, exec, s[18:19]
.LBB253_675:                            ;   in Loop: Header=BB253_414 Depth=1
	s_or_b64 exec, exec, s[16:17]
.LBB253_676:                            ;   in Loop: Header=BB253_414 Depth=1
	s_or_b64 exec, exec, s[12:13]
	v_lshrrev_b32_e32 v1, 16, v9
	v_cmp_ne_u16_sdwa s[0:1], v1, v2 src0_sel:BYTE_0 src1_sel:DWORD
	v_mov_b32_e32 v48, 0
	v_mov_b32_e32 v49, 0
	s_and_saveexec_b64 s[12:13], s[0:1]
	s_cbranch_execz .LBB253_682
; %bb.677:                              ;   in Loop: Header=BB253_414 Depth=1
	v_cmp_ne_u16_sdwa s[0:1], v1, s24 src0_sel:BYTE_0 src1_sel:DWORD
	v_mov_b32_e32 v49, 0x8000
	s_and_saveexec_b64 s[16:17], s[0:1]
	s_cbranch_execz .LBB253_681
; %bb.678:                              ;   in Loop: Header=BB253_414 Depth=1
	v_bfe_u32 v50, v9, 16, 7
	v_cmp_ne_u32_e64 s[0:1], s25, v50
	v_mov_b32_e32 v49, 0x7c01
	s_and_saveexec_b64 s[18:19], s[0:1]
	s_cbranch_execz .LBB253_680
; %bb.679:                              ;   in Loop: Header=BB253_414 Depth=1
	v_and_b32_e32 v49, 7, v1
	v_ffbh_u32_e32 v51, v49
	v_min_u32_e32 v54, 32, v51
	v_subrev_u32_e32 v51, 28, v54
	v_lshlrev_b64 v[51:52], v51, v[1:2]
	v_lshrrev_b32_e32 v53, 3, v50
	v_sub_u32_e32 v52, 29, v54
	v_cmp_gt_u32_e64 s[0:1], 8, v50
	v_cndmask_b32_e64 v50, v53, v52, s[0:1]
	v_lshl_add_u32 v50, v50, 10, v25
	v_lshlrev_b32_e32 v1, 8, v1
	v_and_b32_e32 v51, 7, v51
	v_and_b32_e32 v50, 0xfc00, v50
	v_cndmask_b32_e64 v49, v49, v51, s[0:1]
	v_and_or_b32 v1, v1, s26, v50
	v_lshl_or_b32 v49, v49, 7, v1
.LBB253_680:                            ;   in Loop: Header=BB253_414 Depth=1
	s_or_b64 exec, exec, s[18:19]
.LBB253_681:                            ;   in Loop: Header=BB253_414 Depth=1
	s_or_b64 exec, exec, s[16:17]
.LBB253_682:                            ;   in Loop: Header=BB253_414 Depth=1
	s_or_b64 exec, exec, s[12:13]
	v_cmp_lt_u32_e64 s[0:1], s5, v9
	s_and_saveexec_b64 s[12:13], s[0:1]
	s_cbranch_execz .LBB253_688
; %bb.683:                              ;   in Loop: Header=BB253_414 Depth=1
	v_lshrrev_b32_e32 v1, 24, v9
	v_cmp_ne_u32_e64 s[0:1], s24, v1
	v_bfrev_b32_e32 v48, 1
	s_and_saveexec_b64 s[16:17], s[0:1]
	s_cbranch_execz .LBB253_687
; %bb.684:                              ;   in Loop: Header=BB253_414 Depth=1
	v_and_b32_e32 v50, 0x7f, v1
	v_cmp_ne_u32_e64 s[0:1], s25, v50
	v_mov_b32_e32 v48, 0x7c010000
	s_and_saveexec_b64 s[18:19], s[0:1]
	s_cbranch_execz .LBB253_686
; %bb.685:                              ;   in Loop: Header=BB253_414 Depth=1
	v_and_b32_e32 v48, 7, v1
	v_ffbh_u32_e32 v51, v48
	v_min_u32_e32 v54, 32, v51
	v_subrev_u32_e32 v51, 28, v54
	v_lshlrev_b64 v[51:52], v51, v[1:2]
	v_lshrrev_b32_e32 v53, 3, v50
	v_sub_u32_e32 v52, 29, v54
	v_cmp_gt_u32_e64 s[0:1], 8, v50
	v_cndmask_b32_e64 v50, v53, v52, s[0:1]
	v_lshlrev_b32_e32 v1, 8, v1
	v_lshl_add_u32 v50, v50, 10, v25
	v_and_b32_e32 v51, 7, v51
	v_and_or_b32 v1, v1, s26, v50
	v_cndmask_b32_e64 v48, v48, v51, s[0:1]
	v_lshlrev_b32_e32 v1, 16, v1
	v_lshl_or_b32 v48, v48, 23, v1
.LBB253_686:                            ;   in Loop: Header=BB253_414 Depth=1
	s_or_b64 exec, exec, s[18:19]
.LBB253_687:                            ;   in Loop: Header=BB253_414 Depth=1
	s_or_b64 exec, exec, s[16:17]
.LBB253_688:                            ;   in Loop: Header=BB253_414 Depth=1
	s_or_b64 exec, exec, s[12:13]
	v_mov_b32_e32 v1, v10
	v_cmp_ne_u16_sdwa s[0:1], v10, v2 src0_sel:BYTE_0 src1_sel:DWORD
	v_mov_b32_e32 v50, 0
	v_mov_b32_e32 v51, 0
	s_and_saveexec_b64 s[12:13], s[0:1]
	s_cbranch_execz .LBB253_694
; %bb.689:                              ;   in Loop: Header=BB253_414 Depth=1
	v_cmp_ne_u16_sdwa s[0:1], v10, s24 src0_sel:BYTE_0 src1_sel:DWORD
	v_mov_b32_e32 v51, 0x8000
	s_and_saveexec_b64 s[16:17], s[0:1]
	s_cbranch_execz .LBB253_693
; %bb.690:                              ;   in Loop: Header=BB253_414 Depth=1
	v_and_b32_e32 v52, 0x7f, v10
	v_cmp_ne_u32_e64 s[0:1], s25, v52
	v_mov_b32_e32 v51, 0x7c01
	s_and_saveexec_b64 s[18:19], s[0:1]
	s_cbranch_execz .LBB253_692
; %bb.691:                              ;   in Loop: Header=BB253_414 Depth=1
	v_and_b32_e32 v51, 7, v10
	v_ffbh_u32_e32 v53, v51
	v_min_u32_e32 v56, 32, v53
	v_subrev_u32_e32 v53, 28, v56
	v_lshlrev_b64 v[53:54], v53, v[1:2]
	v_lshrrev_b32_e32 v55, 3, v52
	v_sub_u32_e32 v54, 29, v56
	v_cmp_gt_u32_e64 s[0:1], 8, v52
	v_cndmask_b32_e64 v52, v55, v54, s[0:1]
	v_lshl_add_u32 v52, v52, 10, v25
	v_lshlrev_b32_e32 v54, 8, v10
	v_and_b32_e32 v53, 7, v53
	v_and_b32_e32 v52, 0xfc00, v52
	v_cndmask_b32_e64 v51, v51, v53, s[0:1]
	v_and_or_b32 v52, v54, s26, v52
	v_lshl_or_b32 v51, v51, 7, v52
.LBB253_692:                            ;   in Loop: Header=BB253_414 Depth=1
	s_or_b64 exec, exec, s[18:19]
.LBB253_693:                            ;   in Loop: Header=BB253_414 Depth=1
	s_or_b64 exec, exec, s[16:17]
.LBB253_694:                            ;   in Loop: Header=BB253_414 Depth=1
	s_or_b64 exec, exec, s[12:13]
	v_lshrrev_b16_e32 v1, 8, v1
	v_cmp_ne_u16_e64 s[0:1], 0, v1
	v_mov_b32_e32 v52, 0
	s_and_saveexec_b64 s[12:13], s[0:1]
	s_cbranch_execz .LBB253_700
; %bb.695:                              ;   in Loop: Header=BB253_414 Depth=1
	v_cmp_ne_u16_e64 s[0:1], s24, v1
	v_bfrev_b32_e32 v52, 1
	s_and_saveexec_b64 s[16:17], s[0:1]
	s_cbranch_execz .LBB253_699
; %bb.696:                              ;   in Loop: Header=BB253_414 Depth=1
	v_and_b32_e32 v53, 0x7f, v1
	v_cmp_ne_u32_e64 s[0:1], s25, v53
	v_mov_b32_e32 v52, 0x7c010000
	s_and_saveexec_b64 s[18:19], s[0:1]
	s_cbranch_execz .LBB253_698
; %bb.697:                              ;   in Loop: Header=BB253_414 Depth=1
	v_and_b32_e32 v52, 7, v1
	v_ffbh_u32_e32 v54, v52
	v_min_u32_e32 v57, 32, v54
	v_subrev_u32_e32 v54, 28, v57
	v_lshlrev_b64 v[54:55], v54, v[1:2]
	v_lshrrev_b32_e32 v56, 3, v53
	v_sub_u32_e32 v55, 29, v57
	v_cmp_gt_u32_e64 s[0:1], 8, v53
	v_cndmask_b32_e64 v53, v56, v55, s[0:1]
	v_lshlrev_b32_e32 v1, 8, v1
	v_lshl_add_u32 v53, v53, 10, v25
	v_and_b32_e32 v54, 7, v54
	v_and_or_b32 v1, v1, s26, v53
	v_cndmask_b32_e64 v52, v52, v54, s[0:1]
	v_lshlrev_b32_e32 v1, 16, v1
	v_lshl_or_b32 v52, v52, 23, v1
.LBB253_698:                            ;   in Loop: Header=BB253_414 Depth=1
	s_or_b64 exec, exec, s[18:19]
.LBB253_699:                            ;   in Loop: Header=BB253_414 Depth=1
	s_or_b64 exec, exec, s[16:17]
.LBB253_700:                            ;   in Loop: Header=BB253_414 Depth=1
	s_or_b64 exec, exec, s[12:13]
	v_lshrrev_b32_e32 v1, 16, v10
	v_cmp_ne_u16_sdwa s[0:1], v1, v2 src0_sel:BYTE_0 src1_sel:DWORD
	s_and_saveexec_b64 s[12:13], s[0:1]
	s_cbranch_execz .LBB253_706
; %bb.701:                              ;   in Loop: Header=BB253_414 Depth=1
	v_cmp_ne_u16_sdwa s[0:1], v1, s24 src0_sel:BYTE_0 src1_sel:DWORD
	v_mov_b32_e32 v50, 0x8000
	s_and_saveexec_b64 s[16:17], s[0:1]
	s_cbranch_execz .LBB253_705
; %bb.702:                              ;   in Loop: Header=BB253_414 Depth=1
	v_bfe_u32 v53, v10, 16, 7
	v_cmp_ne_u32_e64 s[0:1], s25, v53
	v_mov_b32_e32 v50, 0x7c01
	s_and_saveexec_b64 s[18:19], s[0:1]
	s_cbranch_execz .LBB253_704
; %bb.703:                              ;   in Loop: Header=BB253_414 Depth=1
	v_and_b32_e32 v50, 7, v1
	v_ffbh_u32_e32 v54, v50
	v_min_u32_e32 v57, 32, v54
	v_subrev_u32_e32 v54, 28, v57
	v_lshlrev_b64 v[54:55], v54, v[1:2]
	v_lshrrev_b32_e32 v56, 3, v53
	v_sub_u32_e32 v55, 29, v57
	v_cmp_gt_u32_e64 s[0:1], 8, v53
	v_cndmask_b32_e64 v53, v56, v55, s[0:1]
	v_lshl_add_u32 v53, v53, 10, v25
	v_lshlrev_b32_e32 v1, 8, v1
	v_and_b32_e32 v54, 7, v54
	v_and_b32_e32 v53, 0xfc00, v53
	v_cndmask_b32_e64 v50, v50, v54, s[0:1]
	v_and_or_b32 v1, v1, s26, v53
	v_lshl_or_b32 v50, v50, 7, v1
.LBB253_704:                            ;   in Loop: Header=BB253_414 Depth=1
	s_or_b64 exec, exec, s[18:19]
.LBB253_705:                            ;   in Loop: Header=BB253_414 Depth=1
	s_or_b64 exec, exec, s[16:17]
.LBB253_706:                            ;   in Loop: Header=BB253_414 Depth=1
	s_or_b64 exec, exec, s[12:13]
	v_cmp_lt_u64_e64 s[0:1], s[4:5], v[9:10]
	v_mov_b32_e32 v9, 0
	s_and_saveexec_b64 s[12:13], s[0:1]
	s_cbranch_execz .LBB253_712
; %bb.707:                              ;   in Loop: Header=BB253_414 Depth=1
	v_lshrrev_b32_e32 v1, 24, v10
	v_cmp_ne_u32_e64 s[0:1], s24, v1
	v_bfrev_b32_e32 v9, 1
	s_and_saveexec_b64 s[16:17], s[0:1]
	s_cbranch_execz .LBB253_711
; %bb.708:                              ;   in Loop: Header=BB253_414 Depth=1
	v_and_b32_e32 v10, 0x7f, v1
	v_cmp_ne_u32_e64 s[0:1], s25, v10
	v_mov_b32_e32 v9, 0x7c010000
	s_and_saveexec_b64 s[18:19], s[0:1]
	s_cbranch_execz .LBB253_710
; %bb.709:                              ;   in Loop: Header=BB253_414 Depth=1
	v_and_b32_e32 v9, 7, v1
	v_ffbh_u32_e32 v53, v9
	v_min_u32_e32 v56, 32, v53
	v_subrev_u32_e32 v53, 28, v56
	v_lshlrev_b64 v[53:54], v53, v[1:2]
	v_lshrrev_b32_e32 v55, 3, v10
	v_sub_u32_e32 v54, 29, v56
	v_cmp_gt_u32_e64 s[0:1], 8, v10
	v_cndmask_b32_e64 v10, v55, v54, s[0:1]
	v_lshlrev_b32_e32 v1, 8, v1
	v_lshl_add_u32 v10, v10, 10, v25
	v_and_b32_e32 v53, 7, v53
	v_and_or_b32 v1, v1, s26, v10
	v_cndmask_b32_e64 v9, v9, v53, s[0:1]
	v_lshlrev_b32_e32 v1, 16, v1
	v_lshl_or_b32 v9, v9, 23, v1
.LBB253_710:                            ;   in Loop: Header=BB253_414 Depth=1
	s_or_b64 exec, exec, s[18:19]
.LBB253_711:                            ;   in Loop: Header=BB253_414 Depth=1
	s_or_b64 exec, exec, s[16:17]
.LBB253_712:                            ;   in Loop: Header=BB253_414 Depth=1
	s_or_b64 exec, exec, s[12:13]
	s_waitcnt vmcnt(0)
	v_fma_mixlo_f16 v10, v0, v48, 0 op_sel:[0,1,0] op_sel_hi:[0,1,0]
	v_or_b32_e32 v1, v48, v49
	v_lshlrev_b32_e32 v48, 16, v10
	v_or_b32_e32 v10, v11, v47
	v_fma_mixlo_f16 v11, v0, v11, 0 op_sel:[0,1,0] op_sel_hi:[0,1,0]
	v_lshlrev_b32_e32 v53, 16, v11
	v_or_b32_e32 v11, v52, v51
	v_or_b32_e32 v50, v9, v50
	v_fma_mixlo_f16 v1, v0, v1, 0 op_sel_hi:[0,1,0]
	v_fma_mixlo_f16 v10, v0, v10, 0 op_sel_hi:[0,1,0]
	v_fma_mixlo_f16 v47, v0, v52, 0 op_sel:[0,1,0] op_sel_hi:[0,1,0]
	v_fma_mixlo_f16 v11, v0, v11, 0 op_sel_hi:[0,1,0]
	v_fma_mixlo_f16 v50, v0, v50, 0 op_sel_hi:[0,1,0]
	v_fma_mixlo_f16 v0, v0, v9, 0 op_sel:[0,1,0] op_sel_hi:[0,1,0]
	v_and_b32_e32 v49, 0xffff, v1
	v_and_b32_e32 v54, 0xffff, v10
	v_lshlrev_b32_e32 v47, 16, v47
	v_and_b32_e32 v51, 0xffff, v11
	v_lshlrev_b32_e32 v0, 16, v0
	v_and_b32_e32 v9, 0xffff, v50
	v_or_b32_e32 v1, v48, v49
	v_or_b32_e32 v10, v53, v54
	v_or_b32_e32 v11, v47, v51
	v_or_b32_e32 v50, v0, v9
	s_and_saveexec_b64 s[12:13], vcc
	s_cbranch_execz .LBB253_714
; %bb.713:                              ;   in Loop: Header=BB253_414 Depth=1
	v_cmp_gt_i32_e64 s[0:1], s30, v26
	v_cndmask_b32_e64 v1, 0, v54, s[0:1]
	v_cmp_gt_i32_e64 s[0:1], s30, v32
	v_cndmask_b32_e64 v10, 0, v53, s[0:1]
	v_cmp_gt_i32_e64 s[0:1], s30, v31
	v_or_b32_e32 v10, v10, v1
	v_cndmask_b32_e64 v1, 0, v49, s[0:1]
	v_cmp_gt_i32_e64 s[0:1], s30, v30
	v_cndmask_b32_e64 v11, 0, v48, s[0:1]
	v_cmp_gt_i32_e64 s[0:1], s30, v29
	v_or_b32_e32 v1, v11, v1
	v_cndmask_b32_e64 v11, 0, v51, s[0:1]
	v_cmp_gt_i32_e64 s[0:1], s30, v28
	v_cndmask_b32_e64 v47, 0, v47, s[0:1]
	v_cmp_gt_i32_e64 s[0:1], s30, v27
	v_cndmask_b32_e64 v9, 0, v9, s[0:1]
	v_cmp_gt_i32_e64 s[0:1], s30, v23
	v_cndmask_b32_e64 v0, 0, v0, s[0:1]
	v_or_b32_e32 v11, v47, v11
	v_or_b32_e32 v50, v0, v9
.LBB253_714:                            ;   in Loop: Header=BB253_414 Depth=1
	s_or_b64 exec, exec, s[12:13]
	;;#ASMSTART
	v_pk_mul_f16 v0, v33, v10;

	;;#ASMEND
	;;#ASMSTART
	v_pk_mul_f16 v1, v34, v1;

	;;#ASMEND
	;; [unrolled: 4-line block ×4, first 2 shown]
	;;#ASMSTART
	v_pk_add_f16 v0, v0, v1;

	;;#ASMEND
	;;#ASMSTART
	v_pk_add_f16 v0, v0, v9;

	;;#ASMEND
	;; [unrolled: 4-line block ×3, first 2 shown]
	v_lshrrev_b32_e32 v1, 16, v0
	v_and_b32_e32 v0, 0xffff, v0
	;;#ASMSTART
	v_cvt_f32_f16 v0, v0;
	;;#ASMEND
	;;#ASMSTART
	v_cvt_f32_f16 v11, v1;
	;;#ASMEND
	global_load_dwordx2 v[9:10], v[7:8], off offset:3072
	v_mov_b32_e32 v48, 0
	global_load_dword v47, v48, s[14:15]
	v_mov_b32_e32 v49, 0
	s_waitcnt vmcnt(1)
	v_cmp_ne_u16_sdwa s[0:1], v9, v2 src0_sel:BYTE_0 src1_sel:DWORD
	s_and_saveexec_b64 s[12:13], s[0:1]
	s_cbranch_execz .LBB253_720
; %bb.715:                              ;   in Loop: Header=BB253_414 Depth=1
	v_cmp_ne_u16_sdwa s[0:1], v9, s24 src0_sel:BYTE_0 src1_sel:DWORD
	v_mov_b32_e32 v49, 0x8000
	s_and_saveexec_b64 s[16:17], s[0:1]
	s_cbranch_execz .LBB253_719
; %bb.716:                              ;   in Loop: Header=BB253_414 Depth=1
	v_and_b32_e32 v1, 0x7f, v9
	v_cmp_ne_u32_e64 s[0:1], s25, v1
	v_mov_b32_e32 v49, 0x7c01
	s_and_saveexec_b64 s[18:19], s[0:1]
	s_cbranch_execz .LBB253_718
; %bb.717:                              ;   in Loop: Header=BB253_414 Depth=1
	v_and_b32_e32 v51, 7, v9
	v_ffbh_u32_e32 v49, v51
	v_min_u32_e32 v53, 32, v49
	v_subrev_u32_e32 v49, 28, v53
	v_lshlrev_b64 v[49:50], v49, v[9:10]
	v_lshrrev_b32_e32 v52, 3, v1
	v_sub_u32_e32 v50, 29, v53
	v_cmp_gt_u32_e64 s[0:1], 8, v1
	v_cndmask_b32_e64 v1, v52, v50, s[0:1]
	v_lshl_add_u32 v1, v1, 10, v25
	v_lshlrev_b32_e32 v50, 8, v9
	v_and_b32_e32 v49, 7, v49
	v_and_b32_e32 v1, 0xfc00, v1
	v_cndmask_b32_e64 v49, v51, v49, s[0:1]
	v_and_or_b32 v1, v50, s26, v1
	v_lshl_or_b32 v49, v49, 7, v1
.LBB253_718:                            ;   in Loop: Header=BB253_414 Depth=1
	s_or_b64 exec, exec, s[18:19]
.LBB253_719:                            ;   in Loop: Header=BB253_414 Depth=1
	s_or_b64 exec, exec, s[16:17]
.LBB253_720:                            ;   in Loop: Header=BB253_414 Depth=1
	s_or_b64 exec, exec, s[12:13]
	v_lshrrev_b16_e32 v1, 8, v9
	v_cmp_ne_u16_e64 s[0:1], 0, v1
	s_and_saveexec_b64 s[12:13], s[0:1]
	s_cbranch_execz .LBB253_726
; %bb.721:                              ;   in Loop: Header=BB253_414 Depth=1
	v_cmp_ne_u16_e64 s[0:1], s24, v1
	v_bfrev_b32_e32 v48, 1
	s_and_saveexec_b64 s[16:17], s[0:1]
	s_cbranch_execz .LBB253_725
; %bb.722:                              ;   in Loop: Header=BB253_414 Depth=1
	v_and_b32_e32 v50, 0x7f, v1
	v_cmp_ne_u32_e64 s[0:1], s25, v50
	v_mov_b32_e32 v48, 0x7c010000
	s_and_saveexec_b64 s[18:19], s[0:1]
	s_cbranch_execz .LBB253_724
; %bb.723:                              ;   in Loop: Header=BB253_414 Depth=1
	v_and_b32_e32 v48, 7, v1
	v_ffbh_u32_e32 v51, v48
	v_min_u32_e32 v54, 32, v51
	v_subrev_u32_e32 v51, 28, v54
	v_lshlrev_b64 v[51:52], v51, v[1:2]
	v_lshrrev_b32_e32 v53, 3, v50
	v_sub_u32_e32 v52, 29, v54
	v_cmp_gt_u32_e64 s[0:1], 8, v50
	v_cndmask_b32_e64 v50, v53, v52, s[0:1]
	v_lshlrev_b32_e32 v1, 8, v1
	v_lshl_add_u32 v50, v50, 10, v25
	v_and_b32_e32 v51, 7, v51
	v_and_or_b32 v1, v1, s26, v50
	v_cndmask_b32_e64 v48, v48, v51, s[0:1]
	v_lshlrev_b32_e32 v1, 16, v1
	v_lshl_or_b32 v48, v48, 23, v1
.LBB253_724:                            ;   in Loop: Header=BB253_414 Depth=1
	s_or_b64 exec, exec, s[18:19]
.LBB253_725:                            ;   in Loop: Header=BB253_414 Depth=1
	s_or_b64 exec, exec, s[16:17]
.LBB253_726:                            ;   in Loop: Header=BB253_414 Depth=1
	s_or_b64 exec, exec, s[12:13]
	v_lshrrev_b32_e32 v1, 16, v9
	v_cmp_ne_u16_sdwa s[0:1], v1, v2 src0_sel:BYTE_0 src1_sel:DWORD
	v_mov_b32_e32 v50, 0
	v_mov_b32_e32 v51, 0
	s_and_saveexec_b64 s[12:13], s[0:1]
	s_cbranch_execz .LBB253_732
; %bb.727:                              ;   in Loop: Header=BB253_414 Depth=1
	v_cmp_ne_u16_sdwa s[0:1], v1, s24 src0_sel:BYTE_0 src1_sel:DWORD
	v_mov_b32_e32 v51, 0x8000
	s_and_saveexec_b64 s[16:17], s[0:1]
	s_cbranch_execz .LBB253_731
; %bb.728:                              ;   in Loop: Header=BB253_414 Depth=1
	v_bfe_u32 v52, v9, 16, 7
	v_cmp_ne_u32_e64 s[0:1], s25, v52
	v_mov_b32_e32 v51, 0x7c01
	s_and_saveexec_b64 s[18:19], s[0:1]
	s_cbranch_execz .LBB253_730
; %bb.729:                              ;   in Loop: Header=BB253_414 Depth=1
	v_and_b32_e32 v51, 7, v1
	v_ffbh_u32_e32 v53, v51
	v_min_u32_e32 v56, 32, v53
	v_subrev_u32_e32 v53, 28, v56
	v_lshlrev_b64 v[53:54], v53, v[1:2]
	v_lshrrev_b32_e32 v55, 3, v52
	v_sub_u32_e32 v54, 29, v56
	v_cmp_gt_u32_e64 s[0:1], 8, v52
	v_cndmask_b32_e64 v52, v55, v54, s[0:1]
	v_lshl_add_u32 v52, v52, 10, v25
	v_lshlrev_b32_e32 v1, 8, v1
	v_and_b32_e32 v53, 7, v53
	v_and_b32_e32 v52, 0xfc00, v52
	v_cndmask_b32_e64 v51, v51, v53, s[0:1]
	v_and_or_b32 v1, v1, s26, v52
	v_lshl_or_b32 v51, v51, 7, v1
.LBB253_730:                            ;   in Loop: Header=BB253_414 Depth=1
	s_or_b64 exec, exec, s[18:19]
.LBB253_731:                            ;   in Loop: Header=BB253_414 Depth=1
	s_or_b64 exec, exec, s[16:17]
.LBB253_732:                            ;   in Loop: Header=BB253_414 Depth=1
	s_or_b64 exec, exec, s[12:13]
	v_cmp_lt_u32_e64 s[0:1], s5, v9
	s_and_saveexec_b64 s[12:13], s[0:1]
	s_cbranch_execz .LBB253_738
; %bb.733:                              ;   in Loop: Header=BB253_414 Depth=1
	v_lshrrev_b32_e32 v1, 24, v9
	v_cmp_ne_u32_e64 s[0:1], s24, v1
	v_bfrev_b32_e32 v50, 1
	s_and_saveexec_b64 s[16:17], s[0:1]
	s_cbranch_execz .LBB253_737
; %bb.734:                              ;   in Loop: Header=BB253_414 Depth=1
	v_and_b32_e32 v52, 0x7f, v1
	v_cmp_ne_u32_e64 s[0:1], s25, v52
	v_mov_b32_e32 v50, 0x7c010000
	s_and_saveexec_b64 s[18:19], s[0:1]
	s_cbranch_execz .LBB253_736
; %bb.735:                              ;   in Loop: Header=BB253_414 Depth=1
	v_and_b32_e32 v50, 7, v1
	v_ffbh_u32_e32 v53, v50
	v_min_u32_e32 v56, 32, v53
	v_subrev_u32_e32 v53, 28, v56
	v_lshlrev_b64 v[53:54], v53, v[1:2]
	v_lshrrev_b32_e32 v55, 3, v52
	v_sub_u32_e32 v54, 29, v56
	v_cmp_gt_u32_e64 s[0:1], 8, v52
	v_cndmask_b32_e64 v52, v55, v54, s[0:1]
	v_lshlrev_b32_e32 v1, 8, v1
	v_lshl_add_u32 v52, v52, 10, v25
	v_and_b32_e32 v53, 7, v53
	v_and_or_b32 v1, v1, s26, v52
	v_cndmask_b32_e64 v50, v50, v53, s[0:1]
	v_lshlrev_b32_e32 v1, 16, v1
	v_lshl_or_b32 v50, v50, 23, v1
.LBB253_736:                            ;   in Loop: Header=BB253_414 Depth=1
	s_or_b64 exec, exec, s[18:19]
.LBB253_737:                            ;   in Loop: Header=BB253_414 Depth=1
	s_or_b64 exec, exec, s[16:17]
.LBB253_738:                            ;   in Loop: Header=BB253_414 Depth=1
	s_or_b64 exec, exec, s[12:13]
	v_mov_b32_e32 v1, v10
	v_cmp_ne_u16_sdwa s[0:1], v10, v2 src0_sel:BYTE_0 src1_sel:DWORD
	v_mov_b32_e32 v52, 0
	v_mov_b32_e32 v53, 0
	s_and_saveexec_b64 s[12:13], s[0:1]
	s_cbranch_execz .LBB253_744
; %bb.739:                              ;   in Loop: Header=BB253_414 Depth=1
	v_cmp_ne_u16_sdwa s[0:1], v10, s24 src0_sel:BYTE_0 src1_sel:DWORD
	v_mov_b32_e32 v53, 0x8000
	s_and_saveexec_b64 s[16:17], s[0:1]
	s_cbranch_execz .LBB253_743
; %bb.740:                              ;   in Loop: Header=BB253_414 Depth=1
	v_and_b32_e32 v54, 0x7f, v10
	v_cmp_ne_u32_e64 s[0:1], s25, v54
	v_mov_b32_e32 v53, 0x7c01
	s_and_saveexec_b64 s[18:19], s[0:1]
	s_cbranch_execz .LBB253_742
; %bb.741:                              ;   in Loop: Header=BB253_414 Depth=1
	v_and_b32_e32 v53, 7, v10
	v_ffbh_u32_e32 v55, v53
	v_min_u32_e32 v58, 32, v55
	v_subrev_u32_e32 v55, 28, v58
	v_lshlrev_b64 v[55:56], v55, v[1:2]
	v_lshrrev_b32_e32 v57, 3, v54
	v_sub_u32_e32 v56, 29, v58
	v_cmp_gt_u32_e64 s[0:1], 8, v54
	v_cndmask_b32_e64 v54, v57, v56, s[0:1]
	v_lshl_add_u32 v54, v54, 10, v25
	v_lshlrev_b32_e32 v56, 8, v10
	v_and_b32_e32 v55, 7, v55
	v_and_b32_e32 v54, 0xfc00, v54
	v_cndmask_b32_e64 v53, v53, v55, s[0:1]
	v_and_or_b32 v54, v56, s26, v54
	v_lshl_or_b32 v53, v53, 7, v54
.LBB253_742:                            ;   in Loop: Header=BB253_414 Depth=1
	s_or_b64 exec, exec, s[18:19]
.LBB253_743:                            ;   in Loop: Header=BB253_414 Depth=1
	s_or_b64 exec, exec, s[16:17]
.LBB253_744:                            ;   in Loop: Header=BB253_414 Depth=1
	s_or_b64 exec, exec, s[12:13]
	v_lshrrev_b16_e32 v1, 8, v1
	v_cmp_ne_u16_e64 s[0:1], 0, v1
	v_mov_b32_e32 v54, 0
	s_and_saveexec_b64 s[12:13], s[0:1]
	s_cbranch_execz .LBB253_750
; %bb.745:                              ;   in Loop: Header=BB253_414 Depth=1
	v_cmp_ne_u16_e64 s[0:1], s24, v1
	v_bfrev_b32_e32 v54, 1
	s_and_saveexec_b64 s[16:17], s[0:1]
	s_cbranch_execz .LBB253_749
; %bb.746:                              ;   in Loop: Header=BB253_414 Depth=1
	v_and_b32_e32 v55, 0x7f, v1
	v_cmp_ne_u32_e64 s[0:1], s25, v55
	v_mov_b32_e32 v54, 0x7c010000
	s_and_saveexec_b64 s[18:19], s[0:1]
	s_cbranch_execz .LBB253_748
; %bb.747:                              ;   in Loop: Header=BB253_414 Depth=1
	v_and_b32_e32 v54, 7, v1
	v_ffbh_u32_e32 v56, v54
	v_min_u32_e32 v59, 32, v56
	v_subrev_u32_e32 v56, 28, v59
	v_lshlrev_b64 v[56:57], v56, v[1:2]
	v_lshrrev_b32_e32 v58, 3, v55
	v_sub_u32_e32 v57, 29, v59
	v_cmp_gt_u32_e64 s[0:1], 8, v55
	v_cndmask_b32_e64 v55, v58, v57, s[0:1]
	v_lshlrev_b32_e32 v1, 8, v1
	v_lshl_add_u32 v55, v55, 10, v25
	v_and_b32_e32 v56, 7, v56
	v_and_or_b32 v1, v1, s26, v55
	v_cndmask_b32_e64 v54, v54, v56, s[0:1]
	v_lshlrev_b32_e32 v1, 16, v1
	v_lshl_or_b32 v54, v54, 23, v1
.LBB253_748:                            ;   in Loop: Header=BB253_414 Depth=1
	s_or_b64 exec, exec, s[18:19]
.LBB253_749:                            ;   in Loop: Header=BB253_414 Depth=1
	s_or_b64 exec, exec, s[16:17]
.LBB253_750:                            ;   in Loop: Header=BB253_414 Depth=1
	s_or_b64 exec, exec, s[12:13]
	v_lshrrev_b32_e32 v1, 16, v10
	v_cmp_ne_u16_sdwa s[0:1], v1, v2 src0_sel:BYTE_0 src1_sel:DWORD
	s_and_saveexec_b64 s[12:13], s[0:1]
	s_cbranch_execz .LBB253_756
; %bb.751:                              ;   in Loop: Header=BB253_414 Depth=1
	v_cmp_ne_u16_sdwa s[0:1], v1, s24 src0_sel:BYTE_0 src1_sel:DWORD
	v_mov_b32_e32 v52, 0x8000
	s_and_saveexec_b64 s[16:17], s[0:1]
	s_cbranch_execz .LBB253_755
; %bb.752:                              ;   in Loop: Header=BB253_414 Depth=1
	v_bfe_u32 v55, v10, 16, 7
	v_cmp_ne_u32_e64 s[0:1], s25, v55
	v_mov_b32_e32 v52, 0x7c01
	s_and_saveexec_b64 s[18:19], s[0:1]
	s_cbranch_execz .LBB253_754
; %bb.753:                              ;   in Loop: Header=BB253_414 Depth=1
	v_and_b32_e32 v52, 7, v1
	v_ffbh_u32_e32 v56, v52
	v_min_u32_e32 v59, 32, v56
	v_subrev_u32_e32 v56, 28, v59
	v_lshlrev_b64 v[56:57], v56, v[1:2]
	v_lshrrev_b32_e32 v58, 3, v55
	v_sub_u32_e32 v57, 29, v59
	v_cmp_gt_u32_e64 s[0:1], 8, v55
	v_cndmask_b32_e64 v55, v58, v57, s[0:1]
	v_lshl_add_u32 v55, v55, 10, v25
	v_lshlrev_b32_e32 v1, 8, v1
	v_and_b32_e32 v56, 7, v56
	v_and_b32_e32 v55, 0xfc00, v55
	v_cndmask_b32_e64 v52, v52, v56, s[0:1]
	v_and_or_b32 v1, v1, s26, v55
	v_lshl_or_b32 v52, v52, 7, v1
.LBB253_754:                            ;   in Loop: Header=BB253_414 Depth=1
	s_or_b64 exec, exec, s[18:19]
.LBB253_755:                            ;   in Loop: Header=BB253_414 Depth=1
	s_or_b64 exec, exec, s[16:17]
.LBB253_756:                            ;   in Loop: Header=BB253_414 Depth=1
	s_or_b64 exec, exec, s[12:13]
	v_cmp_lt_u64_e64 s[0:1], s[4:5], v[9:10]
	v_mov_b32_e32 v9, 0
	s_and_saveexec_b64 s[12:13], s[0:1]
	s_cbranch_execz .LBB253_762
; %bb.757:                              ;   in Loop: Header=BB253_414 Depth=1
	v_lshrrev_b32_e32 v1, 24, v10
	v_cmp_ne_u32_e64 s[0:1], s24, v1
	v_bfrev_b32_e32 v9, 1
	s_and_saveexec_b64 s[16:17], s[0:1]
	s_cbranch_execz .LBB253_761
; %bb.758:                              ;   in Loop: Header=BB253_414 Depth=1
	v_and_b32_e32 v10, 0x7f, v1
	v_cmp_ne_u32_e64 s[0:1], s25, v10
	v_mov_b32_e32 v9, 0x7c010000
	s_and_saveexec_b64 s[18:19], s[0:1]
	s_cbranch_execz .LBB253_760
; %bb.759:                              ;   in Loop: Header=BB253_414 Depth=1
	v_and_b32_e32 v9, 7, v1
	v_ffbh_u32_e32 v55, v9
	v_min_u32_e32 v58, 32, v55
	v_subrev_u32_e32 v55, 28, v58
	v_lshlrev_b64 v[55:56], v55, v[1:2]
	v_lshrrev_b32_e32 v57, 3, v10
	v_sub_u32_e32 v56, 29, v58
	v_cmp_gt_u32_e64 s[0:1], 8, v10
	v_cndmask_b32_e64 v10, v57, v56, s[0:1]
	v_lshlrev_b32_e32 v1, 8, v1
	v_lshl_add_u32 v10, v10, 10, v25
	v_and_b32_e32 v55, 7, v55
	v_and_or_b32 v1, v1, s26, v10
	v_cndmask_b32_e64 v9, v9, v55, s[0:1]
	v_lshlrev_b32_e32 v1, 16, v1
	v_lshl_or_b32 v9, v9, 23, v1
.LBB253_760:                            ;   in Loop: Header=BB253_414 Depth=1
	s_or_b64 exec, exec, s[18:19]
.LBB253_761:                            ;   in Loop: Header=BB253_414 Depth=1
	s_or_b64 exec, exec, s[16:17]
.LBB253_762:                            ;   in Loop: Header=BB253_414 Depth=1
	s_or_b64 exec, exec, s[12:13]
	s_waitcnt vmcnt(0)
	v_fma_mixlo_f16 v10, v47, v50, 0 op_sel:[0,1,0] op_sel_hi:[0,1,0]
	v_or_b32_e32 v1, v50, v51
	v_lshlrev_b32_e32 v50, 16, v10
	v_or_b32_e32 v10, v48, v49
	v_fma_mixlo_f16 v48, v47, v48, 0 op_sel:[0,1,0] op_sel_hi:[0,1,0]
	v_lshlrev_b32_e32 v55, 16, v48
	v_or_b32_e32 v48, v54, v53
	v_or_b32_e32 v52, v9, v52
	v_fma_mixlo_f16 v1, v47, v1, 0 op_sel_hi:[0,1,0]
	v_fma_mixlo_f16 v10, v47, v10, 0 op_sel_hi:[0,1,0]
	v_fma_mixlo_f16 v49, v47, v54, 0 op_sel:[0,1,0] op_sel_hi:[0,1,0]
	v_fma_mixlo_f16 v48, v47, v48, 0 op_sel_hi:[0,1,0]
	v_fma_mixlo_f16 v52, v47, v52, 0 op_sel_hi:[0,1,0]
	v_fma_mixlo_f16 v9, v47, v9, 0 op_sel:[0,1,0] op_sel_hi:[0,1,0]
	v_and_b32_e32 v51, 0xffff, v1
	v_and_b32_e32 v56, 0xffff, v10
	v_lshlrev_b32_e32 v49, 16, v49
	v_and_b32_e32 v53, 0xffff, v48
	v_lshlrev_b32_e32 v9, 16, v9
	v_and_b32_e32 v47, 0xffff, v52
	v_or_b32_e32 v1, v50, v51
	v_or_b32_e32 v10, v55, v56
	;; [unrolled: 1-line block ×4, first 2 shown]
	s_and_saveexec_b64 s[12:13], vcc
	s_cbranch_execz .LBB253_764
; %bb.763:                              ;   in Loop: Header=BB253_414 Depth=1
	v_cmp_gt_i32_e64 s[0:1], s30, v26
	v_cndmask_b32_e64 v1, 0, v56, s[0:1]
	v_cmp_gt_i32_e64 s[0:1], s30, v32
	v_cndmask_b32_e64 v10, 0, v55, s[0:1]
	v_cmp_gt_i32_e64 s[0:1], s30, v31
	v_or_b32_e32 v10, v10, v1
	v_cndmask_b32_e64 v1, 0, v51, s[0:1]
	v_cmp_gt_i32_e64 s[0:1], s30, v30
	v_cndmask_b32_e64 v48, 0, v50, s[0:1]
	v_cmp_gt_i32_e64 s[0:1], s30, v29
	v_or_b32_e32 v1, v48, v1
	v_cndmask_b32_e64 v48, 0, v53, s[0:1]
	v_cmp_gt_i32_e64 s[0:1], s30, v28
	v_cndmask_b32_e64 v49, 0, v49, s[0:1]
	v_cmp_gt_i32_e64 s[0:1], s30, v27
	;; [unrolled: 2-line block ×3, first 2 shown]
	v_cndmask_b32_e64 v9, 0, v9, s[0:1]
	v_or_b32_e32 v48, v49, v48
	v_or_b32_e32 v52, v9, v47
.LBB253_764:                            ;   in Loop: Header=BB253_414 Depth=1
	s_or_b64 exec, exec, s[12:13]
	;;#ASMSTART
	v_pk_mul_f16 v9, v33, v10;

	;;#ASMEND
	;;#ASMSTART
	v_pk_mul_f16 v1, v34, v1;

	;;#ASMEND
	;; [unrolled: 4-line block ×4, first 2 shown]
	;;#ASMSTART
	v_pk_add_f16 v1, v9, v1;

	;;#ASMEND
	;;#ASMSTART
	v_pk_add_f16 v1, v1, v10;

	;;#ASMEND
	;; [unrolled: 4-line block ×3, first 2 shown]
	v_lshrrev_b32_e32 v10, 16, v1
	v_and_b32_e32 v1, 0xffff, v1
	;;#ASMSTART
	v_cvt_f32_f16 v9, v1;
	;;#ASMEND
	;;#ASMSTART
	v_cvt_f32_f16 v10, v10;
	;;#ASMEND
	global_load_dwordx2 v[7:8], v[7:8], off offset:3584
	v_mov_b32_e32 v48, 0
	global_load_dword v47, v48, s[14:15]
	v_mov_b32_e32 v49, 0
	s_waitcnt vmcnt(1)
	v_cmp_ne_u16_sdwa s[0:1], v7, v2 src0_sel:BYTE_0 src1_sel:DWORD
	s_and_saveexec_b64 s[12:13], s[0:1]
	s_cbranch_execz .LBB253_770
; %bb.765:                              ;   in Loop: Header=BB253_414 Depth=1
	v_cmp_ne_u16_sdwa s[0:1], v7, s24 src0_sel:BYTE_0 src1_sel:DWORD
	v_mov_b32_e32 v49, 0x8000
	s_and_saveexec_b64 s[16:17], s[0:1]
	s_cbranch_execz .LBB253_769
; %bb.766:                              ;   in Loop: Header=BB253_414 Depth=1
	v_and_b32_e32 v1, 0x7f, v7
	v_cmp_ne_u32_e64 s[0:1], s25, v1
	v_mov_b32_e32 v49, 0x7c01
	s_and_saveexec_b64 s[18:19], s[0:1]
	s_cbranch_execz .LBB253_768
; %bb.767:                              ;   in Loop: Header=BB253_414 Depth=1
	v_and_b32_e32 v51, 7, v7
	v_ffbh_u32_e32 v49, v51
	v_min_u32_e32 v53, 32, v49
	v_subrev_u32_e32 v49, 28, v53
	v_lshlrev_b64 v[49:50], v49, v[7:8]
	v_lshrrev_b32_e32 v52, 3, v1
	v_sub_u32_e32 v50, 29, v53
	v_cmp_gt_u32_e64 s[0:1], 8, v1
	v_cndmask_b32_e64 v1, v52, v50, s[0:1]
	v_lshl_add_u32 v1, v1, 10, v25
	v_lshlrev_b32_e32 v50, 8, v7
	v_and_b32_e32 v49, 7, v49
	v_and_b32_e32 v1, 0xfc00, v1
	v_cndmask_b32_e64 v49, v51, v49, s[0:1]
	v_and_or_b32 v1, v50, s26, v1
	v_lshl_or_b32 v49, v49, 7, v1
.LBB253_768:                            ;   in Loop: Header=BB253_414 Depth=1
	s_or_b64 exec, exec, s[18:19]
.LBB253_769:                            ;   in Loop: Header=BB253_414 Depth=1
	s_or_b64 exec, exec, s[16:17]
.LBB253_770:                            ;   in Loop: Header=BB253_414 Depth=1
	s_or_b64 exec, exec, s[12:13]
	v_lshrrev_b16_e32 v1, 8, v7
	v_cmp_ne_u16_e64 s[0:1], 0, v1
	s_and_saveexec_b64 s[12:13], s[0:1]
	s_cbranch_execz .LBB253_776
; %bb.771:                              ;   in Loop: Header=BB253_414 Depth=1
	v_cmp_ne_u16_e64 s[0:1], s24, v1
	v_bfrev_b32_e32 v48, 1
	s_and_saveexec_b64 s[16:17], s[0:1]
	s_cbranch_execz .LBB253_775
; %bb.772:                              ;   in Loop: Header=BB253_414 Depth=1
	v_and_b32_e32 v50, 0x7f, v1
	v_cmp_ne_u32_e64 s[0:1], s25, v50
	v_mov_b32_e32 v48, 0x7c010000
	s_and_saveexec_b64 s[18:19], s[0:1]
	s_cbranch_execz .LBB253_774
; %bb.773:                              ;   in Loop: Header=BB253_414 Depth=1
	v_and_b32_e32 v48, 7, v1
	v_ffbh_u32_e32 v51, v48
	v_min_u32_e32 v54, 32, v51
	v_subrev_u32_e32 v51, 28, v54
	v_lshlrev_b64 v[51:52], v51, v[1:2]
	v_lshrrev_b32_e32 v53, 3, v50
	v_sub_u32_e32 v52, 29, v54
	v_cmp_gt_u32_e64 s[0:1], 8, v50
	v_cndmask_b32_e64 v50, v53, v52, s[0:1]
	v_lshlrev_b32_e32 v1, 8, v1
	v_lshl_add_u32 v50, v50, 10, v25
	v_and_b32_e32 v51, 7, v51
	v_and_or_b32 v1, v1, s26, v50
	v_cndmask_b32_e64 v48, v48, v51, s[0:1]
	v_lshlrev_b32_e32 v1, 16, v1
	v_lshl_or_b32 v48, v48, 23, v1
.LBB253_774:                            ;   in Loop: Header=BB253_414 Depth=1
	s_or_b64 exec, exec, s[18:19]
.LBB253_775:                            ;   in Loop: Header=BB253_414 Depth=1
	s_or_b64 exec, exec, s[16:17]
.LBB253_776:                            ;   in Loop: Header=BB253_414 Depth=1
	s_or_b64 exec, exec, s[12:13]
	v_lshrrev_b32_e32 v1, 16, v7
	v_cmp_ne_u16_sdwa s[0:1], v1, v2 src0_sel:BYTE_0 src1_sel:DWORD
	v_mov_b32_e32 v50, 0
	v_mov_b32_e32 v51, 0
	s_and_saveexec_b64 s[12:13], s[0:1]
	s_cbranch_execz .LBB253_782
; %bb.777:                              ;   in Loop: Header=BB253_414 Depth=1
	v_cmp_ne_u16_sdwa s[0:1], v1, s24 src0_sel:BYTE_0 src1_sel:DWORD
	v_mov_b32_e32 v51, 0x8000
	s_and_saveexec_b64 s[16:17], s[0:1]
	s_cbranch_execz .LBB253_781
; %bb.778:                              ;   in Loop: Header=BB253_414 Depth=1
	v_bfe_u32 v52, v7, 16, 7
	v_cmp_ne_u32_e64 s[0:1], s25, v52
	v_mov_b32_e32 v51, 0x7c01
	s_and_saveexec_b64 s[18:19], s[0:1]
	s_cbranch_execz .LBB253_780
; %bb.779:                              ;   in Loop: Header=BB253_414 Depth=1
	v_and_b32_e32 v51, 7, v1
	v_ffbh_u32_e32 v53, v51
	v_min_u32_e32 v56, 32, v53
	v_subrev_u32_e32 v53, 28, v56
	v_lshlrev_b64 v[53:54], v53, v[1:2]
	v_lshrrev_b32_e32 v55, 3, v52
	v_sub_u32_e32 v54, 29, v56
	v_cmp_gt_u32_e64 s[0:1], 8, v52
	v_cndmask_b32_e64 v52, v55, v54, s[0:1]
	v_lshl_add_u32 v52, v52, 10, v25
	v_lshlrev_b32_e32 v1, 8, v1
	v_and_b32_e32 v53, 7, v53
	v_and_b32_e32 v52, 0xfc00, v52
	v_cndmask_b32_e64 v51, v51, v53, s[0:1]
	v_and_or_b32 v1, v1, s26, v52
	v_lshl_or_b32 v51, v51, 7, v1
.LBB253_780:                            ;   in Loop: Header=BB253_414 Depth=1
	s_or_b64 exec, exec, s[18:19]
.LBB253_781:                            ;   in Loop: Header=BB253_414 Depth=1
	s_or_b64 exec, exec, s[16:17]
.LBB253_782:                            ;   in Loop: Header=BB253_414 Depth=1
	s_or_b64 exec, exec, s[12:13]
	v_cmp_lt_u32_e64 s[0:1], s5, v7
	s_and_saveexec_b64 s[12:13], s[0:1]
	s_cbranch_execz .LBB253_788
; %bb.783:                              ;   in Loop: Header=BB253_414 Depth=1
	v_lshrrev_b32_e32 v1, 24, v7
	v_cmp_ne_u32_e64 s[0:1], s24, v1
	v_bfrev_b32_e32 v50, 1
	s_and_saveexec_b64 s[16:17], s[0:1]
	s_cbranch_execz .LBB253_787
; %bb.784:                              ;   in Loop: Header=BB253_414 Depth=1
	v_and_b32_e32 v52, 0x7f, v1
	v_cmp_ne_u32_e64 s[0:1], s25, v52
	v_mov_b32_e32 v50, 0x7c010000
	s_and_saveexec_b64 s[18:19], s[0:1]
	s_cbranch_execz .LBB253_786
; %bb.785:                              ;   in Loop: Header=BB253_414 Depth=1
	v_and_b32_e32 v50, 7, v1
	v_ffbh_u32_e32 v53, v50
	v_min_u32_e32 v56, 32, v53
	v_subrev_u32_e32 v53, 28, v56
	v_lshlrev_b64 v[53:54], v53, v[1:2]
	v_lshrrev_b32_e32 v55, 3, v52
	v_sub_u32_e32 v54, 29, v56
	v_cmp_gt_u32_e64 s[0:1], 8, v52
	v_cndmask_b32_e64 v52, v55, v54, s[0:1]
	v_lshlrev_b32_e32 v1, 8, v1
	v_lshl_add_u32 v52, v52, 10, v25
	v_and_b32_e32 v53, 7, v53
	v_and_or_b32 v1, v1, s26, v52
	v_cndmask_b32_e64 v50, v50, v53, s[0:1]
	v_lshlrev_b32_e32 v1, 16, v1
	v_lshl_or_b32 v50, v50, 23, v1
.LBB253_786:                            ;   in Loop: Header=BB253_414 Depth=1
	s_or_b64 exec, exec, s[18:19]
.LBB253_787:                            ;   in Loop: Header=BB253_414 Depth=1
	s_or_b64 exec, exec, s[16:17]
.LBB253_788:                            ;   in Loop: Header=BB253_414 Depth=1
	s_or_b64 exec, exec, s[12:13]
	v_mov_b32_e32 v1, v8
	v_cmp_ne_u16_sdwa s[0:1], v8, v2 src0_sel:BYTE_0 src1_sel:DWORD
	v_mov_b32_e32 v52, 0
	v_mov_b32_e32 v53, 0
	s_and_saveexec_b64 s[12:13], s[0:1]
	s_cbranch_execz .LBB253_794
; %bb.789:                              ;   in Loop: Header=BB253_414 Depth=1
	v_cmp_ne_u16_sdwa s[0:1], v8, s24 src0_sel:BYTE_0 src1_sel:DWORD
	v_mov_b32_e32 v53, 0x8000
	s_and_saveexec_b64 s[16:17], s[0:1]
	s_cbranch_execz .LBB253_793
; %bb.790:                              ;   in Loop: Header=BB253_414 Depth=1
	v_and_b32_e32 v54, 0x7f, v8
	v_cmp_ne_u32_e64 s[0:1], s25, v54
	v_mov_b32_e32 v53, 0x7c01
	s_and_saveexec_b64 s[18:19], s[0:1]
	s_cbranch_execz .LBB253_792
; %bb.791:                              ;   in Loop: Header=BB253_414 Depth=1
	v_and_b32_e32 v53, 7, v8
	v_ffbh_u32_e32 v55, v53
	v_min_u32_e32 v58, 32, v55
	v_subrev_u32_e32 v55, 28, v58
	v_lshlrev_b64 v[55:56], v55, v[1:2]
	v_lshrrev_b32_e32 v57, 3, v54
	v_sub_u32_e32 v56, 29, v58
	v_cmp_gt_u32_e64 s[0:1], 8, v54
	v_cndmask_b32_e64 v54, v57, v56, s[0:1]
	v_lshl_add_u32 v54, v54, 10, v25
	v_lshlrev_b32_e32 v56, 8, v8
	v_and_b32_e32 v55, 7, v55
	v_and_b32_e32 v54, 0xfc00, v54
	v_cndmask_b32_e64 v53, v53, v55, s[0:1]
	v_and_or_b32 v54, v56, s26, v54
	v_lshl_or_b32 v53, v53, 7, v54
.LBB253_792:                            ;   in Loop: Header=BB253_414 Depth=1
	s_or_b64 exec, exec, s[18:19]
.LBB253_793:                            ;   in Loop: Header=BB253_414 Depth=1
	s_or_b64 exec, exec, s[16:17]
.LBB253_794:                            ;   in Loop: Header=BB253_414 Depth=1
	s_or_b64 exec, exec, s[12:13]
	v_lshrrev_b16_e32 v1, 8, v1
	v_cmp_ne_u16_e64 s[0:1], 0, v1
	v_mov_b32_e32 v54, 0
	s_and_saveexec_b64 s[12:13], s[0:1]
	s_cbranch_execz .LBB253_800
; %bb.795:                              ;   in Loop: Header=BB253_414 Depth=1
	v_cmp_ne_u16_e64 s[0:1], s24, v1
	v_bfrev_b32_e32 v54, 1
	s_and_saveexec_b64 s[16:17], s[0:1]
	s_cbranch_execz .LBB253_799
; %bb.796:                              ;   in Loop: Header=BB253_414 Depth=1
	v_and_b32_e32 v55, 0x7f, v1
	v_cmp_ne_u32_e64 s[0:1], s25, v55
	v_mov_b32_e32 v54, 0x7c010000
	s_and_saveexec_b64 s[18:19], s[0:1]
	s_cbranch_execz .LBB253_798
; %bb.797:                              ;   in Loop: Header=BB253_414 Depth=1
	v_and_b32_e32 v54, 7, v1
	v_ffbh_u32_e32 v56, v54
	v_min_u32_e32 v59, 32, v56
	v_subrev_u32_e32 v56, 28, v59
	v_lshlrev_b64 v[56:57], v56, v[1:2]
	v_lshrrev_b32_e32 v58, 3, v55
	v_sub_u32_e32 v57, 29, v59
	v_cmp_gt_u32_e64 s[0:1], 8, v55
	v_cndmask_b32_e64 v55, v58, v57, s[0:1]
	v_lshlrev_b32_e32 v1, 8, v1
	v_lshl_add_u32 v55, v55, 10, v25
	v_and_b32_e32 v56, 7, v56
	v_and_or_b32 v1, v1, s26, v55
	v_cndmask_b32_e64 v54, v54, v56, s[0:1]
	v_lshlrev_b32_e32 v1, 16, v1
	v_lshl_or_b32 v54, v54, 23, v1
.LBB253_798:                            ;   in Loop: Header=BB253_414 Depth=1
	s_or_b64 exec, exec, s[18:19]
.LBB253_799:                            ;   in Loop: Header=BB253_414 Depth=1
	s_or_b64 exec, exec, s[16:17]
.LBB253_800:                            ;   in Loop: Header=BB253_414 Depth=1
	s_or_b64 exec, exec, s[12:13]
	v_lshrrev_b32_e32 v1, 16, v8
	v_cmp_ne_u16_sdwa s[0:1], v1, v2 src0_sel:BYTE_0 src1_sel:DWORD
	s_and_saveexec_b64 s[12:13], s[0:1]
	s_cbranch_execz .LBB253_806
; %bb.801:                              ;   in Loop: Header=BB253_414 Depth=1
	v_cmp_ne_u16_sdwa s[0:1], v1, s24 src0_sel:BYTE_0 src1_sel:DWORD
	v_mov_b32_e32 v52, 0x8000
	s_and_saveexec_b64 s[16:17], s[0:1]
	s_cbranch_execz .LBB253_805
; %bb.802:                              ;   in Loop: Header=BB253_414 Depth=1
	v_bfe_u32 v55, v8, 16, 7
	v_cmp_ne_u32_e64 s[0:1], s25, v55
	v_mov_b32_e32 v52, 0x7c01
	s_and_saveexec_b64 s[18:19], s[0:1]
	s_cbranch_execz .LBB253_804
; %bb.803:                              ;   in Loop: Header=BB253_414 Depth=1
	v_and_b32_e32 v52, 7, v1
	v_ffbh_u32_e32 v56, v52
	v_min_u32_e32 v59, 32, v56
	v_subrev_u32_e32 v56, 28, v59
	v_lshlrev_b64 v[56:57], v56, v[1:2]
	v_lshrrev_b32_e32 v58, 3, v55
	v_sub_u32_e32 v57, 29, v59
	v_cmp_gt_u32_e64 s[0:1], 8, v55
	v_cndmask_b32_e64 v55, v58, v57, s[0:1]
	v_lshl_add_u32 v55, v55, 10, v25
	v_lshlrev_b32_e32 v1, 8, v1
	v_and_b32_e32 v56, 7, v56
	v_and_b32_e32 v55, 0xfc00, v55
	v_cndmask_b32_e64 v52, v52, v56, s[0:1]
	v_and_or_b32 v1, v1, s26, v55
	v_lshl_or_b32 v52, v52, 7, v1
.LBB253_804:                            ;   in Loop: Header=BB253_414 Depth=1
	s_or_b64 exec, exec, s[18:19]
.LBB253_805:                            ;   in Loop: Header=BB253_414 Depth=1
	s_or_b64 exec, exec, s[16:17]
.LBB253_806:                            ;   in Loop: Header=BB253_414 Depth=1
	s_or_b64 exec, exec, s[12:13]
	v_cmp_lt_u64_e64 s[0:1], s[4:5], v[7:8]
	v_mov_b32_e32 v55, 0
	s_and_saveexec_b64 s[12:13], s[0:1]
	s_cbranch_execz .LBB253_812
; %bb.807:                              ;   in Loop: Header=BB253_414 Depth=1
	v_lshrrev_b32_e32 v1, 24, v8
	v_cmp_ne_u32_e64 s[0:1], s24, v1
	v_bfrev_b32_e32 v55, 1
	s_and_saveexec_b64 s[16:17], s[0:1]
	s_cbranch_execz .LBB253_811
; %bb.808:                              ;   in Loop: Header=BB253_414 Depth=1
	v_and_b32_e32 v7, 0x7f, v1
	v_cmp_ne_u32_e64 s[0:1], s25, v7
	v_mov_b32_e32 v55, 0x7c010000
	s_and_saveexec_b64 s[18:19], s[0:1]
	s_cbranch_execz .LBB253_810
; %bb.809:                              ;   in Loop: Header=BB253_414 Depth=1
	v_and_b32_e32 v8, 7, v1
	v_ffbh_u32_e32 v55, v8
	v_min_u32_e32 v58, 32, v55
	v_subrev_u32_e32 v55, 28, v58
	v_lshlrev_b64 v[55:56], v55, v[1:2]
	v_lshrrev_b32_e32 v57, 3, v7
	v_sub_u32_e32 v56, 29, v58
	v_cmp_gt_u32_e64 s[0:1], 8, v7
	v_cndmask_b32_e64 v7, v57, v56, s[0:1]
	v_lshlrev_b32_e32 v1, 8, v1
	v_lshl_add_u32 v7, v7, 10, v25
	v_and_b32_e32 v55, 7, v55
	v_and_or_b32 v1, v1, s26, v7
	v_cndmask_b32_e64 v8, v8, v55, s[0:1]
	v_lshlrev_b32_e32 v1, 16, v1
	v_lshl_or_b32 v55, v8, 23, v1
.LBB253_810:                            ;   in Loop: Header=BB253_414 Depth=1
	s_or_b64 exec, exec, s[18:19]
.LBB253_811:                            ;   in Loop: Header=BB253_414 Depth=1
	s_or_b64 exec, exec, s[16:17]
.LBB253_812:                            ;   in Loop: Header=BB253_414 Depth=1
	s_or_b64 exec, exec, s[12:13]
	s_waitcnt vmcnt(0)
	v_fma_mixlo_f16 v7, v47, v50, 0 op_sel:[0,1,0] op_sel_hi:[0,1,0]
	v_fma_mixlo_f16 v8, v47, v48, 0 op_sel:[0,1,0] op_sel_hi:[0,1,0]
	v_or_b32_e32 v1, v50, v51
	v_lshlrev_b32_e32 v50, 16, v7
	v_or_b32_e32 v7, v48, v49
	v_lshlrev_b32_e32 v56, 16, v8
	v_or_b32_e32 v8, v54, v53
	v_or_b32_e32 v49, v55, v52
	v_fma_mixlo_f16 v1, v47, v1, 0 op_sel_hi:[0,1,0]
	v_fma_mixlo_f16 v7, v47, v7, 0 op_sel_hi:[0,1,0]
	v_fma_mixlo_f16 v48, v47, v54, 0 op_sel:[0,1,0] op_sel_hi:[0,1,0]
	v_fma_mixlo_f16 v8, v47, v8, 0 op_sel_hi:[0,1,0]
	v_fma_mixlo_f16 v52, v47, v49, 0 op_sel_hi:[0,1,0]
	v_fma_mixlo_f16 v47, v47, v55, 0 op_sel:[0,1,0] op_sel_hi:[0,1,0]
	v_and_b32_e32 v51, 0xffff, v1
	v_and_b32_e32 v57, 0xffff, v7
	v_lshlrev_b32_e32 v48, 16, v48
	v_and_b32_e32 v53, 0xffff, v8
	v_lshlrev_b32_e32 v49, 16, v47
	v_and_b32_e32 v52, 0xffff, v52
	v_or_b32_e32 v1, v50, v51
	v_or_b32_e32 v7, v56, v57
	;; [unrolled: 1-line block ×4, first 2 shown]
	s_and_saveexec_b64 s[0:1], vcc
	s_cbranch_execz .LBB253_413
; %bb.813:                              ;   in Loop: Header=BB253_414 Depth=1
	v_cmp_gt_i32_e32 vcc, s30, v26
	v_cndmask_b32_e32 v1, 0, v57, vcc
	v_cmp_gt_i32_e32 vcc, s30, v32
	v_cndmask_b32_e32 v7, 0, v56, vcc
	v_cmp_gt_i32_e32 vcc, s30, v31
	v_or_b32_e32 v7, v7, v1
	v_cndmask_b32_e32 v1, 0, v51, vcc
	v_cmp_gt_i32_e32 vcc, s30, v30
	v_cndmask_b32_e32 v8, 0, v50, vcc
	v_cmp_gt_i32_e32 vcc, s30, v29
	v_or_b32_e32 v1, v8, v1
	;; [unrolled: 5-line block ×3, first 2 shown]
	v_cndmask_b32_e32 v26, 0, v52, vcc
	v_cmp_gt_i32_e32 vcc, s30, v23
	v_cndmask_b32_e32 v27, 0, v49, vcc
	v_or_b32_e32 v47, v27, v26
	s_branch .LBB253_413
.LBB253_814:
	s_or_b64 exec, exec, s[6:7]
.LBB253_815:
	s_or_b64 exec, exec, s[2:3]
	s_waitcnt vmcnt(0)
	s_barrier
	buffer_load_dword v10, off, s[48:51], 0 offset:112 ; 4-byte Folded Reload
	ds_bpermute_b32 v0, v13, v20
	ds_bpermute_b32 v1, v13, v22
	;; [unrolled: 1-line block ×5, first 2 shown]
	s_waitcnt lgkmcnt(4)
	v_add_f32_e32 v5, v20, v0
	ds_bpermute_b32 v0, v13, v19
	s_waitcnt lgkmcnt(4)
	v_add_f32_e32 v3, v22, v1
	s_waitcnt lgkmcnt(3)
	v_add_f32_e32 v1, v21, v2
	ds_bpermute_b32 v2, v13, v18
	ds_bpermute_b32 v8, v13, v16
	s_waitcnt lgkmcnt(2)
	v_add_f32_e32 v7, v19, v0
	v_add_f32_e32 v0, v15, v9
	;; [unrolled: 1-line block ×3, first 2 shown]
	s_waitcnt lgkmcnt(1)
	v_add_f32_e32 v6, v18, v2
	s_waitcnt lgkmcnt(0)
	v_add_f32_e32 v2, v16, v8
	s_waitcnt vmcnt(0)
	v_and_b32_e32 v9, 0x3c1, v10
	v_cmp_eq_u32_e32 vcc, 64, v9
	s_and_saveexec_b64 s[0:1], vcc
	s_cbranch_execz .LBB253_817
; %bb.816:
	v_mov_b32_e32 v8, 0x210
	v_lshl_add_u32 v8, v12, 1, v8
	ds_write2_b32 v8, v5, v3 offset1:32
	ds_write2_b32 v8, v1, v7 offset0:64 offset1:96
	ds_write2_b32 v8, v6, v4 offset0:128 offset1:160
	ds_write2_b32 v8, v2, v0 offset0:192 offset1:224
.LBB253_817:
	s_or_b64 exec, exec, s[0:1]
	v_cmp_gt_u32_e32 vcc, 64, v10
	v_lshrrev_b32_e32 v8, 1, v10
	s_waitcnt lgkmcnt(0)
	s_barrier
	s_and_saveexec_b64 s[0:1], vcc
	s_cbranch_execz .LBB253_828
; %bb.818:
	v_mov_b32_e32 v10, 0x210
	v_cmp_eq_u32_e32 vcc, 0, v14
	v_lshl_add_u32 v10, v8, 2, v10
	s_and_saveexec_b64 s[2:3], vcc
	s_cbranch_execnz .LBB253_831
; %bb.819:
	s_or_b64 exec, exec, s[2:3]
	s_and_saveexec_b64 s[2:3], vcc
	s_cbranch_execnz .LBB253_832
.LBB253_820:
	s_or_b64 exec, exec, s[2:3]
	s_and_saveexec_b64 s[2:3], vcc
	s_cbranch_execnz .LBB253_833
.LBB253_821:
	s_or_b64 exec, exec, s[2:3]
	s_and_saveexec_b64 s[2:3], vcc
	s_cbranch_execnz .LBB253_834
.LBB253_822:
	s_or_b64 exec, exec, s[2:3]
	s_and_saveexec_b64 s[2:3], vcc
	s_cbranch_execnz .LBB253_835
.LBB253_823:
	s_or_b64 exec, exec, s[2:3]
	s_and_saveexec_b64 s[2:3], vcc
	s_cbranch_execnz .LBB253_836
.LBB253_824:
	s_or_b64 exec, exec, s[2:3]
	s_and_saveexec_b64 s[2:3], vcc
	s_cbranch_execnz .LBB253_837
.LBB253_825:
	s_or_b64 exec, exec, s[2:3]
	s_and_saveexec_b64 s[2:3], vcc
	s_cbranch_execz .LBB253_827
.LBB253_826:
	ds_read_b32 v10, v10 offset:896
	s_waitcnt lgkmcnt(0)
	v_add_f32_e32 v0, v0, v10
.LBB253_827:
	s_or_b64 exec, exec, s[2:3]
.LBB253_828:
	s_or_b64 exec, exec, s[0:1]
	v_cmp_eq_u32_e32 vcc, 0, v9
	s_barrier
	s_and_saveexec_b64 s[0:1], vcc
	s_cbranch_execz .LBB253_830
; %bb.829:
	s_mul_i32 s0, s10, s11
	s_mul_i32 s0, s0, s9
	s_lshl_b32 s0, s0, 8
	s_ashr_i32 s1, s0, 31
	s_lshl_b64 s[0:1], s[0:1], 1
	s_add_u32 s2, s22, s0
	s_mul_i32 s0, s11, s20
	s_addc_u32 s3, s23, s1
	s_ashr_i32 s1, s0, 31
	s_lshl_b64 s[0:1], s[0:1], 1
	s_add_u32 s2, s2, s0
	s_addc_u32 s3, s3, s1
	s_lshl_b32 s0, s8, 8
	s_ashr_i32 s1, s0, 31
	s_lshl_b64 s[0:1], s[0:1], 1
	s_add_u32 s0, s2, s0
	s_addc_u32 s1, s3, s1
	v_lshlrev_b32_e32 v8, 1, v8
	;;#ASMSTART
	v_cvt_f16_f32 v5, v5;

	;;#ASMEND
	global_store_short v8, v5, s[0:1]
	;;#ASMSTART
	v_cvt_f16_f32 v3, v3;

	;;#ASMEND
	global_store_short v8, v3, s[0:1] offset:64
	;;#ASMSTART
	v_cvt_f16_f32 v1, v1;

	;;#ASMEND
	global_store_short v8, v1, s[0:1] offset:128
	;; [unrolled: 5-line block ×7, first 2 shown]
.LBB253_830:
	s_endpgm
.LBB253_831:
	ds_read_b32 v11, v10
	s_waitcnt lgkmcnt(0)
	v_add_f32_e32 v5, v5, v11
	s_or_b64 exec, exec, s[2:3]
	s_and_saveexec_b64 s[2:3], vcc
	s_cbranch_execz .LBB253_820
.LBB253_832:
	ds_read_b32 v11, v10 offset:128
	s_waitcnt lgkmcnt(0)
	v_add_f32_e32 v3, v3, v11
	s_or_b64 exec, exec, s[2:3]
	s_and_saveexec_b64 s[2:3], vcc
	s_cbranch_execz .LBB253_821
.LBB253_833:
	ds_read_b32 v11, v10 offset:256
	s_waitcnt lgkmcnt(0)
	v_add_f32_e32 v1, v1, v11
	s_or_b64 exec, exec, s[2:3]
	s_and_saveexec_b64 s[2:3], vcc
	s_cbranch_execz .LBB253_822
.LBB253_834:
	ds_read_b32 v11, v10 offset:384
	s_waitcnt lgkmcnt(0)
	v_add_f32_e32 v7, v7, v11
	s_or_b64 exec, exec, s[2:3]
	s_and_saveexec_b64 s[2:3], vcc
	s_cbranch_execz .LBB253_823
.LBB253_835:
	ds_read_b32 v11, v10 offset:512
	s_waitcnt lgkmcnt(0)
	v_add_f32_e32 v6, v6, v11
	s_or_b64 exec, exec, s[2:3]
	s_and_saveexec_b64 s[2:3], vcc
	s_cbranch_execz .LBB253_824
.LBB253_836:
	ds_read_b32 v11, v10 offset:640
	s_waitcnt lgkmcnt(0)
	v_add_f32_e32 v4, v4, v11
	s_or_b64 exec, exec, s[2:3]
	s_and_saveexec_b64 s[2:3], vcc
	s_cbranch_execz .LBB253_825
.LBB253_837:
	ds_read_b32 v11, v10 offset:768
	s_waitcnt lgkmcnt(0)
	v_add_f32_e32 v2, v2, v11
	s_or_b64 exec, exec, s[2:3]
	s_and_saveexec_b64 s[2:3], vcc
	s_cbranch_execnz .LBB253_826
	s_branch .LBB253_827
	.section	.rodata,"a",@progbits
	.p2align	6, 0x0
	.amdhsa_kernel _ZN4vllm25paged_attention_v1_kernelIthLi256ELi16ELi128ELNS_18Fp8KVCacheDataTypeE1ELb0EEEvPT_PKS2_PKT0_S8_ifPKiSA_iPKfiiiSC_SC_iiiii
		.amdhsa_group_segment_fixed_size 528
		.amdhsa_private_segment_fixed_size 124
		.amdhsa_kernarg_size 384
		.amdhsa_user_sgpr_count 6
		.amdhsa_user_sgpr_private_segment_buffer 1
		.amdhsa_user_sgpr_dispatch_ptr 0
		.amdhsa_user_sgpr_queue_ptr 0
		.amdhsa_user_sgpr_kernarg_segment_ptr 1
		.amdhsa_user_sgpr_dispatch_id 0
		.amdhsa_user_sgpr_flat_scratch_init 0
		.amdhsa_user_sgpr_private_segment_size 0
		.amdhsa_uses_dynamic_stack 0
		.amdhsa_system_sgpr_private_segment_wavefront_offset 1
		.amdhsa_system_sgpr_workgroup_id_x 1
		.amdhsa_system_sgpr_workgroup_id_y 1
		.amdhsa_system_sgpr_workgroup_id_z 1
		.amdhsa_system_sgpr_workgroup_info 0
		.amdhsa_system_vgpr_workitem_id 0
		.amdhsa_next_free_vgpr 64
		.amdhsa_next_free_sgpr 52
		.amdhsa_reserve_vcc 1
		.amdhsa_reserve_flat_scratch 0
		.amdhsa_float_round_mode_32 0
		.amdhsa_float_round_mode_16_64 0
		.amdhsa_float_denorm_mode_32 3
		.amdhsa_float_denorm_mode_16_64 3
		.amdhsa_dx10_clamp 1
		.amdhsa_ieee_mode 1
		.amdhsa_fp16_overflow 0
		.amdhsa_exception_fp_ieee_invalid_op 0
		.amdhsa_exception_fp_denorm_src 0
		.amdhsa_exception_fp_ieee_div_zero 0
		.amdhsa_exception_fp_ieee_overflow 0
		.amdhsa_exception_fp_ieee_underflow 0
		.amdhsa_exception_fp_ieee_inexact 0
		.amdhsa_exception_int_div_zero 0
	.end_amdhsa_kernel
	.section	.text._ZN4vllm25paged_attention_v1_kernelIthLi256ELi16ELi128ELNS_18Fp8KVCacheDataTypeE1ELb0EEEvPT_PKS2_PKT0_S8_ifPKiSA_iPKfiiiSC_SC_iiiii,"axG",@progbits,_ZN4vllm25paged_attention_v1_kernelIthLi256ELi16ELi128ELNS_18Fp8KVCacheDataTypeE1ELb0EEEvPT_PKS2_PKT0_S8_ifPKiSA_iPKfiiiSC_SC_iiiii,comdat
.Lfunc_end253:
	.size	_ZN4vllm25paged_attention_v1_kernelIthLi256ELi16ELi128ELNS_18Fp8KVCacheDataTypeE1ELb0EEEvPT_PKS2_PKT0_S8_ifPKiSA_iPKfiiiSC_SC_iiiii, .Lfunc_end253-_ZN4vllm25paged_attention_v1_kernelIthLi256ELi16ELi128ELNS_18Fp8KVCacheDataTypeE1ELb0EEEvPT_PKS2_PKT0_S8_ifPKiSA_iPKfiiiSC_SC_iiiii
                                        ; -- End function
	.set _ZN4vllm25paged_attention_v1_kernelIthLi256ELi16ELi128ELNS_18Fp8KVCacheDataTypeE1ELb0EEEvPT_PKS2_PKT0_S8_ifPKiSA_iPKfiiiSC_SC_iiiii.num_vgpr, 64
	.set _ZN4vllm25paged_attention_v1_kernelIthLi256ELi16ELi128ELNS_18Fp8KVCacheDataTypeE1ELb0EEEvPT_PKS2_PKT0_S8_ifPKiSA_iPKfiiiSC_SC_iiiii.num_agpr, 0
	.set _ZN4vllm25paged_attention_v1_kernelIthLi256ELi16ELi128ELNS_18Fp8KVCacheDataTypeE1ELb0EEEvPT_PKS2_PKT0_S8_ifPKiSA_iPKfiiiSC_SC_iiiii.numbered_sgpr, 52
	.set _ZN4vllm25paged_attention_v1_kernelIthLi256ELi16ELi128ELNS_18Fp8KVCacheDataTypeE1ELb0EEEvPT_PKS2_PKT0_S8_ifPKiSA_iPKfiiiSC_SC_iiiii.num_named_barrier, 0
	.set _ZN4vllm25paged_attention_v1_kernelIthLi256ELi16ELi128ELNS_18Fp8KVCacheDataTypeE1ELb0EEEvPT_PKS2_PKT0_S8_ifPKiSA_iPKfiiiSC_SC_iiiii.private_seg_size, 124
	.set _ZN4vllm25paged_attention_v1_kernelIthLi256ELi16ELi128ELNS_18Fp8KVCacheDataTypeE1ELb0EEEvPT_PKS2_PKT0_S8_ifPKiSA_iPKfiiiSC_SC_iiiii.uses_vcc, 1
	.set _ZN4vllm25paged_attention_v1_kernelIthLi256ELi16ELi128ELNS_18Fp8KVCacheDataTypeE1ELb0EEEvPT_PKS2_PKT0_S8_ifPKiSA_iPKfiiiSC_SC_iiiii.uses_flat_scratch, 0
	.set _ZN4vllm25paged_attention_v1_kernelIthLi256ELi16ELi128ELNS_18Fp8KVCacheDataTypeE1ELb0EEEvPT_PKS2_PKT0_S8_ifPKiSA_iPKfiiiSC_SC_iiiii.has_dyn_sized_stack, 0
	.set _ZN4vllm25paged_attention_v1_kernelIthLi256ELi16ELi128ELNS_18Fp8KVCacheDataTypeE1ELb0EEEvPT_PKS2_PKT0_S8_ifPKiSA_iPKfiiiSC_SC_iiiii.has_recursion, 0
	.set _ZN4vllm25paged_attention_v1_kernelIthLi256ELi16ELi128ELNS_18Fp8KVCacheDataTypeE1ELb0EEEvPT_PKS2_PKT0_S8_ifPKiSA_iPKfiiiSC_SC_iiiii.has_indirect_call, 0
	.section	.AMDGPU.csdata,"",@progbits
; Kernel info:
; codeLenInByte = 35132
; TotalNumSgprs: 56
; NumVgprs: 64
; ScratchSize: 124
; MemoryBound: 0
; FloatMode: 240
; IeeeMode: 1
; LDSByteSize: 528 bytes/workgroup (compile time only)
; SGPRBlocks: 6
; VGPRBlocks: 15
; NumSGPRsForWavesPerEU: 56
; NumVGPRsForWavesPerEU: 64
; Occupancy: 4
; WaveLimiterHint : 1
; COMPUTE_PGM_RSRC2:SCRATCH_EN: 1
; COMPUTE_PGM_RSRC2:USER_SGPR: 6
; COMPUTE_PGM_RSRC2:TRAP_HANDLER: 0
; COMPUTE_PGM_RSRC2:TGID_X_EN: 1
; COMPUTE_PGM_RSRC2:TGID_Y_EN: 1
; COMPUTE_PGM_RSRC2:TGID_Z_EN: 1
; COMPUTE_PGM_RSRC2:TIDIG_COMP_CNT: 0
	.section	.text._ZN4vllm25paged_attention_v1_kernelIthLi32ELi32ELi128ELNS_18Fp8KVCacheDataTypeE1ELb1EEEvPT_PKS2_PKT0_S8_ifPKiSA_iPKfiiiSC_SC_iiiii,"axG",@progbits,_ZN4vllm25paged_attention_v1_kernelIthLi32ELi32ELi128ELNS_18Fp8KVCacheDataTypeE1ELb1EEEvPT_PKS2_PKT0_S8_ifPKiSA_iPKfiiiSC_SC_iiiii,comdat
	.protected	_ZN4vllm25paged_attention_v1_kernelIthLi32ELi32ELi128ELNS_18Fp8KVCacheDataTypeE1ELb1EEEvPT_PKS2_PKT0_S8_ifPKiSA_iPKfiiiSC_SC_iiiii ; -- Begin function _ZN4vllm25paged_attention_v1_kernelIthLi32ELi32ELi128ELNS_18Fp8KVCacheDataTypeE1ELb1EEEvPT_PKS2_PKT0_S8_ifPKiSA_iPKfiiiSC_SC_iiiii
	.globl	_ZN4vllm25paged_attention_v1_kernelIthLi32ELi32ELi128ELNS_18Fp8KVCacheDataTypeE1ELb1EEEvPT_PKS2_PKT0_S8_ifPKiSA_iPKfiiiSC_SC_iiiii
	.p2align	8
	.type	_ZN4vllm25paged_attention_v1_kernelIthLi32ELi32ELi128ELNS_18Fp8KVCacheDataTypeE1ELb1EEEvPT_PKS2_PKT0_S8_ifPKiSA_iPKfiiiSC_SC_iiiii,@function
_ZN4vllm25paged_attention_v1_kernelIthLi32ELi32ELi128ELNS_18Fp8KVCacheDataTypeE1ELb1EEEvPT_PKS2_PKT0_S8_ifPKiSA_iPKfiiiSC_SC_iiiii: ; @_ZN4vllm25paged_attention_v1_kernelIthLi32ELi32ELi128ELNS_18Fp8KVCacheDataTypeE1ELb1EEEvPT_PKS2_PKT0_S8_ifPKiSA_iPKfiiiSC_SC_iiiii
; %bb.0:
	s_load_dword s9, s[4:5], 0x80
	s_load_dwordx2 s[0:1], s[4:5], 0x30
	s_load_dwordx2 s[36:37], s[4:5], 0x20
	s_mov_b32 s10, s7
	s_ashr_i32 s11, s7, 31
	s_lshl_b64 s[2:3], s[10:11], 2
	s_waitcnt lgkmcnt(0)
	s_add_u32 s0, s0, s2
	s_addc_u32 s1, s1, s3
	s_abs_i32 s2, s36
	v_cvt_f32_u32_e32 v1, s2
	s_sub_i32 s11, 0, s2
	s_abs_i32 s7, s9
	s_xor_b32 s3, s9, s36
	v_rcp_iflag_f32_e32 v1, v1
	s_ashr_i32 s3, s3, 31
	s_mov_b32 s48, 0
	v_mul_f32_e32 v1, 0x4f7ffffe, v1
	v_cvt_u32_f32_e32 v1, v1
	v_readfirstlane_b32 s12, v1
	s_mul_i32 s11, s11, s12
	s_mul_hi_u32 s11, s12, s11
	s_add_i32 s12, s12, s11
	s_mul_hi_u32 s11, s7, s12
	s_mul_i32 s12, s11, s2
	s_sub_i32 s7, s7, s12
	s_add_i32 s12, s11, 1
	s_sub_i32 s13, s7, s2
	s_cmp_ge_u32 s7, s2
	s_cselect_b32 s11, s12, s11
	s_cselect_b32 s7, s13, s7
	s_add_i32 s12, s11, 1
	s_cmp_ge_u32 s7, s2
	s_cselect_b32 s2, s12, s11
	s_xor_b32 s2, s2, s3
	s_sub_i32 s15, s2, s3
	s_abs_i32 s12, s15
	v_cvt_f32_u32_e32 v1, s12
	s_load_dwordx2 s[2:3], s[4:5], 0x40
	s_sub_i32 s7, 0, s12
	s_abs_i32 s13, s6
	v_rcp_iflag_f32_e32 v1, v1
	v_mul_f32_e32 v1, 0x4f7ffffe, v1
	v_cvt_u32_f32_e32 v1, v1
	v_readfirstlane_b32 s11, v1
	s_mul_i32 s7, s7, s11
	s_mul_hi_u32 s7, s11, s7
	s_add_i32 s11, s11, s7
	s_waitcnt lgkmcnt(0)
	s_cmp_eq_u64 s[2:3], 0
	s_mul_hi_u32 s14, s13, s11
	s_cbranch_scc1 .LBB254_2
; %bb.1:
	s_ashr_i32 s7, s6, 31
	s_lshl_b64 s[16:17], s[6:7], 2
	s_add_u32 s2, s2, s16
	s_addc_u32 s3, s3, s17
	s_load_dword s48, s[2:3], 0x0
.LBB254_2:
	s_load_dword s11, s[0:1], 0x0
	s_load_dwordx4 s[16:19], s[4:5], 0x48
	s_ashr_i32 s2, s6, 31
	s_ashr_i32 s7, s15, 31
	v_and_b32_e32 v1, 1, v0
	s_lshl_b32 s24, s6, 5
	v_cmp_gt_u32_e32 vcc, 8, v0
	v_lshlrev_b32_e32 v10, 3, v0
	s_and_saveexec_b64 s[0:1], vcc
	s_cbranch_execz .LBB254_4
; %bb.3:
	s_load_dwordx2 s[20:21], s[4:5], 0x8
	s_waitcnt lgkmcnt(0)
	s_mul_i32 s22, s16, s10
	s_ashr_i32 s23, s22, 31
	s_lshl_b64 s[22:23], s[22:23], 1
	v_lshlrev_b32_e32 v4, 2, v0
	s_add_u32 s3, s20, s22
	s_addc_u32 s15, s21, s23
	s_ashr_i32 s25, s24, 31
	s_lshl_b64 s[20:21], s[24:25], 1
	s_add_u32 s20, s3, s20
	s_addc_u32 s21, s15, s21
	global_load_dwordx2 v[2:3], v10, s[20:21]
	v_and_b32_e32 v4, 0xff8, v4
	v_lshl_add_u32 v4, v1, 5, v4
	s_waitcnt vmcnt(0)
	ds_write_b64 v4, v[2:3]
.LBB254_4:
	s_or_b64 exec, exec, s[0:1]
	s_mul_i32 s1, s14, s12
	s_sub_i32 s1, s13, s1
	s_xor_b32 s0, s2, s7
	s_add_i32 s2, s14, 1
	s_sub_i32 s7, s1, s12
	s_load_dwordx4 s[20:23], s[4:5], 0x68
	s_load_dword s3, s[4:5], 0x78
	s_cmp_ge_u32 s1, s12
	s_cselect_b32 s2, s2, s14
	s_cselect_b32 s1, s7, s1
	s_add_i32 s7, s2, 1
	s_cmp_ge_u32 s1, s12
	s_cselect_b32 s1, s7, s2
	s_waitcnt lgkmcnt(0)
	s_abs_i32 s25, s23
	v_cvt_f32_u32_e32 v2, s25
	s_xor_b32 s1, s1, s0
	s_sub_i32 s2, s1, s0
	s_sub_i32 s0, 0, s25
	v_rcp_iflag_f32_e32 v2, v2
	s_add_i32 s12, s11, -1
	s_abs_i32 s7, s12
	v_mul_f32_e32 v2, 0x4f7ffffe, v2
	v_cvt_u32_f32_e32 v2, v2
	s_barrier
	v_readfirstlane_b32 s33, v2
	s_mul_i32 s0, s0, s33
	s_mul_hi_u32 s0, s33, s0
	s_add_i32 s33, s33, s0
	s_cmp_lt_i32 s3, 0
	s_mul_hi_u32 s16, s7, s33
	s_cbranch_scc0 .LBB254_6
; %bb.5:
	s_mul_i32 s0, s20, s36
	s_add_i32 s0, s2, s0
	s_mul_i32 s0, s0, s3
	s_sub_i32 s36, 1, s0
	s_mov_b64 s[0:1], 0
	s_branch .LBB254_7
.LBB254_6:
	s_mov_b64 s[0:1], -1
                                        ; implicit-def: $sgpr36
.LBB254_7:
	s_load_dwordx2 s[28:29], s[4:5], 0x28
	s_ashr_i32 s19, s12, 31
	s_andn2_b64 vcc, exec, s[0:1]
	s_ashr_i32 s46, s23, 31
	s_cbranch_vccnz .LBB254_9
; %bb.8:
	s_mul_i32 s0, s9, s20
	s_add_i32 s0, s0, s6
	s_mul_i32 s0, s0, s3
	s_add_i32 s36, s0, 1
.LBB254_9:
	s_load_dword s0, s[4:5], 0x38
	s_load_dwordx2 s[26:27], s[4:5], 0x0
	s_load_dwordx2 s[34:35], s[4:5], 0x18
	s_load_dword s23, s[4:5], 0x88
	s_load_dwordx4 s[12:15], s[4:5], 0x58
	s_mul_i32 s1, s16, s25
	s_waitcnt lgkmcnt(0)
	s_mul_i32 s30, s0, s10
	s_sub_i32 s1, s7, s1
	s_ashr_i32 s31, s30, 31
	s_xor_b32 s0, s19, s46
	s_add_i32 s3, s16, 1
	s_sub_i32 s6, s1, s25
	s_cmp_ge_u32 s1, s25
	s_cselect_b32 s3, s3, s16
	s_cselect_b32 s1, s6, s1
	s_add_i32 s6, s3, 1
	s_cmp_ge_u32 s1, s25
	s_cselect_b32 s1, s6, s3
	s_xor_b32 s1, s1, s0
	s_sub_i32 s16, s1, s0
	s_add_i32 s0, s11, 31
	s_ashr_i32 s1, s0, 31
	s_lshr_b32 s1, s1, 27
	s_add_i32 s0, s0, s1
	s_ashr_i32 s47, s0, 5
	v_lshrrev_b32_e32 v11, 6, v0
	v_cmp_gt_i32_e64 s[0:1], s47, v11
	v_mov_b32_e32 v18, 0xff7fffff
	s_mul_i32 s20, s2, s18
	v_lshrrev_b32_e32 v13, 4, v0
	v_lshlrev_b32_e32 v12, 5, v11
	v_mbcnt_lo_u32_b32 v14, -1, 0
	s_and_saveexec_b64 s[18:19], s[0:1]
	s_cbranch_execz .LBB254_117
; %bb.10:
	s_load_dwordx2 s[2:3], s[4:5], 0x10
	s_sub_i32 s49, s16, s21
	s_ashr_i32 s4, s20, 31
	v_cmp_eq_u32_e32 vcc, 0, v1
	v_lshlrev_b32_e32 v4, 2, v1
	s_waitcnt lgkmcnt(0)
	s_add_u32 s5, s2, s20
	s_addc_u32 s4, s3, s4
	s_abs_i32 s50, s22
	v_cvt_f32_u32_e32 v2, s50
	s_sub_i32 s2, 0, s50
	v_lshlrev_b32_e32 v16, 5, v1
	v_bfe_u32 v15, v0, 1, 5
	v_rcp_iflag_f32_e32 v3, v2
	v_lshlrev_b32_e32 v5, 4, v15
	v_mov_b32_e32 v6, s4
	v_add_co_u32_e64 v5, s[4:5], s5, v5
	v_mul_f32_e32 v3, 0x4f7ffffe, v3
	v_cvt_u32_f32_e32 v3, v3
	v_addc_co_u32_e64 v6, s[4:5], 0, v6, s[4:5]
	s_mov_b32 s51, s17
	v_mul_lo_u32 v1, s2, v3
	v_mov_b32_e32 v2, 0
	v_cmp_neq_f32_e64 s[2:3], s48, 0
	v_lshlrev_b32_e32 v19, 5, v11
	v_mul_hi_u32 v1, v3, v1
	v_mov_b32_e32 v22, 0xff7fffff
	s_mov_b64 s[38:39], 0
	s_movk_i32 s52, 0x80
	v_add_u32_e32 v17, v3, v1
	v_add_co_u32_e64 v3, s[4:5], v5, v4
	v_addc_co_u32_e64 v4, s[4:5], 0, v6, s[4:5]
	s_lshl_b64 s[4:5], s[30:31], 2
	s_add_u32 s4, s28, s4
	v_and_b32_e32 v1, 60, v13
	s_addc_u32 s5, s29, s5
	v_mov_b32_e32 v6, s5
	v_add_co_u32_e64 v5, s[4:5], s4, v1
	v_subrev_u32_e32 v1, s11, v15
	v_add_u32_e32 v20, 1, v1
	v_lshlrev_b32_e32 v1, 2, v15
	v_lshl_or_b32 v1, v11, 7, v1
	v_addc_co_u32_e64 v6, s[4:5], 0, v6, s[4:5]
	v_add_u32_e32 v21, 0x50, v1
	s_movk_i32 s53, 0x7f
	s_mov_b32 s54, 0x8000
	s_mov_b32 s55, 0xffffff
	v_mov_b32_e32 v23, 0x2000
	v_mbcnt_hi_u32_b32 v24, -1, v14
	v_mov_b32_e32 v18, 0xff7fffff
	v_mov_b32_e32 v25, v11
	s_branch .LBB254_13
.LBB254_11:                             ;   in Loop: Header=BB254_13 Depth=1
	s_or_b64 exec, exec, s[40:41]
.LBB254_12:                             ;   in Loop: Header=BB254_13 Depth=1
	s_or_b64 exec, exec, s[6:7]
	v_add_co_u32_e64 v5, s[4:5], 8, v5
	v_add_u32_e32 v25, 2, v25
	v_addc_co_u32_e64 v6, s[4:5], 0, v6, s[4:5]
	v_cmp_le_i32_e64 s[4:5], s47, v25
	v_add_u32_e32 v19, 64, v19
	s_or_b64 s[38:39], s[4:5], s[38:39]
	v_add_u32_e32 v21, 0x100, v21
	s_andn2_b64 exec, exec, s[38:39]
	s_cbranch_execz .LBB254_116
.LBB254_13:                             ; =>This Inner Loop Header: Depth=1
	v_mul_hi_u32 v1, v19, s33
	s_waitcnt lgkmcnt(0)
	v_mul_lo_u32 v7, v1, s25
	v_add_u32_e32 v8, 1, v1
	v_sub_u32_e32 v7, v19, v7
	v_cmp_le_u32_e64 s[4:5], s25, v7
	v_cndmask_b32_e64 v1, v1, v8, s[4:5]
	v_subrev_u32_e32 v8, s25, v7
	v_cndmask_b32_e64 v7, v7, v8, s[4:5]
	v_add_u32_e32 v8, 1, v1
	v_cmp_le_u32_e64 s[4:5], s25, v7
	v_cndmask_b32_e64 v1, v1, v8, s[4:5]
	v_xor_b32_e32 v1, s46, v1
	v_subrev_u32_e32 v1, s46, v1
	v_add_u32_e32 v7, s36, v1
	v_sub_u32_e32 v8, 0, v7
	v_max_i32_e32 v8, v7, v8
	v_mul_hi_u32 v9, v8, v17
	v_ashrrev_i32_e32 v7, 31, v7
	v_cmp_ge_i32_e64 s[6:7], s49, v1
	v_mul_lo_u32 v9, v9, s50
	v_sub_u32_e32 v8, v8, v9
	v_subrev_u32_e32 v9, s50, v8
	v_cmp_le_u32_e64 s[4:5], s50, v8
	v_cndmask_b32_e64 v8, v8, v9, s[4:5]
	v_subrev_u32_e32 v9, s50, v8
	v_cmp_le_u32_e64 s[4:5], s50, v8
	v_cndmask_b32_e64 v8, v8, v9, s[4:5]
	v_xor_b32_e32 v8, v8, v7
	v_sub_u32_e32 v7, v8, v7
	v_cmp_ne_u32_e64 s[4:5], 0, v7
	s_and_b64 s[4:5], s[4:5], s[6:7]
	s_and_saveexec_b64 s[6:7], s[4:5]
	s_xor_b64 s[4:5], exec, s[6:7]
	s_cbranch_execz .LBB254_17
; %bb.14:                               ;   in Loop: Header=BB254_13 Depth=1
	s_and_saveexec_b64 s[6:7], vcc
; %bb.15:                               ;   in Loop: Header=BB254_13 Depth=1
	ds_write_b32 v21, v22
; %bb.16:                               ;   in Loop: Header=BB254_13 Depth=1
	s_or_b64 exec, exec, s[6:7]
.LBB254_17:                             ;   in Loop: Header=BB254_13 Depth=1
	s_andn2_saveexec_b64 s[6:7], s[4:5]
	s_cbranch_execz .LBB254_12
; %bb.18:                               ;   in Loop: Header=BB254_13 Depth=1
	global_load_dword v1, v[5:6], off
	v_mov_b32_e32 v27, 0
	global_load_dword v26, v27, s[12:13]
	v_mov_b32_e32 v28, 0
	s_waitcnt vmcnt(1)
	v_mad_i64_i32 v[7:8], s[4:5], v1, s51, v[3:4]
	global_load_dword v9, v[7:8], off
	s_waitcnt vmcnt(0)
	v_cmp_ne_u16_sdwa s[4:5], v9, v2 src0_sel:BYTE_0 src1_sel:DWORD
	s_and_saveexec_b64 s[40:41], s[4:5]
	s_cbranch_execz .LBB254_24
; %bb.19:                               ;   in Loop: Header=BB254_13 Depth=1
	v_cmp_ne_u16_sdwa s[4:5], v9, s52 src0_sel:BYTE_0 src1_sel:DWORD
	v_mov_b32_e32 v28, 0x8000
	s_and_saveexec_b64 s[42:43], s[4:5]
	s_cbranch_execz .LBB254_23
; %bb.20:                               ;   in Loop: Header=BB254_13 Depth=1
	v_and_b32_e32 v1, 0x7f, v9
	v_cmp_ne_u32_e64 s[4:5], s53, v1
	v_mov_b32_e32 v28, 0x7c01
	s_and_saveexec_b64 s[44:45], s[4:5]
	s_cbranch_execz .LBB254_22
; %bb.21:                               ;   in Loop: Header=BB254_13 Depth=1
	v_and_b32_e32 v30, 7, v9
	v_ffbh_u32_e32 v28, v30
	v_min_u32_e32 v32, 32, v28
	v_subrev_u32_e32 v28, 28, v32
	v_lshlrev_b64 v[28:29], v28, v[9:10]
	v_lshrrev_b32_e32 v31, 3, v1
	v_sub_u32_e32 v29, 29, v32
	v_cmp_gt_u32_e64 s[4:5], 8, v1
	v_cndmask_b32_e64 v1, v31, v29, s[4:5]
	v_lshl_add_u32 v1, v1, 10, v23
	v_lshlrev_b32_e32 v29, 8, v9
	v_and_b32_e32 v28, 7, v28
	v_and_b32_e32 v1, 0xfc00, v1
	v_cndmask_b32_e64 v28, v30, v28, s[4:5]
	v_and_or_b32 v1, v29, s54, v1
	v_lshl_or_b32 v28, v28, 7, v1
.LBB254_22:                             ;   in Loop: Header=BB254_13 Depth=1
	s_or_b64 exec, exec, s[44:45]
.LBB254_23:                             ;   in Loop: Header=BB254_13 Depth=1
	s_or_b64 exec, exec, s[42:43]
.LBB254_24:                             ;   in Loop: Header=BB254_13 Depth=1
	s_or_b64 exec, exec, s[40:41]
	v_lshrrev_b16_e32 v1, 8, v9
	v_cmp_ne_u16_e64 s[4:5], 0, v1
	s_and_saveexec_b64 s[40:41], s[4:5]
	s_cbranch_execz .LBB254_30
; %bb.25:                               ;   in Loop: Header=BB254_13 Depth=1
	v_cmp_ne_u16_e64 s[4:5], s52, v1
	v_bfrev_b32_e32 v27, 1
	s_and_saveexec_b64 s[42:43], s[4:5]
	s_cbranch_execz .LBB254_29
; %bb.26:                               ;   in Loop: Header=BB254_13 Depth=1
	v_and_b32_e32 v29, 0x7f, v1
	v_cmp_ne_u32_e64 s[4:5], s53, v29
	v_mov_b32_e32 v27, 0x7c010000
	s_and_saveexec_b64 s[44:45], s[4:5]
	s_cbranch_execz .LBB254_28
; %bb.27:                               ;   in Loop: Header=BB254_13 Depth=1
	v_and_b32_e32 v27, 7, v1
	v_ffbh_u32_e32 v30, v27
	v_min_u32_e32 v33, 32, v30
	v_subrev_u32_e32 v30, 28, v33
	v_lshlrev_b64 v[30:31], v30, v[1:2]
	v_lshrrev_b32_e32 v32, 3, v29
	v_sub_u32_e32 v31, 29, v33
	v_cmp_gt_u32_e64 s[4:5], 8, v29
	v_cndmask_b32_e64 v29, v32, v31, s[4:5]
	v_lshlrev_b32_e32 v1, 8, v1
	v_lshl_add_u32 v29, v29, 10, v23
	v_and_b32_e32 v30, 7, v30
	v_and_or_b32 v1, v1, s54, v29
	v_cndmask_b32_e64 v27, v27, v30, s[4:5]
	v_lshlrev_b32_e32 v1, 16, v1
	v_lshl_or_b32 v27, v27, 23, v1
.LBB254_28:                             ;   in Loop: Header=BB254_13 Depth=1
	s_or_b64 exec, exec, s[44:45]
.LBB254_29:                             ;   in Loop: Header=BB254_13 Depth=1
	s_or_b64 exec, exec, s[42:43]
.LBB254_30:                             ;   in Loop: Header=BB254_13 Depth=1
	s_or_b64 exec, exec, s[40:41]
	v_lshrrev_b32_e32 v1, 16, v9
	v_cmp_ne_u16_sdwa s[4:5], v1, v2 src0_sel:BYTE_0 src1_sel:DWORD
	v_mov_b32_e32 v29, 0
	v_mov_b32_e32 v30, 0
	s_and_saveexec_b64 s[40:41], s[4:5]
	s_cbranch_execz .LBB254_36
; %bb.31:                               ;   in Loop: Header=BB254_13 Depth=1
	v_cmp_ne_u16_sdwa s[4:5], v1, s52 src0_sel:BYTE_0 src1_sel:DWORD
	v_mov_b32_e32 v30, 0x8000
	s_and_saveexec_b64 s[42:43], s[4:5]
	s_cbranch_execz .LBB254_35
; %bb.32:                               ;   in Loop: Header=BB254_13 Depth=1
	v_bfe_u32 v31, v9, 16, 7
	v_cmp_ne_u32_e64 s[4:5], s53, v31
	v_mov_b32_e32 v30, 0x7c01
	s_and_saveexec_b64 s[44:45], s[4:5]
	s_cbranch_execz .LBB254_34
; %bb.33:                               ;   in Loop: Header=BB254_13 Depth=1
	v_and_b32_e32 v30, 7, v1
	v_ffbh_u32_e32 v32, v30
	v_min_u32_e32 v35, 32, v32
	v_subrev_u32_e32 v32, 28, v35
	v_lshlrev_b64 v[32:33], v32, v[1:2]
	v_lshrrev_b32_e32 v34, 3, v31
	v_sub_u32_e32 v33, 29, v35
	v_cmp_gt_u32_e64 s[4:5], 8, v31
	v_cndmask_b32_e64 v31, v34, v33, s[4:5]
	v_lshl_add_u32 v31, v31, 10, v23
	v_lshlrev_b32_e32 v1, 8, v1
	v_and_b32_e32 v32, 7, v32
	v_and_b32_e32 v31, 0xfc00, v31
	v_cndmask_b32_e64 v30, v30, v32, s[4:5]
	v_and_or_b32 v1, v1, s54, v31
	v_lshl_or_b32 v30, v30, 7, v1
.LBB254_34:                             ;   in Loop: Header=BB254_13 Depth=1
	s_or_b64 exec, exec, s[44:45]
.LBB254_35:                             ;   in Loop: Header=BB254_13 Depth=1
	s_or_b64 exec, exec, s[42:43]
.LBB254_36:                             ;   in Loop: Header=BB254_13 Depth=1
	s_or_b64 exec, exec, s[40:41]
	v_cmp_lt_u32_e64 s[4:5], s55, v9
	s_and_saveexec_b64 s[40:41], s[4:5]
	s_cbranch_execz .LBB254_42
; %bb.37:                               ;   in Loop: Header=BB254_13 Depth=1
	v_lshrrev_b32_e32 v1, 24, v9
	v_cmp_ne_u32_e64 s[4:5], s52, v1
	v_bfrev_b32_e32 v29, 1
	s_and_saveexec_b64 s[42:43], s[4:5]
	s_cbranch_execz .LBB254_41
; %bb.38:                               ;   in Loop: Header=BB254_13 Depth=1
	v_and_b32_e32 v9, 0x7f, v1
	v_cmp_ne_u32_e64 s[4:5], s53, v9
	v_mov_b32_e32 v29, 0x7c010000
	s_and_saveexec_b64 s[44:45], s[4:5]
	s_cbranch_execz .LBB254_40
; %bb.39:                               ;   in Loop: Header=BB254_13 Depth=1
	v_and_b32_e32 v29, 7, v1
	v_ffbh_u32_e32 v31, v29
	v_min_u32_e32 v34, 32, v31
	v_subrev_u32_e32 v31, 28, v34
	v_lshlrev_b64 v[31:32], v31, v[1:2]
	v_lshrrev_b32_e32 v33, 3, v9
	v_sub_u32_e32 v32, 29, v34
	v_cmp_gt_u32_e64 s[4:5], 8, v9
	v_cndmask_b32_e64 v9, v33, v32, s[4:5]
	v_lshlrev_b32_e32 v1, 8, v1
	v_lshl_add_u32 v9, v9, 10, v23
	v_and_b32_e32 v31, 7, v31
	v_and_or_b32 v1, v1, s54, v9
	v_cndmask_b32_e64 v29, v29, v31, s[4:5]
	v_lshlrev_b32_e32 v1, 16, v1
	v_lshl_or_b32 v29, v29, 23, v1
.LBB254_40:                             ;   in Loop: Header=BB254_13 Depth=1
	s_or_b64 exec, exec, s[44:45]
.LBB254_41:                             ;   in Loop: Header=BB254_13 Depth=1
	s_or_b64 exec, exec, s[42:43]
.LBB254_42:                             ;   in Loop: Header=BB254_13 Depth=1
	s_or_b64 exec, exec, s[40:41]
	global_load_dword v9, v[7:8], off offset:8
	v_mov_b32_e32 v31, 0
	v_mov_b32_e32 v32, 0
	s_waitcnt vmcnt(0)
	v_cmp_ne_u16_sdwa s[4:5], v9, v2 src0_sel:BYTE_0 src1_sel:DWORD
	s_and_saveexec_b64 s[40:41], s[4:5]
	s_cbranch_execz .LBB254_48
; %bb.43:                               ;   in Loop: Header=BB254_13 Depth=1
	v_cmp_ne_u16_sdwa s[4:5], v9, s52 src0_sel:BYTE_0 src1_sel:DWORD
	v_mov_b32_e32 v32, 0x8000
	s_and_saveexec_b64 s[42:43], s[4:5]
	s_cbranch_execz .LBB254_47
; %bb.44:                               ;   in Loop: Header=BB254_13 Depth=1
	v_and_b32_e32 v1, 0x7f, v9
	v_cmp_ne_u32_e64 s[4:5], s53, v1
	v_mov_b32_e32 v32, 0x7c01
	s_and_saveexec_b64 s[44:45], s[4:5]
	s_cbranch_execz .LBB254_46
; %bb.45:                               ;   in Loop: Header=BB254_13 Depth=1
	v_and_b32_e32 v34, 7, v9
	v_ffbh_u32_e32 v32, v34
	v_min_u32_e32 v36, 32, v32
	v_subrev_u32_e32 v32, 28, v36
	v_lshlrev_b64 v[32:33], v32, v[9:10]
	v_lshrrev_b32_e32 v35, 3, v1
	v_sub_u32_e32 v33, 29, v36
	v_cmp_gt_u32_e64 s[4:5], 8, v1
	v_cndmask_b32_e64 v1, v35, v33, s[4:5]
	v_lshl_add_u32 v1, v1, 10, v23
	v_lshlrev_b32_e32 v33, 8, v9
	v_and_b32_e32 v32, 7, v32
	v_and_b32_e32 v1, 0xfc00, v1
	v_cndmask_b32_e64 v32, v34, v32, s[4:5]
	v_and_or_b32 v1, v33, s54, v1
	v_lshl_or_b32 v32, v32, 7, v1
.LBB254_46:                             ;   in Loop: Header=BB254_13 Depth=1
	s_or_b64 exec, exec, s[44:45]
.LBB254_47:                             ;   in Loop: Header=BB254_13 Depth=1
	s_or_b64 exec, exec, s[42:43]
.LBB254_48:                             ;   in Loop: Header=BB254_13 Depth=1
	s_or_b64 exec, exec, s[40:41]
	v_lshrrev_b16_e32 v1, 8, v9
	v_cmp_ne_u16_e64 s[4:5], 0, v1
	s_and_saveexec_b64 s[40:41], s[4:5]
	s_cbranch_execz .LBB254_54
; %bb.49:                               ;   in Loop: Header=BB254_13 Depth=1
	v_cmp_ne_u16_e64 s[4:5], s52, v1
	v_bfrev_b32_e32 v31, 1
	s_and_saveexec_b64 s[42:43], s[4:5]
	s_cbranch_execz .LBB254_53
; %bb.50:                               ;   in Loop: Header=BB254_13 Depth=1
	v_and_b32_e32 v33, 0x7f, v1
	v_cmp_ne_u32_e64 s[4:5], s53, v33
	v_mov_b32_e32 v31, 0x7c010000
	s_and_saveexec_b64 s[44:45], s[4:5]
	s_cbranch_execz .LBB254_52
; %bb.51:                               ;   in Loop: Header=BB254_13 Depth=1
	v_and_b32_e32 v31, 7, v1
	v_ffbh_u32_e32 v34, v31
	v_min_u32_e32 v37, 32, v34
	v_subrev_u32_e32 v34, 28, v37
	v_lshlrev_b64 v[34:35], v34, v[1:2]
	v_lshrrev_b32_e32 v36, 3, v33
	v_sub_u32_e32 v35, 29, v37
	v_cmp_gt_u32_e64 s[4:5], 8, v33
	v_cndmask_b32_e64 v33, v36, v35, s[4:5]
	v_lshlrev_b32_e32 v1, 8, v1
	v_lshl_add_u32 v33, v33, 10, v23
	v_and_b32_e32 v34, 7, v34
	v_and_or_b32 v1, v1, s54, v33
	v_cndmask_b32_e64 v31, v31, v34, s[4:5]
	v_lshlrev_b32_e32 v1, 16, v1
	v_lshl_or_b32 v31, v31, 23, v1
.LBB254_52:                             ;   in Loop: Header=BB254_13 Depth=1
	s_or_b64 exec, exec, s[44:45]
.LBB254_53:                             ;   in Loop: Header=BB254_13 Depth=1
	s_or_b64 exec, exec, s[42:43]
.LBB254_54:                             ;   in Loop: Header=BB254_13 Depth=1
	s_or_b64 exec, exec, s[40:41]
	v_lshrrev_b32_e32 v1, 16, v9
	v_cmp_ne_u16_sdwa s[4:5], v1, v2 src0_sel:BYTE_0 src1_sel:DWORD
	v_mov_b32_e32 v33, 0
	v_mov_b32_e32 v34, 0
	s_and_saveexec_b64 s[40:41], s[4:5]
	s_cbranch_execz .LBB254_60
; %bb.55:                               ;   in Loop: Header=BB254_13 Depth=1
	v_cmp_ne_u16_sdwa s[4:5], v1, s52 src0_sel:BYTE_0 src1_sel:DWORD
	v_mov_b32_e32 v34, 0x8000
	s_and_saveexec_b64 s[42:43], s[4:5]
	s_cbranch_execz .LBB254_59
; %bb.56:                               ;   in Loop: Header=BB254_13 Depth=1
	v_bfe_u32 v35, v9, 16, 7
	v_cmp_ne_u32_e64 s[4:5], s53, v35
	v_mov_b32_e32 v34, 0x7c01
	s_and_saveexec_b64 s[44:45], s[4:5]
	s_cbranch_execz .LBB254_58
; %bb.57:                               ;   in Loop: Header=BB254_13 Depth=1
	v_and_b32_e32 v34, 7, v1
	v_ffbh_u32_e32 v36, v34
	v_min_u32_e32 v39, 32, v36
	v_subrev_u32_e32 v36, 28, v39
	v_lshlrev_b64 v[36:37], v36, v[1:2]
	v_lshrrev_b32_e32 v38, 3, v35
	v_sub_u32_e32 v37, 29, v39
	v_cmp_gt_u32_e64 s[4:5], 8, v35
	v_cndmask_b32_e64 v35, v38, v37, s[4:5]
	v_lshl_add_u32 v35, v35, 10, v23
	v_lshlrev_b32_e32 v1, 8, v1
	v_and_b32_e32 v36, 7, v36
	v_and_b32_e32 v35, 0xfc00, v35
	v_cndmask_b32_e64 v34, v34, v36, s[4:5]
	v_and_or_b32 v1, v1, s54, v35
	v_lshl_or_b32 v34, v34, 7, v1
.LBB254_58:                             ;   in Loop: Header=BB254_13 Depth=1
	s_or_b64 exec, exec, s[44:45]
.LBB254_59:                             ;   in Loop: Header=BB254_13 Depth=1
	s_or_b64 exec, exec, s[42:43]
.LBB254_60:                             ;   in Loop: Header=BB254_13 Depth=1
	s_or_b64 exec, exec, s[40:41]
	v_cmp_lt_u32_e64 s[4:5], s55, v9
	s_and_saveexec_b64 s[40:41], s[4:5]
	s_cbranch_execz .LBB254_66
; %bb.61:                               ;   in Loop: Header=BB254_13 Depth=1
	v_lshrrev_b32_e32 v1, 24, v9
	v_cmp_ne_u32_e64 s[4:5], s52, v1
	v_bfrev_b32_e32 v33, 1
	s_and_saveexec_b64 s[42:43], s[4:5]
	s_cbranch_execz .LBB254_65
; %bb.62:                               ;   in Loop: Header=BB254_13 Depth=1
	v_and_b32_e32 v9, 0x7f, v1
	v_cmp_ne_u32_e64 s[4:5], s53, v9
	v_mov_b32_e32 v33, 0x7c010000
	s_and_saveexec_b64 s[44:45], s[4:5]
	s_cbranch_execz .LBB254_64
; %bb.63:                               ;   in Loop: Header=BB254_13 Depth=1
	v_and_b32_e32 v33, 7, v1
	v_ffbh_u32_e32 v35, v33
	v_min_u32_e32 v38, 32, v35
	v_subrev_u32_e32 v35, 28, v38
	v_lshlrev_b64 v[35:36], v35, v[1:2]
	v_lshrrev_b32_e32 v37, 3, v9
	v_sub_u32_e32 v36, 29, v38
	v_cmp_gt_u32_e64 s[4:5], 8, v9
	v_cndmask_b32_e64 v9, v37, v36, s[4:5]
	v_lshlrev_b32_e32 v1, 8, v1
	v_lshl_add_u32 v9, v9, 10, v23
	v_and_b32_e32 v35, 7, v35
	v_and_or_b32 v1, v1, s54, v9
	v_cndmask_b32_e64 v33, v33, v35, s[4:5]
	v_lshlrev_b32_e32 v1, 16, v1
	v_lshl_or_b32 v33, v33, 23, v1
.LBB254_64:                             ;   in Loop: Header=BB254_13 Depth=1
	s_or_b64 exec, exec, s[44:45]
.LBB254_65:                             ;   in Loop: Header=BB254_13 Depth=1
	s_or_b64 exec, exec, s[42:43]
.LBB254_66:                             ;   in Loop: Header=BB254_13 Depth=1
	s_or_b64 exec, exec, s[40:41]
	global_load_dword v9, v[7:8], off offset:512
	v_mov_b32_e32 v35, 0
	v_mov_b32_e32 v36, 0
	s_waitcnt vmcnt(0)
	v_cmp_ne_u16_sdwa s[4:5], v9, v2 src0_sel:BYTE_0 src1_sel:DWORD
	s_and_saveexec_b64 s[40:41], s[4:5]
	s_cbranch_execz .LBB254_72
; %bb.67:                               ;   in Loop: Header=BB254_13 Depth=1
	v_cmp_ne_u16_sdwa s[4:5], v9, s52 src0_sel:BYTE_0 src1_sel:DWORD
	v_mov_b32_e32 v36, 0x8000
	s_and_saveexec_b64 s[42:43], s[4:5]
	s_cbranch_execz .LBB254_71
; %bb.68:                               ;   in Loop: Header=BB254_13 Depth=1
	v_and_b32_e32 v1, 0x7f, v9
	v_cmp_ne_u32_e64 s[4:5], s53, v1
	v_mov_b32_e32 v36, 0x7c01
	s_and_saveexec_b64 s[44:45], s[4:5]
	s_cbranch_execz .LBB254_70
; %bb.69:                               ;   in Loop: Header=BB254_13 Depth=1
	v_and_b32_e32 v38, 7, v9
	v_ffbh_u32_e32 v36, v38
	v_min_u32_e32 v40, 32, v36
	v_subrev_u32_e32 v36, 28, v40
	v_lshlrev_b64 v[36:37], v36, v[9:10]
	v_lshrrev_b32_e32 v39, 3, v1
	v_sub_u32_e32 v37, 29, v40
	v_cmp_gt_u32_e64 s[4:5], 8, v1
	v_cndmask_b32_e64 v1, v39, v37, s[4:5]
	v_lshl_add_u32 v1, v1, 10, v23
	v_lshlrev_b32_e32 v37, 8, v9
	v_and_b32_e32 v36, 7, v36
	v_and_b32_e32 v1, 0xfc00, v1
	v_cndmask_b32_e64 v36, v38, v36, s[4:5]
	v_and_or_b32 v1, v37, s54, v1
	v_lshl_or_b32 v36, v36, 7, v1
.LBB254_70:                             ;   in Loop: Header=BB254_13 Depth=1
	s_or_b64 exec, exec, s[44:45]
.LBB254_71:                             ;   in Loop: Header=BB254_13 Depth=1
	s_or_b64 exec, exec, s[42:43]
.LBB254_72:                             ;   in Loop: Header=BB254_13 Depth=1
	s_or_b64 exec, exec, s[40:41]
	v_lshrrev_b16_e32 v1, 8, v9
	v_cmp_ne_u16_e64 s[4:5], 0, v1
	s_and_saveexec_b64 s[40:41], s[4:5]
	s_cbranch_execz .LBB254_78
; %bb.73:                               ;   in Loop: Header=BB254_13 Depth=1
	v_cmp_ne_u16_e64 s[4:5], s52, v1
	v_bfrev_b32_e32 v35, 1
	s_and_saveexec_b64 s[42:43], s[4:5]
	s_cbranch_execz .LBB254_77
; %bb.74:                               ;   in Loop: Header=BB254_13 Depth=1
	v_and_b32_e32 v37, 0x7f, v1
	v_cmp_ne_u32_e64 s[4:5], s53, v37
	v_mov_b32_e32 v35, 0x7c010000
	s_and_saveexec_b64 s[44:45], s[4:5]
	s_cbranch_execz .LBB254_76
; %bb.75:                               ;   in Loop: Header=BB254_13 Depth=1
	v_and_b32_e32 v35, 7, v1
	v_ffbh_u32_e32 v38, v35
	v_min_u32_e32 v41, 32, v38
	v_subrev_u32_e32 v38, 28, v41
	v_lshlrev_b64 v[38:39], v38, v[1:2]
	v_lshrrev_b32_e32 v40, 3, v37
	v_sub_u32_e32 v39, 29, v41
	v_cmp_gt_u32_e64 s[4:5], 8, v37
	v_cndmask_b32_e64 v37, v40, v39, s[4:5]
	v_lshlrev_b32_e32 v1, 8, v1
	v_lshl_add_u32 v37, v37, 10, v23
	v_and_b32_e32 v38, 7, v38
	v_and_or_b32 v1, v1, s54, v37
	v_cndmask_b32_e64 v35, v35, v38, s[4:5]
	v_lshlrev_b32_e32 v1, 16, v1
	v_lshl_or_b32 v35, v35, 23, v1
.LBB254_76:                             ;   in Loop: Header=BB254_13 Depth=1
	s_or_b64 exec, exec, s[44:45]
.LBB254_77:                             ;   in Loop: Header=BB254_13 Depth=1
	s_or_b64 exec, exec, s[42:43]
.LBB254_78:                             ;   in Loop: Header=BB254_13 Depth=1
	s_or_b64 exec, exec, s[40:41]
	v_lshrrev_b32_e32 v1, 16, v9
	v_cmp_ne_u16_sdwa s[4:5], v1, v2 src0_sel:BYTE_0 src1_sel:DWORD
	v_mov_b32_e32 v37, 0
	v_mov_b32_e32 v38, 0
	s_and_saveexec_b64 s[40:41], s[4:5]
	s_cbranch_execz .LBB254_84
; %bb.79:                               ;   in Loop: Header=BB254_13 Depth=1
	v_cmp_ne_u16_sdwa s[4:5], v1, s52 src0_sel:BYTE_0 src1_sel:DWORD
	v_mov_b32_e32 v38, 0x8000
	s_and_saveexec_b64 s[42:43], s[4:5]
	s_cbranch_execz .LBB254_83
; %bb.80:                               ;   in Loop: Header=BB254_13 Depth=1
	v_bfe_u32 v39, v9, 16, 7
	v_cmp_ne_u32_e64 s[4:5], s53, v39
	v_mov_b32_e32 v38, 0x7c01
	s_and_saveexec_b64 s[44:45], s[4:5]
	s_cbranch_execz .LBB254_82
; %bb.81:                               ;   in Loop: Header=BB254_13 Depth=1
	v_and_b32_e32 v38, 7, v1
	v_ffbh_u32_e32 v40, v38
	v_min_u32_e32 v43, 32, v40
	v_subrev_u32_e32 v40, 28, v43
	v_lshlrev_b64 v[40:41], v40, v[1:2]
	v_lshrrev_b32_e32 v42, 3, v39
	v_sub_u32_e32 v41, 29, v43
	v_cmp_gt_u32_e64 s[4:5], 8, v39
	v_cndmask_b32_e64 v39, v42, v41, s[4:5]
	v_lshl_add_u32 v39, v39, 10, v23
	v_lshlrev_b32_e32 v1, 8, v1
	v_and_b32_e32 v40, 7, v40
	v_and_b32_e32 v39, 0xfc00, v39
	v_cndmask_b32_e64 v38, v38, v40, s[4:5]
	v_and_or_b32 v1, v1, s54, v39
	v_lshl_or_b32 v38, v38, 7, v1
.LBB254_82:                             ;   in Loop: Header=BB254_13 Depth=1
	s_or_b64 exec, exec, s[44:45]
.LBB254_83:                             ;   in Loop: Header=BB254_13 Depth=1
	s_or_b64 exec, exec, s[42:43]
.LBB254_84:                             ;   in Loop: Header=BB254_13 Depth=1
	s_or_b64 exec, exec, s[40:41]
	v_cmp_lt_u32_e64 s[4:5], s55, v9
	s_and_saveexec_b64 s[40:41], s[4:5]
	s_cbranch_execz .LBB254_90
; %bb.85:                               ;   in Loop: Header=BB254_13 Depth=1
	v_lshrrev_b32_e32 v1, 24, v9
	v_cmp_ne_u32_e64 s[4:5], s52, v1
	v_bfrev_b32_e32 v37, 1
	s_and_saveexec_b64 s[42:43], s[4:5]
	s_cbranch_execz .LBB254_89
; %bb.86:                               ;   in Loop: Header=BB254_13 Depth=1
	v_and_b32_e32 v9, 0x7f, v1
	v_cmp_ne_u32_e64 s[4:5], s53, v9
	v_mov_b32_e32 v37, 0x7c010000
	s_and_saveexec_b64 s[44:45], s[4:5]
	s_cbranch_execz .LBB254_88
; %bb.87:                               ;   in Loop: Header=BB254_13 Depth=1
	v_and_b32_e32 v37, 7, v1
	v_ffbh_u32_e32 v39, v37
	v_min_u32_e32 v42, 32, v39
	v_subrev_u32_e32 v39, 28, v42
	v_lshlrev_b64 v[39:40], v39, v[1:2]
	v_lshrrev_b32_e32 v41, 3, v9
	v_sub_u32_e32 v40, 29, v42
	v_cmp_gt_u32_e64 s[4:5], 8, v9
	v_cndmask_b32_e64 v9, v41, v40, s[4:5]
	v_lshlrev_b32_e32 v1, 8, v1
	v_lshl_add_u32 v9, v9, 10, v23
	v_and_b32_e32 v39, 7, v39
	v_and_or_b32 v1, v1, s54, v9
	v_cndmask_b32_e64 v37, v37, v39, s[4:5]
	v_lshlrev_b32_e32 v1, 16, v1
	v_lshl_or_b32 v37, v37, 23, v1
.LBB254_88:                             ;   in Loop: Header=BB254_13 Depth=1
	s_or_b64 exec, exec, s[44:45]
.LBB254_89:                             ;   in Loop: Header=BB254_13 Depth=1
	s_or_b64 exec, exec, s[42:43]
.LBB254_90:                             ;   in Loop: Header=BB254_13 Depth=1
	s_or_b64 exec, exec, s[40:41]
	global_load_dword v7, v[7:8], off offset:520
	v_mov_b32_e32 v8, 0
	v_mov_b32_e32 v9, 0
	s_waitcnt vmcnt(0)
	v_cmp_ne_u16_sdwa s[4:5], v7, v2 src0_sel:BYTE_0 src1_sel:DWORD
	s_and_saveexec_b64 s[40:41], s[4:5]
	s_cbranch_execz .LBB254_96
; %bb.91:                               ;   in Loop: Header=BB254_13 Depth=1
	v_cmp_ne_u16_sdwa s[4:5], v7, s52 src0_sel:BYTE_0 src1_sel:DWORD
	v_mov_b32_e32 v9, 0x8000
	s_and_saveexec_b64 s[42:43], s[4:5]
	s_cbranch_execz .LBB254_95
; %bb.92:                               ;   in Loop: Header=BB254_13 Depth=1
	v_and_b32_e32 v1, 0x7f, v7
	v_cmp_ne_u32_e64 s[4:5], s53, v1
	v_mov_b32_e32 v9, 0x7c01
	s_and_saveexec_b64 s[44:45], s[4:5]
	s_cbranch_execz .LBB254_94
; %bb.93:                               ;   in Loop: Header=BB254_13 Depth=1
	v_and_b32_e32 v9, 7, v7
	v_ffbh_u32_e32 v39, v9
	v_min_u32_e32 v42, 32, v39
	v_subrev_u32_e32 v39, 28, v42
	v_lshlrev_b64 v[39:40], v39, v[7:8]
	v_lshrrev_b32_e32 v41, 3, v1
	v_sub_u32_e32 v40, 29, v42
	v_cmp_gt_u32_e64 s[4:5], 8, v1
	v_cndmask_b32_e64 v1, v41, v40, s[4:5]
	v_lshl_add_u32 v1, v1, 10, v23
	v_lshlrev_b32_e32 v40, 8, v7
	v_and_b32_e32 v39, 7, v39
	v_and_b32_e32 v1, 0xfc00, v1
	v_cndmask_b32_e64 v9, v9, v39, s[4:5]
	v_and_or_b32 v1, v40, s54, v1
	v_lshl_or_b32 v9, v9, 7, v1
.LBB254_94:                             ;   in Loop: Header=BB254_13 Depth=1
	s_or_b64 exec, exec, s[44:45]
.LBB254_95:                             ;   in Loop: Header=BB254_13 Depth=1
	s_or_b64 exec, exec, s[42:43]
.LBB254_96:                             ;   in Loop: Header=BB254_13 Depth=1
	s_or_b64 exec, exec, s[40:41]
	v_lshrrev_b16_e32 v1, 8, v7
	v_cmp_ne_u16_e64 s[4:5], 0, v1
	s_and_saveexec_b64 s[40:41], s[4:5]
	s_cbranch_execz .LBB254_102
; %bb.97:                               ;   in Loop: Header=BB254_13 Depth=1
	v_cmp_ne_u16_e64 s[4:5], s52, v1
	v_bfrev_b32_e32 v8, 1
	s_and_saveexec_b64 s[42:43], s[4:5]
	s_cbranch_execz .LBB254_101
; %bb.98:                               ;   in Loop: Header=BB254_13 Depth=1
	v_and_b32_e32 v39, 0x7f, v1
	v_cmp_ne_u32_e64 s[4:5], s53, v39
	v_mov_b32_e32 v8, 0x7c010000
	s_and_saveexec_b64 s[44:45], s[4:5]
	s_cbranch_execz .LBB254_100
; %bb.99:                               ;   in Loop: Header=BB254_13 Depth=1
	v_and_b32_e32 v8, 7, v1
	v_ffbh_u32_e32 v40, v8
	v_min_u32_e32 v43, 32, v40
	v_subrev_u32_e32 v40, 28, v43
	v_lshlrev_b64 v[40:41], v40, v[1:2]
	v_lshrrev_b32_e32 v42, 3, v39
	v_sub_u32_e32 v41, 29, v43
	v_cmp_gt_u32_e64 s[4:5], 8, v39
	v_cndmask_b32_e64 v39, v42, v41, s[4:5]
	v_lshlrev_b32_e32 v1, 8, v1
	v_lshl_add_u32 v39, v39, 10, v23
	v_and_b32_e32 v40, 7, v40
	v_and_or_b32 v1, v1, s54, v39
	v_cndmask_b32_e64 v8, v8, v40, s[4:5]
	v_lshlrev_b32_e32 v1, 16, v1
	v_lshl_or_b32 v8, v8, 23, v1
.LBB254_100:                            ;   in Loop: Header=BB254_13 Depth=1
	s_or_b64 exec, exec, s[44:45]
.LBB254_101:                            ;   in Loop: Header=BB254_13 Depth=1
	s_or_b64 exec, exec, s[42:43]
.LBB254_102:                            ;   in Loop: Header=BB254_13 Depth=1
	s_or_b64 exec, exec, s[40:41]
	v_lshrrev_b32_e32 v1, 16, v7
	v_cmp_ne_u16_sdwa s[4:5], v1, v2 src0_sel:BYTE_0 src1_sel:DWORD
	v_mov_b32_e32 v39, 0
	v_mov_b32_e32 v40, 0
	s_and_saveexec_b64 s[40:41], s[4:5]
	s_cbranch_execz .LBB254_108
; %bb.103:                              ;   in Loop: Header=BB254_13 Depth=1
	v_cmp_ne_u16_sdwa s[4:5], v1, s52 src0_sel:BYTE_0 src1_sel:DWORD
	v_mov_b32_e32 v40, 0x8000
	s_and_saveexec_b64 s[42:43], s[4:5]
	s_cbranch_execz .LBB254_107
; %bb.104:                              ;   in Loop: Header=BB254_13 Depth=1
	v_bfe_u32 v41, v7, 16, 7
	v_cmp_ne_u32_e64 s[4:5], s53, v41
	v_mov_b32_e32 v40, 0x7c01
	s_and_saveexec_b64 s[44:45], s[4:5]
	s_cbranch_execz .LBB254_106
; %bb.105:                              ;   in Loop: Header=BB254_13 Depth=1
	v_and_b32_e32 v40, 7, v1
	v_ffbh_u32_e32 v42, v40
	v_min_u32_e32 v45, 32, v42
	v_subrev_u32_e32 v42, 28, v45
	v_lshlrev_b64 v[42:43], v42, v[1:2]
	v_lshrrev_b32_e32 v44, 3, v41
	v_sub_u32_e32 v43, 29, v45
	v_cmp_gt_u32_e64 s[4:5], 8, v41
	v_cndmask_b32_e64 v41, v44, v43, s[4:5]
	v_lshl_add_u32 v41, v41, 10, v23
	v_lshlrev_b32_e32 v1, 8, v1
	v_and_b32_e32 v42, 7, v42
	v_and_b32_e32 v41, 0xfc00, v41
	v_cndmask_b32_e64 v40, v40, v42, s[4:5]
	v_and_or_b32 v1, v1, s54, v41
	v_lshl_or_b32 v40, v40, 7, v1
.LBB254_106:                            ;   in Loop: Header=BB254_13 Depth=1
	s_or_b64 exec, exec, s[44:45]
.LBB254_107:                            ;   in Loop: Header=BB254_13 Depth=1
	s_or_b64 exec, exec, s[42:43]
.LBB254_108:                            ;   in Loop: Header=BB254_13 Depth=1
	s_or_b64 exec, exec, s[40:41]
	v_cmp_lt_u32_e64 s[4:5], s55, v7
	s_and_saveexec_b64 s[40:41], s[4:5]
	s_cbranch_execz .LBB254_114
; %bb.109:                              ;   in Loop: Header=BB254_13 Depth=1
	v_lshrrev_b32_e32 v1, 24, v7
	v_cmp_ne_u32_e64 s[4:5], s52, v1
	v_bfrev_b32_e32 v39, 1
	s_and_saveexec_b64 s[42:43], s[4:5]
	s_cbranch_execz .LBB254_113
; %bb.110:                              ;   in Loop: Header=BB254_13 Depth=1
	v_and_b32_e32 v7, 0x7f, v1
	v_cmp_ne_u32_e64 s[4:5], s53, v7
	v_mov_b32_e32 v39, 0x7c010000
	s_and_saveexec_b64 s[44:45], s[4:5]
	s_cbranch_execz .LBB254_112
; %bb.111:                              ;   in Loop: Header=BB254_13 Depth=1
	v_and_b32_e32 v39, 7, v1
	v_ffbh_u32_e32 v41, v39
	v_min_u32_e32 v44, 32, v41
	v_subrev_u32_e32 v41, 28, v44
	v_lshlrev_b64 v[41:42], v41, v[1:2]
	v_lshrrev_b32_e32 v43, 3, v7
	v_sub_u32_e32 v42, 29, v44
	v_cmp_gt_u32_e64 s[4:5], 8, v7
	v_cndmask_b32_e64 v7, v43, v42, s[4:5]
	v_lshlrev_b32_e32 v1, 8, v1
	v_lshl_add_u32 v7, v7, 10, v23
	v_and_b32_e32 v41, 7, v41
	v_and_or_b32 v1, v1, s54, v7
	v_cndmask_b32_e64 v39, v39, v41, s[4:5]
	v_lshlrev_b32_e32 v1, 16, v1
	v_lshl_or_b32 v39, v39, 23, v1
.LBB254_112:                            ;   in Loop: Header=BB254_13 Depth=1
	s_or_b64 exec, exec, s[44:45]
.LBB254_113:                            ;   in Loop: Header=BB254_13 Depth=1
	s_or_b64 exec, exec, s[42:43]
.LBB254_114:                            ;   in Loop: Header=BB254_13 Depth=1
	s_or_b64 exec, exec, s[40:41]
	v_or_b32_e32 v7, v37, v38
	v_or_b32_e32 v1, v35, v36
	v_fma_mixlo_f16 v36, v26, v7, 0 op_sel_hi:[0,1,0]
	v_or_b32_e32 v7, v31, v32
	v_fma_mixlo_f16 v32, v26, v7, 0 op_sel_hi:[0,1,0]
	;; [unrolled: 2-line block ×3, first 2 shown]
	v_or_b32_e32 v7, v27, v28
	v_fma_mixlo_f16 v38, v26, v27, 0 op_sel:[0,1,0] op_sel_hi:[0,1,0]
	ds_read_b64 v[27:28], v16
	v_fma_mixlo_f16 v7, v26, v7, 0 op_sel_hi:[0,1,0]
	v_or_b32_e32 v9, v8, v9
	v_fma_mixlo_f16 v41, v26, v8, 0 op_sel:[0,1,0] op_sel_hi:[0,1,0]
	v_and_b32_e32 v7, 0xffff, v7
	s_waitcnt lgkmcnt(0)
	v_lshrrev_b32_e32 v8, 16, v27
	v_and_b32_e32 v27, 0xffff, v27
	v_or_b32_e32 v30, v29, v30
	;;#ASMSTART
	v_cvt_f32_f16 v27, v27;
	;;#ASMEND
	;;#ASMSTART
	v_cvt_f32_f16 v42, v8;
	;;#ASMEND
	;; [unrolled: 3-line block ×3, first 2 shown]
	v_and_b32_e32 v7, 0xffff, v38
	v_fma_mixlo_f16 v30, v26, v30, 0 op_sel_hi:[0,1,0]
	;;#ASMSTART
	v_cvt_f32_f16 v38, v7;
	;;#ASMEND
	v_lshrrev_b32_e32 v7, 16, v28
	v_fma_mixlo_f16 v29, v26, v29, 0 op_sel:[0,1,0] op_sel_hi:[0,1,0]
	v_and_b32_e32 v8, 0xffff, v28
	;;#ASMSTART
	v_cvt_f32_f16 v28, v8;
	;;#ASMEND
	;;#ASMSTART
	v_cvt_f32_f16 v44, v7;
	;;#ASMEND
	v_and_b32_e32 v7, 0xffff, v30
	;;#ASMSTART
	v_cvt_f32_f16 v30, v7;
	;;#ASMEND
	v_and_b32_e32 v7, 0xffff, v29
	;;#ASMSTART
	v_cvt_f32_f16 v29, v7;
	;;#ASMEND
	ds_read_b64 v[7:8], v16 offset:8
	v_or_b32_e32 v40, v39, v40
	v_fma_mixlo_f16 v35, v26, v35, 0 op_sel:[0,1,0] op_sel_hi:[0,1,0]
	v_fma_mixlo_f16 v1, v26, v1, 0 op_sel_hi:[0,1,0]
	v_fma_mixlo_f16 v37, v26, v37, 0 op_sel:[0,1,0] op_sel_hi:[0,1,0]
	v_fma_mixlo_f16 v31, v26, v31, 0 op_sel:[0,1,0] op_sel_hi:[0,1,0]
	;; [unrolled: 1-line block ×3, first 2 shown]
	v_fma_mixlo_f16 v9, v26, v9, 0 op_sel_hi:[0,1,0]
	v_fma_mixlo_f16 v40, v26, v40, 0 op_sel_hi:[0,1,0]
	v_fma_mixlo_f16 v26, v26, v39, 0 op_sel:[0,1,0] op_sel_hi:[0,1,0]
	s_waitcnt lgkmcnt(0)
	v_lshrrev_b32_e32 v39, 16, v7
	v_and_b32_e32 v7, 0xffff, v7
	v_and_b32_e32 v32, 0xffff, v32
	;;#ASMSTART
	v_cvt_f32_f16 v7, v7;
	;;#ASMEND
	;;#ASMSTART
	v_cvt_f32_f16 v39, v39;
	;;#ASMEND
	;; [unrolled: 3-line block ×3, first 2 shown]
	v_and_b32_e32 v31, 0xffff, v31
	v_mul_f32_e32 v32, v7, v32
	;;#ASMSTART
	v_cvt_f32_f16 v31, v31;
	;;#ASMEND
	v_fmac_f32_e32 v32, v27, v43
	v_mul_f32_e32 v27, v39, v31
	v_lshrrev_b32_e32 v7, 16, v8
	v_fmac_f32_e32 v27, v42, v38
	v_and_b32_e32 v8, 0xffff, v8
	;;#ASMSTART
	v_cvt_f32_f16 v31, v8;
	;;#ASMEND
	;;#ASMSTART
	v_cvt_f32_f16 v38, v7;
	;;#ASMEND
	v_and_b32_e32 v7, 0xffff, v34
	;;#ASMSTART
	v_cvt_f32_f16 v34, v7;
	;;#ASMEND
	v_and_b32_e32 v7, 0xffff, v33
	;;#ASMSTART
	v_cvt_f32_f16 v33, v7;
	;;#ASMEND
	ds_read_b64 v[7:8], v16 offset:16
	v_mul_f32_e32 v31, v31, v34
	v_fmac_f32_e32 v31, v28, v30
	v_mul_f32_e32 v28, v38, v33
	v_fmac_f32_e32 v28, v44, v29
	s_waitcnt lgkmcnt(0)
	v_lshrrev_b32_e32 v30, 16, v7
	v_and_b32_e32 v7, 0xffff, v7
	;;#ASMSTART
	v_cvt_f32_f16 v29, v7;
	;;#ASMEND
	v_and_b32_e32 v1, 0xffff, v1
	v_and_b32_e32 v7, 0xffff, v35
	;;#ASMSTART
	v_cvt_f32_f16 v30, v30;
	;;#ASMEND
	;;#ASMSTART
	v_cvt_f32_f16 v1, v1;
	;;#ASMEND
	;; [unrolled: 3-line block ×3, first 2 shown]
	v_lshrrev_b32_e32 v7, 16, v8
	v_and_b32_e32 v8, 0xffff, v8
	;;#ASMSTART
	v_cvt_f32_f16 v34, v8;
	;;#ASMEND
	;;#ASMSTART
	v_cvt_f32_f16 v35, v7;
	;;#ASMEND
	v_and_b32_e32 v7, 0xffff, v36
	;;#ASMSTART
	v_cvt_f32_f16 v36, v7;
	;;#ASMEND
	v_and_b32_e32 v7, 0xffff, v37
	;;#ASMSTART
	v_cvt_f32_f16 v37, v7;
	;;#ASMEND
	ds_read_b64 v[7:8], v16 offset:24
	v_fmac_f32_e32 v32, v29, v1
	v_fmac_f32_e32 v27, v30, v33
	v_and_b32_e32 v9, 0xffff, v9
	v_fmac_f32_e32 v31, v34, v36
	s_waitcnt lgkmcnt(0)
	v_lshrrev_b32_e32 v29, 16, v7
	v_and_b32_e32 v1, 0xffff, v7
	;;#ASMSTART
	v_cvt_f32_f16 v1, v1;
	;;#ASMEND
	;;#ASMSTART
	v_cvt_f32_f16 v7, v29;
	;;#ASMEND
	v_and_b32_e32 v29, 0xffff, v41
	;;#ASMSTART
	v_cvt_f32_f16 v9, v9;
	;;#ASMEND
	;;#ASMSTART
	v_cvt_f32_f16 v29, v29;
	;;#ASMEND
	v_fmac_f32_e32 v32, v1, v9
	v_fmac_f32_e32 v27, v7, v29
	v_lshrrev_b32_e32 v7, 16, v8
	v_and_b32_e32 v1, 0xffff, v8
	v_and_b32_e32 v8, 0xffff, v40
	;;#ASMSTART
	v_cvt_f32_f16 v1, v1;
	;;#ASMEND
	;;#ASMSTART
	v_cvt_f32_f16 v7, v7;
	;;#ASMEND
	;; [unrolled: 3-line block ×3, first 2 shown]
	v_fmac_f32_e32 v28, v35, v37
	v_and_b32_e32 v9, 0xffff, v26
	v_fmac_f32_e32 v31, v1, v8
	v_and_b32_e32 v8, 64, v24
	;;#ASMSTART
	v_cvt_f32_f16 v9, v9;
	;;#ASMEND
	v_fmac_f32_e32 v28, v7, v9
	v_xor_b32_e32 v7, 1, v24
	v_add_u32_e32 v8, 64, v8
	v_add_f32_e32 v1, v32, v27
	v_cmp_lt_i32_e64 s[4:5], v7, v8
	v_add_f32_e32 v1, v1, v31
	v_cndmask_b32_e64 v7, v24, v7, s[4:5]
	v_add_f32_e32 v1, v28, v1
	v_lshlrev_b32_e32 v7, 2, v7
	ds_bpermute_b32 v7, v7, v1
	s_and_saveexec_b64 s[40:41], vcc
	s_cbranch_execz .LBB254_11
; %bb.115:                              ;   in Loop: Header=BB254_13 Depth=1
	v_add_u32_e32 v8, v20, v19
	v_cvt_f32_i32_e32 v8, v8
	s_waitcnt lgkmcnt(0)
	v_add_f32_e32 v1, v1, v7
	v_add_u32_e32 v9, v15, v19
	v_cmp_gt_i32_e64 s[4:5], s11, v9
	v_mul_f32_e32 v7, s48, v8
	v_cndmask_b32_e64 v7, 0, v7, s[2:3]
	v_fmac_f32_e32 v7, s37, v1
	v_cndmask_b32_e64 v1, 0, v7, s[4:5]
	ds_write_b32 v21, v1
	v_max_f32_e32 v1, v18, v18
	v_max_f32_e32 v1, v1, v7
	v_cndmask_b32_e64 v18, v18, v1, s[4:5]
	s_branch .LBB254_11
.LBB254_116:
	s_or_b64 exec, exec, s[38:39]
.LBB254_117:
	s_or_b64 exec, exec, s[18:19]
	v_mbcnt_hi_u32_b32 v1, -1, v14
	v_and_b32_e32 v8, 64, v1
	v_add_u32_e32 v9, 64, v8
	v_xor_b32_e32 v2, 32, v1
	v_cmp_lt_i32_e32 vcc, v2, v9
	v_cndmask_b32_e32 v2, v1, v2, vcc
	v_lshlrev_b32_e32 v2, 2, v2
	ds_bpermute_b32 v3, v2, v18
	v_xor_b32_e32 v5, 16, v1
	v_max_f32_e32 v4, v18, v18
	v_cmp_lt_i32_e32 vcc, v5, v9
	v_xor_b32_e32 v6, 8, v1
	s_waitcnt lgkmcnt(0)
	v_max_f32_e32 v3, v3, v3
	v_max_f32_e32 v4, v4, v3
	v_cndmask_b32_e32 v3, v1, v5, vcc
	v_lshlrev_b32_e32 v3, 2, v3
	ds_bpermute_b32 v5, v3, v4
	v_cmp_lt_i32_e32 vcc, v6, v9
	v_xor_b32_e32 v7, 4, v1
	v_xor_b32_e32 v14, 2, v1
	s_waitcnt lgkmcnt(0)
	v_max_f32_e32 v5, v5, v5
	v_max_f32_e32 v5, v4, v5
	v_cndmask_b32_e32 v4, v1, v6, vcc
	v_lshlrev_b32_e32 v4, 2, v4
	ds_bpermute_b32 v6, v4, v5
	v_cmp_lt_i32_e32 vcc, v7, v9
	s_waitcnt lgkmcnt(0)
	v_max_f32_e32 v6, v6, v6
	v_max_f32_e32 v6, v5, v6
	v_cndmask_b32_e32 v5, v1, v7, vcc
	v_lshlrev_b32_e32 v5, 2, v5
	ds_bpermute_b32 v7, v5, v6
	v_cmp_lt_i32_e32 vcc, v14, v9
	s_waitcnt lgkmcnt(0)
	v_max_f32_e32 v7, v7, v7
	v_max_f32_e32 v7, v6, v7
	v_cndmask_b32_e32 v6, v1, v14, vcc
	v_lshlrev_b32_e32 v15, 2, v6
	ds_bpermute_b32 v16, v15, v7
	v_and_b32_e32 v14, 63, v0
	v_cmp_eq_u32_e32 vcc, 0, v14
	v_lshlrev_b32_e32 v6, 2, v11
	s_and_saveexec_b64 s[2:3], vcc
	s_cbranch_execz .LBB254_119
; %bb.118:
	s_waitcnt lgkmcnt(0)
	v_max_f32_e32 v16, v16, v16
	v_max_f32_e32 v7, v7, v7
	;; [unrolled: 1-line block ×3, first 2 shown]
	ds_write_b32 v6, v7 offset:64
.LBB254_119:
	s_or_b64 exec, exec, s[2:3]
	v_cmp_gt_u32_e64 s[2:3], 2, v14
	v_mov_b32_e32 v17, 0xff7fffff
	v_lshlrev_b32_e32 v7, 2, v14
	s_waitcnt lgkmcnt(0)
	s_barrier
	s_and_saveexec_b64 s[4:5], s[2:3]
; %bb.120:
	ds_read_b32 v17, v7 offset:64
; %bb.121:
	s_or_b64 exec, exec, s[4:5]
	v_xor_b32_e32 v16, 1, v1
	v_cmp_lt_i32_e64 s[4:5], v16, v9
	v_cndmask_b32_e64 v9, v1, v16, s[4:5]
	v_lshlrev_b32_e32 v16, 2, v9
	s_waitcnt lgkmcnt(0)
	ds_bpermute_b32 v9, v16, v17
	v_max_f32_e32 v17, v17, v17
	v_lshlrev_b32_e32 v8, 2, v8
	s_lshl_b32 s4, s47, 5
	s_min_i32 s37, s4, s11
	s_waitcnt lgkmcnt(0)
	v_max_f32_e32 v9, v9, v9
	v_max_f32_e32 v9, v17, v9
	ds_bpermute_b32 v9, v8, v9
	v_cmp_gt_i32_e64 s[4:5], s37, v0
	v_mov_b32_e32 v8, 0
	s_and_saveexec_b64 s[12:13], s[4:5]
	s_cbranch_execz .LBB254_125
; %bb.122:
	v_mov_b32_e32 v8, 0x50
	v_lshl_add_u32 v17, v0, 2, v8
	v_mov_b32_e32 v8, 0
	s_mov_b64 s[18:19], 0
	v_mov_b32_e32 v18, v0
.LBB254_123:                            ; =>This Inner Loop Header: Depth=1
	ds_read_b32 v19, v17
	v_add_u32_e32 v18, 0x80, v18
	v_cmp_le_i32_e64 s[6:7], s37, v18
	s_or_b64 s[18:19], s[6:7], s[18:19]
	s_waitcnt lgkmcnt(0)
	v_sub_f32_e32 v19, v19, v9
	v_mul_f32_e32 v19, 0x3fb8aa3b, v19
	v_exp_f32_e32 v19, v19
	ds_write_b32 v17, v19
	v_add_f32_e32 v8, v8, v19
	v_add_u32_e32 v17, 0x200, v17
	s_andn2_b64 exec, exec, s[18:19]
	s_cbranch_execnz .LBB254_123
; %bb.124:
	s_or_b64 exec, exec, s[18:19]
.LBB254_125:
	s_or_b64 exec, exec, s[12:13]
	ds_bpermute_b32 v2, v2, v8
	s_waitcnt lgkmcnt(0)
	v_add_f32_e32 v2, v8, v2
	ds_bpermute_b32 v3, v3, v2
	s_waitcnt lgkmcnt(0)
	v_add_f32_e32 v2, v2, v3
	;; [unrolled: 3-line block ×6, first 2 shown]
	s_and_saveexec_b64 s[6:7], vcc
; %bb.126:
	ds_write_b32 v6, v2 offset:72
; %bb.127:
	s_or_b64 exec, exec, s[6:7]
	s_waitcnt lgkmcnt(0)
	s_barrier
	s_and_saveexec_b64 s[6:7], s[2:3]
; %bb.128:
	ds_read_b32 v2, v7 offset:72
; %bb.129:
	s_or_b64 exec, exec, s[6:7]
	s_waitcnt lgkmcnt(0)
	ds_bpermute_b32 v3, v16, v2
	v_lshlrev_b32_e32 v1, 2, v1
	v_and_b32_e32 v1, 0x100, v1
	s_waitcnt lgkmcnt(0)
	v_add_f32_e32 v2, v2, v3
	ds_bpermute_b32 v1, v1, v2
	s_and_saveexec_b64 s[2:3], s[4:5]
	s_cbranch_execz .LBB254_132
; %bb.130:
	s_waitcnt lgkmcnt(0)
	v_add_f32_e32 v2, 0x358637bd, v1
	v_div_scale_f32 v1, s[4:5], v2, v2, 1.0
	v_div_scale_f32 v3, vcc, 1.0, v2, 1.0
	s_mov_b64 s[4:5], 0
	v_rcp_f32_e32 v4, v1
	v_fma_f32 v5, -v1, v4, 1.0
	v_fmac_f32_e32 v4, v5, v4
	v_mul_f32_e32 v5, v3, v4
	v_fma_f32 v6, -v1, v5, v3
	v_fmac_f32_e32 v5, v6, v4
	v_fma_f32 v1, -v1, v5, v3
	v_div_fmas_f32 v3, v1, v4, v5
	v_mov_b32_e32 v1, 0x50
	v_lshl_add_u32 v1, v0, 2, v1
	v_div_fixup_f32 v2, v3, v2, 1.0
	v_mov_b32_e32 v3, v0
.LBB254_131:                            ; =>This Inner Loop Header: Depth=1
	ds_read_b32 v4, v1
	v_add_u32_e32 v3, 0x80, v3
	v_cmp_le_i32_e32 vcc, s37, v3
	s_or_b64 s[4:5], vcc, s[4:5]
	s_waitcnt lgkmcnt(0)
	v_mul_f32_e32 v4, v2, v4
	ds_write_b32 v1, v4
	v_add_u32_e32 v1, 0x200, v1
	s_andn2_b64 exec, exec, s[4:5]
	s_cbranch_execnz .LBB254_131
.LBB254_132:
	s_or_b64 exec, exec, s[2:3]
	v_mov_b32_e32 v19, 0
	v_and_b32_e32 v17, 3, v0
	v_mov_b32_e32 v20, 0
	s_waitcnt lgkmcnt(0)
	s_barrier
	s_and_saveexec_b64 s[2:3], s[0:1]
	s_cbranch_execz .LBB254_238
; %bb.133:
	s_sub_i32 s37, s16, s21
	s_ashr_i32 s0, s20, 31
	s_add_u32 s1, s34, s20
	s_addc_u32 s0, s35, s0
	s_abs_i32 s22, s22
	v_cvt_f32_u32_e32 v1, s22
	s_sub_i32 s6, 0, s22
	v_and_b32_e32 v3, 0x1f8, v10
	s_add_i32 s35, s47, -1
	v_rcp_iflag_f32_e32 v1, v1
	v_mov_b32_e32 v6, s0
	v_add_co_u32_e32 v3, vcc, s1, v3
	v_mul_f32_e32 v1, 0x4f7ffffe, v1
	v_cvt_u32_f32_e32 v1, v1
	s_lshl_b64 s[0:1], s[30:31], 2
	s_add_u32 s0, s28, s0
	v_and_b32_e32 v5, 60, v13
	v_mul_lo_u32 v4, s6, v1
	s_addc_u32 s1, s29, s1
	s_mov_b32 s4, -1
	v_and_b32_e32 v18, 24, v10
	v_mul_hi_u32 v7, v1, v4
	v_addc_co_u32_e32 v4, vcc, 0, v6, vcc
	v_add_co_u32_e32 v5, vcc, s0, v5
	v_add_u32_e32 v13, v1, v7
	v_mov_b32_e32 v1, s1
	v_addc_co_u32_e32 v6, vcc, 0, v1, vcc
	v_lshlrev_b32_e32 v1, 5, v17
	v_lshl_or_b32 v1, v11, 7, v1
	s_mov_b32 s34, s17
	s_mov_b32 s5, 0xffffff
	v_mov_b32_e32 v2, 0
	v_add_u32_e32 v21, 0x50, v1
	s_mov_b64 s[6:7], 0
	s_movk_i32 s28, 0x80
	s_movk_i32 s29, 0x7f
	s_mov_b32 s30, 0x8000
	v_mov_b32_e32 v22, 0x2000
	v_mov_b32_e32 v20, 0
	;; [unrolled: 1-line block ×3, first 2 shown]
	s_branch .LBB254_136
.LBB254_134:                            ;   in Loop: Header=BB254_136 Depth=1
	s_or_b64 exec, exec, s[0:1]
	v_add_f32_e32 v9, v33, v34
	;;#ASMSTART
	v_pk_mul_f16 v8, v32, v8;

	;;#ASMEND
	;;#ASMSTART
	v_pk_mul_f16 v1, v31, v1;

	;;#ASMEND
	v_add_f32_e32 v20, v20, v9
	;;#ASMSTART
	v_pk_mul_f16 v9, v30, v36;

	;;#ASMEND
	;;#ASMSTART
	v_pk_mul_f16 v7, v29, v7;

	;;#ASMEND
	;;#ASMSTART
	v_pk_add_f16 v1, v8, v1;

	;;#ASMEND
	;;#ASMSTART
	v_pk_add_f16 v1, v1, v9;
	;; [unrolled: 4-line block ×3, first 2 shown]

	;;#ASMEND
	v_lshrrev_b32_e32 v7, 16, v1
	v_and_b32_e32 v1, 0xffff, v1
	;;#ASMSTART
	v_cvt_f32_f16 v1, v1;
	;;#ASMEND
	;;#ASMSTART
	v_cvt_f32_f16 v7, v7;
	;;#ASMEND
	v_add_f32_e32 v1, v1, v7
	v_add_f32_e32 v19, v19, v1
.LBB254_135:                            ;   in Loop: Header=BB254_136 Depth=1
	s_or_b64 exec, exec, s[12:13]
	v_add_co_u32_e32 v5, vcc, 8, v5
	v_add_u32_e32 v11, 2, v11
	v_addc_co_u32_e32 v6, vcc, 0, v6, vcc
	v_cmp_le_i32_e32 vcc, s47, v11
	v_add_u32_e32 v12, 64, v12
	s_or_b64 s[6:7], vcc, s[6:7]
	v_add_u32_e32 v21, 0x100, v21
	s_andn2_b64 exec, exec, s[6:7]
	s_cbranch_execz .LBB254_237
.LBB254_136:                            ; =>This Inner Loop Header: Depth=1
	v_mul_hi_u32 v1, v12, s33
	v_mul_lo_u32 v7, v1, s25
	v_add_u32_e32 v8, 1, v1
	v_sub_u32_e32 v7, v12, v7
	v_cmp_le_u32_e32 vcc, s25, v7
	v_cndmask_b32_e32 v1, v1, v8, vcc
	v_subrev_u32_e32 v8, s25, v7
	v_cndmask_b32_e32 v7, v7, v8, vcc
	v_add_u32_e32 v8, 1, v1
	v_cmp_le_u32_e32 vcc, s25, v7
	v_cndmask_b32_e32 v1, v1, v8, vcc
	v_xor_b32_e32 v1, s46, v1
	v_subrev_u32_e32 v1, s46, v1
	v_add_u32_e32 v7, s36, v1
	v_sub_u32_e32 v8, 0, v7
	v_max_i32_e32 v8, v7, v8
	v_mul_hi_u32 v9, v8, v13
	v_ashrrev_i32_e32 v7, 31, v7
	v_cmp_lt_i32_e64 s[0:1], s37, v1
	v_mul_lo_u32 v9, v9, s22
	v_sub_u32_e32 v8, v8, v9
	v_subrev_u32_e32 v9, s22, v8
	v_cmp_le_u32_e32 vcc, s22, v8
	v_cndmask_b32_e32 v8, v8, v9, vcc
	v_subrev_u32_e32 v9, s22, v8
	v_cmp_le_u32_e32 vcc, s22, v8
	v_cndmask_b32_e32 v8, v8, v9, vcc
	v_xor_b32_e32 v8, v8, v7
	v_sub_u32_e32 v7, v8, v7
	v_cmp_eq_u32_e32 vcc, 0, v7
	s_or_b64 s[0:1], vcc, s[0:1]
	s_and_saveexec_b64 s[12:13], s[0:1]
	s_cbranch_execz .LBB254_135
; %bb.137:                              ;   in Loop: Header=BB254_136 Depth=1
	global_load_dword v1, v[5:6], off
	ds_read2_b64 v[7:10], v21 offset1:1
	ds_read2_b64 v[23:26], v21 offset0:2 offset1:3
	s_waitcnt lgkmcnt(1)
	;;#ASMSTART
	v_cvt_f16_f32 v29, v7;

	;;#ASMEND
	;;#ASMSTART
	v_cvt_f16_f32 v30, v8;

	;;#ASMEND
	;; [unrolled: 4-line block ×4, first 2 shown]
	s_waitcnt lgkmcnt(0)
	;;#ASMSTART
	v_cvt_f16_f32 v34, v23;

	;;#ASMEND
	;;#ASMSTART
	v_cvt_f16_f32 v35, v24;

	;;#ASMEND
	;; [unrolled: 4-line block ×4, first 2 shown]
	v_mov_b32_e32 v24, 0
	global_load_dword v23, v24, s[14:15]
	v_mov_b32_e32 v25, 0
	s_waitcnt vmcnt(1)
	v_mad_i64_i32 v[7:8], s[0:1], v1, s34, v[3:4]
	global_load_dwordx2 v[9:10], v[7:8], off
	s_waitcnt vmcnt(0)
	v_cmp_ne_u16_sdwa s[16:17], v9, v2 src0_sel:BYTE_0 src1_sel:DWORD
	s_and_saveexec_b64 s[0:1], s[16:17]
	s_cbranch_execz .LBB254_143
; %bb.138:                              ;   in Loop: Header=BB254_136 Depth=1
	v_cmp_ne_u16_sdwa s[18:19], v9, s28 src0_sel:BYTE_0 src1_sel:DWORD
	v_mov_b32_e32 v25, 0x8000
	s_and_saveexec_b64 s[16:17], s[18:19]
	s_cbranch_execz .LBB254_142
; %bb.139:                              ;   in Loop: Header=BB254_136 Depth=1
	v_and_b32_e32 v1, 0x7f, v9
	v_cmp_ne_u32_e32 vcc, s29, v1
	v_mov_b32_e32 v25, 0x7c01
	s_and_saveexec_b64 s[18:19], vcc
	s_cbranch_execz .LBB254_141
; %bb.140:                              ;   in Loop: Header=BB254_136 Depth=1
	v_and_b32_e32 v27, 7, v9
	v_ffbh_u32_e32 v25, v27
	v_min_u32_e32 v32, 32, v25
	v_subrev_u32_e32 v25, 28, v32
	v_lshlrev_b64 v[25:26], v25, v[9:10]
	v_lshrrev_b32_e32 v28, 3, v1
	v_sub_u32_e32 v26, 29, v32
	v_cmp_gt_u32_e32 vcc, 8, v1
	v_cndmask_b32_e32 v1, v28, v26, vcc
	v_lshl_add_u32 v1, v1, 10, v22
	v_lshlrev_b32_e32 v26, 8, v9
	v_and_b32_e32 v25, 7, v25
	v_and_b32_e32 v1, 0xfc00, v1
	v_cndmask_b32_e32 v25, v27, v25, vcc
	v_and_or_b32 v1, v26, s30, v1
	v_lshl_or_b32 v25, v25, 7, v1
.LBB254_141:                            ;   in Loop: Header=BB254_136 Depth=1
	s_or_b64 exec, exec, s[18:19]
.LBB254_142:                            ;   in Loop: Header=BB254_136 Depth=1
	s_or_b64 exec, exec, s[16:17]
.LBB254_143:                            ;   in Loop: Header=BB254_136 Depth=1
	s_or_b64 exec, exec, s[0:1]
	v_lshrrev_b16_e32 v1, 8, v9
	v_cmp_ne_u16_e32 vcc, 0, v1
	s_and_saveexec_b64 s[0:1], vcc
	s_cbranch_execz .LBB254_149
; %bb.144:                              ;   in Loop: Header=BB254_136 Depth=1
	v_cmp_ne_u16_e32 vcc, s28, v1
	v_bfrev_b32_e32 v24, 1
	s_and_saveexec_b64 s[16:17], vcc
	s_cbranch_execz .LBB254_148
; %bb.145:                              ;   in Loop: Header=BB254_136 Depth=1
	v_and_b32_e32 v26, 0x7f, v1
	v_cmp_ne_u32_e32 vcc, s29, v26
	v_mov_b32_e32 v24, 0x7c010000
	s_and_saveexec_b64 s[18:19], vcc
	s_cbranch_execz .LBB254_147
; %bb.146:                              ;   in Loop: Header=BB254_136 Depth=1
	v_and_b32_e32 v24, 7, v1
	v_ffbh_u32_e32 v27, v24
	v_min_u32_e32 v38, 32, v27
	v_subrev_u32_e32 v27, 28, v38
	v_lshlrev_b64 v[27:28], v27, v[1:2]
	v_lshrrev_b32_e32 v32, 3, v26
	v_sub_u32_e32 v28, 29, v38
	v_cmp_gt_u32_e32 vcc, 8, v26
	v_cndmask_b32_e32 v26, v32, v28, vcc
	v_lshlrev_b32_e32 v1, 8, v1
	v_lshl_add_u32 v26, v26, 10, v22
	v_and_b32_e32 v27, 7, v27
	v_and_or_b32 v1, v1, s30, v26
	v_cndmask_b32_e32 v24, v24, v27, vcc
	v_lshlrev_b32_e32 v1, 16, v1
	v_lshl_or_b32 v24, v24, 23, v1
.LBB254_147:                            ;   in Loop: Header=BB254_136 Depth=1
	s_or_b64 exec, exec, s[18:19]
.LBB254_148:                            ;   in Loop: Header=BB254_136 Depth=1
	s_or_b64 exec, exec, s[16:17]
.LBB254_149:                            ;   in Loop: Header=BB254_136 Depth=1
	s_or_b64 exec, exec, s[0:1]
	v_lshrrev_b32_e32 v1, 16, v9
	v_cmp_ne_u16_sdwa s[16:17], v1, v2 src0_sel:BYTE_0 src1_sel:DWORD
	v_mov_b32_e32 v26, 0
	v_mov_b32_e32 v27, 0
	s_and_saveexec_b64 s[0:1], s[16:17]
	s_cbranch_execz .LBB254_155
; %bb.150:                              ;   in Loop: Header=BB254_136 Depth=1
	v_cmp_ne_u16_sdwa s[18:19], v1, s28 src0_sel:BYTE_0 src1_sel:DWORD
	v_mov_b32_e32 v27, 0x8000
	s_and_saveexec_b64 s[16:17], s[18:19]
	s_cbranch_execz .LBB254_154
; %bb.151:                              ;   in Loop: Header=BB254_136 Depth=1
	v_bfe_u32 v28, v9, 16, 7
	v_cmp_ne_u32_e32 vcc, s29, v28
	v_mov_b32_e32 v27, 0x7c01
	s_and_saveexec_b64 s[18:19], vcc
	s_cbranch_execz .LBB254_153
; %bb.152:                              ;   in Loop: Header=BB254_136 Depth=1
	v_and_b32_e32 v27, 7, v1
	v_ffbh_u32_e32 v38, v27
	v_min_u32_e32 v40, 32, v38
	v_subrev_u32_e32 v38, 28, v40
	v_lshlrev_b64 v[38:39], v38, v[1:2]
	v_lshrrev_b32_e32 v32, 3, v28
	v_sub_u32_e32 v39, 29, v40
	v_cmp_gt_u32_e32 vcc, 8, v28
	v_cndmask_b32_e32 v28, v32, v39, vcc
	v_lshl_add_u32 v28, v28, 10, v22
	v_lshlrev_b32_e32 v1, 8, v1
	v_and_b32_e32 v32, 7, v38
	v_and_b32_e32 v28, 0xfc00, v28
	v_cndmask_b32_e32 v27, v27, v32, vcc
	v_and_or_b32 v1, v1, s30, v28
	v_lshl_or_b32 v27, v27, 7, v1
.LBB254_153:                            ;   in Loop: Header=BB254_136 Depth=1
	s_or_b64 exec, exec, s[18:19]
.LBB254_154:                            ;   in Loop: Header=BB254_136 Depth=1
	s_or_b64 exec, exec, s[16:17]
.LBB254_155:                            ;   in Loop: Header=BB254_136 Depth=1
	s_or_b64 exec, exec, s[0:1]
	v_cmp_lt_u32_e32 vcc, s5, v9
	s_and_saveexec_b64 s[0:1], vcc
	s_cbranch_execz .LBB254_161
; %bb.156:                              ;   in Loop: Header=BB254_136 Depth=1
	v_lshrrev_b32_e32 v1, 24, v9
	v_cmp_ne_u32_e32 vcc, s28, v1
	v_bfrev_b32_e32 v26, 1
	s_and_saveexec_b64 s[16:17], vcc
	s_cbranch_execz .LBB254_160
; %bb.157:                              ;   in Loop: Header=BB254_136 Depth=1
	v_and_b32_e32 v28, 0x7f, v1
	v_cmp_ne_u32_e32 vcc, s29, v28
	v_mov_b32_e32 v26, 0x7c010000
	s_and_saveexec_b64 s[18:19], vcc
	s_cbranch_execz .LBB254_159
; %bb.158:                              ;   in Loop: Header=BB254_136 Depth=1
	v_and_b32_e32 v26, 7, v1
	v_ffbh_u32_e32 v38, v26
	v_min_u32_e32 v40, 32, v38
	v_subrev_u32_e32 v38, 28, v40
	v_lshlrev_b64 v[38:39], v38, v[1:2]
	v_lshrrev_b32_e32 v32, 3, v28
	v_sub_u32_e32 v39, 29, v40
	v_cmp_gt_u32_e32 vcc, 8, v28
	v_cndmask_b32_e32 v28, v32, v39, vcc
	v_lshlrev_b32_e32 v1, 8, v1
	v_lshl_add_u32 v28, v28, 10, v22
	v_and_b32_e32 v32, 7, v38
	v_and_or_b32 v1, v1, s30, v28
	v_cndmask_b32_e32 v26, v26, v32, vcc
	v_lshlrev_b32_e32 v1, 16, v1
	v_lshl_or_b32 v26, v26, 23, v1
.LBB254_159:                            ;   in Loop: Header=BB254_136 Depth=1
	s_or_b64 exec, exec, s[18:19]
.LBB254_160:                            ;   in Loop: Header=BB254_136 Depth=1
	s_or_b64 exec, exec, s[16:17]
.LBB254_161:                            ;   in Loop: Header=BB254_136 Depth=1
	s_or_b64 exec, exec, s[0:1]
	v_mov_b32_e32 v1, v10
	v_cmp_ne_u16_sdwa s[16:17], v10, v2 src0_sel:BYTE_0 src1_sel:DWORD
	v_mov_b32_e32 v28, 0
	v_mov_b32_e32 v32, 0
	s_and_saveexec_b64 s[0:1], s[16:17]
	s_cbranch_execz .LBB254_167
; %bb.162:                              ;   in Loop: Header=BB254_136 Depth=1
	v_cmp_ne_u16_sdwa s[18:19], v10, s28 src0_sel:BYTE_0 src1_sel:DWORD
	v_mov_b32_e32 v32, 0x8000
	s_and_saveexec_b64 s[16:17], s[18:19]
	s_cbranch_execz .LBB254_166
; %bb.163:                              ;   in Loop: Header=BB254_136 Depth=1
	v_and_b32_e32 v38, 0x7f, v10
	v_cmp_ne_u32_e32 vcc, s29, v38
	v_mov_b32_e32 v32, 0x7c01
	s_and_saveexec_b64 s[18:19], vcc
	s_cbranch_execz .LBB254_165
; %bb.164:                              ;   in Loop: Header=BB254_136 Depth=1
	v_and_b32_e32 v32, 7, v10
	v_ffbh_u32_e32 v39, v32
	v_min_u32_e32 v42, 32, v39
	v_subrev_u32_e32 v39, 28, v42
	v_lshlrev_b64 v[39:40], v39, v[1:2]
	v_lshrrev_b32_e32 v41, 3, v38
	v_sub_u32_e32 v40, 29, v42
	v_cmp_gt_u32_e32 vcc, 8, v38
	v_cndmask_b32_e32 v38, v41, v40, vcc
	v_lshl_add_u32 v38, v38, 10, v22
	v_lshlrev_b32_e32 v40, 8, v10
	v_and_b32_e32 v39, 7, v39
	v_and_b32_e32 v38, 0xfc00, v38
	v_cndmask_b32_e32 v32, v32, v39, vcc
	v_and_or_b32 v38, v40, s30, v38
	v_lshl_or_b32 v32, v32, 7, v38
.LBB254_165:                            ;   in Loop: Header=BB254_136 Depth=1
	s_or_b64 exec, exec, s[18:19]
.LBB254_166:                            ;   in Loop: Header=BB254_136 Depth=1
	s_or_b64 exec, exec, s[16:17]
.LBB254_167:                            ;   in Loop: Header=BB254_136 Depth=1
	s_or_b64 exec, exec, s[0:1]
	v_lshrrev_b16_e32 v1, 8, v1
	v_cmp_ne_u16_e32 vcc, 0, v1
	v_mov_b32_e32 v38, 0
	s_and_saveexec_b64 s[0:1], vcc
	s_cbranch_execz .LBB254_173
; %bb.168:                              ;   in Loop: Header=BB254_136 Depth=1
	v_cmp_ne_u16_e32 vcc, s28, v1
	v_bfrev_b32_e32 v38, 1
	s_and_saveexec_b64 s[16:17], vcc
	s_cbranch_execz .LBB254_172
; %bb.169:                              ;   in Loop: Header=BB254_136 Depth=1
	v_and_b32_e32 v39, 0x7f, v1
	v_cmp_ne_u32_e32 vcc, s29, v39
	v_mov_b32_e32 v38, 0x7c010000
	s_and_saveexec_b64 s[18:19], vcc
	s_cbranch_execz .LBB254_171
; %bb.170:                              ;   in Loop: Header=BB254_136 Depth=1
	v_and_b32_e32 v38, 7, v1
	v_ffbh_u32_e32 v40, v38
	v_min_u32_e32 v43, 32, v40
	v_subrev_u32_e32 v40, 28, v43
	v_lshlrev_b64 v[40:41], v40, v[1:2]
	v_lshrrev_b32_e32 v42, 3, v39
	v_sub_u32_e32 v41, 29, v43
	v_cmp_gt_u32_e32 vcc, 8, v39
	v_cndmask_b32_e32 v39, v42, v41, vcc
	v_lshlrev_b32_e32 v1, 8, v1
	v_lshl_add_u32 v39, v39, 10, v22
	v_and_b32_e32 v40, 7, v40
	v_and_or_b32 v1, v1, s30, v39
	v_cndmask_b32_e32 v38, v38, v40, vcc
	v_lshlrev_b32_e32 v1, 16, v1
	v_lshl_or_b32 v38, v38, 23, v1
.LBB254_171:                            ;   in Loop: Header=BB254_136 Depth=1
	s_or_b64 exec, exec, s[18:19]
.LBB254_172:                            ;   in Loop: Header=BB254_136 Depth=1
	s_or_b64 exec, exec, s[16:17]
.LBB254_173:                            ;   in Loop: Header=BB254_136 Depth=1
	s_or_b64 exec, exec, s[0:1]
	v_lshrrev_b32_e32 v1, 16, v10
	v_cmp_ne_u16_sdwa s[16:17], v1, v2 src0_sel:BYTE_0 src1_sel:DWORD
	s_and_saveexec_b64 s[0:1], s[16:17]
	s_cbranch_execz .LBB254_179
; %bb.174:                              ;   in Loop: Header=BB254_136 Depth=1
	v_cmp_ne_u16_sdwa s[18:19], v1, s28 src0_sel:BYTE_0 src1_sel:DWORD
	v_mov_b32_e32 v28, 0x8000
	s_and_saveexec_b64 s[16:17], s[18:19]
	s_cbranch_execz .LBB254_178
; %bb.175:                              ;   in Loop: Header=BB254_136 Depth=1
	v_bfe_u32 v39, v10, 16, 7
	v_cmp_ne_u32_e32 vcc, s29, v39
	v_mov_b32_e32 v28, 0x7c01
	s_and_saveexec_b64 s[18:19], vcc
	s_cbranch_execz .LBB254_177
; %bb.176:                              ;   in Loop: Header=BB254_136 Depth=1
	v_and_b32_e32 v28, 7, v1
	v_ffbh_u32_e32 v40, v28
	v_min_u32_e32 v43, 32, v40
	v_subrev_u32_e32 v40, 28, v43
	v_lshlrev_b64 v[40:41], v40, v[1:2]
	v_lshrrev_b32_e32 v42, 3, v39
	v_sub_u32_e32 v41, 29, v43
	v_cmp_gt_u32_e32 vcc, 8, v39
	v_cndmask_b32_e32 v39, v42, v41, vcc
	v_lshl_add_u32 v39, v39, 10, v22
	v_lshlrev_b32_e32 v1, 8, v1
	v_and_b32_e32 v40, 7, v40
	v_and_b32_e32 v39, 0xfc00, v39
	v_cndmask_b32_e32 v28, v28, v40, vcc
	v_and_or_b32 v1, v1, s30, v39
	v_lshl_or_b32 v28, v28, 7, v1
.LBB254_177:                            ;   in Loop: Header=BB254_136 Depth=1
	s_or_b64 exec, exec, s[18:19]
.LBB254_178:                            ;   in Loop: Header=BB254_136 Depth=1
	s_or_b64 exec, exec, s[16:17]
.LBB254_179:                            ;   in Loop: Header=BB254_136 Depth=1
	s_or_b64 exec, exec, s[0:1]
	v_cmp_lt_u64_e32 vcc, s[4:5], v[9:10]
	v_mov_b32_e32 v40, 0
	s_and_saveexec_b64 s[0:1], vcc
	s_cbranch_execz .LBB254_185
; %bb.180:                              ;   in Loop: Header=BB254_136 Depth=1
	v_lshrrev_b32_e32 v1, 24, v10
	v_cmp_ne_u32_e32 vcc, s28, v1
	v_bfrev_b32_e32 v40, 1
	s_and_saveexec_b64 s[16:17], vcc
	s_cbranch_execz .LBB254_184
; %bb.181:                              ;   in Loop: Header=BB254_136 Depth=1
	v_and_b32_e32 v9, 0x7f, v1
	v_cmp_ne_u32_e32 vcc, s29, v9
	v_mov_b32_e32 v40, 0x7c010000
	s_and_saveexec_b64 s[18:19], vcc
	s_cbranch_execz .LBB254_183
; %bb.182:                              ;   in Loop: Header=BB254_136 Depth=1
	v_and_b32_e32 v10, 7, v1
	v_ffbh_u32_e32 v39, v10
	v_min_u32_e32 v42, 32, v39
	v_subrev_u32_e32 v39, 28, v42
	v_lshlrev_b64 v[39:40], v39, v[1:2]
	v_lshrrev_b32_e32 v41, 3, v9
	v_sub_u32_e32 v40, 29, v42
	v_cmp_gt_u32_e32 vcc, 8, v9
	v_cndmask_b32_e32 v9, v41, v40, vcc
	v_lshlrev_b32_e32 v1, 8, v1
	v_lshl_add_u32 v9, v9, 10, v22
	v_and_b32_e32 v39, 7, v39
	v_and_or_b32 v1, v1, s30, v9
	v_cndmask_b32_e32 v10, v10, v39, vcc
	v_lshlrev_b32_e32 v1, 16, v1
	v_lshl_or_b32 v40, v10, 23, v1
.LBB254_183:                            ;   in Loop: Header=BB254_136 Depth=1
	s_or_b64 exec, exec, s[18:19]
.LBB254_184:                            ;   in Loop: Header=BB254_136 Depth=1
	s_or_b64 exec, exec, s[16:17]
.LBB254_185:                            ;   in Loop: Header=BB254_136 Depth=1
	s_or_b64 exec, exec, s[0:1]
	v_fma_mixlo_f16 v10, v23, v26, 0 op_sel:[0,1,0] op_sel_hi:[0,1,0]
	v_lshlrev_b32_e32 v41, 16, v10
	v_or_b32_e32 v10, v24, v25
	v_fma_mixlo_f16 v10, v23, v10, 0 op_sel_hi:[0,1,0]
	v_and_b32_e32 v47, 0xffff, v10
	v_or_b32_e32 v10, v38, v32
	v_fma_mixlo_f16 v10, v23, v10, 0 op_sel_hi:[0,1,0]
	v_or_b32_e32 v1, v26, v27
	v_fma_mixlo_f16 v24, v23, v24, 0 op_sel:[0,1,0] op_sel_hi:[0,1,0]
	v_and_b32_e32 v45, 0xffff, v10
	v_or_b32_e32 v10, v40, v28
	v_fma_mixlo_f16 v1, v23, v1, 0 op_sel_hi:[0,1,0]
	v_lshlrev_b32_e32 v44, 16, v24
	v_fma_mixlo_f16 v24, v23, v38, 0 op_sel:[0,1,0] op_sel_hi:[0,1,0]
	v_fma_mixlo_f16 v10, v23, v10, 0 op_sel_hi:[0,1,0]
	v_fma_mixlo_f16 v23, v23, v40, 0 op_sel:[0,1,0] op_sel_hi:[0,1,0]
	v_add_u32_e32 v9, v18, v12
	v_and_b32_e32 v42, 0xffff, v1
	v_lshlrev_b32_e32 v32, 16, v24
	v_lshlrev_b32_e32 v43, 16, v23
	v_and_b32_e32 v46, 0xffff, v10
	v_cmp_eq_u32_e32 vcc, s35, v11
	v_or_b32_e32 v1, v41, v42
	v_or_b32_e32 v39, v44, v47
	;; [unrolled: 1-line block ×4, first 2 shown]
	v_add_u32_e32 v28, 1, v9
	v_add_u32_e32 v27, 2, v9
	;; [unrolled: 1-line block ×7, first 2 shown]
	s_and_saveexec_b64 s[16:17], vcc
	s_cbranch_execz .LBB254_187
; %bb.186:                              ;   in Loop: Header=BB254_136 Depth=1
	v_cmp_gt_i32_e64 s[0:1], s11, v9
	v_cndmask_b32_e64 v1, 0, v47, s[0:1]
	v_cmp_gt_i32_e64 s[0:1], s11, v28
	v_cndmask_b32_e64 v38, 0, v44, s[0:1]
	v_cmp_gt_i32_e64 s[0:1], s11, v27
	v_or_b32_e32 v39, v38, v1
	v_cndmask_b32_e64 v1, 0, v42, s[0:1]
	v_cmp_gt_i32_e64 s[0:1], s11, v26
	v_cndmask_b32_e64 v38, 0, v41, s[0:1]
	v_cmp_gt_i32_e64 s[0:1], s11, v25
	v_or_b32_e32 v1, v38, v1
	;; [unrolled: 5-line block ×3, first 2 shown]
	v_cndmask_b32_e64 v32, 0, v46, s[0:1]
	v_cmp_gt_i32_e64 s[0:1], s11, v10
	v_cndmask_b32_e64 v40, 0, v43, s[0:1]
	v_or_b32_e32 v40, v40, v32
.LBB254_187:                            ;   in Loop: Header=BB254_136 Depth=1
	s_or_b64 exec, exec, s[16:17]
	v_and_b32_e32 v29, 0xffff, v29
	v_lshl_or_b32 v32, v30, 16, v29
	v_and_b32_e32 v29, 0xffff, v31
	v_lshl_or_b32 v31, v33, 16, v29
	;; [unrolled: 2-line block ×3, first 2 shown]
	v_and_b32_e32 v29, 0xffff, v36
	;;#ASMSTART
	v_pk_mul_f16 v33, v32, v39;

	;;#ASMEND
	;;#ASMSTART
	v_pk_mul_f16 v1, v31, v1;

	;;#ASMEND
	v_lshl_or_b32 v29, v37, 16, v29
	;;#ASMSTART
	v_pk_mul_f16 v34, v30, v38;

	;;#ASMEND
	;;#ASMSTART
	v_pk_mul_f16 v35, v29, v40;

	;;#ASMEND
	;;#ASMSTART
	v_pk_add_f16 v1, v33, v1;

	;;#ASMEND
	;;#ASMSTART
	v_pk_add_f16 v1, v1, v34;
	;; [unrolled: 4-line block ×3, first 2 shown]

	;;#ASMEND
	v_lshrrev_b32_e32 v34, 16, v1
	v_and_b32_e32 v1, 0xffff, v1
	;;#ASMSTART
	v_cvt_f32_f16 v33, v1;
	;;#ASMEND
	;;#ASMSTART
	v_cvt_f32_f16 v34, v34;
	;;#ASMEND
	global_load_dwordx2 v[7:8], v[7:8], off offset:512
	v_mov_b32_e32 v36, 0
	global_load_dword v35, v36, s[14:15]
	v_mov_b32_e32 v37, 0
	s_waitcnt vmcnt(1)
	v_cmp_ne_u16_sdwa s[0:1], v7, v2 src0_sel:BYTE_0 src1_sel:DWORD
	s_and_saveexec_b64 s[16:17], s[0:1]
	s_cbranch_execz .LBB254_193
; %bb.188:                              ;   in Loop: Header=BB254_136 Depth=1
	v_cmp_ne_u16_sdwa s[0:1], v7, s28 src0_sel:BYTE_0 src1_sel:DWORD
	v_mov_b32_e32 v37, 0x8000
	s_and_saveexec_b64 s[18:19], s[0:1]
	s_cbranch_execz .LBB254_192
; %bb.189:                              ;   in Loop: Header=BB254_136 Depth=1
	v_and_b32_e32 v1, 0x7f, v7
	v_cmp_ne_u32_e64 s[0:1], s29, v1
	v_mov_b32_e32 v37, 0x7c01
	s_and_saveexec_b64 s[20:21], s[0:1]
	s_cbranch_execz .LBB254_191
; %bb.190:                              ;   in Loop: Header=BB254_136 Depth=1
	v_and_b32_e32 v39, 7, v7
	v_ffbh_u32_e32 v37, v39
	v_min_u32_e32 v41, 32, v37
	v_subrev_u32_e32 v37, 28, v41
	v_lshlrev_b64 v[37:38], v37, v[7:8]
	v_lshrrev_b32_e32 v40, 3, v1
	v_sub_u32_e32 v38, 29, v41
	v_cmp_gt_u32_e64 s[0:1], 8, v1
	v_cndmask_b32_e64 v1, v40, v38, s[0:1]
	v_lshl_add_u32 v1, v1, 10, v22
	v_lshlrev_b32_e32 v38, 8, v7
	v_and_b32_e32 v37, 7, v37
	v_and_b32_e32 v1, 0xfc00, v1
	v_cndmask_b32_e64 v37, v39, v37, s[0:1]
	v_and_or_b32 v1, v38, s30, v1
	v_lshl_or_b32 v37, v37, 7, v1
.LBB254_191:                            ;   in Loop: Header=BB254_136 Depth=1
	s_or_b64 exec, exec, s[20:21]
.LBB254_192:                            ;   in Loop: Header=BB254_136 Depth=1
	s_or_b64 exec, exec, s[18:19]
.LBB254_193:                            ;   in Loop: Header=BB254_136 Depth=1
	s_or_b64 exec, exec, s[16:17]
	v_lshrrev_b16_e32 v1, 8, v7
	v_cmp_ne_u16_e64 s[0:1], 0, v1
	s_and_saveexec_b64 s[16:17], s[0:1]
	s_cbranch_execz .LBB254_199
; %bb.194:                              ;   in Loop: Header=BB254_136 Depth=1
	v_cmp_ne_u16_e64 s[0:1], s28, v1
	v_bfrev_b32_e32 v36, 1
	s_and_saveexec_b64 s[18:19], s[0:1]
	s_cbranch_execz .LBB254_198
; %bb.195:                              ;   in Loop: Header=BB254_136 Depth=1
	v_and_b32_e32 v38, 0x7f, v1
	v_cmp_ne_u32_e64 s[0:1], s29, v38
	v_mov_b32_e32 v36, 0x7c010000
	s_and_saveexec_b64 s[20:21], s[0:1]
	s_cbranch_execz .LBB254_197
; %bb.196:                              ;   in Loop: Header=BB254_136 Depth=1
	v_and_b32_e32 v36, 7, v1
	v_ffbh_u32_e32 v39, v36
	v_min_u32_e32 v42, 32, v39
	v_subrev_u32_e32 v39, 28, v42
	v_lshlrev_b64 v[39:40], v39, v[1:2]
	v_lshrrev_b32_e32 v41, 3, v38
	v_sub_u32_e32 v40, 29, v42
	v_cmp_gt_u32_e64 s[0:1], 8, v38
	v_cndmask_b32_e64 v38, v41, v40, s[0:1]
	v_lshlrev_b32_e32 v1, 8, v1
	v_lshl_add_u32 v38, v38, 10, v22
	v_and_b32_e32 v39, 7, v39
	v_and_or_b32 v1, v1, s30, v38
	v_cndmask_b32_e64 v36, v36, v39, s[0:1]
	v_lshlrev_b32_e32 v1, 16, v1
	v_lshl_or_b32 v36, v36, 23, v1
.LBB254_197:                            ;   in Loop: Header=BB254_136 Depth=1
	s_or_b64 exec, exec, s[20:21]
.LBB254_198:                            ;   in Loop: Header=BB254_136 Depth=1
	s_or_b64 exec, exec, s[18:19]
.LBB254_199:                            ;   in Loop: Header=BB254_136 Depth=1
	s_or_b64 exec, exec, s[16:17]
	v_lshrrev_b32_e32 v1, 16, v7
	v_cmp_ne_u16_sdwa s[0:1], v1, v2 src0_sel:BYTE_0 src1_sel:DWORD
	v_mov_b32_e32 v38, 0
	v_mov_b32_e32 v39, 0
	s_and_saveexec_b64 s[16:17], s[0:1]
	s_cbranch_execz .LBB254_205
; %bb.200:                              ;   in Loop: Header=BB254_136 Depth=1
	v_cmp_ne_u16_sdwa s[0:1], v1, s28 src0_sel:BYTE_0 src1_sel:DWORD
	v_mov_b32_e32 v39, 0x8000
	s_and_saveexec_b64 s[18:19], s[0:1]
	s_cbranch_execz .LBB254_204
; %bb.201:                              ;   in Loop: Header=BB254_136 Depth=1
	v_bfe_u32 v40, v7, 16, 7
	v_cmp_ne_u32_e64 s[0:1], s29, v40
	v_mov_b32_e32 v39, 0x7c01
	s_and_saveexec_b64 s[20:21], s[0:1]
	s_cbranch_execz .LBB254_203
; %bb.202:                              ;   in Loop: Header=BB254_136 Depth=1
	v_and_b32_e32 v39, 7, v1
	v_ffbh_u32_e32 v41, v39
	v_min_u32_e32 v44, 32, v41
	v_subrev_u32_e32 v41, 28, v44
	v_lshlrev_b64 v[41:42], v41, v[1:2]
	v_lshrrev_b32_e32 v43, 3, v40
	v_sub_u32_e32 v42, 29, v44
	v_cmp_gt_u32_e64 s[0:1], 8, v40
	v_cndmask_b32_e64 v40, v43, v42, s[0:1]
	v_lshl_add_u32 v40, v40, 10, v22
	v_lshlrev_b32_e32 v1, 8, v1
	v_and_b32_e32 v41, 7, v41
	v_and_b32_e32 v40, 0xfc00, v40
	v_cndmask_b32_e64 v39, v39, v41, s[0:1]
	v_and_or_b32 v1, v1, s30, v40
	v_lshl_or_b32 v39, v39, 7, v1
.LBB254_203:                            ;   in Loop: Header=BB254_136 Depth=1
	s_or_b64 exec, exec, s[20:21]
.LBB254_204:                            ;   in Loop: Header=BB254_136 Depth=1
	s_or_b64 exec, exec, s[18:19]
.LBB254_205:                            ;   in Loop: Header=BB254_136 Depth=1
	s_or_b64 exec, exec, s[16:17]
	v_cmp_lt_u32_e64 s[0:1], s5, v7
	s_and_saveexec_b64 s[16:17], s[0:1]
	s_cbranch_execz .LBB254_211
; %bb.206:                              ;   in Loop: Header=BB254_136 Depth=1
	v_lshrrev_b32_e32 v1, 24, v7
	v_cmp_ne_u32_e64 s[0:1], s28, v1
	v_bfrev_b32_e32 v38, 1
	s_and_saveexec_b64 s[18:19], s[0:1]
	s_cbranch_execz .LBB254_210
; %bb.207:                              ;   in Loop: Header=BB254_136 Depth=1
	v_and_b32_e32 v40, 0x7f, v1
	v_cmp_ne_u32_e64 s[0:1], s29, v40
	v_mov_b32_e32 v38, 0x7c010000
	s_and_saveexec_b64 s[20:21], s[0:1]
	s_cbranch_execz .LBB254_209
; %bb.208:                              ;   in Loop: Header=BB254_136 Depth=1
	v_and_b32_e32 v38, 7, v1
	v_ffbh_u32_e32 v41, v38
	v_min_u32_e32 v44, 32, v41
	v_subrev_u32_e32 v41, 28, v44
	v_lshlrev_b64 v[41:42], v41, v[1:2]
	v_lshrrev_b32_e32 v43, 3, v40
	v_sub_u32_e32 v42, 29, v44
	v_cmp_gt_u32_e64 s[0:1], 8, v40
	v_cndmask_b32_e64 v40, v43, v42, s[0:1]
	v_lshlrev_b32_e32 v1, 8, v1
	v_lshl_add_u32 v40, v40, 10, v22
	v_and_b32_e32 v41, 7, v41
	v_and_or_b32 v1, v1, s30, v40
	v_cndmask_b32_e64 v38, v38, v41, s[0:1]
	v_lshlrev_b32_e32 v1, 16, v1
	v_lshl_or_b32 v38, v38, 23, v1
.LBB254_209:                            ;   in Loop: Header=BB254_136 Depth=1
	s_or_b64 exec, exec, s[20:21]
.LBB254_210:                            ;   in Loop: Header=BB254_136 Depth=1
	s_or_b64 exec, exec, s[18:19]
.LBB254_211:                            ;   in Loop: Header=BB254_136 Depth=1
	s_or_b64 exec, exec, s[16:17]
	v_mov_b32_e32 v1, v8
	v_cmp_ne_u16_sdwa s[0:1], v8, v2 src0_sel:BYTE_0 src1_sel:DWORD
	v_mov_b32_e32 v40, 0
	v_mov_b32_e32 v41, 0
	s_and_saveexec_b64 s[16:17], s[0:1]
	s_cbranch_execz .LBB254_217
; %bb.212:                              ;   in Loop: Header=BB254_136 Depth=1
	v_cmp_ne_u16_sdwa s[0:1], v8, s28 src0_sel:BYTE_0 src1_sel:DWORD
	v_mov_b32_e32 v41, 0x8000
	s_and_saveexec_b64 s[18:19], s[0:1]
	s_cbranch_execz .LBB254_216
; %bb.213:                              ;   in Loop: Header=BB254_136 Depth=1
	v_and_b32_e32 v42, 0x7f, v8
	v_cmp_ne_u32_e64 s[0:1], s29, v42
	v_mov_b32_e32 v41, 0x7c01
	s_and_saveexec_b64 s[20:21], s[0:1]
	s_cbranch_execz .LBB254_215
; %bb.214:                              ;   in Loop: Header=BB254_136 Depth=1
	v_and_b32_e32 v41, 7, v8
	v_ffbh_u32_e32 v43, v41
	v_min_u32_e32 v46, 32, v43
	v_subrev_u32_e32 v43, 28, v46
	v_lshlrev_b64 v[43:44], v43, v[1:2]
	v_lshrrev_b32_e32 v45, 3, v42
	v_sub_u32_e32 v44, 29, v46
	v_cmp_gt_u32_e64 s[0:1], 8, v42
	v_cndmask_b32_e64 v42, v45, v44, s[0:1]
	v_lshl_add_u32 v42, v42, 10, v22
	v_lshlrev_b32_e32 v44, 8, v8
	v_and_b32_e32 v43, 7, v43
	v_and_b32_e32 v42, 0xfc00, v42
	v_cndmask_b32_e64 v41, v41, v43, s[0:1]
	v_and_or_b32 v42, v44, s30, v42
	v_lshl_or_b32 v41, v41, 7, v42
.LBB254_215:                            ;   in Loop: Header=BB254_136 Depth=1
	s_or_b64 exec, exec, s[20:21]
.LBB254_216:                            ;   in Loop: Header=BB254_136 Depth=1
	s_or_b64 exec, exec, s[18:19]
.LBB254_217:                            ;   in Loop: Header=BB254_136 Depth=1
	s_or_b64 exec, exec, s[16:17]
	v_lshrrev_b16_e32 v1, 8, v1
	v_cmp_ne_u16_e64 s[0:1], 0, v1
	v_mov_b32_e32 v42, 0
	s_and_saveexec_b64 s[16:17], s[0:1]
	s_cbranch_execz .LBB254_223
; %bb.218:                              ;   in Loop: Header=BB254_136 Depth=1
	v_cmp_ne_u16_e64 s[0:1], s28, v1
	v_bfrev_b32_e32 v42, 1
	s_and_saveexec_b64 s[18:19], s[0:1]
	s_cbranch_execz .LBB254_222
; %bb.219:                              ;   in Loop: Header=BB254_136 Depth=1
	v_and_b32_e32 v43, 0x7f, v1
	v_cmp_ne_u32_e64 s[0:1], s29, v43
	v_mov_b32_e32 v42, 0x7c010000
	s_and_saveexec_b64 s[20:21], s[0:1]
	s_cbranch_execz .LBB254_221
; %bb.220:                              ;   in Loop: Header=BB254_136 Depth=1
	v_and_b32_e32 v42, 7, v1
	v_ffbh_u32_e32 v44, v42
	v_min_u32_e32 v47, 32, v44
	v_subrev_u32_e32 v44, 28, v47
	v_lshlrev_b64 v[44:45], v44, v[1:2]
	v_lshrrev_b32_e32 v46, 3, v43
	v_sub_u32_e32 v45, 29, v47
	v_cmp_gt_u32_e64 s[0:1], 8, v43
	v_cndmask_b32_e64 v43, v46, v45, s[0:1]
	v_lshlrev_b32_e32 v1, 8, v1
	v_lshl_add_u32 v43, v43, 10, v22
	v_and_b32_e32 v44, 7, v44
	v_and_or_b32 v1, v1, s30, v43
	v_cndmask_b32_e64 v42, v42, v44, s[0:1]
	v_lshlrev_b32_e32 v1, 16, v1
	v_lshl_or_b32 v42, v42, 23, v1
.LBB254_221:                            ;   in Loop: Header=BB254_136 Depth=1
	s_or_b64 exec, exec, s[20:21]
.LBB254_222:                            ;   in Loop: Header=BB254_136 Depth=1
	s_or_b64 exec, exec, s[18:19]
.LBB254_223:                            ;   in Loop: Header=BB254_136 Depth=1
	s_or_b64 exec, exec, s[16:17]
	v_lshrrev_b32_e32 v1, 16, v8
	v_cmp_ne_u16_sdwa s[0:1], v1, v2 src0_sel:BYTE_0 src1_sel:DWORD
	s_and_saveexec_b64 s[16:17], s[0:1]
	s_cbranch_execz .LBB254_229
; %bb.224:                              ;   in Loop: Header=BB254_136 Depth=1
	v_cmp_ne_u16_sdwa s[0:1], v1, s28 src0_sel:BYTE_0 src1_sel:DWORD
	v_mov_b32_e32 v40, 0x8000
	s_and_saveexec_b64 s[18:19], s[0:1]
	s_cbranch_execz .LBB254_228
; %bb.225:                              ;   in Loop: Header=BB254_136 Depth=1
	v_bfe_u32 v43, v8, 16, 7
	v_cmp_ne_u32_e64 s[0:1], s29, v43
	v_mov_b32_e32 v40, 0x7c01
	s_and_saveexec_b64 s[20:21], s[0:1]
	s_cbranch_execz .LBB254_227
; %bb.226:                              ;   in Loop: Header=BB254_136 Depth=1
	v_and_b32_e32 v40, 7, v1
	v_ffbh_u32_e32 v44, v40
	v_min_u32_e32 v47, 32, v44
	v_subrev_u32_e32 v44, 28, v47
	v_lshlrev_b64 v[44:45], v44, v[1:2]
	v_lshrrev_b32_e32 v46, 3, v43
	v_sub_u32_e32 v45, 29, v47
	v_cmp_gt_u32_e64 s[0:1], 8, v43
	v_cndmask_b32_e64 v43, v46, v45, s[0:1]
	v_lshl_add_u32 v43, v43, 10, v22
	v_lshlrev_b32_e32 v1, 8, v1
	v_and_b32_e32 v44, 7, v44
	v_and_b32_e32 v43, 0xfc00, v43
	v_cndmask_b32_e64 v40, v40, v44, s[0:1]
	v_and_or_b32 v1, v1, s30, v43
	v_lshl_or_b32 v40, v40, 7, v1
.LBB254_227:                            ;   in Loop: Header=BB254_136 Depth=1
	s_or_b64 exec, exec, s[20:21]
.LBB254_228:                            ;   in Loop: Header=BB254_136 Depth=1
	s_or_b64 exec, exec, s[18:19]
.LBB254_229:                            ;   in Loop: Header=BB254_136 Depth=1
	s_or_b64 exec, exec, s[16:17]
	v_cmp_lt_u64_e64 s[0:1], s[4:5], v[7:8]
	v_mov_b32_e32 v7, 0
	s_and_saveexec_b64 s[16:17], s[0:1]
	s_cbranch_execz .LBB254_235
; %bb.230:                              ;   in Loop: Header=BB254_136 Depth=1
	v_lshrrev_b32_e32 v1, 24, v8
	v_cmp_ne_u32_e64 s[0:1], s28, v1
	v_bfrev_b32_e32 v7, 1
	s_and_saveexec_b64 s[18:19], s[0:1]
	s_cbranch_execz .LBB254_234
; %bb.231:                              ;   in Loop: Header=BB254_136 Depth=1
	v_and_b32_e32 v8, 0x7f, v1
	v_cmp_ne_u32_e64 s[0:1], s29, v8
	v_mov_b32_e32 v7, 0x7c010000
	s_and_saveexec_b64 s[20:21], s[0:1]
	s_cbranch_execz .LBB254_233
; %bb.232:                              ;   in Loop: Header=BB254_136 Depth=1
	v_and_b32_e32 v7, 7, v1
	v_ffbh_u32_e32 v43, v7
	v_min_u32_e32 v46, 32, v43
	v_subrev_u32_e32 v43, 28, v46
	v_lshlrev_b64 v[43:44], v43, v[1:2]
	v_lshrrev_b32_e32 v45, 3, v8
	v_sub_u32_e32 v44, 29, v46
	v_cmp_gt_u32_e64 s[0:1], 8, v8
	v_cndmask_b32_e64 v8, v45, v44, s[0:1]
	v_lshlrev_b32_e32 v1, 8, v1
	v_lshl_add_u32 v8, v8, 10, v22
	v_and_b32_e32 v43, 7, v43
	v_and_or_b32 v1, v1, s30, v8
	v_cndmask_b32_e64 v7, v7, v43, s[0:1]
	v_lshlrev_b32_e32 v1, 16, v1
	v_lshl_or_b32 v7, v7, 23, v1
.LBB254_233:                            ;   in Loop: Header=BB254_136 Depth=1
	s_or_b64 exec, exec, s[20:21]
.LBB254_234:                            ;   in Loop: Header=BB254_136 Depth=1
	s_or_b64 exec, exec, s[18:19]
.LBB254_235:                            ;   in Loop: Header=BB254_136 Depth=1
	s_or_b64 exec, exec, s[16:17]
	s_waitcnt vmcnt(0)
	v_fma_mixlo_f16 v8, v35, v38, 0 op_sel:[0,1,0] op_sel_hi:[0,1,0]
	v_or_b32_e32 v1, v38, v39
	v_lshlrev_b32_e32 v38, 16, v8
	v_or_b32_e32 v8, v36, v37
	v_fma_mixlo_f16 v36, v35, v36, 0 op_sel:[0,1,0] op_sel_hi:[0,1,0]
	v_lshlrev_b32_e32 v43, 16, v36
	v_or_b32_e32 v36, v42, v41
	v_or_b32_e32 v40, v7, v40
	v_fma_mixlo_f16 v1, v35, v1, 0 op_sel_hi:[0,1,0]
	v_fma_mixlo_f16 v8, v35, v8, 0 op_sel_hi:[0,1,0]
	v_fma_mixlo_f16 v37, v35, v42, 0 op_sel:[0,1,0] op_sel_hi:[0,1,0]
	v_fma_mixlo_f16 v36, v35, v36, 0 op_sel_hi:[0,1,0]
	v_fma_mixlo_f16 v40, v35, v40, 0 op_sel_hi:[0,1,0]
	v_fma_mixlo_f16 v7, v35, v7, 0 op_sel:[0,1,0] op_sel_hi:[0,1,0]
	v_and_b32_e32 v39, 0xffff, v1
	v_and_b32_e32 v44, 0xffff, v8
	v_lshlrev_b32_e32 v37, 16, v37
	v_and_b32_e32 v41, 0xffff, v36
	v_lshlrev_b32_e32 v35, 16, v7
	v_and_b32_e32 v40, 0xffff, v40
	v_or_b32_e32 v1, v38, v39
	v_or_b32_e32 v8, v43, v44
	;; [unrolled: 1-line block ×4, first 2 shown]
	s_and_saveexec_b64 s[0:1], vcc
	s_cbranch_execz .LBB254_134
; %bb.236:                              ;   in Loop: Header=BB254_136 Depth=1
	v_cmp_gt_i32_e32 vcc, s11, v9
	v_cndmask_b32_e32 v1, 0, v44, vcc
	v_cmp_gt_i32_e32 vcc, s11, v28
	v_cndmask_b32_e32 v7, 0, v43, vcc
	v_cmp_gt_i32_e32 vcc, s11, v27
	v_or_b32_e32 v8, v7, v1
	v_cndmask_b32_e32 v1, 0, v39, vcc
	v_cmp_gt_i32_e32 vcc, s11, v26
	v_cndmask_b32_e32 v7, 0, v38, vcc
	v_cmp_gt_i32_e32 vcc, s11, v25
	v_or_b32_e32 v1, v7, v1
	;; [unrolled: 5-line block ×3, first 2 shown]
	v_cndmask_b32_e32 v7, 0, v40, vcc
	v_cmp_gt_i32_e32 vcc, s11, v10
	v_cndmask_b32_e32 v9, 0, v35, vcc
	v_or_b32_e32 v7, v9, v7
	s_branch .LBB254_134
.LBB254_237:
	s_or_b64 exec, exec, s[6:7]
.LBB254_238:
	s_or_b64 exec, exec, s[2:3]
	ds_bpermute_b32 v1, v15, v20
	ds_bpermute_b32 v2, v15, v19
	v_and_b32_e32 v3, 0x3c3, v0
	v_cmp_eq_u32_e32 vcc, 64, v3
	s_waitcnt lgkmcnt(0)
	v_add_f32_e32 v1, v20, v1
	v_add_f32_e32 v4, v19, v2
	ds_bpermute_b32 v2, v16, v1
	ds_bpermute_b32 v5, v16, v4
	s_waitcnt lgkmcnt(0)
	s_barrier
	v_add_f32_e32 v2, v1, v2
	v_add_f32_e32 v1, v4, v5
	s_and_saveexec_b64 s[0:1], vcc
; %bb.239:
	v_add_u32_e32 v4, 0x50, v14
	ds_write2_b32 v4, v2, v1 offset1:16
; %bb.240:
	s_or_b64 exec, exec, s[0:1]
	v_cmp_gt_u32_e32 vcc, 64, v0
	v_lshrrev_b32_e32 v0, 2, v0
	s_waitcnt lgkmcnt(0)
	s_barrier
	s_and_saveexec_b64 s[0:1], vcc
	s_cbranch_execz .LBB254_246
; %bb.241:
	v_mov_b32_e32 v4, 0x50
	v_cmp_eq_u32_e32 vcc, 0, v17
	v_lshl_add_u32 v4, v0, 2, v4
	s_and_saveexec_b64 s[2:3], vcc
	s_cbranch_execz .LBB254_243
; %bb.242:
	ds_read_b32 v5, v4
	s_waitcnt lgkmcnt(0)
	v_add_f32_e32 v2, v2, v5
.LBB254_243:
	s_or_b64 exec, exec, s[2:3]
	s_and_saveexec_b64 s[2:3], vcc
	s_cbranch_execz .LBB254_245
; %bb.244:
	ds_read_b32 v4, v4 offset:64
	s_waitcnt lgkmcnt(0)
	v_add_f32_e32 v1, v1, v4
.LBB254_245:
	s_or_b64 exec, exec, s[2:3]
.LBB254_246:
	s_or_b64 exec, exec, s[0:1]
	v_cmp_eq_u32_e32 vcc, 0, v3
	s_barrier
	s_and_saveexec_b64 s[0:1], vcc
	s_cbranch_execz .LBB254_248
; %bb.247:
	s_mul_i32 s0, s10, s23
	s_mul_i32 s0, s0, s9
	s_lshl_b32 s0, s0, 5
	s_ashr_i32 s1, s0, 31
	s_lshl_b64 s[0:1], s[0:1], 1
	s_add_u32 s2, s26, s0
	s_mul_i32 s0, s23, s24
	s_addc_u32 s3, s27, s1
	s_ashr_i32 s1, s0, 31
	s_lshl_b64 s[0:1], s[0:1], 1
	s_add_u32 s2, s2, s0
	s_addc_u32 s3, s3, s1
	s_lshl_b32 s0, s8, 5
	s_ashr_i32 s1, s0, 31
	s_lshl_b64 s[0:1], s[0:1], 1
	s_add_u32 s0, s2, s0
	s_addc_u32 s1, s3, s1
	v_lshlrev_b32_e32 v0, 1, v0
	;;#ASMSTART
	v_cvt_f16_f32 v2, v2;

	;;#ASMEND
	global_store_short v0, v2, s[0:1]
	;;#ASMSTART
	v_cvt_f16_f32 v1, v1;

	;;#ASMEND
	global_store_short v0, v1, s[0:1] offset:32
.LBB254_248:
	s_endpgm
	.section	.rodata,"a",@progbits
	.p2align	6, 0x0
	.amdhsa_kernel _ZN4vllm25paged_attention_v1_kernelIthLi32ELi32ELi128ELNS_18Fp8KVCacheDataTypeE1ELb1EEEvPT_PKS2_PKT0_S8_ifPKiSA_iPKfiiiSC_SC_iiiii
		.amdhsa_group_segment_fixed_size 80
		.amdhsa_private_segment_fixed_size 0
		.amdhsa_kernarg_size 384
		.amdhsa_user_sgpr_count 6
		.amdhsa_user_sgpr_private_segment_buffer 1
		.amdhsa_user_sgpr_dispatch_ptr 0
		.amdhsa_user_sgpr_queue_ptr 0
		.amdhsa_user_sgpr_kernarg_segment_ptr 1
		.amdhsa_user_sgpr_dispatch_id 0
		.amdhsa_user_sgpr_flat_scratch_init 0
		.amdhsa_user_sgpr_private_segment_size 0
		.amdhsa_uses_dynamic_stack 0
		.amdhsa_system_sgpr_private_segment_wavefront_offset 0
		.amdhsa_system_sgpr_workgroup_id_x 1
		.amdhsa_system_sgpr_workgroup_id_y 1
		.amdhsa_system_sgpr_workgroup_id_z 1
		.amdhsa_system_sgpr_workgroup_info 0
		.amdhsa_system_vgpr_workitem_id 0
		.amdhsa_next_free_vgpr 48
		.amdhsa_next_free_sgpr 56
		.amdhsa_reserve_vcc 1
		.amdhsa_reserve_flat_scratch 0
		.amdhsa_float_round_mode_32 0
		.amdhsa_float_round_mode_16_64 0
		.amdhsa_float_denorm_mode_32 3
		.amdhsa_float_denorm_mode_16_64 3
		.amdhsa_dx10_clamp 1
		.amdhsa_ieee_mode 1
		.amdhsa_fp16_overflow 0
		.amdhsa_exception_fp_ieee_invalid_op 0
		.amdhsa_exception_fp_denorm_src 0
		.amdhsa_exception_fp_ieee_div_zero 0
		.amdhsa_exception_fp_ieee_overflow 0
		.amdhsa_exception_fp_ieee_underflow 0
		.amdhsa_exception_fp_ieee_inexact 0
		.amdhsa_exception_int_div_zero 0
	.end_amdhsa_kernel
	.section	.text._ZN4vllm25paged_attention_v1_kernelIthLi32ELi32ELi128ELNS_18Fp8KVCacheDataTypeE1ELb1EEEvPT_PKS2_PKT0_S8_ifPKiSA_iPKfiiiSC_SC_iiiii,"axG",@progbits,_ZN4vllm25paged_attention_v1_kernelIthLi32ELi32ELi128ELNS_18Fp8KVCacheDataTypeE1ELb1EEEvPT_PKS2_PKT0_S8_ifPKiSA_iPKfiiiSC_SC_iiiii,comdat
.Lfunc_end254:
	.size	_ZN4vllm25paged_attention_v1_kernelIthLi32ELi32ELi128ELNS_18Fp8KVCacheDataTypeE1ELb1EEEvPT_PKS2_PKT0_S8_ifPKiSA_iPKfiiiSC_SC_iiiii, .Lfunc_end254-_ZN4vllm25paged_attention_v1_kernelIthLi32ELi32ELi128ELNS_18Fp8KVCacheDataTypeE1ELb1EEEvPT_PKS2_PKT0_S8_ifPKiSA_iPKfiiiSC_SC_iiiii
                                        ; -- End function
	.set _ZN4vllm25paged_attention_v1_kernelIthLi32ELi32ELi128ELNS_18Fp8KVCacheDataTypeE1ELb1EEEvPT_PKS2_PKT0_S8_ifPKiSA_iPKfiiiSC_SC_iiiii.num_vgpr, 48
	.set _ZN4vllm25paged_attention_v1_kernelIthLi32ELi32ELi128ELNS_18Fp8KVCacheDataTypeE1ELb1EEEvPT_PKS2_PKT0_S8_ifPKiSA_iPKfiiiSC_SC_iiiii.num_agpr, 0
	.set _ZN4vllm25paged_attention_v1_kernelIthLi32ELi32ELi128ELNS_18Fp8KVCacheDataTypeE1ELb1EEEvPT_PKS2_PKT0_S8_ifPKiSA_iPKfiiiSC_SC_iiiii.numbered_sgpr, 56
	.set _ZN4vllm25paged_attention_v1_kernelIthLi32ELi32ELi128ELNS_18Fp8KVCacheDataTypeE1ELb1EEEvPT_PKS2_PKT0_S8_ifPKiSA_iPKfiiiSC_SC_iiiii.num_named_barrier, 0
	.set _ZN4vllm25paged_attention_v1_kernelIthLi32ELi32ELi128ELNS_18Fp8KVCacheDataTypeE1ELb1EEEvPT_PKS2_PKT0_S8_ifPKiSA_iPKfiiiSC_SC_iiiii.private_seg_size, 0
	.set _ZN4vllm25paged_attention_v1_kernelIthLi32ELi32ELi128ELNS_18Fp8KVCacheDataTypeE1ELb1EEEvPT_PKS2_PKT0_S8_ifPKiSA_iPKfiiiSC_SC_iiiii.uses_vcc, 1
	.set _ZN4vllm25paged_attention_v1_kernelIthLi32ELi32ELi128ELNS_18Fp8KVCacheDataTypeE1ELb1EEEvPT_PKS2_PKT0_S8_ifPKiSA_iPKfiiiSC_SC_iiiii.uses_flat_scratch, 0
	.set _ZN4vllm25paged_attention_v1_kernelIthLi32ELi32ELi128ELNS_18Fp8KVCacheDataTypeE1ELb1EEEvPT_PKS2_PKT0_S8_ifPKiSA_iPKfiiiSC_SC_iiiii.has_dyn_sized_stack, 0
	.set _ZN4vllm25paged_attention_v1_kernelIthLi32ELi32ELi128ELNS_18Fp8KVCacheDataTypeE1ELb1EEEvPT_PKS2_PKT0_S8_ifPKiSA_iPKfiiiSC_SC_iiiii.has_recursion, 0
	.set _ZN4vllm25paged_attention_v1_kernelIthLi32ELi32ELi128ELNS_18Fp8KVCacheDataTypeE1ELb1EEEvPT_PKS2_PKT0_S8_ifPKiSA_iPKfiiiSC_SC_iiiii.has_indirect_call, 0
	.section	.AMDGPU.csdata,"",@progbits
; Kernel info:
; codeLenInByte = 10596
; TotalNumSgprs: 60
; NumVgprs: 48
; ScratchSize: 0
; MemoryBound: 0
; FloatMode: 240
; IeeeMode: 1
; LDSByteSize: 80 bytes/workgroup (compile time only)
; SGPRBlocks: 7
; VGPRBlocks: 11
; NumSGPRsForWavesPerEU: 60
; NumVGPRsForWavesPerEU: 48
; Occupancy: 5
; WaveLimiterHint : 1
; COMPUTE_PGM_RSRC2:SCRATCH_EN: 0
; COMPUTE_PGM_RSRC2:USER_SGPR: 6
; COMPUTE_PGM_RSRC2:TRAP_HANDLER: 0
; COMPUTE_PGM_RSRC2:TGID_X_EN: 1
; COMPUTE_PGM_RSRC2:TGID_Y_EN: 1
; COMPUTE_PGM_RSRC2:TGID_Z_EN: 1
; COMPUTE_PGM_RSRC2:TIDIG_COMP_CNT: 0
	.section	.text._ZN4vllm25paged_attention_v1_kernelIthLi64ELi32ELi128ELNS_18Fp8KVCacheDataTypeE1ELb1EEEvPT_PKS2_PKT0_S8_ifPKiSA_iPKfiiiSC_SC_iiiii,"axG",@progbits,_ZN4vllm25paged_attention_v1_kernelIthLi64ELi32ELi128ELNS_18Fp8KVCacheDataTypeE1ELb1EEEvPT_PKS2_PKT0_S8_ifPKiSA_iPKfiiiSC_SC_iiiii,comdat
	.protected	_ZN4vllm25paged_attention_v1_kernelIthLi64ELi32ELi128ELNS_18Fp8KVCacheDataTypeE1ELb1EEEvPT_PKS2_PKT0_S8_ifPKiSA_iPKfiiiSC_SC_iiiii ; -- Begin function _ZN4vllm25paged_attention_v1_kernelIthLi64ELi32ELi128ELNS_18Fp8KVCacheDataTypeE1ELb1EEEvPT_PKS2_PKT0_S8_ifPKiSA_iPKfiiiSC_SC_iiiii
	.globl	_ZN4vllm25paged_attention_v1_kernelIthLi64ELi32ELi128ELNS_18Fp8KVCacheDataTypeE1ELb1EEEvPT_PKS2_PKT0_S8_ifPKiSA_iPKfiiiSC_SC_iiiii
	.p2align	8
	.type	_ZN4vllm25paged_attention_v1_kernelIthLi64ELi32ELi128ELNS_18Fp8KVCacheDataTypeE1ELb1EEEvPT_PKS2_PKT0_S8_ifPKiSA_iPKfiiiSC_SC_iiiii,@function
_ZN4vllm25paged_attention_v1_kernelIthLi64ELi32ELi128ELNS_18Fp8KVCacheDataTypeE1ELb1EEEvPT_PKS2_PKT0_S8_ifPKiSA_iPKfiiiSC_SC_iiiii: ; @_ZN4vllm25paged_attention_v1_kernelIthLi64ELi32ELi128ELNS_18Fp8KVCacheDataTypeE1ELb1EEEvPT_PKS2_PKT0_S8_ifPKiSA_iPKfiiiSC_SC_iiiii
; %bb.0:
	s_load_dword s9, s[4:5], 0x80
	s_load_dwordx2 s[0:1], s[4:5], 0x30
	s_load_dwordx2 s[36:37], s[4:5], 0x20
	s_mov_b32 s10, s7
	s_ashr_i32 s11, s7, 31
	s_lshl_b64 s[2:3], s[10:11], 2
	s_waitcnt lgkmcnt(0)
	s_add_u32 s0, s0, s2
	s_addc_u32 s1, s1, s3
	s_abs_i32 s2, s36
	v_cvt_f32_u32_e32 v1, s2
	s_sub_i32 s11, 0, s2
	s_abs_i32 s7, s9
	s_xor_b32 s3, s9, s36
	v_rcp_iflag_f32_e32 v1, v1
	s_ashr_i32 s3, s3, 31
	s_mov_b32 s48, 0
	v_mul_f32_e32 v1, 0x4f7ffffe, v1
	v_cvt_u32_f32_e32 v1, v1
	v_readfirstlane_b32 s12, v1
	s_mul_i32 s11, s11, s12
	s_mul_hi_u32 s11, s12, s11
	s_add_i32 s12, s12, s11
	s_mul_hi_u32 s11, s7, s12
	s_mul_i32 s12, s11, s2
	s_sub_i32 s7, s7, s12
	s_add_i32 s12, s11, 1
	s_sub_i32 s13, s7, s2
	s_cmp_ge_u32 s7, s2
	s_cselect_b32 s11, s12, s11
	s_cselect_b32 s7, s13, s7
	s_add_i32 s12, s11, 1
	s_cmp_ge_u32 s7, s2
	s_cselect_b32 s2, s12, s11
	s_xor_b32 s2, s2, s3
	s_sub_i32 s14, s2, s3
	s_abs_i32 s11, s14
	v_cvt_f32_u32_e32 v1, s11
	s_load_dwordx2 s[2:3], s[4:5], 0x40
	s_sub_i32 s7, 0, s11
	s_abs_i32 s12, s6
	v_rcp_iflag_f32_e32 v1, v1
	v_mul_f32_e32 v1, 0x4f7ffffe, v1
	v_cvt_u32_f32_e32 v1, v1
	v_readfirstlane_b32 s13, v1
	s_mul_i32 s7, s7, s13
	s_mul_hi_u32 s7, s13, s7
	s_add_i32 s13, s13, s7
	s_waitcnt lgkmcnt(0)
	s_cmp_eq_u64 s[2:3], 0
	s_mul_hi_u32 s13, s12, s13
	s_cbranch_scc1 .LBB255_2
; %bb.1:
	s_ashr_i32 s7, s6, 31
	s_lshl_b64 s[16:17], s[6:7], 2
	s_add_u32 s2, s2, s16
	s_addc_u32 s3, s3, s17
	s_load_dword s48, s[2:3], 0x0
.LBB255_2:
	s_load_dword s33, s[0:1], 0x0
	s_load_dwordx4 s[16:19], s[4:5], 0x48
	s_ashr_i32 s2, s6, 31
	s_ashr_i32 s7, s14, 31
	v_and_b32_e32 v1, 1, v0
	s_lshl_b32 s24, s6, 6
	v_cmp_gt_u32_e32 vcc, 16, v0
	v_lshlrev_b32_e32 v10, 3, v0
	s_and_saveexec_b64 s[0:1], vcc
	s_cbranch_execz .LBB255_4
; %bb.3:
	s_load_dwordx2 s[14:15], s[4:5], 0x8
	s_waitcnt lgkmcnt(0)
	s_mul_i32 s20, s16, s10
	s_ashr_i32 s21, s20, 31
	s_lshl_b64 s[20:21], s[20:21], 1
	v_lshlrev_b32_e32 v4, 2, v0
	s_add_u32 s3, s14, s20
	s_addc_u32 s16, s15, s21
	s_ashr_i32 s25, s24, 31
	s_lshl_b64 s[14:15], s[24:25], 1
	s_add_u32 s14, s3, s14
	s_addc_u32 s15, s16, s15
	global_load_dwordx2 v[2:3], v10, s[14:15]
	v_and_b32_e32 v4, 0xff8, v4
	v_lshl_add_u32 v4, v1, 6, v4
	s_waitcnt vmcnt(0)
	ds_write_b64 v4, v[2:3]
.LBB255_4:
	s_or_b64 exec, exec, s[0:1]
	s_mul_i32 s1, s13, s11
	s_sub_i32 s1, s12, s1
	s_xor_b32 s0, s2, s7
	s_add_i32 s2, s13, 1
	s_sub_i32 s7, s1, s11
	s_load_dwordx4 s[20:23], s[4:5], 0x68
	s_load_dword s3, s[4:5], 0x78
	s_cmp_ge_u32 s1, s11
	s_cselect_b32 s2, s2, s13
	s_cselect_b32 s1, s7, s1
	s_add_i32 s7, s2, 1
	s_cmp_ge_u32 s1, s11
	s_cselect_b32 s1, s7, s2
	s_waitcnt lgkmcnt(0)
	s_abs_i32 s25, s23
	v_cvt_f32_u32_e32 v2, s25
	s_xor_b32 s1, s1, s0
	s_sub_i32 s2, s1, s0
	s_sub_i32 s0, 0, s25
	v_rcp_iflag_f32_e32 v2, v2
	s_add_i32 s11, s33, -1
	s_abs_i32 s7, s11
	v_mul_f32_e32 v2, 0x4f7ffffe, v2
	v_cvt_u32_f32_e32 v2, v2
	s_barrier
	v_readfirstlane_b32 s46, v2
	s_mul_i32 s0, s0, s46
	s_mul_hi_u32 s0, s46, s0
	s_add_i32 s46, s46, s0
	s_cmp_lt_i32 s3, 0
	s_mul_hi_u32 s16, s7, s46
	s_cbranch_scc0 .LBB255_6
; %bb.5:
	s_mul_i32 s0, s20, s36
	s_add_i32 s0, s2, s0
	s_mul_i32 s0, s0, s3
	s_sub_i32 s36, 1, s0
	s_mov_b64 s[0:1], 0
	s_branch .LBB255_7
.LBB255_6:
	s_mov_b64 s[0:1], -1
                                        ; implicit-def: $sgpr36
.LBB255_7:
	s_load_dwordx2 s[28:29], s[4:5], 0x28
	s_ashr_i32 s19, s11, 31
	s_andn2_b64 vcc, exec, s[0:1]
	s_ashr_i32 s23, s23, 31
	s_cbranch_vccnz .LBB255_9
; %bb.8:
	s_mul_i32 s0, s9, s20
	s_add_i32 s0, s0, s6
	s_mul_i32 s0, s0, s3
	s_add_i32 s36, s0, 1
.LBB255_9:
	s_load_dword s0, s[4:5], 0x38
	s_load_dwordx2 s[26:27], s[4:5], 0x0
	s_load_dwordx2 s[34:35], s[4:5], 0x18
	s_load_dword s11, s[4:5], 0x88
	s_load_dwordx4 s[12:15], s[4:5], 0x58
	s_mul_i32 s1, s16, s25
	s_waitcnt lgkmcnt(0)
	s_mul_i32 s30, s0, s10
	s_sub_i32 s1, s7, s1
	s_ashr_i32 s31, s30, 31
	s_xor_b32 s0, s19, s23
	s_add_i32 s3, s16, 1
	s_sub_i32 s6, s1, s25
	s_cmp_ge_u32 s1, s25
	s_cselect_b32 s3, s3, s16
	s_cselect_b32 s1, s6, s1
	s_add_i32 s6, s3, 1
	s_cmp_ge_u32 s1, s25
	s_cselect_b32 s1, s6, s3
	s_xor_b32 s1, s1, s0
	s_sub_i32 s16, s1, s0
	s_add_i32 s0, s33, 31
	s_ashr_i32 s1, s0, 31
	s_lshr_b32 s1, s1, 27
	s_add_i32 s0, s0, s1
	s_ashr_i32 s47, s0, 5
	v_lshrrev_b32_e32 v11, 6, v0
	v_cmp_gt_i32_e64 s[0:1], s47, v11
	v_mov_b32_e32 v18, 0xff7fffff
	s_mul_i32 s20, s2, s18
	v_lshrrev_b32_e32 v13, 4, v0
	v_lshlrev_b32_e32 v12, 5, v11
	v_mbcnt_lo_u32_b32 v14, -1, 0
	s_and_saveexec_b64 s[18:19], s[0:1]
	s_cbranch_execz .LBB255_213
; %bb.10:
	s_load_dwordx2 s[2:3], s[4:5], 0x10
	s_sub_i32 s49, s16, s21
	s_ashr_i32 s4, s20, 31
	v_cmp_eq_u32_e32 vcc, 0, v1
	v_lshlrev_b32_e32 v4, 2, v1
	s_waitcnt lgkmcnt(0)
	s_add_u32 s5, s2, s20
	s_addc_u32 s4, s3, s4
	s_abs_i32 s50, s22
	v_cvt_f32_u32_e32 v2, s50
	s_sub_i32 s2, 0, s50
	v_lshlrev_b32_e32 v16, 6, v1
	v_bfe_u32 v15, v0, 1, 5
	v_rcp_iflag_f32_e32 v3, v2
	v_lshlrev_b32_e32 v5, 4, v15
	v_mov_b32_e32 v6, s4
	v_add_co_u32_e64 v5, s[4:5], s5, v5
	v_mul_f32_e32 v3, 0x4f7ffffe, v3
	v_cvt_u32_f32_e32 v3, v3
	v_addc_co_u32_e64 v6, s[4:5], 0, v6, s[4:5]
	s_mov_b32 s51, s17
	v_mul_lo_u32 v1, s2, v3
	v_mov_b32_e32 v2, 0
	v_cmp_neq_f32_e64 s[2:3], s48, 0
	v_lshlrev_b32_e32 v19, 5, v11
	v_mul_hi_u32 v1, v3, v1
	v_mov_b32_e32 v22, 0xff7fffff
	s_mov_b64 s[38:39], 0
	s_movk_i32 s52, 0x80
	v_add_u32_e32 v17, v3, v1
	v_add_co_u32_e64 v3, s[4:5], v5, v4
	v_addc_co_u32_e64 v4, s[4:5], 0, v6, s[4:5]
	s_lshl_b64 s[4:5], s[30:31], 2
	s_add_u32 s4, s28, s4
	v_and_b32_e32 v1, 60, v13
	s_addc_u32 s5, s29, s5
	v_mov_b32_e32 v6, s5
	v_add_co_u32_e64 v5, s[4:5], s4, v1
	v_subrev_u32_e32 v1, s33, v15
	v_add_u32_e32 v20, 1, v1
	v_lshlrev_b32_e32 v1, 2, v15
	v_lshl_or_b32 v1, v11, 7, v1
	v_addc_co_u32_e64 v6, s[4:5], 0, v6, s[4:5]
	v_add_u32_e32 v21, 0x90, v1
	s_movk_i32 s53, 0x7f
	s_mov_b32 s54, 0x8000
	s_mov_b32 s55, 0xffffff
	v_mov_b32_e32 v23, 0x2000
	v_mbcnt_hi_u32_b32 v24, -1, v14
	v_mov_b32_e32 v18, 0xff7fffff
	v_mov_b32_e32 v25, v11
	s_branch .LBB255_13
.LBB255_11:                             ;   in Loop: Header=BB255_13 Depth=1
	s_or_b64 exec, exec, s[40:41]
.LBB255_12:                             ;   in Loop: Header=BB255_13 Depth=1
	s_or_b64 exec, exec, s[6:7]
	v_add_co_u32_e64 v5, s[4:5], 8, v5
	v_add_u32_e32 v25, 2, v25
	v_addc_co_u32_e64 v6, s[4:5], 0, v6, s[4:5]
	v_cmp_le_i32_e64 s[4:5], s47, v25
	v_add_u32_e32 v19, 64, v19
	s_or_b64 s[38:39], s[4:5], s[38:39]
	v_add_u32_e32 v21, 0x100, v21
	s_andn2_b64 exec, exec, s[38:39]
	s_cbranch_execz .LBB255_212
.LBB255_13:                             ; =>This Inner Loop Header: Depth=1
	v_mul_hi_u32 v1, v19, s46
	s_waitcnt lgkmcnt(0)
	v_mul_lo_u32 v7, v1, s25
	v_add_u32_e32 v8, 1, v1
	v_sub_u32_e32 v7, v19, v7
	v_cmp_le_u32_e64 s[4:5], s25, v7
	v_cndmask_b32_e64 v1, v1, v8, s[4:5]
	v_subrev_u32_e32 v8, s25, v7
	v_cndmask_b32_e64 v7, v7, v8, s[4:5]
	v_add_u32_e32 v8, 1, v1
	v_cmp_le_u32_e64 s[4:5], s25, v7
	v_cndmask_b32_e64 v1, v1, v8, s[4:5]
	v_xor_b32_e32 v1, s23, v1
	v_subrev_u32_e32 v1, s23, v1
	v_add_u32_e32 v7, s36, v1
	v_sub_u32_e32 v8, 0, v7
	v_max_i32_e32 v8, v7, v8
	v_mul_hi_u32 v9, v8, v17
	v_ashrrev_i32_e32 v7, 31, v7
	v_cmp_ge_i32_e64 s[6:7], s49, v1
	v_mul_lo_u32 v9, v9, s50
	v_sub_u32_e32 v8, v8, v9
	v_subrev_u32_e32 v9, s50, v8
	v_cmp_le_u32_e64 s[4:5], s50, v8
	v_cndmask_b32_e64 v8, v8, v9, s[4:5]
	v_subrev_u32_e32 v9, s50, v8
	v_cmp_le_u32_e64 s[4:5], s50, v8
	v_cndmask_b32_e64 v8, v8, v9, s[4:5]
	v_xor_b32_e32 v8, v8, v7
	v_sub_u32_e32 v7, v8, v7
	v_cmp_ne_u32_e64 s[4:5], 0, v7
	s_and_b64 s[4:5], s[4:5], s[6:7]
	s_and_saveexec_b64 s[6:7], s[4:5]
	s_xor_b64 s[4:5], exec, s[6:7]
	s_cbranch_execz .LBB255_17
; %bb.14:                               ;   in Loop: Header=BB255_13 Depth=1
	s_and_saveexec_b64 s[6:7], vcc
; %bb.15:                               ;   in Loop: Header=BB255_13 Depth=1
	ds_write_b32 v21, v22
; %bb.16:                               ;   in Loop: Header=BB255_13 Depth=1
	s_or_b64 exec, exec, s[6:7]
.LBB255_17:                             ;   in Loop: Header=BB255_13 Depth=1
	s_andn2_saveexec_b64 s[6:7], s[4:5]
	s_cbranch_execz .LBB255_12
; %bb.18:                               ;   in Loop: Header=BB255_13 Depth=1
	global_load_dword v1, v[5:6], off
	v_mov_b32_e32 v27, 0
	global_load_dword v26, v27, s[12:13]
	v_mov_b32_e32 v28, 0
	s_waitcnt vmcnt(1)
	v_mad_i64_i32 v[7:8], s[4:5], v1, s51, v[3:4]
	global_load_dword v9, v[7:8], off
	s_waitcnt vmcnt(0)
	v_cmp_ne_u16_sdwa s[4:5], v9, v2 src0_sel:BYTE_0 src1_sel:DWORD
	s_and_saveexec_b64 s[40:41], s[4:5]
	s_cbranch_execz .LBB255_24
; %bb.19:                               ;   in Loop: Header=BB255_13 Depth=1
	v_cmp_ne_u16_sdwa s[4:5], v9, s52 src0_sel:BYTE_0 src1_sel:DWORD
	v_mov_b32_e32 v28, 0x8000
	s_and_saveexec_b64 s[42:43], s[4:5]
	s_cbranch_execz .LBB255_23
; %bb.20:                               ;   in Loop: Header=BB255_13 Depth=1
	v_and_b32_e32 v1, 0x7f, v9
	v_cmp_ne_u32_e64 s[4:5], s53, v1
	v_mov_b32_e32 v28, 0x7c01
	s_and_saveexec_b64 s[44:45], s[4:5]
	s_cbranch_execz .LBB255_22
; %bb.21:                               ;   in Loop: Header=BB255_13 Depth=1
	v_and_b32_e32 v30, 7, v9
	v_ffbh_u32_e32 v28, v30
	v_min_u32_e32 v32, 32, v28
	v_subrev_u32_e32 v28, 28, v32
	v_lshlrev_b64 v[28:29], v28, v[9:10]
	v_lshrrev_b32_e32 v31, 3, v1
	v_sub_u32_e32 v29, 29, v32
	v_cmp_gt_u32_e64 s[4:5], 8, v1
	v_cndmask_b32_e64 v1, v31, v29, s[4:5]
	v_lshl_add_u32 v1, v1, 10, v23
	v_lshlrev_b32_e32 v29, 8, v9
	v_and_b32_e32 v28, 7, v28
	v_and_b32_e32 v1, 0xfc00, v1
	v_cndmask_b32_e64 v28, v30, v28, s[4:5]
	v_and_or_b32 v1, v29, s54, v1
	v_lshl_or_b32 v28, v28, 7, v1
.LBB255_22:                             ;   in Loop: Header=BB255_13 Depth=1
	s_or_b64 exec, exec, s[44:45]
.LBB255_23:                             ;   in Loop: Header=BB255_13 Depth=1
	s_or_b64 exec, exec, s[42:43]
.LBB255_24:                             ;   in Loop: Header=BB255_13 Depth=1
	s_or_b64 exec, exec, s[40:41]
	v_lshrrev_b16_e32 v1, 8, v9
	v_cmp_ne_u16_e64 s[4:5], 0, v1
	s_and_saveexec_b64 s[40:41], s[4:5]
	s_cbranch_execz .LBB255_30
; %bb.25:                               ;   in Loop: Header=BB255_13 Depth=1
	v_cmp_ne_u16_e64 s[4:5], s52, v1
	v_bfrev_b32_e32 v27, 1
	s_and_saveexec_b64 s[42:43], s[4:5]
	s_cbranch_execz .LBB255_29
; %bb.26:                               ;   in Loop: Header=BB255_13 Depth=1
	v_and_b32_e32 v29, 0x7f, v1
	v_cmp_ne_u32_e64 s[4:5], s53, v29
	v_mov_b32_e32 v27, 0x7c010000
	s_and_saveexec_b64 s[44:45], s[4:5]
	s_cbranch_execz .LBB255_28
; %bb.27:                               ;   in Loop: Header=BB255_13 Depth=1
	v_and_b32_e32 v27, 7, v1
	v_ffbh_u32_e32 v30, v27
	v_min_u32_e32 v33, 32, v30
	v_subrev_u32_e32 v30, 28, v33
	v_lshlrev_b64 v[30:31], v30, v[1:2]
	v_lshrrev_b32_e32 v32, 3, v29
	v_sub_u32_e32 v31, 29, v33
	v_cmp_gt_u32_e64 s[4:5], 8, v29
	v_cndmask_b32_e64 v29, v32, v31, s[4:5]
	v_lshlrev_b32_e32 v1, 8, v1
	v_lshl_add_u32 v29, v29, 10, v23
	v_and_b32_e32 v30, 7, v30
	v_and_or_b32 v1, v1, s54, v29
	v_cndmask_b32_e64 v27, v27, v30, s[4:5]
	v_lshlrev_b32_e32 v1, 16, v1
	v_lshl_or_b32 v27, v27, 23, v1
.LBB255_28:                             ;   in Loop: Header=BB255_13 Depth=1
	s_or_b64 exec, exec, s[44:45]
.LBB255_29:                             ;   in Loop: Header=BB255_13 Depth=1
	s_or_b64 exec, exec, s[42:43]
.LBB255_30:                             ;   in Loop: Header=BB255_13 Depth=1
	s_or_b64 exec, exec, s[40:41]
	v_lshrrev_b32_e32 v1, 16, v9
	v_cmp_ne_u16_sdwa s[4:5], v1, v2 src0_sel:BYTE_0 src1_sel:DWORD
	v_mov_b32_e32 v29, 0
	v_mov_b32_e32 v30, 0
	s_and_saveexec_b64 s[40:41], s[4:5]
	s_cbranch_execz .LBB255_36
; %bb.31:                               ;   in Loop: Header=BB255_13 Depth=1
	v_cmp_ne_u16_sdwa s[4:5], v1, s52 src0_sel:BYTE_0 src1_sel:DWORD
	v_mov_b32_e32 v30, 0x8000
	s_and_saveexec_b64 s[42:43], s[4:5]
	s_cbranch_execz .LBB255_35
; %bb.32:                               ;   in Loop: Header=BB255_13 Depth=1
	v_bfe_u32 v31, v9, 16, 7
	v_cmp_ne_u32_e64 s[4:5], s53, v31
	v_mov_b32_e32 v30, 0x7c01
	s_and_saveexec_b64 s[44:45], s[4:5]
	s_cbranch_execz .LBB255_34
; %bb.33:                               ;   in Loop: Header=BB255_13 Depth=1
	v_and_b32_e32 v30, 7, v1
	v_ffbh_u32_e32 v32, v30
	v_min_u32_e32 v35, 32, v32
	v_subrev_u32_e32 v32, 28, v35
	v_lshlrev_b64 v[32:33], v32, v[1:2]
	v_lshrrev_b32_e32 v34, 3, v31
	v_sub_u32_e32 v33, 29, v35
	v_cmp_gt_u32_e64 s[4:5], 8, v31
	v_cndmask_b32_e64 v31, v34, v33, s[4:5]
	v_lshl_add_u32 v31, v31, 10, v23
	v_lshlrev_b32_e32 v1, 8, v1
	v_and_b32_e32 v32, 7, v32
	v_and_b32_e32 v31, 0xfc00, v31
	v_cndmask_b32_e64 v30, v30, v32, s[4:5]
	v_and_or_b32 v1, v1, s54, v31
	v_lshl_or_b32 v30, v30, 7, v1
.LBB255_34:                             ;   in Loop: Header=BB255_13 Depth=1
	s_or_b64 exec, exec, s[44:45]
.LBB255_35:                             ;   in Loop: Header=BB255_13 Depth=1
	s_or_b64 exec, exec, s[42:43]
.LBB255_36:                             ;   in Loop: Header=BB255_13 Depth=1
	s_or_b64 exec, exec, s[40:41]
	v_cmp_lt_u32_e64 s[4:5], s55, v9
	s_and_saveexec_b64 s[40:41], s[4:5]
	s_cbranch_execz .LBB255_42
; %bb.37:                               ;   in Loop: Header=BB255_13 Depth=1
	v_lshrrev_b32_e32 v1, 24, v9
	v_cmp_ne_u32_e64 s[4:5], s52, v1
	v_bfrev_b32_e32 v29, 1
	s_and_saveexec_b64 s[42:43], s[4:5]
	s_cbranch_execz .LBB255_41
; %bb.38:                               ;   in Loop: Header=BB255_13 Depth=1
	v_and_b32_e32 v9, 0x7f, v1
	v_cmp_ne_u32_e64 s[4:5], s53, v9
	v_mov_b32_e32 v29, 0x7c010000
	s_and_saveexec_b64 s[44:45], s[4:5]
	s_cbranch_execz .LBB255_40
; %bb.39:                               ;   in Loop: Header=BB255_13 Depth=1
	v_and_b32_e32 v29, 7, v1
	v_ffbh_u32_e32 v31, v29
	v_min_u32_e32 v34, 32, v31
	v_subrev_u32_e32 v31, 28, v34
	v_lshlrev_b64 v[31:32], v31, v[1:2]
	v_lshrrev_b32_e32 v33, 3, v9
	v_sub_u32_e32 v32, 29, v34
	v_cmp_gt_u32_e64 s[4:5], 8, v9
	v_cndmask_b32_e64 v9, v33, v32, s[4:5]
	v_lshlrev_b32_e32 v1, 8, v1
	v_lshl_add_u32 v9, v9, 10, v23
	v_and_b32_e32 v31, 7, v31
	v_and_or_b32 v1, v1, s54, v9
	v_cndmask_b32_e64 v29, v29, v31, s[4:5]
	v_lshlrev_b32_e32 v1, 16, v1
	v_lshl_or_b32 v29, v29, 23, v1
.LBB255_40:                             ;   in Loop: Header=BB255_13 Depth=1
	s_or_b64 exec, exec, s[44:45]
.LBB255_41:                             ;   in Loop: Header=BB255_13 Depth=1
	s_or_b64 exec, exec, s[42:43]
.LBB255_42:                             ;   in Loop: Header=BB255_13 Depth=1
	s_or_b64 exec, exec, s[40:41]
	global_load_dword v9, v[7:8], off offset:8
	v_mov_b32_e32 v31, 0
	v_mov_b32_e32 v32, 0
	s_waitcnt vmcnt(0)
	v_cmp_ne_u16_sdwa s[4:5], v9, v2 src0_sel:BYTE_0 src1_sel:DWORD
	s_and_saveexec_b64 s[40:41], s[4:5]
	s_cbranch_execz .LBB255_48
; %bb.43:                               ;   in Loop: Header=BB255_13 Depth=1
	v_cmp_ne_u16_sdwa s[4:5], v9, s52 src0_sel:BYTE_0 src1_sel:DWORD
	v_mov_b32_e32 v32, 0x8000
	s_and_saveexec_b64 s[42:43], s[4:5]
	s_cbranch_execz .LBB255_47
; %bb.44:                               ;   in Loop: Header=BB255_13 Depth=1
	v_and_b32_e32 v1, 0x7f, v9
	v_cmp_ne_u32_e64 s[4:5], s53, v1
	v_mov_b32_e32 v32, 0x7c01
	s_and_saveexec_b64 s[44:45], s[4:5]
	s_cbranch_execz .LBB255_46
; %bb.45:                               ;   in Loop: Header=BB255_13 Depth=1
	v_and_b32_e32 v34, 7, v9
	v_ffbh_u32_e32 v32, v34
	v_min_u32_e32 v36, 32, v32
	v_subrev_u32_e32 v32, 28, v36
	v_lshlrev_b64 v[32:33], v32, v[9:10]
	v_lshrrev_b32_e32 v35, 3, v1
	v_sub_u32_e32 v33, 29, v36
	v_cmp_gt_u32_e64 s[4:5], 8, v1
	v_cndmask_b32_e64 v1, v35, v33, s[4:5]
	v_lshl_add_u32 v1, v1, 10, v23
	v_lshlrev_b32_e32 v33, 8, v9
	v_and_b32_e32 v32, 7, v32
	v_and_b32_e32 v1, 0xfc00, v1
	v_cndmask_b32_e64 v32, v34, v32, s[4:5]
	v_and_or_b32 v1, v33, s54, v1
	v_lshl_or_b32 v32, v32, 7, v1
.LBB255_46:                             ;   in Loop: Header=BB255_13 Depth=1
	s_or_b64 exec, exec, s[44:45]
.LBB255_47:                             ;   in Loop: Header=BB255_13 Depth=1
	s_or_b64 exec, exec, s[42:43]
.LBB255_48:                             ;   in Loop: Header=BB255_13 Depth=1
	s_or_b64 exec, exec, s[40:41]
	v_lshrrev_b16_e32 v1, 8, v9
	v_cmp_ne_u16_e64 s[4:5], 0, v1
	s_and_saveexec_b64 s[40:41], s[4:5]
	s_cbranch_execz .LBB255_54
; %bb.49:                               ;   in Loop: Header=BB255_13 Depth=1
	v_cmp_ne_u16_e64 s[4:5], s52, v1
	v_bfrev_b32_e32 v31, 1
	s_and_saveexec_b64 s[42:43], s[4:5]
	s_cbranch_execz .LBB255_53
; %bb.50:                               ;   in Loop: Header=BB255_13 Depth=1
	v_and_b32_e32 v33, 0x7f, v1
	v_cmp_ne_u32_e64 s[4:5], s53, v33
	v_mov_b32_e32 v31, 0x7c010000
	s_and_saveexec_b64 s[44:45], s[4:5]
	s_cbranch_execz .LBB255_52
; %bb.51:                               ;   in Loop: Header=BB255_13 Depth=1
	v_and_b32_e32 v31, 7, v1
	v_ffbh_u32_e32 v34, v31
	v_min_u32_e32 v37, 32, v34
	v_subrev_u32_e32 v34, 28, v37
	v_lshlrev_b64 v[34:35], v34, v[1:2]
	v_lshrrev_b32_e32 v36, 3, v33
	v_sub_u32_e32 v35, 29, v37
	v_cmp_gt_u32_e64 s[4:5], 8, v33
	v_cndmask_b32_e64 v33, v36, v35, s[4:5]
	v_lshlrev_b32_e32 v1, 8, v1
	v_lshl_add_u32 v33, v33, 10, v23
	v_and_b32_e32 v34, 7, v34
	v_and_or_b32 v1, v1, s54, v33
	v_cndmask_b32_e64 v31, v31, v34, s[4:5]
	v_lshlrev_b32_e32 v1, 16, v1
	v_lshl_or_b32 v31, v31, 23, v1
.LBB255_52:                             ;   in Loop: Header=BB255_13 Depth=1
	s_or_b64 exec, exec, s[44:45]
.LBB255_53:                             ;   in Loop: Header=BB255_13 Depth=1
	s_or_b64 exec, exec, s[42:43]
.LBB255_54:                             ;   in Loop: Header=BB255_13 Depth=1
	s_or_b64 exec, exec, s[40:41]
	v_lshrrev_b32_e32 v1, 16, v9
	v_cmp_ne_u16_sdwa s[4:5], v1, v2 src0_sel:BYTE_0 src1_sel:DWORD
	v_mov_b32_e32 v33, 0
	v_mov_b32_e32 v34, 0
	s_and_saveexec_b64 s[40:41], s[4:5]
	s_cbranch_execz .LBB255_60
; %bb.55:                               ;   in Loop: Header=BB255_13 Depth=1
	v_cmp_ne_u16_sdwa s[4:5], v1, s52 src0_sel:BYTE_0 src1_sel:DWORD
	v_mov_b32_e32 v34, 0x8000
	s_and_saveexec_b64 s[42:43], s[4:5]
	s_cbranch_execz .LBB255_59
; %bb.56:                               ;   in Loop: Header=BB255_13 Depth=1
	v_bfe_u32 v35, v9, 16, 7
	v_cmp_ne_u32_e64 s[4:5], s53, v35
	v_mov_b32_e32 v34, 0x7c01
	s_and_saveexec_b64 s[44:45], s[4:5]
	s_cbranch_execz .LBB255_58
; %bb.57:                               ;   in Loop: Header=BB255_13 Depth=1
	v_and_b32_e32 v34, 7, v1
	v_ffbh_u32_e32 v36, v34
	v_min_u32_e32 v39, 32, v36
	v_subrev_u32_e32 v36, 28, v39
	v_lshlrev_b64 v[36:37], v36, v[1:2]
	v_lshrrev_b32_e32 v38, 3, v35
	v_sub_u32_e32 v37, 29, v39
	v_cmp_gt_u32_e64 s[4:5], 8, v35
	v_cndmask_b32_e64 v35, v38, v37, s[4:5]
	v_lshl_add_u32 v35, v35, 10, v23
	v_lshlrev_b32_e32 v1, 8, v1
	v_and_b32_e32 v36, 7, v36
	v_and_b32_e32 v35, 0xfc00, v35
	v_cndmask_b32_e64 v34, v34, v36, s[4:5]
	v_and_or_b32 v1, v1, s54, v35
	v_lshl_or_b32 v34, v34, 7, v1
.LBB255_58:                             ;   in Loop: Header=BB255_13 Depth=1
	s_or_b64 exec, exec, s[44:45]
.LBB255_59:                             ;   in Loop: Header=BB255_13 Depth=1
	s_or_b64 exec, exec, s[42:43]
.LBB255_60:                             ;   in Loop: Header=BB255_13 Depth=1
	s_or_b64 exec, exec, s[40:41]
	v_cmp_lt_u32_e64 s[4:5], s55, v9
	s_and_saveexec_b64 s[40:41], s[4:5]
	s_cbranch_execz .LBB255_66
; %bb.61:                               ;   in Loop: Header=BB255_13 Depth=1
	v_lshrrev_b32_e32 v1, 24, v9
	v_cmp_ne_u32_e64 s[4:5], s52, v1
	v_bfrev_b32_e32 v33, 1
	s_and_saveexec_b64 s[42:43], s[4:5]
	s_cbranch_execz .LBB255_65
; %bb.62:                               ;   in Loop: Header=BB255_13 Depth=1
	v_and_b32_e32 v9, 0x7f, v1
	v_cmp_ne_u32_e64 s[4:5], s53, v9
	v_mov_b32_e32 v33, 0x7c010000
	s_and_saveexec_b64 s[44:45], s[4:5]
	s_cbranch_execz .LBB255_64
; %bb.63:                               ;   in Loop: Header=BB255_13 Depth=1
	v_and_b32_e32 v33, 7, v1
	v_ffbh_u32_e32 v35, v33
	v_min_u32_e32 v38, 32, v35
	v_subrev_u32_e32 v35, 28, v38
	v_lshlrev_b64 v[35:36], v35, v[1:2]
	v_lshrrev_b32_e32 v37, 3, v9
	v_sub_u32_e32 v36, 29, v38
	v_cmp_gt_u32_e64 s[4:5], 8, v9
	v_cndmask_b32_e64 v9, v37, v36, s[4:5]
	v_lshlrev_b32_e32 v1, 8, v1
	v_lshl_add_u32 v9, v9, 10, v23
	v_and_b32_e32 v35, 7, v35
	v_and_or_b32 v1, v1, s54, v9
	v_cndmask_b32_e64 v33, v33, v35, s[4:5]
	v_lshlrev_b32_e32 v1, 16, v1
	v_lshl_or_b32 v33, v33, 23, v1
.LBB255_64:                             ;   in Loop: Header=BB255_13 Depth=1
	s_or_b64 exec, exec, s[44:45]
.LBB255_65:                             ;   in Loop: Header=BB255_13 Depth=1
	s_or_b64 exec, exec, s[42:43]
.LBB255_66:                             ;   in Loop: Header=BB255_13 Depth=1
	s_or_b64 exec, exec, s[40:41]
	global_load_dword v9, v[7:8], off offset:512
	v_mov_b32_e32 v35, 0
	v_mov_b32_e32 v36, 0
	s_waitcnt vmcnt(0)
	v_cmp_ne_u16_sdwa s[4:5], v9, v2 src0_sel:BYTE_0 src1_sel:DWORD
	s_and_saveexec_b64 s[40:41], s[4:5]
	s_cbranch_execz .LBB255_72
; %bb.67:                               ;   in Loop: Header=BB255_13 Depth=1
	v_cmp_ne_u16_sdwa s[4:5], v9, s52 src0_sel:BYTE_0 src1_sel:DWORD
	v_mov_b32_e32 v36, 0x8000
	s_and_saveexec_b64 s[42:43], s[4:5]
	s_cbranch_execz .LBB255_71
; %bb.68:                               ;   in Loop: Header=BB255_13 Depth=1
	v_and_b32_e32 v1, 0x7f, v9
	v_cmp_ne_u32_e64 s[4:5], s53, v1
	v_mov_b32_e32 v36, 0x7c01
	s_and_saveexec_b64 s[44:45], s[4:5]
	s_cbranch_execz .LBB255_70
; %bb.69:                               ;   in Loop: Header=BB255_13 Depth=1
	v_and_b32_e32 v38, 7, v9
	v_ffbh_u32_e32 v36, v38
	v_min_u32_e32 v40, 32, v36
	v_subrev_u32_e32 v36, 28, v40
	v_lshlrev_b64 v[36:37], v36, v[9:10]
	v_lshrrev_b32_e32 v39, 3, v1
	v_sub_u32_e32 v37, 29, v40
	v_cmp_gt_u32_e64 s[4:5], 8, v1
	v_cndmask_b32_e64 v1, v39, v37, s[4:5]
	v_lshl_add_u32 v1, v1, 10, v23
	v_lshlrev_b32_e32 v37, 8, v9
	v_and_b32_e32 v36, 7, v36
	v_and_b32_e32 v1, 0xfc00, v1
	v_cndmask_b32_e64 v36, v38, v36, s[4:5]
	v_and_or_b32 v1, v37, s54, v1
	v_lshl_or_b32 v36, v36, 7, v1
.LBB255_70:                             ;   in Loop: Header=BB255_13 Depth=1
	s_or_b64 exec, exec, s[44:45]
.LBB255_71:                             ;   in Loop: Header=BB255_13 Depth=1
	s_or_b64 exec, exec, s[42:43]
.LBB255_72:                             ;   in Loop: Header=BB255_13 Depth=1
	s_or_b64 exec, exec, s[40:41]
	v_lshrrev_b16_e32 v1, 8, v9
	v_cmp_ne_u16_e64 s[4:5], 0, v1
	s_and_saveexec_b64 s[40:41], s[4:5]
	s_cbranch_execz .LBB255_78
; %bb.73:                               ;   in Loop: Header=BB255_13 Depth=1
	v_cmp_ne_u16_e64 s[4:5], s52, v1
	v_bfrev_b32_e32 v35, 1
	s_and_saveexec_b64 s[42:43], s[4:5]
	s_cbranch_execz .LBB255_77
; %bb.74:                               ;   in Loop: Header=BB255_13 Depth=1
	v_and_b32_e32 v37, 0x7f, v1
	v_cmp_ne_u32_e64 s[4:5], s53, v37
	v_mov_b32_e32 v35, 0x7c010000
	s_and_saveexec_b64 s[44:45], s[4:5]
	s_cbranch_execz .LBB255_76
; %bb.75:                               ;   in Loop: Header=BB255_13 Depth=1
	v_and_b32_e32 v35, 7, v1
	v_ffbh_u32_e32 v38, v35
	v_min_u32_e32 v41, 32, v38
	v_subrev_u32_e32 v38, 28, v41
	v_lshlrev_b64 v[38:39], v38, v[1:2]
	v_lshrrev_b32_e32 v40, 3, v37
	v_sub_u32_e32 v39, 29, v41
	v_cmp_gt_u32_e64 s[4:5], 8, v37
	v_cndmask_b32_e64 v37, v40, v39, s[4:5]
	v_lshlrev_b32_e32 v1, 8, v1
	v_lshl_add_u32 v37, v37, 10, v23
	v_and_b32_e32 v38, 7, v38
	v_and_or_b32 v1, v1, s54, v37
	v_cndmask_b32_e64 v35, v35, v38, s[4:5]
	v_lshlrev_b32_e32 v1, 16, v1
	v_lshl_or_b32 v35, v35, 23, v1
.LBB255_76:                             ;   in Loop: Header=BB255_13 Depth=1
	s_or_b64 exec, exec, s[44:45]
.LBB255_77:                             ;   in Loop: Header=BB255_13 Depth=1
	s_or_b64 exec, exec, s[42:43]
.LBB255_78:                             ;   in Loop: Header=BB255_13 Depth=1
	s_or_b64 exec, exec, s[40:41]
	v_lshrrev_b32_e32 v1, 16, v9
	v_cmp_ne_u16_sdwa s[4:5], v1, v2 src0_sel:BYTE_0 src1_sel:DWORD
	v_mov_b32_e32 v37, 0
	v_mov_b32_e32 v38, 0
	s_and_saveexec_b64 s[40:41], s[4:5]
	s_cbranch_execz .LBB255_84
; %bb.79:                               ;   in Loop: Header=BB255_13 Depth=1
	v_cmp_ne_u16_sdwa s[4:5], v1, s52 src0_sel:BYTE_0 src1_sel:DWORD
	v_mov_b32_e32 v38, 0x8000
	s_and_saveexec_b64 s[42:43], s[4:5]
	s_cbranch_execz .LBB255_83
; %bb.80:                               ;   in Loop: Header=BB255_13 Depth=1
	v_bfe_u32 v39, v9, 16, 7
	v_cmp_ne_u32_e64 s[4:5], s53, v39
	v_mov_b32_e32 v38, 0x7c01
	s_and_saveexec_b64 s[44:45], s[4:5]
	s_cbranch_execz .LBB255_82
; %bb.81:                               ;   in Loop: Header=BB255_13 Depth=1
	v_and_b32_e32 v38, 7, v1
	v_ffbh_u32_e32 v40, v38
	v_min_u32_e32 v43, 32, v40
	v_subrev_u32_e32 v40, 28, v43
	v_lshlrev_b64 v[40:41], v40, v[1:2]
	v_lshrrev_b32_e32 v42, 3, v39
	v_sub_u32_e32 v41, 29, v43
	v_cmp_gt_u32_e64 s[4:5], 8, v39
	v_cndmask_b32_e64 v39, v42, v41, s[4:5]
	v_lshl_add_u32 v39, v39, 10, v23
	v_lshlrev_b32_e32 v1, 8, v1
	v_and_b32_e32 v40, 7, v40
	v_and_b32_e32 v39, 0xfc00, v39
	v_cndmask_b32_e64 v38, v38, v40, s[4:5]
	v_and_or_b32 v1, v1, s54, v39
	v_lshl_or_b32 v38, v38, 7, v1
.LBB255_82:                             ;   in Loop: Header=BB255_13 Depth=1
	s_or_b64 exec, exec, s[44:45]
.LBB255_83:                             ;   in Loop: Header=BB255_13 Depth=1
	s_or_b64 exec, exec, s[42:43]
.LBB255_84:                             ;   in Loop: Header=BB255_13 Depth=1
	s_or_b64 exec, exec, s[40:41]
	v_cmp_lt_u32_e64 s[4:5], s55, v9
	s_and_saveexec_b64 s[40:41], s[4:5]
	s_cbranch_execz .LBB255_90
; %bb.85:                               ;   in Loop: Header=BB255_13 Depth=1
	v_lshrrev_b32_e32 v1, 24, v9
	v_cmp_ne_u32_e64 s[4:5], s52, v1
	v_bfrev_b32_e32 v37, 1
	s_and_saveexec_b64 s[42:43], s[4:5]
	s_cbranch_execz .LBB255_89
; %bb.86:                               ;   in Loop: Header=BB255_13 Depth=1
	v_and_b32_e32 v9, 0x7f, v1
	v_cmp_ne_u32_e64 s[4:5], s53, v9
	v_mov_b32_e32 v37, 0x7c010000
	s_and_saveexec_b64 s[44:45], s[4:5]
	s_cbranch_execz .LBB255_88
; %bb.87:                               ;   in Loop: Header=BB255_13 Depth=1
	v_and_b32_e32 v37, 7, v1
	v_ffbh_u32_e32 v39, v37
	v_min_u32_e32 v42, 32, v39
	v_subrev_u32_e32 v39, 28, v42
	v_lshlrev_b64 v[39:40], v39, v[1:2]
	v_lshrrev_b32_e32 v41, 3, v9
	v_sub_u32_e32 v40, 29, v42
	v_cmp_gt_u32_e64 s[4:5], 8, v9
	v_cndmask_b32_e64 v9, v41, v40, s[4:5]
	v_lshlrev_b32_e32 v1, 8, v1
	v_lshl_add_u32 v9, v9, 10, v23
	v_and_b32_e32 v39, 7, v39
	v_and_or_b32 v1, v1, s54, v9
	v_cndmask_b32_e64 v37, v37, v39, s[4:5]
	v_lshlrev_b32_e32 v1, 16, v1
	v_lshl_or_b32 v37, v37, 23, v1
.LBB255_88:                             ;   in Loop: Header=BB255_13 Depth=1
	s_or_b64 exec, exec, s[44:45]
.LBB255_89:                             ;   in Loop: Header=BB255_13 Depth=1
	s_or_b64 exec, exec, s[42:43]
.LBB255_90:                             ;   in Loop: Header=BB255_13 Depth=1
	s_or_b64 exec, exec, s[40:41]
	global_load_dword v9, v[7:8], off offset:520
	v_mov_b32_e32 v39, 0
	v_mov_b32_e32 v40, 0
	s_waitcnt vmcnt(0)
	v_cmp_ne_u16_sdwa s[4:5], v9, v2 src0_sel:BYTE_0 src1_sel:DWORD
	s_and_saveexec_b64 s[40:41], s[4:5]
	s_cbranch_execz .LBB255_96
; %bb.91:                               ;   in Loop: Header=BB255_13 Depth=1
	v_cmp_ne_u16_sdwa s[4:5], v9, s52 src0_sel:BYTE_0 src1_sel:DWORD
	v_mov_b32_e32 v40, 0x8000
	s_and_saveexec_b64 s[42:43], s[4:5]
	s_cbranch_execz .LBB255_95
; %bb.92:                               ;   in Loop: Header=BB255_13 Depth=1
	v_and_b32_e32 v1, 0x7f, v9
	v_cmp_ne_u32_e64 s[4:5], s53, v1
	v_mov_b32_e32 v40, 0x7c01
	s_and_saveexec_b64 s[44:45], s[4:5]
	s_cbranch_execz .LBB255_94
; %bb.93:                               ;   in Loop: Header=BB255_13 Depth=1
	v_and_b32_e32 v42, 7, v9
	v_ffbh_u32_e32 v40, v42
	v_min_u32_e32 v44, 32, v40
	v_subrev_u32_e32 v40, 28, v44
	v_lshlrev_b64 v[40:41], v40, v[9:10]
	v_lshrrev_b32_e32 v43, 3, v1
	v_sub_u32_e32 v41, 29, v44
	v_cmp_gt_u32_e64 s[4:5], 8, v1
	v_cndmask_b32_e64 v1, v43, v41, s[4:5]
	v_lshl_add_u32 v1, v1, 10, v23
	v_lshlrev_b32_e32 v41, 8, v9
	v_and_b32_e32 v40, 7, v40
	v_and_b32_e32 v1, 0xfc00, v1
	v_cndmask_b32_e64 v40, v42, v40, s[4:5]
	v_and_or_b32 v1, v41, s54, v1
	v_lshl_or_b32 v40, v40, 7, v1
.LBB255_94:                             ;   in Loop: Header=BB255_13 Depth=1
	s_or_b64 exec, exec, s[44:45]
.LBB255_95:                             ;   in Loop: Header=BB255_13 Depth=1
	s_or_b64 exec, exec, s[42:43]
.LBB255_96:                             ;   in Loop: Header=BB255_13 Depth=1
	s_or_b64 exec, exec, s[40:41]
	v_lshrrev_b16_e32 v1, 8, v9
	v_cmp_ne_u16_e64 s[4:5], 0, v1
	s_and_saveexec_b64 s[40:41], s[4:5]
	s_cbranch_execz .LBB255_102
; %bb.97:                               ;   in Loop: Header=BB255_13 Depth=1
	v_cmp_ne_u16_e64 s[4:5], s52, v1
	v_bfrev_b32_e32 v39, 1
	s_and_saveexec_b64 s[42:43], s[4:5]
	s_cbranch_execz .LBB255_101
; %bb.98:                               ;   in Loop: Header=BB255_13 Depth=1
	v_and_b32_e32 v41, 0x7f, v1
	v_cmp_ne_u32_e64 s[4:5], s53, v41
	v_mov_b32_e32 v39, 0x7c010000
	s_and_saveexec_b64 s[44:45], s[4:5]
	s_cbranch_execz .LBB255_100
; %bb.99:                               ;   in Loop: Header=BB255_13 Depth=1
	v_and_b32_e32 v39, 7, v1
	v_ffbh_u32_e32 v42, v39
	v_min_u32_e32 v45, 32, v42
	v_subrev_u32_e32 v42, 28, v45
	v_lshlrev_b64 v[42:43], v42, v[1:2]
	v_lshrrev_b32_e32 v44, 3, v41
	v_sub_u32_e32 v43, 29, v45
	v_cmp_gt_u32_e64 s[4:5], 8, v41
	v_cndmask_b32_e64 v41, v44, v43, s[4:5]
	v_lshlrev_b32_e32 v1, 8, v1
	v_lshl_add_u32 v41, v41, 10, v23
	v_and_b32_e32 v42, 7, v42
	v_and_or_b32 v1, v1, s54, v41
	v_cndmask_b32_e64 v39, v39, v42, s[4:5]
	v_lshlrev_b32_e32 v1, 16, v1
	v_lshl_or_b32 v39, v39, 23, v1
.LBB255_100:                            ;   in Loop: Header=BB255_13 Depth=1
	s_or_b64 exec, exec, s[44:45]
.LBB255_101:                            ;   in Loop: Header=BB255_13 Depth=1
	s_or_b64 exec, exec, s[42:43]
.LBB255_102:                            ;   in Loop: Header=BB255_13 Depth=1
	s_or_b64 exec, exec, s[40:41]
	v_lshrrev_b32_e32 v1, 16, v9
	v_cmp_ne_u16_sdwa s[4:5], v1, v2 src0_sel:BYTE_0 src1_sel:DWORD
	v_mov_b32_e32 v41, 0
	v_mov_b32_e32 v42, 0
	s_and_saveexec_b64 s[40:41], s[4:5]
	s_cbranch_execz .LBB255_108
; %bb.103:                              ;   in Loop: Header=BB255_13 Depth=1
	v_cmp_ne_u16_sdwa s[4:5], v1, s52 src0_sel:BYTE_0 src1_sel:DWORD
	v_mov_b32_e32 v42, 0x8000
	s_and_saveexec_b64 s[42:43], s[4:5]
	s_cbranch_execz .LBB255_107
; %bb.104:                              ;   in Loop: Header=BB255_13 Depth=1
	v_bfe_u32 v43, v9, 16, 7
	v_cmp_ne_u32_e64 s[4:5], s53, v43
	v_mov_b32_e32 v42, 0x7c01
	s_and_saveexec_b64 s[44:45], s[4:5]
	s_cbranch_execz .LBB255_106
; %bb.105:                              ;   in Loop: Header=BB255_13 Depth=1
	v_and_b32_e32 v42, 7, v1
	v_ffbh_u32_e32 v44, v42
	v_min_u32_e32 v47, 32, v44
	v_subrev_u32_e32 v44, 28, v47
	v_lshlrev_b64 v[44:45], v44, v[1:2]
	v_lshrrev_b32_e32 v46, 3, v43
	v_sub_u32_e32 v45, 29, v47
	v_cmp_gt_u32_e64 s[4:5], 8, v43
	v_cndmask_b32_e64 v43, v46, v45, s[4:5]
	v_lshl_add_u32 v43, v43, 10, v23
	v_lshlrev_b32_e32 v1, 8, v1
	v_and_b32_e32 v44, 7, v44
	v_and_b32_e32 v43, 0xfc00, v43
	v_cndmask_b32_e64 v42, v42, v44, s[4:5]
	v_and_or_b32 v1, v1, s54, v43
	v_lshl_or_b32 v42, v42, 7, v1
.LBB255_106:                            ;   in Loop: Header=BB255_13 Depth=1
	s_or_b64 exec, exec, s[44:45]
.LBB255_107:                            ;   in Loop: Header=BB255_13 Depth=1
	s_or_b64 exec, exec, s[42:43]
.LBB255_108:                            ;   in Loop: Header=BB255_13 Depth=1
	s_or_b64 exec, exec, s[40:41]
	v_cmp_lt_u32_e64 s[4:5], s55, v9
	s_and_saveexec_b64 s[40:41], s[4:5]
	s_cbranch_execz .LBB255_114
; %bb.109:                              ;   in Loop: Header=BB255_13 Depth=1
	v_lshrrev_b32_e32 v1, 24, v9
	v_cmp_ne_u32_e64 s[4:5], s52, v1
	v_bfrev_b32_e32 v41, 1
	s_and_saveexec_b64 s[42:43], s[4:5]
	s_cbranch_execz .LBB255_113
; %bb.110:                              ;   in Loop: Header=BB255_13 Depth=1
	v_and_b32_e32 v9, 0x7f, v1
	v_cmp_ne_u32_e64 s[4:5], s53, v9
	v_mov_b32_e32 v41, 0x7c010000
	s_and_saveexec_b64 s[44:45], s[4:5]
	s_cbranch_execz .LBB255_112
; %bb.111:                              ;   in Loop: Header=BB255_13 Depth=1
	v_and_b32_e32 v41, 7, v1
	v_ffbh_u32_e32 v43, v41
	v_min_u32_e32 v46, 32, v43
	v_subrev_u32_e32 v43, 28, v46
	v_lshlrev_b64 v[43:44], v43, v[1:2]
	v_lshrrev_b32_e32 v45, 3, v9
	v_sub_u32_e32 v44, 29, v46
	v_cmp_gt_u32_e64 s[4:5], 8, v9
	v_cndmask_b32_e64 v9, v45, v44, s[4:5]
	v_lshlrev_b32_e32 v1, 8, v1
	v_lshl_add_u32 v9, v9, 10, v23
	v_and_b32_e32 v43, 7, v43
	v_and_or_b32 v1, v1, s54, v9
	v_cndmask_b32_e64 v41, v41, v43, s[4:5]
	v_lshlrev_b32_e32 v1, 16, v1
	v_lshl_or_b32 v41, v41, 23, v1
.LBB255_112:                            ;   in Loop: Header=BB255_13 Depth=1
	s_or_b64 exec, exec, s[44:45]
.LBB255_113:                            ;   in Loop: Header=BB255_13 Depth=1
	s_or_b64 exec, exec, s[42:43]
.LBB255_114:                            ;   in Loop: Header=BB255_13 Depth=1
	s_or_b64 exec, exec, s[40:41]
	global_load_dword v9, v[7:8], off offset:1024
	v_mov_b32_e32 v43, 0
	v_mov_b32_e32 v44, 0
	s_waitcnt vmcnt(0)
	v_cmp_ne_u16_sdwa s[4:5], v9, v2 src0_sel:BYTE_0 src1_sel:DWORD
	s_and_saveexec_b64 s[40:41], s[4:5]
	s_cbranch_execz .LBB255_120
; %bb.115:                              ;   in Loop: Header=BB255_13 Depth=1
	v_cmp_ne_u16_sdwa s[4:5], v9, s52 src0_sel:BYTE_0 src1_sel:DWORD
	v_mov_b32_e32 v44, 0x8000
	s_and_saveexec_b64 s[42:43], s[4:5]
	s_cbranch_execz .LBB255_119
; %bb.116:                              ;   in Loop: Header=BB255_13 Depth=1
	v_and_b32_e32 v1, 0x7f, v9
	v_cmp_ne_u32_e64 s[4:5], s53, v1
	v_mov_b32_e32 v44, 0x7c01
	s_and_saveexec_b64 s[44:45], s[4:5]
	s_cbranch_execz .LBB255_118
; %bb.117:                              ;   in Loop: Header=BB255_13 Depth=1
	v_and_b32_e32 v46, 7, v9
	v_ffbh_u32_e32 v44, v46
	v_min_u32_e32 v48, 32, v44
	v_subrev_u32_e32 v44, 28, v48
	v_lshlrev_b64 v[44:45], v44, v[9:10]
	v_lshrrev_b32_e32 v47, 3, v1
	v_sub_u32_e32 v45, 29, v48
	v_cmp_gt_u32_e64 s[4:5], 8, v1
	v_cndmask_b32_e64 v1, v47, v45, s[4:5]
	v_lshl_add_u32 v1, v1, 10, v23
	v_lshlrev_b32_e32 v45, 8, v9
	v_and_b32_e32 v44, 7, v44
	v_and_b32_e32 v1, 0xfc00, v1
	v_cndmask_b32_e64 v44, v46, v44, s[4:5]
	v_and_or_b32 v1, v45, s54, v1
	v_lshl_or_b32 v44, v44, 7, v1
.LBB255_118:                            ;   in Loop: Header=BB255_13 Depth=1
	s_or_b64 exec, exec, s[44:45]
.LBB255_119:                            ;   in Loop: Header=BB255_13 Depth=1
	s_or_b64 exec, exec, s[42:43]
.LBB255_120:                            ;   in Loop: Header=BB255_13 Depth=1
	s_or_b64 exec, exec, s[40:41]
	v_lshrrev_b16_e32 v1, 8, v9
	v_cmp_ne_u16_e64 s[4:5], 0, v1
	s_and_saveexec_b64 s[40:41], s[4:5]
	s_cbranch_execz .LBB255_126
; %bb.121:                              ;   in Loop: Header=BB255_13 Depth=1
	v_cmp_ne_u16_e64 s[4:5], s52, v1
	v_bfrev_b32_e32 v43, 1
	s_and_saveexec_b64 s[42:43], s[4:5]
	s_cbranch_execz .LBB255_125
; %bb.122:                              ;   in Loop: Header=BB255_13 Depth=1
	v_and_b32_e32 v45, 0x7f, v1
	v_cmp_ne_u32_e64 s[4:5], s53, v45
	v_mov_b32_e32 v43, 0x7c010000
	s_and_saveexec_b64 s[44:45], s[4:5]
	s_cbranch_execz .LBB255_124
; %bb.123:                              ;   in Loop: Header=BB255_13 Depth=1
	v_and_b32_e32 v43, 7, v1
	v_ffbh_u32_e32 v46, v43
	v_min_u32_e32 v49, 32, v46
	v_subrev_u32_e32 v46, 28, v49
	v_lshlrev_b64 v[46:47], v46, v[1:2]
	v_lshrrev_b32_e32 v48, 3, v45
	v_sub_u32_e32 v47, 29, v49
	v_cmp_gt_u32_e64 s[4:5], 8, v45
	v_cndmask_b32_e64 v45, v48, v47, s[4:5]
	v_lshlrev_b32_e32 v1, 8, v1
	v_lshl_add_u32 v45, v45, 10, v23
	v_and_b32_e32 v46, 7, v46
	v_and_or_b32 v1, v1, s54, v45
	v_cndmask_b32_e64 v43, v43, v46, s[4:5]
	v_lshlrev_b32_e32 v1, 16, v1
	v_lshl_or_b32 v43, v43, 23, v1
.LBB255_124:                            ;   in Loop: Header=BB255_13 Depth=1
	s_or_b64 exec, exec, s[44:45]
.LBB255_125:                            ;   in Loop: Header=BB255_13 Depth=1
	s_or_b64 exec, exec, s[42:43]
.LBB255_126:                            ;   in Loop: Header=BB255_13 Depth=1
	s_or_b64 exec, exec, s[40:41]
	v_lshrrev_b32_e32 v1, 16, v9
	v_cmp_ne_u16_sdwa s[4:5], v1, v2 src0_sel:BYTE_0 src1_sel:DWORD
	v_mov_b32_e32 v45, 0
	v_mov_b32_e32 v46, 0
	s_and_saveexec_b64 s[40:41], s[4:5]
	s_cbranch_execz .LBB255_132
; %bb.127:                              ;   in Loop: Header=BB255_13 Depth=1
	v_cmp_ne_u16_sdwa s[4:5], v1, s52 src0_sel:BYTE_0 src1_sel:DWORD
	v_mov_b32_e32 v46, 0x8000
	s_and_saveexec_b64 s[42:43], s[4:5]
	s_cbranch_execz .LBB255_131
; %bb.128:                              ;   in Loop: Header=BB255_13 Depth=1
	v_bfe_u32 v47, v9, 16, 7
	v_cmp_ne_u32_e64 s[4:5], s53, v47
	v_mov_b32_e32 v46, 0x7c01
	s_and_saveexec_b64 s[44:45], s[4:5]
	s_cbranch_execz .LBB255_130
; %bb.129:                              ;   in Loop: Header=BB255_13 Depth=1
	v_and_b32_e32 v46, 7, v1
	v_ffbh_u32_e32 v48, v46
	v_min_u32_e32 v51, 32, v48
	v_subrev_u32_e32 v48, 28, v51
	v_lshlrev_b64 v[48:49], v48, v[1:2]
	v_lshrrev_b32_e32 v50, 3, v47
	v_sub_u32_e32 v49, 29, v51
	v_cmp_gt_u32_e64 s[4:5], 8, v47
	v_cndmask_b32_e64 v47, v50, v49, s[4:5]
	v_lshl_add_u32 v47, v47, 10, v23
	v_lshlrev_b32_e32 v1, 8, v1
	v_and_b32_e32 v48, 7, v48
	v_and_b32_e32 v47, 0xfc00, v47
	v_cndmask_b32_e64 v46, v46, v48, s[4:5]
	v_and_or_b32 v1, v1, s54, v47
	v_lshl_or_b32 v46, v46, 7, v1
.LBB255_130:                            ;   in Loop: Header=BB255_13 Depth=1
	s_or_b64 exec, exec, s[44:45]
.LBB255_131:                            ;   in Loop: Header=BB255_13 Depth=1
	s_or_b64 exec, exec, s[42:43]
.LBB255_132:                            ;   in Loop: Header=BB255_13 Depth=1
	s_or_b64 exec, exec, s[40:41]
	v_cmp_lt_u32_e64 s[4:5], s55, v9
	s_and_saveexec_b64 s[40:41], s[4:5]
	s_cbranch_execz .LBB255_138
; %bb.133:                              ;   in Loop: Header=BB255_13 Depth=1
	v_lshrrev_b32_e32 v1, 24, v9
	v_cmp_ne_u32_e64 s[4:5], s52, v1
	v_bfrev_b32_e32 v45, 1
	s_and_saveexec_b64 s[42:43], s[4:5]
	s_cbranch_execz .LBB255_137
; %bb.134:                              ;   in Loop: Header=BB255_13 Depth=1
	v_and_b32_e32 v9, 0x7f, v1
	v_cmp_ne_u32_e64 s[4:5], s53, v9
	v_mov_b32_e32 v45, 0x7c010000
	s_and_saveexec_b64 s[44:45], s[4:5]
	s_cbranch_execz .LBB255_136
; %bb.135:                              ;   in Loop: Header=BB255_13 Depth=1
	v_and_b32_e32 v45, 7, v1
	v_ffbh_u32_e32 v47, v45
	v_min_u32_e32 v50, 32, v47
	v_subrev_u32_e32 v47, 28, v50
	v_lshlrev_b64 v[47:48], v47, v[1:2]
	v_lshrrev_b32_e32 v49, 3, v9
	v_sub_u32_e32 v48, 29, v50
	v_cmp_gt_u32_e64 s[4:5], 8, v9
	v_cndmask_b32_e64 v9, v49, v48, s[4:5]
	v_lshlrev_b32_e32 v1, 8, v1
	v_lshl_add_u32 v9, v9, 10, v23
	v_and_b32_e32 v47, 7, v47
	v_and_or_b32 v1, v1, s54, v9
	v_cndmask_b32_e64 v45, v45, v47, s[4:5]
	v_lshlrev_b32_e32 v1, 16, v1
	v_lshl_or_b32 v45, v45, 23, v1
.LBB255_136:                            ;   in Loop: Header=BB255_13 Depth=1
	s_or_b64 exec, exec, s[44:45]
.LBB255_137:                            ;   in Loop: Header=BB255_13 Depth=1
	s_or_b64 exec, exec, s[42:43]
.LBB255_138:                            ;   in Loop: Header=BB255_13 Depth=1
	s_or_b64 exec, exec, s[40:41]
	global_load_dword v9, v[7:8], off offset:1032
	v_mov_b32_e32 v47, 0
	v_mov_b32_e32 v48, 0
	s_waitcnt vmcnt(0)
	v_cmp_ne_u16_sdwa s[4:5], v9, v2 src0_sel:BYTE_0 src1_sel:DWORD
	s_and_saveexec_b64 s[40:41], s[4:5]
	s_cbranch_execz .LBB255_144
; %bb.139:                              ;   in Loop: Header=BB255_13 Depth=1
	v_cmp_ne_u16_sdwa s[4:5], v9, s52 src0_sel:BYTE_0 src1_sel:DWORD
	v_mov_b32_e32 v48, 0x8000
	s_and_saveexec_b64 s[42:43], s[4:5]
	s_cbranch_execz .LBB255_143
; %bb.140:                              ;   in Loop: Header=BB255_13 Depth=1
	v_and_b32_e32 v1, 0x7f, v9
	v_cmp_ne_u32_e64 s[4:5], s53, v1
	v_mov_b32_e32 v48, 0x7c01
	s_and_saveexec_b64 s[44:45], s[4:5]
	s_cbranch_execz .LBB255_142
; %bb.141:                              ;   in Loop: Header=BB255_13 Depth=1
	v_and_b32_e32 v50, 7, v9
	v_ffbh_u32_e32 v48, v50
	v_min_u32_e32 v52, 32, v48
	v_subrev_u32_e32 v48, 28, v52
	v_lshlrev_b64 v[48:49], v48, v[9:10]
	v_lshrrev_b32_e32 v51, 3, v1
	v_sub_u32_e32 v49, 29, v52
	v_cmp_gt_u32_e64 s[4:5], 8, v1
	v_cndmask_b32_e64 v1, v51, v49, s[4:5]
	v_lshl_add_u32 v1, v1, 10, v23
	v_lshlrev_b32_e32 v49, 8, v9
	v_and_b32_e32 v48, 7, v48
	v_and_b32_e32 v1, 0xfc00, v1
	v_cndmask_b32_e64 v48, v50, v48, s[4:5]
	v_and_or_b32 v1, v49, s54, v1
	v_lshl_or_b32 v48, v48, 7, v1
.LBB255_142:                            ;   in Loop: Header=BB255_13 Depth=1
	s_or_b64 exec, exec, s[44:45]
.LBB255_143:                            ;   in Loop: Header=BB255_13 Depth=1
	s_or_b64 exec, exec, s[42:43]
.LBB255_144:                            ;   in Loop: Header=BB255_13 Depth=1
	s_or_b64 exec, exec, s[40:41]
	v_lshrrev_b16_e32 v1, 8, v9
	v_cmp_ne_u16_e64 s[4:5], 0, v1
	s_and_saveexec_b64 s[40:41], s[4:5]
	s_cbranch_execz .LBB255_150
; %bb.145:                              ;   in Loop: Header=BB255_13 Depth=1
	v_cmp_ne_u16_e64 s[4:5], s52, v1
	v_bfrev_b32_e32 v47, 1
	s_and_saveexec_b64 s[42:43], s[4:5]
	s_cbranch_execz .LBB255_149
; %bb.146:                              ;   in Loop: Header=BB255_13 Depth=1
	v_and_b32_e32 v49, 0x7f, v1
	v_cmp_ne_u32_e64 s[4:5], s53, v49
	v_mov_b32_e32 v47, 0x7c010000
	s_and_saveexec_b64 s[44:45], s[4:5]
	s_cbranch_execz .LBB255_148
; %bb.147:                              ;   in Loop: Header=BB255_13 Depth=1
	v_and_b32_e32 v47, 7, v1
	v_ffbh_u32_e32 v50, v47
	v_min_u32_e32 v53, 32, v50
	v_subrev_u32_e32 v50, 28, v53
	v_lshlrev_b64 v[50:51], v50, v[1:2]
	v_lshrrev_b32_e32 v52, 3, v49
	v_sub_u32_e32 v51, 29, v53
	v_cmp_gt_u32_e64 s[4:5], 8, v49
	v_cndmask_b32_e64 v49, v52, v51, s[4:5]
	v_lshlrev_b32_e32 v1, 8, v1
	v_lshl_add_u32 v49, v49, 10, v23
	v_and_b32_e32 v50, 7, v50
	v_and_or_b32 v1, v1, s54, v49
	v_cndmask_b32_e64 v47, v47, v50, s[4:5]
	v_lshlrev_b32_e32 v1, 16, v1
	v_lshl_or_b32 v47, v47, 23, v1
.LBB255_148:                            ;   in Loop: Header=BB255_13 Depth=1
	s_or_b64 exec, exec, s[44:45]
.LBB255_149:                            ;   in Loop: Header=BB255_13 Depth=1
	s_or_b64 exec, exec, s[42:43]
.LBB255_150:                            ;   in Loop: Header=BB255_13 Depth=1
	s_or_b64 exec, exec, s[40:41]
	v_lshrrev_b32_e32 v1, 16, v9
	v_cmp_ne_u16_sdwa s[4:5], v1, v2 src0_sel:BYTE_0 src1_sel:DWORD
	v_mov_b32_e32 v49, 0
	v_mov_b32_e32 v50, 0
	s_and_saveexec_b64 s[40:41], s[4:5]
	s_cbranch_execz .LBB255_156
; %bb.151:                              ;   in Loop: Header=BB255_13 Depth=1
	v_cmp_ne_u16_sdwa s[4:5], v1, s52 src0_sel:BYTE_0 src1_sel:DWORD
	v_mov_b32_e32 v50, 0x8000
	s_and_saveexec_b64 s[42:43], s[4:5]
	s_cbranch_execz .LBB255_155
; %bb.152:                              ;   in Loop: Header=BB255_13 Depth=1
	v_bfe_u32 v51, v9, 16, 7
	v_cmp_ne_u32_e64 s[4:5], s53, v51
	v_mov_b32_e32 v50, 0x7c01
	s_and_saveexec_b64 s[44:45], s[4:5]
	s_cbranch_execz .LBB255_154
; %bb.153:                              ;   in Loop: Header=BB255_13 Depth=1
	v_and_b32_e32 v50, 7, v1
	v_ffbh_u32_e32 v52, v50
	v_min_u32_e32 v55, 32, v52
	v_subrev_u32_e32 v52, 28, v55
	v_lshlrev_b64 v[52:53], v52, v[1:2]
	v_lshrrev_b32_e32 v54, 3, v51
	v_sub_u32_e32 v53, 29, v55
	v_cmp_gt_u32_e64 s[4:5], 8, v51
	v_cndmask_b32_e64 v51, v54, v53, s[4:5]
	v_lshl_add_u32 v51, v51, 10, v23
	v_lshlrev_b32_e32 v1, 8, v1
	v_and_b32_e32 v52, 7, v52
	v_and_b32_e32 v51, 0xfc00, v51
	v_cndmask_b32_e64 v50, v50, v52, s[4:5]
	v_and_or_b32 v1, v1, s54, v51
	v_lshl_or_b32 v50, v50, 7, v1
.LBB255_154:                            ;   in Loop: Header=BB255_13 Depth=1
	s_or_b64 exec, exec, s[44:45]
.LBB255_155:                            ;   in Loop: Header=BB255_13 Depth=1
	s_or_b64 exec, exec, s[42:43]
.LBB255_156:                            ;   in Loop: Header=BB255_13 Depth=1
	s_or_b64 exec, exec, s[40:41]
	v_cmp_lt_u32_e64 s[4:5], s55, v9
	s_and_saveexec_b64 s[40:41], s[4:5]
	s_cbranch_execz .LBB255_162
; %bb.157:                              ;   in Loop: Header=BB255_13 Depth=1
	v_lshrrev_b32_e32 v1, 24, v9
	v_cmp_ne_u32_e64 s[4:5], s52, v1
	v_bfrev_b32_e32 v49, 1
	s_and_saveexec_b64 s[42:43], s[4:5]
	s_cbranch_execz .LBB255_161
; %bb.158:                              ;   in Loop: Header=BB255_13 Depth=1
	v_and_b32_e32 v9, 0x7f, v1
	v_cmp_ne_u32_e64 s[4:5], s53, v9
	v_mov_b32_e32 v49, 0x7c010000
	s_and_saveexec_b64 s[44:45], s[4:5]
	s_cbranch_execz .LBB255_160
; %bb.159:                              ;   in Loop: Header=BB255_13 Depth=1
	v_and_b32_e32 v49, 7, v1
	v_ffbh_u32_e32 v51, v49
	v_min_u32_e32 v54, 32, v51
	v_subrev_u32_e32 v51, 28, v54
	v_lshlrev_b64 v[51:52], v51, v[1:2]
	v_lshrrev_b32_e32 v53, 3, v9
	v_sub_u32_e32 v52, 29, v54
	v_cmp_gt_u32_e64 s[4:5], 8, v9
	v_cndmask_b32_e64 v9, v53, v52, s[4:5]
	v_lshlrev_b32_e32 v1, 8, v1
	v_lshl_add_u32 v9, v9, 10, v23
	v_and_b32_e32 v51, 7, v51
	v_and_or_b32 v1, v1, s54, v9
	v_cndmask_b32_e64 v49, v49, v51, s[4:5]
	v_lshlrev_b32_e32 v1, 16, v1
	v_lshl_or_b32 v49, v49, 23, v1
.LBB255_160:                            ;   in Loop: Header=BB255_13 Depth=1
	s_or_b64 exec, exec, s[44:45]
.LBB255_161:                            ;   in Loop: Header=BB255_13 Depth=1
	s_or_b64 exec, exec, s[42:43]
.LBB255_162:                            ;   in Loop: Header=BB255_13 Depth=1
	s_or_b64 exec, exec, s[40:41]
	global_load_dword v9, v[7:8], off offset:1536
	v_mov_b32_e32 v51, 0
	v_mov_b32_e32 v52, 0
	s_waitcnt vmcnt(0)
	v_cmp_ne_u16_sdwa s[4:5], v9, v2 src0_sel:BYTE_0 src1_sel:DWORD
	s_and_saveexec_b64 s[40:41], s[4:5]
	s_cbranch_execz .LBB255_168
; %bb.163:                              ;   in Loop: Header=BB255_13 Depth=1
	v_cmp_ne_u16_sdwa s[4:5], v9, s52 src0_sel:BYTE_0 src1_sel:DWORD
	v_mov_b32_e32 v52, 0x8000
	s_and_saveexec_b64 s[42:43], s[4:5]
	s_cbranch_execz .LBB255_167
; %bb.164:                              ;   in Loop: Header=BB255_13 Depth=1
	v_and_b32_e32 v1, 0x7f, v9
	v_cmp_ne_u32_e64 s[4:5], s53, v1
	v_mov_b32_e32 v52, 0x7c01
	s_and_saveexec_b64 s[44:45], s[4:5]
	s_cbranch_execz .LBB255_166
; %bb.165:                              ;   in Loop: Header=BB255_13 Depth=1
	v_and_b32_e32 v54, 7, v9
	v_ffbh_u32_e32 v52, v54
	v_min_u32_e32 v56, 32, v52
	v_subrev_u32_e32 v52, 28, v56
	v_lshlrev_b64 v[52:53], v52, v[9:10]
	v_lshrrev_b32_e32 v55, 3, v1
	v_sub_u32_e32 v53, 29, v56
	v_cmp_gt_u32_e64 s[4:5], 8, v1
	v_cndmask_b32_e64 v1, v55, v53, s[4:5]
	v_lshl_add_u32 v1, v1, 10, v23
	v_lshlrev_b32_e32 v53, 8, v9
	v_and_b32_e32 v52, 7, v52
	v_and_b32_e32 v1, 0xfc00, v1
	v_cndmask_b32_e64 v52, v54, v52, s[4:5]
	v_and_or_b32 v1, v53, s54, v1
	v_lshl_or_b32 v52, v52, 7, v1
.LBB255_166:                            ;   in Loop: Header=BB255_13 Depth=1
	s_or_b64 exec, exec, s[44:45]
.LBB255_167:                            ;   in Loop: Header=BB255_13 Depth=1
	s_or_b64 exec, exec, s[42:43]
.LBB255_168:                            ;   in Loop: Header=BB255_13 Depth=1
	s_or_b64 exec, exec, s[40:41]
	v_lshrrev_b16_e32 v1, 8, v9
	v_cmp_ne_u16_e64 s[4:5], 0, v1
	s_and_saveexec_b64 s[40:41], s[4:5]
	s_cbranch_execz .LBB255_174
; %bb.169:                              ;   in Loop: Header=BB255_13 Depth=1
	v_cmp_ne_u16_e64 s[4:5], s52, v1
	v_bfrev_b32_e32 v51, 1
	s_and_saveexec_b64 s[42:43], s[4:5]
	s_cbranch_execz .LBB255_173
; %bb.170:                              ;   in Loop: Header=BB255_13 Depth=1
	v_and_b32_e32 v53, 0x7f, v1
	v_cmp_ne_u32_e64 s[4:5], s53, v53
	v_mov_b32_e32 v51, 0x7c010000
	s_and_saveexec_b64 s[44:45], s[4:5]
	s_cbranch_execz .LBB255_172
; %bb.171:                              ;   in Loop: Header=BB255_13 Depth=1
	v_and_b32_e32 v51, 7, v1
	v_ffbh_u32_e32 v54, v51
	v_min_u32_e32 v57, 32, v54
	v_subrev_u32_e32 v54, 28, v57
	v_lshlrev_b64 v[54:55], v54, v[1:2]
	v_lshrrev_b32_e32 v56, 3, v53
	v_sub_u32_e32 v55, 29, v57
	v_cmp_gt_u32_e64 s[4:5], 8, v53
	v_cndmask_b32_e64 v53, v56, v55, s[4:5]
	v_lshlrev_b32_e32 v1, 8, v1
	v_lshl_add_u32 v53, v53, 10, v23
	v_and_b32_e32 v54, 7, v54
	v_and_or_b32 v1, v1, s54, v53
	v_cndmask_b32_e64 v51, v51, v54, s[4:5]
	v_lshlrev_b32_e32 v1, 16, v1
	v_lshl_or_b32 v51, v51, 23, v1
.LBB255_172:                            ;   in Loop: Header=BB255_13 Depth=1
	s_or_b64 exec, exec, s[44:45]
.LBB255_173:                            ;   in Loop: Header=BB255_13 Depth=1
	s_or_b64 exec, exec, s[42:43]
.LBB255_174:                            ;   in Loop: Header=BB255_13 Depth=1
	s_or_b64 exec, exec, s[40:41]
	v_lshrrev_b32_e32 v1, 16, v9
	v_cmp_ne_u16_sdwa s[4:5], v1, v2 src0_sel:BYTE_0 src1_sel:DWORD
	v_mov_b32_e32 v53, 0
	v_mov_b32_e32 v54, 0
	s_and_saveexec_b64 s[40:41], s[4:5]
	s_cbranch_execz .LBB255_180
; %bb.175:                              ;   in Loop: Header=BB255_13 Depth=1
	v_cmp_ne_u16_sdwa s[4:5], v1, s52 src0_sel:BYTE_0 src1_sel:DWORD
	v_mov_b32_e32 v54, 0x8000
	s_and_saveexec_b64 s[42:43], s[4:5]
	s_cbranch_execz .LBB255_179
; %bb.176:                              ;   in Loop: Header=BB255_13 Depth=1
	v_bfe_u32 v55, v9, 16, 7
	v_cmp_ne_u32_e64 s[4:5], s53, v55
	v_mov_b32_e32 v54, 0x7c01
	s_and_saveexec_b64 s[44:45], s[4:5]
	s_cbranch_execz .LBB255_178
; %bb.177:                              ;   in Loop: Header=BB255_13 Depth=1
	v_and_b32_e32 v54, 7, v1
	v_ffbh_u32_e32 v56, v54
	v_min_u32_e32 v59, 32, v56
	v_subrev_u32_e32 v56, 28, v59
	v_lshlrev_b64 v[56:57], v56, v[1:2]
	v_lshrrev_b32_e32 v58, 3, v55
	v_sub_u32_e32 v57, 29, v59
	v_cmp_gt_u32_e64 s[4:5], 8, v55
	v_cndmask_b32_e64 v55, v58, v57, s[4:5]
	v_lshl_add_u32 v55, v55, 10, v23
	v_lshlrev_b32_e32 v1, 8, v1
	v_and_b32_e32 v56, 7, v56
	v_and_b32_e32 v55, 0xfc00, v55
	v_cndmask_b32_e64 v54, v54, v56, s[4:5]
	v_and_or_b32 v1, v1, s54, v55
	v_lshl_or_b32 v54, v54, 7, v1
.LBB255_178:                            ;   in Loop: Header=BB255_13 Depth=1
	s_or_b64 exec, exec, s[44:45]
.LBB255_179:                            ;   in Loop: Header=BB255_13 Depth=1
	s_or_b64 exec, exec, s[42:43]
.LBB255_180:                            ;   in Loop: Header=BB255_13 Depth=1
	s_or_b64 exec, exec, s[40:41]
	v_cmp_lt_u32_e64 s[4:5], s55, v9
	s_and_saveexec_b64 s[40:41], s[4:5]
	s_cbranch_execz .LBB255_186
; %bb.181:                              ;   in Loop: Header=BB255_13 Depth=1
	v_lshrrev_b32_e32 v1, 24, v9
	v_cmp_ne_u32_e64 s[4:5], s52, v1
	v_bfrev_b32_e32 v53, 1
	s_and_saveexec_b64 s[42:43], s[4:5]
	s_cbranch_execz .LBB255_185
; %bb.182:                              ;   in Loop: Header=BB255_13 Depth=1
	v_and_b32_e32 v9, 0x7f, v1
	v_cmp_ne_u32_e64 s[4:5], s53, v9
	v_mov_b32_e32 v53, 0x7c010000
	s_and_saveexec_b64 s[44:45], s[4:5]
	s_cbranch_execz .LBB255_184
; %bb.183:                              ;   in Loop: Header=BB255_13 Depth=1
	v_and_b32_e32 v53, 7, v1
	v_ffbh_u32_e32 v55, v53
	v_min_u32_e32 v58, 32, v55
	v_subrev_u32_e32 v55, 28, v58
	v_lshlrev_b64 v[55:56], v55, v[1:2]
	v_lshrrev_b32_e32 v57, 3, v9
	v_sub_u32_e32 v56, 29, v58
	v_cmp_gt_u32_e64 s[4:5], 8, v9
	v_cndmask_b32_e64 v9, v57, v56, s[4:5]
	v_lshlrev_b32_e32 v1, 8, v1
	v_lshl_add_u32 v9, v9, 10, v23
	v_and_b32_e32 v55, 7, v55
	v_and_or_b32 v1, v1, s54, v9
	v_cndmask_b32_e64 v53, v53, v55, s[4:5]
	v_lshlrev_b32_e32 v1, 16, v1
	v_lshl_or_b32 v53, v53, 23, v1
.LBB255_184:                            ;   in Loop: Header=BB255_13 Depth=1
	s_or_b64 exec, exec, s[44:45]
.LBB255_185:                            ;   in Loop: Header=BB255_13 Depth=1
	s_or_b64 exec, exec, s[42:43]
.LBB255_186:                            ;   in Loop: Header=BB255_13 Depth=1
	s_or_b64 exec, exec, s[40:41]
	global_load_dword v7, v[7:8], off offset:1544
	v_mov_b32_e32 v55, 0
	v_mov_b32_e32 v56, 0
	s_waitcnt vmcnt(0)
	v_cmp_ne_u16_sdwa s[4:5], v7, v2 src0_sel:BYTE_0 src1_sel:DWORD
	s_and_saveexec_b64 s[40:41], s[4:5]
	s_cbranch_execz .LBB255_192
; %bb.187:                              ;   in Loop: Header=BB255_13 Depth=1
	v_cmp_ne_u16_sdwa s[4:5], v7, s52 src0_sel:BYTE_0 src1_sel:DWORD
	v_mov_b32_e32 v56, 0x8000
	s_and_saveexec_b64 s[42:43], s[4:5]
	s_cbranch_execz .LBB255_191
; %bb.188:                              ;   in Loop: Header=BB255_13 Depth=1
	v_and_b32_e32 v1, 0x7f, v7
	v_cmp_ne_u32_e64 s[4:5], s53, v1
	v_mov_b32_e32 v56, 0x7c01
	s_and_saveexec_b64 s[44:45], s[4:5]
	s_cbranch_execz .LBB255_190
; %bb.189:                              ;   in Loop: Header=BB255_13 Depth=1
	v_and_b32_e32 v56, 7, v7
	v_ffbh_u32_e32 v8, v56
	v_min_u32_e32 v58, 32, v8
	v_subrev_u32_e32 v8, 28, v58
	v_lshlrev_b64 v[8:9], v8, v[7:8]
	v_lshrrev_b32_e32 v57, 3, v1
	v_sub_u32_e32 v9, 29, v58
	v_cmp_gt_u32_e64 s[4:5], 8, v1
	v_cndmask_b32_e64 v1, v57, v9, s[4:5]
	v_lshl_add_u32 v1, v1, 10, v23
	v_lshlrev_b32_e32 v9, 8, v7
	v_and_b32_e32 v8, 7, v8
	v_and_b32_e32 v1, 0xfc00, v1
	v_cndmask_b32_e64 v8, v56, v8, s[4:5]
	v_and_or_b32 v1, v9, s54, v1
	v_lshl_or_b32 v56, v8, 7, v1
.LBB255_190:                            ;   in Loop: Header=BB255_13 Depth=1
	s_or_b64 exec, exec, s[44:45]
.LBB255_191:                            ;   in Loop: Header=BB255_13 Depth=1
	s_or_b64 exec, exec, s[42:43]
.LBB255_192:                            ;   in Loop: Header=BB255_13 Depth=1
	s_or_b64 exec, exec, s[40:41]
	v_lshrrev_b16_e32 v1, 8, v7
	v_cmp_ne_u16_e64 s[4:5], 0, v1
	s_and_saveexec_b64 s[40:41], s[4:5]
	s_cbranch_execz .LBB255_198
; %bb.193:                              ;   in Loop: Header=BB255_13 Depth=1
	v_cmp_ne_u16_e64 s[4:5], s52, v1
	v_bfrev_b32_e32 v55, 1
	s_and_saveexec_b64 s[42:43], s[4:5]
	s_cbranch_execz .LBB255_197
; %bb.194:                              ;   in Loop: Header=BB255_13 Depth=1
	v_and_b32_e32 v8, 0x7f, v1
	v_cmp_ne_u32_e64 s[4:5], s53, v8
	v_mov_b32_e32 v55, 0x7c010000
	s_and_saveexec_b64 s[44:45], s[4:5]
	s_cbranch_execz .LBB255_196
; %bb.195:                              ;   in Loop: Header=BB255_13 Depth=1
	v_and_b32_e32 v9, 7, v1
	v_ffbh_u32_e32 v57, v9
	v_min_u32_e32 v59, 32, v57
	v_subrev_u32_e32 v57, 28, v59
	v_lshlrev_b64 v[57:58], v57, v[1:2]
	v_lshrrev_b32_e32 v55, 3, v8
	v_sub_u32_e32 v58, 29, v59
	v_cmp_gt_u32_e64 s[4:5], 8, v8
	v_cndmask_b32_e64 v8, v55, v58, s[4:5]
	v_lshlrev_b32_e32 v1, 8, v1
	v_lshl_add_u32 v8, v8, 10, v23
	v_and_b32_e32 v55, 7, v57
	v_and_or_b32 v1, v1, s54, v8
	v_cndmask_b32_e64 v9, v9, v55, s[4:5]
	v_lshlrev_b32_e32 v1, 16, v1
	v_lshl_or_b32 v55, v9, 23, v1
.LBB255_196:                            ;   in Loop: Header=BB255_13 Depth=1
	s_or_b64 exec, exec, s[44:45]
.LBB255_197:                            ;   in Loop: Header=BB255_13 Depth=1
	s_or_b64 exec, exec, s[42:43]
.LBB255_198:                            ;   in Loop: Header=BB255_13 Depth=1
	s_or_b64 exec, exec, s[40:41]
	v_lshrrev_b32_e32 v1, 16, v7
	v_cmp_ne_u16_sdwa s[4:5], v1, v2 src0_sel:BYTE_0 src1_sel:DWORD
	v_mov_b32_e32 v57, 0
	v_mov_b32_e32 v58, 0
	s_and_saveexec_b64 s[40:41], s[4:5]
	s_cbranch_execz .LBB255_204
; %bb.199:                              ;   in Loop: Header=BB255_13 Depth=1
	v_cmp_ne_u16_sdwa s[4:5], v1, s52 src0_sel:BYTE_0 src1_sel:DWORD
	v_mov_b32_e32 v58, 0x8000
	s_and_saveexec_b64 s[42:43], s[4:5]
	s_cbranch_execz .LBB255_203
; %bb.200:                              ;   in Loop: Header=BB255_13 Depth=1
	v_bfe_u32 v8, v7, 16, 7
	v_cmp_ne_u32_e64 s[4:5], s53, v8
	v_mov_b32_e32 v58, 0x7c01
	s_and_saveexec_b64 s[44:45], s[4:5]
	s_cbranch_execz .LBB255_202
; %bb.201:                              ;   in Loop: Header=BB255_13 Depth=1
	v_and_b32_e32 v9, 7, v1
	v_ffbh_u32_e32 v58, v9
	v_min_u32_e32 v61, 32, v58
	v_subrev_u32_e32 v58, 28, v61
	v_lshlrev_b64 v[58:59], v58, v[1:2]
	v_lshrrev_b32_e32 v60, 3, v8
	v_sub_u32_e32 v59, 29, v61
	v_cmp_gt_u32_e64 s[4:5], 8, v8
	v_cndmask_b32_e64 v8, v60, v59, s[4:5]
	v_lshl_add_u32 v8, v8, 10, v23
	v_lshlrev_b32_e32 v1, 8, v1
	v_and_b32_e32 v58, 7, v58
	v_and_b32_e32 v8, 0xfc00, v8
	v_cndmask_b32_e64 v9, v9, v58, s[4:5]
	v_and_or_b32 v1, v1, s54, v8
	v_lshl_or_b32 v58, v9, 7, v1
.LBB255_202:                            ;   in Loop: Header=BB255_13 Depth=1
	s_or_b64 exec, exec, s[44:45]
.LBB255_203:                            ;   in Loop: Header=BB255_13 Depth=1
	s_or_b64 exec, exec, s[42:43]
.LBB255_204:                            ;   in Loop: Header=BB255_13 Depth=1
	s_or_b64 exec, exec, s[40:41]
	v_cmp_lt_u32_e64 s[4:5], s55, v7
	s_and_saveexec_b64 s[40:41], s[4:5]
	s_cbranch_execz .LBB255_210
; %bb.205:                              ;   in Loop: Header=BB255_13 Depth=1
	v_lshrrev_b32_e32 v1, 24, v7
	v_cmp_ne_u32_e64 s[4:5], s52, v1
	v_bfrev_b32_e32 v57, 1
	s_and_saveexec_b64 s[42:43], s[4:5]
	s_cbranch_execz .LBB255_209
; %bb.206:                              ;   in Loop: Header=BB255_13 Depth=1
	v_and_b32_e32 v7, 0x7f, v1
	v_cmp_ne_u32_e64 s[4:5], s53, v7
	v_mov_b32_e32 v57, 0x7c010000
	s_and_saveexec_b64 s[44:45], s[4:5]
	s_cbranch_execz .LBB255_208
; %bb.207:                              ;   in Loop: Header=BB255_13 Depth=1
	v_and_b32_e32 v57, 7, v1
	v_ffbh_u32_e32 v8, v57
	v_min_u32_e32 v60, 32, v8
	v_subrev_u32_e32 v8, 28, v60
	v_lshlrev_b64 v[8:9], v8, v[1:2]
	v_lshrrev_b32_e32 v59, 3, v7
	v_sub_u32_e32 v9, 29, v60
	v_cmp_gt_u32_e64 s[4:5], 8, v7
	v_cndmask_b32_e64 v7, v59, v9, s[4:5]
	v_lshlrev_b32_e32 v1, 8, v1
	v_lshl_add_u32 v7, v7, 10, v23
	v_and_b32_e32 v8, 7, v8
	v_and_or_b32 v1, v1, s54, v7
	v_cndmask_b32_e64 v8, v57, v8, s[4:5]
	v_lshlrev_b32_e32 v1, 16, v1
	v_lshl_or_b32 v57, v8, 23, v1
.LBB255_208:                            ;   in Loop: Header=BB255_13 Depth=1
	s_or_b64 exec, exec, s[44:45]
.LBB255_209:                            ;   in Loop: Header=BB255_13 Depth=1
	s_or_b64 exec, exec, s[42:43]
.LBB255_210:                            ;   in Loop: Header=BB255_13 Depth=1
	s_or_b64 exec, exec, s[40:41]
	v_or_b32_e32 v1, v51, v52
	v_fma_mixlo_f16 v8, v26, v51, 0 op_sel:[0,1,0] op_sel_hi:[0,1,0]
	v_or_b32_e32 v48, v47, v48
	v_fma_mixlo_f16 v51, v26, v47, 0 op_sel:[0,1,0] op_sel_hi:[0,1,0]
	v_or_b32_e32 v47, v49, v50
	v_fma_mixlo_f16 v52, v26, v48, 0 op_sel_hi:[0,1,0]
	v_fma_mixlo_f16 v48, v26, v47, 0 op_sel_hi:[0,1,0]
	v_fma_mixlo_f16 v47, v26, v49, 0 op_sel:[0,1,0] op_sel_hi:[0,1,0]
	v_or_b32_e32 v44, v43, v44
	v_fma_mixlo_f16 v49, v26, v43, 0 op_sel:[0,1,0] op_sel_hi:[0,1,0]
	v_or_b32_e32 v43, v45, v46
	v_fma_mixlo_f16 v50, v26, v44, 0 op_sel_hi:[0,1,0]
	v_fma_mixlo_f16 v44, v26, v43, 0 op_sel_hi:[0,1,0]
	;; [unrolled: 6-line block ×3, first 2 shown]
	v_fma_mixlo_f16 v39, v26, v41, 0 op_sel:[0,1,0] op_sel_hi:[0,1,0]
	v_or_b32_e32 v36, v35, v36
	v_fma_mixlo_f16 v41, v26, v35, 0 op_sel:[0,1,0] op_sel_hi:[0,1,0]
	v_or_b32_e32 v35, v37, v38
	v_fma_mixlo_f16 v38, v26, v35, 0 op_sel_hi:[0,1,0]
	v_or_b32_e32 v32, v31, v32
	v_fma_mixlo_f16 v35, v26, v31, 0 op_sel:[0,1,0] op_sel_hi:[0,1,0]
	v_or_b32_e32 v31, v33, v34
	v_fma_mixlo_f16 v42, v26, v32, 0 op_sel_hi:[0,1,0]
	v_fma_mixlo_f16 v34, v26, v31, 0 op_sel_hi:[0,1,0]
	v_or_b32_e32 v28, v27, v28
	v_fma_mixlo_f16 v32, v26, v27, 0 op_sel:[0,1,0] op_sel_hi:[0,1,0]
	v_or_b32_e32 v27, v29, v30
	ds_read_b64 v[30:31], v16
	v_fma_mixlo_f16 v9, v26, v1, 0 op_sel_hi:[0,1,0]
	v_or_b32_e32 v1, v53, v54
	v_fma_mixlo_f16 v28, v26, v28, 0 op_sel_hi:[0,1,0]
	v_fma_mixlo_f16 v7, v26, v1, 0 op_sel_hi:[0,1,0]
	v_fma_mixlo_f16 v1, v26, v53, 0 op_sel:[0,1,0] op_sel_hi:[0,1,0]
	v_fma_mixlo_f16 v53, v26, v33, 0 op_sel:[0,1,0] op_sel_hi:[0,1,0]
	v_fma_mixlo_f16 v33, v26, v27, 0 op_sel_hi:[0,1,0]
	v_or_b32_e32 v54, v55, v56
	v_fma_mixlo_f16 v27, v26, v55, 0 op_sel:[0,1,0] op_sel_hi:[0,1,0]
	s_waitcnt lgkmcnt(0)
	v_lshrrev_b32_e32 v55, 16, v30
	v_and_b32_e32 v30, 0xffff, v30
	v_and_b32_e32 v28, 0xffff, v28
	;;#ASMSTART
	v_cvt_f32_f16 v30, v30;
	;;#ASMEND
	;;#ASMSTART
	v_cvt_f32_f16 v55, v55;
	;;#ASMEND
	;; [unrolled: 3-line block ×3, first 2 shown]
	v_and_b32_e32 v28, 0xffff, v32
	;;#ASMSTART
	v_cvt_f32_f16 v59, v28;
	;;#ASMEND
	v_lshrrev_b32_e32 v28, 16, v31
	v_fma_mixlo_f16 v29, v26, v29, 0 op_sel:[0,1,0] op_sel_hi:[0,1,0]
	v_and_b32_e32 v31, 0xffff, v31
	;;#ASMSTART
	v_cvt_f32_f16 v60, v31;
	;;#ASMEND
	;;#ASMSTART
	v_cvt_f32_f16 v61, v28;
	;;#ASMEND
	v_and_b32_e32 v28, 0xffff, v33
	;;#ASMSTART
	v_cvt_f32_f16 v62, v28;
	;;#ASMEND
	v_and_b32_e32 v28, 0xffff, v29
	;;#ASMSTART
	v_cvt_f32_f16 v63, v28;
	;;#ASMEND
	ds_read_b64 v[32:33], v16 offset:8
	v_and_b32_e32 v42, 0xffff, v42
	v_fma_mixlo_f16 v31, v26, v54, 0 op_sel_hi:[0,1,0]
	v_and_b32_e32 v35, 0xffff, v35
	v_and_b32_e32 v34, 0xffff, v34
	s_waitcnt lgkmcnt(0)
	v_and_b32_e32 v29, 0xffff, v32
	;;#ASMSTART
	v_cvt_f32_f16 v29, v29;
	;;#ASMEND
	v_lshrrev_b32_e32 v54, 16, v32
	;;#ASMSTART
	v_cvt_f32_f16 v32, v54;
	;;#ASMEND
	;;#ASMSTART
	v_cvt_f32_f16 v42, v42;
	;;#ASMEND
	v_mul_f32_e32 v29, v29, v42
	;;#ASMSTART
	v_cvt_f32_f16 v35, v35;
	;;#ASMEND
	v_fmac_f32_e32 v29, v30, v56
	v_mul_f32_e32 v30, v32, v35
	v_and_b32_e32 v32, 0xffff, v33
	v_lshrrev_b32_e32 v35, 16, v33
	;;#ASMSTART
	v_cvt_f32_f16 v32, v32;
	;;#ASMEND
	;;#ASMSTART
	v_cvt_f32_f16 v33, v35;
	;;#ASMEND
	;; [unrolled: 3-line block ×3, first 2 shown]
	v_and_b32_e32 v34, 0xffff, v53
	;;#ASMSTART
	v_cvt_f32_f16 v53, v34;
	;;#ASMEND
	ds_read_b64 v[34:35], v16 offset:16
	v_fma_mixlo_f16 v36, v26, v36, 0 op_sel_hi:[0,1,0]
	v_mul_f32_e32 v33, v33, v53
	v_mul_f32_e32 v32, v32, v42
	v_fma_mixlo_f16 v37, v26, v37, 0 op_sel:[0,1,0] op_sel_hi:[0,1,0]
	s_waitcnt lgkmcnt(0)
	v_lshrrev_b32_e32 v53, 16, v34
	v_and_b32_e32 v34, 0xffff, v34
	;;#ASMSTART
	v_cvt_f32_f16 v42, v34;
	;;#ASMEND
	v_and_b32_e32 v34, 0xffff, v36
	;;#ASMSTART
	v_cvt_f32_f16 v53, v53;
	;;#ASMEND
	;;#ASMSTART
	v_cvt_f32_f16 v36, v34;
	;;#ASMEND
	v_and_b32_e32 v34, 0xffff, v41
	;;#ASMSTART
	v_cvt_f32_f16 v41, v34;
	;;#ASMEND
	v_lshrrev_b32_e32 v34, 16, v35
	v_fmac_f32_e32 v30, v55, v59
	v_and_b32_e32 v35, 0xffff, v35
	;;#ASMSTART
	v_cvt_f32_f16 v54, v35;
	;;#ASMEND
	;;#ASMSTART
	v_cvt_f32_f16 v55, v34;
	;;#ASMEND
	v_and_b32_e32 v34, 0xffff, v38
	;;#ASMSTART
	v_cvt_f32_f16 v38, v34;
	;;#ASMEND
	v_and_b32_e32 v34, 0xffff, v37
	;;#ASMSTART
	v_cvt_f32_f16 v37, v34;
	;;#ASMEND
	ds_read_b64 v[34:35], v16 offset:24
	v_fmac_f32_e32 v33, v61, v63
	v_fmac_f32_e32 v33, v55, v37
	;; [unrolled: 1-line block ×4, first 2 shown]
	s_waitcnt lgkmcnt(0)
	v_lshrrev_b32_e32 v37, 16, v34
	v_and_b32_e32 v34, 0xffff, v34
	;;#ASMSTART
	v_cvt_f32_f16 v36, v34;
	;;#ASMEND
	v_and_b32_e32 v34, 0xffff, v46
	v_fmac_f32_e32 v32, v54, v38
	;;#ASMSTART
	v_cvt_f32_f16 v37, v37;
	;;#ASMEND
	;;#ASMSTART
	v_cvt_f32_f16 v38, v34;
	;;#ASMEND
	v_and_b32_e32 v34, 0xffff, v45
	v_fmac_f32_e32 v30, v53, v41
	;;#ASMSTART
	v_cvt_f32_f16 v41, v34;
	;;#ASMEND
	v_lshrrev_b32_e32 v34, 16, v35
	v_and_b32_e32 v35, 0xffff, v35
	;;#ASMSTART
	v_cvt_f32_f16 v42, v35;
	;;#ASMEND
	;;#ASMSTART
	v_cvt_f32_f16 v45, v34;
	;;#ASMEND
	v_and_b32_e32 v34, 0xffff, v40
	;;#ASMSTART
	v_cvt_f32_f16 v40, v34;
	;;#ASMEND
	v_and_b32_e32 v34, 0xffff, v39
	;;#ASMSTART
	v_cvt_f32_f16 v39, v34;
	;;#ASMEND
	ds_read_b64 v[34:35], v16 offset:32
	v_fmac_f32_e32 v30, v37, v41
	v_fmac_f32_e32 v29, v36, v38
	;; [unrolled: 1-line block ×4, first 2 shown]
	s_waitcnt lgkmcnt(0)
	v_lshrrev_b32_e32 v37, 16, v34
	v_and_b32_e32 v34, 0xffff, v34
	;;#ASMSTART
	v_cvt_f32_f16 v36, v34;
	;;#ASMEND
	v_and_b32_e32 v34, 0xffff, v50
	;;#ASMSTART
	v_cvt_f32_f16 v37, v37;
	;;#ASMEND
	;;#ASMSTART
	v_cvt_f32_f16 v38, v34;
	;;#ASMEND
	v_and_b32_e32 v34, 0xffff, v49
	;;#ASMSTART
	v_cvt_f32_f16 v39, v34;
	;;#ASMEND
	v_lshrrev_b32_e32 v34, 16, v35
	v_and_b32_e32 v35, 0xffff, v35
	;;#ASMSTART
	v_cvt_f32_f16 v40, v35;
	;;#ASMEND
	;;#ASMSTART
	v_cvt_f32_f16 v41, v34;
	;;#ASMEND
	v_and_b32_e32 v34, 0xffff, v44
	;;#ASMSTART
	v_cvt_f32_f16 v42, v34;
	;;#ASMEND
	v_and_b32_e32 v34, 0xffff, v43
	;;#ASMSTART
	v_cvt_f32_f16 v43, v34;
	;;#ASMEND
	ds_read_b64 v[34:35], v16 offset:40
	v_fmac_f32_e32 v30, v37, v39
	v_fmac_f32_e32 v29, v36, v38
	;; [unrolled: 1-line block ×4, first 2 shown]
	s_waitcnt lgkmcnt(0)
	v_lshrrev_b32_e32 v37, 16, v34
	v_and_b32_e32 v34, 0xffff, v34
	;;#ASMSTART
	v_cvt_f32_f16 v36, v34;
	;;#ASMEND
	v_and_b32_e32 v34, 0xffff, v52
	;;#ASMSTART
	v_cvt_f32_f16 v37, v37;
	;;#ASMEND
	;;#ASMSTART
	v_cvt_f32_f16 v38, v34;
	;;#ASMEND
	v_and_b32_e32 v34, 0xffff, v51
	;;#ASMSTART
	v_cvt_f32_f16 v39, v34;
	;;#ASMEND
	v_lshrrev_b32_e32 v34, 16, v35
	v_and_b32_e32 v35, 0xffff, v35
	;;#ASMSTART
	v_cvt_f32_f16 v40, v35;
	;;#ASMEND
	;;#ASMSTART
	v_cvt_f32_f16 v41, v34;
	;;#ASMEND
	v_and_b32_e32 v34, 0xffff, v48
	;;#ASMSTART
	v_cvt_f32_f16 v42, v34;
	;;#ASMEND
	v_and_b32_e32 v34, 0xffff, v47
	;;#ASMSTART
	v_cvt_f32_f16 v43, v34;
	;;#ASMEND
	ds_read_b64 v[34:35], v16 offset:48
	v_fmac_f32_e32 v29, v36, v38
	v_and_b32_e32 v9, 0xffff, v9
	v_and_b32_e32 v8, 0xffff, v8
	v_fmac_f32_e32 v30, v37, v39
	s_waitcnt lgkmcnt(0)
	v_lshrrev_b32_e32 v36, 16, v34
	v_and_b32_e32 v34, 0xffff, v34
	;;#ASMSTART
	v_cvt_f32_f16 v34, v34;
	;;#ASMEND
	;;#ASMSTART
	v_cvt_f32_f16 v36, v36;
	;;#ASMEND
	;; [unrolled: 3-line block ×4, first 2 shown]
	v_lshrrev_b32_e32 v8, 16, v35
	v_and_b32_e32 v35, 0xffff, v35
	v_and_b32_e32 v7, 0xffff, v7
	;; [unrolled: 1-line block ×3, first 2 shown]
	;;#ASMSTART
	v_cvt_f32_f16 v35, v35;
	;;#ASMEND
	;;#ASMSTART
	v_cvt_f32_f16 v38, v8;
	;;#ASMEND
	;; [unrolled: 3-line block ×4, first 2 shown]
	ds_read_b64 v[7:8], v16 offset:56
	v_fmac_f32_e32 v33, v41, v43
	v_or_b32_e32 v28, v57, v58
	v_fmac_f32_e32 v29, v34, v9
	v_fmac_f32_e32 v33, v38, v1
	s_waitcnt lgkmcnt(0)
	v_lshrrev_b32_e32 v9, 16, v7
	v_and_b32_e32 v1, 0xffff, v7
	v_fma_mixlo_f16 v28, v26, v28, 0 op_sel_hi:[0,1,0]
	v_fmac_f32_e32 v30, v36, v37
	;;#ASMSTART
	v_cvt_f32_f16 v1, v1;
	;;#ASMEND
	;;#ASMSTART
	v_cvt_f32_f16 v7, v9;
	;;#ASMEND
	v_and_b32_e32 v9, 0xffff, v31
	v_and_b32_e32 v27, 0xffff, v27
	v_fmac_f32_e32 v32, v40, v42
	;;#ASMSTART
	v_cvt_f32_f16 v9, v9;
	;;#ASMEND
	;;#ASMSTART
	v_cvt_f32_f16 v27, v27;
	;;#ASMEND
	v_fmac_f32_e32 v29, v1, v9
	v_fmac_f32_e32 v30, v7, v27
	v_lshrrev_b32_e32 v7, 16, v8
	v_and_b32_e32 v1, 0xffff, v8
	v_and_b32_e32 v8, 0xffff, v28
	v_fma_mixlo_f16 v26, v26, v57, 0 op_sel:[0,1,0] op_sel_hi:[0,1,0]
	v_fmac_f32_e32 v32, v35, v39
	;;#ASMSTART
	v_cvt_f32_f16 v1, v1;
	;;#ASMEND
	;;#ASMSTART
	v_cvt_f32_f16 v7, v7;
	;;#ASMEND
	;; [unrolled: 3-line block ×3, first 2 shown]
	v_and_b32_e32 v9, 0xffff, v26
	v_fmac_f32_e32 v32, v1, v8
	v_and_b32_e32 v8, 64, v24
	;;#ASMSTART
	v_cvt_f32_f16 v9, v9;
	;;#ASMEND
	v_fmac_f32_e32 v33, v7, v9
	v_xor_b32_e32 v7, 1, v24
	v_add_u32_e32 v8, 64, v8
	v_add_f32_e32 v1, v29, v30
	v_cmp_lt_i32_e64 s[4:5], v7, v8
	v_add_f32_e32 v1, v1, v32
	v_cndmask_b32_e64 v7, v24, v7, s[4:5]
	v_add_f32_e32 v1, v33, v1
	v_lshlrev_b32_e32 v7, 2, v7
	ds_bpermute_b32 v7, v7, v1
	s_and_saveexec_b64 s[40:41], vcc
	s_cbranch_execz .LBB255_11
; %bb.211:                              ;   in Loop: Header=BB255_13 Depth=1
	v_add_u32_e32 v8, v20, v19
	v_cvt_f32_i32_e32 v8, v8
	s_waitcnt lgkmcnt(0)
	v_add_f32_e32 v1, v1, v7
	v_add_u32_e32 v9, v15, v19
	v_cmp_gt_i32_e64 s[4:5], s33, v9
	v_mul_f32_e32 v7, s48, v8
	v_cndmask_b32_e64 v7, 0, v7, s[2:3]
	v_fmac_f32_e32 v7, s37, v1
	v_cndmask_b32_e64 v1, 0, v7, s[4:5]
	ds_write_b32 v21, v1
	v_max_f32_e32 v1, v18, v18
	v_max_f32_e32 v1, v1, v7
	v_cndmask_b32_e64 v18, v18, v1, s[4:5]
	s_branch .LBB255_11
.LBB255_212:
	s_or_b64 exec, exec, s[38:39]
.LBB255_213:
	s_or_b64 exec, exec, s[18:19]
	v_mbcnt_hi_u32_b32 v1, -1, v14
	v_and_b32_e32 v8, 64, v1
	v_add_u32_e32 v9, 64, v8
	v_xor_b32_e32 v2, 32, v1
	v_cmp_lt_i32_e32 vcc, v2, v9
	v_cndmask_b32_e32 v2, v1, v2, vcc
	v_lshlrev_b32_e32 v2, 2, v2
	ds_bpermute_b32 v3, v2, v18
	v_xor_b32_e32 v5, 16, v1
	v_max_f32_e32 v4, v18, v18
	v_cmp_lt_i32_e32 vcc, v5, v9
	v_xor_b32_e32 v6, 8, v1
	s_waitcnt lgkmcnt(0)
	v_max_f32_e32 v3, v3, v3
	v_max_f32_e32 v4, v4, v3
	v_cndmask_b32_e32 v3, v1, v5, vcc
	v_lshlrev_b32_e32 v3, 2, v3
	ds_bpermute_b32 v5, v3, v4
	v_cmp_lt_i32_e32 vcc, v6, v9
	v_xor_b32_e32 v7, 4, v1
	v_xor_b32_e32 v14, 2, v1
	s_waitcnt lgkmcnt(0)
	v_max_f32_e32 v5, v5, v5
	v_max_f32_e32 v5, v4, v5
	v_cndmask_b32_e32 v4, v1, v6, vcc
	v_lshlrev_b32_e32 v4, 2, v4
	ds_bpermute_b32 v6, v4, v5
	v_cmp_lt_i32_e32 vcc, v7, v9
	s_waitcnt lgkmcnt(0)
	v_max_f32_e32 v6, v6, v6
	v_max_f32_e32 v6, v5, v6
	v_cndmask_b32_e32 v5, v1, v7, vcc
	v_lshlrev_b32_e32 v5, 2, v5
	ds_bpermute_b32 v7, v5, v6
	v_cmp_lt_i32_e32 vcc, v14, v9
	s_waitcnt lgkmcnt(0)
	v_max_f32_e32 v7, v7, v7
	v_max_f32_e32 v7, v6, v7
	v_cndmask_b32_e32 v6, v1, v14, vcc
	v_lshlrev_b32_e32 v15, 2, v6
	ds_bpermute_b32 v16, v15, v7
	v_and_b32_e32 v14, 63, v0
	v_cmp_eq_u32_e32 vcc, 0, v14
	v_lshlrev_b32_e32 v6, 2, v11
	s_and_saveexec_b64 s[2:3], vcc
	s_cbranch_execz .LBB255_215
; %bb.214:
	s_waitcnt lgkmcnt(0)
	v_max_f32_e32 v16, v16, v16
	v_max_f32_e32 v7, v7, v7
	;; [unrolled: 1-line block ×3, first 2 shown]
	ds_write_b32 v6, v7 offset:128
.LBB255_215:
	s_or_b64 exec, exec, s[2:3]
	v_cmp_gt_u32_e64 s[2:3], 2, v14
	v_mov_b32_e32 v17, 0xff7fffff
	v_lshlrev_b32_e32 v7, 2, v14
	s_waitcnt lgkmcnt(0)
	s_barrier
	s_and_saveexec_b64 s[4:5], s[2:3]
; %bb.216:
	ds_read_b32 v17, v7 offset:128
; %bb.217:
	s_or_b64 exec, exec, s[4:5]
	v_xor_b32_e32 v16, 1, v1
	v_cmp_lt_i32_e64 s[4:5], v16, v9
	v_cndmask_b32_e64 v9, v1, v16, s[4:5]
	v_lshlrev_b32_e32 v16, 2, v9
	s_waitcnt lgkmcnt(0)
	ds_bpermute_b32 v9, v16, v17
	v_max_f32_e32 v17, v17, v17
	v_lshlrev_b32_e32 v8, 2, v8
	s_lshl_b32 s4, s47, 5
	s_min_i32 s37, s4, s33
	s_waitcnt lgkmcnt(0)
	v_max_f32_e32 v9, v9, v9
	v_max_f32_e32 v9, v17, v9
	ds_bpermute_b32 v9, v8, v9
	v_cmp_gt_i32_e64 s[4:5], s37, v0
	v_mov_b32_e32 v8, 0
	s_and_saveexec_b64 s[12:13], s[4:5]
	s_cbranch_execz .LBB255_221
; %bb.218:
	v_mov_b32_e32 v8, 0x90
	v_lshl_add_u32 v17, v0, 2, v8
	v_mov_b32_e32 v8, 0
	s_mov_b64 s[18:19], 0
	v_mov_b32_e32 v18, v0
.LBB255_219:                            ; =>This Inner Loop Header: Depth=1
	ds_read_b32 v19, v17
	v_add_u32_e32 v18, 0x80, v18
	v_cmp_le_i32_e64 s[6:7], s37, v18
	s_or_b64 s[18:19], s[6:7], s[18:19]
	s_waitcnt lgkmcnt(0)
	v_sub_f32_e32 v19, v19, v9
	v_mul_f32_e32 v19, 0x3fb8aa3b, v19
	v_exp_f32_e32 v19, v19
	ds_write_b32 v17, v19
	v_add_f32_e32 v8, v8, v19
	v_add_u32_e32 v17, 0x200, v17
	s_andn2_b64 exec, exec, s[18:19]
	s_cbranch_execnz .LBB255_219
; %bb.220:
	s_or_b64 exec, exec, s[18:19]
.LBB255_221:
	s_or_b64 exec, exec, s[12:13]
	ds_bpermute_b32 v2, v2, v8
	s_waitcnt lgkmcnt(0)
	v_add_f32_e32 v2, v8, v2
	ds_bpermute_b32 v3, v3, v2
	s_waitcnt lgkmcnt(0)
	v_add_f32_e32 v2, v2, v3
	ds_bpermute_b32 v3, v4, v2
	s_waitcnt lgkmcnt(0)
	v_add_f32_e32 v2, v2, v3
	ds_bpermute_b32 v3, v5, v2
	s_waitcnt lgkmcnt(0)
	v_add_f32_e32 v2, v2, v3
	ds_bpermute_b32 v3, v15, v2
	s_waitcnt lgkmcnt(0)
	v_add_f32_e32 v2, v2, v3
	ds_bpermute_b32 v3, v16, v2
	s_waitcnt lgkmcnt(0)
	v_add_f32_e32 v2, v2, v3
	s_and_saveexec_b64 s[6:7], vcc
; %bb.222:
	ds_write_b32 v6, v2 offset:136
; %bb.223:
	s_or_b64 exec, exec, s[6:7]
	s_waitcnt lgkmcnt(0)
	s_barrier
	s_and_saveexec_b64 s[6:7], s[2:3]
; %bb.224:
	ds_read_b32 v2, v7 offset:136
; %bb.225:
	s_or_b64 exec, exec, s[6:7]
	s_waitcnt lgkmcnt(0)
	ds_bpermute_b32 v3, v16, v2
	v_lshlrev_b32_e32 v1, 2, v1
	v_and_b32_e32 v1, 0x100, v1
	s_waitcnt lgkmcnt(0)
	v_add_f32_e32 v2, v2, v3
	ds_bpermute_b32 v1, v1, v2
	s_and_saveexec_b64 s[2:3], s[4:5]
	s_cbranch_execz .LBB255_228
; %bb.226:
	s_waitcnt lgkmcnt(0)
	v_add_f32_e32 v2, 0x358637bd, v1
	v_div_scale_f32 v1, s[4:5], v2, v2, 1.0
	v_div_scale_f32 v3, vcc, 1.0, v2, 1.0
	s_mov_b64 s[4:5], 0
	v_rcp_f32_e32 v4, v1
	v_fma_f32 v5, -v1, v4, 1.0
	v_fmac_f32_e32 v4, v5, v4
	v_mul_f32_e32 v5, v3, v4
	v_fma_f32 v6, -v1, v5, v3
	v_fmac_f32_e32 v5, v6, v4
	v_fma_f32 v1, -v1, v5, v3
	v_div_fmas_f32 v3, v1, v4, v5
	v_mov_b32_e32 v1, 0x90
	v_lshl_add_u32 v1, v0, 2, v1
	v_div_fixup_f32 v2, v3, v2, 1.0
	v_mov_b32_e32 v3, v0
.LBB255_227:                            ; =>This Inner Loop Header: Depth=1
	ds_read_b32 v4, v1
	v_add_u32_e32 v3, 0x80, v3
	v_cmp_le_i32_e32 vcc, s37, v3
	s_or_b64 s[4:5], vcc, s[4:5]
	s_waitcnt lgkmcnt(0)
	v_mul_f32_e32 v4, v2, v4
	ds_write_b32 v1, v4
	v_add_u32_e32 v1, 0x200, v1
	s_andn2_b64 exec, exec, s[4:5]
	s_cbranch_execnz .LBB255_227
.LBB255_228:
	s_or_b64 exec, exec, s[2:3]
	v_mov_b32_e32 v21, 0
	v_and_b32_e32 v17, 3, v0
	v_mov_b32_e32 v22, 0
	v_mov_b32_e32 v20, 0
	;; [unrolled: 1-line block ×3, first 2 shown]
	s_waitcnt lgkmcnt(0)
	s_barrier
	s_and_saveexec_b64 s[2:3], s[0:1]
	s_cbranch_execz .LBB255_434
; %bb.229:
	s_sub_i32 s37, s16, s21
	s_ashr_i32 s0, s20, 31
	s_add_u32 s1, s34, s20
	s_addc_u32 s0, s35, s0
	s_abs_i32 s22, s22
	v_cvt_f32_u32_e32 v1, s22
	s_sub_i32 s6, 0, s22
	v_and_b32_e32 v3, 0x1f8, v10
	s_add_i32 s35, s47, -1
	v_rcp_iflag_f32_e32 v1, v1
	v_mov_b32_e32 v6, s0
	v_add_co_u32_e32 v3, vcc, s1, v3
	v_mul_f32_e32 v1, 0x4f7ffffe, v1
	v_cvt_u32_f32_e32 v1, v1
	s_lshl_b64 s[0:1], s[30:31], 2
	s_add_u32 s0, s28, s0
	v_and_b32_e32 v5, 60, v13
	v_mul_lo_u32 v4, s6, v1
	s_addc_u32 s1, s29, s1
	s_mov_b32 s4, -1
	v_and_b32_e32 v18, 24, v10
	v_mul_hi_u32 v7, v1, v4
	v_addc_co_u32_e32 v4, vcc, 0, v6, vcc
	v_add_co_u32_e32 v5, vcc, s0, v5
	v_add_u32_e32 v13, v1, v7
	v_mov_b32_e32 v1, s1
	v_addc_co_u32_e32 v6, vcc, 0, v1, vcc
	v_lshlrev_b32_e32 v1, 5, v17
	v_lshl_or_b32 v1, v11, 7, v1
	s_mov_b32 s34, s17
	s_mov_b32 s5, 0xffffff
	v_mov_b32_e32 v2, 0
	v_add_u32_e32 v23, 0x90, v1
	s_mov_b64 s[6:7], 0
	s_movk_i32 s28, 0x80
	s_movk_i32 s29, 0x7f
	s_mov_b32 s30, 0x8000
	v_mov_b32_e32 v24, 0x2000
	v_mov_b32_e32 v19, 0
	;; [unrolled: 1-line block ×5, first 2 shown]
	s_branch .LBB255_232
.LBB255_230:                            ;   in Loop: Header=BB255_232 Depth=1
	s_or_b64 exec, exec, s[0:1]
	v_add_f32_e32 v9, v9, v10
	v_add_f32_e32 v20, v20, v9
	;; [unrolled: 1-line block ×5, first 2 shown]
	;;#ASMSTART
	v_pk_mul_f16 v7, v36, v7;

	;;#ASMEND
	;;#ASMSTART
	v_pk_mul_f16 v1, v35, v1;

	;;#ASMEND
	v_add_f32_e32 v21, v21, v9
	;;#ASMSTART
	v_pk_mul_f16 v8, v34, v8;

	;;#ASMEND
	;;#ASMSTART
	v_pk_mul_f16 v9, v33, v41;

	;;#ASMEND
	;;#ASMSTART
	v_pk_add_f16 v1, v7, v1;

	;;#ASMEND
	;;#ASMSTART
	v_pk_add_f16 v1, v1, v8;
	;; [unrolled: 4-line block ×3, first 2 shown]

	;;#ASMEND
	v_lshrrev_b32_e32 v7, 16, v1
	v_and_b32_e32 v1, 0xffff, v1
	;;#ASMSTART
	v_cvt_f32_f16 v1, v1;
	;;#ASMEND
	;;#ASMSTART
	v_cvt_f32_f16 v7, v7;
	;;#ASMEND
	v_add_f32_e32 v1, v1, v7
	v_add_f32_e32 v19, v19, v1
.LBB255_231:                            ;   in Loop: Header=BB255_232 Depth=1
	s_or_b64 exec, exec, s[12:13]
	v_add_co_u32_e32 v5, vcc, 8, v5
	v_add_u32_e32 v11, 2, v11
	v_addc_co_u32_e32 v6, vcc, 0, v6, vcc
	v_cmp_le_i32_e32 vcc, s47, v11
	v_add_u32_e32 v12, 64, v12
	s_or_b64 s[6:7], vcc, s[6:7]
	v_add_u32_e32 v23, 0x100, v23
	s_andn2_b64 exec, exec, s[6:7]
	s_cbranch_execz .LBB255_433
.LBB255_232:                            ; =>This Inner Loop Header: Depth=1
	v_mul_hi_u32 v1, v12, s46
	v_mul_lo_u32 v7, v1, s25
	v_add_u32_e32 v8, 1, v1
	v_sub_u32_e32 v7, v12, v7
	v_cmp_le_u32_e32 vcc, s25, v7
	v_cndmask_b32_e32 v1, v1, v8, vcc
	v_subrev_u32_e32 v8, s25, v7
	v_cndmask_b32_e32 v7, v7, v8, vcc
	v_add_u32_e32 v8, 1, v1
	v_cmp_le_u32_e32 vcc, s25, v7
	v_cndmask_b32_e32 v1, v1, v8, vcc
	v_xor_b32_e32 v1, s23, v1
	v_subrev_u32_e32 v1, s23, v1
	v_add_u32_e32 v7, s36, v1
	v_sub_u32_e32 v8, 0, v7
	v_max_i32_e32 v8, v7, v8
	v_mul_hi_u32 v9, v8, v13
	v_ashrrev_i32_e32 v7, 31, v7
	v_cmp_lt_i32_e64 s[0:1], s37, v1
	v_mul_lo_u32 v9, v9, s22
	v_sub_u32_e32 v8, v8, v9
	v_subrev_u32_e32 v9, s22, v8
	v_cmp_le_u32_e32 vcc, s22, v8
	v_cndmask_b32_e32 v8, v8, v9, vcc
	v_subrev_u32_e32 v9, s22, v8
	v_cmp_le_u32_e32 vcc, s22, v8
	v_cndmask_b32_e32 v8, v8, v9, vcc
	v_xor_b32_e32 v8, v8, v7
	v_sub_u32_e32 v7, v8, v7
	v_cmp_eq_u32_e32 vcc, 0, v7
	s_or_b64 s[0:1], vcc, s[0:1]
	s_and_saveexec_b64 s[12:13], s[0:1]
	s_cbranch_execz .LBB255_231
; %bb.233:                              ;   in Loop: Header=BB255_232 Depth=1
	global_load_dword v1, v[5:6], off
	ds_read2_b64 v[7:10], v23 offset1:1
	ds_read2_b64 v[25:28], v23 offset0:2 offset1:3
	s_waitcnt lgkmcnt(1)
	;;#ASMSTART
	v_cvt_f16_f32 v33, v7;

	;;#ASMEND
	;;#ASMSTART
	v_cvt_f16_f32 v34, v8;

	;;#ASMEND
	;; [unrolled: 4-line block ×4, first 2 shown]
	s_waitcnt lgkmcnt(0)
	;;#ASMSTART
	v_cvt_f16_f32 v38, v25;

	;;#ASMEND
	;;#ASMSTART
	v_cvt_f16_f32 v39, v26;

	;;#ASMEND
	;; [unrolled: 4-line block ×4, first 2 shown]
	v_mov_b32_e32 v27, 0
	global_load_dword v26, v27, s[14:15]
	v_mov_b32_e32 v28, 0
	s_waitcnt vmcnt(1)
	v_mad_i64_i32 v[7:8], s[0:1], v1, s34, v[3:4]
	global_load_dwordx2 v[9:10], v[7:8], off
	s_waitcnt vmcnt(0)
	v_cmp_ne_u16_sdwa s[16:17], v9, v2 src0_sel:BYTE_0 src1_sel:DWORD
	s_and_saveexec_b64 s[0:1], s[16:17]
	s_cbranch_execz .LBB255_239
; %bb.234:                              ;   in Loop: Header=BB255_232 Depth=1
	v_cmp_ne_u16_sdwa s[18:19], v9, s28 src0_sel:BYTE_0 src1_sel:DWORD
	v_mov_b32_e32 v28, 0x8000
	s_and_saveexec_b64 s[16:17], s[18:19]
	s_cbranch_execz .LBB255_238
; %bb.235:                              ;   in Loop: Header=BB255_232 Depth=1
	v_and_b32_e32 v1, 0x7f, v9
	v_cmp_ne_u32_e32 vcc, s29, v1
	v_mov_b32_e32 v28, 0x7c01
	s_and_saveexec_b64 s[18:19], vcc
	s_cbranch_execz .LBB255_237
; %bb.236:                              ;   in Loop: Header=BB255_232 Depth=1
	v_and_b32_e32 v25, 7, v9
	v_ffbh_u32_e32 v28, v25
	v_min_u32_e32 v31, 32, v28
	v_subrev_u32_e32 v28, 28, v31
	v_lshlrev_b64 v[28:29], v28, v[9:10]
	v_lshrrev_b32_e32 v30, 3, v1
	v_sub_u32_e32 v29, 29, v31
	v_cmp_gt_u32_e32 vcc, 8, v1
	v_cndmask_b32_e32 v1, v30, v29, vcc
	v_lshl_add_u32 v1, v1, 10, v24
	v_lshlrev_b32_e32 v29, 8, v9
	v_and_b32_e32 v28, 7, v28
	v_and_b32_e32 v1, 0xfc00, v1
	v_cndmask_b32_e32 v25, v25, v28, vcc
	v_and_or_b32 v1, v29, s30, v1
	v_lshl_or_b32 v28, v25, 7, v1
.LBB255_237:                            ;   in Loop: Header=BB255_232 Depth=1
	s_or_b64 exec, exec, s[18:19]
.LBB255_238:                            ;   in Loop: Header=BB255_232 Depth=1
	s_or_b64 exec, exec, s[16:17]
.LBB255_239:                            ;   in Loop: Header=BB255_232 Depth=1
	s_or_b64 exec, exec, s[0:1]
	v_lshrrev_b16_e32 v1, 8, v9
	v_cmp_ne_u16_e32 vcc, 0, v1
	s_and_saveexec_b64 s[0:1], vcc
	s_cbranch_execz .LBB255_245
; %bb.240:                              ;   in Loop: Header=BB255_232 Depth=1
	v_cmp_ne_u16_e32 vcc, s28, v1
	v_bfrev_b32_e32 v27, 1
	s_and_saveexec_b64 s[16:17], vcc
	s_cbranch_execz .LBB255_244
; %bb.241:                              ;   in Loop: Header=BB255_232 Depth=1
	v_and_b32_e32 v25, 0x7f, v1
	v_cmp_ne_u32_e32 vcc, s29, v25
	v_mov_b32_e32 v27, 0x7c010000
	s_and_saveexec_b64 s[18:19], vcc
	s_cbranch_execz .LBB255_243
; %bb.242:                              ;   in Loop: Header=BB255_232 Depth=1
	v_and_b32_e32 v27, 7, v1
	v_ffbh_u32_e32 v29, v27
	v_min_u32_e32 v32, 32, v29
	v_subrev_u32_e32 v29, 28, v32
	v_lshlrev_b64 v[29:30], v29, v[1:2]
	v_lshrrev_b32_e32 v31, 3, v25
	v_sub_u32_e32 v30, 29, v32
	v_cmp_gt_u32_e32 vcc, 8, v25
	v_cndmask_b32_e32 v25, v31, v30, vcc
	v_lshlrev_b32_e32 v1, 8, v1
	v_lshl_add_u32 v25, v25, 10, v24
	v_and_b32_e32 v29, 7, v29
	v_and_or_b32 v1, v1, s30, v25
	v_cndmask_b32_e32 v27, v27, v29, vcc
	v_lshlrev_b32_e32 v1, 16, v1
	v_lshl_or_b32 v27, v27, 23, v1
.LBB255_243:                            ;   in Loop: Header=BB255_232 Depth=1
	s_or_b64 exec, exec, s[18:19]
.LBB255_244:                            ;   in Loop: Header=BB255_232 Depth=1
	s_or_b64 exec, exec, s[16:17]
.LBB255_245:                            ;   in Loop: Header=BB255_232 Depth=1
	s_or_b64 exec, exec, s[0:1]
	v_lshrrev_b32_e32 v1, 16, v9
	v_cmp_ne_u16_sdwa s[16:17], v1, v2 src0_sel:BYTE_0 src1_sel:DWORD
	v_mov_b32_e32 v29, 0
	v_mov_b32_e32 v30, 0
	s_and_saveexec_b64 s[0:1], s[16:17]
	s_cbranch_execz .LBB255_251
; %bb.246:                              ;   in Loop: Header=BB255_232 Depth=1
	v_cmp_ne_u16_sdwa s[18:19], v1, s28 src0_sel:BYTE_0 src1_sel:DWORD
	v_mov_b32_e32 v30, 0x8000
	s_and_saveexec_b64 s[16:17], s[18:19]
	s_cbranch_execz .LBB255_250
; %bb.247:                              ;   in Loop: Header=BB255_232 Depth=1
	v_bfe_u32 v25, v9, 16, 7
	v_cmp_ne_u32_e32 vcc, s29, v25
	v_mov_b32_e32 v30, 0x7c01
	s_and_saveexec_b64 s[18:19], vcc
	s_cbranch_execz .LBB255_249
; %bb.248:                              ;   in Loop: Header=BB255_232 Depth=1
	v_and_b32_e32 v32, 7, v1
	v_ffbh_u32_e32 v30, v32
	v_min_u32_e32 v42, 32, v30
	v_subrev_u32_e32 v30, 28, v42
	v_lshlrev_b64 v[30:31], v30, v[1:2]
	v_lshrrev_b32_e32 v36, 3, v25
	v_sub_u32_e32 v31, 29, v42
	v_cmp_gt_u32_e32 vcc, 8, v25
	v_cndmask_b32_e32 v25, v36, v31, vcc
	v_lshl_add_u32 v25, v25, 10, v24
	v_lshlrev_b32_e32 v1, 8, v1
	v_and_b32_e32 v30, 7, v30
	v_and_b32_e32 v25, 0xfc00, v25
	v_cndmask_b32_e32 v30, v32, v30, vcc
	v_and_or_b32 v1, v1, s30, v25
	v_lshl_or_b32 v30, v30, 7, v1
.LBB255_249:                            ;   in Loop: Header=BB255_232 Depth=1
	s_or_b64 exec, exec, s[18:19]
.LBB255_250:                            ;   in Loop: Header=BB255_232 Depth=1
	s_or_b64 exec, exec, s[16:17]
.LBB255_251:                            ;   in Loop: Header=BB255_232 Depth=1
	s_or_b64 exec, exec, s[0:1]
	v_cmp_lt_u32_e32 vcc, s5, v9
	s_and_saveexec_b64 s[0:1], vcc
	s_cbranch_execz .LBB255_257
; %bb.252:                              ;   in Loop: Header=BB255_232 Depth=1
	v_lshrrev_b32_e32 v1, 24, v9
	v_cmp_ne_u32_e32 vcc, s28, v1
	v_bfrev_b32_e32 v29, 1
	s_and_saveexec_b64 s[16:17], vcc
	s_cbranch_execz .LBB255_256
; %bb.253:                              ;   in Loop: Header=BB255_232 Depth=1
	v_and_b32_e32 v25, 0x7f, v1
	v_cmp_ne_u32_e32 vcc, s29, v25
	v_mov_b32_e32 v29, 0x7c010000
	s_and_saveexec_b64 s[18:19], vcc
	s_cbranch_execz .LBB255_255
; %bb.254:                              ;   in Loop: Header=BB255_232 Depth=1
	v_and_b32_e32 v29, 7, v1
	v_ffbh_u32_e32 v31, v29
	v_min_u32_e32 v42, 32, v31
	v_subrev_u32_e32 v31, 28, v42
	v_lshlrev_b64 v[31:32], v31, v[1:2]
	v_lshrrev_b32_e32 v36, 3, v25
	v_sub_u32_e32 v32, 29, v42
	v_cmp_gt_u32_e32 vcc, 8, v25
	v_cndmask_b32_e32 v25, v36, v32, vcc
	v_lshlrev_b32_e32 v1, 8, v1
	v_lshl_add_u32 v25, v25, 10, v24
	v_and_b32_e32 v31, 7, v31
	v_and_or_b32 v1, v1, s30, v25
	v_cndmask_b32_e32 v29, v29, v31, vcc
	v_lshlrev_b32_e32 v1, 16, v1
	v_lshl_or_b32 v29, v29, 23, v1
.LBB255_255:                            ;   in Loop: Header=BB255_232 Depth=1
	s_or_b64 exec, exec, s[18:19]
.LBB255_256:                            ;   in Loop: Header=BB255_232 Depth=1
	s_or_b64 exec, exec, s[16:17]
.LBB255_257:                            ;   in Loop: Header=BB255_232 Depth=1
	s_or_b64 exec, exec, s[0:1]
	v_mov_b32_e32 v1, v10
	v_cmp_ne_u16_sdwa s[16:17], v10, v2 src0_sel:BYTE_0 src1_sel:DWORD
	v_mov_b32_e32 v31, 0
	v_mov_b32_e32 v32, 0
	s_and_saveexec_b64 s[0:1], s[16:17]
	s_cbranch_execz .LBB255_263
; %bb.258:                              ;   in Loop: Header=BB255_232 Depth=1
	v_cmp_ne_u16_sdwa s[18:19], v10, s28 src0_sel:BYTE_0 src1_sel:DWORD
	v_mov_b32_e32 v32, 0x8000
	s_and_saveexec_b64 s[16:17], s[18:19]
	s_cbranch_execz .LBB255_262
; %bb.259:                              ;   in Loop: Header=BB255_232 Depth=1
	v_and_b32_e32 v25, 0x7f, v10
	v_cmp_ne_u32_e32 vcc, s29, v25
	v_mov_b32_e32 v32, 0x7c01
	s_and_saveexec_b64 s[18:19], vcc
	s_cbranch_execz .LBB255_261
; %bb.260:                              ;   in Loop: Header=BB255_232 Depth=1
	v_and_b32_e32 v32, 7, v10
	v_ffbh_u32_e32 v42, v32
	v_min_u32_e32 v44, 32, v42
	v_subrev_u32_e32 v42, 28, v44
	v_lshlrev_b64 v[42:43], v42, v[1:2]
	v_lshrrev_b32_e32 v36, 3, v25
	v_sub_u32_e32 v43, 29, v44
	v_cmp_gt_u32_e32 vcc, 8, v25
	v_cndmask_b32_e32 v25, v36, v43, vcc
	v_lshl_add_u32 v25, v25, 10, v24
	v_lshlrev_b32_e32 v36, 8, v10
	v_and_b32_e32 v42, 7, v42
	v_and_b32_e32 v25, 0xfc00, v25
	v_cndmask_b32_e32 v32, v32, v42, vcc
	v_and_or_b32 v25, v36, s30, v25
	v_lshl_or_b32 v32, v32, 7, v25
.LBB255_261:                            ;   in Loop: Header=BB255_232 Depth=1
	s_or_b64 exec, exec, s[18:19]
.LBB255_262:                            ;   in Loop: Header=BB255_232 Depth=1
	s_or_b64 exec, exec, s[16:17]
.LBB255_263:                            ;   in Loop: Header=BB255_232 Depth=1
	s_or_b64 exec, exec, s[0:1]
	v_lshrrev_b16_e32 v1, 8, v1
	v_cmp_ne_u16_e32 vcc, 0, v1
	v_mov_b32_e32 v36, 0
	s_and_saveexec_b64 s[0:1], vcc
	s_cbranch_execz .LBB255_269
; %bb.264:                              ;   in Loop: Header=BB255_232 Depth=1
	v_cmp_ne_u16_e32 vcc, s28, v1
	v_bfrev_b32_e32 v36, 1
	s_and_saveexec_b64 s[16:17], vcc
	s_cbranch_execz .LBB255_268
; %bb.265:                              ;   in Loop: Header=BB255_232 Depth=1
	v_and_b32_e32 v25, 0x7f, v1
	v_cmp_ne_u32_e32 vcc, s29, v25
	v_mov_b32_e32 v36, 0x7c010000
	s_and_saveexec_b64 s[18:19], vcc
	s_cbranch_execz .LBB255_267
; %bb.266:                              ;   in Loop: Header=BB255_232 Depth=1
	v_and_b32_e32 v36, 7, v1
	v_ffbh_u32_e32 v42, v36
	v_min_u32_e32 v45, 32, v42
	v_subrev_u32_e32 v42, 28, v45
	v_lshlrev_b64 v[42:43], v42, v[1:2]
	v_lshrrev_b32_e32 v44, 3, v25
	v_sub_u32_e32 v43, 29, v45
	v_cmp_gt_u32_e32 vcc, 8, v25
	v_cndmask_b32_e32 v25, v44, v43, vcc
	v_lshlrev_b32_e32 v1, 8, v1
	v_lshl_add_u32 v25, v25, 10, v24
	v_and_b32_e32 v42, 7, v42
	v_and_or_b32 v1, v1, s30, v25
	v_cndmask_b32_e32 v36, v36, v42, vcc
	v_lshlrev_b32_e32 v1, 16, v1
	v_lshl_or_b32 v36, v36, 23, v1
.LBB255_267:                            ;   in Loop: Header=BB255_232 Depth=1
	s_or_b64 exec, exec, s[18:19]
.LBB255_268:                            ;   in Loop: Header=BB255_232 Depth=1
	s_or_b64 exec, exec, s[16:17]
.LBB255_269:                            ;   in Loop: Header=BB255_232 Depth=1
	s_or_b64 exec, exec, s[0:1]
	v_lshrrev_b32_e32 v1, 16, v10
	v_cmp_ne_u16_sdwa s[16:17], v1, v2 src0_sel:BYTE_0 src1_sel:DWORD
	s_and_saveexec_b64 s[0:1], s[16:17]
	s_cbranch_execz .LBB255_275
; %bb.270:                              ;   in Loop: Header=BB255_232 Depth=1
	v_cmp_ne_u16_sdwa s[18:19], v1, s28 src0_sel:BYTE_0 src1_sel:DWORD
	v_mov_b32_e32 v31, 0x8000
	s_and_saveexec_b64 s[16:17], s[18:19]
	s_cbranch_execz .LBB255_274
; %bb.271:                              ;   in Loop: Header=BB255_232 Depth=1
	v_bfe_u32 v25, v10, 16, 7
	v_cmp_ne_u32_e32 vcc, s29, v25
	v_mov_b32_e32 v31, 0x7c01
	s_and_saveexec_b64 s[18:19], vcc
	s_cbranch_execz .LBB255_273
; %bb.272:                              ;   in Loop: Header=BB255_232 Depth=1
	v_and_b32_e32 v31, 7, v1
	v_ffbh_u32_e32 v42, v31
	v_min_u32_e32 v45, 32, v42
	v_subrev_u32_e32 v42, 28, v45
	v_lshlrev_b64 v[42:43], v42, v[1:2]
	v_lshrrev_b32_e32 v44, 3, v25
	v_sub_u32_e32 v43, 29, v45
	v_cmp_gt_u32_e32 vcc, 8, v25
	v_cndmask_b32_e32 v25, v44, v43, vcc
	v_lshl_add_u32 v25, v25, 10, v24
	v_lshlrev_b32_e32 v1, 8, v1
	v_and_b32_e32 v42, 7, v42
	v_and_b32_e32 v25, 0xfc00, v25
	v_cndmask_b32_e32 v31, v31, v42, vcc
	v_and_or_b32 v1, v1, s30, v25
	v_lshl_or_b32 v31, v31, 7, v1
.LBB255_273:                            ;   in Loop: Header=BB255_232 Depth=1
	s_or_b64 exec, exec, s[18:19]
.LBB255_274:                            ;   in Loop: Header=BB255_232 Depth=1
	s_or_b64 exec, exec, s[16:17]
.LBB255_275:                            ;   in Loop: Header=BB255_232 Depth=1
	s_or_b64 exec, exec, s[0:1]
	v_cmp_lt_u64_e32 vcc, s[4:5], v[9:10]
	v_mov_b32_e32 v42, 0
	s_and_saveexec_b64 s[0:1], vcc
	s_cbranch_execz .LBB255_281
; %bb.276:                              ;   in Loop: Header=BB255_232 Depth=1
	v_lshrrev_b32_e32 v1, 24, v10
	v_cmp_ne_u32_e32 vcc, s28, v1
	v_bfrev_b32_e32 v42, 1
	s_and_saveexec_b64 s[16:17], vcc
	s_cbranch_execz .LBB255_280
; %bb.277:                              ;   in Loop: Header=BB255_232 Depth=1
	v_and_b32_e32 v9, 0x7f, v1
	v_cmp_ne_u32_e32 vcc, s29, v9
	v_mov_b32_e32 v42, 0x7c010000
	s_and_saveexec_b64 s[18:19], vcc
	s_cbranch_execz .LBB255_279
; %bb.278:                              ;   in Loop: Header=BB255_232 Depth=1
	v_and_b32_e32 v10, 7, v1
	v_ffbh_u32_e32 v42, v10
	v_min_u32_e32 v44, 32, v42
	v_subrev_u32_e32 v42, 28, v44
	v_lshlrev_b64 v[42:43], v42, v[1:2]
	v_lshrrev_b32_e32 v25, 3, v9
	v_sub_u32_e32 v43, 29, v44
	v_cmp_gt_u32_e32 vcc, 8, v9
	v_cndmask_b32_e32 v9, v25, v43, vcc
	v_lshlrev_b32_e32 v1, 8, v1
	v_lshl_add_u32 v9, v9, 10, v24
	v_and_b32_e32 v25, 7, v42
	v_and_or_b32 v1, v1, s30, v9
	v_cndmask_b32_e32 v10, v10, v25, vcc
	v_lshlrev_b32_e32 v1, 16, v1
	v_lshl_or_b32 v42, v10, 23, v1
.LBB255_279:                            ;   in Loop: Header=BB255_232 Depth=1
	s_or_b64 exec, exec, s[18:19]
.LBB255_280:                            ;   in Loop: Header=BB255_232 Depth=1
	s_or_b64 exec, exec, s[16:17]
.LBB255_281:                            ;   in Loop: Header=BB255_232 Depth=1
	s_or_b64 exec, exec, s[0:1]
	v_fma_mixlo_f16 v9, v26, v29, 0 op_sel:[0,1,0] op_sel_hi:[0,1,0]
	v_lshlrev_b32_e32 v43, 16, v9
	v_or_b32_e32 v9, v27, v28
	v_fma_mixlo_f16 v10, v26, v27, 0 op_sel:[0,1,0] op_sel_hi:[0,1,0]
	v_fma_mixlo_f16 v27, v26, v36, 0 op_sel:[0,1,0] op_sel_hi:[0,1,0]
	v_or_b32_e32 v1, v29, v30
	v_lshlrev_b32_e32 v46, 16, v10
	v_or_b32_e32 v10, v36, v32
	v_lshlrev_b32_e32 v36, 16, v27
	v_or_b32_e32 v27, v42, v31
	v_fma_mixlo_f16 v1, v26, v1, 0 op_sel_hi:[0,1,0]
	v_fma_mixlo_f16 v9, v26, v9, 0 op_sel_hi:[0,1,0]
	;; [unrolled: 1-line block ×4, first 2 shown]
	v_fma_mixlo_f16 v26, v26, v42, 0 op_sel:[0,1,0] op_sel_hi:[0,1,0]
	v_add_u32_e32 v25, v18, v12
	v_and_b32_e32 v44, 0xffff, v1
	v_and_b32_e32 v49, 0xffff, v9
	;; [unrolled: 1-line block ×3, first 2 shown]
	v_lshlrev_b32_e32 v45, 16, v26
	v_and_b32_e32 v48, 0xffff, v27
	v_cmp_eq_u32_e32 vcc, s35, v11
	v_or_b32_e32 v1, v43, v44
	v_or_b32_e32 v9, v46, v49
	;; [unrolled: 1-line block ×4, first 2 shown]
	v_add_u32_e32 v32, 1, v25
	v_add_u32_e32 v31, 2, v25
	;; [unrolled: 1-line block ×7, first 2 shown]
	s_and_saveexec_b64 s[16:17], vcc
	s_cbranch_execz .LBB255_283
; %bb.282:                              ;   in Loop: Header=BB255_232 Depth=1
	v_cmp_gt_i32_e64 s[0:1], s33, v25
	v_cndmask_b32_e64 v1, 0, v49, s[0:1]
	v_cmp_gt_i32_e64 s[0:1], s33, v32
	v_cndmask_b32_e64 v9, 0, v46, s[0:1]
	v_cmp_gt_i32_e64 s[0:1], s33, v31
	v_or_b32_e32 v9, v9, v1
	v_cndmask_b32_e64 v1, 0, v44, s[0:1]
	v_cmp_gt_i32_e64 s[0:1], s33, v30
	v_cndmask_b32_e64 v10, 0, v43, s[0:1]
	v_cmp_gt_i32_e64 s[0:1], s33, v29
	v_or_b32_e32 v1, v10, v1
	;; [unrolled: 5-line block ×3, first 2 shown]
	v_cndmask_b32_e64 v36, 0, v48, s[0:1]
	v_cmp_gt_i32_e64 s[0:1], s33, v26
	v_cndmask_b32_e64 v42, 0, v45, s[0:1]
	v_or_b32_e32 v42, v42, v36
.LBB255_283:                            ;   in Loop: Header=BB255_232 Depth=1
	s_or_b64 exec, exec, s[16:17]
	v_and_b32_e32 v33, 0xffff, v33
	v_lshl_or_b32 v36, v34, 16, v33
	v_and_b32_e32 v33, 0xffff, v35
	v_lshl_or_b32 v35, v37, 16, v33
	;; [unrolled: 2-line block ×3, first 2 shown]
	v_and_b32_e32 v33, 0xffff, v40
	;;#ASMSTART
	v_pk_mul_f16 v9, v36, v9;

	;;#ASMEND
	;;#ASMSTART
	v_pk_mul_f16 v1, v35, v1;

	;;#ASMEND
	v_lshl_or_b32 v33, v41, 16, v33
	;;#ASMSTART
	v_pk_mul_f16 v10, v34, v10;

	;;#ASMEND
	;;#ASMSTART
	v_pk_mul_f16 v37, v33, v42;

	;;#ASMEND
	;;#ASMSTART
	v_pk_add_f16 v1, v9, v1;

	;;#ASMEND
	;;#ASMSTART
	v_pk_add_f16 v1, v1, v10;
	;; [unrolled: 4-line block ×3, first 2 shown]

	;;#ASMEND
	v_lshrrev_b32_e32 v9, 16, v1
	v_and_b32_e32 v1, 0xffff, v1
	;;#ASMSTART
	v_cvt_f32_f16 v37, v1;
	;;#ASMEND
	;;#ASMSTART
	v_cvt_f32_f16 v38, v9;
	;;#ASMEND
	global_load_dwordx2 v[9:10], v[7:8], off offset:512
	v_mov_b32_e32 v40, 0
	global_load_dword v39, v40, s[14:15]
	v_mov_b32_e32 v41, 0
	s_waitcnt vmcnt(1)
	v_cmp_ne_u16_sdwa s[0:1], v9, v2 src0_sel:BYTE_0 src1_sel:DWORD
	s_and_saveexec_b64 s[16:17], s[0:1]
	s_cbranch_execz .LBB255_289
; %bb.284:                              ;   in Loop: Header=BB255_232 Depth=1
	v_cmp_ne_u16_sdwa s[0:1], v9, s28 src0_sel:BYTE_0 src1_sel:DWORD
	v_mov_b32_e32 v41, 0x8000
	s_and_saveexec_b64 s[18:19], s[0:1]
	s_cbranch_execz .LBB255_288
; %bb.285:                              ;   in Loop: Header=BB255_232 Depth=1
	v_and_b32_e32 v1, 0x7f, v9
	v_cmp_ne_u32_e64 s[0:1], s29, v1
	v_mov_b32_e32 v41, 0x7c01
	s_and_saveexec_b64 s[20:21], s[0:1]
	s_cbranch_execz .LBB255_287
; %bb.286:                              ;   in Loop: Header=BB255_232 Depth=1
	v_and_b32_e32 v43, 7, v9
	v_ffbh_u32_e32 v41, v43
	v_min_u32_e32 v45, 32, v41
	v_subrev_u32_e32 v41, 28, v45
	v_lshlrev_b64 v[41:42], v41, v[9:10]
	v_lshrrev_b32_e32 v44, 3, v1
	v_sub_u32_e32 v42, 29, v45
	v_cmp_gt_u32_e64 s[0:1], 8, v1
	v_cndmask_b32_e64 v1, v44, v42, s[0:1]
	v_lshl_add_u32 v1, v1, 10, v24
	v_lshlrev_b32_e32 v42, 8, v9
	v_and_b32_e32 v41, 7, v41
	v_and_b32_e32 v1, 0xfc00, v1
	v_cndmask_b32_e64 v41, v43, v41, s[0:1]
	v_and_or_b32 v1, v42, s30, v1
	v_lshl_or_b32 v41, v41, 7, v1
.LBB255_287:                            ;   in Loop: Header=BB255_232 Depth=1
	s_or_b64 exec, exec, s[20:21]
.LBB255_288:                            ;   in Loop: Header=BB255_232 Depth=1
	s_or_b64 exec, exec, s[18:19]
.LBB255_289:                            ;   in Loop: Header=BB255_232 Depth=1
	s_or_b64 exec, exec, s[16:17]
	v_lshrrev_b16_e32 v1, 8, v9
	v_cmp_ne_u16_e64 s[0:1], 0, v1
	s_and_saveexec_b64 s[16:17], s[0:1]
	s_cbranch_execz .LBB255_295
; %bb.290:                              ;   in Loop: Header=BB255_232 Depth=1
	v_cmp_ne_u16_e64 s[0:1], s28, v1
	v_bfrev_b32_e32 v40, 1
	s_and_saveexec_b64 s[18:19], s[0:1]
	s_cbranch_execz .LBB255_294
; %bb.291:                              ;   in Loop: Header=BB255_232 Depth=1
	v_and_b32_e32 v42, 0x7f, v1
	v_cmp_ne_u32_e64 s[0:1], s29, v42
	v_mov_b32_e32 v40, 0x7c010000
	s_and_saveexec_b64 s[20:21], s[0:1]
	s_cbranch_execz .LBB255_293
; %bb.292:                              ;   in Loop: Header=BB255_232 Depth=1
	v_and_b32_e32 v40, 7, v1
	v_ffbh_u32_e32 v43, v40
	v_min_u32_e32 v46, 32, v43
	v_subrev_u32_e32 v43, 28, v46
	v_lshlrev_b64 v[43:44], v43, v[1:2]
	v_lshrrev_b32_e32 v45, 3, v42
	v_sub_u32_e32 v44, 29, v46
	v_cmp_gt_u32_e64 s[0:1], 8, v42
	v_cndmask_b32_e64 v42, v45, v44, s[0:1]
	v_lshlrev_b32_e32 v1, 8, v1
	v_lshl_add_u32 v42, v42, 10, v24
	v_and_b32_e32 v43, 7, v43
	v_and_or_b32 v1, v1, s30, v42
	v_cndmask_b32_e64 v40, v40, v43, s[0:1]
	v_lshlrev_b32_e32 v1, 16, v1
	v_lshl_or_b32 v40, v40, 23, v1
.LBB255_293:                            ;   in Loop: Header=BB255_232 Depth=1
	s_or_b64 exec, exec, s[20:21]
.LBB255_294:                            ;   in Loop: Header=BB255_232 Depth=1
	s_or_b64 exec, exec, s[18:19]
.LBB255_295:                            ;   in Loop: Header=BB255_232 Depth=1
	s_or_b64 exec, exec, s[16:17]
	v_lshrrev_b32_e32 v1, 16, v9
	v_cmp_ne_u16_sdwa s[0:1], v1, v2 src0_sel:BYTE_0 src1_sel:DWORD
	v_mov_b32_e32 v42, 0
	v_mov_b32_e32 v43, 0
	s_and_saveexec_b64 s[16:17], s[0:1]
	s_cbranch_execz .LBB255_301
; %bb.296:                              ;   in Loop: Header=BB255_232 Depth=1
	v_cmp_ne_u16_sdwa s[0:1], v1, s28 src0_sel:BYTE_0 src1_sel:DWORD
	v_mov_b32_e32 v43, 0x8000
	s_and_saveexec_b64 s[18:19], s[0:1]
	s_cbranch_execz .LBB255_300
; %bb.297:                              ;   in Loop: Header=BB255_232 Depth=1
	v_bfe_u32 v44, v9, 16, 7
	v_cmp_ne_u32_e64 s[0:1], s29, v44
	v_mov_b32_e32 v43, 0x7c01
	s_and_saveexec_b64 s[20:21], s[0:1]
	s_cbranch_execz .LBB255_299
; %bb.298:                              ;   in Loop: Header=BB255_232 Depth=1
	v_and_b32_e32 v43, 7, v1
	v_ffbh_u32_e32 v45, v43
	v_min_u32_e32 v48, 32, v45
	v_subrev_u32_e32 v45, 28, v48
	v_lshlrev_b64 v[45:46], v45, v[1:2]
	v_lshrrev_b32_e32 v47, 3, v44
	v_sub_u32_e32 v46, 29, v48
	v_cmp_gt_u32_e64 s[0:1], 8, v44
	v_cndmask_b32_e64 v44, v47, v46, s[0:1]
	v_lshl_add_u32 v44, v44, 10, v24
	v_lshlrev_b32_e32 v1, 8, v1
	v_and_b32_e32 v45, 7, v45
	v_and_b32_e32 v44, 0xfc00, v44
	v_cndmask_b32_e64 v43, v43, v45, s[0:1]
	v_and_or_b32 v1, v1, s30, v44
	v_lshl_or_b32 v43, v43, 7, v1
.LBB255_299:                            ;   in Loop: Header=BB255_232 Depth=1
	s_or_b64 exec, exec, s[20:21]
.LBB255_300:                            ;   in Loop: Header=BB255_232 Depth=1
	s_or_b64 exec, exec, s[18:19]
.LBB255_301:                            ;   in Loop: Header=BB255_232 Depth=1
	s_or_b64 exec, exec, s[16:17]
	v_cmp_lt_u32_e64 s[0:1], s5, v9
	s_and_saveexec_b64 s[16:17], s[0:1]
	s_cbranch_execz .LBB255_307
; %bb.302:                              ;   in Loop: Header=BB255_232 Depth=1
	v_lshrrev_b32_e32 v1, 24, v9
	v_cmp_ne_u32_e64 s[0:1], s28, v1
	v_bfrev_b32_e32 v42, 1
	s_and_saveexec_b64 s[18:19], s[0:1]
	s_cbranch_execz .LBB255_306
; %bb.303:                              ;   in Loop: Header=BB255_232 Depth=1
	v_and_b32_e32 v44, 0x7f, v1
	v_cmp_ne_u32_e64 s[0:1], s29, v44
	v_mov_b32_e32 v42, 0x7c010000
	s_and_saveexec_b64 s[20:21], s[0:1]
	s_cbranch_execz .LBB255_305
; %bb.304:                              ;   in Loop: Header=BB255_232 Depth=1
	v_and_b32_e32 v42, 7, v1
	v_ffbh_u32_e32 v45, v42
	v_min_u32_e32 v48, 32, v45
	v_subrev_u32_e32 v45, 28, v48
	v_lshlrev_b64 v[45:46], v45, v[1:2]
	v_lshrrev_b32_e32 v47, 3, v44
	v_sub_u32_e32 v46, 29, v48
	v_cmp_gt_u32_e64 s[0:1], 8, v44
	v_cndmask_b32_e64 v44, v47, v46, s[0:1]
	v_lshlrev_b32_e32 v1, 8, v1
	v_lshl_add_u32 v44, v44, 10, v24
	v_and_b32_e32 v45, 7, v45
	v_and_or_b32 v1, v1, s30, v44
	v_cndmask_b32_e64 v42, v42, v45, s[0:1]
	v_lshlrev_b32_e32 v1, 16, v1
	v_lshl_or_b32 v42, v42, 23, v1
.LBB255_305:                            ;   in Loop: Header=BB255_232 Depth=1
	s_or_b64 exec, exec, s[20:21]
.LBB255_306:                            ;   in Loop: Header=BB255_232 Depth=1
	s_or_b64 exec, exec, s[18:19]
.LBB255_307:                            ;   in Loop: Header=BB255_232 Depth=1
	s_or_b64 exec, exec, s[16:17]
	v_mov_b32_e32 v1, v10
	v_cmp_ne_u16_sdwa s[0:1], v10, v2 src0_sel:BYTE_0 src1_sel:DWORD
	v_mov_b32_e32 v44, 0
	v_mov_b32_e32 v45, 0
	s_and_saveexec_b64 s[16:17], s[0:1]
	s_cbranch_execz .LBB255_313
; %bb.308:                              ;   in Loop: Header=BB255_232 Depth=1
	v_cmp_ne_u16_sdwa s[0:1], v10, s28 src0_sel:BYTE_0 src1_sel:DWORD
	v_mov_b32_e32 v45, 0x8000
	s_and_saveexec_b64 s[18:19], s[0:1]
	s_cbranch_execz .LBB255_312
; %bb.309:                              ;   in Loop: Header=BB255_232 Depth=1
	v_and_b32_e32 v46, 0x7f, v10
	v_cmp_ne_u32_e64 s[0:1], s29, v46
	v_mov_b32_e32 v45, 0x7c01
	s_and_saveexec_b64 s[20:21], s[0:1]
	s_cbranch_execz .LBB255_311
; %bb.310:                              ;   in Loop: Header=BB255_232 Depth=1
	v_and_b32_e32 v45, 7, v10
	v_ffbh_u32_e32 v47, v45
	v_min_u32_e32 v50, 32, v47
	v_subrev_u32_e32 v47, 28, v50
	v_lshlrev_b64 v[47:48], v47, v[1:2]
	v_lshrrev_b32_e32 v49, 3, v46
	v_sub_u32_e32 v48, 29, v50
	v_cmp_gt_u32_e64 s[0:1], 8, v46
	v_cndmask_b32_e64 v46, v49, v48, s[0:1]
	v_lshl_add_u32 v46, v46, 10, v24
	v_lshlrev_b32_e32 v48, 8, v10
	v_and_b32_e32 v47, 7, v47
	v_and_b32_e32 v46, 0xfc00, v46
	v_cndmask_b32_e64 v45, v45, v47, s[0:1]
	v_and_or_b32 v46, v48, s30, v46
	v_lshl_or_b32 v45, v45, 7, v46
.LBB255_311:                            ;   in Loop: Header=BB255_232 Depth=1
	s_or_b64 exec, exec, s[20:21]
.LBB255_312:                            ;   in Loop: Header=BB255_232 Depth=1
	s_or_b64 exec, exec, s[18:19]
.LBB255_313:                            ;   in Loop: Header=BB255_232 Depth=1
	s_or_b64 exec, exec, s[16:17]
	v_lshrrev_b16_e32 v1, 8, v1
	v_cmp_ne_u16_e64 s[0:1], 0, v1
	v_mov_b32_e32 v46, 0
	s_and_saveexec_b64 s[16:17], s[0:1]
	s_cbranch_execz .LBB255_319
; %bb.314:                              ;   in Loop: Header=BB255_232 Depth=1
	v_cmp_ne_u16_e64 s[0:1], s28, v1
	v_bfrev_b32_e32 v46, 1
	s_and_saveexec_b64 s[18:19], s[0:1]
	s_cbranch_execz .LBB255_318
; %bb.315:                              ;   in Loop: Header=BB255_232 Depth=1
	v_and_b32_e32 v47, 0x7f, v1
	v_cmp_ne_u32_e64 s[0:1], s29, v47
	v_mov_b32_e32 v46, 0x7c010000
	s_and_saveexec_b64 s[20:21], s[0:1]
	s_cbranch_execz .LBB255_317
; %bb.316:                              ;   in Loop: Header=BB255_232 Depth=1
	v_and_b32_e32 v46, 7, v1
	v_ffbh_u32_e32 v48, v46
	v_min_u32_e32 v51, 32, v48
	v_subrev_u32_e32 v48, 28, v51
	v_lshlrev_b64 v[48:49], v48, v[1:2]
	v_lshrrev_b32_e32 v50, 3, v47
	v_sub_u32_e32 v49, 29, v51
	v_cmp_gt_u32_e64 s[0:1], 8, v47
	v_cndmask_b32_e64 v47, v50, v49, s[0:1]
	v_lshlrev_b32_e32 v1, 8, v1
	v_lshl_add_u32 v47, v47, 10, v24
	v_and_b32_e32 v48, 7, v48
	v_and_or_b32 v1, v1, s30, v47
	v_cndmask_b32_e64 v46, v46, v48, s[0:1]
	v_lshlrev_b32_e32 v1, 16, v1
	v_lshl_or_b32 v46, v46, 23, v1
.LBB255_317:                            ;   in Loop: Header=BB255_232 Depth=1
	s_or_b64 exec, exec, s[20:21]
.LBB255_318:                            ;   in Loop: Header=BB255_232 Depth=1
	s_or_b64 exec, exec, s[18:19]
.LBB255_319:                            ;   in Loop: Header=BB255_232 Depth=1
	s_or_b64 exec, exec, s[16:17]
	v_lshrrev_b32_e32 v1, 16, v10
	v_cmp_ne_u16_sdwa s[0:1], v1, v2 src0_sel:BYTE_0 src1_sel:DWORD
	s_and_saveexec_b64 s[16:17], s[0:1]
	s_cbranch_execz .LBB255_325
; %bb.320:                              ;   in Loop: Header=BB255_232 Depth=1
	v_cmp_ne_u16_sdwa s[0:1], v1, s28 src0_sel:BYTE_0 src1_sel:DWORD
	v_mov_b32_e32 v44, 0x8000
	s_and_saveexec_b64 s[18:19], s[0:1]
	s_cbranch_execz .LBB255_324
; %bb.321:                              ;   in Loop: Header=BB255_232 Depth=1
	v_bfe_u32 v47, v10, 16, 7
	v_cmp_ne_u32_e64 s[0:1], s29, v47
	v_mov_b32_e32 v44, 0x7c01
	s_and_saveexec_b64 s[20:21], s[0:1]
	s_cbranch_execz .LBB255_323
; %bb.322:                              ;   in Loop: Header=BB255_232 Depth=1
	v_and_b32_e32 v44, 7, v1
	v_ffbh_u32_e32 v48, v44
	v_min_u32_e32 v51, 32, v48
	v_subrev_u32_e32 v48, 28, v51
	v_lshlrev_b64 v[48:49], v48, v[1:2]
	v_lshrrev_b32_e32 v50, 3, v47
	v_sub_u32_e32 v49, 29, v51
	v_cmp_gt_u32_e64 s[0:1], 8, v47
	v_cndmask_b32_e64 v47, v50, v49, s[0:1]
	v_lshl_add_u32 v47, v47, 10, v24
	v_lshlrev_b32_e32 v1, 8, v1
	v_and_b32_e32 v48, 7, v48
	v_and_b32_e32 v47, 0xfc00, v47
	v_cndmask_b32_e64 v44, v44, v48, s[0:1]
	v_and_or_b32 v1, v1, s30, v47
	v_lshl_or_b32 v44, v44, 7, v1
.LBB255_323:                            ;   in Loop: Header=BB255_232 Depth=1
	s_or_b64 exec, exec, s[20:21]
.LBB255_324:                            ;   in Loop: Header=BB255_232 Depth=1
	s_or_b64 exec, exec, s[18:19]
.LBB255_325:                            ;   in Loop: Header=BB255_232 Depth=1
	s_or_b64 exec, exec, s[16:17]
	v_cmp_lt_u64_e64 s[0:1], s[4:5], v[9:10]
	v_mov_b32_e32 v9, 0
	s_and_saveexec_b64 s[16:17], s[0:1]
	s_cbranch_execz .LBB255_331
; %bb.326:                              ;   in Loop: Header=BB255_232 Depth=1
	v_lshrrev_b32_e32 v1, 24, v10
	v_cmp_ne_u32_e64 s[0:1], s28, v1
	v_bfrev_b32_e32 v9, 1
	s_and_saveexec_b64 s[18:19], s[0:1]
	s_cbranch_execz .LBB255_330
; %bb.327:                              ;   in Loop: Header=BB255_232 Depth=1
	v_and_b32_e32 v10, 0x7f, v1
	v_cmp_ne_u32_e64 s[0:1], s29, v10
	v_mov_b32_e32 v9, 0x7c010000
	s_and_saveexec_b64 s[20:21], s[0:1]
	s_cbranch_execz .LBB255_329
; %bb.328:                              ;   in Loop: Header=BB255_232 Depth=1
	v_and_b32_e32 v9, 7, v1
	v_ffbh_u32_e32 v47, v9
	v_min_u32_e32 v50, 32, v47
	v_subrev_u32_e32 v47, 28, v50
	v_lshlrev_b64 v[47:48], v47, v[1:2]
	v_lshrrev_b32_e32 v49, 3, v10
	v_sub_u32_e32 v48, 29, v50
	v_cmp_gt_u32_e64 s[0:1], 8, v10
	v_cndmask_b32_e64 v10, v49, v48, s[0:1]
	v_lshlrev_b32_e32 v1, 8, v1
	v_lshl_add_u32 v10, v10, 10, v24
	v_and_b32_e32 v47, 7, v47
	v_and_or_b32 v1, v1, s30, v10
	v_cndmask_b32_e64 v9, v9, v47, s[0:1]
	v_lshlrev_b32_e32 v1, 16, v1
	v_lshl_or_b32 v9, v9, 23, v1
.LBB255_329:                            ;   in Loop: Header=BB255_232 Depth=1
	s_or_b64 exec, exec, s[20:21]
.LBB255_330:                            ;   in Loop: Header=BB255_232 Depth=1
	s_or_b64 exec, exec, s[18:19]
.LBB255_331:                            ;   in Loop: Header=BB255_232 Depth=1
	s_or_b64 exec, exec, s[16:17]
	s_waitcnt vmcnt(0)
	v_fma_mixlo_f16 v10, v39, v42, 0 op_sel:[0,1,0] op_sel_hi:[0,1,0]
	v_or_b32_e32 v1, v42, v43
	v_lshlrev_b32_e32 v42, 16, v10
	v_or_b32_e32 v10, v40, v41
	v_fma_mixlo_f16 v40, v39, v40, 0 op_sel:[0,1,0] op_sel_hi:[0,1,0]
	v_lshlrev_b32_e32 v47, 16, v40
	v_or_b32_e32 v40, v46, v45
	v_or_b32_e32 v44, v9, v44
	v_fma_mixlo_f16 v1, v39, v1, 0 op_sel_hi:[0,1,0]
	v_fma_mixlo_f16 v10, v39, v10, 0 op_sel_hi:[0,1,0]
	v_fma_mixlo_f16 v41, v39, v46, 0 op_sel:[0,1,0] op_sel_hi:[0,1,0]
	v_fma_mixlo_f16 v40, v39, v40, 0 op_sel_hi:[0,1,0]
	v_fma_mixlo_f16 v44, v39, v44, 0 op_sel_hi:[0,1,0]
	v_fma_mixlo_f16 v9, v39, v9, 0 op_sel:[0,1,0] op_sel_hi:[0,1,0]
	v_and_b32_e32 v43, 0xffff, v1
	v_and_b32_e32 v48, 0xffff, v10
	v_lshlrev_b32_e32 v41, 16, v41
	v_and_b32_e32 v45, 0xffff, v40
	v_lshlrev_b32_e32 v9, 16, v9
	v_and_b32_e32 v39, 0xffff, v44
	v_or_b32_e32 v1, v42, v43
	v_or_b32_e32 v10, v47, v48
	;; [unrolled: 1-line block ×4, first 2 shown]
	s_and_saveexec_b64 s[16:17], vcc
	s_cbranch_execz .LBB255_333
; %bb.332:                              ;   in Loop: Header=BB255_232 Depth=1
	v_cmp_gt_i32_e64 s[0:1], s33, v25
	v_cndmask_b32_e64 v1, 0, v48, s[0:1]
	v_cmp_gt_i32_e64 s[0:1], s33, v32
	v_cndmask_b32_e64 v10, 0, v47, s[0:1]
	v_cmp_gt_i32_e64 s[0:1], s33, v31
	v_or_b32_e32 v10, v10, v1
	v_cndmask_b32_e64 v1, 0, v43, s[0:1]
	v_cmp_gt_i32_e64 s[0:1], s33, v30
	v_cndmask_b32_e64 v40, 0, v42, s[0:1]
	v_cmp_gt_i32_e64 s[0:1], s33, v29
	v_or_b32_e32 v1, v40, v1
	v_cndmask_b32_e64 v40, 0, v45, s[0:1]
	v_cmp_gt_i32_e64 s[0:1], s33, v28
	v_cndmask_b32_e64 v41, 0, v41, s[0:1]
	v_cmp_gt_i32_e64 s[0:1], s33, v27
	;; [unrolled: 2-line block ×3, first 2 shown]
	v_cndmask_b32_e64 v9, 0, v9, s[0:1]
	v_or_b32_e32 v40, v41, v40
	v_or_b32_e32 v44, v9, v39
.LBB255_333:                            ;   in Loop: Header=BB255_232 Depth=1
	s_or_b64 exec, exec, s[16:17]
	;;#ASMSTART
	v_pk_mul_f16 v9, v36, v10;

	;;#ASMEND
	;;#ASMSTART
	v_pk_mul_f16 v1, v35, v1;

	;;#ASMEND
	;; [unrolled: 4-line block ×4, first 2 shown]
	;;#ASMSTART
	v_pk_add_f16 v1, v9, v1;

	;;#ASMEND
	;;#ASMSTART
	v_pk_add_f16 v1, v1, v10;

	;;#ASMEND
	;; [unrolled: 4-line block ×3, first 2 shown]
	v_lshrrev_b32_e32 v9, 16, v1
	v_and_b32_e32 v1, 0xffff, v1
	;;#ASMSTART
	v_cvt_f32_f16 v39, v1;
	;;#ASMEND
	;;#ASMSTART
	v_cvt_f32_f16 v40, v9;
	;;#ASMEND
	global_load_dwordx2 v[9:10], v[7:8], off offset:1024
	v_mov_b32_e32 v42, 0
	global_load_dword v41, v42, s[14:15]
	v_mov_b32_e32 v43, 0
	s_waitcnt vmcnt(1)
	v_cmp_ne_u16_sdwa s[0:1], v9, v2 src0_sel:BYTE_0 src1_sel:DWORD
	s_and_saveexec_b64 s[16:17], s[0:1]
	s_cbranch_execz .LBB255_339
; %bb.334:                              ;   in Loop: Header=BB255_232 Depth=1
	v_cmp_ne_u16_sdwa s[0:1], v9, s28 src0_sel:BYTE_0 src1_sel:DWORD
	v_mov_b32_e32 v43, 0x8000
	s_and_saveexec_b64 s[18:19], s[0:1]
	s_cbranch_execz .LBB255_338
; %bb.335:                              ;   in Loop: Header=BB255_232 Depth=1
	v_and_b32_e32 v1, 0x7f, v9
	v_cmp_ne_u32_e64 s[0:1], s29, v1
	v_mov_b32_e32 v43, 0x7c01
	s_and_saveexec_b64 s[20:21], s[0:1]
	s_cbranch_execz .LBB255_337
; %bb.336:                              ;   in Loop: Header=BB255_232 Depth=1
	v_and_b32_e32 v45, 7, v9
	v_ffbh_u32_e32 v43, v45
	v_min_u32_e32 v47, 32, v43
	v_subrev_u32_e32 v43, 28, v47
	v_lshlrev_b64 v[43:44], v43, v[9:10]
	v_lshrrev_b32_e32 v46, 3, v1
	v_sub_u32_e32 v44, 29, v47
	v_cmp_gt_u32_e64 s[0:1], 8, v1
	v_cndmask_b32_e64 v1, v46, v44, s[0:1]
	v_lshl_add_u32 v1, v1, 10, v24
	v_lshlrev_b32_e32 v44, 8, v9
	v_and_b32_e32 v43, 7, v43
	v_and_b32_e32 v1, 0xfc00, v1
	v_cndmask_b32_e64 v43, v45, v43, s[0:1]
	v_and_or_b32 v1, v44, s30, v1
	v_lshl_or_b32 v43, v43, 7, v1
.LBB255_337:                            ;   in Loop: Header=BB255_232 Depth=1
	s_or_b64 exec, exec, s[20:21]
.LBB255_338:                            ;   in Loop: Header=BB255_232 Depth=1
	s_or_b64 exec, exec, s[18:19]
.LBB255_339:                            ;   in Loop: Header=BB255_232 Depth=1
	s_or_b64 exec, exec, s[16:17]
	v_lshrrev_b16_e32 v1, 8, v9
	v_cmp_ne_u16_e64 s[0:1], 0, v1
	s_and_saveexec_b64 s[16:17], s[0:1]
	s_cbranch_execz .LBB255_345
; %bb.340:                              ;   in Loop: Header=BB255_232 Depth=1
	v_cmp_ne_u16_e64 s[0:1], s28, v1
	v_bfrev_b32_e32 v42, 1
	s_and_saveexec_b64 s[18:19], s[0:1]
	s_cbranch_execz .LBB255_344
; %bb.341:                              ;   in Loop: Header=BB255_232 Depth=1
	v_and_b32_e32 v44, 0x7f, v1
	v_cmp_ne_u32_e64 s[0:1], s29, v44
	v_mov_b32_e32 v42, 0x7c010000
	s_and_saveexec_b64 s[20:21], s[0:1]
	s_cbranch_execz .LBB255_343
; %bb.342:                              ;   in Loop: Header=BB255_232 Depth=1
	v_and_b32_e32 v42, 7, v1
	v_ffbh_u32_e32 v45, v42
	v_min_u32_e32 v48, 32, v45
	v_subrev_u32_e32 v45, 28, v48
	v_lshlrev_b64 v[45:46], v45, v[1:2]
	v_lshrrev_b32_e32 v47, 3, v44
	v_sub_u32_e32 v46, 29, v48
	v_cmp_gt_u32_e64 s[0:1], 8, v44
	v_cndmask_b32_e64 v44, v47, v46, s[0:1]
	v_lshlrev_b32_e32 v1, 8, v1
	v_lshl_add_u32 v44, v44, 10, v24
	v_and_b32_e32 v45, 7, v45
	v_and_or_b32 v1, v1, s30, v44
	v_cndmask_b32_e64 v42, v42, v45, s[0:1]
	v_lshlrev_b32_e32 v1, 16, v1
	v_lshl_or_b32 v42, v42, 23, v1
.LBB255_343:                            ;   in Loop: Header=BB255_232 Depth=1
	s_or_b64 exec, exec, s[20:21]
.LBB255_344:                            ;   in Loop: Header=BB255_232 Depth=1
	s_or_b64 exec, exec, s[18:19]
.LBB255_345:                            ;   in Loop: Header=BB255_232 Depth=1
	s_or_b64 exec, exec, s[16:17]
	v_lshrrev_b32_e32 v1, 16, v9
	v_cmp_ne_u16_sdwa s[0:1], v1, v2 src0_sel:BYTE_0 src1_sel:DWORD
	v_mov_b32_e32 v44, 0
	v_mov_b32_e32 v45, 0
	s_and_saveexec_b64 s[16:17], s[0:1]
	s_cbranch_execz .LBB255_351
; %bb.346:                              ;   in Loop: Header=BB255_232 Depth=1
	v_cmp_ne_u16_sdwa s[0:1], v1, s28 src0_sel:BYTE_0 src1_sel:DWORD
	v_mov_b32_e32 v45, 0x8000
	s_and_saveexec_b64 s[18:19], s[0:1]
	s_cbranch_execz .LBB255_350
; %bb.347:                              ;   in Loop: Header=BB255_232 Depth=1
	v_bfe_u32 v46, v9, 16, 7
	v_cmp_ne_u32_e64 s[0:1], s29, v46
	v_mov_b32_e32 v45, 0x7c01
	s_and_saveexec_b64 s[20:21], s[0:1]
	s_cbranch_execz .LBB255_349
; %bb.348:                              ;   in Loop: Header=BB255_232 Depth=1
	v_and_b32_e32 v45, 7, v1
	v_ffbh_u32_e32 v47, v45
	v_min_u32_e32 v50, 32, v47
	v_subrev_u32_e32 v47, 28, v50
	v_lshlrev_b64 v[47:48], v47, v[1:2]
	v_lshrrev_b32_e32 v49, 3, v46
	v_sub_u32_e32 v48, 29, v50
	v_cmp_gt_u32_e64 s[0:1], 8, v46
	v_cndmask_b32_e64 v46, v49, v48, s[0:1]
	v_lshl_add_u32 v46, v46, 10, v24
	v_lshlrev_b32_e32 v1, 8, v1
	v_and_b32_e32 v47, 7, v47
	v_and_b32_e32 v46, 0xfc00, v46
	v_cndmask_b32_e64 v45, v45, v47, s[0:1]
	v_and_or_b32 v1, v1, s30, v46
	v_lshl_or_b32 v45, v45, 7, v1
.LBB255_349:                            ;   in Loop: Header=BB255_232 Depth=1
	s_or_b64 exec, exec, s[20:21]
.LBB255_350:                            ;   in Loop: Header=BB255_232 Depth=1
	s_or_b64 exec, exec, s[18:19]
.LBB255_351:                            ;   in Loop: Header=BB255_232 Depth=1
	s_or_b64 exec, exec, s[16:17]
	v_cmp_lt_u32_e64 s[0:1], s5, v9
	s_and_saveexec_b64 s[16:17], s[0:1]
	s_cbranch_execz .LBB255_357
; %bb.352:                              ;   in Loop: Header=BB255_232 Depth=1
	v_lshrrev_b32_e32 v1, 24, v9
	v_cmp_ne_u32_e64 s[0:1], s28, v1
	v_bfrev_b32_e32 v44, 1
	s_and_saveexec_b64 s[18:19], s[0:1]
	s_cbranch_execz .LBB255_356
; %bb.353:                              ;   in Loop: Header=BB255_232 Depth=1
	v_and_b32_e32 v46, 0x7f, v1
	v_cmp_ne_u32_e64 s[0:1], s29, v46
	v_mov_b32_e32 v44, 0x7c010000
	s_and_saveexec_b64 s[20:21], s[0:1]
	s_cbranch_execz .LBB255_355
; %bb.354:                              ;   in Loop: Header=BB255_232 Depth=1
	v_and_b32_e32 v44, 7, v1
	v_ffbh_u32_e32 v47, v44
	v_min_u32_e32 v50, 32, v47
	v_subrev_u32_e32 v47, 28, v50
	v_lshlrev_b64 v[47:48], v47, v[1:2]
	v_lshrrev_b32_e32 v49, 3, v46
	v_sub_u32_e32 v48, 29, v50
	v_cmp_gt_u32_e64 s[0:1], 8, v46
	v_cndmask_b32_e64 v46, v49, v48, s[0:1]
	v_lshlrev_b32_e32 v1, 8, v1
	v_lshl_add_u32 v46, v46, 10, v24
	v_and_b32_e32 v47, 7, v47
	v_and_or_b32 v1, v1, s30, v46
	v_cndmask_b32_e64 v44, v44, v47, s[0:1]
	v_lshlrev_b32_e32 v1, 16, v1
	v_lshl_or_b32 v44, v44, 23, v1
.LBB255_355:                            ;   in Loop: Header=BB255_232 Depth=1
	s_or_b64 exec, exec, s[20:21]
.LBB255_356:                            ;   in Loop: Header=BB255_232 Depth=1
	s_or_b64 exec, exec, s[18:19]
.LBB255_357:                            ;   in Loop: Header=BB255_232 Depth=1
	s_or_b64 exec, exec, s[16:17]
	v_mov_b32_e32 v1, v10
	v_cmp_ne_u16_sdwa s[0:1], v10, v2 src0_sel:BYTE_0 src1_sel:DWORD
	v_mov_b32_e32 v46, 0
	v_mov_b32_e32 v47, 0
	s_and_saveexec_b64 s[16:17], s[0:1]
	s_cbranch_execz .LBB255_363
; %bb.358:                              ;   in Loop: Header=BB255_232 Depth=1
	v_cmp_ne_u16_sdwa s[0:1], v10, s28 src0_sel:BYTE_0 src1_sel:DWORD
	v_mov_b32_e32 v47, 0x8000
	s_and_saveexec_b64 s[18:19], s[0:1]
	s_cbranch_execz .LBB255_362
; %bb.359:                              ;   in Loop: Header=BB255_232 Depth=1
	v_and_b32_e32 v48, 0x7f, v10
	v_cmp_ne_u32_e64 s[0:1], s29, v48
	v_mov_b32_e32 v47, 0x7c01
	s_and_saveexec_b64 s[20:21], s[0:1]
	s_cbranch_execz .LBB255_361
; %bb.360:                              ;   in Loop: Header=BB255_232 Depth=1
	v_and_b32_e32 v47, 7, v10
	v_ffbh_u32_e32 v49, v47
	v_min_u32_e32 v52, 32, v49
	v_subrev_u32_e32 v49, 28, v52
	v_lshlrev_b64 v[49:50], v49, v[1:2]
	v_lshrrev_b32_e32 v51, 3, v48
	v_sub_u32_e32 v50, 29, v52
	v_cmp_gt_u32_e64 s[0:1], 8, v48
	v_cndmask_b32_e64 v48, v51, v50, s[0:1]
	v_lshl_add_u32 v48, v48, 10, v24
	v_lshlrev_b32_e32 v50, 8, v10
	v_and_b32_e32 v49, 7, v49
	v_and_b32_e32 v48, 0xfc00, v48
	v_cndmask_b32_e64 v47, v47, v49, s[0:1]
	v_and_or_b32 v48, v50, s30, v48
	v_lshl_or_b32 v47, v47, 7, v48
.LBB255_361:                            ;   in Loop: Header=BB255_232 Depth=1
	s_or_b64 exec, exec, s[20:21]
.LBB255_362:                            ;   in Loop: Header=BB255_232 Depth=1
	s_or_b64 exec, exec, s[18:19]
.LBB255_363:                            ;   in Loop: Header=BB255_232 Depth=1
	s_or_b64 exec, exec, s[16:17]
	v_lshrrev_b16_e32 v1, 8, v1
	v_cmp_ne_u16_e64 s[0:1], 0, v1
	v_mov_b32_e32 v48, 0
	s_and_saveexec_b64 s[16:17], s[0:1]
	s_cbranch_execz .LBB255_369
; %bb.364:                              ;   in Loop: Header=BB255_232 Depth=1
	v_cmp_ne_u16_e64 s[0:1], s28, v1
	v_bfrev_b32_e32 v48, 1
	s_and_saveexec_b64 s[18:19], s[0:1]
	s_cbranch_execz .LBB255_368
; %bb.365:                              ;   in Loop: Header=BB255_232 Depth=1
	v_and_b32_e32 v49, 0x7f, v1
	v_cmp_ne_u32_e64 s[0:1], s29, v49
	v_mov_b32_e32 v48, 0x7c010000
	s_and_saveexec_b64 s[20:21], s[0:1]
	s_cbranch_execz .LBB255_367
; %bb.366:                              ;   in Loop: Header=BB255_232 Depth=1
	v_and_b32_e32 v48, 7, v1
	v_ffbh_u32_e32 v50, v48
	v_min_u32_e32 v53, 32, v50
	v_subrev_u32_e32 v50, 28, v53
	v_lshlrev_b64 v[50:51], v50, v[1:2]
	v_lshrrev_b32_e32 v52, 3, v49
	v_sub_u32_e32 v51, 29, v53
	v_cmp_gt_u32_e64 s[0:1], 8, v49
	v_cndmask_b32_e64 v49, v52, v51, s[0:1]
	v_lshlrev_b32_e32 v1, 8, v1
	v_lshl_add_u32 v49, v49, 10, v24
	v_and_b32_e32 v50, 7, v50
	v_and_or_b32 v1, v1, s30, v49
	v_cndmask_b32_e64 v48, v48, v50, s[0:1]
	v_lshlrev_b32_e32 v1, 16, v1
	v_lshl_or_b32 v48, v48, 23, v1
.LBB255_367:                            ;   in Loop: Header=BB255_232 Depth=1
	s_or_b64 exec, exec, s[20:21]
.LBB255_368:                            ;   in Loop: Header=BB255_232 Depth=1
	s_or_b64 exec, exec, s[18:19]
.LBB255_369:                            ;   in Loop: Header=BB255_232 Depth=1
	s_or_b64 exec, exec, s[16:17]
	v_lshrrev_b32_e32 v1, 16, v10
	v_cmp_ne_u16_sdwa s[0:1], v1, v2 src0_sel:BYTE_0 src1_sel:DWORD
	s_and_saveexec_b64 s[16:17], s[0:1]
	s_cbranch_execz .LBB255_375
; %bb.370:                              ;   in Loop: Header=BB255_232 Depth=1
	v_cmp_ne_u16_sdwa s[0:1], v1, s28 src0_sel:BYTE_0 src1_sel:DWORD
	v_mov_b32_e32 v46, 0x8000
	s_and_saveexec_b64 s[18:19], s[0:1]
	s_cbranch_execz .LBB255_374
; %bb.371:                              ;   in Loop: Header=BB255_232 Depth=1
	v_bfe_u32 v49, v10, 16, 7
	v_cmp_ne_u32_e64 s[0:1], s29, v49
	v_mov_b32_e32 v46, 0x7c01
	s_and_saveexec_b64 s[20:21], s[0:1]
	s_cbranch_execz .LBB255_373
; %bb.372:                              ;   in Loop: Header=BB255_232 Depth=1
	v_and_b32_e32 v46, 7, v1
	v_ffbh_u32_e32 v50, v46
	v_min_u32_e32 v53, 32, v50
	v_subrev_u32_e32 v50, 28, v53
	v_lshlrev_b64 v[50:51], v50, v[1:2]
	v_lshrrev_b32_e32 v52, 3, v49
	v_sub_u32_e32 v51, 29, v53
	v_cmp_gt_u32_e64 s[0:1], 8, v49
	v_cndmask_b32_e64 v49, v52, v51, s[0:1]
	v_lshl_add_u32 v49, v49, 10, v24
	v_lshlrev_b32_e32 v1, 8, v1
	v_and_b32_e32 v50, 7, v50
	v_and_b32_e32 v49, 0xfc00, v49
	v_cndmask_b32_e64 v46, v46, v50, s[0:1]
	v_and_or_b32 v1, v1, s30, v49
	v_lshl_or_b32 v46, v46, 7, v1
.LBB255_373:                            ;   in Loop: Header=BB255_232 Depth=1
	s_or_b64 exec, exec, s[20:21]
.LBB255_374:                            ;   in Loop: Header=BB255_232 Depth=1
	s_or_b64 exec, exec, s[18:19]
.LBB255_375:                            ;   in Loop: Header=BB255_232 Depth=1
	s_or_b64 exec, exec, s[16:17]
	v_cmp_lt_u64_e64 s[0:1], s[4:5], v[9:10]
	v_mov_b32_e32 v9, 0
	s_and_saveexec_b64 s[16:17], s[0:1]
	s_cbranch_execz .LBB255_381
; %bb.376:                              ;   in Loop: Header=BB255_232 Depth=1
	v_lshrrev_b32_e32 v1, 24, v10
	v_cmp_ne_u32_e64 s[0:1], s28, v1
	v_bfrev_b32_e32 v9, 1
	s_and_saveexec_b64 s[18:19], s[0:1]
	s_cbranch_execz .LBB255_380
; %bb.377:                              ;   in Loop: Header=BB255_232 Depth=1
	v_and_b32_e32 v10, 0x7f, v1
	v_cmp_ne_u32_e64 s[0:1], s29, v10
	v_mov_b32_e32 v9, 0x7c010000
	s_and_saveexec_b64 s[20:21], s[0:1]
	s_cbranch_execz .LBB255_379
; %bb.378:                              ;   in Loop: Header=BB255_232 Depth=1
	v_and_b32_e32 v9, 7, v1
	v_ffbh_u32_e32 v49, v9
	v_min_u32_e32 v52, 32, v49
	v_subrev_u32_e32 v49, 28, v52
	v_lshlrev_b64 v[49:50], v49, v[1:2]
	v_lshrrev_b32_e32 v51, 3, v10
	v_sub_u32_e32 v50, 29, v52
	v_cmp_gt_u32_e64 s[0:1], 8, v10
	v_cndmask_b32_e64 v10, v51, v50, s[0:1]
	v_lshlrev_b32_e32 v1, 8, v1
	v_lshl_add_u32 v10, v10, 10, v24
	v_and_b32_e32 v49, 7, v49
	v_and_or_b32 v1, v1, s30, v10
	v_cndmask_b32_e64 v9, v9, v49, s[0:1]
	v_lshlrev_b32_e32 v1, 16, v1
	v_lshl_or_b32 v9, v9, 23, v1
.LBB255_379:                            ;   in Loop: Header=BB255_232 Depth=1
	s_or_b64 exec, exec, s[20:21]
.LBB255_380:                            ;   in Loop: Header=BB255_232 Depth=1
	s_or_b64 exec, exec, s[18:19]
.LBB255_381:                            ;   in Loop: Header=BB255_232 Depth=1
	s_or_b64 exec, exec, s[16:17]
	s_waitcnt vmcnt(0)
	v_fma_mixlo_f16 v10, v41, v44, 0 op_sel:[0,1,0] op_sel_hi:[0,1,0]
	v_or_b32_e32 v1, v44, v45
	v_lshlrev_b32_e32 v44, 16, v10
	v_or_b32_e32 v10, v42, v43
	v_fma_mixlo_f16 v42, v41, v42, 0 op_sel:[0,1,0] op_sel_hi:[0,1,0]
	v_lshlrev_b32_e32 v49, 16, v42
	v_or_b32_e32 v42, v48, v47
	v_or_b32_e32 v46, v9, v46
	v_fma_mixlo_f16 v1, v41, v1, 0 op_sel_hi:[0,1,0]
	v_fma_mixlo_f16 v10, v41, v10, 0 op_sel_hi:[0,1,0]
	v_fma_mixlo_f16 v43, v41, v48, 0 op_sel:[0,1,0] op_sel_hi:[0,1,0]
	v_fma_mixlo_f16 v42, v41, v42, 0 op_sel_hi:[0,1,0]
	v_fma_mixlo_f16 v46, v41, v46, 0 op_sel_hi:[0,1,0]
	v_fma_mixlo_f16 v9, v41, v9, 0 op_sel:[0,1,0] op_sel_hi:[0,1,0]
	v_and_b32_e32 v45, 0xffff, v1
	v_and_b32_e32 v50, 0xffff, v10
	v_lshlrev_b32_e32 v43, 16, v43
	v_and_b32_e32 v47, 0xffff, v42
	v_lshlrev_b32_e32 v9, 16, v9
	v_and_b32_e32 v41, 0xffff, v46
	v_or_b32_e32 v1, v44, v45
	v_or_b32_e32 v10, v49, v50
	;; [unrolled: 1-line block ×4, first 2 shown]
	s_and_saveexec_b64 s[16:17], vcc
	s_cbranch_execz .LBB255_383
; %bb.382:                              ;   in Loop: Header=BB255_232 Depth=1
	v_cmp_gt_i32_e64 s[0:1], s33, v25
	v_cndmask_b32_e64 v1, 0, v50, s[0:1]
	v_cmp_gt_i32_e64 s[0:1], s33, v32
	v_cndmask_b32_e64 v10, 0, v49, s[0:1]
	v_cmp_gt_i32_e64 s[0:1], s33, v31
	v_or_b32_e32 v10, v10, v1
	v_cndmask_b32_e64 v1, 0, v45, s[0:1]
	v_cmp_gt_i32_e64 s[0:1], s33, v30
	v_cndmask_b32_e64 v42, 0, v44, s[0:1]
	v_cmp_gt_i32_e64 s[0:1], s33, v29
	v_or_b32_e32 v1, v42, v1
	v_cndmask_b32_e64 v42, 0, v47, s[0:1]
	v_cmp_gt_i32_e64 s[0:1], s33, v28
	v_cndmask_b32_e64 v43, 0, v43, s[0:1]
	v_cmp_gt_i32_e64 s[0:1], s33, v27
	v_cndmask_b32_e64 v41, 0, v41, s[0:1]
	v_cmp_gt_i32_e64 s[0:1], s33, v26
	v_cndmask_b32_e64 v9, 0, v9, s[0:1]
	v_or_b32_e32 v42, v43, v42
	v_or_b32_e32 v46, v9, v41
.LBB255_383:                            ;   in Loop: Header=BB255_232 Depth=1
	s_or_b64 exec, exec, s[16:17]
	;;#ASMSTART
	v_pk_mul_f16 v9, v36, v10;

	;;#ASMEND
	;;#ASMSTART
	v_pk_mul_f16 v1, v35, v1;

	;;#ASMEND
	;; [unrolled: 4-line block ×4, first 2 shown]
	;;#ASMSTART
	v_pk_add_f16 v1, v9, v1;

	;;#ASMEND
	;;#ASMSTART
	v_pk_add_f16 v1, v1, v10;

	;;#ASMEND
	;; [unrolled: 4-line block ×3, first 2 shown]
	v_lshrrev_b32_e32 v10, 16, v1
	v_and_b32_e32 v1, 0xffff, v1
	;;#ASMSTART
	v_cvt_f32_f16 v9, v1;
	;;#ASMEND
	;;#ASMSTART
	v_cvt_f32_f16 v10, v10;
	;;#ASMEND
	global_load_dwordx2 v[7:8], v[7:8], off offset:1536
	v_mov_b32_e32 v42, 0
	global_load_dword v41, v42, s[14:15]
	v_mov_b32_e32 v43, 0
	s_waitcnt vmcnt(1)
	v_cmp_ne_u16_sdwa s[0:1], v7, v2 src0_sel:BYTE_0 src1_sel:DWORD
	s_and_saveexec_b64 s[16:17], s[0:1]
	s_cbranch_execz .LBB255_389
; %bb.384:                              ;   in Loop: Header=BB255_232 Depth=1
	v_cmp_ne_u16_sdwa s[0:1], v7, s28 src0_sel:BYTE_0 src1_sel:DWORD
	v_mov_b32_e32 v43, 0x8000
	s_and_saveexec_b64 s[18:19], s[0:1]
	s_cbranch_execz .LBB255_388
; %bb.385:                              ;   in Loop: Header=BB255_232 Depth=1
	v_and_b32_e32 v1, 0x7f, v7
	v_cmp_ne_u32_e64 s[0:1], s29, v1
	v_mov_b32_e32 v43, 0x7c01
	s_and_saveexec_b64 s[20:21], s[0:1]
	s_cbranch_execz .LBB255_387
; %bb.386:                              ;   in Loop: Header=BB255_232 Depth=1
	v_and_b32_e32 v45, 7, v7
	v_ffbh_u32_e32 v43, v45
	v_min_u32_e32 v47, 32, v43
	v_subrev_u32_e32 v43, 28, v47
	v_lshlrev_b64 v[43:44], v43, v[7:8]
	v_lshrrev_b32_e32 v46, 3, v1
	v_sub_u32_e32 v44, 29, v47
	v_cmp_gt_u32_e64 s[0:1], 8, v1
	v_cndmask_b32_e64 v1, v46, v44, s[0:1]
	v_lshl_add_u32 v1, v1, 10, v24
	v_lshlrev_b32_e32 v44, 8, v7
	v_and_b32_e32 v43, 7, v43
	v_and_b32_e32 v1, 0xfc00, v1
	v_cndmask_b32_e64 v43, v45, v43, s[0:1]
	v_and_or_b32 v1, v44, s30, v1
	v_lshl_or_b32 v43, v43, 7, v1
.LBB255_387:                            ;   in Loop: Header=BB255_232 Depth=1
	s_or_b64 exec, exec, s[20:21]
.LBB255_388:                            ;   in Loop: Header=BB255_232 Depth=1
	s_or_b64 exec, exec, s[18:19]
.LBB255_389:                            ;   in Loop: Header=BB255_232 Depth=1
	s_or_b64 exec, exec, s[16:17]
	v_lshrrev_b16_e32 v1, 8, v7
	v_cmp_ne_u16_e64 s[0:1], 0, v1
	s_and_saveexec_b64 s[16:17], s[0:1]
	s_cbranch_execz .LBB255_395
; %bb.390:                              ;   in Loop: Header=BB255_232 Depth=1
	v_cmp_ne_u16_e64 s[0:1], s28, v1
	v_bfrev_b32_e32 v42, 1
	s_and_saveexec_b64 s[18:19], s[0:1]
	s_cbranch_execz .LBB255_394
; %bb.391:                              ;   in Loop: Header=BB255_232 Depth=1
	v_and_b32_e32 v44, 0x7f, v1
	v_cmp_ne_u32_e64 s[0:1], s29, v44
	v_mov_b32_e32 v42, 0x7c010000
	s_and_saveexec_b64 s[20:21], s[0:1]
	s_cbranch_execz .LBB255_393
; %bb.392:                              ;   in Loop: Header=BB255_232 Depth=1
	v_and_b32_e32 v42, 7, v1
	v_ffbh_u32_e32 v45, v42
	v_min_u32_e32 v48, 32, v45
	v_subrev_u32_e32 v45, 28, v48
	v_lshlrev_b64 v[45:46], v45, v[1:2]
	v_lshrrev_b32_e32 v47, 3, v44
	v_sub_u32_e32 v46, 29, v48
	v_cmp_gt_u32_e64 s[0:1], 8, v44
	v_cndmask_b32_e64 v44, v47, v46, s[0:1]
	v_lshlrev_b32_e32 v1, 8, v1
	v_lshl_add_u32 v44, v44, 10, v24
	v_and_b32_e32 v45, 7, v45
	v_and_or_b32 v1, v1, s30, v44
	v_cndmask_b32_e64 v42, v42, v45, s[0:1]
	v_lshlrev_b32_e32 v1, 16, v1
	v_lshl_or_b32 v42, v42, 23, v1
.LBB255_393:                            ;   in Loop: Header=BB255_232 Depth=1
	s_or_b64 exec, exec, s[20:21]
.LBB255_394:                            ;   in Loop: Header=BB255_232 Depth=1
	s_or_b64 exec, exec, s[18:19]
.LBB255_395:                            ;   in Loop: Header=BB255_232 Depth=1
	s_or_b64 exec, exec, s[16:17]
	v_lshrrev_b32_e32 v1, 16, v7
	v_cmp_ne_u16_sdwa s[0:1], v1, v2 src0_sel:BYTE_0 src1_sel:DWORD
	v_mov_b32_e32 v44, 0
	v_mov_b32_e32 v45, 0
	s_and_saveexec_b64 s[16:17], s[0:1]
	s_cbranch_execz .LBB255_401
; %bb.396:                              ;   in Loop: Header=BB255_232 Depth=1
	v_cmp_ne_u16_sdwa s[0:1], v1, s28 src0_sel:BYTE_0 src1_sel:DWORD
	v_mov_b32_e32 v45, 0x8000
	s_and_saveexec_b64 s[18:19], s[0:1]
	s_cbranch_execz .LBB255_400
; %bb.397:                              ;   in Loop: Header=BB255_232 Depth=1
	v_bfe_u32 v46, v7, 16, 7
	v_cmp_ne_u32_e64 s[0:1], s29, v46
	v_mov_b32_e32 v45, 0x7c01
	s_and_saveexec_b64 s[20:21], s[0:1]
	s_cbranch_execz .LBB255_399
; %bb.398:                              ;   in Loop: Header=BB255_232 Depth=1
	v_and_b32_e32 v45, 7, v1
	v_ffbh_u32_e32 v47, v45
	v_min_u32_e32 v50, 32, v47
	v_subrev_u32_e32 v47, 28, v50
	v_lshlrev_b64 v[47:48], v47, v[1:2]
	v_lshrrev_b32_e32 v49, 3, v46
	v_sub_u32_e32 v48, 29, v50
	v_cmp_gt_u32_e64 s[0:1], 8, v46
	v_cndmask_b32_e64 v46, v49, v48, s[0:1]
	v_lshl_add_u32 v46, v46, 10, v24
	v_lshlrev_b32_e32 v1, 8, v1
	v_and_b32_e32 v47, 7, v47
	v_and_b32_e32 v46, 0xfc00, v46
	v_cndmask_b32_e64 v45, v45, v47, s[0:1]
	v_and_or_b32 v1, v1, s30, v46
	v_lshl_or_b32 v45, v45, 7, v1
.LBB255_399:                            ;   in Loop: Header=BB255_232 Depth=1
	s_or_b64 exec, exec, s[20:21]
.LBB255_400:                            ;   in Loop: Header=BB255_232 Depth=1
	s_or_b64 exec, exec, s[18:19]
.LBB255_401:                            ;   in Loop: Header=BB255_232 Depth=1
	s_or_b64 exec, exec, s[16:17]
	v_cmp_lt_u32_e64 s[0:1], s5, v7
	s_and_saveexec_b64 s[16:17], s[0:1]
	s_cbranch_execz .LBB255_407
; %bb.402:                              ;   in Loop: Header=BB255_232 Depth=1
	v_lshrrev_b32_e32 v1, 24, v7
	v_cmp_ne_u32_e64 s[0:1], s28, v1
	v_bfrev_b32_e32 v44, 1
	s_and_saveexec_b64 s[18:19], s[0:1]
	s_cbranch_execz .LBB255_406
; %bb.403:                              ;   in Loop: Header=BB255_232 Depth=1
	v_and_b32_e32 v46, 0x7f, v1
	v_cmp_ne_u32_e64 s[0:1], s29, v46
	v_mov_b32_e32 v44, 0x7c010000
	s_and_saveexec_b64 s[20:21], s[0:1]
	s_cbranch_execz .LBB255_405
; %bb.404:                              ;   in Loop: Header=BB255_232 Depth=1
	v_and_b32_e32 v44, 7, v1
	v_ffbh_u32_e32 v47, v44
	v_min_u32_e32 v50, 32, v47
	v_subrev_u32_e32 v47, 28, v50
	v_lshlrev_b64 v[47:48], v47, v[1:2]
	v_lshrrev_b32_e32 v49, 3, v46
	v_sub_u32_e32 v48, 29, v50
	v_cmp_gt_u32_e64 s[0:1], 8, v46
	v_cndmask_b32_e64 v46, v49, v48, s[0:1]
	v_lshlrev_b32_e32 v1, 8, v1
	v_lshl_add_u32 v46, v46, 10, v24
	v_and_b32_e32 v47, 7, v47
	v_and_or_b32 v1, v1, s30, v46
	v_cndmask_b32_e64 v44, v44, v47, s[0:1]
	v_lshlrev_b32_e32 v1, 16, v1
	v_lshl_or_b32 v44, v44, 23, v1
.LBB255_405:                            ;   in Loop: Header=BB255_232 Depth=1
	s_or_b64 exec, exec, s[20:21]
.LBB255_406:                            ;   in Loop: Header=BB255_232 Depth=1
	s_or_b64 exec, exec, s[18:19]
.LBB255_407:                            ;   in Loop: Header=BB255_232 Depth=1
	s_or_b64 exec, exec, s[16:17]
	v_mov_b32_e32 v1, v8
	v_cmp_ne_u16_sdwa s[0:1], v8, v2 src0_sel:BYTE_0 src1_sel:DWORD
	v_mov_b32_e32 v46, 0
	v_mov_b32_e32 v47, 0
	s_and_saveexec_b64 s[16:17], s[0:1]
	s_cbranch_execz .LBB255_413
; %bb.408:                              ;   in Loop: Header=BB255_232 Depth=1
	v_cmp_ne_u16_sdwa s[0:1], v8, s28 src0_sel:BYTE_0 src1_sel:DWORD
	v_mov_b32_e32 v47, 0x8000
	s_and_saveexec_b64 s[18:19], s[0:1]
	s_cbranch_execz .LBB255_412
; %bb.409:                              ;   in Loop: Header=BB255_232 Depth=1
	v_and_b32_e32 v48, 0x7f, v8
	v_cmp_ne_u32_e64 s[0:1], s29, v48
	v_mov_b32_e32 v47, 0x7c01
	s_and_saveexec_b64 s[20:21], s[0:1]
	s_cbranch_execz .LBB255_411
; %bb.410:                              ;   in Loop: Header=BB255_232 Depth=1
	v_and_b32_e32 v47, 7, v8
	v_ffbh_u32_e32 v49, v47
	v_min_u32_e32 v52, 32, v49
	v_subrev_u32_e32 v49, 28, v52
	v_lshlrev_b64 v[49:50], v49, v[1:2]
	v_lshrrev_b32_e32 v51, 3, v48
	v_sub_u32_e32 v50, 29, v52
	v_cmp_gt_u32_e64 s[0:1], 8, v48
	v_cndmask_b32_e64 v48, v51, v50, s[0:1]
	v_lshl_add_u32 v48, v48, 10, v24
	v_lshlrev_b32_e32 v50, 8, v8
	v_and_b32_e32 v49, 7, v49
	v_and_b32_e32 v48, 0xfc00, v48
	v_cndmask_b32_e64 v47, v47, v49, s[0:1]
	v_and_or_b32 v48, v50, s30, v48
	v_lshl_or_b32 v47, v47, 7, v48
.LBB255_411:                            ;   in Loop: Header=BB255_232 Depth=1
	s_or_b64 exec, exec, s[20:21]
.LBB255_412:                            ;   in Loop: Header=BB255_232 Depth=1
	s_or_b64 exec, exec, s[18:19]
.LBB255_413:                            ;   in Loop: Header=BB255_232 Depth=1
	s_or_b64 exec, exec, s[16:17]
	v_lshrrev_b16_e32 v1, 8, v1
	v_cmp_ne_u16_e64 s[0:1], 0, v1
	v_mov_b32_e32 v48, 0
	s_and_saveexec_b64 s[16:17], s[0:1]
	s_cbranch_execz .LBB255_419
; %bb.414:                              ;   in Loop: Header=BB255_232 Depth=1
	v_cmp_ne_u16_e64 s[0:1], s28, v1
	v_bfrev_b32_e32 v48, 1
	s_and_saveexec_b64 s[18:19], s[0:1]
	s_cbranch_execz .LBB255_418
; %bb.415:                              ;   in Loop: Header=BB255_232 Depth=1
	v_and_b32_e32 v49, 0x7f, v1
	v_cmp_ne_u32_e64 s[0:1], s29, v49
	v_mov_b32_e32 v48, 0x7c010000
	s_and_saveexec_b64 s[20:21], s[0:1]
	s_cbranch_execz .LBB255_417
; %bb.416:                              ;   in Loop: Header=BB255_232 Depth=1
	v_and_b32_e32 v48, 7, v1
	v_ffbh_u32_e32 v50, v48
	v_min_u32_e32 v53, 32, v50
	v_subrev_u32_e32 v50, 28, v53
	v_lshlrev_b64 v[50:51], v50, v[1:2]
	v_lshrrev_b32_e32 v52, 3, v49
	v_sub_u32_e32 v51, 29, v53
	v_cmp_gt_u32_e64 s[0:1], 8, v49
	v_cndmask_b32_e64 v49, v52, v51, s[0:1]
	v_lshlrev_b32_e32 v1, 8, v1
	v_lshl_add_u32 v49, v49, 10, v24
	v_and_b32_e32 v50, 7, v50
	v_and_or_b32 v1, v1, s30, v49
	v_cndmask_b32_e64 v48, v48, v50, s[0:1]
	v_lshlrev_b32_e32 v1, 16, v1
	v_lshl_or_b32 v48, v48, 23, v1
.LBB255_417:                            ;   in Loop: Header=BB255_232 Depth=1
	s_or_b64 exec, exec, s[20:21]
.LBB255_418:                            ;   in Loop: Header=BB255_232 Depth=1
	s_or_b64 exec, exec, s[18:19]
.LBB255_419:                            ;   in Loop: Header=BB255_232 Depth=1
	s_or_b64 exec, exec, s[16:17]
	v_lshrrev_b32_e32 v1, 16, v8
	v_cmp_ne_u16_sdwa s[0:1], v1, v2 src0_sel:BYTE_0 src1_sel:DWORD
	s_and_saveexec_b64 s[16:17], s[0:1]
	s_cbranch_execz .LBB255_425
; %bb.420:                              ;   in Loop: Header=BB255_232 Depth=1
	v_cmp_ne_u16_sdwa s[0:1], v1, s28 src0_sel:BYTE_0 src1_sel:DWORD
	v_mov_b32_e32 v46, 0x8000
	s_and_saveexec_b64 s[18:19], s[0:1]
	s_cbranch_execz .LBB255_424
; %bb.421:                              ;   in Loop: Header=BB255_232 Depth=1
	v_bfe_u32 v49, v8, 16, 7
	v_cmp_ne_u32_e64 s[0:1], s29, v49
	v_mov_b32_e32 v46, 0x7c01
	s_and_saveexec_b64 s[20:21], s[0:1]
	s_cbranch_execz .LBB255_423
; %bb.422:                              ;   in Loop: Header=BB255_232 Depth=1
	v_and_b32_e32 v46, 7, v1
	v_ffbh_u32_e32 v50, v46
	v_min_u32_e32 v53, 32, v50
	v_subrev_u32_e32 v50, 28, v53
	v_lshlrev_b64 v[50:51], v50, v[1:2]
	v_lshrrev_b32_e32 v52, 3, v49
	v_sub_u32_e32 v51, 29, v53
	v_cmp_gt_u32_e64 s[0:1], 8, v49
	v_cndmask_b32_e64 v49, v52, v51, s[0:1]
	v_lshl_add_u32 v49, v49, 10, v24
	v_lshlrev_b32_e32 v1, 8, v1
	v_and_b32_e32 v50, 7, v50
	v_and_b32_e32 v49, 0xfc00, v49
	v_cndmask_b32_e64 v46, v46, v50, s[0:1]
	v_and_or_b32 v1, v1, s30, v49
	v_lshl_or_b32 v46, v46, 7, v1
.LBB255_423:                            ;   in Loop: Header=BB255_232 Depth=1
	s_or_b64 exec, exec, s[20:21]
.LBB255_424:                            ;   in Loop: Header=BB255_232 Depth=1
	s_or_b64 exec, exec, s[18:19]
.LBB255_425:                            ;   in Loop: Header=BB255_232 Depth=1
	s_or_b64 exec, exec, s[16:17]
	v_cmp_lt_u64_e64 s[0:1], s[4:5], v[7:8]
	v_mov_b32_e32 v49, 0
	s_and_saveexec_b64 s[16:17], s[0:1]
	s_cbranch_execz .LBB255_431
; %bb.426:                              ;   in Loop: Header=BB255_232 Depth=1
	v_lshrrev_b32_e32 v1, 24, v8
	v_cmp_ne_u32_e64 s[0:1], s28, v1
	v_bfrev_b32_e32 v49, 1
	s_and_saveexec_b64 s[18:19], s[0:1]
	s_cbranch_execz .LBB255_430
; %bb.427:                              ;   in Loop: Header=BB255_232 Depth=1
	v_and_b32_e32 v7, 0x7f, v1
	v_cmp_ne_u32_e64 s[0:1], s29, v7
	v_mov_b32_e32 v49, 0x7c010000
	s_and_saveexec_b64 s[20:21], s[0:1]
	s_cbranch_execz .LBB255_429
; %bb.428:                              ;   in Loop: Header=BB255_232 Depth=1
	v_and_b32_e32 v8, 7, v1
	v_ffbh_u32_e32 v49, v8
	v_min_u32_e32 v52, 32, v49
	v_subrev_u32_e32 v49, 28, v52
	v_lshlrev_b64 v[49:50], v49, v[1:2]
	v_lshrrev_b32_e32 v51, 3, v7
	v_sub_u32_e32 v50, 29, v52
	v_cmp_gt_u32_e64 s[0:1], 8, v7
	v_cndmask_b32_e64 v7, v51, v50, s[0:1]
	v_lshlrev_b32_e32 v1, 8, v1
	v_lshl_add_u32 v7, v7, 10, v24
	v_and_b32_e32 v49, 7, v49
	v_and_or_b32 v1, v1, s30, v7
	v_cndmask_b32_e64 v8, v8, v49, s[0:1]
	v_lshlrev_b32_e32 v1, 16, v1
	v_lshl_or_b32 v49, v8, 23, v1
.LBB255_429:                            ;   in Loop: Header=BB255_232 Depth=1
	s_or_b64 exec, exec, s[20:21]
.LBB255_430:                            ;   in Loop: Header=BB255_232 Depth=1
	s_or_b64 exec, exec, s[18:19]
.LBB255_431:                            ;   in Loop: Header=BB255_232 Depth=1
	s_or_b64 exec, exec, s[16:17]
	s_waitcnt vmcnt(0)
	v_fma_mixlo_f16 v7, v41, v44, 0 op_sel:[0,1,0] op_sel_hi:[0,1,0]
	v_fma_mixlo_f16 v8, v41, v42, 0 op_sel:[0,1,0] op_sel_hi:[0,1,0]
	v_or_b32_e32 v1, v44, v45
	v_lshlrev_b32_e32 v44, 16, v7
	v_or_b32_e32 v7, v42, v43
	v_lshlrev_b32_e32 v50, 16, v8
	v_or_b32_e32 v8, v48, v47
	v_or_b32_e32 v43, v49, v46
	v_fma_mixlo_f16 v1, v41, v1, 0 op_sel_hi:[0,1,0]
	v_fma_mixlo_f16 v7, v41, v7, 0 op_sel_hi:[0,1,0]
	v_fma_mixlo_f16 v42, v41, v48, 0 op_sel:[0,1,0] op_sel_hi:[0,1,0]
	v_fma_mixlo_f16 v8, v41, v8, 0 op_sel_hi:[0,1,0]
	v_fma_mixlo_f16 v46, v41, v43, 0 op_sel_hi:[0,1,0]
	v_fma_mixlo_f16 v41, v41, v49, 0 op_sel:[0,1,0] op_sel_hi:[0,1,0]
	v_and_b32_e32 v45, 0xffff, v1
	v_and_b32_e32 v51, 0xffff, v7
	v_lshlrev_b32_e32 v42, 16, v42
	v_and_b32_e32 v47, 0xffff, v8
	v_lshlrev_b32_e32 v43, 16, v41
	v_and_b32_e32 v46, 0xffff, v46
	v_or_b32_e32 v1, v44, v45
	v_or_b32_e32 v7, v50, v51
	;; [unrolled: 1-line block ×4, first 2 shown]
	s_and_saveexec_b64 s[0:1], vcc
	s_cbranch_execz .LBB255_230
; %bb.432:                              ;   in Loop: Header=BB255_232 Depth=1
	v_cmp_gt_i32_e32 vcc, s33, v25
	v_cndmask_b32_e32 v1, 0, v51, vcc
	v_cmp_gt_i32_e32 vcc, s33, v32
	v_cndmask_b32_e32 v7, 0, v50, vcc
	v_cmp_gt_i32_e32 vcc, s33, v31
	v_or_b32_e32 v7, v7, v1
	v_cndmask_b32_e32 v1, 0, v45, vcc
	v_cmp_gt_i32_e32 vcc, s33, v30
	v_cndmask_b32_e32 v8, 0, v44, vcc
	v_cmp_gt_i32_e32 vcc, s33, v29
	v_or_b32_e32 v1, v8, v1
	;; [unrolled: 5-line block ×3, first 2 shown]
	v_cndmask_b32_e32 v25, 0, v46, vcc
	v_cmp_gt_i32_e32 vcc, s33, v26
	v_cndmask_b32_e32 v26, 0, v43, vcc
	v_or_b32_e32 v41, v26, v25
	s_branch .LBB255_230
.LBB255_433:
	s_or_b64 exec, exec, s[6:7]
.LBB255_434:
	s_or_b64 exec, exec, s[2:3]
	ds_bpermute_b32 v1, v15, v21
	ds_bpermute_b32 v2, v15, v22
	;; [unrolled: 1-line block ×4, first 2 shown]
	s_waitcnt lgkmcnt(0)
	v_add_f32_e32 v1, v21, v1
	v_add_f32_e32 v2, v22, v2
	ds_bpermute_b32 v5, v16, v1
	v_add_f32_e32 v7, v20, v3
	v_add_f32_e32 v9, v19, v4
	ds_bpermute_b32 v6, v16, v2
	ds_bpermute_b32 v8, v16, v7
	;; [unrolled: 1-line block ×3, first 2 shown]
	s_waitcnt lgkmcnt(3)
	v_add_f32_e32 v4, v1, v5
	v_and_b32_e32 v5, 0x3c3, v0
	s_waitcnt lgkmcnt(2)
	v_add_f32_e32 v3, v2, v6
	s_waitcnt lgkmcnt(1)
	v_add_f32_e32 v2, v7, v8
	;; [unrolled: 2-line block ×3, first 2 shown]
	v_cmp_eq_u32_e32 vcc, 64, v5
	s_barrier
	s_and_saveexec_b64 s[0:1], vcc
	s_cbranch_execz .LBB255_436
; %bb.435:
	v_add_u32_e32 v6, 0x90, v14
	ds_write2_b32 v6, v4, v3 offset1:16
	ds_write2_b32 v6, v2, v1 offset0:32 offset1:48
.LBB255_436:
	s_or_b64 exec, exec, s[0:1]
	v_cmp_gt_u32_e32 vcc, 64, v0
	v_lshrrev_b32_e32 v0, 2, v0
	s_waitcnt lgkmcnt(0)
	s_barrier
	s_and_saveexec_b64 s[0:1], vcc
	s_cbranch_execz .LBB255_443
; %bb.437:
	v_mov_b32_e32 v6, 0x90
	v_cmp_eq_u32_e32 vcc, 0, v17
	v_lshl_add_u32 v6, v0, 2, v6
	s_and_saveexec_b64 s[2:3], vcc
	s_cbranch_execnz .LBB255_446
; %bb.438:
	s_or_b64 exec, exec, s[2:3]
	s_and_saveexec_b64 s[2:3], vcc
	s_cbranch_execnz .LBB255_447
.LBB255_439:
	s_or_b64 exec, exec, s[2:3]
	s_and_saveexec_b64 s[2:3], vcc
	s_cbranch_execnz .LBB255_448
.LBB255_440:
	s_or_b64 exec, exec, s[2:3]
	s_and_saveexec_b64 s[2:3], vcc
	s_cbranch_execz .LBB255_442
.LBB255_441:
	ds_read_b32 v6, v6 offset:192
	s_waitcnt lgkmcnt(0)
	v_add_f32_e32 v1, v1, v6
.LBB255_442:
	s_or_b64 exec, exec, s[2:3]
.LBB255_443:
	s_or_b64 exec, exec, s[0:1]
	v_cmp_eq_u32_e32 vcc, 0, v5
	s_barrier
	s_and_saveexec_b64 s[0:1], vcc
	s_cbranch_execz .LBB255_445
; %bb.444:
	s_mul_i32 s0, s10, s11
	s_mul_i32 s0, s0, s9
	s_lshl_b32 s0, s0, 6
	s_ashr_i32 s1, s0, 31
	s_lshl_b64 s[0:1], s[0:1], 1
	s_add_u32 s2, s26, s0
	s_mul_i32 s0, s11, s24
	s_addc_u32 s3, s27, s1
	s_ashr_i32 s1, s0, 31
	s_lshl_b64 s[0:1], s[0:1], 1
	s_add_u32 s2, s2, s0
	s_addc_u32 s3, s3, s1
	s_lshl_b32 s0, s8, 6
	s_ashr_i32 s1, s0, 31
	s_lshl_b64 s[0:1], s[0:1], 1
	s_add_u32 s0, s2, s0
	s_addc_u32 s1, s3, s1
	v_lshlrev_b32_e32 v0, 1, v0
	;;#ASMSTART
	v_cvt_f16_f32 v4, v4;

	;;#ASMEND
	global_store_short v0, v4, s[0:1]
	;;#ASMSTART
	v_cvt_f16_f32 v3, v3;

	;;#ASMEND
	global_store_short v0, v3, s[0:1] offset:32
	;;#ASMSTART
	v_cvt_f16_f32 v2, v2;

	;;#ASMEND
	global_store_short v0, v2, s[0:1] offset:64
	;; [unrolled: 5-line block ×3, first 2 shown]
.LBB255_445:
	s_endpgm
.LBB255_446:
	ds_read_b32 v7, v6
	s_waitcnt lgkmcnt(0)
	v_add_f32_e32 v4, v4, v7
	s_or_b64 exec, exec, s[2:3]
	s_and_saveexec_b64 s[2:3], vcc
	s_cbranch_execz .LBB255_439
.LBB255_447:
	ds_read_b32 v7, v6 offset:64
	s_waitcnt lgkmcnt(0)
	v_add_f32_e32 v3, v3, v7
	s_or_b64 exec, exec, s[2:3]
	s_and_saveexec_b64 s[2:3], vcc
	s_cbranch_execz .LBB255_440
.LBB255_448:
	ds_read_b32 v7, v6 offset:128
	s_waitcnt lgkmcnt(0)
	v_add_f32_e32 v2, v2, v7
	s_or_b64 exec, exec, s[2:3]
	s_and_saveexec_b64 s[2:3], vcc
	s_cbranch_execnz .LBB255_441
	s_branch .LBB255_442
	.section	.rodata,"a",@progbits
	.p2align	6, 0x0
	.amdhsa_kernel _ZN4vllm25paged_attention_v1_kernelIthLi64ELi32ELi128ELNS_18Fp8KVCacheDataTypeE1ELb1EEEvPT_PKS2_PKT0_S8_ifPKiSA_iPKfiiiSC_SC_iiiii
		.amdhsa_group_segment_fixed_size 144
		.amdhsa_private_segment_fixed_size 0
		.amdhsa_kernarg_size 384
		.amdhsa_user_sgpr_count 6
		.amdhsa_user_sgpr_private_segment_buffer 1
		.amdhsa_user_sgpr_dispatch_ptr 0
		.amdhsa_user_sgpr_queue_ptr 0
		.amdhsa_user_sgpr_kernarg_segment_ptr 1
		.amdhsa_user_sgpr_dispatch_id 0
		.amdhsa_user_sgpr_flat_scratch_init 0
		.amdhsa_user_sgpr_private_segment_size 0
		.amdhsa_uses_dynamic_stack 0
		.amdhsa_system_sgpr_private_segment_wavefront_offset 0
		.amdhsa_system_sgpr_workgroup_id_x 1
		.amdhsa_system_sgpr_workgroup_id_y 1
		.amdhsa_system_sgpr_workgroup_id_z 1
		.amdhsa_system_sgpr_workgroup_info 0
		.amdhsa_system_vgpr_workitem_id 0
		.amdhsa_next_free_vgpr 64
		.amdhsa_next_free_sgpr 56
		.amdhsa_reserve_vcc 1
		.amdhsa_reserve_flat_scratch 0
		.amdhsa_float_round_mode_32 0
		.amdhsa_float_round_mode_16_64 0
		.amdhsa_float_denorm_mode_32 3
		.amdhsa_float_denorm_mode_16_64 3
		.amdhsa_dx10_clamp 1
		.amdhsa_ieee_mode 1
		.amdhsa_fp16_overflow 0
		.amdhsa_exception_fp_ieee_invalid_op 0
		.amdhsa_exception_fp_denorm_src 0
		.amdhsa_exception_fp_ieee_div_zero 0
		.amdhsa_exception_fp_ieee_overflow 0
		.amdhsa_exception_fp_ieee_underflow 0
		.amdhsa_exception_fp_ieee_inexact 0
		.amdhsa_exception_int_div_zero 0
	.end_amdhsa_kernel
	.section	.text._ZN4vllm25paged_attention_v1_kernelIthLi64ELi32ELi128ELNS_18Fp8KVCacheDataTypeE1ELb1EEEvPT_PKS2_PKT0_S8_ifPKiSA_iPKfiiiSC_SC_iiiii,"axG",@progbits,_ZN4vllm25paged_attention_v1_kernelIthLi64ELi32ELi128ELNS_18Fp8KVCacheDataTypeE1ELb1EEEvPT_PKS2_PKT0_S8_ifPKiSA_iPKfiiiSC_SC_iiiii,comdat
.Lfunc_end255:
	.size	_ZN4vllm25paged_attention_v1_kernelIthLi64ELi32ELi128ELNS_18Fp8KVCacheDataTypeE1ELb1EEEvPT_PKS2_PKT0_S8_ifPKiSA_iPKfiiiSC_SC_iiiii, .Lfunc_end255-_ZN4vllm25paged_attention_v1_kernelIthLi64ELi32ELi128ELNS_18Fp8KVCacheDataTypeE1ELb1EEEvPT_PKS2_PKT0_S8_ifPKiSA_iPKfiiiSC_SC_iiiii
                                        ; -- End function
	.set _ZN4vllm25paged_attention_v1_kernelIthLi64ELi32ELi128ELNS_18Fp8KVCacheDataTypeE1ELb1EEEvPT_PKS2_PKT0_S8_ifPKiSA_iPKfiiiSC_SC_iiiii.num_vgpr, 64
	.set _ZN4vllm25paged_attention_v1_kernelIthLi64ELi32ELi128ELNS_18Fp8KVCacheDataTypeE1ELb1EEEvPT_PKS2_PKT0_S8_ifPKiSA_iPKfiiiSC_SC_iiiii.num_agpr, 0
	.set _ZN4vllm25paged_attention_v1_kernelIthLi64ELi32ELi128ELNS_18Fp8KVCacheDataTypeE1ELb1EEEvPT_PKS2_PKT0_S8_ifPKiSA_iPKfiiiSC_SC_iiiii.numbered_sgpr, 56
	.set _ZN4vllm25paged_attention_v1_kernelIthLi64ELi32ELi128ELNS_18Fp8KVCacheDataTypeE1ELb1EEEvPT_PKS2_PKT0_S8_ifPKiSA_iPKfiiiSC_SC_iiiii.num_named_barrier, 0
	.set _ZN4vllm25paged_attention_v1_kernelIthLi64ELi32ELi128ELNS_18Fp8KVCacheDataTypeE1ELb1EEEvPT_PKS2_PKT0_S8_ifPKiSA_iPKfiiiSC_SC_iiiii.private_seg_size, 0
	.set _ZN4vllm25paged_attention_v1_kernelIthLi64ELi32ELi128ELNS_18Fp8KVCacheDataTypeE1ELb1EEEvPT_PKS2_PKT0_S8_ifPKiSA_iPKfiiiSC_SC_iiiii.uses_vcc, 1
	.set _ZN4vllm25paged_attention_v1_kernelIthLi64ELi32ELi128ELNS_18Fp8KVCacheDataTypeE1ELb1EEEvPT_PKS2_PKT0_S8_ifPKiSA_iPKfiiiSC_SC_iiiii.uses_flat_scratch, 0
	.set _ZN4vllm25paged_attention_v1_kernelIthLi64ELi32ELi128ELNS_18Fp8KVCacheDataTypeE1ELb1EEEvPT_PKS2_PKT0_S8_ifPKiSA_iPKfiiiSC_SC_iiiii.has_dyn_sized_stack, 0
	.set _ZN4vllm25paged_attention_v1_kernelIthLi64ELi32ELi128ELNS_18Fp8KVCacheDataTypeE1ELb1EEEvPT_PKS2_PKT0_S8_ifPKiSA_iPKfiiiSC_SC_iiiii.has_recursion, 0
	.set _ZN4vllm25paged_attention_v1_kernelIthLi64ELi32ELi128ELNS_18Fp8KVCacheDataTypeE1ELb1EEEvPT_PKS2_PKT0_S8_ifPKiSA_iPKfiiiSC_SC_iiiii.has_indirect_call, 0
	.section	.AMDGPU.csdata,"",@progbits
; Kernel info:
; codeLenInByte = 18308
; TotalNumSgprs: 60
; NumVgprs: 64
; ScratchSize: 0
; MemoryBound: 0
; FloatMode: 240
; IeeeMode: 1
; LDSByteSize: 144 bytes/workgroup (compile time only)
; SGPRBlocks: 7
; VGPRBlocks: 15
; NumSGPRsForWavesPerEU: 60
; NumVGPRsForWavesPerEU: 64
; Occupancy: 4
; WaveLimiterHint : 1
; COMPUTE_PGM_RSRC2:SCRATCH_EN: 0
; COMPUTE_PGM_RSRC2:USER_SGPR: 6
; COMPUTE_PGM_RSRC2:TRAP_HANDLER: 0
; COMPUTE_PGM_RSRC2:TGID_X_EN: 1
; COMPUTE_PGM_RSRC2:TGID_Y_EN: 1
; COMPUTE_PGM_RSRC2:TGID_Z_EN: 1
; COMPUTE_PGM_RSRC2:TIDIG_COMP_CNT: 0
	.section	.text._ZN4vllm25paged_attention_v1_kernelIthLi80ELi32ELi128ELNS_18Fp8KVCacheDataTypeE1ELb1EEEvPT_PKS2_PKT0_S8_ifPKiSA_iPKfiiiSC_SC_iiiii,"axG",@progbits,_ZN4vllm25paged_attention_v1_kernelIthLi80ELi32ELi128ELNS_18Fp8KVCacheDataTypeE1ELb1EEEvPT_PKS2_PKT0_S8_ifPKiSA_iPKfiiiSC_SC_iiiii,comdat
	.protected	_ZN4vllm25paged_attention_v1_kernelIthLi80ELi32ELi128ELNS_18Fp8KVCacheDataTypeE1ELb1EEEvPT_PKS2_PKT0_S8_ifPKiSA_iPKfiiiSC_SC_iiiii ; -- Begin function _ZN4vllm25paged_attention_v1_kernelIthLi80ELi32ELi128ELNS_18Fp8KVCacheDataTypeE1ELb1EEEvPT_PKS2_PKT0_S8_ifPKiSA_iPKfiiiSC_SC_iiiii
	.globl	_ZN4vllm25paged_attention_v1_kernelIthLi80ELi32ELi128ELNS_18Fp8KVCacheDataTypeE1ELb1EEEvPT_PKS2_PKT0_S8_ifPKiSA_iPKfiiiSC_SC_iiiii
	.p2align	8
	.type	_ZN4vllm25paged_attention_v1_kernelIthLi80ELi32ELi128ELNS_18Fp8KVCacheDataTypeE1ELb1EEEvPT_PKS2_PKT0_S8_ifPKiSA_iPKfiiiSC_SC_iiiii,@function
_ZN4vllm25paged_attention_v1_kernelIthLi80ELi32ELi128ELNS_18Fp8KVCacheDataTypeE1ELb1EEEvPT_PKS2_PKT0_S8_ifPKiSA_iPKfiiiSC_SC_iiiii: ; @_ZN4vllm25paged_attention_v1_kernelIthLi80ELi32ELi128ELNS_18Fp8KVCacheDataTypeE1ELb1EEEvPT_PKS2_PKT0_S8_ifPKiSA_iPKfiiiSC_SC_iiiii
; %bb.0:
	s_mov_b64 s[58:59], s[2:3]
	s_mov_b64 s[56:57], s[0:1]
	s_add_u32 s56, s56, s9
	s_load_dword s9, s[4:5], 0x80
	s_load_dwordx2 s[0:1], s[4:5], 0x30
	s_load_dwordx2 s[36:37], s[4:5], 0x20
	s_addc_u32 s57, s57, 0
	s_mov_b32 s10, s7
	s_ashr_i32 s11, s7, 31
	s_lshl_b64 s[2:3], s[10:11], 2
	s_waitcnt lgkmcnt(0)
	s_add_u32 s0, s0, s2
	s_addc_u32 s1, s1, s3
	s_abs_i32 s2, s36
	v_cvt_f32_u32_e32 v1, s2
	s_sub_i32 s11, 0, s2
	s_abs_i32 s7, s9
	s_xor_b32 s3, s9, s36
	v_rcp_iflag_f32_e32 v1, v1
	s_ashr_i32 s3, s3, 31
	s_mov_b32 s48, 0
	v_mul_f32_e32 v1, 0x4f7ffffe, v1
	v_cvt_u32_f32_e32 v1, v1
	v_readfirstlane_b32 s12, v1
	s_mul_i32 s11, s11, s12
	s_mul_hi_u32 s11, s12, s11
	s_add_i32 s12, s12, s11
	s_mul_hi_u32 s11, s7, s12
	s_mul_i32 s12, s11, s2
	s_sub_i32 s7, s7, s12
	s_add_i32 s12, s11, 1
	s_sub_i32 s13, s7, s2
	s_cmp_ge_u32 s7, s2
	s_cselect_b32 s11, s12, s11
	s_cselect_b32 s7, s13, s7
	s_add_i32 s12, s11, 1
	s_cmp_ge_u32 s7, s2
	s_cselect_b32 s2, s12, s11
	s_xor_b32 s2, s2, s3
	s_sub_i32 s14, s2, s3
	s_abs_i32 s11, s14
	v_cvt_f32_u32_e32 v1, s11
	s_load_dwordx2 s[2:3], s[4:5], 0x40
	s_sub_i32 s7, 0, s11
	s_abs_i32 s12, s6
	v_rcp_iflag_f32_e32 v1, v1
	v_mul_f32_e32 v1, 0x4f7ffffe, v1
	v_cvt_u32_f32_e32 v1, v1
	v_readfirstlane_b32 s13, v1
	s_mul_i32 s7, s7, s13
	s_mul_hi_u32 s7, s13, s7
	s_add_i32 s13, s13, s7
	s_waitcnt lgkmcnt(0)
	s_cmp_eq_u64 s[2:3], 0
	s_mul_hi_u32 s13, s12, s13
	s_cbranch_scc1 .LBB256_2
; %bb.1:
	s_ashr_i32 s7, s6, 31
	s_lshl_b64 s[16:17], s[6:7], 2
	s_add_u32 s2, s2, s16
	s_addc_u32 s3, s3, s17
	s_load_dword s48, s[2:3], 0x0
.LBB256_2:
	s_load_dword s33, s[0:1], 0x0
	s_load_dwordx4 s[16:19], s[4:5], 0x48
	s_ashr_i32 s2, s6, 31
	s_ashr_i32 s7, s14, 31
	v_and_b32_e32 v1, 1, v0
	s_movk_i32 s3, 0x50
	s_mul_i32 s24, s6, 0x50
	v_cmp_gt_u32_e32 vcc, 20, v0
	v_lshlrev_b32_e32 v24, 3, v0
	s_and_saveexec_b64 s[0:1], vcc
	s_cbranch_execz .LBB256_4
; %bb.3:
	s_load_dwordx2 s[14:15], s[4:5], 0x8
	s_waitcnt lgkmcnt(0)
	s_mul_i32 s20, s16, s10
	s_ashr_i32 s21, s20, 31
	s_lshl_b64 s[20:21], s[20:21], 1
	v_lshlrev_b32_e32 v4, 2, v0
	s_add_u32 s16, s14, s20
	s_addc_u32 s19, s15, s21
	s_ashr_i32 s25, s24, 31
	s_lshl_b64 s[14:15], s[24:25], 1
	s_add_u32 s14, s16, s14
	s_addc_u32 s15, s19, s15
	global_load_dwordx2 v[2:3], v24, s[14:15]
	v_and_b32_e32 v4, 0xff8, v4
	v_mad_u32_u24 v4, v1, s3, v4
	s_waitcnt vmcnt(0)
	ds_write_b64 v4, v[2:3]
.LBB256_4:
	s_or_b64 exec, exec, s[0:1]
	s_mul_i32 s1, s13, s11
	s_sub_i32 s1, s12, s1
	s_xor_b32 s0, s2, s7
	s_add_i32 s2, s13, 1
	s_sub_i32 s7, s1, s11
	s_load_dwordx4 s[20:23], s[4:5], 0x68
	s_load_dword s3, s[4:5], 0x78
	s_cmp_ge_u32 s1, s11
	s_cselect_b32 s2, s2, s13
	s_cselect_b32 s1, s7, s1
	s_add_i32 s7, s2, 1
	s_cmp_ge_u32 s1, s11
	s_cselect_b32 s1, s7, s2
	s_waitcnt lgkmcnt(0)
	s_abs_i32 s25, s23
	v_cvt_f32_u32_e32 v2, s25
	s_xor_b32 s1, s1, s0
	s_sub_i32 s2, s1, s0
	s_sub_i32 s0, 0, s25
	v_rcp_iflag_f32_e32 v2, v2
	s_add_i32 s11, s33, -1
	s_abs_i32 s7, s11
	v_mul_f32_e32 v2, 0x4f7ffffe, v2
	v_cvt_u32_f32_e32 v2, v2
	s_barrier
	v_readfirstlane_b32 s46, v2
	s_mul_i32 s0, s0, s46
	s_mul_hi_u32 s0, s46, s0
	s_add_i32 s46, s46, s0
	s_cmp_lt_i32 s3, 0
	s_mul_hi_u32 s16, s7, s46
	s_cbranch_scc0 .LBB256_6
; %bb.5:
	s_mul_i32 s0, s20, s36
	s_add_i32 s0, s2, s0
	s_mul_i32 s0, s0, s3
	s_sub_i32 s36, 1, s0
	s_mov_b64 s[0:1], 0
	s_branch .LBB256_7
.LBB256_6:
	s_mov_b64 s[0:1], -1
                                        ; implicit-def: $sgpr36
.LBB256_7:
	s_load_dwordx2 s[28:29], s[4:5], 0x28
	s_ashr_i32 s19, s11, 31
	s_andn2_b64 vcc, exec, s[0:1]
	s_ashr_i32 s23, s23, 31
	s_cbranch_vccnz .LBB256_9
; %bb.8:
	s_mul_i32 s0, s9, s20
	s_add_i32 s0, s0, s6
	s_mul_i32 s0, s0, s3
	s_add_i32 s36, s0, 1
.LBB256_9:
	s_load_dword s0, s[4:5], 0x38
	s_load_dwordx2 s[26:27], s[4:5], 0x0
	s_load_dwordx2 s[34:35], s[4:5], 0x18
	s_load_dword s11, s[4:5], 0x88
	s_load_dwordx4 s[12:15], s[4:5], 0x58
	s_mul_i32 s1, s16, s25
	s_waitcnt lgkmcnt(0)
	s_mul_i32 s30, s0, s10
	s_sub_i32 s1, s7, s1
	s_ashr_i32 s31, s30, 31
	s_xor_b32 s0, s19, s23
	s_add_i32 s3, s16, 1
	s_sub_i32 s6, s1, s25
	s_cmp_ge_u32 s1, s25
	s_cselect_b32 s3, s3, s16
	s_cselect_b32 s1, s6, s1
	s_add_i32 s6, s3, 1
	s_cmp_ge_u32 s1, s25
	s_cselect_b32 s1, s6, s3
	s_xor_b32 s1, s1, s0
	s_sub_i32 s16, s1, s0
	s_add_i32 s0, s33, 31
	s_ashr_i32 s1, s0, 31
	s_lshr_b32 s1, s1, 27
	s_add_i32 s0, s0, s1
	s_ashr_i32 s47, s0, 5
	v_lshrrev_b32_e32 v11, 6, v0
	v_cmp_gt_i32_e64 s[0:1], s47, v11
	v_mov_b32_e32 v18, 0xff7fffff
	s_mul_i32 s20, s2, s18
	v_lshlrev_b32_e32 v12, 5, v11
	v_mbcnt_lo_u32_b32 v7, -1, 0
	s_and_saveexec_b64 s[18:19], s[0:1]
	s_cbranch_execz .LBB256_261
; %bb.10:
	s_load_dwordx2 s[2:3], s[4:5], 0x10
	s_sub_i32 s49, s16, s21
	s_ashr_i32 s4, s20, 31
	v_cmp_eq_u32_e32 vcc, 0, v1
	v_lshlrev_b32_e32 v4, 2, v1
	s_waitcnt lgkmcnt(0)
	s_add_u32 s5, s2, s20
	s_addc_u32 s4, s3, s4
	s_abs_i32 s50, s22
	v_cvt_f32_u32_e32 v2, s50
	s_sub_i32 s2, 0, s50
	v_mul_u32_u24_e32 v16, 0x50, v1
	v_bfe_u32 v8, v0, 1, 5
	v_rcp_iflag_f32_e32 v3, v2
	v_lshlrev_b32_e32 v5, 4, v8
	v_mov_b32_e32 v6, s4
	v_add_co_u32_e64 v5, s[4:5], s5, v5
	v_mul_f32_e32 v3, 0x4f7ffffe, v3
	v_cvt_u32_f32_e32 v3, v3
	v_addc_co_u32_e64 v6, s[4:5], 0, v6, s[4:5]
	s_mov_b32 s51, s17
	v_mul_lo_u32 v1, s2, v3
	v_mov_b32_e32 v2, 0
	v_cmp_neq_f32_e64 s[2:3], s48, 0
	v_lshlrev_b32_e32 v19, 5, v11
	v_mul_hi_u32 v1, v3, v1
	s_mov_b64 s[38:39], 0
	s_movk_i32 s52, 0x80
	s_movk_i32 s53, 0x7f
	v_add_u32_e32 v17, v3, v1
	v_add_co_u32_e64 v3, s[4:5], v5, v4
	v_addc_co_u32_e64 v4, s[4:5], 0, v6, s[4:5]
	s_lshl_b64 s[4:5], s[30:31], 2
	v_lshrrev_b32_e32 v1, 4, v0
	s_add_u32 s4, s28, s4
	v_and_b32_e32 v1, 60, v1
	s_addc_u32 s5, s29, s5
	v_mov_b32_e32 v6, s5
	v_add_co_u32_e64 v5, s[4:5], s4, v1
	v_subrev_u32_e32 v1, s33, v8
	v_add_u32_e32 v1, 1, v1
	buffer_store_dword v3, off, s[56:59], 0 ; 4-byte Folded Spill
	s_nop 0
	buffer_store_dword v4, off, s[56:59], 0 offset:4 ; 4-byte Folded Spill
	buffer_store_dword v1, off, s[56:59], 0 offset:8 ; 4-byte Folded Spill
	v_lshlrev_b32_e32 v1, 2, v8
	v_lshl_or_b32 v1, v11, 7, v1
	v_addc_co_u32_e64 v6, s[4:5], 0, v6, s[4:5]
	v_add_u32_e32 v21, 0xb0, v1
	s_mov_b32 s54, 0x8000
	s_mov_b32 s55, 0xffffff
	v_mov_b32_e32 v22, 0x2000
	v_mbcnt_hi_u32_b32 v23, -1, v7
	v_mov_b32_e32 v18, 0xff7fffff
	v_mov_b32_e32 v24, v11
	s_branch .LBB256_13
.LBB256_11:                             ;   in Loop: Header=BB256_13 Depth=1
	s_or_b64 exec, exec, s[40:41]
.LBB256_12:                             ;   in Loop: Header=BB256_13 Depth=1
	s_or_b64 exec, exec, s[6:7]
	v_add_co_u32_e64 v5, s[4:5], 8, v5
	v_add_u32_e32 v24, 2, v24
	v_addc_co_u32_e64 v6, s[4:5], 0, v6, s[4:5]
	v_cmp_le_i32_e64 s[4:5], s47, v24
	v_add_u32_e32 v19, 64, v19
	s_or_b64 s[38:39], s[4:5], s[38:39]
	v_add_u32_e32 v21, 0x100, v21
	s_andn2_b64 exec, exec, s[38:39]
	s_cbranch_execz .LBB256_260
.LBB256_13:                             ; =>This Inner Loop Header: Depth=1
	v_mul_hi_u32 v1, v19, s46
	s_waitcnt lgkmcnt(0)
	v_mul_lo_u32 v7, v1, s25
	v_add_u32_e32 v8, 1, v1
	v_sub_u32_e32 v7, v19, v7
	v_cmp_le_u32_e64 s[4:5], s25, v7
	v_cndmask_b32_e64 v1, v1, v8, s[4:5]
	v_subrev_u32_e32 v8, s25, v7
	v_cndmask_b32_e64 v7, v7, v8, s[4:5]
	v_add_u32_e32 v8, 1, v1
	v_cmp_le_u32_e64 s[4:5], s25, v7
	v_cndmask_b32_e64 v1, v1, v8, s[4:5]
	v_xor_b32_e32 v1, s23, v1
	v_subrev_u32_e32 v1, s23, v1
	v_add_u32_e32 v7, s36, v1
	v_sub_u32_e32 v8, 0, v7
	v_max_i32_e32 v8, v7, v8
	v_mul_hi_u32 v9, v8, v17
	v_ashrrev_i32_e32 v7, 31, v7
	v_cmp_ge_i32_e64 s[6:7], s49, v1
	v_mul_lo_u32 v9, v9, s50
	v_sub_u32_e32 v8, v8, v9
	v_subrev_u32_e32 v9, s50, v8
	v_cmp_le_u32_e64 s[4:5], s50, v8
	v_cndmask_b32_e64 v8, v8, v9, s[4:5]
	v_subrev_u32_e32 v9, s50, v8
	v_cmp_le_u32_e64 s[4:5], s50, v8
	v_cndmask_b32_e64 v8, v8, v9, s[4:5]
	v_xor_b32_e32 v8, v8, v7
	v_sub_u32_e32 v7, v8, v7
	v_cmp_ne_u32_e64 s[4:5], 0, v7
	s_and_b64 s[4:5], s[4:5], s[6:7]
	s_and_saveexec_b64 s[6:7], s[4:5]
	s_xor_b64 s[4:5], exec, s[6:7]
	s_cbranch_execz .LBB256_17
; %bb.14:                               ;   in Loop: Header=BB256_13 Depth=1
	s_and_saveexec_b64 s[6:7], vcc
; %bb.15:                               ;   in Loop: Header=BB256_13 Depth=1
	v_mov_b32_e32 v1, 0xff7fffff
	ds_write_b32 v21, v1
; %bb.16:                               ;   in Loop: Header=BB256_13 Depth=1
	s_or_b64 exec, exec, s[6:7]
.LBB256_17:                             ;   in Loop: Header=BB256_13 Depth=1
	s_andn2_saveexec_b64 s[6:7], s[4:5]
	s_cbranch_execz .LBB256_12
; %bb.18:                               ;   in Loop: Header=BB256_13 Depth=1
	global_load_dword v1, v[5:6], off
	buffer_load_dword v3, off, s[56:59], 0  ; 4-byte Folded Reload
	buffer_load_dword v4, off, s[56:59], 0 offset:4 ; 4-byte Folded Reload
	v_mov_b32_e32 v26, 0
	global_load_dword v25, v26, s[12:13]
	v_mov_b32_e32 v27, 0
	s_waitcnt vmcnt(1)
	v_mad_i64_i32 v[7:8], s[4:5], v1, s51, v[3:4]
	global_load_dword v9, v[7:8], off
	s_waitcnt vmcnt(0)
	v_cmp_ne_u16_sdwa s[4:5], v9, v2 src0_sel:BYTE_0 src1_sel:DWORD
	s_and_saveexec_b64 s[40:41], s[4:5]
	s_cbranch_execz .LBB256_24
; %bb.19:                               ;   in Loop: Header=BB256_13 Depth=1
	v_cmp_ne_u16_sdwa s[4:5], v9, s52 src0_sel:BYTE_0 src1_sel:DWORD
	v_mov_b32_e32 v27, 0x8000
	s_and_saveexec_b64 s[42:43], s[4:5]
	s_cbranch_execz .LBB256_23
; %bb.20:                               ;   in Loop: Header=BB256_13 Depth=1
	v_and_b32_e32 v1, 0x7f, v9
	v_cmp_ne_u32_e64 s[4:5], s53, v1
	v_mov_b32_e32 v27, 0x7c01
	s_and_saveexec_b64 s[44:45], s[4:5]
	s_cbranch_execz .LBB256_22
; %bb.21:                               ;   in Loop: Header=BB256_13 Depth=1
	v_and_b32_e32 v10, 7, v9
	v_ffbh_u32_e32 v27, v10
	v_min_u32_e32 v29, 32, v27
	v_subrev_u32_e32 v27, 28, v29
	v_lshlrev_b64 v[27:28], v27, v[9:10]
	v_lshrrev_b32_e32 v13, 3, v1
	v_sub_u32_e32 v28, 29, v29
	v_cmp_gt_u32_e64 s[4:5], 8, v1
	v_cndmask_b32_e64 v1, v13, v28, s[4:5]
	v_lshl_add_u32 v1, v1, 10, v22
	v_lshlrev_b32_e32 v13, 8, v9
	v_and_b32_e32 v27, 7, v27
	v_and_b32_e32 v1, 0xfc00, v1
	v_cndmask_b32_e64 v10, v10, v27, s[4:5]
	v_and_or_b32 v1, v13, s54, v1
	v_lshl_or_b32 v27, v10, 7, v1
.LBB256_22:                             ;   in Loop: Header=BB256_13 Depth=1
	s_or_b64 exec, exec, s[44:45]
.LBB256_23:                             ;   in Loop: Header=BB256_13 Depth=1
	s_or_b64 exec, exec, s[42:43]
.LBB256_24:                             ;   in Loop: Header=BB256_13 Depth=1
	s_or_b64 exec, exec, s[40:41]
	v_lshrrev_b16_e32 v1, 8, v9
	v_cmp_ne_u16_e64 s[4:5], 0, v1
	s_and_saveexec_b64 s[40:41], s[4:5]
	s_cbranch_execz .LBB256_30
; %bb.25:                               ;   in Loop: Header=BB256_13 Depth=1
	v_cmp_ne_u16_e64 s[4:5], s52, v1
	v_bfrev_b32_e32 v26, 1
	s_and_saveexec_b64 s[42:43], s[4:5]
	s_cbranch_execz .LBB256_29
; %bb.26:                               ;   in Loop: Header=BB256_13 Depth=1
	v_and_b32_e32 v10, 0x7f, v1
	v_cmp_ne_u32_e64 s[4:5], s53, v10
	v_mov_b32_e32 v26, 0x7c010000
	s_and_saveexec_b64 s[44:45], s[4:5]
	s_cbranch_execz .LBB256_28
; %bb.27:                               ;   in Loop: Header=BB256_13 Depth=1
	v_and_b32_e32 v13, 7, v1
	v_ffbh_u32_e32 v28, v13
	v_min_u32_e32 v30, 32, v28
	v_subrev_u32_e32 v28, 28, v30
	v_lshlrev_b64 v[28:29], v28, v[1:2]
	v_lshrrev_b32_e32 v26, 3, v10
	v_sub_u32_e32 v29, 29, v30
	v_cmp_gt_u32_e64 s[4:5], 8, v10
	v_cndmask_b32_e64 v10, v26, v29, s[4:5]
	v_lshlrev_b32_e32 v1, 8, v1
	v_lshl_add_u32 v10, v10, 10, v22
	v_and_b32_e32 v26, 7, v28
	v_and_or_b32 v1, v1, s54, v10
	v_cndmask_b32_e64 v13, v13, v26, s[4:5]
	v_lshlrev_b32_e32 v1, 16, v1
	v_lshl_or_b32 v26, v13, 23, v1
.LBB256_28:                             ;   in Loop: Header=BB256_13 Depth=1
	s_or_b64 exec, exec, s[44:45]
.LBB256_29:                             ;   in Loop: Header=BB256_13 Depth=1
	s_or_b64 exec, exec, s[42:43]
.LBB256_30:                             ;   in Loop: Header=BB256_13 Depth=1
	s_or_b64 exec, exec, s[40:41]
	v_lshrrev_b32_e32 v1, 16, v9
	v_cmp_ne_u16_sdwa s[4:5], v1, v2 src0_sel:BYTE_0 src1_sel:DWORD
	v_mov_b32_e32 v28, 0
	v_mov_b32_e32 v29, 0
	s_and_saveexec_b64 s[40:41], s[4:5]
	s_cbranch_execz .LBB256_36
; %bb.31:                               ;   in Loop: Header=BB256_13 Depth=1
	v_cmp_ne_u16_sdwa s[4:5], v1, s52 src0_sel:BYTE_0 src1_sel:DWORD
	v_mov_b32_e32 v29, 0x8000
	s_and_saveexec_b64 s[42:43], s[4:5]
	s_cbranch_execz .LBB256_35
; %bb.32:                               ;   in Loop: Header=BB256_13 Depth=1
	v_bfe_u32 v10, v9, 16, 7
	v_cmp_ne_u32_e64 s[4:5], s53, v10
	v_mov_b32_e32 v29, 0x7c01
	s_and_saveexec_b64 s[44:45], s[4:5]
	s_cbranch_execz .LBB256_34
; %bb.33:                               ;   in Loop: Header=BB256_13 Depth=1
	v_and_b32_e32 v13, 7, v1
	v_ffbh_u32_e32 v29, v13
	v_min_u32_e32 v32, 32, v29
	v_subrev_u32_e32 v29, 28, v32
	v_lshlrev_b64 v[29:30], v29, v[1:2]
	v_lshrrev_b32_e32 v31, 3, v10
	v_sub_u32_e32 v30, 29, v32
	v_cmp_gt_u32_e64 s[4:5], 8, v10
	v_cndmask_b32_e64 v10, v31, v30, s[4:5]
	v_lshl_add_u32 v10, v10, 10, v22
	v_lshlrev_b32_e32 v1, 8, v1
	v_and_b32_e32 v29, 7, v29
	v_and_b32_e32 v10, 0xfc00, v10
	v_cndmask_b32_e64 v13, v13, v29, s[4:5]
	v_and_or_b32 v1, v1, s54, v10
	v_lshl_or_b32 v29, v13, 7, v1
.LBB256_34:                             ;   in Loop: Header=BB256_13 Depth=1
	s_or_b64 exec, exec, s[44:45]
.LBB256_35:                             ;   in Loop: Header=BB256_13 Depth=1
	s_or_b64 exec, exec, s[42:43]
.LBB256_36:                             ;   in Loop: Header=BB256_13 Depth=1
	s_or_b64 exec, exec, s[40:41]
	v_cmp_lt_u32_e64 s[4:5], s55, v9
	s_and_saveexec_b64 s[40:41], s[4:5]
	s_cbranch_execz .LBB256_42
; %bb.37:                               ;   in Loop: Header=BB256_13 Depth=1
	v_lshrrev_b32_e32 v1, 24, v9
	v_cmp_ne_u32_e64 s[4:5], s52, v1
	v_bfrev_b32_e32 v28, 1
	s_and_saveexec_b64 s[42:43], s[4:5]
	s_cbranch_execz .LBB256_41
; %bb.38:                               ;   in Loop: Header=BB256_13 Depth=1
	v_and_b32_e32 v9, 0x7f, v1
	v_cmp_ne_u32_e64 s[4:5], s53, v9
	v_mov_b32_e32 v28, 0x7c010000
	s_and_saveexec_b64 s[44:45], s[4:5]
	s_cbranch_execz .LBB256_40
; %bb.39:                               ;   in Loop: Header=BB256_13 Depth=1
	v_and_b32_e32 v10, 7, v1
	v_ffbh_u32_e32 v28, v10
	v_min_u32_e32 v28, 32, v28
	v_lshrrev_b32_e32 v13, 3, v9
	v_subrev_u32_e32 v30, 28, v28
	v_sub_u32_e32 v28, 29, v28
	v_cmp_gt_u32_e64 s[4:5], 8, v9
	v_lshlrev_b64 v[30:31], v30, v[1:2]
	v_cndmask_b32_e64 v9, v13, v28, s[4:5]
	v_lshlrev_b32_e32 v1, 8, v1
	v_lshl_add_u32 v9, v9, 10, v22
	v_and_b32_e32 v13, 7, v30
	v_and_or_b32 v1, v1, s54, v9
	v_cndmask_b32_e64 v10, v10, v13, s[4:5]
	v_lshlrev_b32_e32 v1, 16, v1
	v_lshl_or_b32 v28, v10, 23, v1
.LBB256_40:                             ;   in Loop: Header=BB256_13 Depth=1
	s_or_b64 exec, exec, s[44:45]
.LBB256_41:                             ;   in Loop: Header=BB256_13 Depth=1
	s_or_b64 exec, exec, s[42:43]
.LBB256_42:                             ;   in Loop: Header=BB256_13 Depth=1
	s_or_b64 exec, exec, s[40:41]
	global_load_dword v9, v[7:8], off offset:8
	v_mov_b32_e32 v30, 0
	v_mov_b32_e32 v31, 0
	s_waitcnt vmcnt(0)
	v_cmp_ne_u16_sdwa s[4:5], v9, v2 src0_sel:BYTE_0 src1_sel:DWORD
	s_and_saveexec_b64 s[40:41], s[4:5]
	s_cbranch_execz .LBB256_48
; %bb.43:                               ;   in Loop: Header=BB256_13 Depth=1
	v_cmp_ne_u16_sdwa s[4:5], v9, s52 src0_sel:BYTE_0 src1_sel:DWORD
	v_mov_b32_e32 v31, 0x8000
	s_and_saveexec_b64 s[42:43], s[4:5]
	s_cbranch_execz .LBB256_47
; %bb.44:                               ;   in Loop: Header=BB256_13 Depth=1
	v_and_b32_e32 v1, 0x7f, v9
	v_cmp_ne_u32_e64 s[4:5], s53, v1
	v_mov_b32_e32 v31, 0x7c01
	s_and_saveexec_b64 s[44:45], s[4:5]
	s_cbranch_execz .LBB256_46
; %bb.45:                               ;   in Loop: Header=BB256_13 Depth=1
	v_and_b32_e32 v10, 7, v9
	v_ffbh_u32_e32 v31, v10
	v_min_u32_e32 v33, 32, v31
	v_subrev_u32_e32 v31, 28, v33
	v_lshlrev_b64 v[31:32], v31, v[9:10]
	v_lshrrev_b32_e32 v13, 3, v1
	v_sub_u32_e32 v32, 29, v33
	v_cmp_gt_u32_e64 s[4:5], 8, v1
	v_cndmask_b32_e64 v1, v13, v32, s[4:5]
	v_lshl_add_u32 v1, v1, 10, v22
	v_lshlrev_b32_e32 v13, 8, v9
	v_and_b32_e32 v31, 7, v31
	v_and_b32_e32 v1, 0xfc00, v1
	v_cndmask_b32_e64 v10, v10, v31, s[4:5]
	v_and_or_b32 v1, v13, s54, v1
	v_lshl_or_b32 v31, v10, 7, v1
.LBB256_46:                             ;   in Loop: Header=BB256_13 Depth=1
	s_or_b64 exec, exec, s[44:45]
.LBB256_47:                             ;   in Loop: Header=BB256_13 Depth=1
	s_or_b64 exec, exec, s[42:43]
.LBB256_48:                             ;   in Loop: Header=BB256_13 Depth=1
	s_or_b64 exec, exec, s[40:41]
	v_lshrrev_b16_e32 v1, 8, v9
	v_cmp_ne_u16_e64 s[4:5], 0, v1
	s_and_saveexec_b64 s[40:41], s[4:5]
	s_cbranch_execz .LBB256_54
; %bb.49:                               ;   in Loop: Header=BB256_13 Depth=1
	v_cmp_ne_u16_e64 s[4:5], s52, v1
	v_bfrev_b32_e32 v30, 1
	s_and_saveexec_b64 s[42:43], s[4:5]
	s_cbranch_execz .LBB256_53
; %bb.50:                               ;   in Loop: Header=BB256_13 Depth=1
	v_and_b32_e32 v10, 0x7f, v1
	v_cmp_ne_u32_e64 s[4:5], s53, v10
	v_mov_b32_e32 v30, 0x7c010000
	s_and_saveexec_b64 s[44:45], s[4:5]
	s_cbranch_execz .LBB256_52
; %bb.51:                               ;   in Loop: Header=BB256_13 Depth=1
	v_and_b32_e32 v13, 7, v1
	v_ffbh_u32_e32 v32, v13
	v_min_u32_e32 v34, 32, v32
	v_subrev_u32_e32 v32, 28, v34
	v_lshlrev_b64 v[32:33], v32, v[1:2]
	v_lshrrev_b32_e32 v30, 3, v10
	v_sub_u32_e32 v33, 29, v34
	v_cmp_gt_u32_e64 s[4:5], 8, v10
	v_cndmask_b32_e64 v10, v30, v33, s[4:5]
	v_lshlrev_b32_e32 v1, 8, v1
	v_lshl_add_u32 v10, v10, 10, v22
	v_and_b32_e32 v30, 7, v32
	v_and_or_b32 v1, v1, s54, v10
	v_cndmask_b32_e64 v13, v13, v30, s[4:5]
	v_lshlrev_b32_e32 v1, 16, v1
	v_lshl_or_b32 v30, v13, 23, v1
.LBB256_52:                             ;   in Loop: Header=BB256_13 Depth=1
	s_or_b64 exec, exec, s[44:45]
.LBB256_53:                             ;   in Loop: Header=BB256_13 Depth=1
	s_or_b64 exec, exec, s[42:43]
.LBB256_54:                             ;   in Loop: Header=BB256_13 Depth=1
	s_or_b64 exec, exec, s[40:41]
	v_lshrrev_b32_e32 v1, 16, v9
	v_cmp_ne_u16_sdwa s[4:5], v1, v2 src0_sel:BYTE_0 src1_sel:DWORD
	v_mov_b32_e32 v32, 0
	v_mov_b32_e32 v33, 0
	s_and_saveexec_b64 s[40:41], s[4:5]
	s_cbranch_execz .LBB256_60
; %bb.55:                               ;   in Loop: Header=BB256_13 Depth=1
	v_cmp_ne_u16_sdwa s[4:5], v1, s52 src0_sel:BYTE_0 src1_sel:DWORD
	v_mov_b32_e32 v33, 0x8000
	s_and_saveexec_b64 s[42:43], s[4:5]
	s_cbranch_execz .LBB256_59
; %bb.56:                               ;   in Loop: Header=BB256_13 Depth=1
	v_bfe_u32 v10, v9, 16, 7
	v_cmp_ne_u32_e64 s[4:5], s53, v10
	v_mov_b32_e32 v33, 0x7c01
	s_and_saveexec_b64 s[44:45], s[4:5]
	s_cbranch_execz .LBB256_58
; %bb.57:                               ;   in Loop: Header=BB256_13 Depth=1
	v_and_b32_e32 v13, 7, v1
	v_ffbh_u32_e32 v33, v13
	v_min_u32_e32 v36, 32, v33
	v_subrev_u32_e32 v33, 28, v36
	v_lshlrev_b64 v[33:34], v33, v[1:2]
	v_lshrrev_b32_e32 v35, 3, v10
	v_sub_u32_e32 v34, 29, v36
	v_cmp_gt_u32_e64 s[4:5], 8, v10
	v_cndmask_b32_e64 v10, v35, v34, s[4:5]
	v_lshl_add_u32 v10, v10, 10, v22
	v_lshlrev_b32_e32 v1, 8, v1
	v_and_b32_e32 v33, 7, v33
	v_and_b32_e32 v10, 0xfc00, v10
	v_cndmask_b32_e64 v13, v13, v33, s[4:5]
	v_and_or_b32 v1, v1, s54, v10
	v_lshl_or_b32 v33, v13, 7, v1
.LBB256_58:                             ;   in Loop: Header=BB256_13 Depth=1
	s_or_b64 exec, exec, s[44:45]
.LBB256_59:                             ;   in Loop: Header=BB256_13 Depth=1
	s_or_b64 exec, exec, s[42:43]
.LBB256_60:                             ;   in Loop: Header=BB256_13 Depth=1
	s_or_b64 exec, exec, s[40:41]
	v_cmp_lt_u32_e64 s[4:5], s55, v9
	s_and_saveexec_b64 s[40:41], s[4:5]
	s_cbranch_execz .LBB256_66
; %bb.61:                               ;   in Loop: Header=BB256_13 Depth=1
	v_lshrrev_b32_e32 v1, 24, v9
	v_cmp_ne_u32_e64 s[4:5], s52, v1
	v_bfrev_b32_e32 v32, 1
	s_and_saveexec_b64 s[42:43], s[4:5]
	s_cbranch_execz .LBB256_65
; %bb.62:                               ;   in Loop: Header=BB256_13 Depth=1
	v_and_b32_e32 v9, 0x7f, v1
	v_cmp_ne_u32_e64 s[4:5], s53, v9
	v_mov_b32_e32 v32, 0x7c010000
	s_and_saveexec_b64 s[44:45], s[4:5]
	s_cbranch_execz .LBB256_64
; %bb.63:                               ;   in Loop: Header=BB256_13 Depth=1
	v_and_b32_e32 v10, 7, v1
	v_ffbh_u32_e32 v32, v10
	v_min_u32_e32 v32, 32, v32
	v_lshrrev_b32_e32 v13, 3, v9
	v_subrev_u32_e32 v34, 28, v32
	v_sub_u32_e32 v32, 29, v32
	v_cmp_gt_u32_e64 s[4:5], 8, v9
	v_lshlrev_b64 v[34:35], v34, v[1:2]
	v_cndmask_b32_e64 v9, v13, v32, s[4:5]
	v_lshlrev_b32_e32 v1, 8, v1
	v_lshl_add_u32 v9, v9, 10, v22
	v_and_b32_e32 v13, 7, v34
	v_and_or_b32 v1, v1, s54, v9
	v_cndmask_b32_e64 v10, v10, v13, s[4:5]
	v_lshlrev_b32_e32 v1, 16, v1
	v_lshl_or_b32 v32, v10, 23, v1
.LBB256_64:                             ;   in Loop: Header=BB256_13 Depth=1
	s_or_b64 exec, exec, s[44:45]
.LBB256_65:                             ;   in Loop: Header=BB256_13 Depth=1
	s_or_b64 exec, exec, s[42:43]
.LBB256_66:                             ;   in Loop: Header=BB256_13 Depth=1
	s_or_b64 exec, exec, s[40:41]
	global_load_dword v9, v[7:8], off offset:512
	v_mov_b32_e32 v34, 0
	v_mov_b32_e32 v35, 0
	s_waitcnt vmcnt(0)
	v_cmp_ne_u16_sdwa s[4:5], v9, v2 src0_sel:BYTE_0 src1_sel:DWORD
	s_and_saveexec_b64 s[40:41], s[4:5]
	s_cbranch_execz .LBB256_72
; %bb.67:                               ;   in Loop: Header=BB256_13 Depth=1
	v_cmp_ne_u16_sdwa s[4:5], v9, s52 src0_sel:BYTE_0 src1_sel:DWORD
	v_mov_b32_e32 v35, 0x8000
	s_and_saveexec_b64 s[42:43], s[4:5]
	s_cbranch_execz .LBB256_71
; %bb.68:                               ;   in Loop: Header=BB256_13 Depth=1
	v_and_b32_e32 v1, 0x7f, v9
	v_cmp_ne_u32_e64 s[4:5], s53, v1
	v_mov_b32_e32 v35, 0x7c01
	s_and_saveexec_b64 s[44:45], s[4:5]
	s_cbranch_execz .LBB256_70
; %bb.69:                               ;   in Loop: Header=BB256_13 Depth=1
	v_and_b32_e32 v10, 7, v9
	v_ffbh_u32_e32 v35, v10
	v_min_u32_e32 v37, 32, v35
	v_subrev_u32_e32 v35, 28, v37
	v_lshlrev_b64 v[35:36], v35, v[9:10]
	v_lshrrev_b32_e32 v13, 3, v1
	v_sub_u32_e32 v36, 29, v37
	v_cmp_gt_u32_e64 s[4:5], 8, v1
	v_cndmask_b32_e64 v1, v13, v36, s[4:5]
	v_lshl_add_u32 v1, v1, 10, v22
	v_lshlrev_b32_e32 v13, 8, v9
	v_and_b32_e32 v35, 7, v35
	v_and_b32_e32 v1, 0xfc00, v1
	v_cndmask_b32_e64 v10, v10, v35, s[4:5]
	v_and_or_b32 v1, v13, s54, v1
	v_lshl_or_b32 v35, v10, 7, v1
.LBB256_70:                             ;   in Loop: Header=BB256_13 Depth=1
	s_or_b64 exec, exec, s[44:45]
.LBB256_71:                             ;   in Loop: Header=BB256_13 Depth=1
	s_or_b64 exec, exec, s[42:43]
.LBB256_72:                             ;   in Loop: Header=BB256_13 Depth=1
	s_or_b64 exec, exec, s[40:41]
	v_lshrrev_b16_e32 v1, 8, v9
	v_cmp_ne_u16_e64 s[4:5], 0, v1
	s_and_saveexec_b64 s[40:41], s[4:5]
	s_cbranch_execz .LBB256_78
; %bb.73:                               ;   in Loop: Header=BB256_13 Depth=1
	v_cmp_ne_u16_e64 s[4:5], s52, v1
	v_bfrev_b32_e32 v34, 1
	s_and_saveexec_b64 s[42:43], s[4:5]
	s_cbranch_execz .LBB256_77
; %bb.74:                               ;   in Loop: Header=BB256_13 Depth=1
	v_and_b32_e32 v10, 0x7f, v1
	v_cmp_ne_u32_e64 s[4:5], s53, v10
	v_mov_b32_e32 v34, 0x7c010000
	s_and_saveexec_b64 s[44:45], s[4:5]
	s_cbranch_execz .LBB256_76
; %bb.75:                               ;   in Loop: Header=BB256_13 Depth=1
	v_and_b32_e32 v13, 7, v1
	v_ffbh_u32_e32 v36, v13
	v_min_u32_e32 v38, 32, v36
	v_subrev_u32_e32 v36, 28, v38
	v_lshlrev_b64 v[36:37], v36, v[1:2]
	v_lshrrev_b32_e32 v34, 3, v10
	v_sub_u32_e32 v37, 29, v38
	v_cmp_gt_u32_e64 s[4:5], 8, v10
	v_cndmask_b32_e64 v10, v34, v37, s[4:5]
	v_lshlrev_b32_e32 v1, 8, v1
	v_lshl_add_u32 v10, v10, 10, v22
	v_and_b32_e32 v34, 7, v36
	v_and_or_b32 v1, v1, s54, v10
	v_cndmask_b32_e64 v13, v13, v34, s[4:5]
	v_lshlrev_b32_e32 v1, 16, v1
	v_lshl_or_b32 v34, v13, 23, v1
.LBB256_76:                             ;   in Loop: Header=BB256_13 Depth=1
	s_or_b64 exec, exec, s[44:45]
.LBB256_77:                             ;   in Loop: Header=BB256_13 Depth=1
	s_or_b64 exec, exec, s[42:43]
.LBB256_78:                             ;   in Loop: Header=BB256_13 Depth=1
	s_or_b64 exec, exec, s[40:41]
	v_lshrrev_b32_e32 v1, 16, v9
	v_cmp_ne_u16_sdwa s[4:5], v1, v2 src0_sel:BYTE_0 src1_sel:DWORD
	v_mov_b32_e32 v36, 0
	v_mov_b32_e32 v37, 0
	s_and_saveexec_b64 s[40:41], s[4:5]
	s_cbranch_execz .LBB256_84
; %bb.79:                               ;   in Loop: Header=BB256_13 Depth=1
	v_cmp_ne_u16_sdwa s[4:5], v1, s52 src0_sel:BYTE_0 src1_sel:DWORD
	v_mov_b32_e32 v37, 0x8000
	s_and_saveexec_b64 s[42:43], s[4:5]
	s_cbranch_execz .LBB256_83
; %bb.80:                               ;   in Loop: Header=BB256_13 Depth=1
	v_bfe_u32 v10, v9, 16, 7
	v_cmp_ne_u32_e64 s[4:5], s53, v10
	v_mov_b32_e32 v37, 0x7c01
	s_and_saveexec_b64 s[44:45], s[4:5]
	s_cbranch_execz .LBB256_82
; %bb.81:                               ;   in Loop: Header=BB256_13 Depth=1
	v_and_b32_e32 v13, 7, v1
	v_ffbh_u32_e32 v37, v13
	v_min_u32_e32 v40, 32, v37
	v_subrev_u32_e32 v37, 28, v40
	v_lshlrev_b64 v[37:38], v37, v[1:2]
	v_lshrrev_b32_e32 v39, 3, v10
	v_sub_u32_e32 v38, 29, v40
	v_cmp_gt_u32_e64 s[4:5], 8, v10
	v_cndmask_b32_e64 v10, v39, v38, s[4:5]
	v_lshl_add_u32 v10, v10, 10, v22
	v_lshlrev_b32_e32 v1, 8, v1
	v_and_b32_e32 v37, 7, v37
	v_and_b32_e32 v10, 0xfc00, v10
	v_cndmask_b32_e64 v13, v13, v37, s[4:5]
	v_and_or_b32 v1, v1, s54, v10
	v_lshl_or_b32 v37, v13, 7, v1
.LBB256_82:                             ;   in Loop: Header=BB256_13 Depth=1
	s_or_b64 exec, exec, s[44:45]
.LBB256_83:                             ;   in Loop: Header=BB256_13 Depth=1
	s_or_b64 exec, exec, s[42:43]
.LBB256_84:                             ;   in Loop: Header=BB256_13 Depth=1
	s_or_b64 exec, exec, s[40:41]
	v_cmp_lt_u32_e64 s[4:5], s55, v9
	s_and_saveexec_b64 s[40:41], s[4:5]
	s_cbranch_execz .LBB256_90
; %bb.85:                               ;   in Loop: Header=BB256_13 Depth=1
	v_lshrrev_b32_e32 v1, 24, v9
	v_cmp_ne_u32_e64 s[4:5], s52, v1
	v_bfrev_b32_e32 v36, 1
	s_and_saveexec_b64 s[42:43], s[4:5]
	s_cbranch_execz .LBB256_89
; %bb.86:                               ;   in Loop: Header=BB256_13 Depth=1
	v_and_b32_e32 v9, 0x7f, v1
	v_cmp_ne_u32_e64 s[4:5], s53, v9
	v_mov_b32_e32 v36, 0x7c010000
	s_and_saveexec_b64 s[44:45], s[4:5]
	s_cbranch_execz .LBB256_88
; %bb.87:                               ;   in Loop: Header=BB256_13 Depth=1
	v_and_b32_e32 v10, 7, v1
	v_ffbh_u32_e32 v36, v10
	v_min_u32_e32 v36, 32, v36
	v_lshrrev_b32_e32 v13, 3, v9
	v_subrev_u32_e32 v38, 28, v36
	v_sub_u32_e32 v36, 29, v36
	v_cmp_gt_u32_e64 s[4:5], 8, v9
	v_lshlrev_b64 v[38:39], v38, v[1:2]
	v_cndmask_b32_e64 v9, v13, v36, s[4:5]
	v_lshlrev_b32_e32 v1, 8, v1
	v_lshl_add_u32 v9, v9, 10, v22
	v_and_b32_e32 v13, 7, v38
	v_and_or_b32 v1, v1, s54, v9
	v_cndmask_b32_e64 v10, v10, v13, s[4:5]
	v_lshlrev_b32_e32 v1, 16, v1
	v_lshl_or_b32 v36, v10, 23, v1
.LBB256_88:                             ;   in Loop: Header=BB256_13 Depth=1
	s_or_b64 exec, exec, s[44:45]
.LBB256_89:                             ;   in Loop: Header=BB256_13 Depth=1
	s_or_b64 exec, exec, s[42:43]
.LBB256_90:                             ;   in Loop: Header=BB256_13 Depth=1
	s_or_b64 exec, exec, s[40:41]
	global_load_dword v9, v[7:8], off offset:520
	v_mov_b32_e32 v38, 0
	v_mov_b32_e32 v39, 0
	s_waitcnt vmcnt(0)
	v_cmp_ne_u16_sdwa s[4:5], v9, v2 src0_sel:BYTE_0 src1_sel:DWORD
	s_and_saveexec_b64 s[40:41], s[4:5]
	s_cbranch_execz .LBB256_96
; %bb.91:                               ;   in Loop: Header=BB256_13 Depth=1
	v_cmp_ne_u16_sdwa s[4:5], v9, s52 src0_sel:BYTE_0 src1_sel:DWORD
	v_mov_b32_e32 v39, 0x8000
	s_and_saveexec_b64 s[42:43], s[4:5]
	s_cbranch_execz .LBB256_95
; %bb.92:                               ;   in Loop: Header=BB256_13 Depth=1
	v_and_b32_e32 v1, 0x7f, v9
	v_cmp_ne_u32_e64 s[4:5], s53, v1
	v_mov_b32_e32 v39, 0x7c01
	s_and_saveexec_b64 s[44:45], s[4:5]
	s_cbranch_execz .LBB256_94
; %bb.93:                               ;   in Loop: Header=BB256_13 Depth=1
	v_and_b32_e32 v10, 7, v9
	v_ffbh_u32_e32 v39, v10
	v_min_u32_e32 v41, 32, v39
	v_subrev_u32_e32 v39, 28, v41
	v_lshlrev_b64 v[39:40], v39, v[9:10]
	v_lshrrev_b32_e32 v13, 3, v1
	v_sub_u32_e32 v40, 29, v41
	v_cmp_gt_u32_e64 s[4:5], 8, v1
	v_cndmask_b32_e64 v1, v13, v40, s[4:5]
	v_lshl_add_u32 v1, v1, 10, v22
	v_lshlrev_b32_e32 v13, 8, v9
	v_and_b32_e32 v39, 7, v39
	v_and_b32_e32 v1, 0xfc00, v1
	v_cndmask_b32_e64 v10, v10, v39, s[4:5]
	v_and_or_b32 v1, v13, s54, v1
	v_lshl_or_b32 v39, v10, 7, v1
.LBB256_94:                             ;   in Loop: Header=BB256_13 Depth=1
	s_or_b64 exec, exec, s[44:45]
.LBB256_95:                             ;   in Loop: Header=BB256_13 Depth=1
	s_or_b64 exec, exec, s[42:43]
.LBB256_96:                             ;   in Loop: Header=BB256_13 Depth=1
	s_or_b64 exec, exec, s[40:41]
	v_lshrrev_b16_e32 v1, 8, v9
	v_cmp_ne_u16_e64 s[4:5], 0, v1
	s_and_saveexec_b64 s[40:41], s[4:5]
	s_cbranch_execz .LBB256_102
; %bb.97:                               ;   in Loop: Header=BB256_13 Depth=1
	v_cmp_ne_u16_e64 s[4:5], s52, v1
	v_bfrev_b32_e32 v38, 1
	s_and_saveexec_b64 s[42:43], s[4:5]
	s_cbranch_execz .LBB256_101
; %bb.98:                               ;   in Loop: Header=BB256_13 Depth=1
	v_and_b32_e32 v10, 0x7f, v1
	v_cmp_ne_u32_e64 s[4:5], s53, v10
	v_mov_b32_e32 v38, 0x7c010000
	s_and_saveexec_b64 s[44:45], s[4:5]
	s_cbranch_execz .LBB256_100
; %bb.99:                               ;   in Loop: Header=BB256_13 Depth=1
	v_and_b32_e32 v13, 7, v1
	v_ffbh_u32_e32 v40, v13
	v_min_u32_e32 v42, 32, v40
	v_subrev_u32_e32 v40, 28, v42
	v_lshlrev_b64 v[40:41], v40, v[1:2]
	v_lshrrev_b32_e32 v38, 3, v10
	v_sub_u32_e32 v41, 29, v42
	v_cmp_gt_u32_e64 s[4:5], 8, v10
	v_cndmask_b32_e64 v10, v38, v41, s[4:5]
	v_lshlrev_b32_e32 v1, 8, v1
	v_lshl_add_u32 v10, v10, 10, v22
	v_and_b32_e32 v38, 7, v40
	v_and_or_b32 v1, v1, s54, v10
	v_cndmask_b32_e64 v13, v13, v38, s[4:5]
	v_lshlrev_b32_e32 v1, 16, v1
	v_lshl_or_b32 v38, v13, 23, v1
.LBB256_100:                            ;   in Loop: Header=BB256_13 Depth=1
	s_or_b64 exec, exec, s[44:45]
.LBB256_101:                            ;   in Loop: Header=BB256_13 Depth=1
	s_or_b64 exec, exec, s[42:43]
.LBB256_102:                            ;   in Loop: Header=BB256_13 Depth=1
	s_or_b64 exec, exec, s[40:41]
	v_lshrrev_b32_e32 v1, 16, v9
	v_cmp_ne_u16_sdwa s[4:5], v1, v2 src0_sel:BYTE_0 src1_sel:DWORD
	v_mov_b32_e32 v40, 0
	v_mov_b32_e32 v41, 0
	s_and_saveexec_b64 s[40:41], s[4:5]
	s_cbranch_execz .LBB256_108
; %bb.103:                              ;   in Loop: Header=BB256_13 Depth=1
	v_cmp_ne_u16_sdwa s[4:5], v1, s52 src0_sel:BYTE_0 src1_sel:DWORD
	v_mov_b32_e32 v41, 0x8000
	s_and_saveexec_b64 s[42:43], s[4:5]
	s_cbranch_execz .LBB256_107
; %bb.104:                              ;   in Loop: Header=BB256_13 Depth=1
	v_bfe_u32 v10, v9, 16, 7
	v_cmp_ne_u32_e64 s[4:5], s53, v10
	v_mov_b32_e32 v41, 0x7c01
	s_and_saveexec_b64 s[44:45], s[4:5]
	s_cbranch_execz .LBB256_106
; %bb.105:                              ;   in Loop: Header=BB256_13 Depth=1
	v_and_b32_e32 v13, 7, v1
	v_ffbh_u32_e32 v41, v13
	v_min_u32_e32 v44, 32, v41
	v_subrev_u32_e32 v41, 28, v44
	v_lshlrev_b64 v[41:42], v41, v[1:2]
	v_lshrrev_b32_e32 v43, 3, v10
	v_sub_u32_e32 v42, 29, v44
	v_cmp_gt_u32_e64 s[4:5], 8, v10
	v_cndmask_b32_e64 v10, v43, v42, s[4:5]
	v_lshl_add_u32 v10, v10, 10, v22
	v_lshlrev_b32_e32 v1, 8, v1
	v_and_b32_e32 v41, 7, v41
	v_and_b32_e32 v10, 0xfc00, v10
	v_cndmask_b32_e64 v13, v13, v41, s[4:5]
	v_and_or_b32 v1, v1, s54, v10
	v_lshl_or_b32 v41, v13, 7, v1
.LBB256_106:                            ;   in Loop: Header=BB256_13 Depth=1
	s_or_b64 exec, exec, s[44:45]
.LBB256_107:                            ;   in Loop: Header=BB256_13 Depth=1
	s_or_b64 exec, exec, s[42:43]
.LBB256_108:                            ;   in Loop: Header=BB256_13 Depth=1
	s_or_b64 exec, exec, s[40:41]
	v_cmp_lt_u32_e64 s[4:5], s55, v9
	s_and_saveexec_b64 s[40:41], s[4:5]
	s_cbranch_execz .LBB256_114
; %bb.109:                              ;   in Loop: Header=BB256_13 Depth=1
	v_lshrrev_b32_e32 v1, 24, v9
	v_cmp_ne_u32_e64 s[4:5], s52, v1
	v_bfrev_b32_e32 v40, 1
	s_and_saveexec_b64 s[42:43], s[4:5]
	s_cbranch_execz .LBB256_113
; %bb.110:                              ;   in Loop: Header=BB256_13 Depth=1
	v_and_b32_e32 v9, 0x7f, v1
	v_cmp_ne_u32_e64 s[4:5], s53, v9
	v_mov_b32_e32 v40, 0x7c010000
	s_and_saveexec_b64 s[44:45], s[4:5]
	s_cbranch_execz .LBB256_112
; %bb.111:                              ;   in Loop: Header=BB256_13 Depth=1
	v_and_b32_e32 v10, 7, v1
	v_ffbh_u32_e32 v40, v10
	v_min_u32_e32 v40, 32, v40
	v_lshrrev_b32_e32 v13, 3, v9
	v_subrev_u32_e32 v42, 28, v40
	v_sub_u32_e32 v40, 29, v40
	v_cmp_gt_u32_e64 s[4:5], 8, v9
	v_lshlrev_b64 v[42:43], v42, v[1:2]
	v_cndmask_b32_e64 v9, v13, v40, s[4:5]
	v_lshlrev_b32_e32 v1, 8, v1
	v_lshl_add_u32 v9, v9, 10, v22
	v_and_b32_e32 v13, 7, v42
	v_and_or_b32 v1, v1, s54, v9
	v_cndmask_b32_e64 v10, v10, v13, s[4:5]
	v_lshlrev_b32_e32 v1, 16, v1
	v_lshl_or_b32 v40, v10, 23, v1
.LBB256_112:                            ;   in Loop: Header=BB256_13 Depth=1
	s_or_b64 exec, exec, s[44:45]
.LBB256_113:                            ;   in Loop: Header=BB256_13 Depth=1
	s_or_b64 exec, exec, s[42:43]
.LBB256_114:                            ;   in Loop: Header=BB256_13 Depth=1
	s_or_b64 exec, exec, s[40:41]
	global_load_dword v9, v[7:8], off offset:1024
	v_mov_b32_e32 v42, 0
	v_mov_b32_e32 v43, 0
	s_waitcnt vmcnt(0)
	v_cmp_ne_u16_sdwa s[4:5], v9, v2 src0_sel:BYTE_0 src1_sel:DWORD
	s_and_saveexec_b64 s[40:41], s[4:5]
	s_cbranch_execz .LBB256_120
; %bb.115:                              ;   in Loop: Header=BB256_13 Depth=1
	v_cmp_ne_u16_sdwa s[4:5], v9, s52 src0_sel:BYTE_0 src1_sel:DWORD
	v_mov_b32_e32 v43, 0x8000
	s_and_saveexec_b64 s[42:43], s[4:5]
	s_cbranch_execz .LBB256_119
; %bb.116:                              ;   in Loop: Header=BB256_13 Depth=1
	v_and_b32_e32 v1, 0x7f, v9
	v_cmp_ne_u32_e64 s[4:5], s53, v1
	v_mov_b32_e32 v43, 0x7c01
	s_and_saveexec_b64 s[44:45], s[4:5]
	s_cbranch_execz .LBB256_118
; %bb.117:                              ;   in Loop: Header=BB256_13 Depth=1
	v_and_b32_e32 v10, 7, v9
	v_ffbh_u32_e32 v43, v10
	v_min_u32_e32 v45, 32, v43
	v_subrev_u32_e32 v43, 28, v45
	v_lshlrev_b64 v[43:44], v43, v[9:10]
	v_lshrrev_b32_e32 v13, 3, v1
	v_sub_u32_e32 v44, 29, v45
	v_cmp_gt_u32_e64 s[4:5], 8, v1
	v_cndmask_b32_e64 v1, v13, v44, s[4:5]
	v_lshl_add_u32 v1, v1, 10, v22
	v_lshlrev_b32_e32 v13, 8, v9
	v_and_b32_e32 v43, 7, v43
	v_and_b32_e32 v1, 0xfc00, v1
	v_cndmask_b32_e64 v10, v10, v43, s[4:5]
	v_and_or_b32 v1, v13, s54, v1
	v_lshl_or_b32 v43, v10, 7, v1
.LBB256_118:                            ;   in Loop: Header=BB256_13 Depth=1
	s_or_b64 exec, exec, s[44:45]
.LBB256_119:                            ;   in Loop: Header=BB256_13 Depth=1
	s_or_b64 exec, exec, s[42:43]
.LBB256_120:                            ;   in Loop: Header=BB256_13 Depth=1
	s_or_b64 exec, exec, s[40:41]
	v_lshrrev_b16_e32 v1, 8, v9
	v_cmp_ne_u16_e64 s[4:5], 0, v1
	s_and_saveexec_b64 s[40:41], s[4:5]
	s_cbranch_execz .LBB256_126
; %bb.121:                              ;   in Loop: Header=BB256_13 Depth=1
	v_cmp_ne_u16_e64 s[4:5], s52, v1
	v_bfrev_b32_e32 v42, 1
	s_and_saveexec_b64 s[42:43], s[4:5]
	s_cbranch_execz .LBB256_125
; %bb.122:                              ;   in Loop: Header=BB256_13 Depth=1
	v_and_b32_e32 v10, 0x7f, v1
	v_cmp_ne_u32_e64 s[4:5], s53, v10
	v_mov_b32_e32 v42, 0x7c010000
	s_and_saveexec_b64 s[44:45], s[4:5]
	s_cbranch_execz .LBB256_124
; %bb.123:                              ;   in Loop: Header=BB256_13 Depth=1
	v_and_b32_e32 v13, 7, v1
	v_ffbh_u32_e32 v44, v13
	v_min_u32_e32 v46, 32, v44
	v_subrev_u32_e32 v44, 28, v46
	v_lshlrev_b64 v[44:45], v44, v[1:2]
	v_lshrrev_b32_e32 v42, 3, v10
	v_sub_u32_e32 v45, 29, v46
	v_cmp_gt_u32_e64 s[4:5], 8, v10
	v_cndmask_b32_e64 v10, v42, v45, s[4:5]
	v_lshlrev_b32_e32 v1, 8, v1
	v_lshl_add_u32 v10, v10, 10, v22
	v_and_b32_e32 v42, 7, v44
	v_and_or_b32 v1, v1, s54, v10
	v_cndmask_b32_e64 v13, v13, v42, s[4:5]
	v_lshlrev_b32_e32 v1, 16, v1
	v_lshl_or_b32 v42, v13, 23, v1
.LBB256_124:                            ;   in Loop: Header=BB256_13 Depth=1
	s_or_b64 exec, exec, s[44:45]
.LBB256_125:                            ;   in Loop: Header=BB256_13 Depth=1
	s_or_b64 exec, exec, s[42:43]
.LBB256_126:                            ;   in Loop: Header=BB256_13 Depth=1
	s_or_b64 exec, exec, s[40:41]
	v_lshrrev_b32_e32 v1, 16, v9
	v_cmp_ne_u16_sdwa s[4:5], v1, v2 src0_sel:BYTE_0 src1_sel:DWORD
	v_mov_b32_e32 v44, 0
	v_mov_b32_e32 v45, 0
	s_and_saveexec_b64 s[40:41], s[4:5]
	s_cbranch_execz .LBB256_132
; %bb.127:                              ;   in Loop: Header=BB256_13 Depth=1
	v_cmp_ne_u16_sdwa s[4:5], v1, s52 src0_sel:BYTE_0 src1_sel:DWORD
	v_mov_b32_e32 v45, 0x8000
	s_and_saveexec_b64 s[42:43], s[4:5]
	s_cbranch_execz .LBB256_131
; %bb.128:                              ;   in Loop: Header=BB256_13 Depth=1
	v_bfe_u32 v10, v9, 16, 7
	v_cmp_ne_u32_e64 s[4:5], s53, v10
	v_mov_b32_e32 v45, 0x7c01
	s_and_saveexec_b64 s[44:45], s[4:5]
	s_cbranch_execz .LBB256_130
; %bb.129:                              ;   in Loop: Header=BB256_13 Depth=1
	v_and_b32_e32 v13, 7, v1
	v_ffbh_u32_e32 v45, v13
	v_min_u32_e32 v48, 32, v45
	v_subrev_u32_e32 v45, 28, v48
	v_lshlrev_b64 v[45:46], v45, v[1:2]
	v_lshrrev_b32_e32 v47, 3, v10
	v_sub_u32_e32 v46, 29, v48
	v_cmp_gt_u32_e64 s[4:5], 8, v10
	v_cndmask_b32_e64 v10, v47, v46, s[4:5]
	v_lshl_add_u32 v10, v10, 10, v22
	v_lshlrev_b32_e32 v1, 8, v1
	v_and_b32_e32 v45, 7, v45
	v_and_b32_e32 v10, 0xfc00, v10
	v_cndmask_b32_e64 v13, v13, v45, s[4:5]
	v_and_or_b32 v1, v1, s54, v10
	v_lshl_or_b32 v45, v13, 7, v1
.LBB256_130:                            ;   in Loop: Header=BB256_13 Depth=1
	s_or_b64 exec, exec, s[44:45]
.LBB256_131:                            ;   in Loop: Header=BB256_13 Depth=1
	s_or_b64 exec, exec, s[42:43]
.LBB256_132:                            ;   in Loop: Header=BB256_13 Depth=1
	s_or_b64 exec, exec, s[40:41]
	v_cmp_lt_u32_e64 s[4:5], s55, v9
	s_and_saveexec_b64 s[40:41], s[4:5]
	s_cbranch_execz .LBB256_138
; %bb.133:                              ;   in Loop: Header=BB256_13 Depth=1
	v_lshrrev_b32_e32 v1, 24, v9
	v_cmp_ne_u32_e64 s[4:5], s52, v1
	v_bfrev_b32_e32 v44, 1
	s_and_saveexec_b64 s[42:43], s[4:5]
	s_cbranch_execz .LBB256_137
; %bb.134:                              ;   in Loop: Header=BB256_13 Depth=1
	v_and_b32_e32 v9, 0x7f, v1
	v_cmp_ne_u32_e64 s[4:5], s53, v9
	v_mov_b32_e32 v44, 0x7c010000
	s_and_saveexec_b64 s[44:45], s[4:5]
	s_cbranch_execz .LBB256_136
; %bb.135:                              ;   in Loop: Header=BB256_13 Depth=1
	v_and_b32_e32 v10, 7, v1
	v_ffbh_u32_e32 v44, v10
	v_min_u32_e32 v44, 32, v44
	v_lshrrev_b32_e32 v13, 3, v9
	v_subrev_u32_e32 v46, 28, v44
	v_sub_u32_e32 v44, 29, v44
	v_cmp_gt_u32_e64 s[4:5], 8, v9
	v_lshlrev_b64 v[46:47], v46, v[1:2]
	v_cndmask_b32_e64 v9, v13, v44, s[4:5]
	v_lshlrev_b32_e32 v1, 8, v1
	v_lshl_add_u32 v9, v9, 10, v22
	v_and_b32_e32 v13, 7, v46
	v_and_or_b32 v1, v1, s54, v9
	v_cndmask_b32_e64 v10, v10, v13, s[4:5]
	v_lshlrev_b32_e32 v1, 16, v1
	v_lshl_or_b32 v44, v10, 23, v1
.LBB256_136:                            ;   in Loop: Header=BB256_13 Depth=1
	s_or_b64 exec, exec, s[44:45]
.LBB256_137:                            ;   in Loop: Header=BB256_13 Depth=1
	s_or_b64 exec, exec, s[42:43]
.LBB256_138:                            ;   in Loop: Header=BB256_13 Depth=1
	s_or_b64 exec, exec, s[40:41]
	global_load_dword v9, v[7:8], off offset:1032
	v_mov_b32_e32 v46, 0
	v_mov_b32_e32 v47, 0
	s_waitcnt vmcnt(0)
	v_cmp_ne_u16_sdwa s[4:5], v9, v2 src0_sel:BYTE_0 src1_sel:DWORD
	s_and_saveexec_b64 s[40:41], s[4:5]
	s_cbranch_execz .LBB256_144
; %bb.139:                              ;   in Loop: Header=BB256_13 Depth=1
	v_cmp_ne_u16_sdwa s[4:5], v9, s52 src0_sel:BYTE_0 src1_sel:DWORD
	v_mov_b32_e32 v47, 0x8000
	s_and_saveexec_b64 s[42:43], s[4:5]
	s_cbranch_execz .LBB256_143
; %bb.140:                              ;   in Loop: Header=BB256_13 Depth=1
	v_and_b32_e32 v1, 0x7f, v9
	v_cmp_ne_u32_e64 s[4:5], s53, v1
	v_mov_b32_e32 v47, 0x7c01
	s_and_saveexec_b64 s[44:45], s[4:5]
	s_cbranch_execz .LBB256_142
; %bb.141:                              ;   in Loop: Header=BB256_13 Depth=1
	v_and_b32_e32 v10, 7, v9
	v_ffbh_u32_e32 v47, v10
	v_min_u32_e32 v49, 32, v47
	v_subrev_u32_e32 v47, 28, v49
	v_lshlrev_b64 v[47:48], v47, v[9:10]
	v_lshrrev_b32_e32 v13, 3, v1
	v_sub_u32_e32 v48, 29, v49
	v_cmp_gt_u32_e64 s[4:5], 8, v1
	v_cndmask_b32_e64 v1, v13, v48, s[4:5]
	v_lshl_add_u32 v1, v1, 10, v22
	v_lshlrev_b32_e32 v13, 8, v9
	v_and_b32_e32 v47, 7, v47
	v_and_b32_e32 v1, 0xfc00, v1
	v_cndmask_b32_e64 v10, v10, v47, s[4:5]
	v_and_or_b32 v1, v13, s54, v1
	v_lshl_or_b32 v47, v10, 7, v1
.LBB256_142:                            ;   in Loop: Header=BB256_13 Depth=1
	s_or_b64 exec, exec, s[44:45]
.LBB256_143:                            ;   in Loop: Header=BB256_13 Depth=1
	s_or_b64 exec, exec, s[42:43]
.LBB256_144:                            ;   in Loop: Header=BB256_13 Depth=1
	s_or_b64 exec, exec, s[40:41]
	v_lshrrev_b16_e32 v1, 8, v9
	v_cmp_ne_u16_e64 s[4:5], 0, v1
	s_and_saveexec_b64 s[40:41], s[4:5]
	s_cbranch_execz .LBB256_150
; %bb.145:                              ;   in Loop: Header=BB256_13 Depth=1
	v_cmp_ne_u16_e64 s[4:5], s52, v1
	v_bfrev_b32_e32 v46, 1
	s_and_saveexec_b64 s[42:43], s[4:5]
	s_cbranch_execz .LBB256_149
; %bb.146:                              ;   in Loop: Header=BB256_13 Depth=1
	v_and_b32_e32 v10, 0x7f, v1
	v_cmp_ne_u32_e64 s[4:5], s53, v10
	v_mov_b32_e32 v46, 0x7c010000
	s_and_saveexec_b64 s[44:45], s[4:5]
	s_cbranch_execz .LBB256_148
; %bb.147:                              ;   in Loop: Header=BB256_13 Depth=1
	v_and_b32_e32 v13, 7, v1
	v_ffbh_u32_e32 v48, v13
	v_min_u32_e32 v50, 32, v48
	v_subrev_u32_e32 v48, 28, v50
	v_lshlrev_b64 v[48:49], v48, v[1:2]
	v_lshrrev_b32_e32 v46, 3, v10
	v_sub_u32_e32 v49, 29, v50
	v_cmp_gt_u32_e64 s[4:5], 8, v10
	v_cndmask_b32_e64 v10, v46, v49, s[4:5]
	v_lshlrev_b32_e32 v1, 8, v1
	v_lshl_add_u32 v10, v10, 10, v22
	v_and_b32_e32 v46, 7, v48
	v_and_or_b32 v1, v1, s54, v10
	v_cndmask_b32_e64 v13, v13, v46, s[4:5]
	v_lshlrev_b32_e32 v1, 16, v1
	v_lshl_or_b32 v46, v13, 23, v1
.LBB256_148:                            ;   in Loop: Header=BB256_13 Depth=1
	s_or_b64 exec, exec, s[44:45]
.LBB256_149:                            ;   in Loop: Header=BB256_13 Depth=1
	s_or_b64 exec, exec, s[42:43]
.LBB256_150:                            ;   in Loop: Header=BB256_13 Depth=1
	s_or_b64 exec, exec, s[40:41]
	v_lshrrev_b32_e32 v1, 16, v9
	v_cmp_ne_u16_sdwa s[4:5], v1, v2 src0_sel:BYTE_0 src1_sel:DWORD
	v_mov_b32_e32 v48, 0
	v_mov_b32_e32 v49, 0
	s_and_saveexec_b64 s[40:41], s[4:5]
	s_cbranch_execz .LBB256_156
; %bb.151:                              ;   in Loop: Header=BB256_13 Depth=1
	v_cmp_ne_u16_sdwa s[4:5], v1, s52 src0_sel:BYTE_0 src1_sel:DWORD
	v_mov_b32_e32 v49, 0x8000
	s_and_saveexec_b64 s[42:43], s[4:5]
	s_cbranch_execz .LBB256_155
; %bb.152:                              ;   in Loop: Header=BB256_13 Depth=1
	v_bfe_u32 v10, v9, 16, 7
	v_cmp_ne_u32_e64 s[4:5], s53, v10
	v_mov_b32_e32 v49, 0x7c01
	s_and_saveexec_b64 s[44:45], s[4:5]
	s_cbranch_execz .LBB256_154
; %bb.153:                              ;   in Loop: Header=BB256_13 Depth=1
	v_and_b32_e32 v13, 7, v1
	v_ffbh_u32_e32 v49, v13
	v_min_u32_e32 v52, 32, v49
	v_subrev_u32_e32 v49, 28, v52
	v_lshlrev_b64 v[49:50], v49, v[1:2]
	v_lshrrev_b32_e32 v51, 3, v10
	v_sub_u32_e32 v50, 29, v52
	v_cmp_gt_u32_e64 s[4:5], 8, v10
	v_cndmask_b32_e64 v10, v51, v50, s[4:5]
	v_lshl_add_u32 v10, v10, 10, v22
	v_lshlrev_b32_e32 v1, 8, v1
	v_and_b32_e32 v49, 7, v49
	v_and_b32_e32 v10, 0xfc00, v10
	v_cndmask_b32_e64 v13, v13, v49, s[4:5]
	v_and_or_b32 v1, v1, s54, v10
	v_lshl_or_b32 v49, v13, 7, v1
.LBB256_154:                            ;   in Loop: Header=BB256_13 Depth=1
	s_or_b64 exec, exec, s[44:45]
.LBB256_155:                            ;   in Loop: Header=BB256_13 Depth=1
	s_or_b64 exec, exec, s[42:43]
.LBB256_156:                            ;   in Loop: Header=BB256_13 Depth=1
	s_or_b64 exec, exec, s[40:41]
	v_cmp_lt_u32_e64 s[4:5], s55, v9
	s_and_saveexec_b64 s[40:41], s[4:5]
	s_cbranch_execz .LBB256_162
; %bb.157:                              ;   in Loop: Header=BB256_13 Depth=1
	v_lshrrev_b32_e32 v1, 24, v9
	v_cmp_ne_u32_e64 s[4:5], s52, v1
	v_bfrev_b32_e32 v48, 1
	s_and_saveexec_b64 s[42:43], s[4:5]
	s_cbranch_execz .LBB256_161
; %bb.158:                              ;   in Loop: Header=BB256_13 Depth=1
	v_and_b32_e32 v9, 0x7f, v1
	v_cmp_ne_u32_e64 s[4:5], s53, v9
	v_mov_b32_e32 v48, 0x7c010000
	s_and_saveexec_b64 s[44:45], s[4:5]
	s_cbranch_execz .LBB256_160
; %bb.159:                              ;   in Loop: Header=BB256_13 Depth=1
	v_and_b32_e32 v10, 7, v1
	v_ffbh_u32_e32 v48, v10
	v_min_u32_e32 v48, 32, v48
	v_lshrrev_b32_e32 v13, 3, v9
	v_subrev_u32_e32 v50, 28, v48
	v_sub_u32_e32 v48, 29, v48
	v_cmp_gt_u32_e64 s[4:5], 8, v9
	v_lshlrev_b64 v[50:51], v50, v[1:2]
	v_cndmask_b32_e64 v9, v13, v48, s[4:5]
	v_lshlrev_b32_e32 v1, 8, v1
	v_lshl_add_u32 v9, v9, 10, v22
	v_and_b32_e32 v13, 7, v50
	v_and_or_b32 v1, v1, s54, v9
	v_cndmask_b32_e64 v10, v10, v13, s[4:5]
	v_lshlrev_b32_e32 v1, 16, v1
	v_lshl_or_b32 v48, v10, 23, v1
.LBB256_160:                            ;   in Loop: Header=BB256_13 Depth=1
	s_or_b64 exec, exec, s[44:45]
.LBB256_161:                            ;   in Loop: Header=BB256_13 Depth=1
	s_or_b64 exec, exec, s[42:43]
.LBB256_162:                            ;   in Loop: Header=BB256_13 Depth=1
	s_or_b64 exec, exec, s[40:41]
	global_load_dword v9, v[7:8], off offset:1536
	v_mov_b32_e32 v50, 0
	v_mov_b32_e32 v51, 0
	s_waitcnt vmcnt(0)
	v_cmp_ne_u16_sdwa s[4:5], v9, v2 src0_sel:BYTE_0 src1_sel:DWORD
	s_and_saveexec_b64 s[40:41], s[4:5]
	s_cbranch_execz .LBB256_168
; %bb.163:                              ;   in Loop: Header=BB256_13 Depth=1
	v_cmp_ne_u16_sdwa s[4:5], v9, s52 src0_sel:BYTE_0 src1_sel:DWORD
	v_mov_b32_e32 v51, 0x8000
	s_and_saveexec_b64 s[42:43], s[4:5]
	s_cbranch_execz .LBB256_167
; %bb.164:                              ;   in Loop: Header=BB256_13 Depth=1
	v_and_b32_e32 v1, 0x7f, v9
	v_cmp_ne_u32_e64 s[4:5], s53, v1
	v_mov_b32_e32 v51, 0x7c01
	s_and_saveexec_b64 s[44:45], s[4:5]
	s_cbranch_execz .LBB256_166
; %bb.165:                              ;   in Loop: Header=BB256_13 Depth=1
	v_and_b32_e32 v10, 7, v9
	v_ffbh_u32_e32 v51, v10
	v_min_u32_e32 v53, 32, v51
	v_subrev_u32_e32 v51, 28, v53
	v_lshlrev_b64 v[51:52], v51, v[9:10]
	v_lshrrev_b32_e32 v13, 3, v1
	v_sub_u32_e32 v52, 29, v53
	v_cmp_gt_u32_e64 s[4:5], 8, v1
	v_cndmask_b32_e64 v1, v13, v52, s[4:5]
	v_lshl_add_u32 v1, v1, 10, v22
	v_lshlrev_b32_e32 v13, 8, v9
	v_and_b32_e32 v51, 7, v51
	v_and_b32_e32 v1, 0xfc00, v1
	v_cndmask_b32_e64 v10, v10, v51, s[4:5]
	v_and_or_b32 v1, v13, s54, v1
	v_lshl_or_b32 v51, v10, 7, v1
.LBB256_166:                            ;   in Loop: Header=BB256_13 Depth=1
	s_or_b64 exec, exec, s[44:45]
.LBB256_167:                            ;   in Loop: Header=BB256_13 Depth=1
	s_or_b64 exec, exec, s[42:43]
.LBB256_168:                            ;   in Loop: Header=BB256_13 Depth=1
	s_or_b64 exec, exec, s[40:41]
	v_lshrrev_b16_e32 v1, 8, v9
	v_cmp_ne_u16_e64 s[4:5], 0, v1
	s_and_saveexec_b64 s[40:41], s[4:5]
	s_cbranch_execz .LBB256_174
; %bb.169:                              ;   in Loop: Header=BB256_13 Depth=1
	v_cmp_ne_u16_e64 s[4:5], s52, v1
	v_bfrev_b32_e32 v50, 1
	s_and_saveexec_b64 s[42:43], s[4:5]
	s_cbranch_execz .LBB256_173
; %bb.170:                              ;   in Loop: Header=BB256_13 Depth=1
	v_and_b32_e32 v10, 0x7f, v1
	v_cmp_ne_u32_e64 s[4:5], s53, v10
	v_mov_b32_e32 v50, 0x7c010000
	s_and_saveexec_b64 s[44:45], s[4:5]
	s_cbranch_execz .LBB256_172
; %bb.171:                              ;   in Loop: Header=BB256_13 Depth=1
	v_and_b32_e32 v13, 7, v1
	v_ffbh_u32_e32 v52, v13
	v_min_u32_e32 v54, 32, v52
	v_subrev_u32_e32 v52, 28, v54
	v_lshlrev_b64 v[52:53], v52, v[1:2]
	v_lshrrev_b32_e32 v50, 3, v10
	v_sub_u32_e32 v53, 29, v54
	v_cmp_gt_u32_e64 s[4:5], 8, v10
	v_cndmask_b32_e64 v10, v50, v53, s[4:5]
	v_lshlrev_b32_e32 v1, 8, v1
	v_lshl_add_u32 v10, v10, 10, v22
	v_and_b32_e32 v50, 7, v52
	v_and_or_b32 v1, v1, s54, v10
	v_cndmask_b32_e64 v13, v13, v50, s[4:5]
	v_lshlrev_b32_e32 v1, 16, v1
	v_lshl_or_b32 v50, v13, 23, v1
.LBB256_172:                            ;   in Loop: Header=BB256_13 Depth=1
	s_or_b64 exec, exec, s[44:45]
.LBB256_173:                            ;   in Loop: Header=BB256_13 Depth=1
	s_or_b64 exec, exec, s[42:43]
.LBB256_174:                            ;   in Loop: Header=BB256_13 Depth=1
	s_or_b64 exec, exec, s[40:41]
	v_lshrrev_b32_e32 v1, 16, v9
	v_cmp_ne_u16_sdwa s[4:5], v1, v2 src0_sel:BYTE_0 src1_sel:DWORD
	v_mov_b32_e32 v52, 0
	v_mov_b32_e32 v53, 0
	s_and_saveexec_b64 s[40:41], s[4:5]
	s_cbranch_execz .LBB256_180
; %bb.175:                              ;   in Loop: Header=BB256_13 Depth=1
	v_cmp_ne_u16_sdwa s[4:5], v1, s52 src0_sel:BYTE_0 src1_sel:DWORD
	v_mov_b32_e32 v53, 0x8000
	s_and_saveexec_b64 s[42:43], s[4:5]
	s_cbranch_execz .LBB256_179
; %bb.176:                              ;   in Loop: Header=BB256_13 Depth=1
	v_bfe_u32 v10, v9, 16, 7
	v_cmp_ne_u32_e64 s[4:5], s53, v10
	v_mov_b32_e32 v53, 0x7c01
	s_and_saveexec_b64 s[44:45], s[4:5]
	s_cbranch_execz .LBB256_178
; %bb.177:                              ;   in Loop: Header=BB256_13 Depth=1
	v_and_b32_e32 v13, 7, v1
	v_ffbh_u32_e32 v53, v13
	v_min_u32_e32 v56, 32, v53
	v_subrev_u32_e32 v53, 28, v56
	v_lshlrev_b64 v[53:54], v53, v[1:2]
	v_lshrrev_b32_e32 v55, 3, v10
	v_sub_u32_e32 v54, 29, v56
	v_cmp_gt_u32_e64 s[4:5], 8, v10
	v_cndmask_b32_e64 v10, v55, v54, s[4:5]
	v_lshl_add_u32 v10, v10, 10, v22
	v_lshlrev_b32_e32 v1, 8, v1
	v_and_b32_e32 v53, 7, v53
	v_and_b32_e32 v10, 0xfc00, v10
	v_cndmask_b32_e64 v13, v13, v53, s[4:5]
	v_and_or_b32 v1, v1, s54, v10
	v_lshl_or_b32 v53, v13, 7, v1
.LBB256_178:                            ;   in Loop: Header=BB256_13 Depth=1
	s_or_b64 exec, exec, s[44:45]
.LBB256_179:                            ;   in Loop: Header=BB256_13 Depth=1
	s_or_b64 exec, exec, s[42:43]
.LBB256_180:                            ;   in Loop: Header=BB256_13 Depth=1
	s_or_b64 exec, exec, s[40:41]
	v_cmp_lt_u32_e64 s[4:5], s55, v9
	s_and_saveexec_b64 s[40:41], s[4:5]
	s_cbranch_execz .LBB256_186
; %bb.181:                              ;   in Loop: Header=BB256_13 Depth=1
	v_lshrrev_b32_e32 v1, 24, v9
	v_cmp_ne_u32_e64 s[4:5], s52, v1
	v_bfrev_b32_e32 v52, 1
	s_and_saveexec_b64 s[42:43], s[4:5]
	s_cbranch_execz .LBB256_185
; %bb.182:                              ;   in Loop: Header=BB256_13 Depth=1
	v_and_b32_e32 v9, 0x7f, v1
	v_cmp_ne_u32_e64 s[4:5], s53, v9
	v_mov_b32_e32 v52, 0x7c010000
	s_and_saveexec_b64 s[44:45], s[4:5]
	s_cbranch_execz .LBB256_184
; %bb.183:                              ;   in Loop: Header=BB256_13 Depth=1
	v_and_b32_e32 v10, 7, v1
	v_ffbh_u32_e32 v52, v10
	v_min_u32_e32 v52, 32, v52
	v_lshrrev_b32_e32 v13, 3, v9
	v_subrev_u32_e32 v54, 28, v52
	v_sub_u32_e32 v52, 29, v52
	v_cmp_gt_u32_e64 s[4:5], 8, v9
	v_lshlrev_b64 v[54:55], v54, v[1:2]
	v_cndmask_b32_e64 v9, v13, v52, s[4:5]
	v_lshlrev_b32_e32 v1, 8, v1
	v_lshl_add_u32 v9, v9, 10, v22
	v_and_b32_e32 v13, 7, v54
	v_and_or_b32 v1, v1, s54, v9
	v_cndmask_b32_e64 v10, v10, v13, s[4:5]
	v_lshlrev_b32_e32 v1, 16, v1
	v_lshl_or_b32 v52, v10, 23, v1
.LBB256_184:                            ;   in Loop: Header=BB256_13 Depth=1
	s_or_b64 exec, exec, s[44:45]
.LBB256_185:                            ;   in Loop: Header=BB256_13 Depth=1
	s_or_b64 exec, exec, s[42:43]
.LBB256_186:                            ;   in Loop: Header=BB256_13 Depth=1
	s_or_b64 exec, exec, s[40:41]
	global_load_dword v9, v[7:8], off offset:1544
	v_mov_b32_e32 v54, 0
	v_mov_b32_e32 v55, 0
	s_waitcnt vmcnt(0)
	v_cmp_ne_u16_sdwa s[4:5], v9, v2 src0_sel:BYTE_0 src1_sel:DWORD
	s_and_saveexec_b64 s[40:41], s[4:5]
	s_cbranch_execz .LBB256_192
; %bb.187:                              ;   in Loop: Header=BB256_13 Depth=1
	v_cmp_ne_u16_sdwa s[4:5], v9, s52 src0_sel:BYTE_0 src1_sel:DWORD
	v_mov_b32_e32 v55, 0x8000
	s_and_saveexec_b64 s[42:43], s[4:5]
	s_cbranch_execz .LBB256_191
; %bb.188:                              ;   in Loop: Header=BB256_13 Depth=1
	v_and_b32_e32 v1, 0x7f, v9
	v_cmp_ne_u32_e64 s[4:5], s53, v1
	v_mov_b32_e32 v55, 0x7c01
	s_and_saveexec_b64 s[44:45], s[4:5]
	s_cbranch_execz .LBB256_190
; %bb.189:                              ;   in Loop: Header=BB256_13 Depth=1
	v_and_b32_e32 v10, 7, v9
	v_ffbh_u32_e32 v55, v10
	v_min_u32_e32 v57, 32, v55
	v_subrev_u32_e32 v55, 28, v57
	v_lshlrev_b64 v[55:56], v55, v[9:10]
	v_lshrrev_b32_e32 v13, 3, v1
	v_sub_u32_e32 v56, 29, v57
	v_cmp_gt_u32_e64 s[4:5], 8, v1
	v_cndmask_b32_e64 v1, v13, v56, s[4:5]
	v_lshl_add_u32 v1, v1, 10, v22
	v_lshlrev_b32_e32 v13, 8, v9
	v_and_b32_e32 v55, 7, v55
	v_and_b32_e32 v1, 0xfc00, v1
	v_cndmask_b32_e64 v10, v10, v55, s[4:5]
	v_and_or_b32 v1, v13, s54, v1
	v_lshl_or_b32 v55, v10, 7, v1
.LBB256_190:                            ;   in Loop: Header=BB256_13 Depth=1
	s_or_b64 exec, exec, s[44:45]
.LBB256_191:                            ;   in Loop: Header=BB256_13 Depth=1
	s_or_b64 exec, exec, s[42:43]
.LBB256_192:                            ;   in Loop: Header=BB256_13 Depth=1
	s_or_b64 exec, exec, s[40:41]
	v_lshrrev_b16_e32 v1, 8, v9
	v_cmp_ne_u16_e64 s[4:5], 0, v1
	s_and_saveexec_b64 s[40:41], s[4:5]
	s_cbranch_execz .LBB256_198
; %bb.193:                              ;   in Loop: Header=BB256_13 Depth=1
	v_cmp_ne_u16_e64 s[4:5], s52, v1
	v_bfrev_b32_e32 v54, 1
	s_and_saveexec_b64 s[42:43], s[4:5]
	s_cbranch_execz .LBB256_197
; %bb.194:                              ;   in Loop: Header=BB256_13 Depth=1
	v_and_b32_e32 v10, 0x7f, v1
	v_cmp_ne_u32_e64 s[4:5], s53, v10
	v_mov_b32_e32 v54, 0x7c010000
	s_and_saveexec_b64 s[44:45], s[4:5]
	s_cbranch_execz .LBB256_196
; %bb.195:                              ;   in Loop: Header=BB256_13 Depth=1
	v_and_b32_e32 v13, 7, v1
	v_ffbh_u32_e32 v56, v13
	v_min_u32_e32 v58, 32, v56
	v_subrev_u32_e32 v56, 28, v58
	v_lshlrev_b64 v[56:57], v56, v[1:2]
	v_lshrrev_b32_e32 v54, 3, v10
	v_sub_u32_e32 v57, 29, v58
	v_cmp_gt_u32_e64 s[4:5], 8, v10
	v_cndmask_b32_e64 v10, v54, v57, s[4:5]
	v_lshlrev_b32_e32 v1, 8, v1
	v_lshl_add_u32 v10, v10, 10, v22
	v_and_b32_e32 v54, 7, v56
	v_and_or_b32 v1, v1, s54, v10
	v_cndmask_b32_e64 v13, v13, v54, s[4:5]
	v_lshlrev_b32_e32 v1, 16, v1
	v_lshl_or_b32 v54, v13, 23, v1
.LBB256_196:                            ;   in Loop: Header=BB256_13 Depth=1
	s_or_b64 exec, exec, s[44:45]
.LBB256_197:                            ;   in Loop: Header=BB256_13 Depth=1
	s_or_b64 exec, exec, s[42:43]
.LBB256_198:                            ;   in Loop: Header=BB256_13 Depth=1
	s_or_b64 exec, exec, s[40:41]
	v_lshrrev_b32_e32 v1, 16, v9
	v_cmp_ne_u16_sdwa s[4:5], v1, v2 src0_sel:BYTE_0 src1_sel:DWORD
	v_mov_b32_e32 v56, 0
	v_mov_b32_e32 v57, 0
	s_and_saveexec_b64 s[40:41], s[4:5]
	s_cbranch_execz .LBB256_204
; %bb.199:                              ;   in Loop: Header=BB256_13 Depth=1
	v_cmp_ne_u16_sdwa s[4:5], v1, s52 src0_sel:BYTE_0 src1_sel:DWORD
	v_mov_b32_e32 v57, 0x8000
	s_and_saveexec_b64 s[42:43], s[4:5]
	s_cbranch_execz .LBB256_203
; %bb.200:                              ;   in Loop: Header=BB256_13 Depth=1
	v_bfe_u32 v10, v9, 16, 7
	v_cmp_ne_u32_e64 s[4:5], s53, v10
	v_mov_b32_e32 v57, 0x7c01
	s_and_saveexec_b64 s[44:45], s[4:5]
	s_cbranch_execz .LBB256_202
; %bb.201:                              ;   in Loop: Header=BB256_13 Depth=1
	v_and_b32_e32 v13, 7, v1
	v_lshrrev_b32_e32 v59, 3, v10
	v_cmp_gt_u32_e64 s[4:5], 8, v10
	v_ffbh_u32_e32 v10, v13
	v_min_u32_e32 v10, 32, v10
	v_subrev_u32_e32 v57, 28, v10
	v_sub_u32_e32 v10, 29, v10
	v_lshlrev_b64 v[57:58], v57, v[1:2]
	v_cndmask_b32_e64 v10, v59, v10, s[4:5]
	v_lshl_add_u32 v10, v10, 10, v22
	v_lshlrev_b32_e32 v1, 8, v1
	v_and_b32_e32 v57, 7, v57
	v_and_b32_e32 v10, 0xfc00, v10
	v_cndmask_b32_e64 v13, v13, v57, s[4:5]
	v_and_or_b32 v1, v1, s54, v10
	v_lshl_or_b32 v57, v13, 7, v1
.LBB256_202:                            ;   in Loop: Header=BB256_13 Depth=1
	s_or_b64 exec, exec, s[44:45]
.LBB256_203:                            ;   in Loop: Header=BB256_13 Depth=1
	s_or_b64 exec, exec, s[42:43]
.LBB256_204:                            ;   in Loop: Header=BB256_13 Depth=1
	s_or_b64 exec, exec, s[40:41]
	v_cmp_lt_u32_e64 s[4:5], s55, v9
	s_and_saveexec_b64 s[40:41], s[4:5]
	s_cbranch_execz .LBB256_210
; %bb.205:                              ;   in Loop: Header=BB256_13 Depth=1
	v_lshrrev_b32_e32 v1, 24, v9
	v_cmp_ne_u32_e64 s[4:5], s52, v1
	v_bfrev_b32_e32 v56, 1
	s_and_saveexec_b64 s[42:43], s[4:5]
	s_cbranch_execz .LBB256_209
; %bb.206:                              ;   in Loop: Header=BB256_13 Depth=1
	v_and_b32_e32 v9, 0x7f, v1
	v_cmp_ne_u32_e64 s[4:5], s53, v9
	v_mov_b32_e32 v56, 0x7c010000
	s_and_saveexec_b64 s[44:45], s[4:5]
	s_cbranch_execz .LBB256_208
; %bb.207:                              ;   in Loop: Header=BB256_13 Depth=1
	v_and_b32_e32 v10, 7, v1
	v_ffbh_u32_e32 v56, v10
	v_min_u32_e32 v56, 32, v56
	v_lshrrev_b32_e32 v13, 3, v9
	v_subrev_u32_e32 v58, 28, v56
	v_sub_u32_e32 v56, 29, v56
	v_cmp_gt_u32_e64 s[4:5], 8, v9
	v_lshlrev_b64 v[58:59], v58, v[1:2]
	v_cndmask_b32_e64 v9, v13, v56, s[4:5]
	v_lshlrev_b32_e32 v1, 8, v1
	v_lshl_add_u32 v9, v9, 10, v22
	v_and_b32_e32 v13, 7, v58
	v_and_or_b32 v1, v1, s54, v9
	v_cndmask_b32_e64 v10, v10, v13, s[4:5]
	v_lshlrev_b32_e32 v1, 16, v1
	v_lshl_or_b32 v56, v10, 23, v1
.LBB256_208:                            ;   in Loop: Header=BB256_13 Depth=1
	s_or_b64 exec, exec, s[44:45]
.LBB256_209:                            ;   in Loop: Header=BB256_13 Depth=1
	s_or_b64 exec, exec, s[42:43]
.LBB256_210:                            ;   in Loop: Header=BB256_13 Depth=1
	s_or_b64 exec, exec, s[40:41]
	global_load_dword v9, v[7:8], off offset:2048
	v_mov_b32_e32 v58, 0
	v_mov_b32_e32 v59, 0
	s_waitcnt vmcnt(0)
	v_cmp_ne_u16_sdwa s[4:5], v9, v2 src0_sel:BYTE_0 src1_sel:DWORD
	s_and_saveexec_b64 s[40:41], s[4:5]
	s_cbranch_execz .LBB256_216
; %bb.211:                              ;   in Loop: Header=BB256_13 Depth=1
	v_cmp_ne_u16_sdwa s[4:5], v9, s52 src0_sel:BYTE_0 src1_sel:DWORD
	v_mov_b32_e32 v59, 0x8000
	s_and_saveexec_b64 s[42:43], s[4:5]
	s_cbranch_execz .LBB256_215
; %bb.212:                              ;   in Loop: Header=BB256_13 Depth=1
	v_and_b32_e32 v1, 0x7f, v9
	v_cmp_ne_u32_e64 s[4:5], s53, v1
	v_mov_b32_e32 v59, 0x7c01
	s_and_saveexec_b64 s[44:45], s[4:5]
	s_cbranch_execz .LBB256_214
; %bb.213:                              ;   in Loop: Header=BB256_13 Depth=1
	v_and_b32_e32 v10, 7, v9
	v_lshrrev_b32_e32 v13, 3, v1
	v_cmp_gt_u32_e64 s[4:5], 8, v1
	v_ffbh_u32_e32 v1, v10
	v_min_u32_e32 v1, 32, v1
	v_subrev_u32_e32 v59, 28, v1
	v_sub_u32_e32 v1, 29, v1
	v_lshlrev_b64 v[59:60], v59, v[9:10]
	v_cndmask_b32_e64 v1, v13, v1, s[4:5]
	v_lshl_add_u32 v1, v1, 10, v22
	v_lshlrev_b32_e32 v13, 8, v9
	v_and_b32_e32 v59, 7, v59
	v_and_b32_e32 v1, 0xfc00, v1
	v_cndmask_b32_e64 v10, v10, v59, s[4:5]
	v_and_or_b32 v1, v13, s54, v1
	v_lshl_or_b32 v59, v10, 7, v1
.LBB256_214:                            ;   in Loop: Header=BB256_13 Depth=1
	s_or_b64 exec, exec, s[44:45]
.LBB256_215:                            ;   in Loop: Header=BB256_13 Depth=1
	s_or_b64 exec, exec, s[42:43]
.LBB256_216:                            ;   in Loop: Header=BB256_13 Depth=1
	s_or_b64 exec, exec, s[40:41]
	v_lshrrev_b16_e32 v1, 8, v9
	v_cmp_ne_u16_e64 s[4:5], 0, v1
	s_and_saveexec_b64 s[40:41], s[4:5]
	s_cbranch_execz .LBB256_222
; %bb.217:                              ;   in Loop: Header=BB256_13 Depth=1
	v_cmp_ne_u16_e64 s[4:5], s52, v1
	v_bfrev_b32_e32 v58, 1
	s_and_saveexec_b64 s[42:43], s[4:5]
	s_cbranch_execz .LBB256_221
; %bb.218:                              ;   in Loop: Header=BB256_13 Depth=1
	v_and_b32_e32 v10, 0x7f, v1
	v_cmp_ne_u32_e64 s[4:5], s53, v10
	v_mov_b32_e32 v58, 0x7c010000
	s_and_saveexec_b64 s[44:45], s[4:5]
	s_cbranch_execz .LBB256_220
; %bb.219:                              ;   in Loop: Header=BB256_13 Depth=1
	v_and_b32_e32 v13, 7, v1
	v_lshrrev_b32_e32 v58, 3, v10
	v_cmp_gt_u32_e64 s[4:5], 8, v10
	v_ffbh_u32_e32 v10, v13
	v_min_u32_e32 v10, 32, v10
	v_subrev_u32_e32 v60, 28, v10
	v_sub_u32_e32 v10, 29, v10
	v_lshlrev_b64 v[60:61], v60, v[1:2]
	v_cndmask_b32_e64 v10, v58, v10, s[4:5]
	v_lshlrev_b32_e32 v1, 8, v1
	v_lshl_add_u32 v10, v10, 10, v22
	v_and_b32_e32 v58, 7, v60
	v_and_or_b32 v1, v1, s54, v10
	v_cndmask_b32_e64 v13, v13, v58, s[4:5]
	v_lshlrev_b32_e32 v1, 16, v1
	v_lshl_or_b32 v58, v13, 23, v1
.LBB256_220:                            ;   in Loop: Header=BB256_13 Depth=1
	s_or_b64 exec, exec, s[44:45]
.LBB256_221:                            ;   in Loop: Header=BB256_13 Depth=1
	s_or_b64 exec, exec, s[42:43]
.LBB256_222:                            ;   in Loop: Header=BB256_13 Depth=1
	s_or_b64 exec, exec, s[40:41]
	v_lshrrev_b32_e32 v1, 16, v9
	v_cmp_ne_u16_sdwa s[4:5], v1, v2 src0_sel:BYTE_0 src1_sel:DWORD
	v_mov_b32_e32 v60, 0
	v_mov_b32_e32 v61, 0
	s_and_saveexec_b64 s[40:41], s[4:5]
	s_cbranch_execz .LBB256_228
; %bb.223:                              ;   in Loop: Header=BB256_13 Depth=1
	v_cmp_ne_u16_sdwa s[4:5], v1, s52 src0_sel:BYTE_0 src1_sel:DWORD
	v_mov_b32_e32 v61, 0x8000
	s_and_saveexec_b64 s[42:43], s[4:5]
	s_cbranch_execz .LBB256_227
; %bb.224:                              ;   in Loop: Header=BB256_13 Depth=1
	v_bfe_u32 v10, v9, 16, 7
	v_cmp_ne_u32_e64 s[4:5], s53, v10
	v_mov_b32_e32 v61, 0x7c01
	s_and_saveexec_b64 s[44:45], s[4:5]
	s_cbranch_execz .LBB256_226
; %bb.225:                              ;   in Loop: Header=BB256_13 Depth=1
	v_and_b32_e32 v13, 7, v1
	v_lshrrev_b32_e32 v63, 3, v10
	v_cmp_gt_u32_e64 s[4:5], 8, v10
	v_ffbh_u32_e32 v10, v13
	v_min_u32_e32 v10, 32, v10
	v_subrev_u32_e32 v61, 28, v10
	v_sub_u32_e32 v10, 29, v10
	v_lshlrev_b64 v[61:62], v61, v[1:2]
	v_cndmask_b32_e64 v10, v63, v10, s[4:5]
	v_lshl_add_u32 v10, v10, 10, v22
	v_lshlrev_b32_e32 v1, 8, v1
	v_and_b32_e32 v61, 7, v61
	v_and_b32_e32 v10, 0xfc00, v10
	v_cndmask_b32_e64 v13, v13, v61, s[4:5]
	v_and_or_b32 v1, v1, s54, v10
	v_lshl_or_b32 v61, v13, 7, v1
.LBB256_226:                            ;   in Loop: Header=BB256_13 Depth=1
	s_or_b64 exec, exec, s[44:45]
.LBB256_227:                            ;   in Loop: Header=BB256_13 Depth=1
	s_or_b64 exec, exec, s[42:43]
.LBB256_228:                            ;   in Loop: Header=BB256_13 Depth=1
	s_or_b64 exec, exec, s[40:41]
	v_cmp_lt_u32_e64 s[4:5], s55, v9
	s_and_saveexec_b64 s[40:41], s[4:5]
	s_cbranch_execz .LBB256_234
; %bb.229:                              ;   in Loop: Header=BB256_13 Depth=1
	v_lshrrev_b32_e32 v1, 24, v9
	v_cmp_ne_u32_e64 s[4:5], s52, v1
	v_bfrev_b32_e32 v60, 1
	s_and_saveexec_b64 s[42:43], s[4:5]
	s_cbranch_execz .LBB256_233
; %bb.230:                              ;   in Loop: Header=BB256_13 Depth=1
	v_and_b32_e32 v9, 0x7f, v1
	v_cmp_ne_u32_e64 s[4:5], s53, v9
	v_mov_b32_e32 v60, 0x7c010000
	s_and_saveexec_b64 s[44:45], s[4:5]
	s_cbranch_execz .LBB256_232
; %bb.231:                              ;   in Loop: Header=BB256_13 Depth=1
	v_and_b32_e32 v13, 7, v1
	v_lshrrev_b32_e32 v60, 3, v9
	v_cmp_gt_u32_e64 s[4:5], 8, v9
	v_ffbh_u32_e32 v9, v13
	v_min_u32_e32 v62, 32, v9
	v_subrev_u32_e32 v9, 28, v62
	v_lshlrev_b64 v[9:10], v9, v[1:2]
	v_sub_u32_e32 v10, 29, v62
	v_cndmask_b32_e64 v10, v60, v10, s[4:5]
	v_lshlrev_b32_e32 v1, 8, v1
	v_lshl_add_u32 v10, v10, 10, v22
	v_and_b32_e32 v9, 7, v9
	v_and_or_b32 v1, v1, s54, v10
	v_cndmask_b32_e64 v9, v13, v9, s[4:5]
	v_lshlrev_b32_e32 v1, 16, v1
	v_lshl_or_b32 v60, v9, 23, v1
.LBB256_232:                            ;   in Loop: Header=BB256_13 Depth=1
	s_or_b64 exec, exec, s[44:45]
.LBB256_233:                            ;   in Loop: Header=BB256_13 Depth=1
	s_or_b64 exec, exec, s[42:43]
.LBB256_234:                            ;   in Loop: Header=BB256_13 Depth=1
	s_or_b64 exec, exec, s[40:41]
	global_load_dword v7, v[7:8], off offset:2056
	v_mov_b32_e32 v62, 0
	v_mov_b32_e32 v63, 0
	s_waitcnt vmcnt(0)
	v_cmp_ne_u16_sdwa s[4:5], v7, v2 src0_sel:BYTE_0 src1_sel:DWORD
	s_and_saveexec_b64 s[40:41], s[4:5]
	s_cbranch_execz .LBB256_240
; %bb.235:                              ;   in Loop: Header=BB256_13 Depth=1
	v_cmp_ne_u16_sdwa s[4:5], v7, s52 src0_sel:BYTE_0 src1_sel:DWORD
	v_mov_b32_e32 v63, 0x8000
	s_and_saveexec_b64 s[42:43], s[4:5]
	s_cbranch_execz .LBB256_239
; %bb.236:                              ;   in Loop: Header=BB256_13 Depth=1
	v_and_b32_e32 v1, 0x7f, v7
	v_cmp_ne_u32_e64 s[4:5], s53, v1
	v_mov_b32_e32 v63, 0x7c01
	s_and_saveexec_b64 s[44:45], s[4:5]
	s_cbranch_execz .LBB256_238
; %bb.237:                              ;   in Loop: Header=BB256_13 Depth=1
	v_and_b32_e32 v10, 7, v7
	v_lshrrev_b32_e32 v13, 3, v1
	v_cmp_gt_u32_e64 s[4:5], 8, v1
	v_ffbh_u32_e32 v1, v10
	v_min_u32_e32 v1, 32, v1
	v_subrev_u32_e32 v8, 28, v1
	v_sub_u32_e32 v1, 29, v1
	v_lshlrev_b64 v[8:9], v8, v[7:8]
	v_cndmask_b32_e64 v1, v13, v1, s[4:5]
	v_lshl_add_u32 v1, v1, 10, v22
	v_lshlrev_b32_e32 v9, 8, v7
	v_and_b32_e32 v8, 7, v8
	v_and_b32_e32 v1, 0xfc00, v1
	v_cndmask_b32_e64 v8, v10, v8, s[4:5]
	v_and_or_b32 v1, v9, s54, v1
	v_lshl_or_b32 v63, v8, 7, v1
.LBB256_238:                            ;   in Loop: Header=BB256_13 Depth=1
	s_or_b64 exec, exec, s[44:45]
.LBB256_239:                            ;   in Loop: Header=BB256_13 Depth=1
	s_or_b64 exec, exec, s[42:43]
.LBB256_240:                            ;   in Loop: Header=BB256_13 Depth=1
	s_or_b64 exec, exec, s[40:41]
	v_lshrrev_b16_e32 v1, 8, v7
	v_cmp_ne_u16_e64 s[4:5], 0, v1
	s_and_saveexec_b64 s[40:41], s[4:5]
	s_cbranch_execz .LBB256_246
; %bb.241:                              ;   in Loop: Header=BB256_13 Depth=1
	v_cmp_ne_u16_e64 s[4:5], s52, v1
	v_bfrev_b32_e32 v62, 1
	s_and_saveexec_b64 s[42:43], s[4:5]
	s_cbranch_execz .LBB256_245
; %bb.242:                              ;   in Loop: Header=BB256_13 Depth=1
	v_and_b32_e32 v8, 0x7f, v1
	v_cmp_ne_u32_e64 s[4:5], s53, v8
	v_mov_b32_e32 v62, 0x7c010000
	s_and_saveexec_b64 s[44:45], s[4:5]
	s_cbranch_execz .LBB256_244
; %bb.243:                              ;   in Loop: Header=BB256_13 Depth=1
	v_and_b32_e32 v10, 7, v1
	v_lshrrev_b32_e32 v13, 3, v8
	v_cmp_gt_u32_e64 s[4:5], 8, v8
	v_ffbh_u32_e32 v8, v10
	v_min_u32_e32 v62, 32, v8
	v_subrev_u32_e32 v8, 28, v62
	v_lshlrev_b64 v[8:9], v8, v[1:2]
	v_sub_u32_e32 v9, 29, v62
	v_cndmask_b32_e64 v9, v13, v9, s[4:5]
	v_lshlrev_b32_e32 v1, 8, v1
	v_lshl_add_u32 v9, v9, 10, v22
	v_and_b32_e32 v8, 7, v8
	v_and_or_b32 v1, v1, s54, v9
	v_cndmask_b32_e64 v8, v10, v8, s[4:5]
	v_lshlrev_b32_e32 v1, 16, v1
	v_lshl_or_b32 v62, v8, 23, v1
.LBB256_244:                            ;   in Loop: Header=BB256_13 Depth=1
	s_or_b64 exec, exec, s[44:45]
.LBB256_245:                            ;   in Loop: Header=BB256_13 Depth=1
	s_or_b64 exec, exec, s[42:43]
.LBB256_246:                            ;   in Loop: Header=BB256_13 Depth=1
	s_or_b64 exec, exec, s[40:41]
	v_lshrrev_b32_e32 v1, 16, v7
	v_cmp_ne_u16_sdwa s[4:5], v1, v2 src0_sel:BYTE_0 src1_sel:DWORD
	v_mov_b32_e32 v13, 0
	v_mov_b32_e32 v10, 0
	s_and_saveexec_b64 s[40:41], s[4:5]
	s_cbranch_execz .LBB256_252
; %bb.247:                              ;   in Loop: Header=BB256_13 Depth=1
	v_cmp_ne_u16_sdwa s[4:5], v1, s52 src0_sel:BYTE_0 src1_sel:DWORD
	v_mov_b32_e32 v10, 0x8000
	s_and_saveexec_b64 s[42:43], s[4:5]
	s_cbranch_execz .LBB256_251
; %bb.248:                              ;   in Loop: Header=BB256_13 Depth=1
	v_bfe_u32 v8, v7, 16, 7
	v_cmp_ne_u32_e64 s[4:5], s53, v8
	v_mov_b32_e32 v10, 0x7c01
	s_and_saveexec_b64 s[44:45], s[4:5]
	s_cbranch_execz .LBB256_250
; %bb.249:                              ;   in Loop: Header=BB256_13 Depth=1
	v_and_b32_e32 v10, 7, v1
	v_lshrrev_b32_e32 v14, 3, v8
	v_cmp_gt_u32_e64 s[4:5], 8, v8
	v_ffbh_u32_e32 v8, v10
	v_min_u32_e32 v15, 32, v8
	v_subrev_u32_e32 v8, 28, v15
	v_lshlrev_b64 v[8:9], v8, v[1:2]
	v_sub_u32_e32 v9, 29, v15
	v_cndmask_b32_e64 v9, v14, v9, s[4:5]
	v_lshl_add_u32 v9, v9, 10, v22
	v_lshlrev_b32_e32 v1, 8, v1
	v_and_b32_e32 v8, 7, v8
	v_and_b32_e32 v9, 0xfc00, v9
	v_cndmask_b32_e64 v8, v10, v8, s[4:5]
	v_and_or_b32 v1, v1, s54, v9
	v_lshl_or_b32 v10, v8, 7, v1
.LBB256_250:                            ;   in Loop: Header=BB256_13 Depth=1
	s_or_b64 exec, exec, s[44:45]
.LBB256_251:                            ;   in Loop: Header=BB256_13 Depth=1
	s_or_b64 exec, exec, s[42:43]
.LBB256_252:                            ;   in Loop: Header=BB256_13 Depth=1
	s_or_b64 exec, exec, s[40:41]
	v_cmp_lt_u32_e64 s[4:5], s55, v7
	s_and_saveexec_b64 s[40:41], s[4:5]
	s_cbranch_execz .LBB256_258
; %bb.253:                              ;   in Loop: Header=BB256_13 Depth=1
	v_lshrrev_b32_e32 v1, 24, v7
	v_cmp_ne_u32_e64 s[4:5], s52, v1
	v_bfrev_b32_e32 v13, 1
	s_and_saveexec_b64 s[42:43], s[4:5]
	s_cbranch_execz .LBB256_257
; %bb.254:                              ;   in Loop: Header=BB256_13 Depth=1
	v_and_b32_e32 v7, 0x7f, v1
	v_cmp_ne_u32_e64 s[4:5], s53, v7
	v_mov_b32_e32 v13, 0x7c010000
	s_and_saveexec_b64 s[44:45], s[4:5]
	s_cbranch_execz .LBB256_256
; %bb.255:                              ;   in Loop: Header=BB256_13 Depth=1
	v_and_b32_e32 v9, 7, v1
	v_lshrrev_b32_e32 v13, 3, v7
	v_cmp_gt_u32_e64 s[4:5], 8, v7
	v_ffbh_u32_e32 v7, v9
	v_min_u32_e32 v14, 32, v7
	v_subrev_u32_e32 v7, 28, v14
	v_lshlrev_b64 v[7:8], v7, v[1:2]
	v_sub_u32_e32 v8, 29, v14
	v_cndmask_b32_e64 v8, v13, v8, s[4:5]
	v_lshlrev_b32_e32 v1, 8, v1
	v_lshl_add_u32 v8, v8, 10, v22
	v_and_b32_e32 v7, 7, v7
	v_and_or_b32 v1, v1, s54, v8
	v_cndmask_b32_e64 v7, v9, v7, s[4:5]
	v_lshlrev_b32_e32 v1, 16, v1
	v_lshl_or_b32 v13, v7, 23, v1
.LBB256_256:                            ;   in Loop: Header=BB256_13 Depth=1
	s_or_b64 exec, exec, s[44:45]
.LBB256_257:                            ;   in Loop: Header=BB256_13 Depth=1
	s_or_b64 exec, exec, s[42:43]
.LBB256_258:                            ;   in Loop: Header=BB256_13 Depth=1
	s_or_b64 exec, exec, s[40:41]
	v_or_b32_e32 v14, v54, v55
	v_or_b32_e32 v1, v58, v59
	v_fma_mixlo_f16 v59, v25, v14, 0 op_sel_hi:[0,1,0]
	v_or_b32_e32 v14, v56, v57
	v_fma_mixlo_f16 v55, v25, v14, 0 op_sel_hi:[0,1,0]
	;; [unrolled: 2-line block ×10, first 2 shown]
	v_or_b32_e32 v14, v34, v35
	v_fma_mixlo_f16 v15, v25, v34, 0 op_sel:[0,1,0] op_sel_hi:[0,1,0]
	v_or_b32_e32 v34, v36, v37
	v_fma_mixlo_f16 v35, v25, v34, 0 op_sel_hi:[0,1,0]
	v_or_b32_e32 v31, v30, v31
	v_fma_mixlo_f16 v34, v25, v30, 0 op_sel:[0,1,0] op_sel_hi:[0,1,0]
	v_or_b32_e32 v30, v32, v33
	v_fma_mixlo_f16 v37, v25, v31, 0 op_sel_hi:[0,1,0]
	v_fma_mixlo_f16 v33, v25, v30, 0 op_sel_hi:[0,1,0]
	v_or_b32_e32 v27, v26, v27
	v_fma_mixlo_f16 v31, v25, v26, 0 op_sel:[0,1,0] op_sel_hi:[0,1,0]
	v_or_b32_e32 v26, v28, v29
	ds_read_b64 v[29:30], v16
	v_fma_mixlo_f16 v9, v25, v1, 0 op_sel_hi:[0,1,0]
	v_or_b32_e32 v1, v60, v61
	v_fma_mixlo_f16 v27, v25, v27, 0 op_sel_hi:[0,1,0]
	v_fma_mixlo_f16 v7, v25, v1, 0 op_sel_hi:[0,1,0]
	s_waitcnt lgkmcnt(0)
	v_lshrrev_b32_e32 v3, 16, v29
	v_fma_mixlo_f16 v1, v25, v60, 0 op_sel:[0,1,0] op_sel_hi:[0,1,0]
	v_and_b32_e32 v4, 0xffff, v29
	;;#ASMSTART
	v_cvt_f32_f16 v29, v4;
	;;#ASMEND
	;;#ASMSTART
	v_cvt_f32_f16 v60, v3;
	;;#ASMEND
	v_and_b32_e32 v3, 0xffff, v27
	;;#ASMSTART
	v_cvt_f32_f16 v61, v3;
	;;#ASMEND
	v_and_b32_e32 v3, 0xffff, v31
	v_fma_mixlo_f16 v8, v25, v58, 0 op_sel:[0,1,0] op_sel_hi:[0,1,0]
	v_fma_mixlo_f16 v58, v25, v54, 0 op_sel:[0,1,0] op_sel_hi:[0,1,0]
	;; [unrolled: 1-line block ×12, first 2 shown]
	v_fma_mixlo_f16 v32, v25, v26, 0 op_sel_hi:[0,1,0]
	v_fma_mixlo_f16 v28, v25, v28, 0 op_sel:[0,1,0] op_sel_hi:[0,1,0]
	v_or_b32_e32 v41, v62, v63
	v_fma_mixlo_f16 v26, v25, v62, 0 op_sel:[0,1,0] op_sel_hi:[0,1,0]
	;;#ASMSTART
	v_cvt_f32_f16 v62, v3;
	;;#ASMEND
	v_lshrrev_b32_e32 v3, 16, v30
	v_and_b32_e32 v4, 0xffff, v30
	;;#ASMSTART
	v_cvt_f32_f16 v63, v4;
	;;#ASMEND
	;;#ASMSTART
	v_cvt_f32_f16 v20, v3;
	;;#ASMEND
	v_and_b32_e32 v3, 0xffff, v32
	v_and_b32_e32 v4, 0xffff, v28
	;;#ASMSTART
	v_cvt_f32_f16 v3, v3;
	;;#ASMEND
	;;#ASMSTART
	v_cvt_f32_f16 v4, v4;
	;;#ASMEND
	ds_read_b64 v[31:32], v16 offset:8
	v_or_b32_e32 v10, v13, v10
	v_fma_mixlo_f16 v14, v25, v14, 0 op_sel_hi:[0,1,0]
	v_fma_mixlo_f16 v36, v25, v36, 0 op_sel:[0,1,0] op_sel_hi:[0,1,0]
	v_fma_mixlo_f16 v30, v25, v41, 0 op_sel_hi:[0,1,0]
	v_fma_mixlo_f16 v27, v25, v10, 0 op_sel_hi:[0,1,0]
	v_fma_mixlo_f16 v25, v25, v13, 0 op_sel:[0,1,0] op_sel_hi:[0,1,0]
	s_waitcnt lgkmcnt(0)
	v_lshrrev_b32_e32 v13, 16, v31
	v_and_b32_e32 v10, 0xffff, v31
	v_and_b32_e32 v28, 0xffff, v37
	;;#ASMSTART
	v_cvt_f32_f16 v10, v10;
	;;#ASMEND
	;;#ASMSTART
	v_cvt_f32_f16 v13, v13;
	;;#ASMEND
	;; [unrolled: 3-line block ×3, first 2 shown]
	v_and_b32_e32 v31, 0xffff, v34
	;;#ASMSTART
	v_cvt_f32_f16 v31, v31;
	;;#ASMEND
	v_mul_f32_e32 v28, v10, v28
	v_fmac_f32_e32 v28, v29, v61
	v_mul_f32_e32 v29, v13, v31
	v_lshrrev_b32_e32 v13, 16, v32
	v_and_b32_e32 v10, 0xffff, v32
	v_and_b32_e32 v31, 0xffff, v33
	;; [unrolled: 1-line block ×3, first 2 shown]
	;;#ASMSTART
	v_cvt_f32_f16 v10, v10;
	;;#ASMEND
	;;#ASMSTART
	v_cvt_f32_f16 v13, v13;
	;;#ASMEND
	;;#ASMSTART
	v_cvt_f32_f16 v31, v31;
	;;#ASMEND
	;;#ASMSTART
	v_cvt_f32_f16 v32, v32;
	;;#ASMEND
	ds_read_b64 v[33:34], v16 offset:16
	v_mul_f32_e32 v31, v10, v31
	v_mul_f32_e32 v32, v13, v32
	v_fmac_f32_e32 v31, v63, v3
	v_fmac_f32_e32 v32, v20, v4
	s_waitcnt lgkmcnt(0)
	v_lshrrev_b32_e32 v4, 16, v33
	v_and_b32_e32 v3, 0xffff, v33
	v_and_b32_e32 v10, 0xffff, v14
	;; [unrolled: 1-line block ×3, first 2 shown]
	v_lshrrev_b32_e32 v15, 16, v34
	v_and_b32_e32 v14, 0xffff, v34
	v_and_b32_e32 v20, 0xffff, v35
	;; [unrolled: 1-line block ×3, first 2 shown]
	;;#ASMSTART
	v_cvt_f32_f16 v3, v3;
	;;#ASMEND
	;;#ASMSTART
	v_cvt_f32_f16 v4, v4;
	;;#ASMEND
	;; [unrolled: 3-line block ×8, first 2 shown]
	ds_read_b64 v[33:34], v16 offset:24
	v_fmac_f32_e32 v29, v60, v62
	v_fmac_f32_e32 v28, v3, v10
	;; [unrolled: 1-line block ×5, first 2 shown]
	s_waitcnt lgkmcnt(0)
	v_lshrrev_b32_e32 v4, 16, v33
	v_and_b32_e32 v3, 0xffff, v33
	v_and_b32_e32 v10, 0xffff, v45
	v_and_b32_e32 v13, 0xffff, v44
	v_lshrrev_b32_e32 v15, 16, v34
	v_and_b32_e32 v14, 0xffff, v34
	v_and_b32_e32 v20, 0xffff, v39
	v_and_b32_e32 v33, 0xffff, v38
	;;#ASMSTART
	v_cvt_f32_f16 v3, v3;
	;;#ASMEND
	;;#ASMSTART
	v_cvt_f32_f16 v4, v4;
	;;#ASMEND
	;;#ASMSTART
	v_cvt_f32_f16 v10, v10;
	;;#ASMEND
	;;#ASMSTART
	v_cvt_f32_f16 v13, v13;
	;;#ASMEND
	;;#ASMSTART
	v_cvt_f32_f16 v14, v14;
	;;#ASMEND
	;;#ASMSTART
	v_cvt_f32_f16 v15, v15;
	;;#ASMEND
	;;#ASMSTART
	v_cvt_f32_f16 v20, v20;
	;;#ASMEND
	;;#ASMSTART
	v_cvt_f32_f16 v35, v33;
	;;#ASMEND
	ds_read_b64 v[33:34], v16 offset:32
	v_fmac_f32_e32 v28, v3, v10
	v_fmac_f32_e32 v29, v4, v13
	v_fmac_f32_e32 v31, v14, v20
	v_fmac_f32_e32 v32, v15, v35
	s_waitcnt lgkmcnt(0)
	v_lshrrev_b32_e32 v4, 16, v33
	v_and_b32_e32 v3, 0xffff, v33
	v_and_b32_e32 v10, 0xffff, v49
	v_and_b32_e32 v13, 0xffff, v48
	v_lshrrev_b32_e32 v15, 16, v34
	v_and_b32_e32 v14, 0xffff, v34
	v_and_b32_e32 v20, 0xffff, v43
	v_and_b32_e32 v33, 0xffff, v42
	;;#ASMSTART
	v_cvt_f32_f16 v3, v3;
	;;#ASMEND
	;;#ASMSTART
	v_cvt_f32_f16 v4, v4;
	;;#ASMEND
	;;#ASMSTART
	v_cvt_f32_f16 v10, v10;
	;;#ASMEND
	;;#ASMSTART
	v_cvt_f32_f16 v13, v13;
	;;#ASMEND
	;;#ASMSTART
	v_cvt_f32_f16 v14, v14;
	;;#ASMEND
	;;#ASMSTART
	v_cvt_f32_f16 v15, v15;
	;;#ASMEND
	;;#ASMSTART
	v_cvt_f32_f16 v20, v20;
	;;#ASMEND
	;;#ASMSTART
	v_cvt_f32_f16 v35, v33;
	;;#ASMEND
	ds_read_b64 v[33:34], v16 offset:40
	v_fmac_f32_e32 v28, v3, v10
	v_fmac_f32_e32 v29, v4, v13
	v_fmac_f32_e32 v31, v14, v20
	v_fmac_f32_e32 v32, v15, v35
	;; [unrolled: 38-line block ×4, first 2 shown]
	s_waitcnt lgkmcnt(0)
	v_lshrrev_b32_e32 v4, 16, v33
	v_and_b32_e32 v3, 0xffff, v33
	v_and_b32_e32 v10, 0xffff, v59
	;; [unrolled: 1-line block ×3, first 2 shown]
	v_lshrrev_b32_e32 v15, 16, v34
	v_and_b32_e32 v14, 0xffff, v34
	v_and_b32_e32 v20, 0xffff, v55
	;; [unrolled: 1-line block ×3, first 2 shown]
	;;#ASMSTART
	v_cvt_f32_f16 v3, v3;
	;;#ASMEND
	;;#ASMSTART
	v_cvt_f32_f16 v4, v4;
	;;#ASMEND
	;; [unrolled: 3-line block ×8, first 2 shown]
	ds_read_b64 v[33:34], v16 offset:64
	v_fmac_f32_e32 v28, v3, v10
	v_fmac_f32_e32 v29, v4, v13
	v_and_b32_e32 v9, 0xffff, v9
	v_and_b32_e32 v8, 0xffff, v8
	s_waitcnt lgkmcnt(0)
	v_lshrrev_b32_e32 v4, 16, v33
	v_and_b32_e32 v3, 0xffff, v33
	;;#ASMSTART
	v_cvt_f32_f16 v3, v3;
	;;#ASMEND
	;;#ASMSTART
	v_cvt_f32_f16 v4, v4;
	;;#ASMEND
	;; [unrolled: 3-line block ×4, first 2 shown]
	v_lshrrev_b32_e32 v8, 16, v34
	v_and_b32_e32 v13, 0xffff, v34
	v_and_b32_e32 v7, 0xffff, v7
	;; [unrolled: 1-line block ×3, first 2 shown]
	v_fmac_f32_e32 v31, v14, v20
	v_fmac_f32_e32 v32, v15, v35
	;;#ASMSTART
	v_cvt_f32_f16 v13, v13;
	;;#ASMEND
	;;#ASMSTART
	v_cvt_f32_f16 v14, v8;
	;;#ASMEND
	;; [unrolled: 3-line block ×4, first 2 shown]
	ds_read_b64 v[7:8], v16 offset:72
	v_fmac_f32_e32 v28, v3, v9
	v_fmac_f32_e32 v29, v4, v10
	;; [unrolled: 1-line block ×3, first 2 shown]
	v_and_b32_e32 v4, 0xffff, v30
	s_waitcnt lgkmcnt(0)
	v_lshrrev_b32_e32 v3, 16, v7
	v_and_b32_e32 v1, 0xffff, v7
	;;#ASMSTART
	v_cvt_f32_f16 v1, v1;
	;;#ASMEND
	;;#ASMSTART
	v_cvt_f32_f16 v3, v3;
	;;#ASMEND
	;; [unrolled: 3-line block ×3, first 2 shown]
	v_and_b32_e32 v7, 0xffff, v26
	;;#ASMSTART
	v_cvt_f32_f16 v7, v7;
	;;#ASMEND
	v_fmac_f32_e32 v28, v1, v4
	v_fmac_f32_e32 v29, v3, v7
	v_lshrrev_b32_e32 v3, 16, v8
	v_and_b32_e32 v1, 0xffff, v8
	v_and_b32_e32 v4, 0xffff, v27
	v_fmac_f32_e32 v31, v13, v15
	;;#ASMSTART
	v_cvt_f32_f16 v1, v1;
	;;#ASMEND
	;;#ASMSTART
	v_cvt_f32_f16 v3, v3;
	;;#ASMEND
	;; [unrolled: 3-line block ×3, first 2 shown]
	v_and_b32_e32 v7, 0xffff, v25
	v_fmac_f32_e32 v31, v1, v4
	v_and_b32_e32 v4, 64, v23
	;;#ASMSTART
	v_cvt_f32_f16 v7, v7;
	;;#ASMEND
	v_fmac_f32_e32 v32, v3, v7
	v_xor_b32_e32 v3, 1, v23
	v_add_u32_e32 v4, 64, v4
	v_add_f32_e32 v1, v28, v29
	v_cmp_lt_i32_e64 s[4:5], v3, v4
	v_add_f32_e32 v1, v1, v31
	v_cndmask_b32_e64 v3, v23, v3, s[4:5]
	v_add_f32_e32 v1, v32, v1
	v_lshlrev_b32_e32 v3, 2, v3
	ds_bpermute_b32 v7, v3, v1
	s_and_saveexec_b64 s[40:41], vcc
	s_cbranch_execz .LBB256_11
; %bb.259:                              ;   in Loop: Header=BB256_13 Depth=1
	buffer_load_dword v3, off, s[56:59], 0 offset:8 ; 4-byte Folded Reload
	v_bfe_u32 v4, v0, 1, 5
	v_add_u32_e32 v4, v4, v19
	s_waitcnt lgkmcnt(0)
	v_add_f32_e32 v1, v1, v7
	v_cmp_gt_i32_e64 s[4:5], s33, v4
	s_waitcnt vmcnt(0)
	v_add_u32_e32 v3, v3, v19
	v_cvt_f32_i32_e32 v3, v3
	v_mul_f32_e32 v3, s48, v3
	v_cndmask_b32_e64 v3, 0, v3, s[2:3]
	v_fmac_f32_e32 v3, s37, v1
	v_cndmask_b32_e64 v1, 0, v3, s[4:5]
	ds_write_b32 v21, v1
	v_max_f32_e32 v1, v18, v18
	v_max_f32_e32 v1, v1, v3
	v_cndmask_b32_e64 v18, v18, v1, s[4:5]
	s_branch .LBB256_11
.LBB256_260:
	s_or_b64 exec, exec, s[38:39]
	v_lshlrev_b32_e32 v24, 3, v0
	s_waitcnt lgkmcnt(0)
	v_mbcnt_lo_u32_b32 v7, -1, 0
.LBB256_261:
	s_or_b64 exec, exec, s[18:19]
	v_mbcnt_hi_u32_b32 v1, -1, v7
	v_and_b32_e32 v8, 64, v1
	v_add_u32_e32 v9, 64, v8
	v_xor_b32_e32 v2, 32, v1
	v_cmp_lt_i32_e32 vcc, v2, v9
	v_cndmask_b32_e32 v2, v1, v2, vcc
	v_lshlrev_b32_e32 v2, 2, v2
	ds_bpermute_b32 v3, v2, v18
	v_xor_b32_e32 v5, 16, v1
	v_max_f32_e32 v4, v18, v18
	v_cmp_lt_i32_e32 vcc, v5, v9
	v_xor_b32_e32 v6, 8, v1
	s_waitcnt lgkmcnt(0)
	v_max_f32_e32 v3, v3, v3
	v_max_f32_e32 v4, v4, v3
	v_cndmask_b32_e32 v3, v1, v5, vcc
	v_lshlrev_b32_e32 v3, 2, v3
	ds_bpermute_b32 v5, v3, v4
	v_cmp_lt_i32_e32 vcc, v6, v9
	v_xor_b32_e32 v7, 4, v1
	v_xor_b32_e32 v10, 2, v1
	v_and_b32_e32 v14, 63, v0
	s_waitcnt lgkmcnt(0)
	v_max_f32_e32 v5, v5, v5
	v_max_f32_e32 v5, v4, v5
	v_cndmask_b32_e32 v4, v1, v6, vcc
	v_lshlrev_b32_e32 v4, 2, v4
	ds_bpermute_b32 v6, v4, v5
	v_cmp_lt_i32_e32 vcc, v7, v9
	s_waitcnt lgkmcnt(0)
	v_max_f32_e32 v6, v6, v6
	v_max_f32_e32 v6, v5, v6
	v_cndmask_b32_e32 v5, v1, v7, vcc
	v_lshlrev_b32_e32 v5, 2, v5
	ds_bpermute_b32 v7, v5, v6
	v_cmp_lt_i32_e32 vcc, v10, v9
	s_waitcnt lgkmcnt(0)
	v_max_f32_e32 v7, v7, v7
	v_max_f32_e32 v7, v6, v7
	v_cndmask_b32_e32 v6, v1, v10, vcc
	v_lshlrev_b32_e32 v15, 2, v6
	ds_bpermute_b32 v10, v15, v7
	v_cmp_eq_u32_e32 vcc, 0, v14
	v_lshlrev_b32_e32 v6, 2, v11
	s_and_saveexec_b64 s[2:3], vcc
	s_cbranch_execz .LBB256_263
; %bb.262:
	s_waitcnt lgkmcnt(0)
	v_max_f32_e32 v10, v10, v10
	v_max_f32_e32 v7, v7, v7
	;; [unrolled: 1-line block ×3, first 2 shown]
	ds_write_b32 v6, v7 offset:160
.LBB256_263:
	s_or_b64 exec, exec, s[2:3]
	v_cmp_gt_u32_e64 s[2:3], 2, v14
	s_waitcnt lgkmcnt(0)
	v_mov_b32_e32 v10, 0xff7fffff
	v_lshlrev_b32_e32 v7, 2, v14
	s_waitcnt vmcnt(0)
	s_barrier
	s_and_saveexec_b64 s[4:5], s[2:3]
; %bb.264:
	ds_read_b32 v10, v7 offset:160
; %bb.265:
	s_or_b64 exec, exec, s[4:5]
	v_xor_b32_e32 v13, 1, v1
	v_cmp_lt_i32_e64 s[4:5], v13, v9
	v_cndmask_b32_e64 v9, v1, v13, s[4:5]
	v_lshlrev_b32_e32 v16, 2, v9
	s_waitcnt lgkmcnt(0)
	ds_bpermute_b32 v9, v16, v10
	v_max_f32_e32 v10, v10, v10
	v_lshlrev_b32_e32 v8, 2, v8
	s_lshl_b32 s4, s47, 5
	s_min_i32 s37, s4, s33
	s_waitcnt lgkmcnt(0)
	v_max_f32_e32 v9, v9, v9
	v_max_f32_e32 v9, v10, v9
	ds_bpermute_b32 v9, v8, v9
	v_cmp_gt_i32_e64 s[4:5], s37, v0
	v_mov_b32_e32 v8, 0
	s_and_saveexec_b64 s[12:13], s[4:5]
	s_cbranch_execz .LBB256_269
; %bb.266:
	v_mov_b32_e32 v8, 0xb0
	v_lshl_add_u32 v10, v0, 2, v8
	v_mov_b32_e32 v8, 0
	s_mov_b64 s[18:19], 0
	v_mov_b32_e32 v13, v0
.LBB256_267:                            ; =>This Inner Loop Header: Depth=1
	ds_read_b32 v17, v10
	v_add_u32_e32 v13, 0x80, v13
	v_cmp_le_i32_e64 s[6:7], s37, v13
	s_or_b64 s[18:19], s[6:7], s[18:19]
	s_waitcnt lgkmcnt(0)
	v_sub_f32_e32 v17, v17, v9
	v_mul_f32_e32 v17, 0x3fb8aa3b, v17
	v_exp_f32_e32 v17, v17
	ds_write_b32 v10, v17
	v_add_f32_e32 v8, v8, v17
	v_add_u32_e32 v10, 0x200, v10
	s_andn2_b64 exec, exec, s[18:19]
	s_cbranch_execnz .LBB256_267
; %bb.268:
	s_or_b64 exec, exec, s[18:19]
.LBB256_269:
	s_or_b64 exec, exec, s[12:13]
	ds_bpermute_b32 v2, v2, v8
	s_waitcnt lgkmcnt(0)
	v_add_f32_e32 v2, v8, v2
	ds_bpermute_b32 v3, v3, v2
	s_waitcnt lgkmcnt(0)
	v_add_f32_e32 v2, v2, v3
	;; [unrolled: 3-line block ×6, first 2 shown]
	s_and_saveexec_b64 s[6:7], vcc
; %bb.270:
	ds_write_b32 v6, v2 offset:168
; %bb.271:
	s_or_b64 exec, exec, s[6:7]
	s_waitcnt lgkmcnt(0)
	s_barrier
	s_and_saveexec_b64 s[6:7], s[2:3]
; %bb.272:
	ds_read_b32 v2, v7 offset:168
; %bb.273:
	s_or_b64 exec, exec, s[6:7]
	s_waitcnt lgkmcnt(0)
	ds_bpermute_b32 v3, v16, v2
	v_lshlrev_b32_e32 v1, 2, v1
	v_and_b32_e32 v1, 0x100, v1
	s_waitcnt lgkmcnt(0)
	v_add_f32_e32 v2, v2, v3
	ds_bpermute_b32 v1, v1, v2
	s_and_saveexec_b64 s[2:3], s[4:5]
	s_cbranch_execz .LBB256_276
; %bb.274:
	s_waitcnt lgkmcnt(0)
	v_add_f32_e32 v2, 0x358637bd, v1
	v_div_scale_f32 v1, s[4:5], v2, v2, 1.0
	v_div_scale_f32 v3, vcc, 1.0, v2, 1.0
	s_mov_b64 s[4:5], 0
	v_rcp_f32_e32 v4, v1
	v_fma_f32 v5, -v1, v4, 1.0
	v_fmac_f32_e32 v4, v5, v4
	v_mul_f32_e32 v5, v3, v4
	v_fma_f32 v6, -v1, v5, v3
	v_fmac_f32_e32 v5, v6, v4
	v_fma_f32 v1, -v1, v5, v3
	v_div_fmas_f32 v3, v1, v4, v5
	v_mov_b32_e32 v1, 0xb0
	v_lshl_add_u32 v1, v0, 2, v1
	v_div_fixup_f32 v2, v3, v2, 1.0
	v_mov_b32_e32 v3, v0
.LBB256_275:                            ; =>This Inner Loop Header: Depth=1
	ds_read_b32 v4, v1
	v_add_u32_e32 v3, 0x80, v3
	v_cmp_le_i32_e32 vcc, s37, v3
	s_or_b64 s[4:5], vcc, s[4:5]
	s_waitcnt lgkmcnt(0)
	v_mul_f32_e32 v4, v2, v4
	ds_write_b32 v1, v4
	v_add_u32_e32 v1, 0x200, v1
	s_andn2_b64 exec, exec, s[4:5]
	s_cbranch_execnz .LBB256_275
.LBB256_276:
	s_or_b64 exec, exec, s[2:3]
	v_mov_b32_e32 v22, 0
	v_and_b32_e32 v17, 3, v0
	v_mov_b32_e32 v23, 0
	v_mov_b32_e32 v20, 0
	;; [unrolled: 1-line block ×4, first 2 shown]
	s_waitcnt lgkmcnt(0)
	s_barrier
	s_and_saveexec_b64 s[2:3], s[0:1]
	s_cbranch_execz .LBB256_532
; %bb.277:
	s_sub_i32 s37, s16, s21
	s_ashr_i32 s0, s20, 31
	s_add_u32 s1, s34, s20
	s_addc_u32 s0, s35, s0
	s_abs_i32 s22, s22
	v_cvt_f32_u32_e32 v1, s22
	s_sub_i32 s6, 0, s22
	v_and_b32_e32 v3, 0x1f8, v24
	s_add_i32 s35, s47, -1
	v_rcp_iflag_f32_e32 v1, v1
	v_mov_b32_e32 v6, s0
	v_add_co_u32_e32 v3, vcc, s1, v3
	v_mul_f32_e32 v1, 0x4f7ffffe, v1
	v_cvt_u32_f32_e32 v1, v1
	s_lshl_b64 s[0:1], s[30:31], 2
	v_lshrrev_b32_e32 v5, 4, v0
	s_add_u32 s0, s28, s0
	v_mul_lo_u32 v4, s6, v1
	v_and_b32_e32 v5, 60, v5
	s_addc_u32 s1, s29, s1
	s_mov_b32 s4, -1
	v_mul_hi_u32 v7, v1, v4
	v_addc_co_u32_e32 v4, vcc, 0, v6, vcc
	v_add_co_u32_e32 v5, vcc, s0, v5
	v_add_u32_e32 v13, v1, v7
	v_mov_b32_e32 v1, s1
	v_addc_co_u32_e32 v6, vcc, 0, v1, vcc
	v_lshlrev_b32_e32 v1, 5, v17
	v_lshl_or_b32 v1, v11, 7, v1
	v_and_b32_e32 v21, 24, v24
	s_mov_b32 s34, s17
	s_mov_b32 s5, 0xffffff
	v_mov_b32_e32 v2, 0
	v_add_u32_e32 v24, 0xb0, v1
	s_mov_b64 s[6:7], 0
	s_movk_i32 s28, 0x80
	s_movk_i32 s29, 0x7f
	s_mov_b32 s30, 0x8000
	v_mov_b32_e32 v25, 0x2000
	v_mov_b32_e32 v18, 0
	;; [unrolled: 1-line block ×6, first 2 shown]
	s_branch .LBB256_280
.LBB256_278:                            ;   in Loop: Header=BB256_280 Depth=1
	s_or_b64 exec, exec, s[0:1]
	v_add_f32_e32 v9, v9, v10
	v_add_f32_e32 v19, v19, v9
	;; [unrolled: 1-line block ×7, first 2 shown]
	;;#ASMSTART
	v_pk_mul_f16 v7, v37, v7;

	;;#ASMEND
	;;#ASMSTART
	v_pk_mul_f16 v1, v36, v1;

	;;#ASMEND
	v_add_f32_e32 v22, v22, v9
	;;#ASMSTART
	v_pk_mul_f16 v8, v35, v8;

	;;#ASMEND
	;;#ASMSTART
	v_pk_mul_f16 v9, v34, v44;

	;;#ASMEND
	;;#ASMSTART
	v_pk_add_f16 v1, v7, v1;

	;;#ASMEND
	;;#ASMSTART
	v_pk_add_f16 v1, v1, v8;
	;; [unrolled: 4-line block ×3, first 2 shown]

	;;#ASMEND
	v_lshrrev_b32_e32 v7, 16, v1
	v_and_b32_e32 v1, 0xffff, v1
	;;#ASMSTART
	v_cvt_f32_f16 v1, v1;
	;;#ASMEND
	;;#ASMSTART
	v_cvt_f32_f16 v7, v7;
	;;#ASMEND
	v_add_f32_e32 v1, v1, v7
	v_add_f32_e32 v18, v18, v1
.LBB256_279:                            ;   in Loop: Header=BB256_280 Depth=1
	s_or_b64 exec, exec, s[12:13]
	v_add_co_u32_e32 v5, vcc, 8, v5
	v_add_u32_e32 v11, 2, v11
	v_addc_co_u32_e32 v6, vcc, 0, v6, vcc
	v_cmp_le_i32_e32 vcc, s47, v11
	v_add_u32_e32 v12, 64, v12
	s_or_b64 s[6:7], vcc, s[6:7]
	v_add_u32_e32 v24, 0x100, v24
	s_andn2_b64 exec, exec, s[6:7]
	s_cbranch_execz .LBB256_531
.LBB256_280:                            ; =>This Inner Loop Header: Depth=1
	v_mul_hi_u32 v1, v12, s46
	v_mul_lo_u32 v7, v1, s25
	v_add_u32_e32 v8, 1, v1
	v_sub_u32_e32 v7, v12, v7
	v_cmp_le_u32_e32 vcc, s25, v7
	v_cndmask_b32_e32 v1, v1, v8, vcc
	v_subrev_u32_e32 v8, s25, v7
	v_cndmask_b32_e32 v7, v7, v8, vcc
	v_add_u32_e32 v8, 1, v1
	v_cmp_le_u32_e32 vcc, s25, v7
	v_cndmask_b32_e32 v1, v1, v8, vcc
	v_xor_b32_e32 v1, s23, v1
	v_subrev_u32_e32 v1, s23, v1
	v_add_u32_e32 v7, s36, v1
	v_sub_u32_e32 v8, 0, v7
	v_max_i32_e32 v8, v7, v8
	v_mul_hi_u32 v9, v8, v13
	v_ashrrev_i32_e32 v7, 31, v7
	v_cmp_lt_i32_e64 s[0:1], s37, v1
	v_mul_lo_u32 v9, v9, s22
	v_sub_u32_e32 v8, v8, v9
	v_subrev_u32_e32 v9, s22, v8
	v_cmp_le_u32_e32 vcc, s22, v8
	v_cndmask_b32_e32 v8, v8, v9, vcc
	v_subrev_u32_e32 v9, s22, v8
	v_cmp_le_u32_e32 vcc, s22, v8
	v_cndmask_b32_e32 v8, v8, v9, vcc
	v_xor_b32_e32 v8, v8, v7
	v_sub_u32_e32 v7, v8, v7
	v_cmp_eq_u32_e32 vcc, 0, v7
	s_or_b64 s[0:1], vcc, s[0:1]
	s_and_saveexec_b64 s[12:13], s[0:1]
	s_cbranch_execz .LBB256_279
; %bb.281:                              ;   in Loop: Header=BB256_280 Depth=1
	global_load_dword v1, v[5:6], off
	ds_read2_b64 v[7:10], v24 offset1:1
	ds_read2_b64 v[26:29], v24 offset0:2 offset1:3
	s_waitcnt lgkmcnt(1)
	;;#ASMSTART
	v_cvt_f16_f32 v34, v7;

	;;#ASMEND
	;;#ASMSTART
	v_cvt_f16_f32 v35, v8;

	;;#ASMEND
	;; [unrolled: 4-line block ×4, first 2 shown]
	s_waitcnt lgkmcnt(0)
	;;#ASMSTART
	v_cvt_f16_f32 v39, v26;

	;;#ASMEND
	;;#ASMSTART
	v_cvt_f16_f32 v40, v27;

	;;#ASMEND
	;; [unrolled: 4-line block ×4, first 2 shown]
	v_mov_b32_e32 v28, 0
	global_load_dword v27, v28, s[14:15]
	v_mov_b32_e32 v29, 0
	s_waitcnt vmcnt(1)
	v_mad_i64_i32 v[7:8], s[0:1], v1, s34, v[3:4]
	global_load_dwordx2 v[9:10], v[7:8], off
	s_waitcnt vmcnt(0)
	v_cmp_ne_u16_sdwa s[16:17], v9, v2 src0_sel:BYTE_0 src1_sel:DWORD
	s_and_saveexec_b64 s[0:1], s[16:17]
	s_cbranch_execz .LBB256_287
; %bb.282:                              ;   in Loop: Header=BB256_280 Depth=1
	v_cmp_ne_u16_sdwa s[18:19], v9, s28 src0_sel:BYTE_0 src1_sel:DWORD
	v_mov_b32_e32 v29, 0x8000
	s_and_saveexec_b64 s[16:17], s[18:19]
	s_cbranch_execz .LBB256_286
; %bb.283:                              ;   in Loop: Header=BB256_280 Depth=1
	v_and_b32_e32 v1, 0x7f, v9
	v_cmp_ne_u32_e32 vcc, s29, v1
	v_mov_b32_e32 v29, 0x7c01
	s_and_saveexec_b64 s[18:19], vcc
	s_cbranch_execz .LBB256_285
; %bb.284:                              ;   in Loop: Header=BB256_280 Depth=1
	v_and_b32_e32 v26, 7, v9
	v_ffbh_u32_e32 v29, v26
	v_min_u32_e32 v32, 32, v29
	v_subrev_u32_e32 v29, 28, v32
	v_lshlrev_b64 v[29:30], v29, v[9:10]
	v_lshrrev_b32_e32 v31, 3, v1
	v_sub_u32_e32 v30, 29, v32
	v_cmp_gt_u32_e32 vcc, 8, v1
	v_cndmask_b32_e32 v1, v31, v30, vcc
	v_lshl_add_u32 v1, v1, 10, v25
	v_lshlrev_b32_e32 v30, 8, v9
	v_and_b32_e32 v29, 7, v29
	v_and_b32_e32 v1, 0xfc00, v1
	v_cndmask_b32_e32 v26, v26, v29, vcc
	v_and_or_b32 v1, v30, s30, v1
	v_lshl_or_b32 v29, v26, 7, v1
.LBB256_285:                            ;   in Loop: Header=BB256_280 Depth=1
	s_or_b64 exec, exec, s[18:19]
.LBB256_286:                            ;   in Loop: Header=BB256_280 Depth=1
	s_or_b64 exec, exec, s[16:17]
.LBB256_287:                            ;   in Loop: Header=BB256_280 Depth=1
	s_or_b64 exec, exec, s[0:1]
	v_lshrrev_b16_e32 v1, 8, v9
	v_cmp_ne_u16_e32 vcc, 0, v1
	s_and_saveexec_b64 s[0:1], vcc
	s_cbranch_execz .LBB256_293
; %bb.288:                              ;   in Loop: Header=BB256_280 Depth=1
	v_cmp_ne_u16_e32 vcc, s28, v1
	v_bfrev_b32_e32 v28, 1
	s_and_saveexec_b64 s[16:17], vcc
	s_cbranch_execz .LBB256_292
; %bb.289:                              ;   in Loop: Header=BB256_280 Depth=1
	v_and_b32_e32 v26, 0x7f, v1
	v_cmp_ne_u32_e32 vcc, s29, v26
	v_mov_b32_e32 v28, 0x7c010000
	s_and_saveexec_b64 s[18:19], vcc
	s_cbranch_execz .LBB256_291
; %bb.290:                              ;   in Loop: Header=BB256_280 Depth=1
	v_and_b32_e32 v28, 7, v1
	v_ffbh_u32_e32 v30, v28
	v_min_u32_e32 v33, 32, v30
	v_subrev_u32_e32 v30, 28, v33
	v_lshlrev_b64 v[30:31], v30, v[1:2]
	v_lshrrev_b32_e32 v32, 3, v26
	v_sub_u32_e32 v31, 29, v33
	v_cmp_gt_u32_e32 vcc, 8, v26
	v_cndmask_b32_e32 v26, v32, v31, vcc
	v_lshlrev_b32_e32 v1, 8, v1
	v_lshl_add_u32 v26, v26, 10, v25
	v_and_b32_e32 v30, 7, v30
	v_and_or_b32 v1, v1, s30, v26
	v_cndmask_b32_e32 v28, v28, v30, vcc
	v_lshlrev_b32_e32 v1, 16, v1
	v_lshl_or_b32 v28, v28, 23, v1
.LBB256_291:                            ;   in Loop: Header=BB256_280 Depth=1
	s_or_b64 exec, exec, s[18:19]
.LBB256_292:                            ;   in Loop: Header=BB256_280 Depth=1
	s_or_b64 exec, exec, s[16:17]
.LBB256_293:                            ;   in Loop: Header=BB256_280 Depth=1
	s_or_b64 exec, exec, s[0:1]
	v_lshrrev_b32_e32 v1, 16, v9
	v_cmp_ne_u16_sdwa s[16:17], v1, v2 src0_sel:BYTE_0 src1_sel:DWORD
	v_mov_b32_e32 v30, 0
	v_mov_b32_e32 v31, 0
	s_and_saveexec_b64 s[0:1], s[16:17]
	s_cbranch_execz .LBB256_299
; %bb.294:                              ;   in Loop: Header=BB256_280 Depth=1
	v_cmp_ne_u16_sdwa s[18:19], v1, s28 src0_sel:BYTE_0 src1_sel:DWORD
	v_mov_b32_e32 v31, 0x8000
	s_and_saveexec_b64 s[16:17], s[18:19]
	s_cbranch_execz .LBB256_298
; %bb.295:                              ;   in Loop: Header=BB256_280 Depth=1
	v_bfe_u32 v26, v9, 16, 7
	v_cmp_ne_u32_e32 vcc, s29, v26
	v_mov_b32_e32 v31, 0x7c01
	s_and_saveexec_b64 s[18:19], vcc
	s_cbranch_execz .LBB256_297
; %bb.296:                              ;   in Loop: Header=BB256_280 Depth=1
	v_and_b32_e32 v33, 7, v1
	v_ffbh_u32_e32 v31, v33
	v_min_u32_e32 v43, 32, v31
	v_subrev_u32_e32 v31, 28, v43
	v_lshlrev_b64 v[31:32], v31, v[1:2]
	v_lshrrev_b32_e32 v37, 3, v26
	v_sub_u32_e32 v32, 29, v43
	v_cmp_gt_u32_e32 vcc, 8, v26
	v_cndmask_b32_e32 v26, v37, v32, vcc
	v_lshl_add_u32 v26, v26, 10, v25
	v_lshlrev_b32_e32 v1, 8, v1
	v_and_b32_e32 v31, 7, v31
	v_and_b32_e32 v26, 0xfc00, v26
	v_cndmask_b32_e32 v31, v33, v31, vcc
	v_and_or_b32 v1, v1, s30, v26
	v_lshl_or_b32 v31, v31, 7, v1
.LBB256_297:                            ;   in Loop: Header=BB256_280 Depth=1
	s_or_b64 exec, exec, s[18:19]
.LBB256_298:                            ;   in Loop: Header=BB256_280 Depth=1
	s_or_b64 exec, exec, s[16:17]
.LBB256_299:                            ;   in Loop: Header=BB256_280 Depth=1
	s_or_b64 exec, exec, s[0:1]
	v_cmp_lt_u32_e32 vcc, s5, v9
	s_and_saveexec_b64 s[0:1], vcc
	s_cbranch_execz .LBB256_305
; %bb.300:                              ;   in Loop: Header=BB256_280 Depth=1
	v_lshrrev_b32_e32 v1, 24, v9
	v_cmp_ne_u32_e32 vcc, s28, v1
	v_bfrev_b32_e32 v30, 1
	s_and_saveexec_b64 s[16:17], vcc
	s_cbranch_execz .LBB256_304
; %bb.301:                              ;   in Loop: Header=BB256_280 Depth=1
	v_and_b32_e32 v26, 0x7f, v1
	v_cmp_ne_u32_e32 vcc, s29, v26
	v_mov_b32_e32 v30, 0x7c010000
	s_and_saveexec_b64 s[18:19], vcc
	s_cbranch_execz .LBB256_303
; %bb.302:                              ;   in Loop: Header=BB256_280 Depth=1
	v_and_b32_e32 v30, 7, v1
	v_ffbh_u32_e32 v32, v30
	v_min_u32_e32 v43, 32, v32
	v_subrev_u32_e32 v32, 28, v43
	v_lshlrev_b64 v[32:33], v32, v[1:2]
	v_lshrrev_b32_e32 v37, 3, v26
	v_sub_u32_e32 v33, 29, v43
	v_cmp_gt_u32_e32 vcc, 8, v26
	v_cndmask_b32_e32 v26, v37, v33, vcc
	v_lshlrev_b32_e32 v1, 8, v1
	v_lshl_add_u32 v26, v26, 10, v25
	v_and_b32_e32 v32, 7, v32
	v_and_or_b32 v1, v1, s30, v26
	v_cndmask_b32_e32 v30, v30, v32, vcc
	v_lshlrev_b32_e32 v1, 16, v1
	v_lshl_or_b32 v30, v30, 23, v1
.LBB256_303:                            ;   in Loop: Header=BB256_280 Depth=1
	s_or_b64 exec, exec, s[18:19]
.LBB256_304:                            ;   in Loop: Header=BB256_280 Depth=1
	s_or_b64 exec, exec, s[16:17]
.LBB256_305:                            ;   in Loop: Header=BB256_280 Depth=1
	s_or_b64 exec, exec, s[0:1]
	v_mov_b32_e32 v1, v10
	v_cmp_ne_u16_sdwa s[16:17], v10, v2 src0_sel:BYTE_0 src1_sel:DWORD
	v_mov_b32_e32 v32, 0
	v_mov_b32_e32 v33, 0
	s_and_saveexec_b64 s[0:1], s[16:17]
	s_cbranch_execz .LBB256_311
; %bb.306:                              ;   in Loop: Header=BB256_280 Depth=1
	v_cmp_ne_u16_sdwa s[18:19], v10, s28 src0_sel:BYTE_0 src1_sel:DWORD
	v_mov_b32_e32 v33, 0x8000
	s_and_saveexec_b64 s[16:17], s[18:19]
	s_cbranch_execz .LBB256_310
; %bb.307:                              ;   in Loop: Header=BB256_280 Depth=1
	v_and_b32_e32 v26, 0x7f, v10
	v_cmp_ne_u32_e32 vcc, s29, v26
	v_mov_b32_e32 v33, 0x7c01
	s_and_saveexec_b64 s[18:19], vcc
	s_cbranch_execz .LBB256_309
; %bb.308:                              ;   in Loop: Header=BB256_280 Depth=1
	v_and_b32_e32 v33, 7, v10
	v_ffbh_u32_e32 v43, v33
	v_min_u32_e32 v45, 32, v43
	v_subrev_u32_e32 v43, 28, v45
	v_lshlrev_b64 v[43:44], v43, v[1:2]
	v_lshrrev_b32_e32 v37, 3, v26
	v_sub_u32_e32 v44, 29, v45
	v_cmp_gt_u32_e32 vcc, 8, v26
	v_cndmask_b32_e32 v26, v37, v44, vcc
	v_lshl_add_u32 v26, v26, 10, v25
	v_lshlrev_b32_e32 v37, 8, v10
	v_and_b32_e32 v43, 7, v43
	v_and_b32_e32 v26, 0xfc00, v26
	v_cndmask_b32_e32 v33, v33, v43, vcc
	v_and_or_b32 v26, v37, s30, v26
	v_lshl_or_b32 v33, v33, 7, v26
.LBB256_309:                            ;   in Loop: Header=BB256_280 Depth=1
	s_or_b64 exec, exec, s[18:19]
.LBB256_310:                            ;   in Loop: Header=BB256_280 Depth=1
	s_or_b64 exec, exec, s[16:17]
.LBB256_311:                            ;   in Loop: Header=BB256_280 Depth=1
	s_or_b64 exec, exec, s[0:1]
	v_lshrrev_b16_e32 v1, 8, v1
	v_cmp_ne_u16_e32 vcc, 0, v1
	v_mov_b32_e32 v37, 0
	s_and_saveexec_b64 s[0:1], vcc
	s_cbranch_execz .LBB256_317
; %bb.312:                              ;   in Loop: Header=BB256_280 Depth=1
	v_cmp_ne_u16_e32 vcc, s28, v1
	v_bfrev_b32_e32 v37, 1
	s_and_saveexec_b64 s[16:17], vcc
	s_cbranch_execz .LBB256_316
; %bb.313:                              ;   in Loop: Header=BB256_280 Depth=1
	v_and_b32_e32 v26, 0x7f, v1
	v_cmp_ne_u32_e32 vcc, s29, v26
	v_mov_b32_e32 v37, 0x7c010000
	s_and_saveexec_b64 s[18:19], vcc
	s_cbranch_execz .LBB256_315
; %bb.314:                              ;   in Loop: Header=BB256_280 Depth=1
	v_and_b32_e32 v37, 7, v1
	v_ffbh_u32_e32 v43, v37
	v_min_u32_e32 v46, 32, v43
	v_subrev_u32_e32 v43, 28, v46
	v_lshlrev_b64 v[43:44], v43, v[1:2]
	v_lshrrev_b32_e32 v45, 3, v26
	v_sub_u32_e32 v44, 29, v46
	v_cmp_gt_u32_e32 vcc, 8, v26
	v_cndmask_b32_e32 v26, v45, v44, vcc
	v_lshlrev_b32_e32 v1, 8, v1
	v_lshl_add_u32 v26, v26, 10, v25
	v_and_b32_e32 v43, 7, v43
	v_and_or_b32 v1, v1, s30, v26
	v_cndmask_b32_e32 v37, v37, v43, vcc
	v_lshlrev_b32_e32 v1, 16, v1
	v_lshl_or_b32 v37, v37, 23, v1
.LBB256_315:                            ;   in Loop: Header=BB256_280 Depth=1
	s_or_b64 exec, exec, s[18:19]
.LBB256_316:                            ;   in Loop: Header=BB256_280 Depth=1
	s_or_b64 exec, exec, s[16:17]
.LBB256_317:                            ;   in Loop: Header=BB256_280 Depth=1
	s_or_b64 exec, exec, s[0:1]
	v_lshrrev_b32_e32 v1, 16, v10
	v_cmp_ne_u16_sdwa s[16:17], v1, v2 src0_sel:BYTE_0 src1_sel:DWORD
	s_and_saveexec_b64 s[0:1], s[16:17]
	s_cbranch_execz .LBB256_323
; %bb.318:                              ;   in Loop: Header=BB256_280 Depth=1
	v_cmp_ne_u16_sdwa s[18:19], v1, s28 src0_sel:BYTE_0 src1_sel:DWORD
	v_mov_b32_e32 v32, 0x8000
	s_and_saveexec_b64 s[16:17], s[18:19]
	s_cbranch_execz .LBB256_322
; %bb.319:                              ;   in Loop: Header=BB256_280 Depth=1
	v_bfe_u32 v26, v10, 16, 7
	v_cmp_ne_u32_e32 vcc, s29, v26
	v_mov_b32_e32 v32, 0x7c01
	s_and_saveexec_b64 s[18:19], vcc
	s_cbranch_execz .LBB256_321
; %bb.320:                              ;   in Loop: Header=BB256_280 Depth=1
	v_and_b32_e32 v32, 7, v1
	v_ffbh_u32_e32 v43, v32
	v_min_u32_e32 v46, 32, v43
	v_subrev_u32_e32 v43, 28, v46
	v_lshlrev_b64 v[43:44], v43, v[1:2]
	v_lshrrev_b32_e32 v45, 3, v26
	v_sub_u32_e32 v44, 29, v46
	v_cmp_gt_u32_e32 vcc, 8, v26
	v_cndmask_b32_e32 v26, v45, v44, vcc
	v_lshl_add_u32 v26, v26, 10, v25
	v_lshlrev_b32_e32 v1, 8, v1
	v_and_b32_e32 v43, 7, v43
	v_and_b32_e32 v26, 0xfc00, v26
	v_cndmask_b32_e32 v32, v32, v43, vcc
	v_and_or_b32 v1, v1, s30, v26
	v_lshl_or_b32 v32, v32, 7, v1
.LBB256_321:                            ;   in Loop: Header=BB256_280 Depth=1
	s_or_b64 exec, exec, s[18:19]
.LBB256_322:                            ;   in Loop: Header=BB256_280 Depth=1
	s_or_b64 exec, exec, s[16:17]
.LBB256_323:                            ;   in Loop: Header=BB256_280 Depth=1
	s_or_b64 exec, exec, s[0:1]
	v_cmp_lt_u64_e32 vcc, s[4:5], v[9:10]
	v_mov_b32_e32 v43, 0
	s_and_saveexec_b64 s[0:1], vcc
	s_cbranch_execz .LBB256_329
; %bb.324:                              ;   in Loop: Header=BB256_280 Depth=1
	v_lshrrev_b32_e32 v1, 24, v10
	v_cmp_ne_u32_e32 vcc, s28, v1
	v_bfrev_b32_e32 v43, 1
	s_and_saveexec_b64 s[16:17], vcc
	s_cbranch_execz .LBB256_328
; %bb.325:                              ;   in Loop: Header=BB256_280 Depth=1
	v_and_b32_e32 v9, 0x7f, v1
	v_cmp_ne_u32_e32 vcc, s29, v9
	v_mov_b32_e32 v43, 0x7c010000
	s_and_saveexec_b64 s[18:19], vcc
	s_cbranch_execz .LBB256_327
; %bb.326:                              ;   in Loop: Header=BB256_280 Depth=1
	v_and_b32_e32 v10, 7, v1
	v_ffbh_u32_e32 v43, v10
	v_min_u32_e32 v45, 32, v43
	v_subrev_u32_e32 v43, 28, v45
	v_lshlrev_b64 v[43:44], v43, v[1:2]
	v_lshrrev_b32_e32 v26, 3, v9
	v_sub_u32_e32 v44, 29, v45
	v_cmp_gt_u32_e32 vcc, 8, v9
	v_cndmask_b32_e32 v9, v26, v44, vcc
	v_lshlrev_b32_e32 v1, 8, v1
	v_lshl_add_u32 v9, v9, 10, v25
	v_and_b32_e32 v26, 7, v43
	v_and_or_b32 v1, v1, s30, v9
	v_cndmask_b32_e32 v10, v10, v26, vcc
	v_lshlrev_b32_e32 v1, 16, v1
	v_lshl_or_b32 v43, v10, 23, v1
.LBB256_327:                            ;   in Loop: Header=BB256_280 Depth=1
	s_or_b64 exec, exec, s[18:19]
.LBB256_328:                            ;   in Loop: Header=BB256_280 Depth=1
	s_or_b64 exec, exec, s[16:17]
.LBB256_329:                            ;   in Loop: Header=BB256_280 Depth=1
	s_or_b64 exec, exec, s[0:1]
	v_fma_mixlo_f16 v9, v27, v30, 0 op_sel:[0,1,0] op_sel_hi:[0,1,0]
	v_lshlrev_b32_e32 v44, 16, v9
	v_or_b32_e32 v9, v28, v29
	v_fma_mixlo_f16 v10, v27, v28, 0 op_sel:[0,1,0] op_sel_hi:[0,1,0]
	v_fma_mixlo_f16 v28, v27, v37, 0 op_sel:[0,1,0] op_sel_hi:[0,1,0]
	v_or_b32_e32 v1, v30, v31
	v_lshlrev_b32_e32 v47, 16, v10
	v_or_b32_e32 v10, v37, v33
	v_lshlrev_b32_e32 v37, 16, v28
	v_or_b32_e32 v28, v43, v32
	v_fma_mixlo_f16 v1, v27, v1, 0 op_sel_hi:[0,1,0]
	v_fma_mixlo_f16 v9, v27, v9, 0 op_sel_hi:[0,1,0]
	;; [unrolled: 1-line block ×4, first 2 shown]
	v_fma_mixlo_f16 v27, v27, v43, 0 op_sel:[0,1,0] op_sel_hi:[0,1,0]
	v_add_u32_e32 v26, v21, v12
	v_and_b32_e32 v45, 0xffff, v1
	v_and_b32_e32 v50, 0xffff, v9
	;; [unrolled: 1-line block ×3, first 2 shown]
	v_lshlrev_b32_e32 v46, 16, v27
	v_and_b32_e32 v49, 0xffff, v28
	v_cmp_eq_u32_e32 vcc, s35, v11
	v_or_b32_e32 v1, v44, v45
	v_or_b32_e32 v9, v47, v50
	;; [unrolled: 1-line block ×4, first 2 shown]
	v_add_u32_e32 v33, 1, v26
	v_add_u32_e32 v32, 2, v26
	;; [unrolled: 1-line block ×7, first 2 shown]
	s_and_saveexec_b64 s[16:17], vcc
	s_cbranch_execz .LBB256_331
; %bb.330:                              ;   in Loop: Header=BB256_280 Depth=1
	v_cmp_gt_i32_e64 s[0:1], s33, v26
	v_cndmask_b32_e64 v1, 0, v50, s[0:1]
	v_cmp_gt_i32_e64 s[0:1], s33, v33
	v_cndmask_b32_e64 v9, 0, v47, s[0:1]
	v_cmp_gt_i32_e64 s[0:1], s33, v32
	v_or_b32_e32 v9, v9, v1
	v_cndmask_b32_e64 v1, 0, v45, s[0:1]
	v_cmp_gt_i32_e64 s[0:1], s33, v31
	v_cndmask_b32_e64 v10, 0, v44, s[0:1]
	v_cmp_gt_i32_e64 s[0:1], s33, v30
	v_or_b32_e32 v1, v10, v1
	v_cndmask_b32_e64 v10, 0, v48, s[0:1]
	v_cmp_gt_i32_e64 s[0:1], s33, v29
	v_cndmask_b32_e64 v37, 0, v37, s[0:1]
	v_cmp_gt_i32_e64 s[0:1], s33, v28
	v_or_b32_e32 v10, v37, v10
	v_cndmask_b32_e64 v37, 0, v49, s[0:1]
	v_cmp_gt_i32_e64 s[0:1], s33, v27
	v_cndmask_b32_e64 v43, 0, v46, s[0:1]
	v_or_b32_e32 v43, v43, v37
.LBB256_331:                            ;   in Loop: Header=BB256_280 Depth=1
	s_or_b64 exec, exec, s[16:17]
	v_and_b32_e32 v34, 0xffff, v34
	v_lshl_or_b32 v37, v35, 16, v34
	v_and_b32_e32 v34, 0xffff, v36
	v_lshl_or_b32 v36, v38, 16, v34
	;; [unrolled: 2-line block ×3, first 2 shown]
	v_and_b32_e32 v34, 0xffff, v41
	;;#ASMSTART
	v_pk_mul_f16 v9, v37, v9;

	;;#ASMEND
	;;#ASMSTART
	v_pk_mul_f16 v1, v36, v1;

	;;#ASMEND
	v_lshl_or_b32 v34, v42, 16, v34
	;;#ASMSTART
	v_pk_mul_f16 v10, v35, v10;

	;;#ASMEND
	;;#ASMSTART
	v_pk_mul_f16 v38, v34, v43;

	;;#ASMEND
	;;#ASMSTART
	v_pk_add_f16 v1, v9, v1;

	;;#ASMEND
	;;#ASMSTART
	v_pk_add_f16 v1, v1, v10;
	;; [unrolled: 4-line block ×3, first 2 shown]

	;;#ASMEND
	v_lshrrev_b32_e32 v9, 16, v1
	v_and_b32_e32 v1, 0xffff, v1
	;;#ASMSTART
	v_cvt_f32_f16 v38, v1;
	;;#ASMEND
	;;#ASMSTART
	v_cvt_f32_f16 v39, v9;
	;;#ASMEND
	global_load_dwordx2 v[9:10], v[7:8], off offset:512
	v_mov_b32_e32 v41, 0
	global_load_dword v40, v41, s[14:15]
	v_mov_b32_e32 v42, 0
	s_waitcnt vmcnt(1)
	v_cmp_ne_u16_sdwa s[0:1], v9, v2 src0_sel:BYTE_0 src1_sel:DWORD
	s_and_saveexec_b64 s[16:17], s[0:1]
	s_cbranch_execz .LBB256_337
; %bb.332:                              ;   in Loop: Header=BB256_280 Depth=1
	v_cmp_ne_u16_sdwa s[0:1], v9, s28 src0_sel:BYTE_0 src1_sel:DWORD
	v_mov_b32_e32 v42, 0x8000
	s_and_saveexec_b64 s[18:19], s[0:1]
	s_cbranch_execz .LBB256_336
; %bb.333:                              ;   in Loop: Header=BB256_280 Depth=1
	v_and_b32_e32 v1, 0x7f, v9
	v_cmp_ne_u32_e64 s[0:1], s29, v1
	v_mov_b32_e32 v42, 0x7c01
	s_and_saveexec_b64 s[20:21], s[0:1]
	s_cbranch_execz .LBB256_335
; %bb.334:                              ;   in Loop: Header=BB256_280 Depth=1
	v_and_b32_e32 v44, 7, v9
	v_ffbh_u32_e32 v42, v44
	v_min_u32_e32 v46, 32, v42
	v_subrev_u32_e32 v42, 28, v46
	v_lshlrev_b64 v[42:43], v42, v[9:10]
	v_lshrrev_b32_e32 v45, 3, v1
	v_sub_u32_e32 v43, 29, v46
	v_cmp_gt_u32_e64 s[0:1], 8, v1
	v_cndmask_b32_e64 v1, v45, v43, s[0:1]
	v_lshl_add_u32 v1, v1, 10, v25
	v_lshlrev_b32_e32 v43, 8, v9
	v_and_b32_e32 v42, 7, v42
	v_and_b32_e32 v1, 0xfc00, v1
	v_cndmask_b32_e64 v42, v44, v42, s[0:1]
	v_and_or_b32 v1, v43, s30, v1
	v_lshl_or_b32 v42, v42, 7, v1
.LBB256_335:                            ;   in Loop: Header=BB256_280 Depth=1
	s_or_b64 exec, exec, s[20:21]
.LBB256_336:                            ;   in Loop: Header=BB256_280 Depth=1
	s_or_b64 exec, exec, s[18:19]
.LBB256_337:                            ;   in Loop: Header=BB256_280 Depth=1
	s_or_b64 exec, exec, s[16:17]
	v_lshrrev_b16_e32 v1, 8, v9
	v_cmp_ne_u16_e64 s[0:1], 0, v1
	s_and_saveexec_b64 s[16:17], s[0:1]
	s_cbranch_execz .LBB256_343
; %bb.338:                              ;   in Loop: Header=BB256_280 Depth=1
	v_cmp_ne_u16_e64 s[0:1], s28, v1
	v_bfrev_b32_e32 v41, 1
	s_and_saveexec_b64 s[18:19], s[0:1]
	s_cbranch_execz .LBB256_342
; %bb.339:                              ;   in Loop: Header=BB256_280 Depth=1
	v_and_b32_e32 v43, 0x7f, v1
	v_cmp_ne_u32_e64 s[0:1], s29, v43
	v_mov_b32_e32 v41, 0x7c010000
	s_and_saveexec_b64 s[20:21], s[0:1]
	s_cbranch_execz .LBB256_341
; %bb.340:                              ;   in Loop: Header=BB256_280 Depth=1
	v_and_b32_e32 v41, 7, v1
	v_ffbh_u32_e32 v44, v41
	v_min_u32_e32 v47, 32, v44
	v_subrev_u32_e32 v44, 28, v47
	v_lshlrev_b64 v[44:45], v44, v[1:2]
	v_lshrrev_b32_e32 v46, 3, v43
	v_sub_u32_e32 v45, 29, v47
	v_cmp_gt_u32_e64 s[0:1], 8, v43
	v_cndmask_b32_e64 v43, v46, v45, s[0:1]
	v_lshlrev_b32_e32 v1, 8, v1
	v_lshl_add_u32 v43, v43, 10, v25
	v_and_b32_e32 v44, 7, v44
	v_and_or_b32 v1, v1, s30, v43
	v_cndmask_b32_e64 v41, v41, v44, s[0:1]
	v_lshlrev_b32_e32 v1, 16, v1
	v_lshl_or_b32 v41, v41, 23, v1
.LBB256_341:                            ;   in Loop: Header=BB256_280 Depth=1
	s_or_b64 exec, exec, s[20:21]
.LBB256_342:                            ;   in Loop: Header=BB256_280 Depth=1
	s_or_b64 exec, exec, s[18:19]
.LBB256_343:                            ;   in Loop: Header=BB256_280 Depth=1
	s_or_b64 exec, exec, s[16:17]
	v_lshrrev_b32_e32 v1, 16, v9
	v_cmp_ne_u16_sdwa s[0:1], v1, v2 src0_sel:BYTE_0 src1_sel:DWORD
	v_mov_b32_e32 v43, 0
	v_mov_b32_e32 v44, 0
	s_and_saveexec_b64 s[16:17], s[0:1]
	s_cbranch_execz .LBB256_349
; %bb.344:                              ;   in Loop: Header=BB256_280 Depth=1
	v_cmp_ne_u16_sdwa s[0:1], v1, s28 src0_sel:BYTE_0 src1_sel:DWORD
	v_mov_b32_e32 v44, 0x8000
	s_and_saveexec_b64 s[18:19], s[0:1]
	s_cbranch_execz .LBB256_348
; %bb.345:                              ;   in Loop: Header=BB256_280 Depth=1
	v_bfe_u32 v45, v9, 16, 7
	v_cmp_ne_u32_e64 s[0:1], s29, v45
	v_mov_b32_e32 v44, 0x7c01
	s_and_saveexec_b64 s[20:21], s[0:1]
	s_cbranch_execz .LBB256_347
; %bb.346:                              ;   in Loop: Header=BB256_280 Depth=1
	v_and_b32_e32 v44, 7, v1
	v_ffbh_u32_e32 v46, v44
	v_min_u32_e32 v49, 32, v46
	v_subrev_u32_e32 v46, 28, v49
	v_lshlrev_b64 v[46:47], v46, v[1:2]
	v_lshrrev_b32_e32 v48, 3, v45
	v_sub_u32_e32 v47, 29, v49
	v_cmp_gt_u32_e64 s[0:1], 8, v45
	v_cndmask_b32_e64 v45, v48, v47, s[0:1]
	v_lshl_add_u32 v45, v45, 10, v25
	v_lshlrev_b32_e32 v1, 8, v1
	v_and_b32_e32 v46, 7, v46
	v_and_b32_e32 v45, 0xfc00, v45
	v_cndmask_b32_e64 v44, v44, v46, s[0:1]
	v_and_or_b32 v1, v1, s30, v45
	v_lshl_or_b32 v44, v44, 7, v1
.LBB256_347:                            ;   in Loop: Header=BB256_280 Depth=1
	s_or_b64 exec, exec, s[20:21]
.LBB256_348:                            ;   in Loop: Header=BB256_280 Depth=1
	s_or_b64 exec, exec, s[18:19]
.LBB256_349:                            ;   in Loop: Header=BB256_280 Depth=1
	s_or_b64 exec, exec, s[16:17]
	v_cmp_lt_u32_e64 s[0:1], s5, v9
	s_and_saveexec_b64 s[16:17], s[0:1]
	s_cbranch_execz .LBB256_355
; %bb.350:                              ;   in Loop: Header=BB256_280 Depth=1
	v_lshrrev_b32_e32 v1, 24, v9
	v_cmp_ne_u32_e64 s[0:1], s28, v1
	v_bfrev_b32_e32 v43, 1
	s_and_saveexec_b64 s[18:19], s[0:1]
	s_cbranch_execz .LBB256_354
; %bb.351:                              ;   in Loop: Header=BB256_280 Depth=1
	v_and_b32_e32 v45, 0x7f, v1
	v_cmp_ne_u32_e64 s[0:1], s29, v45
	v_mov_b32_e32 v43, 0x7c010000
	s_and_saveexec_b64 s[20:21], s[0:1]
	s_cbranch_execz .LBB256_353
; %bb.352:                              ;   in Loop: Header=BB256_280 Depth=1
	v_and_b32_e32 v43, 7, v1
	v_ffbh_u32_e32 v46, v43
	v_min_u32_e32 v49, 32, v46
	v_subrev_u32_e32 v46, 28, v49
	v_lshlrev_b64 v[46:47], v46, v[1:2]
	v_lshrrev_b32_e32 v48, 3, v45
	v_sub_u32_e32 v47, 29, v49
	v_cmp_gt_u32_e64 s[0:1], 8, v45
	v_cndmask_b32_e64 v45, v48, v47, s[0:1]
	v_lshlrev_b32_e32 v1, 8, v1
	v_lshl_add_u32 v45, v45, 10, v25
	v_and_b32_e32 v46, 7, v46
	v_and_or_b32 v1, v1, s30, v45
	v_cndmask_b32_e64 v43, v43, v46, s[0:1]
	v_lshlrev_b32_e32 v1, 16, v1
	v_lshl_or_b32 v43, v43, 23, v1
.LBB256_353:                            ;   in Loop: Header=BB256_280 Depth=1
	s_or_b64 exec, exec, s[20:21]
.LBB256_354:                            ;   in Loop: Header=BB256_280 Depth=1
	s_or_b64 exec, exec, s[18:19]
.LBB256_355:                            ;   in Loop: Header=BB256_280 Depth=1
	s_or_b64 exec, exec, s[16:17]
	v_mov_b32_e32 v1, v10
	v_cmp_ne_u16_sdwa s[0:1], v10, v2 src0_sel:BYTE_0 src1_sel:DWORD
	v_mov_b32_e32 v45, 0
	v_mov_b32_e32 v46, 0
	s_and_saveexec_b64 s[16:17], s[0:1]
	s_cbranch_execz .LBB256_361
; %bb.356:                              ;   in Loop: Header=BB256_280 Depth=1
	v_cmp_ne_u16_sdwa s[0:1], v10, s28 src0_sel:BYTE_0 src1_sel:DWORD
	v_mov_b32_e32 v46, 0x8000
	s_and_saveexec_b64 s[18:19], s[0:1]
	s_cbranch_execz .LBB256_360
; %bb.357:                              ;   in Loop: Header=BB256_280 Depth=1
	v_and_b32_e32 v47, 0x7f, v10
	v_cmp_ne_u32_e64 s[0:1], s29, v47
	v_mov_b32_e32 v46, 0x7c01
	s_and_saveexec_b64 s[20:21], s[0:1]
	s_cbranch_execz .LBB256_359
; %bb.358:                              ;   in Loop: Header=BB256_280 Depth=1
	v_and_b32_e32 v46, 7, v10
	v_ffbh_u32_e32 v48, v46
	v_min_u32_e32 v51, 32, v48
	v_subrev_u32_e32 v48, 28, v51
	v_lshlrev_b64 v[48:49], v48, v[1:2]
	v_lshrrev_b32_e32 v50, 3, v47
	v_sub_u32_e32 v49, 29, v51
	v_cmp_gt_u32_e64 s[0:1], 8, v47
	v_cndmask_b32_e64 v47, v50, v49, s[0:1]
	v_lshl_add_u32 v47, v47, 10, v25
	v_lshlrev_b32_e32 v49, 8, v10
	v_and_b32_e32 v48, 7, v48
	v_and_b32_e32 v47, 0xfc00, v47
	v_cndmask_b32_e64 v46, v46, v48, s[0:1]
	v_and_or_b32 v47, v49, s30, v47
	v_lshl_or_b32 v46, v46, 7, v47
.LBB256_359:                            ;   in Loop: Header=BB256_280 Depth=1
	s_or_b64 exec, exec, s[20:21]
.LBB256_360:                            ;   in Loop: Header=BB256_280 Depth=1
	s_or_b64 exec, exec, s[18:19]
.LBB256_361:                            ;   in Loop: Header=BB256_280 Depth=1
	s_or_b64 exec, exec, s[16:17]
	v_lshrrev_b16_e32 v1, 8, v1
	v_cmp_ne_u16_e64 s[0:1], 0, v1
	v_mov_b32_e32 v47, 0
	s_and_saveexec_b64 s[16:17], s[0:1]
	s_cbranch_execz .LBB256_367
; %bb.362:                              ;   in Loop: Header=BB256_280 Depth=1
	v_cmp_ne_u16_e64 s[0:1], s28, v1
	v_bfrev_b32_e32 v47, 1
	s_and_saveexec_b64 s[18:19], s[0:1]
	s_cbranch_execz .LBB256_366
; %bb.363:                              ;   in Loop: Header=BB256_280 Depth=1
	v_and_b32_e32 v48, 0x7f, v1
	v_cmp_ne_u32_e64 s[0:1], s29, v48
	v_mov_b32_e32 v47, 0x7c010000
	s_and_saveexec_b64 s[20:21], s[0:1]
	s_cbranch_execz .LBB256_365
; %bb.364:                              ;   in Loop: Header=BB256_280 Depth=1
	v_and_b32_e32 v47, 7, v1
	v_ffbh_u32_e32 v49, v47
	v_min_u32_e32 v52, 32, v49
	v_subrev_u32_e32 v49, 28, v52
	v_lshlrev_b64 v[49:50], v49, v[1:2]
	v_lshrrev_b32_e32 v51, 3, v48
	v_sub_u32_e32 v50, 29, v52
	v_cmp_gt_u32_e64 s[0:1], 8, v48
	v_cndmask_b32_e64 v48, v51, v50, s[0:1]
	v_lshlrev_b32_e32 v1, 8, v1
	v_lshl_add_u32 v48, v48, 10, v25
	v_and_b32_e32 v49, 7, v49
	v_and_or_b32 v1, v1, s30, v48
	v_cndmask_b32_e64 v47, v47, v49, s[0:1]
	v_lshlrev_b32_e32 v1, 16, v1
	v_lshl_or_b32 v47, v47, 23, v1
.LBB256_365:                            ;   in Loop: Header=BB256_280 Depth=1
	s_or_b64 exec, exec, s[20:21]
.LBB256_366:                            ;   in Loop: Header=BB256_280 Depth=1
	s_or_b64 exec, exec, s[18:19]
.LBB256_367:                            ;   in Loop: Header=BB256_280 Depth=1
	s_or_b64 exec, exec, s[16:17]
	v_lshrrev_b32_e32 v1, 16, v10
	v_cmp_ne_u16_sdwa s[0:1], v1, v2 src0_sel:BYTE_0 src1_sel:DWORD
	s_and_saveexec_b64 s[16:17], s[0:1]
	s_cbranch_execz .LBB256_373
; %bb.368:                              ;   in Loop: Header=BB256_280 Depth=1
	v_cmp_ne_u16_sdwa s[0:1], v1, s28 src0_sel:BYTE_0 src1_sel:DWORD
	v_mov_b32_e32 v45, 0x8000
	s_and_saveexec_b64 s[18:19], s[0:1]
	s_cbranch_execz .LBB256_372
; %bb.369:                              ;   in Loop: Header=BB256_280 Depth=1
	v_bfe_u32 v48, v10, 16, 7
	v_cmp_ne_u32_e64 s[0:1], s29, v48
	v_mov_b32_e32 v45, 0x7c01
	s_and_saveexec_b64 s[20:21], s[0:1]
	s_cbranch_execz .LBB256_371
; %bb.370:                              ;   in Loop: Header=BB256_280 Depth=1
	v_and_b32_e32 v45, 7, v1
	v_ffbh_u32_e32 v49, v45
	v_min_u32_e32 v52, 32, v49
	v_subrev_u32_e32 v49, 28, v52
	v_lshlrev_b64 v[49:50], v49, v[1:2]
	v_lshrrev_b32_e32 v51, 3, v48
	v_sub_u32_e32 v50, 29, v52
	v_cmp_gt_u32_e64 s[0:1], 8, v48
	v_cndmask_b32_e64 v48, v51, v50, s[0:1]
	v_lshl_add_u32 v48, v48, 10, v25
	v_lshlrev_b32_e32 v1, 8, v1
	v_and_b32_e32 v49, 7, v49
	v_and_b32_e32 v48, 0xfc00, v48
	v_cndmask_b32_e64 v45, v45, v49, s[0:1]
	v_and_or_b32 v1, v1, s30, v48
	v_lshl_or_b32 v45, v45, 7, v1
.LBB256_371:                            ;   in Loop: Header=BB256_280 Depth=1
	s_or_b64 exec, exec, s[20:21]
.LBB256_372:                            ;   in Loop: Header=BB256_280 Depth=1
	s_or_b64 exec, exec, s[18:19]
.LBB256_373:                            ;   in Loop: Header=BB256_280 Depth=1
	s_or_b64 exec, exec, s[16:17]
	v_cmp_lt_u64_e64 s[0:1], s[4:5], v[9:10]
	v_mov_b32_e32 v9, 0
	s_and_saveexec_b64 s[16:17], s[0:1]
	s_cbranch_execz .LBB256_379
; %bb.374:                              ;   in Loop: Header=BB256_280 Depth=1
	v_lshrrev_b32_e32 v1, 24, v10
	v_cmp_ne_u32_e64 s[0:1], s28, v1
	v_bfrev_b32_e32 v9, 1
	s_and_saveexec_b64 s[18:19], s[0:1]
	s_cbranch_execz .LBB256_378
; %bb.375:                              ;   in Loop: Header=BB256_280 Depth=1
	v_and_b32_e32 v10, 0x7f, v1
	v_cmp_ne_u32_e64 s[0:1], s29, v10
	v_mov_b32_e32 v9, 0x7c010000
	s_and_saveexec_b64 s[20:21], s[0:1]
	s_cbranch_execz .LBB256_377
; %bb.376:                              ;   in Loop: Header=BB256_280 Depth=1
	v_and_b32_e32 v9, 7, v1
	v_ffbh_u32_e32 v48, v9
	v_min_u32_e32 v51, 32, v48
	v_subrev_u32_e32 v48, 28, v51
	v_lshlrev_b64 v[48:49], v48, v[1:2]
	v_lshrrev_b32_e32 v50, 3, v10
	v_sub_u32_e32 v49, 29, v51
	v_cmp_gt_u32_e64 s[0:1], 8, v10
	v_cndmask_b32_e64 v10, v50, v49, s[0:1]
	v_lshlrev_b32_e32 v1, 8, v1
	v_lshl_add_u32 v10, v10, 10, v25
	v_and_b32_e32 v48, 7, v48
	v_and_or_b32 v1, v1, s30, v10
	v_cndmask_b32_e64 v9, v9, v48, s[0:1]
	v_lshlrev_b32_e32 v1, 16, v1
	v_lshl_or_b32 v9, v9, 23, v1
.LBB256_377:                            ;   in Loop: Header=BB256_280 Depth=1
	s_or_b64 exec, exec, s[20:21]
.LBB256_378:                            ;   in Loop: Header=BB256_280 Depth=1
	s_or_b64 exec, exec, s[18:19]
.LBB256_379:                            ;   in Loop: Header=BB256_280 Depth=1
	s_or_b64 exec, exec, s[16:17]
	s_waitcnt vmcnt(0)
	v_fma_mixlo_f16 v10, v40, v43, 0 op_sel:[0,1,0] op_sel_hi:[0,1,0]
	v_or_b32_e32 v1, v43, v44
	v_lshlrev_b32_e32 v43, 16, v10
	v_or_b32_e32 v10, v41, v42
	v_fma_mixlo_f16 v41, v40, v41, 0 op_sel:[0,1,0] op_sel_hi:[0,1,0]
	v_lshlrev_b32_e32 v48, 16, v41
	v_or_b32_e32 v41, v47, v46
	v_or_b32_e32 v45, v9, v45
	v_fma_mixlo_f16 v1, v40, v1, 0 op_sel_hi:[0,1,0]
	v_fma_mixlo_f16 v10, v40, v10, 0 op_sel_hi:[0,1,0]
	v_fma_mixlo_f16 v42, v40, v47, 0 op_sel:[0,1,0] op_sel_hi:[0,1,0]
	v_fma_mixlo_f16 v41, v40, v41, 0 op_sel_hi:[0,1,0]
	v_fma_mixlo_f16 v45, v40, v45, 0 op_sel_hi:[0,1,0]
	v_fma_mixlo_f16 v9, v40, v9, 0 op_sel:[0,1,0] op_sel_hi:[0,1,0]
	v_and_b32_e32 v44, 0xffff, v1
	v_and_b32_e32 v49, 0xffff, v10
	v_lshlrev_b32_e32 v42, 16, v42
	v_and_b32_e32 v46, 0xffff, v41
	v_lshlrev_b32_e32 v9, 16, v9
	v_and_b32_e32 v40, 0xffff, v45
	v_or_b32_e32 v1, v43, v44
	v_or_b32_e32 v10, v48, v49
	;; [unrolled: 1-line block ×4, first 2 shown]
	s_and_saveexec_b64 s[16:17], vcc
	s_cbranch_execz .LBB256_381
; %bb.380:                              ;   in Loop: Header=BB256_280 Depth=1
	v_cmp_gt_i32_e64 s[0:1], s33, v26
	v_cndmask_b32_e64 v1, 0, v49, s[0:1]
	v_cmp_gt_i32_e64 s[0:1], s33, v33
	v_cndmask_b32_e64 v10, 0, v48, s[0:1]
	v_cmp_gt_i32_e64 s[0:1], s33, v32
	v_or_b32_e32 v10, v10, v1
	v_cndmask_b32_e64 v1, 0, v44, s[0:1]
	v_cmp_gt_i32_e64 s[0:1], s33, v31
	v_cndmask_b32_e64 v41, 0, v43, s[0:1]
	v_cmp_gt_i32_e64 s[0:1], s33, v30
	v_or_b32_e32 v1, v41, v1
	v_cndmask_b32_e64 v41, 0, v46, s[0:1]
	v_cmp_gt_i32_e64 s[0:1], s33, v29
	v_cndmask_b32_e64 v42, 0, v42, s[0:1]
	v_cmp_gt_i32_e64 s[0:1], s33, v28
	;; [unrolled: 2-line block ×3, first 2 shown]
	v_cndmask_b32_e64 v9, 0, v9, s[0:1]
	v_or_b32_e32 v41, v42, v41
	v_or_b32_e32 v45, v9, v40
.LBB256_381:                            ;   in Loop: Header=BB256_280 Depth=1
	s_or_b64 exec, exec, s[16:17]
	;;#ASMSTART
	v_pk_mul_f16 v9, v37, v10;

	;;#ASMEND
	;;#ASMSTART
	v_pk_mul_f16 v1, v36, v1;

	;;#ASMEND
	;; [unrolled: 4-line block ×4, first 2 shown]
	;;#ASMSTART
	v_pk_add_f16 v1, v9, v1;

	;;#ASMEND
	;;#ASMSTART
	v_pk_add_f16 v1, v1, v10;

	;;#ASMEND
	;; [unrolled: 4-line block ×3, first 2 shown]
	v_lshrrev_b32_e32 v9, 16, v1
	v_and_b32_e32 v1, 0xffff, v1
	;;#ASMSTART
	v_cvt_f32_f16 v40, v1;
	;;#ASMEND
	;;#ASMSTART
	v_cvt_f32_f16 v41, v9;
	;;#ASMEND
	global_load_dwordx2 v[9:10], v[7:8], off offset:1024
	v_mov_b32_e32 v43, 0
	global_load_dword v42, v43, s[14:15]
	v_mov_b32_e32 v44, 0
	s_waitcnt vmcnt(1)
	v_cmp_ne_u16_sdwa s[0:1], v9, v2 src0_sel:BYTE_0 src1_sel:DWORD
	s_and_saveexec_b64 s[16:17], s[0:1]
	s_cbranch_execz .LBB256_387
; %bb.382:                              ;   in Loop: Header=BB256_280 Depth=1
	v_cmp_ne_u16_sdwa s[0:1], v9, s28 src0_sel:BYTE_0 src1_sel:DWORD
	v_mov_b32_e32 v44, 0x8000
	s_and_saveexec_b64 s[18:19], s[0:1]
	s_cbranch_execz .LBB256_386
; %bb.383:                              ;   in Loop: Header=BB256_280 Depth=1
	v_and_b32_e32 v1, 0x7f, v9
	v_cmp_ne_u32_e64 s[0:1], s29, v1
	v_mov_b32_e32 v44, 0x7c01
	s_and_saveexec_b64 s[20:21], s[0:1]
	s_cbranch_execz .LBB256_385
; %bb.384:                              ;   in Loop: Header=BB256_280 Depth=1
	v_and_b32_e32 v46, 7, v9
	v_ffbh_u32_e32 v44, v46
	v_min_u32_e32 v48, 32, v44
	v_subrev_u32_e32 v44, 28, v48
	v_lshlrev_b64 v[44:45], v44, v[9:10]
	v_lshrrev_b32_e32 v47, 3, v1
	v_sub_u32_e32 v45, 29, v48
	v_cmp_gt_u32_e64 s[0:1], 8, v1
	v_cndmask_b32_e64 v1, v47, v45, s[0:1]
	v_lshl_add_u32 v1, v1, 10, v25
	v_lshlrev_b32_e32 v45, 8, v9
	v_and_b32_e32 v44, 7, v44
	v_and_b32_e32 v1, 0xfc00, v1
	v_cndmask_b32_e64 v44, v46, v44, s[0:1]
	v_and_or_b32 v1, v45, s30, v1
	v_lshl_or_b32 v44, v44, 7, v1
.LBB256_385:                            ;   in Loop: Header=BB256_280 Depth=1
	s_or_b64 exec, exec, s[20:21]
.LBB256_386:                            ;   in Loop: Header=BB256_280 Depth=1
	s_or_b64 exec, exec, s[18:19]
.LBB256_387:                            ;   in Loop: Header=BB256_280 Depth=1
	s_or_b64 exec, exec, s[16:17]
	v_lshrrev_b16_e32 v1, 8, v9
	v_cmp_ne_u16_e64 s[0:1], 0, v1
	s_and_saveexec_b64 s[16:17], s[0:1]
	s_cbranch_execz .LBB256_393
; %bb.388:                              ;   in Loop: Header=BB256_280 Depth=1
	v_cmp_ne_u16_e64 s[0:1], s28, v1
	v_bfrev_b32_e32 v43, 1
	s_and_saveexec_b64 s[18:19], s[0:1]
	s_cbranch_execz .LBB256_392
; %bb.389:                              ;   in Loop: Header=BB256_280 Depth=1
	v_and_b32_e32 v45, 0x7f, v1
	v_cmp_ne_u32_e64 s[0:1], s29, v45
	v_mov_b32_e32 v43, 0x7c010000
	s_and_saveexec_b64 s[20:21], s[0:1]
	s_cbranch_execz .LBB256_391
; %bb.390:                              ;   in Loop: Header=BB256_280 Depth=1
	v_and_b32_e32 v43, 7, v1
	v_ffbh_u32_e32 v46, v43
	v_min_u32_e32 v49, 32, v46
	v_subrev_u32_e32 v46, 28, v49
	v_lshlrev_b64 v[46:47], v46, v[1:2]
	v_lshrrev_b32_e32 v48, 3, v45
	v_sub_u32_e32 v47, 29, v49
	v_cmp_gt_u32_e64 s[0:1], 8, v45
	v_cndmask_b32_e64 v45, v48, v47, s[0:1]
	v_lshlrev_b32_e32 v1, 8, v1
	v_lshl_add_u32 v45, v45, 10, v25
	v_and_b32_e32 v46, 7, v46
	v_and_or_b32 v1, v1, s30, v45
	v_cndmask_b32_e64 v43, v43, v46, s[0:1]
	v_lshlrev_b32_e32 v1, 16, v1
	v_lshl_or_b32 v43, v43, 23, v1
.LBB256_391:                            ;   in Loop: Header=BB256_280 Depth=1
	s_or_b64 exec, exec, s[20:21]
.LBB256_392:                            ;   in Loop: Header=BB256_280 Depth=1
	s_or_b64 exec, exec, s[18:19]
.LBB256_393:                            ;   in Loop: Header=BB256_280 Depth=1
	s_or_b64 exec, exec, s[16:17]
	v_lshrrev_b32_e32 v1, 16, v9
	v_cmp_ne_u16_sdwa s[0:1], v1, v2 src0_sel:BYTE_0 src1_sel:DWORD
	v_mov_b32_e32 v45, 0
	v_mov_b32_e32 v46, 0
	s_and_saveexec_b64 s[16:17], s[0:1]
	s_cbranch_execz .LBB256_399
; %bb.394:                              ;   in Loop: Header=BB256_280 Depth=1
	v_cmp_ne_u16_sdwa s[0:1], v1, s28 src0_sel:BYTE_0 src1_sel:DWORD
	v_mov_b32_e32 v46, 0x8000
	s_and_saveexec_b64 s[18:19], s[0:1]
	s_cbranch_execz .LBB256_398
; %bb.395:                              ;   in Loop: Header=BB256_280 Depth=1
	v_bfe_u32 v47, v9, 16, 7
	v_cmp_ne_u32_e64 s[0:1], s29, v47
	v_mov_b32_e32 v46, 0x7c01
	s_and_saveexec_b64 s[20:21], s[0:1]
	s_cbranch_execz .LBB256_397
; %bb.396:                              ;   in Loop: Header=BB256_280 Depth=1
	v_and_b32_e32 v46, 7, v1
	v_ffbh_u32_e32 v48, v46
	v_min_u32_e32 v51, 32, v48
	v_subrev_u32_e32 v48, 28, v51
	v_lshlrev_b64 v[48:49], v48, v[1:2]
	v_lshrrev_b32_e32 v50, 3, v47
	v_sub_u32_e32 v49, 29, v51
	v_cmp_gt_u32_e64 s[0:1], 8, v47
	v_cndmask_b32_e64 v47, v50, v49, s[0:1]
	v_lshl_add_u32 v47, v47, 10, v25
	v_lshlrev_b32_e32 v1, 8, v1
	v_and_b32_e32 v48, 7, v48
	v_and_b32_e32 v47, 0xfc00, v47
	v_cndmask_b32_e64 v46, v46, v48, s[0:1]
	v_and_or_b32 v1, v1, s30, v47
	v_lshl_or_b32 v46, v46, 7, v1
.LBB256_397:                            ;   in Loop: Header=BB256_280 Depth=1
	s_or_b64 exec, exec, s[20:21]
.LBB256_398:                            ;   in Loop: Header=BB256_280 Depth=1
	s_or_b64 exec, exec, s[18:19]
.LBB256_399:                            ;   in Loop: Header=BB256_280 Depth=1
	s_or_b64 exec, exec, s[16:17]
	v_cmp_lt_u32_e64 s[0:1], s5, v9
	s_and_saveexec_b64 s[16:17], s[0:1]
	s_cbranch_execz .LBB256_405
; %bb.400:                              ;   in Loop: Header=BB256_280 Depth=1
	v_lshrrev_b32_e32 v1, 24, v9
	v_cmp_ne_u32_e64 s[0:1], s28, v1
	v_bfrev_b32_e32 v45, 1
	s_and_saveexec_b64 s[18:19], s[0:1]
	s_cbranch_execz .LBB256_404
; %bb.401:                              ;   in Loop: Header=BB256_280 Depth=1
	v_and_b32_e32 v47, 0x7f, v1
	v_cmp_ne_u32_e64 s[0:1], s29, v47
	v_mov_b32_e32 v45, 0x7c010000
	s_and_saveexec_b64 s[20:21], s[0:1]
	s_cbranch_execz .LBB256_403
; %bb.402:                              ;   in Loop: Header=BB256_280 Depth=1
	v_and_b32_e32 v45, 7, v1
	v_ffbh_u32_e32 v48, v45
	v_min_u32_e32 v51, 32, v48
	v_subrev_u32_e32 v48, 28, v51
	v_lshlrev_b64 v[48:49], v48, v[1:2]
	v_lshrrev_b32_e32 v50, 3, v47
	v_sub_u32_e32 v49, 29, v51
	v_cmp_gt_u32_e64 s[0:1], 8, v47
	v_cndmask_b32_e64 v47, v50, v49, s[0:1]
	v_lshlrev_b32_e32 v1, 8, v1
	v_lshl_add_u32 v47, v47, 10, v25
	v_and_b32_e32 v48, 7, v48
	v_and_or_b32 v1, v1, s30, v47
	v_cndmask_b32_e64 v45, v45, v48, s[0:1]
	v_lshlrev_b32_e32 v1, 16, v1
	v_lshl_or_b32 v45, v45, 23, v1
.LBB256_403:                            ;   in Loop: Header=BB256_280 Depth=1
	s_or_b64 exec, exec, s[20:21]
.LBB256_404:                            ;   in Loop: Header=BB256_280 Depth=1
	s_or_b64 exec, exec, s[18:19]
.LBB256_405:                            ;   in Loop: Header=BB256_280 Depth=1
	s_or_b64 exec, exec, s[16:17]
	v_mov_b32_e32 v1, v10
	v_cmp_ne_u16_sdwa s[0:1], v10, v2 src0_sel:BYTE_0 src1_sel:DWORD
	v_mov_b32_e32 v47, 0
	v_mov_b32_e32 v48, 0
	s_and_saveexec_b64 s[16:17], s[0:1]
	s_cbranch_execz .LBB256_411
; %bb.406:                              ;   in Loop: Header=BB256_280 Depth=1
	v_cmp_ne_u16_sdwa s[0:1], v10, s28 src0_sel:BYTE_0 src1_sel:DWORD
	v_mov_b32_e32 v48, 0x8000
	s_and_saveexec_b64 s[18:19], s[0:1]
	s_cbranch_execz .LBB256_410
; %bb.407:                              ;   in Loop: Header=BB256_280 Depth=1
	v_and_b32_e32 v49, 0x7f, v10
	v_cmp_ne_u32_e64 s[0:1], s29, v49
	v_mov_b32_e32 v48, 0x7c01
	s_and_saveexec_b64 s[20:21], s[0:1]
	s_cbranch_execz .LBB256_409
; %bb.408:                              ;   in Loop: Header=BB256_280 Depth=1
	v_and_b32_e32 v48, 7, v10
	v_ffbh_u32_e32 v50, v48
	v_min_u32_e32 v53, 32, v50
	v_subrev_u32_e32 v50, 28, v53
	v_lshlrev_b64 v[50:51], v50, v[1:2]
	v_lshrrev_b32_e32 v52, 3, v49
	v_sub_u32_e32 v51, 29, v53
	v_cmp_gt_u32_e64 s[0:1], 8, v49
	v_cndmask_b32_e64 v49, v52, v51, s[0:1]
	v_lshl_add_u32 v49, v49, 10, v25
	v_lshlrev_b32_e32 v51, 8, v10
	v_and_b32_e32 v50, 7, v50
	v_and_b32_e32 v49, 0xfc00, v49
	v_cndmask_b32_e64 v48, v48, v50, s[0:1]
	v_and_or_b32 v49, v51, s30, v49
	v_lshl_or_b32 v48, v48, 7, v49
.LBB256_409:                            ;   in Loop: Header=BB256_280 Depth=1
	s_or_b64 exec, exec, s[20:21]
.LBB256_410:                            ;   in Loop: Header=BB256_280 Depth=1
	s_or_b64 exec, exec, s[18:19]
.LBB256_411:                            ;   in Loop: Header=BB256_280 Depth=1
	s_or_b64 exec, exec, s[16:17]
	v_lshrrev_b16_e32 v1, 8, v1
	v_cmp_ne_u16_e64 s[0:1], 0, v1
	v_mov_b32_e32 v49, 0
	s_and_saveexec_b64 s[16:17], s[0:1]
	s_cbranch_execz .LBB256_417
; %bb.412:                              ;   in Loop: Header=BB256_280 Depth=1
	v_cmp_ne_u16_e64 s[0:1], s28, v1
	v_bfrev_b32_e32 v49, 1
	s_and_saveexec_b64 s[18:19], s[0:1]
	s_cbranch_execz .LBB256_416
; %bb.413:                              ;   in Loop: Header=BB256_280 Depth=1
	v_and_b32_e32 v50, 0x7f, v1
	v_cmp_ne_u32_e64 s[0:1], s29, v50
	v_mov_b32_e32 v49, 0x7c010000
	s_and_saveexec_b64 s[20:21], s[0:1]
	s_cbranch_execz .LBB256_415
; %bb.414:                              ;   in Loop: Header=BB256_280 Depth=1
	v_and_b32_e32 v49, 7, v1
	v_ffbh_u32_e32 v51, v49
	v_min_u32_e32 v54, 32, v51
	v_subrev_u32_e32 v51, 28, v54
	v_lshlrev_b64 v[51:52], v51, v[1:2]
	v_lshrrev_b32_e32 v53, 3, v50
	v_sub_u32_e32 v52, 29, v54
	v_cmp_gt_u32_e64 s[0:1], 8, v50
	v_cndmask_b32_e64 v50, v53, v52, s[0:1]
	v_lshlrev_b32_e32 v1, 8, v1
	v_lshl_add_u32 v50, v50, 10, v25
	v_and_b32_e32 v51, 7, v51
	v_and_or_b32 v1, v1, s30, v50
	v_cndmask_b32_e64 v49, v49, v51, s[0:1]
	v_lshlrev_b32_e32 v1, 16, v1
	v_lshl_or_b32 v49, v49, 23, v1
.LBB256_415:                            ;   in Loop: Header=BB256_280 Depth=1
	s_or_b64 exec, exec, s[20:21]
.LBB256_416:                            ;   in Loop: Header=BB256_280 Depth=1
	s_or_b64 exec, exec, s[18:19]
.LBB256_417:                            ;   in Loop: Header=BB256_280 Depth=1
	s_or_b64 exec, exec, s[16:17]
	v_lshrrev_b32_e32 v1, 16, v10
	v_cmp_ne_u16_sdwa s[0:1], v1, v2 src0_sel:BYTE_0 src1_sel:DWORD
	s_and_saveexec_b64 s[16:17], s[0:1]
	s_cbranch_execz .LBB256_423
; %bb.418:                              ;   in Loop: Header=BB256_280 Depth=1
	v_cmp_ne_u16_sdwa s[0:1], v1, s28 src0_sel:BYTE_0 src1_sel:DWORD
	v_mov_b32_e32 v47, 0x8000
	s_and_saveexec_b64 s[18:19], s[0:1]
	s_cbranch_execz .LBB256_422
; %bb.419:                              ;   in Loop: Header=BB256_280 Depth=1
	v_bfe_u32 v50, v10, 16, 7
	v_cmp_ne_u32_e64 s[0:1], s29, v50
	v_mov_b32_e32 v47, 0x7c01
	s_and_saveexec_b64 s[20:21], s[0:1]
	s_cbranch_execz .LBB256_421
; %bb.420:                              ;   in Loop: Header=BB256_280 Depth=1
	v_and_b32_e32 v47, 7, v1
	v_ffbh_u32_e32 v51, v47
	v_min_u32_e32 v54, 32, v51
	v_subrev_u32_e32 v51, 28, v54
	v_lshlrev_b64 v[51:52], v51, v[1:2]
	v_lshrrev_b32_e32 v53, 3, v50
	v_sub_u32_e32 v52, 29, v54
	v_cmp_gt_u32_e64 s[0:1], 8, v50
	v_cndmask_b32_e64 v50, v53, v52, s[0:1]
	v_lshl_add_u32 v50, v50, 10, v25
	v_lshlrev_b32_e32 v1, 8, v1
	v_and_b32_e32 v51, 7, v51
	v_and_b32_e32 v50, 0xfc00, v50
	v_cndmask_b32_e64 v47, v47, v51, s[0:1]
	v_and_or_b32 v1, v1, s30, v50
	v_lshl_or_b32 v47, v47, 7, v1
.LBB256_421:                            ;   in Loop: Header=BB256_280 Depth=1
	s_or_b64 exec, exec, s[20:21]
.LBB256_422:                            ;   in Loop: Header=BB256_280 Depth=1
	s_or_b64 exec, exec, s[18:19]
.LBB256_423:                            ;   in Loop: Header=BB256_280 Depth=1
	s_or_b64 exec, exec, s[16:17]
	v_cmp_lt_u64_e64 s[0:1], s[4:5], v[9:10]
	v_mov_b32_e32 v9, 0
	s_and_saveexec_b64 s[16:17], s[0:1]
	s_cbranch_execz .LBB256_429
; %bb.424:                              ;   in Loop: Header=BB256_280 Depth=1
	v_lshrrev_b32_e32 v1, 24, v10
	v_cmp_ne_u32_e64 s[0:1], s28, v1
	v_bfrev_b32_e32 v9, 1
	s_and_saveexec_b64 s[18:19], s[0:1]
	s_cbranch_execz .LBB256_428
; %bb.425:                              ;   in Loop: Header=BB256_280 Depth=1
	v_and_b32_e32 v10, 0x7f, v1
	v_cmp_ne_u32_e64 s[0:1], s29, v10
	v_mov_b32_e32 v9, 0x7c010000
	s_and_saveexec_b64 s[20:21], s[0:1]
	s_cbranch_execz .LBB256_427
; %bb.426:                              ;   in Loop: Header=BB256_280 Depth=1
	v_and_b32_e32 v9, 7, v1
	v_ffbh_u32_e32 v50, v9
	v_min_u32_e32 v53, 32, v50
	v_subrev_u32_e32 v50, 28, v53
	v_lshlrev_b64 v[50:51], v50, v[1:2]
	v_lshrrev_b32_e32 v52, 3, v10
	v_sub_u32_e32 v51, 29, v53
	v_cmp_gt_u32_e64 s[0:1], 8, v10
	v_cndmask_b32_e64 v10, v52, v51, s[0:1]
	v_lshlrev_b32_e32 v1, 8, v1
	v_lshl_add_u32 v10, v10, 10, v25
	v_and_b32_e32 v50, 7, v50
	v_and_or_b32 v1, v1, s30, v10
	v_cndmask_b32_e64 v9, v9, v50, s[0:1]
	v_lshlrev_b32_e32 v1, 16, v1
	v_lshl_or_b32 v9, v9, 23, v1
.LBB256_427:                            ;   in Loop: Header=BB256_280 Depth=1
	s_or_b64 exec, exec, s[20:21]
.LBB256_428:                            ;   in Loop: Header=BB256_280 Depth=1
	s_or_b64 exec, exec, s[18:19]
.LBB256_429:                            ;   in Loop: Header=BB256_280 Depth=1
	s_or_b64 exec, exec, s[16:17]
	s_waitcnt vmcnt(0)
	v_fma_mixlo_f16 v10, v42, v45, 0 op_sel:[0,1,0] op_sel_hi:[0,1,0]
	v_or_b32_e32 v1, v45, v46
	v_lshlrev_b32_e32 v45, 16, v10
	v_or_b32_e32 v10, v43, v44
	v_fma_mixlo_f16 v43, v42, v43, 0 op_sel:[0,1,0] op_sel_hi:[0,1,0]
	v_lshlrev_b32_e32 v50, 16, v43
	v_or_b32_e32 v43, v49, v48
	v_or_b32_e32 v47, v9, v47
	v_fma_mixlo_f16 v1, v42, v1, 0 op_sel_hi:[0,1,0]
	v_fma_mixlo_f16 v10, v42, v10, 0 op_sel_hi:[0,1,0]
	v_fma_mixlo_f16 v44, v42, v49, 0 op_sel:[0,1,0] op_sel_hi:[0,1,0]
	v_fma_mixlo_f16 v43, v42, v43, 0 op_sel_hi:[0,1,0]
	v_fma_mixlo_f16 v47, v42, v47, 0 op_sel_hi:[0,1,0]
	v_fma_mixlo_f16 v9, v42, v9, 0 op_sel:[0,1,0] op_sel_hi:[0,1,0]
	v_and_b32_e32 v46, 0xffff, v1
	v_and_b32_e32 v51, 0xffff, v10
	v_lshlrev_b32_e32 v44, 16, v44
	v_and_b32_e32 v48, 0xffff, v43
	v_lshlrev_b32_e32 v9, 16, v9
	v_and_b32_e32 v42, 0xffff, v47
	v_or_b32_e32 v1, v45, v46
	v_or_b32_e32 v10, v50, v51
	;; [unrolled: 1-line block ×4, first 2 shown]
	s_and_saveexec_b64 s[16:17], vcc
	s_cbranch_execz .LBB256_431
; %bb.430:                              ;   in Loop: Header=BB256_280 Depth=1
	v_cmp_gt_i32_e64 s[0:1], s33, v26
	v_cndmask_b32_e64 v1, 0, v51, s[0:1]
	v_cmp_gt_i32_e64 s[0:1], s33, v33
	v_cndmask_b32_e64 v10, 0, v50, s[0:1]
	v_cmp_gt_i32_e64 s[0:1], s33, v32
	v_or_b32_e32 v10, v10, v1
	v_cndmask_b32_e64 v1, 0, v46, s[0:1]
	v_cmp_gt_i32_e64 s[0:1], s33, v31
	v_cndmask_b32_e64 v43, 0, v45, s[0:1]
	v_cmp_gt_i32_e64 s[0:1], s33, v30
	v_or_b32_e32 v1, v43, v1
	v_cndmask_b32_e64 v43, 0, v48, s[0:1]
	v_cmp_gt_i32_e64 s[0:1], s33, v29
	v_cndmask_b32_e64 v44, 0, v44, s[0:1]
	v_cmp_gt_i32_e64 s[0:1], s33, v28
	;; [unrolled: 2-line block ×3, first 2 shown]
	v_cndmask_b32_e64 v9, 0, v9, s[0:1]
	v_or_b32_e32 v43, v44, v43
	v_or_b32_e32 v47, v9, v42
.LBB256_431:                            ;   in Loop: Header=BB256_280 Depth=1
	s_or_b64 exec, exec, s[16:17]
	;;#ASMSTART
	v_pk_mul_f16 v9, v37, v10;

	;;#ASMEND
	;;#ASMSTART
	v_pk_mul_f16 v1, v36, v1;

	;;#ASMEND
	;; [unrolled: 4-line block ×4, first 2 shown]
	;;#ASMSTART
	v_pk_add_f16 v1, v9, v1;

	;;#ASMEND
	;;#ASMSTART
	v_pk_add_f16 v1, v1, v10;

	;;#ASMEND
	;; [unrolled: 4-line block ×3, first 2 shown]
	v_lshrrev_b32_e32 v9, 16, v1
	v_and_b32_e32 v1, 0xffff, v1
	;;#ASMSTART
	v_cvt_f32_f16 v42, v1;
	;;#ASMEND
	;;#ASMSTART
	v_cvt_f32_f16 v43, v9;
	;;#ASMEND
	global_load_dwordx2 v[9:10], v[7:8], off offset:1536
	v_mov_b32_e32 v45, 0
	global_load_dword v44, v45, s[14:15]
	v_mov_b32_e32 v46, 0
	s_waitcnt vmcnt(1)
	v_cmp_ne_u16_sdwa s[0:1], v9, v2 src0_sel:BYTE_0 src1_sel:DWORD
	s_and_saveexec_b64 s[16:17], s[0:1]
	s_cbranch_execz .LBB256_437
; %bb.432:                              ;   in Loop: Header=BB256_280 Depth=1
	v_cmp_ne_u16_sdwa s[0:1], v9, s28 src0_sel:BYTE_0 src1_sel:DWORD
	v_mov_b32_e32 v46, 0x8000
	s_and_saveexec_b64 s[18:19], s[0:1]
	s_cbranch_execz .LBB256_436
; %bb.433:                              ;   in Loop: Header=BB256_280 Depth=1
	v_and_b32_e32 v1, 0x7f, v9
	v_cmp_ne_u32_e64 s[0:1], s29, v1
	v_mov_b32_e32 v46, 0x7c01
	s_and_saveexec_b64 s[20:21], s[0:1]
	s_cbranch_execz .LBB256_435
; %bb.434:                              ;   in Loop: Header=BB256_280 Depth=1
	v_and_b32_e32 v48, 7, v9
	v_ffbh_u32_e32 v46, v48
	v_min_u32_e32 v50, 32, v46
	v_subrev_u32_e32 v46, 28, v50
	v_lshlrev_b64 v[46:47], v46, v[9:10]
	v_lshrrev_b32_e32 v49, 3, v1
	v_sub_u32_e32 v47, 29, v50
	v_cmp_gt_u32_e64 s[0:1], 8, v1
	v_cndmask_b32_e64 v1, v49, v47, s[0:1]
	v_lshl_add_u32 v1, v1, 10, v25
	v_lshlrev_b32_e32 v47, 8, v9
	v_and_b32_e32 v46, 7, v46
	v_and_b32_e32 v1, 0xfc00, v1
	v_cndmask_b32_e64 v46, v48, v46, s[0:1]
	v_and_or_b32 v1, v47, s30, v1
	v_lshl_or_b32 v46, v46, 7, v1
.LBB256_435:                            ;   in Loop: Header=BB256_280 Depth=1
	s_or_b64 exec, exec, s[20:21]
.LBB256_436:                            ;   in Loop: Header=BB256_280 Depth=1
	s_or_b64 exec, exec, s[18:19]
.LBB256_437:                            ;   in Loop: Header=BB256_280 Depth=1
	s_or_b64 exec, exec, s[16:17]
	v_lshrrev_b16_e32 v1, 8, v9
	v_cmp_ne_u16_e64 s[0:1], 0, v1
	s_and_saveexec_b64 s[16:17], s[0:1]
	s_cbranch_execz .LBB256_443
; %bb.438:                              ;   in Loop: Header=BB256_280 Depth=1
	v_cmp_ne_u16_e64 s[0:1], s28, v1
	v_bfrev_b32_e32 v45, 1
	s_and_saveexec_b64 s[18:19], s[0:1]
	s_cbranch_execz .LBB256_442
; %bb.439:                              ;   in Loop: Header=BB256_280 Depth=1
	v_and_b32_e32 v47, 0x7f, v1
	v_cmp_ne_u32_e64 s[0:1], s29, v47
	v_mov_b32_e32 v45, 0x7c010000
	s_and_saveexec_b64 s[20:21], s[0:1]
	s_cbranch_execz .LBB256_441
; %bb.440:                              ;   in Loop: Header=BB256_280 Depth=1
	v_and_b32_e32 v45, 7, v1
	v_ffbh_u32_e32 v48, v45
	v_min_u32_e32 v51, 32, v48
	v_subrev_u32_e32 v48, 28, v51
	v_lshlrev_b64 v[48:49], v48, v[1:2]
	v_lshrrev_b32_e32 v50, 3, v47
	v_sub_u32_e32 v49, 29, v51
	v_cmp_gt_u32_e64 s[0:1], 8, v47
	v_cndmask_b32_e64 v47, v50, v49, s[0:1]
	v_lshlrev_b32_e32 v1, 8, v1
	v_lshl_add_u32 v47, v47, 10, v25
	v_and_b32_e32 v48, 7, v48
	v_and_or_b32 v1, v1, s30, v47
	v_cndmask_b32_e64 v45, v45, v48, s[0:1]
	v_lshlrev_b32_e32 v1, 16, v1
	v_lshl_or_b32 v45, v45, 23, v1
.LBB256_441:                            ;   in Loop: Header=BB256_280 Depth=1
	s_or_b64 exec, exec, s[20:21]
.LBB256_442:                            ;   in Loop: Header=BB256_280 Depth=1
	s_or_b64 exec, exec, s[18:19]
.LBB256_443:                            ;   in Loop: Header=BB256_280 Depth=1
	s_or_b64 exec, exec, s[16:17]
	v_lshrrev_b32_e32 v1, 16, v9
	v_cmp_ne_u16_sdwa s[0:1], v1, v2 src0_sel:BYTE_0 src1_sel:DWORD
	v_mov_b32_e32 v47, 0
	v_mov_b32_e32 v48, 0
	s_and_saveexec_b64 s[16:17], s[0:1]
	s_cbranch_execz .LBB256_449
; %bb.444:                              ;   in Loop: Header=BB256_280 Depth=1
	v_cmp_ne_u16_sdwa s[0:1], v1, s28 src0_sel:BYTE_0 src1_sel:DWORD
	v_mov_b32_e32 v48, 0x8000
	s_and_saveexec_b64 s[18:19], s[0:1]
	s_cbranch_execz .LBB256_448
; %bb.445:                              ;   in Loop: Header=BB256_280 Depth=1
	v_bfe_u32 v49, v9, 16, 7
	v_cmp_ne_u32_e64 s[0:1], s29, v49
	v_mov_b32_e32 v48, 0x7c01
	s_and_saveexec_b64 s[20:21], s[0:1]
	s_cbranch_execz .LBB256_447
; %bb.446:                              ;   in Loop: Header=BB256_280 Depth=1
	v_and_b32_e32 v48, 7, v1
	v_ffbh_u32_e32 v50, v48
	v_min_u32_e32 v53, 32, v50
	v_subrev_u32_e32 v50, 28, v53
	v_lshlrev_b64 v[50:51], v50, v[1:2]
	v_lshrrev_b32_e32 v52, 3, v49
	v_sub_u32_e32 v51, 29, v53
	v_cmp_gt_u32_e64 s[0:1], 8, v49
	v_cndmask_b32_e64 v49, v52, v51, s[0:1]
	v_lshl_add_u32 v49, v49, 10, v25
	v_lshlrev_b32_e32 v1, 8, v1
	v_and_b32_e32 v50, 7, v50
	v_and_b32_e32 v49, 0xfc00, v49
	v_cndmask_b32_e64 v48, v48, v50, s[0:1]
	v_and_or_b32 v1, v1, s30, v49
	v_lshl_or_b32 v48, v48, 7, v1
.LBB256_447:                            ;   in Loop: Header=BB256_280 Depth=1
	s_or_b64 exec, exec, s[20:21]
.LBB256_448:                            ;   in Loop: Header=BB256_280 Depth=1
	s_or_b64 exec, exec, s[18:19]
.LBB256_449:                            ;   in Loop: Header=BB256_280 Depth=1
	s_or_b64 exec, exec, s[16:17]
	v_cmp_lt_u32_e64 s[0:1], s5, v9
	s_and_saveexec_b64 s[16:17], s[0:1]
	s_cbranch_execz .LBB256_455
; %bb.450:                              ;   in Loop: Header=BB256_280 Depth=1
	v_lshrrev_b32_e32 v1, 24, v9
	v_cmp_ne_u32_e64 s[0:1], s28, v1
	v_bfrev_b32_e32 v47, 1
	s_and_saveexec_b64 s[18:19], s[0:1]
	s_cbranch_execz .LBB256_454
; %bb.451:                              ;   in Loop: Header=BB256_280 Depth=1
	v_and_b32_e32 v49, 0x7f, v1
	v_cmp_ne_u32_e64 s[0:1], s29, v49
	v_mov_b32_e32 v47, 0x7c010000
	s_and_saveexec_b64 s[20:21], s[0:1]
	s_cbranch_execz .LBB256_453
; %bb.452:                              ;   in Loop: Header=BB256_280 Depth=1
	v_and_b32_e32 v47, 7, v1
	v_ffbh_u32_e32 v50, v47
	v_min_u32_e32 v53, 32, v50
	v_subrev_u32_e32 v50, 28, v53
	v_lshlrev_b64 v[50:51], v50, v[1:2]
	v_lshrrev_b32_e32 v52, 3, v49
	v_sub_u32_e32 v51, 29, v53
	v_cmp_gt_u32_e64 s[0:1], 8, v49
	v_cndmask_b32_e64 v49, v52, v51, s[0:1]
	v_lshlrev_b32_e32 v1, 8, v1
	v_lshl_add_u32 v49, v49, 10, v25
	v_and_b32_e32 v50, 7, v50
	v_and_or_b32 v1, v1, s30, v49
	v_cndmask_b32_e64 v47, v47, v50, s[0:1]
	v_lshlrev_b32_e32 v1, 16, v1
	v_lshl_or_b32 v47, v47, 23, v1
.LBB256_453:                            ;   in Loop: Header=BB256_280 Depth=1
	s_or_b64 exec, exec, s[20:21]
.LBB256_454:                            ;   in Loop: Header=BB256_280 Depth=1
	s_or_b64 exec, exec, s[18:19]
.LBB256_455:                            ;   in Loop: Header=BB256_280 Depth=1
	s_or_b64 exec, exec, s[16:17]
	v_mov_b32_e32 v1, v10
	v_cmp_ne_u16_sdwa s[0:1], v10, v2 src0_sel:BYTE_0 src1_sel:DWORD
	v_mov_b32_e32 v49, 0
	v_mov_b32_e32 v50, 0
	s_and_saveexec_b64 s[16:17], s[0:1]
	s_cbranch_execz .LBB256_461
; %bb.456:                              ;   in Loop: Header=BB256_280 Depth=1
	v_cmp_ne_u16_sdwa s[0:1], v10, s28 src0_sel:BYTE_0 src1_sel:DWORD
	v_mov_b32_e32 v50, 0x8000
	s_and_saveexec_b64 s[18:19], s[0:1]
	s_cbranch_execz .LBB256_460
; %bb.457:                              ;   in Loop: Header=BB256_280 Depth=1
	v_and_b32_e32 v51, 0x7f, v10
	v_cmp_ne_u32_e64 s[0:1], s29, v51
	v_mov_b32_e32 v50, 0x7c01
	s_and_saveexec_b64 s[20:21], s[0:1]
	s_cbranch_execz .LBB256_459
; %bb.458:                              ;   in Loop: Header=BB256_280 Depth=1
	v_and_b32_e32 v50, 7, v10
	v_ffbh_u32_e32 v52, v50
	v_min_u32_e32 v55, 32, v52
	v_subrev_u32_e32 v52, 28, v55
	v_lshlrev_b64 v[52:53], v52, v[1:2]
	v_lshrrev_b32_e32 v54, 3, v51
	v_sub_u32_e32 v53, 29, v55
	v_cmp_gt_u32_e64 s[0:1], 8, v51
	v_cndmask_b32_e64 v51, v54, v53, s[0:1]
	v_lshl_add_u32 v51, v51, 10, v25
	v_lshlrev_b32_e32 v53, 8, v10
	v_and_b32_e32 v52, 7, v52
	v_and_b32_e32 v51, 0xfc00, v51
	v_cndmask_b32_e64 v50, v50, v52, s[0:1]
	v_and_or_b32 v51, v53, s30, v51
	v_lshl_or_b32 v50, v50, 7, v51
.LBB256_459:                            ;   in Loop: Header=BB256_280 Depth=1
	s_or_b64 exec, exec, s[20:21]
.LBB256_460:                            ;   in Loop: Header=BB256_280 Depth=1
	s_or_b64 exec, exec, s[18:19]
.LBB256_461:                            ;   in Loop: Header=BB256_280 Depth=1
	s_or_b64 exec, exec, s[16:17]
	v_lshrrev_b16_e32 v1, 8, v1
	v_cmp_ne_u16_e64 s[0:1], 0, v1
	v_mov_b32_e32 v51, 0
	s_and_saveexec_b64 s[16:17], s[0:1]
	s_cbranch_execz .LBB256_467
; %bb.462:                              ;   in Loop: Header=BB256_280 Depth=1
	v_cmp_ne_u16_e64 s[0:1], s28, v1
	v_bfrev_b32_e32 v51, 1
	s_and_saveexec_b64 s[18:19], s[0:1]
	s_cbranch_execz .LBB256_466
; %bb.463:                              ;   in Loop: Header=BB256_280 Depth=1
	v_and_b32_e32 v52, 0x7f, v1
	v_cmp_ne_u32_e64 s[0:1], s29, v52
	v_mov_b32_e32 v51, 0x7c010000
	s_and_saveexec_b64 s[20:21], s[0:1]
	s_cbranch_execz .LBB256_465
; %bb.464:                              ;   in Loop: Header=BB256_280 Depth=1
	v_and_b32_e32 v51, 7, v1
	v_ffbh_u32_e32 v53, v51
	v_min_u32_e32 v56, 32, v53
	v_subrev_u32_e32 v53, 28, v56
	v_lshlrev_b64 v[53:54], v53, v[1:2]
	v_lshrrev_b32_e32 v55, 3, v52
	v_sub_u32_e32 v54, 29, v56
	v_cmp_gt_u32_e64 s[0:1], 8, v52
	v_cndmask_b32_e64 v52, v55, v54, s[0:1]
	v_lshlrev_b32_e32 v1, 8, v1
	v_lshl_add_u32 v52, v52, 10, v25
	v_and_b32_e32 v53, 7, v53
	v_and_or_b32 v1, v1, s30, v52
	v_cndmask_b32_e64 v51, v51, v53, s[0:1]
	v_lshlrev_b32_e32 v1, 16, v1
	v_lshl_or_b32 v51, v51, 23, v1
.LBB256_465:                            ;   in Loop: Header=BB256_280 Depth=1
	s_or_b64 exec, exec, s[20:21]
.LBB256_466:                            ;   in Loop: Header=BB256_280 Depth=1
	s_or_b64 exec, exec, s[18:19]
.LBB256_467:                            ;   in Loop: Header=BB256_280 Depth=1
	s_or_b64 exec, exec, s[16:17]
	v_lshrrev_b32_e32 v1, 16, v10
	v_cmp_ne_u16_sdwa s[0:1], v1, v2 src0_sel:BYTE_0 src1_sel:DWORD
	s_and_saveexec_b64 s[16:17], s[0:1]
	s_cbranch_execz .LBB256_473
; %bb.468:                              ;   in Loop: Header=BB256_280 Depth=1
	v_cmp_ne_u16_sdwa s[0:1], v1, s28 src0_sel:BYTE_0 src1_sel:DWORD
	v_mov_b32_e32 v49, 0x8000
	s_and_saveexec_b64 s[18:19], s[0:1]
	s_cbranch_execz .LBB256_472
; %bb.469:                              ;   in Loop: Header=BB256_280 Depth=1
	v_bfe_u32 v52, v10, 16, 7
	v_cmp_ne_u32_e64 s[0:1], s29, v52
	v_mov_b32_e32 v49, 0x7c01
	s_and_saveexec_b64 s[20:21], s[0:1]
	s_cbranch_execz .LBB256_471
; %bb.470:                              ;   in Loop: Header=BB256_280 Depth=1
	v_and_b32_e32 v49, 7, v1
	v_ffbh_u32_e32 v53, v49
	v_min_u32_e32 v56, 32, v53
	v_subrev_u32_e32 v53, 28, v56
	v_lshlrev_b64 v[53:54], v53, v[1:2]
	v_lshrrev_b32_e32 v55, 3, v52
	v_sub_u32_e32 v54, 29, v56
	v_cmp_gt_u32_e64 s[0:1], 8, v52
	v_cndmask_b32_e64 v52, v55, v54, s[0:1]
	v_lshl_add_u32 v52, v52, 10, v25
	v_lshlrev_b32_e32 v1, 8, v1
	v_and_b32_e32 v53, 7, v53
	v_and_b32_e32 v52, 0xfc00, v52
	v_cndmask_b32_e64 v49, v49, v53, s[0:1]
	v_and_or_b32 v1, v1, s30, v52
	v_lshl_or_b32 v49, v49, 7, v1
.LBB256_471:                            ;   in Loop: Header=BB256_280 Depth=1
	s_or_b64 exec, exec, s[20:21]
.LBB256_472:                            ;   in Loop: Header=BB256_280 Depth=1
	s_or_b64 exec, exec, s[18:19]
.LBB256_473:                            ;   in Loop: Header=BB256_280 Depth=1
	s_or_b64 exec, exec, s[16:17]
	v_cmp_lt_u64_e64 s[0:1], s[4:5], v[9:10]
	v_mov_b32_e32 v9, 0
	s_and_saveexec_b64 s[16:17], s[0:1]
	s_cbranch_execz .LBB256_479
; %bb.474:                              ;   in Loop: Header=BB256_280 Depth=1
	v_lshrrev_b32_e32 v1, 24, v10
	v_cmp_ne_u32_e64 s[0:1], s28, v1
	v_bfrev_b32_e32 v9, 1
	s_and_saveexec_b64 s[18:19], s[0:1]
	s_cbranch_execz .LBB256_478
; %bb.475:                              ;   in Loop: Header=BB256_280 Depth=1
	v_and_b32_e32 v10, 0x7f, v1
	v_cmp_ne_u32_e64 s[0:1], s29, v10
	v_mov_b32_e32 v9, 0x7c010000
	s_and_saveexec_b64 s[20:21], s[0:1]
	s_cbranch_execz .LBB256_477
; %bb.476:                              ;   in Loop: Header=BB256_280 Depth=1
	v_and_b32_e32 v9, 7, v1
	v_ffbh_u32_e32 v52, v9
	v_min_u32_e32 v55, 32, v52
	v_subrev_u32_e32 v52, 28, v55
	v_lshlrev_b64 v[52:53], v52, v[1:2]
	v_lshrrev_b32_e32 v54, 3, v10
	v_sub_u32_e32 v53, 29, v55
	v_cmp_gt_u32_e64 s[0:1], 8, v10
	v_cndmask_b32_e64 v10, v54, v53, s[0:1]
	v_lshlrev_b32_e32 v1, 8, v1
	v_lshl_add_u32 v10, v10, 10, v25
	v_and_b32_e32 v52, 7, v52
	v_and_or_b32 v1, v1, s30, v10
	v_cndmask_b32_e64 v9, v9, v52, s[0:1]
	v_lshlrev_b32_e32 v1, 16, v1
	v_lshl_or_b32 v9, v9, 23, v1
.LBB256_477:                            ;   in Loop: Header=BB256_280 Depth=1
	s_or_b64 exec, exec, s[20:21]
.LBB256_478:                            ;   in Loop: Header=BB256_280 Depth=1
	s_or_b64 exec, exec, s[18:19]
.LBB256_479:                            ;   in Loop: Header=BB256_280 Depth=1
	s_or_b64 exec, exec, s[16:17]
	s_waitcnt vmcnt(0)
	v_fma_mixlo_f16 v10, v44, v47, 0 op_sel:[0,1,0] op_sel_hi:[0,1,0]
	v_or_b32_e32 v1, v47, v48
	v_lshlrev_b32_e32 v47, 16, v10
	v_or_b32_e32 v10, v45, v46
	v_fma_mixlo_f16 v45, v44, v45, 0 op_sel:[0,1,0] op_sel_hi:[0,1,0]
	v_lshlrev_b32_e32 v52, 16, v45
	v_or_b32_e32 v45, v51, v50
	v_or_b32_e32 v49, v9, v49
	v_fma_mixlo_f16 v1, v44, v1, 0 op_sel_hi:[0,1,0]
	v_fma_mixlo_f16 v10, v44, v10, 0 op_sel_hi:[0,1,0]
	v_fma_mixlo_f16 v46, v44, v51, 0 op_sel:[0,1,0] op_sel_hi:[0,1,0]
	v_fma_mixlo_f16 v45, v44, v45, 0 op_sel_hi:[0,1,0]
	v_fma_mixlo_f16 v49, v44, v49, 0 op_sel_hi:[0,1,0]
	v_fma_mixlo_f16 v9, v44, v9, 0 op_sel:[0,1,0] op_sel_hi:[0,1,0]
	v_and_b32_e32 v48, 0xffff, v1
	v_and_b32_e32 v53, 0xffff, v10
	v_lshlrev_b32_e32 v46, 16, v46
	v_and_b32_e32 v50, 0xffff, v45
	v_lshlrev_b32_e32 v9, 16, v9
	v_and_b32_e32 v44, 0xffff, v49
	v_or_b32_e32 v1, v47, v48
	v_or_b32_e32 v10, v52, v53
	;; [unrolled: 1-line block ×4, first 2 shown]
	s_and_saveexec_b64 s[16:17], vcc
	s_cbranch_execz .LBB256_481
; %bb.480:                              ;   in Loop: Header=BB256_280 Depth=1
	v_cmp_gt_i32_e64 s[0:1], s33, v26
	v_cndmask_b32_e64 v1, 0, v53, s[0:1]
	v_cmp_gt_i32_e64 s[0:1], s33, v33
	v_cndmask_b32_e64 v10, 0, v52, s[0:1]
	v_cmp_gt_i32_e64 s[0:1], s33, v32
	v_or_b32_e32 v10, v10, v1
	v_cndmask_b32_e64 v1, 0, v48, s[0:1]
	v_cmp_gt_i32_e64 s[0:1], s33, v31
	v_cndmask_b32_e64 v45, 0, v47, s[0:1]
	v_cmp_gt_i32_e64 s[0:1], s33, v30
	v_or_b32_e32 v1, v45, v1
	v_cndmask_b32_e64 v45, 0, v50, s[0:1]
	v_cmp_gt_i32_e64 s[0:1], s33, v29
	v_cndmask_b32_e64 v46, 0, v46, s[0:1]
	v_cmp_gt_i32_e64 s[0:1], s33, v28
	;; [unrolled: 2-line block ×3, first 2 shown]
	v_cndmask_b32_e64 v9, 0, v9, s[0:1]
	v_or_b32_e32 v45, v46, v45
	v_or_b32_e32 v49, v9, v44
.LBB256_481:                            ;   in Loop: Header=BB256_280 Depth=1
	s_or_b64 exec, exec, s[16:17]
	;;#ASMSTART
	v_pk_mul_f16 v9, v37, v10;

	;;#ASMEND
	;;#ASMSTART
	v_pk_mul_f16 v1, v36, v1;

	;;#ASMEND
	;; [unrolled: 4-line block ×4, first 2 shown]
	;;#ASMSTART
	v_pk_add_f16 v1, v9, v1;

	;;#ASMEND
	;;#ASMSTART
	v_pk_add_f16 v1, v1, v10;

	;;#ASMEND
	;; [unrolled: 4-line block ×3, first 2 shown]
	v_lshrrev_b32_e32 v10, 16, v1
	v_and_b32_e32 v1, 0xffff, v1
	;;#ASMSTART
	v_cvt_f32_f16 v9, v1;
	;;#ASMEND
	;;#ASMSTART
	v_cvt_f32_f16 v10, v10;
	;;#ASMEND
	global_load_dwordx2 v[7:8], v[7:8], off offset:2048
	v_mov_b32_e32 v45, 0
	global_load_dword v44, v45, s[14:15]
	v_mov_b32_e32 v46, 0
	s_waitcnt vmcnt(1)
	v_cmp_ne_u16_sdwa s[0:1], v7, v2 src0_sel:BYTE_0 src1_sel:DWORD
	s_and_saveexec_b64 s[16:17], s[0:1]
	s_cbranch_execz .LBB256_487
; %bb.482:                              ;   in Loop: Header=BB256_280 Depth=1
	v_cmp_ne_u16_sdwa s[0:1], v7, s28 src0_sel:BYTE_0 src1_sel:DWORD
	v_mov_b32_e32 v46, 0x8000
	s_and_saveexec_b64 s[18:19], s[0:1]
	s_cbranch_execz .LBB256_486
; %bb.483:                              ;   in Loop: Header=BB256_280 Depth=1
	v_and_b32_e32 v1, 0x7f, v7
	v_cmp_ne_u32_e64 s[0:1], s29, v1
	v_mov_b32_e32 v46, 0x7c01
	s_and_saveexec_b64 s[20:21], s[0:1]
	s_cbranch_execz .LBB256_485
; %bb.484:                              ;   in Loop: Header=BB256_280 Depth=1
	v_and_b32_e32 v48, 7, v7
	v_ffbh_u32_e32 v46, v48
	v_min_u32_e32 v50, 32, v46
	v_subrev_u32_e32 v46, 28, v50
	v_lshlrev_b64 v[46:47], v46, v[7:8]
	v_lshrrev_b32_e32 v49, 3, v1
	v_sub_u32_e32 v47, 29, v50
	v_cmp_gt_u32_e64 s[0:1], 8, v1
	v_cndmask_b32_e64 v1, v49, v47, s[0:1]
	v_lshl_add_u32 v1, v1, 10, v25
	v_lshlrev_b32_e32 v47, 8, v7
	v_and_b32_e32 v46, 7, v46
	v_and_b32_e32 v1, 0xfc00, v1
	v_cndmask_b32_e64 v46, v48, v46, s[0:1]
	v_and_or_b32 v1, v47, s30, v1
	v_lshl_or_b32 v46, v46, 7, v1
.LBB256_485:                            ;   in Loop: Header=BB256_280 Depth=1
	s_or_b64 exec, exec, s[20:21]
.LBB256_486:                            ;   in Loop: Header=BB256_280 Depth=1
	s_or_b64 exec, exec, s[18:19]
.LBB256_487:                            ;   in Loop: Header=BB256_280 Depth=1
	s_or_b64 exec, exec, s[16:17]
	v_lshrrev_b16_e32 v1, 8, v7
	v_cmp_ne_u16_e64 s[0:1], 0, v1
	s_and_saveexec_b64 s[16:17], s[0:1]
	s_cbranch_execz .LBB256_493
; %bb.488:                              ;   in Loop: Header=BB256_280 Depth=1
	v_cmp_ne_u16_e64 s[0:1], s28, v1
	v_bfrev_b32_e32 v45, 1
	s_and_saveexec_b64 s[18:19], s[0:1]
	s_cbranch_execz .LBB256_492
; %bb.489:                              ;   in Loop: Header=BB256_280 Depth=1
	v_and_b32_e32 v47, 0x7f, v1
	v_cmp_ne_u32_e64 s[0:1], s29, v47
	v_mov_b32_e32 v45, 0x7c010000
	s_and_saveexec_b64 s[20:21], s[0:1]
	s_cbranch_execz .LBB256_491
; %bb.490:                              ;   in Loop: Header=BB256_280 Depth=1
	v_and_b32_e32 v45, 7, v1
	v_ffbh_u32_e32 v48, v45
	v_min_u32_e32 v51, 32, v48
	v_subrev_u32_e32 v48, 28, v51
	v_lshlrev_b64 v[48:49], v48, v[1:2]
	v_lshrrev_b32_e32 v50, 3, v47
	v_sub_u32_e32 v49, 29, v51
	v_cmp_gt_u32_e64 s[0:1], 8, v47
	v_cndmask_b32_e64 v47, v50, v49, s[0:1]
	v_lshlrev_b32_e32 v1, 8, v1
	v_lshl_add_u32 v47, v47, 10, v25
	v_and_b32_e32 v48, 7, v48
	v_and_or_b32 v1, v1, s30, v47
	v_cndmask_b32_e64 v45, v45, v48, s[0:1]
	v_lshlrev_b32_e32 v1, 16, v1
	v_lshl_or_b32 v45, v45, 23, v1
.LBB256_491:                            ;   in Loop: Header=BB256_280 Depth=1
	s_or_b64 exec, exec, s[20:21]
.LBB256_492:                            ;   in Loop: Header=BB256_280 Depth=1
	s_or_b64 exec, exec, s[18:19]
.LBB256_493:                            ;   in Loop: Header=BB256_280 Depth=1
	s_or_b64 exec, exec, s[16:17]
	v_lshrrev_b32_e32 v1, 16, v7
	v_cmp_ne_u16_sdwa s[0:1], v1, v2 src0_sel:BYTE_0 src1_sel:DWORD
	v_mov_b32_e32 v47, 0
	v_mov_b32_e32 v48, 0
	s_and_saveexec_b64 s[16:17], s[0:1]
	s_cbranch_execz .LBB256_499
; %bb.494:                              ;   in Loop: Header=BB256_280 Depth=1
	v_cmp_ne_u16_sdwa s[0:1], v1, s28 src0_sel:BYTE_0 src1_sel:DWORD
	v_mov_b32_e32 v48, 0x8000
	s_and_saveexec_b64 s[18:19], s[0:1]
	s_cbranch_execz .LBB256_498
; %bb.495:                              ;   in Loop: Header=BB256_280 Depth=1
	v_bfe_u32 v49, v7, 16, 7
	v_cmp_ne_u32_e64 s[0:1], s29, v49
	v_mov_b32_e32 v48, 0x7c01
	s_and_saveexec_b64 s[20:21], s[0:1]
	s_cbranch_execz .LBB256_497
; %bb.496:                              ;   in Loop: Header=BB256_280 Depth=1
	v_and_b32_e32 v48, 7, v1
	v_ffbh_u32_e32 v50, v48
	v_min_u32_e32 v53, 32, v50
	v_subrev_u32_e32 v50, 28, v53
	v_lshlrev_b64 v[50:51], v50, v[1:2]
	v_lshrrev_b32_e32 v52, 3, v49
	v_sub_u32_e32 v51, 29, v53
	v_cmp_gt_u32_e64 s[0:1], 8, v49
	v_cndmask_b32_e64 v49, v52, v51, s[0:1]
	v_lshl_add_u32 v49, v49, 10, v25
	v_lshlrev_b32_e32 v1, 8, v1
	v_and_b32_e32 v50, 7, v50
	v_and_b32_e32 v49, 0xfc00, v49
	v_cndmask_b32_e64 v48, v48, v50, s[0:1]
	v_and_or_b32 v1, v1, s30, v49
	v_lshl_or_b32 v48, v48, 7, v1
.LBB256_497:                            ;   in Loop: Header=BB256_280 Depth=1
	s_or_b64 exec, exec, s[20:21]
.LBB256_498:                            ;   in Loop: Header=BB256_280 Depth=1
	s_or_b64 exec, exec, s[18:19]
.LBB256_499:                            ;   in Loop: Header=BB256_280 Depth=1
	s_or_b64 exec, exec, s[16:17]
	v_cmp_lt_u32_e64 s[0:1], s5, v7
	s_and_saveexec_b64 s[16:17], s[0:1]
	s_cbranch_execz .LBB256_505
; %bb.500:                              ;   in Loop: Header=BB256_280 Depth=1
	v_lshrrev_b32_e32 v1, 24, v7
	v_cmp_ne_u32_e64 s[0:1], s28, v1
	v_bfrev_b32_e32 v47, 1
	s_and_saveexec_b64 s[18:19], s[0:1]
	s_cbranch_execz .LBB256_504
; %bb.501:                              ;   in Loop: Header=BB256_280 Depth=1
	v_and_b32_e32 v49, 0x7f, v1
	v_cmp_ne_u32_e64 s[0:1], s29, v49
	v_mov_b32_e32 v47, 0x7c010000
	s_and_saveexec_b64 s[20:21], s[0:1]
	s_cbranch_execz .LBB256_503
; %bb.502:                              ;   in Loop: Header=BB256_280 Depth=1
	v_and_b32_e32 v47, 7, v1
	v_ffbh_u32_e32 v50, v47
	v_min_u32_e32 v53, 32, v50
	v_subrev_u32_e32 v50, 28, v53
	v_lshlrev_b64 v[50:51], v50, v[1:2]
	v_lshrrev_b32_e32 v52, 3, v49
	v_sub_u32_e32 v51, 29, v53
	v_cmp_gt_u32_e64 s[0:1], 8, v49
	v_cndmask_b32_e64 v49, v52, v51, s[0:1]
	v_lshlrev_b32_e32 v1, 8, v1
	v_lshl_add_u32 v49, v49, 10, v25
	v_and_b32_e32 v50, 7, v50
	v_and_or_b32 v1, v1, s30, v49
	v_cndmask_b32_e64 v47, v47, v50, s[0:1]
	v_lshlrev_b32_e32 v1, 16, v1
	v_lshl_or_b32 v47, v47, 23, v1
.LBB256_503:                            ;   in Loop: Header=BB256_280 Depth=1
	s_or_b64 exec, exec, s[20:21]
.LBB256_504:                            ;   in Loop: Header=BB256_280 Depth=1
	s_or_b64 exec, exec, s[18:19]
.LBB256_505:                            ;   in Loop: Header=BB256_280 Depth=1
	s_or_b64 exec, exec, s[16:17]
	v_mov_b32_e32 v1, v8
	v_cmp_ne_u16_sdwa s[0:1], v8, v2 src0_sel:BYTE_0 src1_sel:DWORD
	v_mov_b32_e32 v49, 0
	v_mov_b32_e32 v50, 0
	s_and_saveexec_b64 s[16:17], s[0:1]
	s_cbranch_execz .LBB256_511
; %bb.506:                              ;   in Loop: Header=BB256_280 Depth=1
	v_cmp_ne_u16_sdwa s[0:1], v8, s28 src0_sel:BYTE_0 src1_sel:DWORD
	v_mov_b32_e32 v50, 0x8000
	s_and_saveexec_b64 s[18:19], s[0:1]
	s_cbranch_execz .LBB256_510
; %bb.507:                              ;   in Loop: Header=BB256_280 Depth=1
	v_and_b32_e32 v51, 0x7f, v8
	v_cmp_ne_u32_e64 s[0:1], s29, v51
	v_mov_b32_e32 v50, 0x7c01
	s_and_saveexec_b64 s[20:21], s[0:1]
	s_cbranch_execz .LBB256_509
; %bb.508:                              ;   in Loop: Header=BB256_280 Depth=1
	v_and_b32_e32 v50, 7, v8
	v_ffbh_u32_e32 v52, v50
	v_min_u32_e32 v55, 32, v52
	v_subrev_u32_e32 v52, 28, v55
	v_lshlrev_b64 v[52:53], v52, v[1:2]
	v_lshrrev_b32_e32 v54, 3, v51
	v_sub_u32_e32 v53, 29, v55
	v_cmp_gt_u32_e64 s[0:1], 8, v51
	v_cndmask_b32_e64 v51, v54, v53, s[0:1]
	v_lshl_add_u32 v51, v51, 10, v25
	v_lshlrev_b32_e32 v53, 8, v8
	v_and_b32_e32 v52, 7, v52
	v_and_b32_e32 v51, 0xfc00, v51
	v_cndmask_b32_e64 v50, v50, v52, s[0:1]
	v_and_or_b32 v51, v53, s30, v51
	v_lshl_or_b32 v50, v50, 7, v51
.LBB256_509:                            ;   in Loop: Header=BB256_280 Depth=1
	s_or_b64 exec, exec, s[20:21]
.LBB256_510:                            ;   in Loop: Header=BB256_280 Depth=1
	s_or_b64 exec, exec, s[18:19]
.LBB256_511:                            ;   in Loop: Header=BB256_280 Depth=1
	s_or_b64 exec, exec, s[16:17]
	v_lshrrev_b16_e32 v1, 8, v1
	v_cmp_ne_u16_e64 s[0:1], 0, v1
	v_mov_b32_e32 v51, 0
	s_and_saveexec_b64 s[16:17], s[0:1]
	s_cbranch_execz .LBB256_517
; %bb.512:                              ;   in Loop: Header=BB256_280 Depth=1
	v_cmp_ne_u16_e64 s[0:1], s28, v1
	v_bfrev_b32_e32 v51, 1
	s_and_saveexec_b64 s[18:19], s[0:1]
	s_cbranch_execz .LBB256_516
; %bb.513:                              ;   in Loop: Header=BB256_280 Depth=1
	v_and_b32_e32 v52, 0x7f, v1
	v_cmp_ne_u32_e64 s[0:1], s29, v52
	v_mov_b32_e32 v51, 0x7c010000
	s_and_saveexec_b64 s[20:21], s[0:1]
	s_cbranch_execz .LBB256_515
; %bb.514:                              ;   in Loop: Header=BB256_280 Depth=1
	v_and_b32_e32 v51, 7, v1
	v_ffbh_u32_e32 v53, v51
	v_min_u32_e32 v56, 32, v53
	v_subrev_u32_e32 v53, 28, v56
	v_lshlrev_b64 v[53:54], v53, v[1:2]
	v_lshrrev_b32_e32 v55, 3, v52
	v_sub_u32_e32 v54, 29, v56
	v_cmp_gt_u32_e64 s[0:1], 8, v52
	v_cndmask_b32_e64 v52, v55, v54, s[0:1]
	v_lshlrev_b32_e32 v1, 8, v1
	v_lshl_add_u32 v52, v52, 10, v25
	v_and_b32_e32 v53, 7, v53
	v_and_or_b32 v1, v1, s30, v52
	v_cndmask_b32_e64 v51, v51, v53, s[0:1]
	v_lshlrev_b32_e32 v1, 16, v1
	v_lshl_or_b32 v51, v51, 23, v1
.LBB256_515:                            ;   in Loop: Header=BB256_280 Depth=1
	s_or_b64 exec, exec, s[20:21]
.LBB256_516:                            ;   in Loop: Header=BB256_280 Depth=1
	s_or_b64 exec, exec, s[18:19]
.LBB256_517:                            ;   in Loop: Header=BB256_280 Depth=1
	s_or_b64 exec, exec, s[16:17]
	v_lshrrev_b32_e32 v1, 16, v8
	v_cmp_ne_u16_sdwa s[0:1], v1, v2 src0_sel:BYTE_0 src1_sel:DWORD
	s_and_saveexec_b64 s[16:17], s[0:1]
	s_cbranch_execz .LBB256_523
; %bb.518:                              ;   in Loop: Header=BB256_280 Depth=1
	v_cmp_ne_u16_sdwa s[0:1], v1, s28 src0_sel:BYTE_0 src1_sel:DWORD
	v_mov_b32_e32 v49, 0x8000
	s_and_saveexec_b64 s[18:19], s[0:1]
	s_cbranch_execz .LBB256_522
; %bb.519:                              ;   in Loop: Header=BB256_280 Depth=1
	v_bfe_u32 v52, v8, 16, 7
	v_cmp_ne_u32_e64 s[0:1], s29, v52
	v_mov_b32_e32 v49, 0x7c01
	s_and_saveexec_b64 s[20:21], s[0:1]
	s_cbranch_execz .LBB256_521
; %bb.520:                              ;   in Loop: Header=BB256_280 Depth=1
	v_and_b32_e32 v49, 7, v1
	v_ffbh_u32_e32 v53, v49
	v_min_u32_e32 v56, 32, v53
	v_subrev_u32_e32 v53, 28, v56
	v_lshlrev_b64 v[53:54], v53, v[1:2]
	v_lshrrev_b32_e32 v55, 3, v52
	v_sub_u32_e32 v54, 29, v56
	v_cmp_gt_u32_e64 s[0:1], 8, v52
	v_cndmask_b32_e64 v52, v55, v54, s[0:1]
	v_lshl_add_u32 v52, v52, 10, v25
	v_lshlrev_b32_e32 v1, 8, v1
	v_and_b32_e32 v53, 7, v53
	v_and_b32_e32 v52, 0xfc00, v52
	v_cndmask_b32_e64 v49, v49, v53, s[0:1]
	v_and_or_b32 v1, v1, s30, v52
	v_lshl_or_b32 v49, v49, 7, v1
.LBB256_521:                            ;   in Loop: Header=BB256_280 Depth=1
	s_or_b64 exec, exec, s[20:21]
.LBB256_522:                            ;   in Loop: Header=BB256_280 Depth=1
	s_or_b64 exec, exec, s[18:19]
.LBB256_523:                            ;   in Loop: Header=BB256_280 Depth=1
	s_or_b64 exec, exec, s[16:17]
	v_cmp_lt_u64_e64 s[0:1], s[4:5], v[7:8]
	v_mov_b32_e32 v52, 0
	s_and_saveexec_b64 s[16:17], s[0:1]
	s_cbranch_execz .LBB256_529
; %bb.524:                              ;   in Loop: Header=BB256_280 Depth=1
	v_lshrrev_b32_e32 v1, 24, v8
	v_cmp_ne_u32_e64 s[0:1], s28, v1
	v_bfrev_b32_e32 v52, 1
	s_and_saveexec_b64 s[18:19], s[0:1]
	s_cbranch_execz .LBB256_528
; %bb.525:                              ;   in Loop: Header=BB256_280 Depth=1
	v_and_b32_e32 v7, 0x7f, v1
	v_cmp_ne_u32_e64 s[0:1], s29, v7
	v_mov_b32_e32 v52, 0x7c010000
	s_and_saveexec_b64 s[20:21], s[0:1]
	s_cbranch_execz .LBB256_527
; %bb.526:                              ;   in Loop: Header=BB256_280 Depth=1
	v_and_b32_e32 v8, 7, v1
	v_ffbh_u32_e32 v52, v8
	v_min_u32_e32 v55, 32, v52
	v_subrev_u32_e32 v52, 28, v55
	v_lshlrev_b64 v[52:53], v52, v[1:2]
	v_lshrrev_b32_e32 v54, 3, v7
	v_sub_u32_e32 v53, 29, v55
	v_cmp_gt_u32_e64 s[0:1], 8, v7
	v_cndmask_b32_e64 v7, v54, v53, s[0:1]
	v_lshlrev_b32_e32 v1, 8, v1
	v_lshl_add_u32 v7, v7, 10, v25
	v_and_b32_e32 v52, 7, v52
	v_and_or_b32 v1, v1, s30, v7
	v_cndmask_b32_e64 v8, v8, v52, s[0:1]
	v_lshlrev_b32_e32 v1, 16, v1
	v_lshl_or_b32 v52, v8, 23, v1
.LBB256_527:                            ;   in Loop: Header=BB256_280 Depth=1
	s_or_b64 exec, exec, s[20:21]
.LBB256_528:                            ;   in Loop: Header=BB256_280 Depth=1
	s_or_b64 exec, exec, s[18:19]
.LBB256_529:                            ;   in Loop: Header=BB256_280 Depth=1
	s_or_b64 exec, exec, s[16:17]
	s_waitcnt vmcnt(0)
	v_fma_mixlo_f16 v7, v44, v47, 0 op_sel:[0,1,0] op_sel_hi:[0,1,0]
	v_fma_mixlo_f16 v8, v44, v45, 0 op_sel:[0,1,0] op_sel_hi:[0,1,0]
	v_or_b32_e32 v1, v47, v48
	v_lshlrev_b32_e32 v47, 16, v7
	v_or_b32_e32 v7, v45, v46
	v_lshlrev_b32_e32 v53, 16, v8
	v_or_b32_e32 v8, v51, v50
	v_or_b32_e32 v46, v52, v49
	v_fma_mixlo_f16 v1, v44, v1, 0 op_sel_hi:[0,1,0]
	v_fma_mixlo_f16 v7, v44, v7, 0 op_sel_hi:[0,1,0]
	v_fma_mixlo_f16 v45, v44, v51, 0 op_sel:[0,1,0] op_sel_hi:[0,1,0]
	v_fma_mixlo_f16 v8, v44, v8, 0 op_sel_hi:[0,1,0]
	v_fma_mixlo_f16 v49, v44, v46, 0 op_sel_hi:[0,1,0]
	v_fma_mixlo_f16 v44, v44, v52, 0 op_sel:[0,1,0] op_sel_hi:[0,1,0]
	v_and_b32_e32 v48, 0xffff, v1
	v_and_b32_e32 v54, 0xffff, v7
	v_lshlrev_b32_e32 v45, 16, v45
	v_and_b32_e32 v50, 0xffff, v8
	v_lshlrev_b32_e32 v46, 16, v44
	v_and_b32_e32 v49, 0xffff, v49
	v_or_b32_e32 v1, v47, v48
	v_or_b32_e32 v7, v53, v54
	;; [unrolled: 1-line block ×4, first 2 shown]
	s_and_saveexec_b64 s[0:1], vcc
	s_cbranch_execz .LBB256_278
; %bb.530:                              ;   in Loop: Header=BB256_280 Depth=1
	v_cmp_gt_i32_e32 vcc, s33, v26
	v_cndmask_b32_e32 v1, 0, v54, vcc
	v_cmp_gt_i32_e32 vcc, s33, v33
	v_cndmask_b32_e32 v7, 0, v53, vcc
	v_cmp_gt_i32_e32 vcc, s33, v32
	v_or_b32_e32 v7, v7, v1
	v_cndmask_b32_e32 v1, 0, v48, vcc
	v_cmp_gt_i32_e32 vcc, s33, v31
	v_cndmask_b32_e32 v8, 0, v47, vcc
	v_cmp_gt_i32_e32 vcc, s33, v30
	v_or_b32_e32 v1, v8, v1
	;; [unrolled: 5-line block ×3, first 2 shown]
	v_cndmask_b32_e32 v26, 0, v49, vcc
	v_cmp_gt_i32_e32 vcc, s33, v27
	v_cndmask_b32_e32 v27, 0, v46, vcc
	v_or_b32_e32 v44, v27, v26
	s_branch .LBB256_278
.LBB256_531:
	s_or_b64 exec, exec, s[6:7]
.LBB256_532:
	s_or_b64 exec, exec, s[2:3]
	ds_bpermute_b32 v2, v15, v23
	ds_bpermute_b32 v1, v15, v22
	;; [unrolled: 1-line block ×5, first 2 shown]
	s_waitcnt lgkmcnt(4)
	v_add_f32_e32 v2, v23, v2
	s_waitcnt lgkmcnt(3)
	v_add_f32_e32 v1, v22, v1
	ds_bpermute_b32 v6, v16, v2
	s_waitcnt lgkmcnt(3)
	v_add_f32_e32 v3, v20, v3
	s_waitcnt lgkmcnt(2)
	v_add_f32_e32 v9, v19, v4
	;; [unrolled: 2-line block ×3, first 2 shown]
	ds_bpermute_b32 v5, v16, v1
	ds_bpermute_b32 v8, v16, v3
	ds_bpermute_b32 v10, v16, v9
	ds_bpermute_b32 v11, v16, v7
	s_waitcnt lgkmcnt(4)
	v_add_f32_e32 v4, v2, v6
	v_and_b32_e32 v6, 0x3c3, v0
	s_waitcnt lgkmcnt(3)
	v_add_f32_e32 v5, v1, v5
	s_waitcnt lgkmcnt(2)
	v_add_f32_e32 v3, v3, v8
	;; [unrolled: 2-line block ×4, first 2 shown]
	v_cmp_eq_u32_e32 vcc, 64, v6
	s_barrier
	s_and_saveexec_b64 s[0:1], vcc
	s_cbranch_execz .LBB256_534
; %bb.533:
	v_add_u32_e32 v7, 0xb0, v14
	ds_write2_b32 v7, v5, v4 offset1:16
	ds_write2_b32 v7, v3, v2 offset0:32 offset1:48
	ds_write_b32 v7, v1 offset:256
.LBB256_534:
	s_or_b64 exec, exec, s[0:1]
	v_cmp_gt_u32_e32 vcc, 64, v0
	v_lshrrev_b32_e32 v0, 2, v0
	s_waitcnt lgkmcnt(0)
	s_barrier
	s_and_saveexec_b64 s[0:1], vcc
	s_cbranch_execz .LBB256_542
; %bb.535:
	v_mov_b32_e32 v7, 0xb0
	v_cmp_eq_u32_e32 vcc, 0, v17
	v_lshl_add_u32 v7, v0, 2, v7
	s_and_saveexec_b64 s[2:3], vcc
	s_cbranch_execnz .LBB256_545
; %bb.536:
	s_or_b64 exec, exec, s[2:3]
	s_and_saveexec_b64 s[2:3], vcc
	s_cbranch_execnz .LBB256_546
.LBB256_537:
	s_or_b64 exec, exec, s[2:3]
	s_and_saveexec_b64 s[2:3], vcc
	s_cbranch_execnz .LBB256_547
.LBB256_538:
	s_or_b64 exec, exec, s[2:3]
	s_and_saveexec_b64 s[2:3], vcc
	s_cbranch_execnz .LBB256_548
.LBB256_539:
	s_or_b64 exec, exec, s[2:3]
	s_and_saveexec_b64 s[2:3], vcc
	s_cbranch_execz .LBB256_541
.LBB256_540:
	ds_read_b32 v7, v7 offset:256
	s_waitcnt lgkmcnt(0)
	v_add_f32_e32 v1, v1, v7
.LBB256_541:
	s_or_b64 exec, exec, s[2:3]
.LBB256_542:
	s_or_b64 exec, exec, s[0:1]
	v_cmp_eq_u32_e32 vcc, 0, v6
	s_barrier
	s_and_saveexec_b64 s[0:1], vcc
	s_cbranch_execz .LBB256_544
; %bb.543:
	s_mul_i32 s0, s10, s11
	s_mul_i32 s0, s0, s9
	s_mulk_i32 s0, 0x50
	s_ashr_i32 s1, s0, 31
	s_lshl_b64 s[0:1], s[0:1], 1
	s_add_u32 s2, s26, s0
	s_mul_i32 s0, s11, s24
	s_addc_u32 s3, s27, s1
	s_ashr_i32 s1, s0, 31
	s_lshl_b64 s[0:1], s[0:1], 1
	s_add_u32 s2, s2, s0
	s_mul_i32 s0, s8, 0x50
	s_addc_u32 s3, s3, s1
	s_ashr_i32 s1, s0, 31
	s_lshl_b64 s[0:1], s[0:1], 1
	s_add_u32 s0, s2, s0
	s_addc_u32 s1, s3, s1
	v_lshlrev_b32_e32 v0, 1, v0
	;;#ASMSTART
	v_cvt_f16_f32 v5, v5;

	;;#ASMEND
	global_store_short v0, v5, s[0:1]
	;;#ASMSTART
	v_cvt_f16_f32 v4, v4;

	;;#ASMEND
	global_store_short v0, v4, s[0:1] offset:32
	;;#ASMSTART
	v_cvt_f16_f32 v3, v3;

	;;#ASMEND
	global_store_short v0, v3, s[0:1] offset:64
	;; [unrolled: 5-line block ×4, first 2 shown]
.LBB256_544:
	s_endpgm
.LBB256_545:
	ds_read_b32 v8, v7
	s_waitcnt lgkmcnt(0)
	v_add_f32_e32 v5, v5, v8
	s_or_b64 exec, exec, s[2:3]
	s_and_saveexec_b64 s[2:3], vcc
	s_cbranch_execz .LBB256_537
.LBB256_546:
	ds_read_b32 v8, v7 offset:64
	s_waitcnt lgkmcnt(0)
	v_add_f32_e32 v4, v4, v8
	s_or_b64 exec, exec, s[2:3]
	s_and_saveexec_b64 s[2:3], vcc
	s_cbranch_execz .LBB256_538
.LBB256_547:
	ds_read_b32 v8, v7 offset:128
	s_waitcnt lgkmcnt(0)
	v_add_f32_e32 v3, v3, v8
	s_or_b64 exec, exec, s[2:3]
	s_and_saveexec_b64 s[2:3], vcc
	s_cbranch_execz .LBB256_539
.LBB256_548:
	ds_read_b32 v8, v7 offset:192
	s_waitcnt lgkmcnt(0)
	v_add_f32_e32 v2, v2, v8
	s_or_b64 exec, exec, s[2:3]
	s_and_saveexec_b64 s[2:3], vcc
	s_cbranch_execnz .LBB256_540
	s_branch .LBB256_541
	.section	.rodata,"a",@progbits
	.p2align	6, 0x0
	.amdhsa_kernel _ZN4vllm25paged_attention_v1_kernelIthLi80ELi32ELi128ELNS_18Fp8KVCacheDataTypeE1ELb1EEEvPT_PKS2_PKT0_S8_ifPKiSA_iPKfiiiSC_SC_iiiii
		.amdhsa_group_segment_fixed_size 176
		.amdhsa_private_segment_fixed_size 16
		.amdhsa_kernarg_size 384
		.amdhsa_user_sgpr_count 6
		.amdhsa_user_sgpr_private_segment_buffer 1
		.amdhsa_user_sgpr_dispatch_ptr 0
		.amdhsa_user_sgpr_queue_ptr 0
		.amdhsa_user_sgpr_kernarg_segment_ptr 1
		.amdhsa_user_sgpr_dispatch_id 0
		.amdhsa_user_sgpr_flat_scratch_init 0
		.amdhsa_user_sgpr_private_segment_size 0
		.amdhsa_uses_dynamic_stack 0
		.amdhsa_system_sgpr_private_segment_wavefront_offset 1
		.amdhsa_system_sgpr_workgroup_id_x 1
		.amdhsa_system_sgpr_workgroup_id_y 1
		.amdhsa_system_sgpr_workgroup_id_z 1
		.amdhsa_system_sgpr_workgroup_info 0
		.amdhsa_system_vgpr_workitem_id 0
		.amdhsa_next_free_vgpr 64
		.amdhsa_next_free_sgpr 60
		.amdhsa_reserve_vcc 1
		.amdhsa_reserve_flat_scratch 0
		.amdhsa_float_round_mode_32 0
		.amdhsa_float_round_mode_16_64 0
		.amdhsa_float_denorm_mode_32 3
		.amdhsa_float_denorm_mode_16_64 3
		.amdhsa_dx10_clamp 1
		.amdhsa_ieee_mode 1
		.amdhsa_fp16_overflow 0
		.amdhsa_exception_fp_ieee_invalid_op 0
		.amdhsa_exception_fp_denorm_src 0
		.amdhsa_exception_fp_ieee_div_zero 0
		.amdhsa_exception_fp_ieee_overflow 0
		.amdhsa_exception_fp_ieee_underflow 0
		.amdhsa_exception_fp_ieee_inexact 0
		.amdhsa_exception_int_div_zero 0
	.end_amdhsa_kernel
	.section	.text._ZN4vllm25paged_attention_v1_kernelIthLi80ELi32ELi128ELNS_18Fp8KVCacheDataTypeE1ELb1EEEvPT_PKS2_PKT0_S8_ifPKiSA_iPKfiiiSC_SC_iiiii,"axG",@progbits,_ZN4vllm25paged_attention_v1_kernelIthLi80ELi32ELi128ELNS_18Fp8KVCacheDataTypeE1ELb1EEEvPT_PKS2_PKT0_S8_ifPKiSA_iPKfiiiSC_SC_iiiii,comdat
.Lfunc_end256:
	.size	_ZN4vllm25paged_attention_v1_kernelIthLi80ELi32ELi128ELNS_18Fp8KVCacheDataTypeE1ELb1EEEvPT_PKS2_PKT0_S8_ifPKiSA_iPKfiiiSC_SC_iiiii, .Lfunc_end256-_ZN4vllm25paged_attention_v1_kernelIthLi80ELi32ELi128ELNS_18Fp8KVCacheDataTypeE1ELb1EEEvPT_PKS2_PKT0_S8_ifPKiSA_iPKfiiiSC_SC_iiiii
                                        ; -- End function
	.set _ZN4vllm25paged_attention_v1_kernelIthLi80ELi32ELi128ELNS_18Fp8KVCacheDataTypeE1ELb1EEEvPT_PKS2_PKT0_S8_ifPKiSA_iPKfiiiSC_SC_iiiii.num_vgpr, 64
	.set _ZN4vllm25paged_attention_v1_kernelIthLi80ELi32ELi128ELNS_18Fp8KVCacheDataTypeE1ELb1EEEvPT_PKS2_PKT0_S8_ifPKiSA_iPKfiiiSC_SC_iiiii.num_agpr, 0
	.set _ZN4vllm25paged_attention_v1_kernelIthLi80ELi32ELi128ELNS_18Fp8KVCacheDataTypeE1ELb1EEEvPT_PKS2_PKT0_S8_ifPKiSA_iPKfiiiSC_SC_iiiii.numbered_sgpr, 60
	.set _ZN4vllm25paged_attention_v1_kernelIthLi80ELi32ELi128ELNS_18Fp8KVCacheDataTypeE1ELb1EEEvPT_PKS2_PKT0_S8_ifPKiSA_iPKfiiiSC_SC_iiiii.num_named_barrier, 0
	.set _ZN4vllm25paged_attention_v1_kernelIthLi80ELi32ELi128ELNS_18Fp8KVCacheDataTypeE1ELb1EEEvPT_PKS2_PKT0_S8_ifPKiSA_iPKfiiiSC_SC_iiiii.private_seg_size, 16
	.set _ZN4vllm25paged_attention_v1_kernelIthLi80ELi32ELi128ELNS_18Fp8KVCacheDataTypeE1ELb1EEEvPT_PKS2_PKT0_S8_ifPKiSA_iPKfiiiSC_SC_iiiii.uses_vcc, 1
	.set _ZN4vllm25paged_attention_v1_kernelIthLi80ELi32ELi128ELNS_18Fp8KVCacheDataTypeE1ELb1EEEvPT_PKS2_PKT0_S8_ifPKiSA_iPKfiiiSC_SC_iiiii.uses_flat_scratch, 0
	.set _ZN4vllm25paged_attention_v1_kernelIthLi80ELi32ELi128ELNS_18Fp8KVCacheDataTypeE1ELb1EEEvPT_PKS2_PKT0_S8_ifPKiSA_iPKfiiiSC_SC_iiiii.has_dyn_sized_stack, 0
	.set _ZN4vllm25paged_attention_v1_kernelIthLi80ELi32ELi128ELNS_18Fp8KVCacheDataTypeE1ELb1EEEvPT_PKS2_PKT0_S8_ifPKiSA_iPKfiiiSC_SC_iiiii.has_recursion, 0
	.set _ZN4vllm25paged_attention_v1_kernelIthLi80ELi32ELi128ELNS_18Fp8KVCacheDataTypeE1ELb1EEEvPT_PKS2_PKT0_S8_ifPKiSA_iPKfiiiSC_SC_iiiii.has_indirect_call, 0
	.section	.AMDGPU.csdata,"",@progbits
; Kernel info:
; codeLenInByte = 22292
; TotalNumSgprs: 64
; NumVgprs: 64
; ScratchSize: 16
; MemoryBound: 0
; FloatMode: 240
; IeeeMode: 1
; LDSByteSize: 176 bytes/workgroup (compile time only)
; SGPRBlocks: 7
; VGPRBlocks: 15
; NumSGPRsForWavesPerEU: 64
; NumVGPRsForWavesPerEU: 64
; Occupancy: 4
; WaveLimiterHint : 1
; COMPUTE_PGM_RSRC2:SCRATCH_EN: 1
; COMPUTE_PGM_RSRC2:USER_SGPR: 6
; COMPUTE_PGM_RSRC2:TRAP_HANDLER: 0
; COMPUTE_PGM_RSRC2:TGID_X_EN: 1
; COMPUTE_PGM_RSRC2:TGID_Y_EN: 1
; COMPUTE_PGM_RSRC2:TGID_Z_EN: 1
; COMPUTE_PGM_RSRC2:TIDIG_COMP_CNT: 0
	.section	.text._ZN4vllm25paged_attention_v1_kernelIthLi96ELi32ELi128ELNS_18Fp8KVCacheDataTypeE1ELb1EEEvPT_PKS2_PKT0_S8_ifPKiSA_iPKfiiiSC_SC_iiiii,"axG",@progbits,_ZN4vllm25paged_attention_v1_kernelIthLi96ELi32ELi128ELNS_18Fp8KVCacheDataTypeE1ELb1EEEvPT_PKS2_PKT0_S8_ifPKiSA_iPKfiiiSC_SC_iiiii,comdat
	.protected	_ZN4vllm25paged_attention_v1_kernelIthLi96ELi32ELi128ELNS_18Fp8KVCacheDataTypeE1ELb1EEEvPT_PKS2_PKT0_S8_ifPKiSA_iPKfiiiSC_SC_iiiii ; -- Begin function _ZN4vllm25paged_attention_v1_kernelIthLi96ELi32ELi128ELNS_18Fp8KVCacheDataTypeE1ELb1EEEvPT_PKS2_PKT0_S8_ifPKiSA_iPKfiiiSC_SC_iiiii
	.globl	_ZN4vllm25paged_attention_v1_kernelIthLi96ELi32ELi128ELNS_18Fp8KVCacheDataTypeE1ELb1EEEvPT_PKS2_PKT0_S8_ifPKiSA_iPKfiiiSC_SC_iiiii
	.p2align	8
	.type	_ZN4vllm25paged_attention_v1_kernelIthLi96ELi32ELi128ELNS_18Fp8KVCacheDataTypeE1ELb1EEEvPT_PKS2_PKT0_S8_ifPKiSA_iPKfiiiSC_SC_iiiii,@function
_ZN4vllm25paged_attention_v1_kernelIthLi96ELi32ELi128ELNS_18Fp8KVCacheDataTypeE1ELb1EEEvPT_PKS2_PKT0_S8_ifPKiSA_iPKfiiiSC_SC_iiiii: ; @_ZN4vllm25paged_attention_v1_kernelIthLi96ELi32ELi128ELNS_18Fp8KVCacheDataTypeE1ELb1EEEvPT_PKS2_PKT0_S8_ifPKiSA_iPKfiiiSC_SC_iiiii
; %bb.0:
	s_mov_b64 s[58:59], s[2:3]
	s_mov_b64 s[56:57], s[0:1]
	s_add_u32 s56, s56, s9
	s_load_dword s9, s[4:5], 0x80
	s_load_dwordx2 s[0:1], s[4:5], 0x30
	s_load_dwordx2 s[36:37], s[4:5], 0x20
	s_addc_u32 s57, s57, 0
	s_mov_b32 s10, s7
	s_ashr_i32 s11, s7, 31
	s_lshl_b64 s[2:3], s[10:11], 2
	s_waitcnt lgkmcnt(0)
	s_add_u32 s0, s0, s2
	s_addc_u32 s1, s1, s3
	s_abs_i32 s2, s36
	v_mov_b32_e32 v13, v0
	v_cvt_f32_u32_e32 v0, s2
	s_sub_i32 s11, 0, s2
	s_abs_i32 s7, s9
	s_xor_b32 s3, s9, s36
	v_rcp_iflag_f32_e32 v0, v0
	s_ashr_i32 s3, s3, 31
	s_mov_b32 s48, 0
	v_mul_f32_e32 v0, 0x4f7ffffe, v0
	v_cvt_u32_f32_e32 v0, v0
	v_readfirstlane_b32 s12, v0
	s_mul_i32 s11, s11, s12
	s_mul_hi_u32 s11, s12, s11
	s_add_i32 s12, s12, s11
	s_mul_hi_u32 s11, s7, s12
	s_mul_i32 s12, s11, s2
	s_sub_i32 s7, s7, s12
	s_add_i32 s12, s11, 1
	s_sub_i32 s13, s7, s2
	s_cmp_ge_u32 s7, s2
	s_cselect_b32 s11, s12, s11
	s_cselect_b32 s7, s13, s7
	s_add_i32 s12, s11, 1
	s_cmp_ge_u32 s7, s2
	s_cselect_b32 s2, s12, s11
	s_xor_b32 s2, s2, s3
	s_sub_i32 s14, s2, s3
	s_abs_i32 s11, s14
	v_cvt_f32_u32_e32 v0, s11
	s_load_dwordx2 s[2:3], s[4:5], 0x40
	s_sub_i32 s7, 0, s11
	s_abs_i32 s12, s6
	v_rcp_iflag_f32_e32 v0, v0
	v_mul_f32_e32 v0, 0x4f7ffffe, v0
	v_cvt_u32_f32_e32 v0, v0
	v_readfirstlane_b32 s13, v0
	s_mul_i32 s7, s7, s13
	s_mul_hi_u32 s7, s13, s7
	s_add_i32 s13, s13, s7
	s_waitcnt lgkmcnt(0)
	s_cmp_eq_u64 s[2:3], 0
	s_mul_hi_u32 s13, s12, s13
	s_cbranch_scc1 .LBB257_2
; %bb.1:
	s_ashr_i32 s7, s6, 31
	s_lshl_b64 s[16:17], s[6:7], 2
	s_add_u32 s2, s2, s16
	s_addc_u32 s3, s3, s17
	s_load_dword s48, s[2:3], 0x0
.LBB257_2:
	s_load_dword s33, s[0:1], 0x0
	s_load_dwordx4 s[16:19], s[4:5], 0x48
	s_ashr_i32 s2, s6, 31
	s_ashr_i32 s7, s14, 31
	v_and_b32_e32 v0, 1, v13
	s_movk_i32 s3, 0x60
	s_mul_i32 s24, s6, 0x60
	v_cmp_gt_u32_e32 vcc, 24, v13
	v_lshlrev_b32_e32 v4, 3, v13
	s_and_saveexec_b64 s[0:1], vcc
	s_cbranch_execz .LBB257_4
; %bb.3:
	s_load_dwordx2 s[14:15], s[4:5], 0x8
	s_waitcnt lgkmcnt(0)
	s_mul_i32 s20, s16, s10
	s_ashr_i32 s21, s20, 31
	s_lshl_b64 s[20:21], s[20:21], 1
	v_lshlrev_b32_e32 v3, 2, v13
	s_add_u32 s16, s14, s20
	s_addc_u32 s19, s15, s21
	s_ashr_i32 s25, s24, 31
	s_lshl_b64 s[14:15], s[24:25], 1
	s_add_u32 s14, s16, s14
	s_addc_u32 s15, s19, s15
	global_load_dwordx2 v[1:2], v4, s[14:15]
	v_and_b32_e32 v3, 0xff8, v3
	v_mad_u32_u24 v3, v0, s3, v3
	s_waitcnt vmcnt(0)
	ds_write_b64 v3, v[1:2]
.LBB257_4:
	s_or_b64 exec, exec, s[0:1]
	s_mul_i32 s1, s13, s11
	s_sub_i32 s1, s12, s1
	s_xor_b32 s0, s2, s7
	s_add_i32 s2, s13, 1
	s_sub_i32 s7, s1, s11
	s_load_dwordx4 s[20:23], s[4:5], 0x68
	s_load_dword s3, s[4:5], 0x78
	s_cmp_ge_u32 s1, s11
	s_cselect_b32 s2, s2, s13
	s_cselect_b32 s1, s7, s1
	s_add_i32 s7, s2, 1
	s_cmp_ge_u32 s1, s11
	s_cselect_b32 s1, s7, s2
	s_waitcnt lgkmcnt(0)
	s_abs_i32 s25, s23
	v_cvt_f32_u32_e32 v1, s25
	s_xor_b32 s1, s1, s0
	s_sub_i32 s2, s1, s0
	s_sub_i32 s0, 0, s25
	v_rcp_iflag_f32_e32 v1, v1
	s_add_i32 s11, s33, -1
	s_abs_i32 s7, s11
	v_mul_f32_e32 v1, 0x4f7ffffe, v1
	v_cvt_u32_f32_e32 v1, v1
	s_barrier
	v_readfirstlane_b32 s46, v1
	s_mul_i32 s0, s0, s46
	s_mul_hi_u32 s0, s46, s0
	s_add_i32 s46, s46, s0
	s_cmp_lt_i32 s3, 0
	s_mul_hi_u32 s16, s7, s46
	s_cbranch_scc0 .LBB257_6
; %bb.5:
	s_mul_i32 s0, s20, s36
	s_add_i32 s0, s2, s0
	s_mul_i32 s0, s0, s3
	s_sub_i32 s36, 1, s0
	s_mov_b64 s[0:1], 0
	s_branch .LBB257_7
.LBB257_6:
	s_mov_b64 s[0:1], -1
                                        ; implicit-def: $sgpr36
.LBB257_7:
	s_load_dwordx2 s[28:29], s[4:5], 0x28
	s_ashr_i32 s19, s11, 31
	s_andn2_b64 vcc, exec, s[0:1]
	s_ashr_i32 s23, s23, 31
	buffer_store_dword v4, off, s[56:59], 0 offset:44 ; 4-byte Folded Spill
	s_cbranch_vccnz .LBB257_9
; %bb.8:
	s_mul_i32 s0, s9, s20
	s_add_i32 s0, s0, s6
	s_mul_i32 s0, s0, s3
	s_add_i32 s36, s0, 1
.LBB257_9:
	s_load_dword s0, s[4:5], 0x38
	s_load_dwordx2 s[26:27], s[4:5], 0x0
	s_load_dwordx2 s[34:35], s[4:5], 0x18
	s_load_dword s11, s[4:5], 0x88
	s_load_dwordx4 s[12:15], s[4:5], 0x58
	s_mul_i32 s1, s16, s25
	s_waitcnt lgkmcnt(0)
	s_mul_i32 s30, s0, s10
	s_sub_i32 s1, s7, s1
	s_ashr_i32 s31, s30, 31
	s_xor_b32 s0, s19, s23
	s_add_i32 s3, s16, 1
	s_sub_i32 s6, s1, s25
	s_cmp_ge_u32 s1, s25
	s_cselect_b32 s3, s3, s16
	s_cselect_b32 s1, s6, s1
	s_add_i32 s6, s3, 1
	s_cmp_ge_u32 s1, s25
	s_cselect_b32 s1, s6, s3
	s_xor_b32 s1, s1, s0
	s_sub_i32 s16, s1, s0
	s_add_i32 s0, s33, 31
	s_ashr_i32 s1, s0, 31
	s_lshr_b32 s1, s1, 27
	s_add_i32 s0, s0, s1
	s_ashr_i32 s47, s0, 5
	v_lshrrev_b32_e32 v1, 6, v13
	v_lshrrev_b32_e32 v2, 4, v13
	v_cmp_gt_i32_e64 s[0:1], s47, v1
	v_mov_b32_e32 v3, 0xff7fffff
	s_mul_i32 s20, s2, s18
	buffer_store_dword v2, off, s[56:59], 0 offset:40 ; 4-byte Folded Spill
	buffer_store_dword v1, off, s[56:59], 0 ; 4-byte Folded Spill
	v_lshlrev_b32_e32 v12, 5, v1
	v_mbcnt_lo_u32_b32 v2, -1, 0
	s_and_saveexec_b64 s[18:19], s[0:1]
	s_cbranch_execz .LBB257_309
; %bb.10:
	s_load_dwordx2 s[2:3], s[4:5], 0x10
	s_sub_i32 s49, s16, s21
	s_ashr_i32 s4, s20, 31
	v_cmp_eq_u32_e32 vcc, 0, v0
	v_lshlrev_b32_e32 v3, 2, v0
	s_waitcnt lgkmcnt(0)
	s_add_u32 s5, s2, s20
	s_addc_u32 s4, s3, s4
	s_abs_i32 s50, s22
	v_cvt_f32_u32_e32 v1, s50
	v_mul_u32_u24_e32 v0, 0x60, v0
	s_sub_i32 s2, 0, s50
	buffer_store_dword v0, off, s[56:59], 0 offset:16 ; 4-byte Folded Spill
	v_rcp_iflag_f32_e32 v1, v1
	v_bfe_u32 v8, v13, 1, 5
	v_lshlrev_b32_e32 v4, 4, v8
	v_mov_b32_e32 v5, s4
	v_mul_f32_e32 v1, 0x4f7ffffe, v1
	v_cvt_u32_f32_e32 v1, v1
	v_add_co_u32_e64 v4, s[4:5], s5, v4
	v_addc_co_u32_e64 v5, s[4:5], 0, v5, s[4:5]
	v_mul_lo_u32 v0, s2, v1
	buffer_store_dword v12, off, s[56:59], 0 offset:52 ; 4-byte Folded Spill
	buffer_store_dword v13, off, s[56:59], 0 offset:48 ; 4-byte Folded Spill
	v_mov_b32_e32 v7, v2
	v_mul_hi_u32 v0, v1, v0
	s_mov_b32 s51, s17
	v_mov_b32_e32 v2, 0
	v_cmp_neq_f32_e64 s[2:3], s48, 0
	v_add_u32_e32 v0, v1, v0
	buffer_store_dword v0, off, s[56:59], 0 offset:4 ; 4-byte Folded Spill
	v_add_co_u32_e64 v0, s[4:5], v4, v3
	v_addc_co_u32_e64 v1, s[4:5], 0, v5, s[4:5]
	buffer_store_dword v0, off, s[56:59], 0 offset:20 ; 4-byte Folded Spill
	s_nop 0
	buffer_store_dword v1, off, s[56:59], 0 offset:24 ; 4-byte Folded Spill
	buffer_load_dword v0, off, s[56:59], 0 offset:40 ; 4-byte Folded Reload
	s_lshl_b64 s[4:5], s[30:31], 2
	buffer_load_dword v24, off, s[56:59], 0 ; 4-byte Folded Reload
	s_add_u32 s4, s28, s4
	s_addc_u32 s5, s29, s5
	v_mov_b32_e32 v1, s5
	s_mov_b64 s[38:39], 0
	s_movk_i32 s52, 0x80
	s_movk_i32 s53, 0x7f
	s_mov_b32 s54, 0x8000
	s_mov_b32 s55, 0xffffff
	s_waitcnt vmcnt(1)
	v_and_b32_e32 v0, 60, v0
	v_add_co_u32_e64 v5, s[4:5], s4, v0
	v_subrev_u32_e32 v0, s33, v8
	v_add_u32_e32 v0, 1, v0
	buffer_store_dword v0, off, s[56:59], 0 offset:36 ; 4-byte Folded Spill
	buffer_store_dword v8, off, s[56:59], 0 offset:32 ; 4-byte Folded Spill
	v_lshlrev_b32_e32 v0, 2, v8
	s_waitcnt vmcnt(2)
	v_lshl_or_b32 v0, v24, 7, v0
	v_add_u32_e32 v21, 0xd0, v0
	v_mbcnt_hi_u32_b32 v0, -1, v7
	v_addc_co_u32_e64 v6, s[4:5], 0, v1, s[4:5]
	v_lshlrev_b32_e32 v19, 5, v24
	buffer_store_dword v0, off, s[56:59], 0 offset:28 ; 4-byte Folded Spill
	v_mov_b32_e32 v0, 0xff7fffff
	buffer_store_dword v0, off, s[56:59], 0 offset:12 ; 4-byte Folded Spill
	s_branch .LBB257_13
.LBB257_11:                             ;   in Loop: Header=BB257_13 Depth=1
	s_or_b64 exec, exec, s[40:41]
.LBB257_12:                             ;   in Loop: Header=BB257_13 Depth=1
	s_or_b64 exec, exec, s[6:7]
	v_add_co_u32_e64 v5, s[4:5], 8, v5
	v_add_u32_e32 v24, 2, v24
	v_addc_co_u32_e64 v6, s[4:5], 0, v6, s[4:5]
	v_cmp_le_i32_e64 s[4:5], s47, v24
	v_add_u32_e32 v19, 64, v19
	s_or_b64 s[38:39], s[4:5], s[38:39]
	v_add_u32_e32 v21, 0x100, v21
	s_andn2_b64 exec, exec, s[38:39]
	s_cbranch_execz .LBB257_308
.LBB257_13:                             ; =>This Inner Loop Header: Depth=1
	buffer_load_dword v4, off, s[56:59], 0 offset:4 ; 4-byte Folded Reload
	v_mul_hi_u32 v0, v19, s46
	s_waitcnt lgkmcnt(0)
	v_mul_lo_u32 v1, v0, s25
	v_add_u32_e32 v3, 1, v0
	v_sub_u32_e32 v1, v19, v1
	v_cmp_le_u32_e64 s[4:5], s25, v1
	v_cndmask_b32_e64 v0, v0, v3, s[4:5]
	v_subrev_u32_e32 v3, s25, v1
	v_cndmask_b32_e64 v1, v1, v3, s[4:5]
	v_add_u32_e32 v3, 1, v0
	v_cmp_le_u32_e64 s[4:5], s25, v1
	v_cndmask_b32_e64 v0, v0, v3, s[4:5]
	v_xor_b32_e32 v0, s23, v0
	v_subrev_u32_e32 v0, s23, v0
	v_add_u32_e32 v1, s36, v0
	v_sub_u32_e32 v3, 0, v1
	v_max_i32_e32 v3, v1, v3
	v_ashrrev_i32_e32 v1, 31, v1
	v_cmp_ge_i32_e64 s[6:7], s49, v0
	s_waitcnt vmcnt(0)
	v_mul_hi_u32 v4, v3, v4
	v_mul_lo_u32 v4, v4, s50
	v_sub_u32_e32 v3, v3, v4
	v_subrev_u32_e32 v4, s50, v3
	v_cmp_le_u32_e64 s[4:5], s50, v3
	v_cndmask_b32_e64 v3, v3, v4, s[4:5]
	v_subrev_u32_e32 v4, s50, v3
	v_cmp_le_u32_e64 s[4:5], s50, v3
	v_cndmask_b32_e64 v3, v3, v4, s[4:5]
	v_xor_b32_e32 v3, v3, v1
	v_sub_u32_e32 v1, v3, v1
	v_cmp_ne_u32_e64 s[4:5], 0, v1
	s_and_b64 s[4:5], s[4:5], s[6:7]
	s_and_saveexec_b64 s[6:7], s[4:5]
	s_xor_b64 s[4:5], exec, s[6:7]
	s_cbranch_execz .LBB257_17
; %bb.14:                               ;   in Loop: Header=BB257_13 Depth=1
	s_and_saveexec_b64 s[6:7], vcc
; %bb.15:                               ;   in Loop: Header=BB257_13 Depth=1
	v_mov_b32_e32 v0, 0xff7fffff
	ds_write_b32 v21, v0
; %bb.16:                               ;   in Loop: Header=BB257_13 Depth=1
	s_or_b64 exec, exec, s[6:7]
.LBB257_17:                             ;   in Loop: Header=BB257_13 Depth=1
	s_andn2_saveexec_b64 s[6:7], s[4:5]
	s_cbranch_execz .LBB257_12
; %bb.18:                               ;   in Loop: Header=BB257_13 Depth=1
	global_load_dword v0, v[5:6], off
	buffer_load_dword v3, off, s[56:59], 0 offset:20 ; 4-byte Folded Reload
	buffer_load_dword v4, off, s[56:59], 0 offset:24 ; 4-byte Folded Reload
	v_mov_b32_e32 v26, 0
	global_load_dword v25, v26, s[12:13]
	v_mov_b32_e32 v27, 0
	s_waitcnt vmcnt(1)
	v_mad_i64_i32 v[7:8], s[4:5], v0, s51, v[3:4]
	global_load_dword v9, v[7:8], off
	s_waitcnt vmcnt(0)
	v_cmp_ne_u16_sdwa s[4:5], v9, v2 src0_sel:BYTE_0 src1_sel:DWORD
	s_and_saveexec_b64 s[40:41], s[4:5]
	s_cbranch_execz .LBB257_24
; %bb.19:                               ;   in Loop: Header=BB257_13 Depth=1
	v_cmp_ne_u16_sdwa s[4:5], v9, s52 src0_sel:BYTE_0 src1_sel:DWORD
	v_mov_b32_e32 v27, 0x8000
	s_and_saveexec_b64 s[42:43], s[4:5]
	s_cbranch_execz .LBB257_23
; %bb.20:                               ;   in Loop: Header=BB257_13 Depth=1
	v_and_b32_e32 v0, 0x7f, v9
	v_cmp_ne_u32_e64 s[4:5], s53, v0
	v_mov_b32_e32 v27, 0x7c01
	s_and_saveexec_b64 s[44:45], s[4:5]
	s_cbranch_execz .LBB257_22
; %bb.21:                               ;   in Loop: Header=BB257_13 Depth=1
	v_and_b32_e32 v1, 7, v9
	v_ffbh_u32_e32 v3, v1
	v_min_u32_e32 v11, 32, v3
	v_lshrrev_b32_e32 v10, 3, v0
	v_subrev_u32_e32 v3, 28, v11
	v_lshlrev_b64 v[3:4], v3, v[9:10]
	v_sub_u32_e32 v4, 29, v11
	v_cmp_gt_u32_e64 s[4:5], 8, v0
	v_cndmask_b32_e64 v0, v10, v4, s[4:5]
	v_mov_b32_e32 v10, 0x2000
	v_lshl_add_u32 v0, v0, 10, v10
	v_lshlrev_b32_e32 v4, 8, v9
	v_and_b32_e32 v3, 7, v3
	v_and_b32_e32 v0, 0xfc00, v0
	v_cndmask_b32_e64 v1, v1, v3, s[4:5]
	v_and_or_b32 v0, v4, s54, v0
	v_lshl_or_b32 v27, v1, 7, v0
.LBB257_22:                             ;   in Loop: Header=BB257_13 Depth=1
	s_or_b64 exec, exec, s[44:45]
.LBB257_23:                             ;   in Loop: Header=BB257_13 Depth=1
	s_or_b64 exec, exec, s[42:43]
.LBB257_24:                             ;   in Loop: Header=BB257_13 Depth=1
	s_or_b64 exec, exec, s[40:41]
	v_lshrrev_b16_e32 v1, 8, v9
	v_cmp_ne_u16_e64 s[4:5], 0, v1
	s_and_saveexec_b64 s[40:41], s[4:5]
	s_cbranch_execz .LBB257_30
; %bb.25:                               ;   in Loop: Header=BB257_13 Depth=1
	v_cmp_ne_u16_e64 s[4:5], s52, v1
	v_bfrev_b32_e32 v26, 1
	s_and_saveexec_b64 s[42:43], s[4:5]
	s_cbranch_execz .LBB257_29
; %bb.26:                               ;   in Loop: Header=BB257_13 Depth=1
	v_and_b32_e32 v0, 0x7f, v1
	v_cmp_ne_u32_e64 s[4:5], s53, v0
	v_mov_b32_e32 v26, 0x7c010000
	s_and_saveexec_b64 s[44:45], s[4:5]
	s_cbranch_execz .LBB257_28
; %bb.27:                               ;   in Loop: Header=BB257_13 Depth=1
	v_and_b32_e32 v10, 7, v1
	v_ffbh_u32_e32 v3, v10
	v_min_u32_e32 v12, 32, v3
	v_subrev_u32_e32 v3, 28, v12
	v_lshlrev_b64 v[3:4], v3, v[1:2]
	v_lshrrev_b32_e32 v11, 3, v0
	v_sub_u32_e32 v4, 29, v12
	v_cmp_gt_u32_e64 s[4:5], 8, v0
	v_cndmask_b32_e64 v0, v11, v4, s[4:5]
	v_mov_b32_e32 v4, 0x2000
	v_lshlrev_b32_e32 v1, 8, v1
	v_lshl_add_u32 v0, v0, 10, v4
	v_and_b32_e32 v3, 7, v3
	v_and_or_b32 v0, v1, s54, v0
	v_cndmask_b32_e64 v3, v10, v3, s[4:5]
	v_lshlrev_b32_e32 v0, 16, v0
	v_lshl_or_b32 v26, v3, 23, v0
.LBB257_28:                             ;   in Loop: Header=BB257_13 Depth=1
	s_or_b64 exec, exec, s[44:45]
.LBB257_29:                             ;   in Loop: Header=BB257_13 Depth=1
	s_or_b64 exec, exec, s[42:43]
.LBB257_30:                             ;   in Loop: Header=BB257_13 Depth=1
	s_or_b64 exec, exec, s[40:41]
	v_lshrrev_b32_e32 v1, 16, v9
	v_cmp_ne_u16_sdwa s[4:5], v1, v2 src0_sel:BYTE_0 src1_sel:DWORD
	v_mov_b32_e32 v11, 0
	v_mov_b32_e32 v29, 0
	s_and_saveexec_b64 s[40:41], s[4:5]
	s_cbranch_execz .LBB257_36
; %bb.31:                               ;   in Loop: Header=BB257_13 Depth=1
	v_cmp_ne_u16_sdwa s[4:5], v1, s52 src0_sel:BYTE_0 src1_sel:DWORD
	v_mov_b32_e32 v29, 0x8000
	s_and_saveexec_b64 s[42:43], s[4:5]
	s_cbranch_execz .LBB257_35
; %bb.32:                               ;   in Loop: Header=BB257_13 Depth=1
	v_bfe_u32 v0, v9, 16, 7
	v_cmp_ne_u32_e64 s[4:5], s53, v0
	v_mov_b32_e32 v29, 0x7c01
	s_and_saveexec_b64 s[44:45], s[4:5]
	s_cbranch_execz .LBB257_34
; %bb.33:                               ;   in Loop: Header=BB257_13 Depth=1
	v_and_b32_e32 v10, 7, v1
	v_ffbh_u32_e32 v3, v10
	v_min_u32_e32 v13, 32, v3
	v_subrev_u32_e32 v3, 28, v13
	v_lshlrev_b64 v[3:4], v3, v[1:2]
	v_lshrrev_b32_e32 v12, 3, v0
	v_sub_u32_e32 v4, 29, v13
	v_cmp_gt_u32_e64 s[4:5], 8, v0
	v_cndmask_b32_e64 v0, v12, v4, s[4:5]
	v_mov_b32_e32 v4, 0x2000
	v_lshl_add_u32 v0, v0, 10, v4
	v_lshlrev_b32_e32 v1, 8, v1
	v_and_b32_e32 v3, 7, v3
	v_and_b32_e32 v0, 0xfc00, v0
	v_cndmask_b32_e64 v3, v10, v3, s[4:5]
	v_and_or_b32 v0, v1, s54, v0
	v_lshl_or_b32 v29, v3, 7, v0
.LBB257_34:                             ;   in Loop: Header=BB257_13 Depth=1
	s_or_b64 exec, exec, s[44:45]
.LBB257_35:                             ;   in Loop: Header=BB257_13 Depth=1
	s_or_b64 exec, exec, s[42:43]
.LBB257_36:                             ;   in Loop: Header=BB257_13 Depth=1
	s_or_b64 exec, exec, s[40:41]
	v_cmp_lt_u32_e64 s[4:5], s55, v9
	s_and_saveexec_b64 s[40:41], s[4:5]
	s_cbranch_execz .LBB257_42
; %bb.37:                               ;   in Loop: Header=BB257_13 Depth=1
	v_lshrrev_b32_e32 v1, 24, v9
	v_cmp_ne_u32_e64 s[4:5], s52, v1
	v_bfrev_b32_e32 v11, 1
	s_and_saveexec_b64 s[42:43], s[4:5]
	s_cbranch_execz .LBB257_41
; %bb.38:                               ;   in Loop: Header=BB257_13 Depth=1
	v_and_b32_e32 v0, 0x7f, v1
	v_cmp_ne_u32_e64 s[4:5], s53, v0
	v_mov_b32_e32 v11, 0x7c010000
	s_and_saveexec_b64 s[44:45], s[4:5]
	s_cbranch_execz .LBB257_40
; %bb.39:                               ;   in Loop: Header=BB257_13 Depth=1
	v_and_b32_e32 v9, 7, v1
	v_ffbh_u32_e32 v3, v9
	v_min_u32_e32 v11, 32, v3
	v_subrev_u32_e32 v3, 28, v11
	v_lshlrev_b64 v[3:4], v3, v[1:2]
	v_lshrrev_b32_e32 v10, 3, v0
	v_sub_u32_e32 v4, 29, v11
	v_cmp_gt_u32_e64 s[4:5], 8, v0
	v_cndmask_b32_e64 v0, v10, v4, s[4:5]
	v_mov_b32_e32 v4, 0x2000
	v_lshlrev_b32_e32 v1, 8, v1
	v_lshl_add_u32 v0, v0, 10, v4
	v_and_b32_e32 v3, 7, v3
	v_and_or_b32 v0, v1, s54, v0
	v_cndmask_b32_e64 v3, v9, v3, s[4:5]
	v_lshlrev_b32_e32 v0, 16, v0
	v_lshl_or_b32 v11, v3, 23, v0
.LBB257_40:                             ;   in Loop: Header=BB257_13 Depth=1
	s_or_b64 exec, exec, s[44:45]
.LBB257_41:                             ;   in Loop: Header=BB257_13 Depth=1
	s_or_b64 exec, exec, s[42:43]
.LBB257_42:                             ;   in Loop: Header=BB257_13 Depth=1
	s_or_b64 exec, exec, s[40:41]
	global_load_dword v9, v[7:8], off offset:8
	v_mov_b32_e32 v30, 0
	v_mov_b32_e32 v31, 0
	s_waitcnt vmcnt(0)
	v_cmp_ne_u16_sdwa s[4:5], v9, v2 src0_sel:BYTE_0 src1_sel:DWORD
	s_and_saveexec_b64 s[40:41], s[4:5]
	s_cbranch_execz .LBB257_48
; %bb.43:                               ;   in Loop: Header=BB257_13 Depth=1
	v_cmp_ne_u16_sdwa s[4:5], v9, s52 src0_sel:BYTE_0 src1_sel:DWORD
	v_mov_b32_e32 v31, 0x8000
	s_and_saveexec_b64 s[42:43], s[4:5]
	s_cbranch_execz .LBB257_47
; %bb.44:                               ;   in Loop: Header=BB257_13 Depth=1
	v_and_b32_e32 v0, 0x7f, v9
	v_cmp_ne_u32_e64 s[4:5], s53, v0
	v_mov_b32_e32 v31, 0x7c01
	s_and_saveexec_b64 s[44:45], s[4:5]
	s_cbranch_execz .LBB257_46
; %bb.45:                               ;   in Loop: Header=BB257_13 Depth=1
	v_and_b32_e32 v1, 7, v9
	v_ffbh_u32_e32 v3, v1
	v_min_u32_e32 v12, 32, v3
	v_lshrrev_b32_e32 v10, 3, v0
	v_subrev_u32_e32 v3, 28, v12
	v_lshlrev_b64 v[3:4], v3, v[9:10]
	v_sub_u32_e32 v4, 29, v12
	v_cmp_gt_u32_e64 s[4:5], 8, v0
	v_cndmask_b32_e64 v0, v10, v4, s[4:5]
	v_mov_b32_e32 v10, 0x2000
	v_lshl_add_u32 v0, v0, 10, v10
	v_lshlrev_b32_e32 v4, 8, v9
	v_and_b32_e32 v3, 7, v3
	v_and_b32_e32 v0, 0xfc00, v0
	v_cndmask_b32_e64 v1, v1, v3, s[4:5]
	v_and_or_b32 v0, v4, s54, v0
	v_lshl_or_b32 v31, v1, 7, v0
.LBB257_46:                             ;   in Loop: Header=BB257_13 Depth=1
	s_or_b64 exec, exec, s[44:45]
.LBB257_47:                             ;   in Loop: Header=BB257_13 Depth=1
	s_or_b64 exec, exec, s[42:43]
.LBB257_48:                             ;   in Loop: Header=BB257_13 Depth=1
	s_or_b64 exec, exec, s[40:41]
	v_lshrrev_b16_e32 v1, 8, v9
	v_cmp_ne_u16_e64 s[4:5], 0, v1
	s_and_saveexec_b64 s[40:41], s[4:5]
	s_cbranch_execz .LBB257_54
; %bb.49:                               ;   in Loop: Header=BB257_13 Depth=1
	v_cmp_ne_u16_e64 s[4:5], s52, v1
	v_bfrev_b32_e32 v30, 1
	s_and_saveexec_b64 s[42:43], s[4:5]
	s_cbranch_execz .LBB257_53
; %bb.50:                               ;   in Loop: Header=BB257_13 Depth=1
	v_and_b32_e32 v0, 0x7f, v1
	v_cmp_ne_u32_e64 s[4:5], s53, v0
	v_mov_b32_e32 v30, 0x7c010000
	s_and_saveexec_b64 s[44:45], s[4:5]
	s_cbranch_execz .LBB257_52
; %bb.51:                               ;   in Loop: Header=BB257_13 Depth=1
	v_and_b32_e32 v10, 7, v1
	v_ffbh_u32_e32 v3, v10
	v_min_u32_e32 v13, 32, v3
	v_subrev_u32_e32 v3, 28, v13
	v_lshlrev_b64 v[3:4], v3, v[1:2]
	v_lshrrev_b32_e32 v12, 3, v0
	v_sub_u32_e32 v4, 29, v13
	v_cmp_gt_u32_e64 s[4:5], 8, v0
	v_cndmask_b32_e64 v0, v12, v4, s[4:5]
	v_mov_b32_e32 v4, 0x2000
	v_lshlrev_b32_e32 v1, 8, v1
	v_lshl_add_u32 v0, v0, 10, v4
	v_and_b32_e32 v3, 7, v3
	v_and_or_b32 v0, v1, s54, v0
	v_cndmask_b32_e64 v3, v10, v3, s[4:5]
	v_lshlrev_b32_e32 v0, 16, v0
	v_lshl_or_b32 v30, v3, 23, v0
.LBB257_52:                             ;   in Loop: Header=BB257_13 Depth=1
	s_or_b64 exec, exec, s[44:45]
.LBB257_53:                             ;   in Loop: Header=BB257_13 Depth=1
	s_or_b64 exec, exec, s[42:43]
.LBB257_54:                             ;   in Loop: Header=BB257_13 Depth=1
	s_or_b64 exec, exec, s[40:41]
	v_lshrrev_b32_e32 v1, 16, v9
	v_cmp_ne_u16_sdwa s[4:5], v1, v2 src0_sel:BYTE_0 src1_sel:DWORD
	v_mov_b32_e32 v32, 0
	v_mov_b32_e32 v33, 0
	s_and_saveexec_b64 s[40:41], s[4:5]
	s_cbranch_execz .LBB257_60
; %bb.55:                               ;   in Loop: Header=BB257_13 Depth=1
	v_cmp_ne_u16_sdwa s[4:5], v1, s52 src0_sel:BYTE_0 src1_sel:DWORD
	v_mov_b32_e32 v33, 0x8000
	s_and_saveexec_b64 s[42:43], s[4:5]
	s_cbranch_execz .LBB257_59
; %bb.56:                               ;   in Loop: Header=BB257_13 Depth=1
	v_bfe_u32 v0, v9, 16, 7
	v_cmp_ne_u32_e64 s[4:5], s53, v0
	v_mov_b32_e32 v33, 0x7c01
	s_and_saveexec_b64 s[44:45], s[4:5]
	s_cbranch_execz .LBB257_58
; %bb.57:                               ;   in Loop: Header=BB257_13 Depth=1
	v_and_b32_e32 v10, 7, v1
	v_ffbh_u32_e32 v3, v10
	v_min_u32_e32 v13, 32, v3
	v_subrev_u32_e32 v3, 28, v13
	v_lshlrev_b64 v[3:4], v3, v[1:2]
	v_lshrrev_b32_e32 v12, 3, v0
	v_sub_u32_e32 v4, 29, v13
	v_cmp_gt_u32_e64 s[4:5], 8, v0
	v_cndmask_b32_e64 v0, v12, v4, s[4:5]
	v_mov_b32_e32 v4, 0x2000
	v_lshl_add_u32 v0, v0, 10, v4
	v_lshlrev_b32_e32 v1, 8, v1
	v_and_b32_e32 v3, 7, v3
	v_and_b32_e32 v0, 0xfc00, v0
	v_cndmask_b32_e64 v3, v10, v3, s[4:5]
	v_and_or_b32 v0, v1, s54, v0
	v_lshl_or_b32 v33, v3, 7, v0
.LBB257_58:                             ;   in Loop: Header=BB257_13 Depth=1
	s_or_b64 exec, exec, s[44:45]
.LBB257_59:                             ;   in Loop: Header=BB257_13 Depth=1
	s_or_b64 exec, exec, s[42:43]
.LBB257_60:                             ;   in Loop: Header=BB257_13 Depth=1
	s_or_b64 exec, exec, s[40:41]
	v_cmp_lt_u32_e64 s[4:5], s55, v9
	s_and_saveexec_b64 s[40:41], s[4:5]
	s_cbranch_execz .LBB257_66
; %bb.61:                               ;   in Loop: Header=BB257_13 Depth=1
	v_lshrrev_b32_e32 v1, 24, v9
	v_cmp_ne_u32_e64 s[4:5], s52, v1
	v_bfrev_b32_e32 v32, 1
	s_and_saveexec_b64 s[42:43], s[4:5]
	s_cbranch_execz .LBB257_65
; %bb.62:                               ;   in Loop: Header=BB257_13 Depth=1
	v_and_b32_e32 v0, 0x7f, v1
	v_cmp_ne_u32_e64 s[4:5], s53, v0
	v_mov_b32_e32 v32, 0x7c010000
	s_and_saveexec_b64 s[44:45], s[4:5]
	s_cbranch_execz .LBB257_64
; %bb.63:                               ;   in Loop: Header=BB257_13 Depth=1
	v_and_b32_e32 v9, 7, v1
	v_ffbh_u32_e32 v3, v9
	v_min_u32_e32 v12, 32, v3
	v_subrev_u32_e32 v3, 28, v12
	v_lshlrev_b64 v[3:4], v3, v[1:2]
	v_lshrrev_b32_e32 v10, 3, v0
	v_sub_u32_e32 v4, 29, v12
	v_cmp_gt_u32_e64 s[4:5], 8, v0
	v_cndmask_b32_e64 v0, v10, v4, s[4:5]
	v_mov_b32_e32 v4, 0x2000
	v_lshlrev_b32_e32 v1, 8, v1
	v_lshl_add_u32 v0, v0, 10, v4
	v_and_b32_e32 v3, 7, v3
	v_and_or_b32 v0, v1, s54, v0
	v_cndmask_b32_e64 v3, v9, v3, s[4:5]
	v_lshlrev_b32_e32 v0, 16, v0
	v_lshl_or_b32 v32, v3, 23, v0
.LBB257_64:                             ;   in Loop: Header=BB257_13 Depth=1
	s_or_b64 exec, exec, s[44:45]
.LBB257_65:                             ;   in Loop: Header=BB257_13 Depth=1
	s_or_b64 exec, exec, s[42:43]
.LBB257_66:                             ;   in Loop: Header=BB257_13 Depth=1
	s_or_b64 exec, exec, s[40:41]
	global_load_dword v9, v[7:8], off offset:512
	v_mov_b32_e32 v34, 0
	v_mov_b32_e32 v35, 0
	s_waitcnt vmcnt(0)
	v_cmp_ne_u16_sdwa s[4:5], v9, v2 src0_sel:BYTE_0 src1_sel:DWORD
	s_and_saveexec_b64 s[40:41], s[4:5]
	s_cbranch_execz .LBB257_72
; %bb.67:                               ;   in Loop: Header=BB257_13 Depth=1
	v_cmp_ne_u16_sdwa s[4:5], v9, s52 src0_sel:BYTE_0 src1_sel:DWORD
	v_mov_b32_e32 v35, 0x8000
	s_and_saveexec_b64 s[42:43], s[4:5]
	s_cbranch_execz .LBB257_71
; %bb.68:                               ;   in Loop: Header=BB257_13 Depth=1
	v_and_b32_e32 v0, 0x7f, v9
	v_cmp_ne_u32_e64 s[4:5], s53, v0
	v_mov_b32_e32 v35, 0x7c01
	s_and_saveexec_b64 s[44:45], s[4:5]
	s_cbranch_execz .LBB257_70
; %bb.69:                               ;   in Loop: Header=BB257_13 Depth=1
	v_and_b32_e32 v1, 7, v9
	v_ffbh_u32_e32 v3, v1
	v_min_u32_e32 v12, 32, v3
	v_lshrrev_b32_e32 v10, 3, v0
	v_subrev_u32_e32 v3, 28, v12
	v_lshlrev_b64 v[3:4], v3, v[9:10]
	v_sub_u32_e32 v4, 29, v12
	v_cmp_gt_u32_e64 s[4:5], 8, v0
	v_cndmask_b32_e64 v0, v10, v4, s[4:5]
	v_mov_b32_e32 v10, 0x2000
	v_lshl_add_u32 v0, v0, 10, v10
	v_lshlrev_b32_e32 v4, 8, v9
	v_and_b32_e32 v3, 7, v3
	v_and_b32_e32 v0, 0xfc00, v0
	v_cndmask_b32_e64 v1, v1, v3, s[4:5]
	v_and_or_b32 v0, v4, s54, v0
	v_lshl_or_b32 v35, v1, 7, v0
.LBB257_70:                             ;   in Loop: Header=BB257_13 Depth=1
	s_or_b64 exec, exec, s[44:45]
.LBB257_71:                             ;   in Loop: Header=BB257_13 Depth=1
	s_or_b64 exec, exec, s[42:43]
.LBB257_72:                             ;   in Loop: Header=BB257_13 Depth=1
	s_or_b64 exec, exec, s[40:41]
	v_lshrrev_b16_e32 v1, 8, v9
	v_cmp_ne_u16_e64 s[4:5], 0, v1
	s_and_saveexec_b64 s[40:41], s[4:5]
	s_cbranch_execz .LBB257_78
; %bb.73:                               ;   in Loop: Header=BB257_13 Depth=1
	v_cmp_ne_u16_e64 s[4:5], s52, v1
	v_bfrev_b32_e32 v34, 1
	s_and_saveexec_b64 s[42:43], s[4:5]
	s_cbranch_execz .LBB257_77
; %bb.74:                               ;   in Loop: Header=BB257_13 Depth=1
	v_and_b32_e32 v0, 0x7f, v1
	v_cmp_ne_u32_e64 s[4:5], s53, v0
	v_mov_b32_e32 v34, 0x7c010000
	s_and_saveexec_b64 s[44:45], s[4:5]
	s_cbranch_execz .LBB257_76
; %bb.75:                               ;   in Loop: Header=BB257_13 Depth=1
	v_and_b32_e32 v10, 7, v1
	v_ffbh_u32_e32 v3, v10
	v_min_u32_e32 v13, 32, v3
	v_subrev_u32_e32 v3, 28, v13
	v_lshlrev_b64 v[3:4], v3, v[1:2]
	v_lshrrev_b32_e32 v12, 3, v0
	v_sub_u32_e32 v4, 29, v13
	v_cmp_gt_u32_e64 s[4:5], 8, v0
	v_cndmask_b32_e64 v0, v12, v4, s[4:5]
	v_mov_b32_e32 v4, 0x2000
	v_lshlrev_b32_e32 v1, 8, v1
	v_lshl_add_u32 v0, v0, 10, v4
	v_and_b32_e32 v3, 7, v3
	v_and_or_b32 v0, v1, s54, v0
	v_cndmask_b32_e64 v3, v10, v3, s[4:5]
	v_lshlrev_b32_e32 v0, 16, v0
	v_lshl_or_b32 v34, v3, 23, v0
.LBB257_76:                             ;   in Loop: Header=BB257_13 Depth=1
	s_or_b64 exec, exec, s[44:45]
.LBB257_77:                             ;   in Loop: Header=BB257_13 Depth=1
	s_or_b64 exec, exec, s[42:43]
.LBB257_78:                             ;   in Loop: Header=BB257_13 Depth=1
	s_or_b64 exec, exec, s[40:41]
	v_lshrrev_b32_e32 v1, 16, v9
	v_cmp_ne_u16_sdwa s[4:5], v1, v2 src0_sel:BYTE_0 src1_sel:DWORD
	v_mov_b32_e32 v36, 0
	v_mov_b32_e32 v37, 0
	s_and_saveexec_b64 s[40:41], s[4:5]
	s_cbranch_execz .LBB257_84
; %bb.79:                               ;   in Loop: Header=BB257_13 Depth=1
	v_cmp_ne_u16_sdwa s[4:5], v1, s52 src0_sel:BYTE_0 src1_sel:DWORD
	v_mov_b32_e32 v37, 0x8000
	s_and_saveexec_b64 s[42:43], s[4:5]
	s_cbranch_execz .LBB257_83
; %bb.80:                               ;   in Loop: Header=BB257_13 Depth=1
	v_bfe_u32 v0, v9, 16, 7
	v_cmp_ne_u32_e64 s[4:5], s53, v0
	v_mov_b32_e32 v37, 0x7c01
	s_and_saveexec_b64 s[44:45], s[4:5]
	s_cbranch_execz .LBB257_82
; %bb.81:                               ;   in Loop: Header=BB257_13 Depth=1
	v_and_b32_e32 v10, 7, v1
	v_ffbh_u32_e32 v3, v10
	v_min_u32_e32 v13, 32, v3
	v_subrev_u32_e32 v3, 28, v13
	v_lshlrev_b64 v[3:4], v3, v[1:2]
	v_lshrrev_b32_e32 v12, 3, v0
	v_sub_u32_e32 v4, 29, v13
	v_cmp_gt_u32_e64 s[4:5], 8, v0
	v_cndmask_b32_e64 v0, v12, v4, s[4:5]
	v_mov_b32_e32 v4, 0x2000
	v_lshl_add_u32 v0, v0, 10, v4
	v_lshlrev_b32_e32 v1, 8, v1
	v_and_b32_e32 v3, 7, v3
	v_and_b32_e32 v0, 0xfc00, v0
	v_cndmask_b32_e64 v3, v10, v3, s[4:5]
	v_and_or_b32 v0, v1, s54, v0
	v_lshl_or_b32 v37, v3, 7, v0
.LBB257_82:                             ;   in Loop: Header=BB257_13 Depth=1
	s_or_b64 exec, exec, s[44:45]
.LBB257_83:                             ;   in Loop: Header=BB257_13 Depth=1
	s_or_b64 exec, exec, s[42:43]
.LBB257_84:                             ;   in Loop: Header=BB257_13 Depth=1
	s_or_b64 exec, exec, s[40:41]
	v_cmp_lt_u32_e64 s[4:5], s55, v9
	s_and_saveexec_b64 s[40:41], s[4:5]
	s_cbranch_execz .LBB257_90
; %bb.85:                               ;   in Loop: Header=BB257_13 Depth=1
	v_lshrrev_b32_e32 v1, 24, v9
	v_cmp_ne_u32_e64 s[4:5], s52, v1
	v_bfrev_b32_e32 v36, 1
	s_and_saveexec_b64 s[42:43], s[4:5]
	s_cbranch_execz .LBB257_89
; %bb.86:                               ;   in Loop: Header=BB257_13 Depth=1
	v_and_b32_e32 v0, 0x7f, v1
	v_cmp_ne_u32_e64 s[4:5], s53, v0
	v_mov_b32_e32 v36, 0x7c010000
	s_and_saveexec_b64 s[44:45], s[4:5]
	s_cbranch_execz .LBB257_88
; %bb.87:                               ;   in Loop: Header=BB257_13 Depth=1
	v_and_b32_e32 v9, 7, v1
	v_ffbh_u32_e32 v3, v9
	v_min_u32_e32 v12, 32, v3
	v_subrev_u32_e32 v3, 28, v12
	v_lshlrev_b64 v[3:4], v3, v[1:2]
	v_lshrrev_b32_e32 v10, 3, v0
	v_sub_u32_e32 v4, 29, v12
	v_cmp_gt_u32_e64 s[4:5], 8, v0
	v_cndmask_b32_e64 v0, v10, v4, s[4:5]
	v_mov_b32_e32 v4, 0x2000
	v_lshlrev_b32_e32 v1, 8, v1
	v_lshl_add_u32 v0, v0, 10, v4
	v_and_b32_e32 v3, 7, v3
	v_and_or_b32 v0, v1, s54, v0
	v_cndmask_b32_e64 v3, v9, v3, s[4:5]
	v_lshlrev_b32_e32 v0, 16, v0
	v_lshl_or_b32 v36, v3, 23, v0
.LBB257_88:                             ;   in Loop: Header=BB257_13 Depth=1
	s_or_b64 exec, exec, s[44:45]
.LBB257_89:                             ;   in Loop: Header=BB257_13 Depth=1
	s_or_b64 exec, exec, s[42:43]
.LBB257_90:                             ;   in Loop: Header=BB257_13 Depth=1
	s_or_b64 exec, exec, s[40:41]
	global_load_dword v9, v[7:8], off offset:520
	v_mov_b32_e32 v38, 0
	v_mov_b32_e32 v39, 0
	s_waitcnt vmcnt(0)
	v_cmp_ne_u16_sdwa s[4:5], v9, v2 src0_sel:BYTE_0 src1_sel:DWORD
	s_and_saveexec_b64 s[40:41], s[4:5]
	s_cbranch_execz .LBB257_96
; %bb.91:                               ;   in Loop: Header=BB257_13 Depth=1
	v_cmp_ne_u16_sdwa s[4:5], v9, s52 src0_sel:BYTE_0 src1_sel:DWORD
	v_mov_b32_e32 v39, 0x8000
	s_and_saveexec_b64 s[42:43], s[4:5]
	s_cbranch_execz .LBB257_95
; %bb.92:                               ;   in Loop: Header=BB257_13 Depth=1
	v_and_b32_e32 v0, 0x7f, v9
	v_cmp_ne_u32_e64 s[4:5], s53, v0
	v_mov_b32_e32 v39, 0x7c01
	s_and_saveexec_b64 s[44:45], s[4:5]
	s_cbranch_execz .LBB257_94
; %bb.93:                               ;   in Loop: Header=BB257_13 Depth=1
	v_and_b32_e32 v1, 7, v9
	v_ffbh_u32_e32 v3, v1
	v_min_u32_e32 v12, 32, v3
	v_lshrrev_b32_e32 v10, 3, v0
	v_subrev_u32_e32 v3, 28, v12
	v_lshlrev_b64 v[3:4], v3, v[9:10]
	v_sub_u32_e32 v4, 29, v12
	v_cmp_gt_u32_e64 s[4:5], 8, v0
	v_cndmask_b32_e64 v0, v10, v4, s[4:5]
	v_mov_b32_e32 v10, 0x2000
	v_lshl_add_u32 v0, v0, 10, v10
	v_lshlrev_b32_e32 v4, 8, v9
	v_and_b32_e32 v3, 7, v3
	v_and_b32_e32 v0, 0xfc00, v0
	v_cndmask_b32_e64 v1, v1, v3, s[4:5]
	v_and_or_b32 v0, v4, s54, v0
	v_lshl_or_b32 v39, v1, 7, v0
.LBB257_94:                             ;   in Loop: Header=BB257_13 Depth=1
	s_or_b64 exec, exec, s[44:45]
.LBB257_95:                             ;   in Loop: Header=BB257_13 Depth=1
	s_or_b64 exec, exec, s[42:43]
.LBB257_96:                             ;   in Loop: Header=BB257_13 Depth=1
	s_or_b64 exec, exec, s[40:41]
	v_lshrrev_b16_e32 v1, 8, v9
	v_cmp_ne_u16_e64 s[4:5], 0, v1
	s_and_saveexec_b64 s[40:41], s[4:5]
	s_cbranch_execz .LBB257_102
; %bb.97:                               ;   in Loop: Header=BB257_13 Depth=1
	v_cmp_ne_u16_e64 s[4:5], s52, v1
	v_bfrev_b32_e32 v38, 1
	s_and_saveexec_b64 s[42:43], s[4:5]
	s_cbranch_execz .LBB257_101
; %bb.98:                               ;   in Loop: Header=BB257_13 Depth=1
	v_and_b32_e32 v0, 0x7f, v1
	v_cmp_ne_u32_e64 s[4:5], s53, v0
	v_mov_b32_e32 v38, 0x7c010000
	s_and_saveexec_b64 s[44:45], s[4:5]
	s_cbranch_execz .LBB257_100
; %bb.99:                               ;   in Loop: Header=BB257_13 Depth=1
	v_and_b32_e32 v10, 7, v1
	v_ffbh_u32_e32 v3, v10
	v_min_u32_e32 v13, 32, v3
	v_subrev_u32_e32 v3, 28, v13
	v_lshlrev_b64 v[3:4], v3, v[1:2]
	v_lshrrev_b32_e32 v12, 3, v0
	v_sub_u32_e32 v4, 29, v13
	v_cmp_gt_u32_e64 s[4:5], 8, v0
	v_cndmask_b32_e64 v0, v12, v4, s[4:5]
	v_mov_b32_e32 v4, 0x2000
	v_lshlrev_b32_e32 v1, 8, v1
	v_lshl_add_u32 v0, v0, 10, v4
	v_and_b32_e32 v3, 7, v3
	v_and_or_b32 v0, v1, s54, v0
	v_cndmask_b32_e64 v3, v10, v3, s[4:5]
	v_lshlrev_b32_e32 v0, 16, v0
	v_lshl_or_b32 v38, v3, 23, v0
.LBB257_100:                            ;   in Loop: Header=BB257_13 Depth=1
	s_or_b64 exec, exec, s[44:45]
.LBB257_101:                            ;   in Loop: Header=BB257_13 Depth=1
	s_or_b64 exec, exec, s[42:43]
.LBB257_102:                            ;   in Loop: Header=BB257_13 Depth=1
	s_or_b64 exec, exec, s[40:41]
	v_lshrrev_b32_e32 v1, 16, v9
	v_cmp_ne_u16_sdwa s[4:5], v1, v2 src0_sel:BYTE_0 src1_sel:DWORD
	v_mov_b32_e32 v40, 0
	v_mov_b32_e32 v41, 0
	s_and_saveexec_b64 s[40:41], s[4:5]
	s_cbranch_execz .LBB257_108
; %bb.103:                              ;   in Loop: Header=BB257_13 Depth=1
	v_cmp_ne_u16_sdwa s[4:5], v1, s52 src0_sel:BYTE_0 src1_sel:DWORD
	v_mov_b32_e32 v41, 0x8000
	s_and_saveexec_b64 s[42:43], s[4:5]
	s_cbranch_execz .LBB257_107
; %bb.104:                              ;   in Loop: Header=BB257_13 Depth=1
	v_bfe_u32 v0, v9, 16, 7
	v_cmp_ne_u32_e64 s[4:5], s53, v0
	v_mov_b32_e32 v41, 0x7c01
	s_and_saveexec_b64 s[44:45], s[4:5]
	s_cbranch_execz .LBB257_106
; %bb.105:                              ;   in Loop: Header=BB257_13 Depth=1
	v_and_b32_e32 v10, 7, v1
	v_ffbh_u32_e32 v3, v10
	v_min_u32_e32 v13, 32, v3
	v_subrev_u32_e32 v3, 28, v13
	v_lshlrev_b64 v[3:4], v3, v[1:2]
	v_lshrrev_b32_e32 v12, 3, v0
	v_sub_u32_e32 v4, 29, v13
	v_cmp_gt_u32_e64 s[4:5], 8, v0
	v_cndmask_b32_e64 v0, v12, v4, s[4:5]
	v_mov_b32_e32 v4, 0x2000
	v_lshl_add_u32 v0, v0, 10, v4
	v_lshlrev_b32_e32 v1, 8, v1
	v_and_b32_e32 v3, 7, v3
	v_and_b32_e32 v0, 0xfc00, v0
	v_cndmask_b32_e64 v3, v10, v3, s[4:5]
	v_and_or_b32 v0, v1, s54, v0
	v_lshl_or_b32 v41, v3, 7, v0
.LBB257_106:                            ;   in Loop: Header=BB257_13 Depth=1
	s_or_b64 exec, exec, s[44:45]
.LBB257_107:                            ;   in Loop: Header=BB257_13 Depth=1
	s_or_b64 exec, exec, s[42:43]
.LBB257_108:                            ;   in Loop: Header=BB257_13 Depth=1
	s_or_b64 exec, exec, s[40:41]
	v_cmp_lt_u32_e64 s[4:5], s55, v9
	s_and_saveexec_b64 s[40:41], s[4:5]
	s_cbranch_execz .LBB257_114
; %bb.109:                              ;   in Loop: Header=BB257_13 Depth=1
	v_lshrrev_b32_e32 v1, 24, v9
	v_cmp_ne_u32_e64 s[4:5], s52, v1
	v_bfrev_b32_e32 v40, 1
	s_and_saveexec_b64 s[42:43], s[4:5]
	s_cbranch_execz .LBB257_113
; %bb.110:                              ;   in Loop: Header=BB257_13 Depth=1
	v_and_b32_e32 v0, 0x7f, v1
	v_cmp_ne_u32_e64 s[4:5], s53, v0
	v_mov_b32_e32 v40, 0x7c010000
	s_and_saveexec_b64 s[44:45], s[4:5]
	s_cbranch_execz .LBB257_112
; %bb.111:                              ;   in Loop: Header=BB257_13 Depth=1
	v_and_b32_e32 v9, 7, v1
	v_ffbh_u32_e32 v3, v9
	v_min_u32_e32 v12, 32, v3
	v_subrev_u32_e32 v3, 28, v12
	v_lshlrev_b64 v[3:4], v3, v[1:2]
	v_lshrrev_b32_e32 v10, 3, v0
	v_sub_u32_e32 v4, 29, v12
	v_cmp_gt_u32_e64 s[4:5], 8, v0
	v_cndmask_b32_e64 v0, v10, v4, s[4:5]
	v_mov_b32_e32 v4, 0x2000
	v_lshlrev_b32_e32 v1, 8, v1
	v_lshl_add_u32 v0, v0, 10, v4
	v_and_b32_e32 v3, 7, v3
	v_and_or_b32 v0, v1, s54, v0
	v_cndmask_b32_e64 v3, v9, v3, s[4:5]
	v_lshlrev_b32_e32 v0, 16, v0
	v_lshl_or_b32 v40, v3, 23, v0
.LBB257_112:                            ;   in Loop: Header=BB257_13 Depth=1
	s_or_b64 exec, exec, s[44:45]
.LBB257_113:                            ;   in Loop: Header=BB257_13 Depth=1
	s_or_b64 exec, exec, s[42:43]
.LBB257_114:                            ;   in Loop: Header=BB257_13 Depth=1
	s_or_b64 exec, exec, s[40:41]
	global_load_dword v9, v[7:8], off offset:1024
	v_mov_b32_e32 v42, 0
	v_mov_b32_e32 v43, 0
	s_waitcnt vmcnt(0)
	v_cmp_ne_u16_sdwa s[4:5], v9, v2 src0_sel:BYTE_0 src1_sel:DWORD
	s_and_saveexec_b64 s[40:41], s[4:5]
	s_cbranch_execz .LBB257_120
; %bb.115:                              ;   in Loop: Header=BB257_13 Depth=1
	v_cmp_ne_u16_sdwa s[4:5], v9, s52 src0_sel:BYTE_0 src1_sel:DWORD
	v_mov_b32_e32 v43, 0x8000
	s_and_saveexec_b64 s[42:43], s[4:5]
	s_cbranch_execz .LBB257_119
; %bb.116:                              ;   in Loop: Header=BB257_13 Depth=1
	v_and_b32_e32 v0, 0x7f, v9
	v_cmp_ne_u32_e64 s[4:5], s53, v0
	v_mov_b32_e32 v43, 0x7c01
	s_and_saveexec_b64 s[44:45], s[4:5]
	s_cbranch_execz .LBB257_118
; %bb.117:                              ;   in Loop: Header=BB257_13 Depth=1
	v_and_b32_e32 v1, 7, v9
	v_ffbh_u32_e32 v3, v1
	v_min_u32_e32 v12, 32, v3
	v_lshrrev_b32_e32 v10, 3, v0
	v_subrev_u32_e32 v3, 28, v12
	v_lshlrev_b64 v[3:4], v3, v[9:10]
	v_sub_u32_e32 v4, 29, v12
	v_cmp_gt_u32_e64 s[4:5], 8, v0
	v_cndmask_b32_e64 v0, v10, v4, s[4:5]
	v_mov_b32_e32 v10, 0x2000
	v_lshl_add_u32 v0, v0, 10, v10
	v_lshlrev_b32_e32 v4, 8, v9
	v_and_b32_e32 v3, 7, v3
	v_and_b32_e32 v0, 0xfc00, v0
	v_cndmask_b32_e64 v1, v1, v3, s[4:5]
	v_and_or_b32 v0, v4, s54, v0
	v_lshl_or_b32 v43, v1, 7, v0
.LBB257_118:                            ;   in Loop: Header=BB257_13 Depth=1
	s_or_b64 exec, exec, s[44:45]
.LBB257_119:                            ;   in Loop: Header=BB257_13 Depth=1
	s_or_b64 exec, exec, s[42:43]
.LBB257_120:                            ;   in Loop: Header=BB257_13 Depth=1
	s_or_b64 exec, exec, s[40:41]
	v_lshrrev_b16_e32 v1, 8, v9
	v_cmp_ne_u16_e64 s[4:5], 0, v1
	s_and_saveexec_b64 s[40:41], s[4:5]
	s_cbranch_execz .LBB257_126
; %bb.121:                              ;   in Loop: Header=BB257_13 Depth=1
	v_cmp_ne_u16_e64 s[4:5], s52, v1
	v_bfrev_b32_e32 v42, 1
	s_and_saveexec_b64 s[42:43], s[4:5]
	s_cbranch_execz .LBB257_125
; %bb.122:                              ;   in Loop: Header=BB257_13 Depth=1
	v_and_b32_e32 v0, 0x7f, v1
	v_cmp_ne_u32_e64 s[4:5], s53, v0
	v_mov_b32_e32 v42, 0x7c010000
	s_and_saveexec_b64 s[44:45], s[4:5]
	s_cbranch_execz .LBB257_124
; %bb.123:                              ;   in Loop: Header=BB257_13 Depth=1
	v_and_b32_e32 v10, 7, v1
	v_ffbh_u32_e32 v3, v10
	v_min_u32_e32 v13, 32, v3
	v_subrev_u32_e32 v3, 28, v13
	v_lshlrev_b64 v[3:4], v3, v[1:2]
	v_lshrrev_b32_e32 v12, 3, v0
	v_sub_u32_e32 v4, 29, v13
	v_cmp_gt_u32_e64 s[4:5], 8, v0
	v_cndmask_b32_e64 v0, v12, v4, s[4:5]
	v_mov_b32_e32 v4, 0x2000
	v_lshlrev_b32_e32 v1, 8, v1
	v_lshl_add_u32 v0, v0, 10, v4
	v_and_b32_e32 v3, 7, v3
	v_and_or_b32 v0, v1, s54, v0
	v_cndmask_b32_e64 v3, v10, v3, s[4:5]
	v_lshlrev_b32_e32 v0, 16, v0
	v_lshl_or_b32 v42, v3, 23, v0
.LBB257_124:                            ;   in Loop: Header=BB257_13 Depth=1
	s_or_b64 exec, exec, s[44:45]
.LBB257_125:                            ;   in Loop: Header=BB257_13 Depth=1
	s_or_b64 exec, exec, s[42:43]
.LBB257_126:                            ;   in Loop: Header=BB257_13 Depth=1
	s_or_b64 exec, exec, s[40:41]
	v_lshrrev_b32_e32 v1, 16, v9
	v_cmp_ne_u16_sdwa s[4:5], v1, v2 src0_sel:BYTE_0 src1_sel:DWORD
	v_mov_b32_e32 v44, 0
	v_mov_b32_e32 v45, 0
	s_and_saveexec_b64 s[40:41], s[4:5]
	s_cbranch_execz .LBB257_132
; %bb.127:                              ;   in Loop: Header=BB257_13 Depth=1
	v_cmp_ne_u16_sdwa s[4:5], v1, s52 src0_sel:BYTE_0 src1_sel:DWORD
	v_mov_b32_e32 v45, 0x8000
	s_and_saveexec_b64 s[42:43], s[4:5]
	s_cbranch_execz .LBB257_131
; %bb.128:                              ;   in Loop: Header=BB257_13 Depth=1
	v_bfe_u32 v0, v9, 16, 7
	v_cmp_ne_u32_e64 s[4:5], s53, v0
	v_mov_b32_e32 v45, 0x7c01
	s_and_saveexec_b64 s[44:45], s[4:5]
	s_cbranch_execz .LBB257_130
; %bb.129:                              ;   in Loop: Header=BB257_13 Depth=1
	v_and_b32_e32 v10, 7, v1
	v_ffbh_u32_e32 v3, v10
	v_min_u32_e32 v13, 32, v3
	v_subrev_u32_e32 v3, 28, v13
	v_lshlrev_b64 v[3:4], v3, v[1:2]
	v_lshrrev_b32_e32 v12, 3, v0
	v_sub_u32_e32 v4, 29, v13
	v_cmp_gt_u32_e64 s[4:5], 8, v0
	v_cndmask_b32_e64 v0, v12, v4, s[4:5]
	v_mov_b32_e32 v4, 0x2000
	v_lshl_add_u32 v0, v0, 10, v4
	v_lshlrev_b32_e32 v1, 8, v1
	v_and_b32_e32 v3, 7, v3
	v_and_b32_e32 v0, 0xfc00, v0
	v_cndmask_b32_e64 v3, v10, v3, s[4:5]
	v_and_or_b32 v0, v1, s54, v0
	v_lshl_or_b32 v45, v3, 7, v0
.LBB257_130:                            ;   in Loop: Header=BB257_13 Depth=1
	s_or_b64 exec, exec, s[44:45]
.LBB257_131:                            ;   in Loop: Header=BB257_13 Depth=1
	s_or_b64 exec, exec, s[42:43]
.LBB257_132:                            ;   in Loop: Header=BB257_13 Depth=1
	s_or_b64 exec, exec, s[40:41]
	v_cmp_lt_u32_e64 s[4:5], s55, v9
	s_and_saveexec_b64 s[40:41], s[4:5]
	s_cbranch_execz .LBB257_138
; %bb.133:                              ;   in Loop: Header=BB257_13 Depth=1
	v_lshrrev_b32_e32 v1, 24, v9
	v_cmp_ne_u32_e64 s[4:5], s52, v1
	v_bfrev_b32_e32 v44, 1
	s_and_saveexec_b64 s[42:43], s[4:5]
	s_cbranch_execz .LBB257_137
; %bb.134:                              ;   in Loop: Header=BB257_13 Depth=1
	v_and_b32_e32 v0, 0x7f, v1
	v_cmp_ne_u32_e64 s[4:5], s53, v0
	v_mov_b32_e32 v44, 0x7c010000
	s_and_saveexec_b64 s[44:45], s[4:5]
	s_cbranch_execz .LBB257_136
; %bb.135:                              ;   in Loop: Header=BB257_13 Depth=1
	v_and_b32_e32 v9, 7, v1
	v_ffbh_u32_e32 v3, v9
	v_min_u32_e32 v12, 32, v3
	v_subrev_u32_e32 v3, 28, v12
	v_lshlrev_b64 v[3:4], v3, v[1:2]
	v_lshrrev_b32_e32 v10, 3, v0
	v_sub_u32_e32 v4, 29, v12
	v_cmp_gt_u32_e64 s[4:5], 8, v0
	v_cndmask_b32_e64 v0, v10, v4, s[4:5]
	v_mov_b32_e32 v4, 0x2000
	v_lshlrev_b32_e32 v1, 8, v1
	v_lshl_add_u32 v0, v0, 10, v4
	v_and_b32_e32 v3, 7, v3
	v_and_or_b32 v0, v1, s54, v0
	v_cndmask_b32_e64 v3, v9, v3, s[4:5]
	v_lshlrev_b32_e32 v0, 16, v0
	v_lshl_or_b32 v44, v3, 23, v0
.LBB257_136:                            ;   in Loop: Header=BB257_13 Depth=1
	s_or_b64 exec, exec, s[44:45]
.LBB257_137:                            ;   in Loop: Header=BB257_13 Depth=1
	s_or_b64 exec, exec, s[42:43]
.LBB257_138:                            ;   in Loop: Header=BB257_13 Depth=1
	s_or_b64 exec, exec, s[40:41]
	global_load_dword v9, v[7:8], off offset:1032
	v_mov_b32_e32 v46, 0
	v_mov_b32_e32 v47, 0
	s_waitcnt vmcnt(0)
	v_cmp_ne_u16_sdwa s[4:5], v9, v2 src0_sel:BYTE_0 src1_sel:DWORD
	s_and_saveexec_b64 s[40:41], s[4:5]
	s_cbranch_execz .LBB257_144
; %bb.139:                              ;   in Loop: Header=BB257_13 Depth=1
	v_cmp_ne_u16_sdwa s[4:5], v9, s52 src0_sel:BYTE_0 src1_sel:DWORD
	v_mov_b32_e32 v47, 0x8000
	s_and_saveexec_b64 s[42:43], s[4:5]
	s_cbranch_execz .LBB257_143
; %bb.140:                              ;   in Loop: Header=BB257_13 Depth=1
	v_and_b32_e32 v0, 0x7f, v9
	v_cmp_ne_u32_e64 s[4:5], s53, v0
	v_mov_b32_e32 v47, 0x7c01
	s_and_saveexec_b64 s[44:45], s[4:5]
	s_cbranch_execz .LBB257_142
; %bb.141:                              ;   in Loop: Header=BB257_13 Depth=1
	v_and_b32_e32 v1, 7, v9
	v_ffbh_u32_e32 v3, v1
	v_min_u32_e32 v12, 32, v3
	v_lshrrev_b32_e32 v10, 3, v0
	v_subrev_u32_e32 v3, 28, v12
	v_lshlrev_b64 v[3:4], v3, v[9:10]
	v_sub_u32_e32 v4, 29, v12
	v_cmp_gt_u32_e64 s[4:5], 8, v0
	v_cndmask_b32_e64 v0, v10, v4, s[4:5]
	v_mov_b32_e32 v10, 0x2000
	v_lshl_add_u32 v0, v0, 10, v10
	v_lshlrev_b32_e32 v4, 8, v9
	v_and_b32_e32 v3, 7, v3
	v_and_b32_e32 v0, 0xfc00, v0
	v_cndmask_b32_e64 v1, v1, v3, s[4:5]
	v_and_or_b32 v0, v4, s54, v0
	v_lshl_or_b32 v47, v1, 7, v0
.LBB257_142:                            ;   in Loop: Header=BB257_13 Depth=1
	s_or_b64 exec, exec, s[44:45]
.LBB257_143:                            ;   in Loop: Header=BB257_13 Depth=1
	s_or_b64 exec, exec, s[42:43]
.LBB257_144:                            ;   in Loop: Header=BB257_13 Depth=1
	s_or_b64 exec, exec, s[40:41]
	v_lshrrev_b16_e32 v1, 8, v9
	v_cmp_ne_u16_e64 s[4:5], 0, v1
	s_and_saveexec_b64 s[40:41], s[4:5]
	s_cbranch_execz .LBB257_150
; %bb.145:                              ;   in Loop: Header=BB257_13 Depth=1
	v_cmp_ne_u16_e64 s[4:5], s52, v1
	v_bfrev_b32_e32 v46, 1
	s_and_saveexec_b64 s[42:43], s[4:5]
	s_cbranch_execz .LBB257_149
; %bb.146:                              ;   in Loop: Header=BB257_13 Depth=1
	v_and_b32_e32 v0, 0x7f, v1
	v_cmp_ne_u32_e64 s[4:5], s53, v0
	v_mov_b32_e32 v46, 0x7c010000
	s_and_saveexec_b64 s[44:45], s[4:5]
	s_cbranch_execz .LBB257_148
; %bb.147:                              ;   in Loop: Header=BB257_13 Depth=1
	v_and_b32_e32 v10, 7, v1
	v_ffbh_u32_e32 v3, v10
	v_min_u32_e32 v13, 32, v3
	v_subrev_u32_e32 v3, 28, v13
	v_lshlrev_b64 v[3:4], v3, v[1:2]
	v_lshrrev_b32_e32 v12, 3, v0
	v_sub_u32_e32 v4, 29, v13
	v_cmp_gt_u32_e64 s[4:5], 8, v0
	v_cndmask_b32_e64 v0, v12, v4, s[4:5]
	v_mov_b32_e32 v4, 0x2000
	v_lshlrev_b32_e32 v1, 8, v1
	v_lshl_add_u32 v0, v0, 10, v4
	v_and_b32_e32 v3, 7, v3
	v_and_or_b32 v0, v1, s54, v0
	v_cndmask_b32_e64 v3, v10, v3, s[4:5]
	v_lshlrev_b32_e32 v0, 16, v0
	v_lshl_or_b32 v46, v3, 23, v0
.LBB257_148:                            ;   in Loop: Header=BB257_13 Depth=1
	s_or_b64 exec, exec, s[44:45]
.LBB257_149:                            ;   in Loop: Header=BB257_13 Depth=1
	s_or_b64 exec, exec, s[42:43]
.LBB257_150:                            ;   in Loop: Header=BB257_13 Depth=1
	s_or_b64 exec, exec, s[40:41]
	v_lshrrev_b32_e32 v1, 16, v9
	v_cmp_ne_u16_sdwa s[4:5], v1, v2 src0_sel:BYTE_0 src1_sel:DWORD
	v_mov_b32_e32 v48, 0
	v_mov_b32_e32 v49, 0
	s_and_saveexec_b64 s[40:41], s[4:5]
	s_cbranch_execz .LBB257_156
; %bb.151:                              ;   in Loop: Header=BB257_13 Depth=1
	v_cmp_ne_u16_sdwa s[4:5], v1, s52 src0_sel:BYTE_0 src1_sel:DWORD
	v_mov_b32_e32 v49, 0x8000
	s_and_saveexec_b64 s[42:43], s[4:5]
	s_cbranch_execz .LBB257_155
; %bb.152:                              ;   in Loop: Header=BB257_13 Depth=1
	v_bfe_u32 v0, v9, 16, 7
	v_cmp_ne_u32_e64 s[4:5], s53, v0
	v_mov_b32_e32 v49, 0x7c01
	s_and_saveexec_b64 s[44:45], s[4:5]
	s_cbranch_execz .LBB257_154
; %bb.153:                              ;   in Loop: Header=BB257_13 Depth=1
	v_and_b32_e32 v10, 7, v1
	v_ffbh_u32_e32 v3, v10
	v_min_u32_e32 v13, 32, v3
	v_subrev_u32_e32 v3, 28, v13
	v_lshlrev_b64 v[3:4], v3, v[1:2]
	v_lshrrev_b32_e32 v12, 3, v0
	v_sub_u32_e32 v4, 29, v13
	v_cmp_gt_u32_e64 s[4:5], 8, v0
	v_cndmask_b32_e64 v0, v12, v4, s[4:5]
	v_mov_b32_e32 v4, 0x2000
	v_lshl_add_u32 v0, v0, 10, v4
	v_lshlrev_b32_e32 v1, 8, v1
	v_and_b32_e32 v3, 7, v3
	v_and_b32_e32 v0, 0xfc00, v0
	v_cndmask_b32_e64 v3, v10, v3, s[4:5]
	v_and_or_b32 v0, v1, s54, v0
	v_lshl_or_b32 v49, v3, 7, v0
.LBB257_154:                            ;   in Loop: Header=BB257_13 Depth=1
	s_or_b64 exec, exec, s[44:45]
.LBB257_155:                            ;   in Loop: Header=BB257_13 Depth=1
	s_or_b64 exec, exec, s[42:43]
.LBB257_156:                            ;   in Loop: Header=BB257_13 Depth=1
	s_or_b64 exec, exec, s[40:41]
	v_cmp_lt_u32_e64 s[4:5], s55, v9
	s_and_saveexec_b64 s[40:41], s[4:5]
	s_cbranch_execz .LBB257_162
; %bb.157:                              ;   in Loop: Header=BB257_13 Depth=1
	v_lshrrev_b32_e32 v1, 24, v9
	v_cmp_ne_u32_e64 s[4:5], s52, v1
	v_bfrev_b32_e32 v48, 1
	s_and_saveexec_b64 s[42:43], s[4:5]
	s_cbranch_execz .LBB257_161
; %bb.158:                              ;   in Loop: Header=BB257_13 Depth=1
	v_and_b32_e32 v0, 0x7f, v1
	v_cmp_ne_u32_e64 s[4:5], s53, v0
	v_mov_b32_e32 v48, 0x7c010000
	s_and_saveexec_b64 s[44:45], s[4:5]
	s_cbranch_execz .LBB257_160
; %bb.159:                              ;   in Loop: Header=BB257_13 Depth=1
	v_and_b32_e32 v9, 7, v1
	v_ffbh_u32_e32 v3, v9
	v_min_u32_e32 v12, 32, v3
	v_subrev_u32_e32 v3, 28, v12
	v_lshlrev_b64 v[3:4], v3, v[1:2]
	v_lshrrev_b32_e32 v10, 3, v0
	v_sub_u32_e32 v4, 29, v12
	v_cmp_gt_u32_e64 s[4:5], 8, v0
	v_cndmask_b32_e64 v0, v10, v4, s[4:5]
	v_mov_b32_e32 v4, 0x2000
	v_lshlrev_b32_e32 v1, 8, v1
	v_lshl_add_u32 v0, v0, 10, v4
	v_and_b32_e32 v3, 7, v3
	v_and_or_b32 v0, v1, s54, v0
	v_cndmask_b32_e64 v3, v9, v3, s[4:5]
	v_lshlrev_b32_e32 v0, 16, v0
	v_lshl_or_b32 v48, v3, 23, v0
.LBB257_160:                            ;   in Loop: Header=BB257_13 Depth=1
	s_or_b64 exec, exec, s[44:45]
.LBB257_161:                            ;   in Loop: Header=BB257_13 Depth=1
	s_or_b64 exec, exec, s[42:43]
.LBB257_162:                            ;   in Loop: Header=BB257_13 Depth=1
	s_or_b64 exec, exec, s[40:41]
	global_load_dword v9, v[7:8], off offset:1536
	v_mov_b32_e32 v50, 0
	v_mov_b32_e32 v51, 0
	s_waitcnt vmcnt(0)
	v_cmp_ne_u16_sdwa s[4:5], v9, v2 src0_sel:BYTE_0 src1_sel:DWORD
	s_and_saveexec_b64 s[40:41], s[4:5]
	s_cbranch_execz .LBB257_168
; %bb.163:                              ;   in Loop: Header=BB257_13 Depth=1
	v_cmp_ne_u16_sdwa s[4:5], v9, s52 src0_sel:BYTE_0 src1_sel:DWORD
	v_mov_b32_e32 v51, 0x8000
	s_and_saveexec_b64 s[42:43], s[4:5]
	s_cbranch_execz .LBB257_167
; %bb.164:                              ;   in Loop: Header=BB257_13 Depth=1
	v_and_b32_e32 v0, 0x7f, v9
	v_cmp_ne_u32_e64 s[4:5], s53, v0
	v_mov_b32_e32 v51, 0x7c01
	s_and_saveexec_b64 s[44:45], s[4:5]
	s_cbranch_execz .LBB257_166
; %bb.165:                              ;   in Loop: Header=BB257_13 Depth=1
	v_and_b32_e32 v1, 7, v9
	v_ffbh_u32_e32 v3, v1
	v_min_u32_e32 v12, 32, v3
	v_lshrrev_b32_e32 v10, 3, v0
	v_subrev_u32_e32 v3, 28, v12
	v_lshlrev_b64 v[3:4], v3, v[9:10]
	v_sub_u32_e32 v4, 29, v12
	v_cmp_gt_u32_e64 s[4:5], 8, v0
	v_cndmask_b32_e64 v0, v10, v4, s[4:5]
	v_mov_b32_e32 v10, 0x2000
	v_lshl_add_u32 v0, v0, 10, v10
	v_lshlrev_b32_e32 v4, 8, v9
	v_and_b32_e32 v3, 7, v3
	v_and_b32_e32 v0, 0xfc00, v0
	v_cndmask_b32_e64 v1, v1, v3, s[4:5]
	v_and_or_b32 v0, v4, s54, v0
	v_lshl_or_b32 v51, v1, 7, v0
.LBB257_166:                            ;   in Loop: Header=BB257_13 Depth=1
	s_or_b64 exec, exec, s[44:45]
.LBB257_167:                            ;   in Loop: Header=BB257_13 Depth=1
	s_or_b64 exec, exec, s[42:43]
.LBB257_168:                            ;   in Loop: Header=BB257_13 Depth=1
	s_or_b64 exec, exec, s[40:41]
	v_lshrrev_b16_e32 v1, 8, v9
	v_cmp_ne_u16_e64 s[4:5], 0, v1
	s_and_saveexec_b64 s[40:41], s[4:5]
	s_cbranch_execz .LBB257_174
; %bb.169:                              ;   in Loop: Header=BB257_13 Depth=1
	v_cmp_ne_u16_e64 s[4:5], s52, v1
	v_bfrev_b32_e32 v50, 1
	s_and_saveexec_b64 s[42:43], s[4:5]
	s_cbranch_execz .LBB257_173
; %bb.170:                              ;   in Loop: Header=BB257_13 Depth=1
	v_and_b32_e32 v0, 0x7f, v1
	v_cmp_ne_u32_e64 s[4:5], s53, v0
	v_mov_b32_e32 v50, 0x7c010000
	s_and_saveexec_b64 s[44:45], s[4:5]
	s_cbranch_execz .LBB257_172
; %bb.171:                              ;   in Loop: Header=BB257_13 Depth=1
	v_and_b32_e32 v10, 7, v1
	v_ffbh_u32_e32 v3, v10
	v_min_u32_e32 v13, 32, v3
	v_subrev_u32_e32 v3, 28, v13
	v_lshlrev_b64 v[3:4], v3, v[1:2]
	v_lshrrev_b32_e32 v12, 3, v0
	v_sub_u32_e32 v4, 29, v13
	v_cmp_gt_u32_e64 s[4:5], 8, v0
	v_cndmask_b32_e64 v0, v12, v4, s[4:5]
	v_mov_b32_e32 v4, 0x2000
	v_lshlrev_b32_e32 v1, 8, v1
	v_lshl_add_u32 v0, v0, 10, v4
	v_and_b32_e32 v3, 7, v3
	v_and_or_b32 v0, v1, s54, v0
	v_cndmask_b32_e64 v3, v10, v3, s[4:5]
	v_lshlrev_b32_e32 v0, 16, v0
	v_lshl_or_b32 v50, v3, 23, v0
.LBB257_172:                            ;   in Loop: Header=BB257_13 Depth=1
	s_or_b64 exec, exec, s[44:45]
.LBB257_173:                            ;   in Loop: Header=BB257_13 Depth=1
	s_or_b64 exec, exec, s[42:43]
.LBB257_174:                            ;   in Loop: Header=BB257_13 Depth=1
	s_or_b64 exec, exec, s[40:41]
	v_lshrrev_b32_e32 v1, 16, v9
	v_cmp_ne_u16_sdwa s[4:5], v1, v2 src0_sel:BYTE_0 src1_sel:DWORD
	v_mov_b32_e32 v52, 0
	v_mov_b32_e32 v53, 0
	s_and_saveexec_b64 s[40:41], s[4:5]
	s_cbranch_execz .LBB257_180
; %bb.175:                              ;   in Loop: Header=BB257_13 Depth=1
	v_cmp_ne_u16_sdwa s[4:5], v1, s52 src0_sel:BYTE_0 src1_sel:DWORD
	v_mov_b32_e32 v53, 0x8000
	s_and_saveexec_b64 s[42:43], s[4:5]
	s_cbranch_execz .LBB257_179
; %bb.176:                              ;   in Loop: Header=BB257_13 Depth=1
	v_bfe_u32 v0, v9, 16, 7
	v_cmp_ne_u32_e64 s[4:5], s53, v0
	v_mov_b32_e32 v53, 0x7c01
	s_and_saveexec_b64 s[44:45], s[4:5]
	s_cbranch_execz .LBB257_178
; %bb.177:                              ;   in Loop: Header=BB257_13 Depth=1
	v_and_b32_e32 v10, 7, v1
	v_ffbh_u32_e32 v3, v10
	v_min_u32_e32 v13, 32, v3
	v_subrev_u32_e32 v3, 28, v13
	v_lshlrev_b64 v[3:4], v3, v[1:2]
	v_lshrrev_b32_e32 v12, 3, v0
	v_sub_u32_e32 v4, 29, v13
	v_cmp_gt_u32_e64 s[4:5], 8, v0
	v_cndmask_b32_e64 v0, v12, v4, s[4:5]
	v_mov_b32_e32 v4, 0x2000
	v_lshl_add_u32 v0, v0, 10, v4
	v_lshlrev_b32_e32 v1, 8, v1
	v_and_b32_e32 v3, 7, v3
	v_and_b32_e32 v0, 0xfc00, v0
	v_cndmask_b32_e64 v3, v10, v3, s[4:5]
	v_and_or_b32 v0, v1, s54, v0
	v_lshl_or_b32 v53, v3, 7, v0
.LBB257_178:                            ;   in Loop: Header=BB257_13 Depth=1
	s_or_b64 exec, exec, s[44:45]
.LBB257_179:                            ;   in Loop: Header=BB257_13 Depth=1
	s_or_b64 exec, exec, s[42:43]
.LBB257_180:                            ;   in Loop: Header=BB257_13 Depth=1
	s_or_b64 exec, exec, s[40:41]
	v_cmp_lt_u32_e64 s[4:5], s55, v9
	s_and_saveexec_b64 s[40:41], s[4:5]
	s_cbranch_execz .LBB257_186
; %bb.181:                              ;   in Loop: Header=BB257_13 Depth=1
	v_lshrrev_b32_e32 v1, 24, v9
	v_cmp_ne_u32_e64 s[4:5], s52, v1
	v_bfrev_b32_e32 v52, 1
	s_and_saveexec_b64 s[42:43], s[4:5]
	s_cbranch_execz .LBB257_185
; %bb.182:                              ;   in Loop: Header=BB257_13 Depth=1
	v_and_b32_e32 v0, 0x7f, v1
	v_cmp_ne_u32_e64 s[4:5], s53, v0
	v_mov_b32_e32 v52, 0x7c010000
	s_and_saveexec_b64 s[44:45], s[4:5]
	s_cbranch_execz .LBB257_184
; %bb.183:                              ;   in Loop: Header=BB257_13 Depth=1
	v_and_b32_e32 v9, 7, v1
	v_ffbh_u32_e32 v3, v9
	v_min_u32_e32 v12, 32, v3
	v_subrev_u32_e32 v3, 28, v12
	v_lshlrev_b64 v[3:4], v3, v[1:2]
	v_lshrrev_b32_e32 v10, 3, v0
	v_sub_u32_e32 v4, 29, v12
	v_cmp_gt_u32_e64 s[4:5], 8, v0
	v_cndmask_b32_e64 v0, v10, v4, s[4:5]
	v_mov_b32_e32 v4, 0x2000
	v_lshlrev_b32_e32 v1, 8, v1
	v_lshl_add_u32 v0, v0, 10, v4
	v_and_b32_e32 v3, 7, v3
	v_and_or_b32 v0, v1, s54, v0
	v_cndmask_b32_e64 v3, v9, v3, s[4:5]
	v_lshlrev_b32_e32 v0, 16, v0
	v_lshl_or_b32 v52, v3, 23, v0
.LBB257_184:                            ;   in Loop: Header=BB257_13 Depth=1
	s_or_b64 exec, exec, s[44:45]
.LBB257_185:                            ;   in Loop: Header=BB257_13 Depth=1
	s_or_b64 exec, exec, s[42:43]
.LBB257_186:                            ;   in Loop: Header=BB257_13 Depth=1
	s_or_b64 exec, exec, s[40:41]
	global_load_dword v9, v[7:8], off offset:1544
	v_mov_b32_e32 v54, 0
	v_mov_b32_e32 v55, 0
	s_waitcnt vmcnt(0)
	v_cmp_ne_u16_sdwa s[4:5], v9, v2 src0_sel:BYTE_0 src1_sel:DWORD
	s_and_saveexec_b64 s[40:41], s[4:5]
	s_cbranch_execz .LBB257_192
; %bb.187:                              ;   in Loop: Header=BB257_13 Depth=1
	v_cmp_ne_u16_sdwa s[4:5], v9, s52 src0_sel:BYTE_0 src1_sel:DWORD
	v_mov_b32_e32 v55, 0x8000
	s_and_saveexec_b64 s[42:43], s[4:5]
	s_cbranch_execz .LBB257_191
; %bb.188:                              ;   in Loop: Header=BB257_13 Depth=1
	v_and_b32_e32 v0, 0x7f, v9
	v_cmp_ne_u32_e64 s[4:5], s53, v0
	v_mov_b32_e32 v55, 0x7c01
	s_and_saveexec_b64 s[44:45], s[4:5]
	s_cbranch_execz .LBB257_190
; %bb.189:                              ;   in Loop: Header=BB257_13 Depth=1
	v_and_b32_e32 v1, 7, v9
	v_ffbh_u32_e32 v3, v1
	v_min_u32_e32 v12, 32, v3
	v_lshrrev_b32_e32 v10, 3, v0
	v_subrev_u32_e32 v3, 28, v12
	v_lshlrev_b64 v[3:4], v3, v[9:10]
	v_sub_u32_e32 v4, 29, v12
	v_cmp_gt_u32_e64 s[4:5], 8, v0
	v_cndmask_b32_e64 v0, v10, v4, s[4:5]
	v_mov_b32_e32 v10, 0x2000
	v_lshl_add_u32 v0, v0, 10, v10
	v_lshlrev_b32_e32 v4, 8, v9
	v_and_b32_e32 v3, 7, v3
	v_and_b32_e32 v0, 0xfc00, v0
	v_cndmask_b32_e64 v1, v1, v3, s[4:5]
	v_and_or_b32 v0, v4, s54, v0
	v_lshl_or_b32 v55, v1, 7, v0
.LBB257_190:                            ;   in Loop: Header=BB257_13 Depth=1
	s_or_b64 exec, exec, s[44:45]
.LBB257_191:                            ;   in Loop: Header=BB257_13 Depth=1
	s_or_b64 exec, exec, s[42:43]
.LBB257_192:                            ;   in Loop: Header=BB257_13 Depth=1
	s_or_b64 exec, exec, s[40:41]
	v_lshrrev_b16_e32 v1, 8, v9
	v_cmp_ne_u16_e64 s[4:5], 0, v1
	s_and_saveexec_b64 s[40:41], s[4:5]
	s_cbranch_execz .LBB257_198
; %bb.193:                              ;   in Loop: Header=BB257_13 Depth=1
	v_cmp_ne_u16_e64 s[4:5], s52, v1
	v_bfrev_b32_e32 v54, 1
	s_and_saveexec_b64 s[42:43], s[4:5]
	s_cbranch_execz .LBB257_197
; %bb.194:                              ;   in Loop: Header=BB257_13 Depth=1
	v_and_b32_e32 v0, 0x7f, v1
	v_cmp_ne_u32_e64 s[4:5], s53, v0
	v_mov_b32_e32 v54, 0x7c010000
	s_and_saveexec_b64 s[44:45], s[4:5]
	s_cbranch_execz .LBB257_196
; %bb.195:                              ;   in Loop: Header=BB257_13 Depth=1
	v_and_b32_e32 v10, 7, v1
	v_ffbh_u32_e32 v3, v10
	v_min_u32_e32 v13, 32, v3
	v_subrev_u32_e32 v3, 28, v13
	v_lshlrev_b64 v[3:4], v3, v[1:2]
	v_lshrrev_b32_e32 v12, 3, v0
	v_sub_u32_e32 v4, 29, v13
	v_cmp_gt_u32_e64 s[4:5], 8, v0
	v_cndmask_b32_e64 v0, v12, v4, s[4:5]
	v_mov_b32_e32 v4, 0x2000
	v_lshlrev_b32_e32 v1, 8, v1
	v_lshl_add_u32 v0, v0, 10, v4
	v_and_b32_e32 v3, 7, v3
	v_and_or_b32 v0, v1, s54, v0
	v_cndmask_b32_e64 v3, v10, v3, s[4:5]
	v_lshlrev_b32_e32 v0, 16, v0
	v_lshl_or_b32 v54, v3, 23, v0
.LBB257_196:                            ;   in Loop: Header=BB257_13 Depth=1
	s_or_b64 exec, exec, s[44:45]
.LBB257_197:                            ;   in Loop: Header=BB257_13 Depth=1
	s_or_b64 exec, exec, s[42:43]
.LBB257_198:                            ;   in Loop: Header=BB257_13 Depth=1
	s_or_b64 exec, exec, s[40:41]
	v_lshrrev_b32_e32 v1, 16, v9
	v_cmp_ne_u16_sdwa s[4:5], v1, v2 src0_sel:BYTE_0 src1_sel:DWORD
	v_mov_b32_e32 v56, 0
	v_mov_b32_e32 v57, 0
	s_and_saveexec_b64 s[40:41], s[4:5]
	s_cbranch_execz .LBB257_204
; %bb.199:                              ;   in Loop: Header=BB257_13 Depth=1
	v_cmp_ne_u16_sdwa s[4:5], v1, s52 src0_sel:BYTE_0 src1_sel:DWORD
	v_mov_b32_e32 v57, 0x8000
	s_and_saveexec_b64 s[42:43], s[4:5]
	s_cbranch_execz .LBB257_203
; %bb.200:                              ;   in Loop: Header=BB257_13 Depth=1
	v_bfe_u32 v0, v9, 16, 7
	v_cmp_ne_u32_e64 s[4:5], s53, v0
	v_mov_b32_e32 v57, 0x7c01
	s_and_saveexec_b64 s[44:45], s[4:5]
	s_cbranch_execz .LBB257_202
; %bb.201:                              ;   in Loop: Header=BB257_13 Depth=1
	v_and_b32_e32 v10, 7, v1
	v_lshrrev_b32_e32 v12, 3, v0
	v_cmp_gt_u32_e64 s[4:5], 8, v0
	v_ffbh_u32_e32 v0, v10
	v_min_u32_e32 v0, 32, v0
	v_subrev_u32_e32 v3, 28, v0
	v_lshlrev_b64 v[3:4], v3, v[1:2]
	v_sub_u32_e32 v0, 29, v0
	v_cndmask_b32_e64 v0, v12, v0, s[4:5]
	v_mov_b32_e32 v4, 0x2000
	v_lshl_add_u32 v0, v0, 10, v4
	v_lshlrev_b32_e32 v1, 8, v1
	v_and_b32_e32 v3, 7, v3
	v_and_b32_e32 v0, 0xfc00, v0
	v_cndmask_b32_e64 v3, v10, v3, s[4:5]
	v_and_or_b32 v0, v1, s54, v0
	v_lshl_or_b32 v57, v3, 7, v0
.LBB257_202:                            ;   in Loop: Header=BB257_13 Depth=1
	s_or_b64 exec, exec, s[44:45]
.LBB257_203:                            ;   in Loop: Header=BB257_13 Depth=1
	s_or_b64 exec, exec, s[42:43]
.LBB257_204:                            ;   in Loop: Header=BB257_13 Depth=1
	s_or_b64 exec, exec, s[40:41]
	v_cmp_lt_u32_e64 s[4:5], s55, v9
	s_and_saveexec_b64 s[40:41], s[4:5]
	s_cbranch_execz .LBB257_210
; %bb.205:                              ;   in Loop: Header=BB257_13 Depth=1
	v_lshrrev_b32_e32 v1, 24, v9
	v_cmp_ne_u32_e64 s[4:5], s52, v1
	v_bfrev_b32_e32 v56, 1
	s_and_saveexec_b64 s[42:43], s[4:5]
	s_cbranch_execz .LBB257_209
; %bb.206:                              ;   in Loop: Header=BB257_13 Depth=1
	v_and_b32_e32 v0, 0x7f, v1
	v_cmp_ne_u32_e64 s[4:5], s53, v0
	v_mov_b32_e32 v56, 0x7c010000
	s_and_saveexec_b64 s[44:45], s[4:5]
	s_cbranch_execz .LBB257_208
; %bb.207:                              ;   in Loop: Header=BB257_13 Depth=1
	v_and_b32_e32 v9, 7, v1
	v_ffbh_u32_e32 v3, v9
	v_min_u32_e32 v12, 32, v3
	v_subrev_u32_e32 v3, 28, v12
	v_lshlrev_b64 v[3:4], v3, v[1:2]
	v_lshrrev_b32_e32 v10, 3, v0
	v_sub_u32_e32 v4, 29, v12
	v_cmp_gt_u32_e64 s[4:5], 8, v0
	v_cndmask_b32_e64 v0, v10, v4, s[4:5]
	v_mov_b32_e32 v4, 0x2000
	v_lshlrev_b32_e32 v1, 8, v1
	v_lshl_add_u32 v0, v0, 10, v4
	v_and_b32_e32 v3, 7, v3
	v_and_or_b32 v0, v1, s54, v0
	v_cndmask_b32_e64 v3, v9, v3, s[4:5]
	v_lshlrev_b32_e32 v0, 16, v0
	v_lshl_or_b32 v56, v3, 23, v0
.LBB257_208:                            ;   in Loop: Header=BB257_13 Depth=1
	s_or_b64 exec, exec, s[44:45]
.LBB257_209:                            ;   in Loop: Header=BB257_13 Depth=1
	s_or_b64 exec, exec, s[42:43]
.LBB257_210:                            ;   in Loop: Header=BB257_13 Depth=1
	s_or_b64 exec, exec, s[40:41]
	global_load_dword v9, v[7:8], off offset:2048
	v_mov_b32_e32 v58, 0
	v_mov_b32_e32 v59, 0
	s_waitcnt vmcnt(0)
	v_cmp_ne_u16_sdwa s[4:5], v9, v2 src0_sel:BYTE_0 src1_sel:DWORD
	s_and_saveexec_b64 s[40:41], s[4:5]
	s_cbranch_execz .LBB257_216
; %bb.211:                              ;   in Loop: Header=BB257_13 Depth=1
	v_cmp_ne_u16_sdwa s[4:5], v9, s52 src0_sel:BYTE_0 src1_sel:DWORD
	v_mov_b32_e32 v59, 0x8000
	s_and_saveexec_b64 s[42:43], s[4:5]
	s_cbranch_execz .LBB257_215
; %bb.212:                              ;   in Loop: Header=BB257_13 Depth=1
	v_and_b32_e32 v0, 0x7f, v9
	v_cmp_ne_u32_e64 s[4:5], s53, v0
	v_mov_b32_e32 v59, 0x7c01
	s_and_saveexec_b64 s[44:45], s[4:5]
	s_cbranch_execz .LBB257_214
; %bb.213:                              ;   in Loop: Header=BB257_13 Depth=1
	v_and_b32_e32 v3, 7, v9
	v_lshrrev_b32_e32 v4, 3, v0
	v_cmp_gt_u32_e64 s[4:5], 8, v0
	v_ffbh_u32_e32 v0, v3
	v_min_u32_e32 v10, 32, v0
	v_subrev_u32_e32 v0, 28, v10
	v_lshlrev_b64 v[0:1], v0, v[9:10]
	v_sub_u32_e32 v1, 29, v10
	v_cndmask_b32_e64 v1, v4, v1, s[4:5]
	v_mov_b32_e32 v10, 0x2000
	v_lshl_add_u32 v1, v1, 10, v10
	v_lshlrev_b32_e32 v4, 8, v9
	v_and_b32_e32 v0, 7, v0
	v_and_b32_e32 v1, 0xfc00, v1
	v_cndmask_b32_e64 v0, v3, v0, s[4:5]
	v_and_or_b32 v1, v4, s54, v1
	v_lshl_or_b32 v59, v0, 7, v1
.LBB257_214:                            ;   in Loop: Header=BB257_13 Depth=1
	s_or_b64 exec, exec, s[44:45]
.LBB257_215:                            ;   in Loop: Header=BB257_13 Depth=1
	s_or_b64 exec, exec, s[42:43]
.LBB257_216:                            ;   in Loop: Header=BB257_13 Depth=1
	s_or_b64 exec, exec, s[40:41]
	v_lshrrev_b16_e32 v1, 8, v9
	v_cmp_ne_u16_e64 s[4:5], 0, v1
	s_and_saveexec_b64 s[40:41], s[4:5]
	s_cbranch_execz .LBB257_222
; %bb.217:                              ;   in Loop: Header=BB257_13 Depth=1
	v_cmp_ne_u16_e64 s[4:5], s52, v1
	v_bfrev_b32_e32 v58, 1
	s_and_saveexec_b64 s[42:43], s[4:5]
	s_cbranch_execz .LBB257_221
; %bb.218:                              ;   in Loop: Header=BB257_13 Depth=1
	v_and_b32_e32 v0, 0x7f, v1
	v_cmp_ne_u32_e64 s[4:5], s53, v0
	v_mov_b32_e32 v58, 0x7c010000
	s_and_saveexec_b64 s[44:45], s[4:5]
	s_cbranch_execz .LBB257_220
; %bb.219:                              ;   in Loop: Header=BB257_13 Depth=1
	v_and_b32_e32 v10, 7, v1
	v_lshrrev_b32_e32 v12, 3, v0
	v_cmp_gt_u32_e64 s[4:5], 8, v0
	v_ffbh_u32_e32 v0, v10
	v_min_u32_e32 v0, 32, v0
	v_subrev_u32_e32 v3, 28, v0
	v_lshlrev_b64 v[3:4], v3, v[1:2]
	v_sub_u32_e32 v0, 29, v0
	v_cndmask_b32_e64 v0, v12, v0, s[4:5]
	v_mov_b32_e32 v4, 0x2000
	v_lshlrev_b32_e32 v1, 8, v1
	v_lshl_add_u32 v0, v0, 10, v4
	v_and_b32_e32 v3, 7, v3
	v_and_or_b32 v0, v1, s54, v0
	v_cndmask_b32_e64 v3, v10, v3, s[4:5]
	v_lshlrev_b32_e32 v0, 16, v0
	v_lshl_or_b32 v58, v3, 23, v0
.LBB257_220:                            ;   in Loop: Header=BB257_13 Depth=1
	s_or_b64 exec, exec, s[44:45]
.LBB257_221:                            ;   in Loop: Header=BB257_13 Depth=1
	s_or_b64 exec, exec, s[42:43]
.LBB257_222:                            ;   in Loop: Header=BB257_13 Depth=1
	s_or_b64 exec, exec, s[40:41]
	v_lshrrev_b32_e32 v1, 16, v9
	v_cmp_ne_u16_sdwa s[4:5], v1, v2 src0_sel:BYTE_0 src1_sel:DWORD
	v_mov_b32_e32 v60, 0
	v_mov_b32_e32 v61, 0
	s_and_saveexec_b64 s[40:41], s[4:5]
	s_cbranch_execz .LBB257_228
; %bb.223:                              ;   in Loop: Header=BB257_13 Depth=1
	v_cmp_ne_u16_sdwa s[4:5], v1, s52 src0_sel:BYTE_0 src1_sel:DWORD
	v_mov_b32_e32 v61, 0x8000
	s_and_saveexec_b64 s[42:43], s[4:5]
	s_cbranch_execz .LBB257_227
; %bb.224:                              ;   in Loop: Header=BB257_13 Depth=1
	v_bfe_u32 v0, v9, 16, 7
	v_cmp_ne_u32_e64 s[4:5], s53, v0
	v_mov_b32_e32 v61, 0x7c01
	s_and_saveexec_b64 s[44:45], s[4:5]
	s_cbranch_execz .LBB257_226
; %bb.225:                              ;   in Loop: Header=BB257_13 Depth=1
	v_and_b32_e32 v10, 7, v1
	v_lshrrev_b32_e32 v12, 3, v0
	v_cmp_gt_u32_e64 s[4:5], 8, v0
	v_ffbh_u32_e32 v0, v10
	v_min_u32_e32 v0, 32, v0
	v_subrev_u32_e32 v3, 28, v0
	v_lshlrev_b64 v[3:4], v3, v[1:2]
	v_sub_u32_e32 v0, 29, v0
	v_cndmask_b32_e64 v0, v12, v0, s[4:5]
	v_mov_b32_e32 v4, 0x2000
	v_lshl_add_u32 v0, v0, 10, v4
	v_lshlrev_b32_e32 v1, 8, v1
	v_and_b32_e32 v3, 7, v3
	v_and_b32_e32 v0, 0xfc00, v0
	v_cndmask_b32_e64 v3, v10, v3, s[4:5]
	v_and_or_b32 v0, v1, s54, v0
	v_lshl_or_b32 v61, v3, 7, v0
.LBB257_226:                            ;   in Loop: Header=BB257_13 Depth=1
	s_or_b64 exec, exec, s[44:45]
.LBB257_227:                            ;   in Loop: Header=BB257_13 Depth=1
	s_or_b64 exec, exec, s[42:43]
.LBB257_228:                            ;   in Loop: Header=BB257_13 Depth=1
	s_or_b64 exec, exec, s[40:41]
	v_cmp_lt_u32_e64 s[4:5], s55, v9
	s_and_saveexec_b64 s[40:41], s[4:5]
	s_cbranch_execz .LBB257_234
; %bb.229:                              ;   in Loop: Header=BB257_13 Depth=1
	v_lshrrev_b32_e32 v1, 24, v9
	v_cmp_ne_u32_e64 s[4:5], s52, v1
	v_bfrev_b32_e32 v60, 1
	s_and_saveexec_b64 s[42:43], s[4:5]
	s_cbranch_execz .LBB257_233
; %bb.230:                              ;   in Loop: Header=BB257_13 Depth=1
	v_and_b32_e32 v0, 0x7f, v1
	v_cmp_ne_u32_e64 s[4:5], s53, v0
	v_mov_b32_e32 v60, 0x7c010000
	s_and_saveexec_b64 s[44:45], s[4:5]
	s_cbranch_execz .LBB257_232
; %bb.231:                              ;   in Loop: Header=BB257_13 Depth=1
	v_and_b32_e32 v9, 7, v1
	v_lshrrev_b32_e32 v10, 3, v0
	v_cmp_gt_u32_e64 s[4:5], 8, v0
	v_ffbh_u32_e32 v0, v9
	v_min_u32_e32 v0, 32, v0
	v_subrev_u32_e32 v3, 28, v0
	v_lshlrev_b64 v[3:4], v3, v[1:2]
	v_sub_u32_e32 v0, 29, v0
	v_cndmask_b32_e64 v0, v10, v0, s[4:5]
	v_mov_b32_e32 v4, 0x2000
	v_lshlrev_b32_e32 v1, 8, v1
	v_lshl_add_u32 v0, v0, 10, v4
	v_and_b32_e32 v3, 7, v3
	v_and_or_b32 v0, v1, s54, v0
	v_cndmask_b32_e64 v3, v9, v3, s[4:5]
	v_lshlrev_b32_e32 v0, 16, v0
	v_lshl_or_b32 v60, v3, 23, v0
.LBB257_232:                            ;   in Loop: Header=BB257_13 Depth=1
	s_or_b64 exec, exec, s[44:45]
.LBB257_233:                            ;   in Loop: Header=BB257_13 Depth=1
	s_or_b64 exec, exec, s[42:43]
.LBB257_234:                            ;   in Loop: Header=BB257_13 Depth=1
	s_or_b64 exec, exec, s[40:41]
	global_load_dword v9, v[7:8], off offset:2056
	v_mov_b32_e32 v62, 0
	v_mov_b32_e32 v63, 0
	s_waitcnt vmcnt(0)
	v_cmp_ne_u16_sdwa s[4:5], v9, v2 src0_sel:BYTE_0 src1_sel:DWORD
	s_and_saveexec_b64 s[40:41], s[4:5]
	s_cbranch_execz .LBB257_240
; %bb.235:                              ;   in Loop: Header=BB257_13 Depth=1
	v_cmp_ne_u16_sdwa s[4:5], v9, s52 src0_sel:BYTE_0 src1_sel:DWORD
	v_mov_b32_e32 v63, 0x8000
	s_and_saveexec_b64 s[42:43], s[4:5]
	s_cbranch_execz .LBB257_239
; %bb.236:                              ;   in Loop: Header=BB257_13 Depth=1
	v_and_b32_e32 v0, 0x7f, v9
	v_cmp_ne_u32_e64 s[4:5], s53, v0
	v_mov_b32_e32 v63, 0x7c01
	s_and_saveexec_b64 s[44:45], s[4:5]
	s_cbranch_execz .LBB257_238
; %bb.237:                              ;   in Loop: Header=BB257_13 Depth=1
	v_and_b32_e32 v3, 7, v9
	v_lshrrev_b32_e32 v4, 3, v0
	v_cmp_gt_u32_e64 s[4:5], 8, v0
	v_ffbh_u32_e32 v0, v3
	v_min_u32_e32 v10, 32, v0
	v_subrev_u32_e32 v0, 28, v10
	v_lshlrev_b64 v[0:1], v0, v[9:10]
	v_sub_u32_e32 v1, 29, v10
	v_cndmask_b32_e64 v1, v4, v1, s[4:5]
	v_mov_b32_e32 v10, 0x2000
	v_lshl_add_u32 v1, v1, 10, v10
	v_lshlrev_b32_e32 v4, 8, v9
	v_and_b32_e32 v0, 7, v0
	v_and_b32_e32 v1, 0xfc00, v1
	v_cndmask_b32_e64 v0, v3, v0, s[4:5]
	v_and_or_b32 v1, v4, s54, v1
	v_lshl_or_b32 v63, v0, 7, v1
.LBB257_238:                            ;   in Loop: Header=BB257_13 Depth=1
	s_or_b64 exec, exec, s[44:45]
.LBB257_239:                            ;   in Loop: Header=BB257_13 Depth=1
	s_or_b64 exec, exec, s[42:43]
.LBB257_240:                            ;   in Loop: Header=BB257_13 Depth=1
	s_or_b64 exec, exec, s[40:41]
	v_lshrrev_b16_e32 v1, 8, v9
	v_cmp_ne_u16_e64 s[4:5], 0, v1
	s_and_saveexec_b64 s[40:41], s[4:5]
	s_cbranch_execz .LBB257_246
; %bb.241:                              ;   in Loop: Header=BB257_13 Depth=1
	v_cmp_ne_u16_e64 s[4:5], s52, v1
	v_bfrev_b32_e32 v62, 1
	s_and_saveexec_b64 s[42:43], s[4:5]
	s_cbranch_execz .LBB257_245
; %bb.242:                              ;   in Loop: Header=BB257_13 Depth=1
	v_and_b32_e32 v0, 0x7f, v1
	v_cmp_ne_u32_e64 s[4:5], s53, v0
	v_mov_b32_e32 v62, 0x7c010000
	s_and_saveexec_b64 s[44:45], s[4:5]
	s_cbranch_execz .LBB257_244
; %bb.243:                              ;   in Loop: Header=BB257_13 Depth=1
	v_and_b32_e32 v10, 7, v1
	v_lshrrev_b32_e32 v12, 3, v0
	v_cmp_gt_u32_e64 s[4:5], 8, v0
	v_ffbh_u32_e32 v0, v10
	v_min_u32_e32 v0, 32, v0
	v_subrev_u32_e32 v3, 28, v0
	v_lshlrev_b64 v[3:4], v3, v[1:2]
	v_sub_u32_e32 v0, 29, v0
	v_cndmask_b32_e64 v0, v12, v0, s[4:5]
	v_mov_b32_e32 v4, 0x2000
	v_lshlrev_b32_e32 v1, 8, v1
	v_lshl_add_u32 v0, v0, 10, v4
	v_and_b32_e32 v3, 7, v3
	v_and_or_b32 v0, v1, s54, v0
	v_cndmask_b32_e64 v3, v10, v3, s[4:5]
	v_lshlrev_b32_e32 v0, 16, v0
	v_lshl_or_b32 v62, v3, 23, v0
.LBB257_244:                            ;   in Loop: Header=BB257_13 Depth=1
	s_or_b64 exec, exec, s[44:45]
.LBB257_245:                            ;   in Loop: Header=BB257_13 Depth=1
	s_or_b64 exec, exec, s[42:43]
.LBB257_246:                            ;   in Loop: Header=BB257_13 Depth=1
	s_or_b64 exec, exec, s[40:41]
	v_lshrrev_b32_e32 v1, 16, v9
	v_cmp_ne_u16_sdwa s[4:5], v1, v2 src0_sel:BYTE_0 src1_sel:DWORD
	v_mov_b32_e32 v13, 0
	v_mov_b32_e32 v10, 0
	s_and_saveexec_b64 s[40:41], s[4:5]
	s_cbranch_execz .LBB257_252
; %bb.247:                              ;   in Loop: Header=BB257_13 Depth=1
	v_cmp_ne_u16_sdwa s[4:5], v1, s52 src0_sel:BYTE_0 src1_sel:DWORD
	v_mov_b32_e32 v10, 0x8000
	s_and_saveexec_b64 s[42:43], s[4:5]
	s_cbranch_execz .LBB257_251
; %bb.248:                              ;   in Loop: Header=BB257_13 Depth=1
	v_bfe_u32 v0, v9, 16, 7
	v_cmp_ne_u32_e64 s[4:5], s53, v0
	v_mov_b32_e32 v10, 0x7c01
	s_and_saveexec_b64 s[44:45], s[4:5]
	s_cbranch_execz .LBB257_250
; %bb.249:                              ;   in Loop: Header=BB257_13 Depth=1
	v_and_b32_e32 v10, 7, v1
	v_lshrrev_b32_e32 v12, 3, v0
	v_cmp_gt_u32_e64 s[4:5], 8, v0
	v_ffbh_u32_e32 v0, v10
	v_min_u32_e32 v0, 32, v0
	v_subrev_u32_e32 v3, 28, v0
	v_lshlrev_b64 v[3:4], v3, v[1:2]
	v_sub_u32_e32 v0, 29, v0
	v_cndmask_b32_e64 v0, v12, v0, s[4:5]
	v_mov_b32_e32 v4, 0x2000
	v_lshl_add_u32 v0, v0, 10, v4
	v_lshlrev_b32_e32 v1, 8, v1
	v_and_b32_e32 v3, 7, v3
	v_and_b32_e32 v0, 0xfc00, v0
	v_cndmask_b32_e64 v3, v10, v3, s[4:5]
	v_and_or_b32 v0, v1, s54, v0
	v_lshl_or_b32 v10, v3, 7, v0
.LBB257_250:                            ;   in Loop: Header=BB257_13 Depth=1
	s_or_b64 exec, exec, s[44:45]
.LBB257_251:                            ;   in Loop: Header=BB257_13 Depth=1
	s_or_b64 exec, exec, s[42:43]
.LBB257_252:                            ;   in Loop: Header=BB257_13 Depth=1
	s_or_b64 exec, exec, s[40:41]
	v_cmp_lt_u32_e64 s[4:5], s55, v9
	s_and_saveexec_b64 s[40:41], s[4:5]
	s_cbranch_execz .LBB257_258
; %bb.253:                              ;   in Loop: Header=BB257_13 Depth=1
	v_lshrrev_b32_e32 v1, 24, v9
	v_cmp_ne_u32_e64 s[4:5], s52, v1
	v_bfrev_b32_e32 v13, 1
	s_and_saveexec_b64 s[42:43], s[4:5]
	s_cbranch_execz .LBB257_257
; %bb.254:                              ;   in Loop: Header=BB257_13 Depth=1
	v_and_b32_e32 v0, 0x7f, v1
	v_cmp_ne_u32_e64 s[4:5], s53, v0
	v_mov_b32_e32 v13, 0x7c010000
	s_and_saveexec_b64 s[44:45], s[4:5]
	s_cbranch_execz .LBB257_256
; %bb.255:                              ;   in Loop: Header=BB257_13 Depth=1
	v_and_b32_e32 v9, 7, v1
	v_lshrrev_b32_e32 v12, 3, v0
	v_cmp_gt_u32_e64 s[4:5], 8, v0
	v_ffbh_u32_e32 v0, v9
	v_min_u32_e32 v0, 32, v0
	v_subrev_u32_e32 v3, 28, v0
	v_lshlrev_b64 v[3:4], v3, v[1:2]
	v_sub_u32_e32 v0, 29, v0
	v_cndmask_b32_e64 v0, v12, v0, s[4:5]
	v_mov_b32_e32 v4, 0x2000
	v_lshlrev_b32_e32 v1, 8, v1
	v_lshl_add_u32 v0, v0, 10, v4
	v_and_b32_e32 v3, 7, v3
	v_and_or_b32 v0, v1, s54, v0
	v_cndmask_b32_e64 v3, v9, v3, s[4:5]
	v_lshlrev_b32_e32 v0, 16, v0
	v_lshl_or_b32 v13, v3, 23, v0
.LBB257_256:                            ;   in Loop: Header=BB257_13 Depth=1
	s_or_b64 exec, exec, s[44:45]
.LBB257_257:                            ;   in Loop: Header=BB257_13 Depth=1
	s_or_b64 exec, exec, s[42:43]
.LBB257_258:                            ;   in Loop: Header=BB257_13 Depth=1
	s_or_b64 exec, exec, s[40:41]
	global_load_dword v9, v[7:8], off offset:2560
	v_mov_b32_e32 v14, 0
	v_mov_b32_e32 v15, 0
	s_waitcnt vmcnt(0)
	v_cmp_ne_u16_sdwa s[4:5], v9, v2 src0_sel:BYTE_0 src1_sel:DWORD
	s_and_saveexec_b64 s[40:41], s[4:5]
	s_cbranch_execz .LBB257_264
; %bb.259:                              ;   in Loop: Header=BB257_13 Depth=1
	v_cmp_ne_u16_sdwa s[4:5], v9, s52 src0_sel:BYTE_0 src1_sel:DWORD
	v_mov_b32_e32 v15, 0x8000
	s_and_saveexec_b64 s[42:43], s[4:5]
	s_cbranch_execz .LBB257_263
; %bb.260:                              ;   in Loop: Header=BB257_13 Depth=1
	v_and_b32_e32 v0, 0x7f, v9
	v_cmp_ne_u32_e64 s[4:5], s53, v0
	v_mov_b32_e32 v15, 0x7c01
	s_and_saveexec_b64 s[44:45], s[4:5]
	s_cbranch_execz .LBB257_262
; %bb.261:                              ;   in Loop: Header=BB257_13 Depth=1
	v_and_b32_e32 v3, 7, v9
	v_lshrrev_b32_e32 v4, 3, v0
	v_cmp_gt_u32_e64 s[4:5], 8, v0
	v_ffbh_u32_e32 v0, v3
	v_min_u32_e32 v12, 32, v0
	v_subrev_u32_e32 v0, 28, v12
	v_lshlrev_b64 v[0:1], v0, v[9:10]
	v_sub_u32_e32 v1, 29, v12
	v_cndmask_b32_e64 v1, v4, v1, s[4:5]
	v_mov_b32_e32 v12, 0x2000
	v_lshl_add_u32 v1, v1, 10, v12
	v_lshlrev_b32_e32 v4, 8, v9
	v_and_b32_e32 v0, 7, v0
	v_and_b32_e32 v1, 0xfc00, v1
	v_cndmask_b32_e64 v0, v3, v0, s[4:5]
	v_and_or_b32 v1, v4, s54, v1
	v_lshl_or_b32 v15, v0, 7, v1
.LBB257_262:                            ;   in Loop: Header=BB257_13 Depth=1
	s_or_b64 exec, exec, s[44:45]
.LBB257_263:                            ;   in Loop: Header=BB257_13 Depth=1
	s_or_b64 exec, exec, s[42:43]
.LBB257_264:                            ;   in Loop: Header=BB257_13 Depth=1
	s_or_b64 exec, exec, s[40:41]
	v_lshrrev_b16_e32 v1, 8, v9
	v_cmp_ne_u16_e64 s[4:5], 0, v1
	s_and_saveexec_b64 s[40:41], s[4:5]
	s_cbranch_execz .LBB257_270
; %bb.265:                              ;   in Loop: Header=BB257_13 Depth=1
	v_cmp_ne_u16_e64 s[4:5], s52, v1
	v_bfrev_b32_e32 v14, 1
	s_and_saveexec_b64 s[42:43], s[4:5]
	s_cbranch_execz .LBB257_269
; %bb.266:                              ;   in Loop: Header=BB257_13 Depth=1
	v_and_b32_e32 v0, 0x7f, v1
	v_cmp_ne_u32_e64 s[4:5], s53, v0
	v_mov_b32_e32 v14, 0x7c010000
	s_and_saveexec_b64 s[44:45], s[4:5]
	s_cbranch_execz .LBB257_268
; %bb.267:                              ;   in Loop: Header=BB257_13 Depth=1
	v_and_b32_e32 v12, 7, v1
	v_lshrrev_b32_e32 v14, 3, v0
	v_cmp_gt_u32_e64 s[4:5], 8, v0
	v_ffbh_u32_e32 v0, v12
	v_min_u32_e32 v0, 32, v0
	v_subrev_u32_e32 v3, 28, v0
	v_lshlrev_b64 v[3:4], v3, v[1:2]
	v_sub_u32_e32 v0, 29, v0
	v_cndmask_b32_e64 v0, v14, v0, s[4:5]
	v_mov_b32_e32 v4, 0x2000
	v_lshlrev_b32_e32 v1, 8, v1
	v_lshl_add_u32 v0, v0, 10, v4
	v_and_b32_e32 v3, 7, v3
	v_and_or_b32 v0, v1, s54, v0
	v_cndmask_b32_e64 v3, v12, v3, s[4:5]
	v_lshlrev_b32_e32 v0, 16, v0
	v_lshl_or_b32 v14, v3, 23, v0
.LBB257_268:                            ;   in Loop: Header=BB257_13 Depth=1
	s_or_b64 exec, exec, s[44:45]
.LBB257_269:                            ;   in Loop: Header=BB257_13 Depth=1
	s_or_b64 exec, exec, s[42:43]
.LBB257_270:                            ;   in Loop: Header=BB257_13 Depth=1
	s_or_b64 exec, exec, s[40:41]
	v_lshrrev_b32_e32 v1, 16, v9
	v_cmp_ne_u16_sdwa s[4:5], v1, v2 src0_sel:BYTE_0 src1_sel:DWORD
	v_mov_b32_e32 v4, 0
	v_mov_b32_e32 v23, 0
	s_and_saveexec_b64 s[40:41], s[4:5]
	s_cbranch_execz .LBB257_276
; %bb.271:                              ;   in Loop: Header=BB257_13 Depth=1
	v_cmp_ne_u16_sdwa s[4:5], v1, s52 src0_sel:BYTE_0 src1_sel:DWORD
	v_mov_b32_e32 v23, 0x8000
	s_and_saveexec_b64 s[42:43], s[4:5]
	s_cbranch_execz .LBB257_275
; %bb.272:                              ;   in Loop: Header=BB257_13 Depth=1
	v_bfe_u32 v0, v9, 16, 7
	v_cmp_ne_u32_e64 s[4:5], s53, v0
	v_mov_b32_e32 v23, 0x7c01
	s_and_saveexec_b64 s[44:45], s[4:5]
	s_cbranch_execz .LBB257_274
; %bb.273:                              ;   in Loop: Header=BB257_13 Depth=1
	v_and_b32_e32 v3, 7, v1
	v_lshrrev_b32_e32 v12, 3, v0
	v_cmp_gt_u32_e64 s[4:5], 8, v0
	v_ffbh_u32_e32 v0, v3
	v_min_u32_e32 v0, 32, v0
	v_subrev_u32_e32 v17, 28, v0
	v_sub_u32_e32 v0, 29, v0
	v_lshlrev_b64 v[17:18], v17, v[1:2]
	v_cndmask_b32_e64 v0, v12, v0, s[4:5]
	v_mov_b32_e32 v12, 0x2000
	v_lshl_add_u32 v0, v0, 10, v12
	v_lshlrev_b32_e32 v1, 8, v1
	v_and_b32_e32 v12, 7, v17
	v_and_b32_e32 v0, 0xfc00, v0
	v_cndmask_b32_e64 v3, v3, v12, s[4:5]
	v_and_or_b32 v0, v1, s54, v0
	v_lshl_or_b32 v23, v3, 7, v0
.LBB257_274:                            ;   in Loop: Header=BB257_13 Depth=1
	s_or_b64 exec, exec, s[44:45]
.LBB257_275:                            ;   in Loop: Header=BB257_13 Depth=1
	s_or_b64 exec, exec, s[42:43]
.LBB257_276:                            ;   in Loop: Header=BB257_13 Depth=1
	s_or_b64 exec, exec, s[40:41]
	v_cmp_lt_u32_e64 s[4:5], s55, v9
	s_and_saveexec_b64 s[40:41], s[4:5]
	s_cbranch_execz .LBB257_282
; %bb.277:                              ;   in Loop: Header=BB257_13 Depth=1
	v_lshrrev_b32_e32 v1, 24, v9
	v_cmp_ne_u32_e64 s[4:5], s52, v1
	v_bfrev_b32_e32 v4, 1
	s_and_saveexec_b64 s[42:43], s[4:5]
	s_cbranch_execz .LBB257_281
; %bb.278:                              ;   in Loop: Header=BB257_13 Depth=1
	v_and_b32_e32 v0, 0x7f, v1
	v_cmp_ne_u32_e64 s[4:5], s53, v0
	v_mov_b32_e32 v4, 0x7c010000
	s_and_saveexec_b64 s[44:45], s[4:5]
	s_cbranch_execz .LBB257_280
; %bb.279:                              ;   in Loop: Header=BB257_13 Depth=1
	v_and_b32_e32 v9, 7, v1
	v_lshrrev_b32_e32 v12, 3, v0
	v_cmp_gt_u32_e64 s[4:5], 8, v0
	v_ffbh_u32_e32 v0, v9
	v_min_u32_e32 v0, 32, v0
	v_subrev_u32_e32 v3, 28, v0
	v_lshlrev_b64 v[3:4], v3, v[1:2]
	v_sub_u32_e32 v0, 29, v0
	v_cndmask_b32_e64 v0, v12, v0, s[4:5]
	v_mov_b32_e32 v4, 0x2000
	v_lshlrev_b32_e32 v1, 8, v1
	v_lshl_add_u32 v0, v0, 10, v4
	v_and_b32_e32 v3, 7, v3
	v_and_or_b32 v0, v1, s54, v0
	v_cndmask_b32_e64 v3, v9, v3, s[4:5]
	v_lshlrev_b32_e32 v0, 16, v0
	v_lshl_or_b32 v4, v3, 23, v0
.LBB257_280:                            ;   in Loop: Header=BB257_13 Depth=1
	s_or_b64 exec, exec, s[44:45]
.LBB257_281:                            ;   in Loop: Header=BB257_13 Depth=1
	s_or_b64 exec, exec, s[42:43]
.LBB257_282:                            ;   in Loop: Header=BB257_13 Depth=1
	s_or_b64 exec, exec, s[40:41]
	global_load_dword v7, v[7:8], off offset:2568
	v_mov_b32_e32 v20, 0
	v_mov_b32_e32 v3, 0
	s_waitcnt vmcnt(0)
	v_cmp_ne_u16_sdwa s[4:5], v7, v2 src0_sel:BYTE_0 src1_sel:DWORD
	s_and_saveexec_b64 s[40:41], s[4:5]
	s_cbranch_execz .LBB257_288
; %bb.283:                              ;   in Loop: Header=BB257_13 Depth=1
	v_cmp_ne_u16_sdwa s[4:5], v7, s52 src0_sel:BYTE_0 src1_sel:DWORD
	v_mov_b32_e32 v3, 0x8000
	s_and_saveexec_b64 s[42:43], s[4:5]
	s_cbranch_execz .LBB257_287
; %bb.284:                              ;   in Loop: Header=BB257_13 Depth=1
	v_and_b32_e32 v0, 0x7f, v7
	v_cmp_ne_u32_e64 s[4:5], s53, v0
	v_mov_b32_e32 v3, 0x7c01
	s_and_saveexec_b64 s[44:45], s[4:5]
	s_cbranch_execz .LBB257_286
; %bb.285:                              ;   in Loop: Header=BB257_13 Depth=1
	v_and_b32_e32 v3, 7, v7
	v_lshrrev_b32_e32 v8, 3, v0
	v_cmp_gt_u32_e64 s[4:5], 8, v0
	v_ffbh_u32_e32 v0, v3
	v_min_u32_e32 v9, 32, v0
	v_subrev_u32_e32 v0, 28, v9
	v_lshlrev_b64 v[0:1], v0, v[7:8]
	v_sub_u32_e32 v1, 29, v9
	v_cndmask_b32_e64 v1, v8, v1, s[4:5]
	v_mov_b32_e32 v9, 0x2000
	v_lshl_add_u32 v1, v1, 10, v9
	v_lshlrev_b32_e32 v8, 8, v7
	v_and_b32_e32 v0, 7, v0
	v_and_b32_e32 v1, 0xfc00, v1
	v_cndmask_b32_e64 v0, v3, v0, s[4:5]
	v_and_or_b32 v1, v8, s54, v1
	v_lshl_or_b32 v3, v0, 7, v1
.LBB257_286:                            ;   in Loop: Header=BB257_13 Depth=1
	s_or_b64 exec, exec, s[44:45]
.LBB257_287:                            ;   in Loop: Header=BB257_13 Depth=1
	s_or_b64 exec, exec, s[42:43]
.LBB257_288:                            ;   in Loop: Header=BB257_13 Depth=1
	s_or_b64 exec, exec, s[40:41]
	v_lshrrev_b16_e32 v1, 8, v7
	v_cmp_ne_u16_e64 s[4:5], 0, v1
	s_and_saveexec_b64 s[40:41], s[4:5]
	s_cbranch_execz .LBB257_294
; %bb.289:                              ;   in Loop: Header=BB257_13 Depth=1
	v_cmp_ne_u16_e64 s[4:5], s52, v1
	v_bfrev_b32_e32 v20, 1
	s_and_saveexec_b64 s[42:43], s[4:5]
	s_cbranch_execz .LBB257_293
; %bb.290:                              ;   in Loop: Header=BB257_13 Depth=1
	v_and_b32_e32 v0, 0x7f, v1
	v_cmp_ne_u32_e64 s[4:5], s53, v0
	v_mov_b32_e32 v20, 0x7c010000
	s_and_saveexec_b64 s[44:45], s[4:5]
	s_cbranch_execz .LBB257_292
; %bb.291:                              ;   in Loop: Header=BB257_13 Depth=1
	v_and_b32_e32 v12, 7, v1
	v_lshrrev_b32_e32 v17, 3, v0
	v_cmp_gt_u32_e64 s[4:5], 8, v0
	v_ffbh_u32_e32 v0, v12
	v_min_u32_e32 v0, 32, v0
	v_subrev_u32_e32 v8, 28, v0
	v_lshlrev_b64 v[8:9], v8, v[1:2]
	v_sub_u32_e32 v0, 29, v0
	v_cndmask_b32_e64 v0, v17, v0, s[4:5]
	v_mov_b32_e32 v9, 0x2000
	v_lshlrev_b32_e32 v1, 8, v1
	v_lshl_add_u32 v0, v0, 10, v9
	v_and_b32_e32 v8, 7, v8
	v_and_or_b32 v0, v1, s54, v0
	v_cndmask_b32_e64 v8, v12, v8, s[4:5]
	v_lshlrev_b32_e32 v0, 16, v0
	v_lshl_or_b32 v20, v8, 23, v0
.LBB257_292:                            ;   in Loop: Header=BB257_13 Depth=1
	s_or_b64 exec, exec, s[44:45]
.LBB257_293:                            ;   in Loop: Header=BB257_13 Depth=1
	s_or_b64 exec, exec, s[42:43]
.LBB257_294:                            ;   in Loop: Header=BB257_13 Depth=1
	s_or_b64 exec, exec, s[40:41]
	v_lshrrev_b32_e32 v1, 16, v7
	v_cmp_ne_u16_sdwa s[4:5], v1, v2 src0_sel:BYTE_0 src1_sel:DWORD
	v_mov_b32_e32 v0, 0
	v_mov_b32_e32 v18, 0
	s_and_saveexec_b64 s[40:41], s[4:5]
	s_cbranch_execz .LBB257_300
; %bb.295:                              ;   in Loop: Header=BB257_13 Depth=1
	v_cmp_ne_u16_sdwa s[4:5], v1, s52 src0_sel:BYTE_0 src1_sel:DWORD
	v_mov_b32_e32 v18, 0x8000
	s_and_saveexec_b64 s[42:43], s[4:5]
	s_cbranch_execz .LBB257_299
; %bb.296:                              ;   in Loop: Header=BB257_13 Depth=1
	v_bfe_u32 v8, v7, 16, 7
	v_cmp_ne_u32_e64 s[4:5], s53, v8
	v_mov_b32_e32 v18, 0x7c01
	s_and_saveexec_b64 s[44:45], s[4:5]
	s_cbranch_execz .LBB257_298
; %bb.297:                              ;   in Loop: Header=BB257_13 Depth=1
	v_and_b32_e32 v12, 7, v1
	v_lshrrev_b32_e32 v17, 3, v8
	v_cmp_gt_u32_e64 s[4:5], 8, v8
	v_ffbh_u32_e32 v8, v12
	v_min_u32_e32 v18, 32, v8
	v_subrev_u32_e32 v8, 28, v18
	v_lshlrev_b64 v[8:9], v8, v[1:2]
	v_sub_u32_e32 v9, 29, v18
	v_cndmask_b32_e64 v9, v17, v9, s[4:5]
	v_mov_b32_e32 v16, 0x2000
	v_lshl_add_u32 v9, v9, 10, v16
	v_lshlrev_b32_e32 v1, 8, v1
	v_and_b32_e32 v8, 7, v8
	v_and_b32_e32 v9, 0xfc00, v9
	v_cndmask_b32_e64 v8, v12, v8, s[4:5]
	v_and_or_b32 v1, v1, s54, v9
	v_lshl_or_b32 v18, v8, 7, v1
.LBB257_298:                            ;   in Loop: Header=BB257_13 Depth=1
	s_or_b64 exec, exec, s[44:45]
.LBB257_299:                            ;   in Loop: Header=BB257_13 Depth=1
	s_or_b64 exec, exec, s[42:43]
.LBB257_300:                            ;   in Loop: Header=BB257_13 Depth=1
	s_or_b64 exec, exec, s[40:41]
	v_cmp_lt_u32_e64 s[4:5], s55, v7
	s_and_saveexec_b64 s[40:41], s[4:5]
	s_cbranch_execz .LBB257_306
; %bb.301:                              ;   in Loop: Header=BB257_13 Depth=1
	v_lshrrev_b32_e32 v1, 24, v7
	v_cmp_ne_u32_e64 s[4:5], s52, v1
	v_bfrev_b32_e32 v0, 1
	s_and_saveexec_b64 s[42:43], s[4:5]
	s_cbranch_execz .LBB257_305
; %bb.302:                              ;   in Loop: Header=BB257_13 Depth=1
	v_and_b32_e32 v7, 0x7f, v1
	v_cmp_ne_u32_e64 s[4:5], s53, v7
	v_mov_b32_e32 v0, 0x7c010000
	s_and_saveexec_b64 s[44:45], s[4:5]
	s_cbranch_execz .LBB257_304
; %bb.303:                              ;   in Loop: Header=BB257_13 Depth=1
	v_and_b32_e32 v0, 7, v1
	v_lshrrev_b32_e32 v9, 3, v7
	v_cmp_gt_u32_e64 s[4:5], 8, v7
	v_ffbh_u32_e32 v7, v0
	v_min_u32_e32 v12, 32, v7
	v_subrev_u32_e32 v7, 28, v12
	v_lshlrev_b64 v[7:8], v7, v[1:2]
	v_sub_u32_e32 v8, 29, v12
	v_cndmask_b32_e64 v8, v9, v8, s[4:5]
	v_mov_b32_e32 v9, 0x2000
	v_lshlrev_b32_e32 v1, 8, v1
	v_lshl_add_u32 v8, v8, 10, v9
	v_and_b32_e32 v7, 7, v7
	v_and_or_b32 v1, v1, s54, v8
	v_cndmask_b32_e64 v0, v0, v7, s[4:5]
	v_lshlrev_b32_e32 v1, 16, v1
	v_lshl_or_b32 v0, v0, 23, v1
.LBB257_304:                            ;   in Loop: Header=BB257_13 Depth=1
	s_or_b64 exec, exec, s[44:45]
.LBB257_305:                            ;   in Loop: Header=BB257_13 Depth=1
	s_or_b64 exec, exec, s[42:43]
.LBB257_306:                            ;   in Loop: Header=BB257_13 Depth=1
	s_or_b64 exec, exec, s[40:41]
	v_or_b32_e32 v1, v14, v15
	v_fma_mixlo_f16 v9, v25, v1, 0 op_sel_hi:[0,1,0]
	v_or_b32_e32 v1, v4, v23
	v_fma_mixlo_f16 v7, v25, v1, 0 op_sel_hi:[0,1,0]
	v_fma_mixlo_f16 v1, v25, v4, 0 op_sel:[0,1,0] op_sel_hi:[0,1,0]
	buffer_store_dword v1, off, s[56:59], 0 offset:8 ; 4-byte Folded Spill
	buffer_load_dword v1, off, s[56:59], 0 offset:16 ; 4-byte Folded Reload
	v_or_b32_e32 v4, v62, v63
	v_fma_mixlo_f16 v8, v25, v14, 0 op_sel:[0,1,0] op_sel_hi:[0,1,0]
	v_fma_mixlo_f16 v14, v25, v4, 0 op_sel_hi:[0,1,0]
	v_or_b32_e32 v4, v13, v10
	v_fma_mixlo_f16 v63, v25, v62, 0 op_sel:[0,1,0] op_sel_hi:[0,1,0]
	v_fma_mixlo_f16 v62, v25, v4, 0 op_sel_hi:[0,1,0]
	v_or_b32_e32 v4, v58, v59
	v_fma_mixlo_f16 v15, v25, v4, 0 op_sel_hi:[0,1,0]
	v_or_b32_e32 v4, v60, v61
	v_fma_mixlo_f16 v59, v25, v58, 0 op_sel:[0,1,0] op_sel_hi:[0,1,0]
	v_fma_mixlo_f16 v58, v25, v4, 0 op_sel_hi:[0,1,0]
	v_or_b32_e32 v4, v54, v55
	v_fma_mixlo_f16 v61, v25, v4, 0 op_sel_hi:[0,1,0]
	v_or_b32_e32 v4, v56, v57
	;; [unrolled: 2-line block ×5, first 2 shown]
	v_or_b32_e32 v12, v42, v43
	v_fma_mixlo_f16 v10, v25, v13, 0 op_sel:[0,1,0] op_sel_hi:[0,1,0]
	v_fma_mixlo_f16 v13, v25, v60, 0 op_sel:[0,1,0] op_sel_hi:[0,1,0]
	;; [unrolled: 1-line block ×7, first 2 shown]
	v_fma_mixlo_f16 v53, v25, v4, 0 op_sel_hi:[0,1,0]
	v_or_b32_e32 v4, v48, v49
	v_fma_mixlo_f16 v46, v25, v48, 0 op_sel:[0,1,0] op_sel_hi:[0,1,0]
	v_fma_mixlo_f16 v48, v25, v12, 0 op_sel_hi:[0,1,0]
	v_or_b32_e32 v12, v44, v45
	v_fma_mixlo_f16 v43, v25, v12, 0 op_sel_hi:[0,1,0]
	v_or_b32_e32 v12, v38, v39
	v_fma_mixlo_f16 v47, v25, v4, 0 op_sel_hi:[0,1,0]
	v_fma_mixlo_f16 v4, v25, v42, 0 op_sel:[0,1,0] op_sel_hi:[0,1,0]
	v_fma_mixlo_f16 v42, v25, v44, 0 op_sel:[0,1,0] op_sel_hi:[0,1,0]
	v_fma_mixlo_f16 v44, v25, v12, 0 op_sel_hi:[0,1,0]
	v_or_b32_e32 v12, v40, v41
	v_fma_mixlo_f16 v39, v25, v38, 0 op_sel:[0,1,0] op_sel_hi:[0,1,0]
	v_fma_mixlo_f16 v38, v25, v12, 0 op_sel_hi:[0,1,0]
	v_or_b32_e32 v12, v34, v35
	v_fma_mixlo_f16 v41, v25, v12, 0 op_sel_hi:[0,1,0]
	v_or_b32_e32 v12, v36, v37
	;; [unrolled: 2-line block ×3, first 2 shown]
	v_fma_mixlo_f16 v23, v25, v40, 0 op_sel:[0,1,0] op_sel_hi:[0,1,0]
	v_fma_mixlo_f16 v40, v25, v34, 0 op_sel:[0,1,0] op_sel_hi:[0,1,0]
	;; [unrolled: 1-line block ×3, first 2 shown]
	v_fma_mixlo_f16 v36, v25, v12, 0 op_sel_hi:[0,1,0]
	v_or_b32_e32 v12, v32, v33
	v_fma_mixlo_f16 v33, v25, v12, 0 op_sel_hi:[0,1,0]
	v_or_b32_e32 v12, v26, v27
	v_fma_mixlo_f16 v17, v25, v26, 0 op_sel:[0,1,0] op_sel_hi:[0,1,0]
	v_fma_mixlo_f16 v12, v25, v12, 0 op_sel_hi:[0,1,0]
	v_or_b32_e32 v26, v11, v29
	v_fma_mixlo_f16 v29, v25, v26, 0 op_sel_hi:[0,1,0]
	v_or_b32_e32 v3, v20, v3
	v_fma_mixlo_f16 v26, v25, v20, 0 op_sel:[0,1,0] op_sel_hi:[0,1,0]
	v_and_b32_e32 v12, 0xffff, v12
	v_fma_mixlo_f16 v31, v25, v32, 0 op_sel:[0,1,0] op_sel_hi:[0,1,0]
	v_fma_mixlo_f16 v11, v25, v11, 0 op_sel:[0,1,0] op_sel_hi:[0,1,0]
	v_and_b32_e32 v11, 0xffff, v11
	v_fma_mixlo_f16 v30, v25, v30, 0 op_sel:[0,1,0] op_sel_hi:[0,1,0]
	s_waitcnt vmcnt(0)
	ds_read_b64 v[27:28], v1
	s_waitcnt lgkmcnt(0)
	v_and_b32_e32 v20, 0xffff, v27
	v_lshrrev_b32_e32 v16, 16, v27
	;;#ASMSTART
	v_cvt_f32_f16 v20, v20;
	;;#ASMEND
	;;#ASMSTART
	v_cvt_f32_f16 v32, v16;
	;;#ASMEND
	;; [unrolled: 3-line block ×3, first 2 shown]
	v_and_b32_e32 v12, 0xffff, v17
	;;#ASMSTART
	v_cvt_f32_f16 v17, v12;
	;;#ASMEND
	v_lshrrev_b32_e32 v12, 16, v28
	v_and_b32_e32 v16, 0xffff, v28
	;;#ASMSTART
	v_cvt_f32_f16 v45, v16;
	;;#ASMEND
	;;#ASMSTART
	v_cvt_f32_f16 v49, v12;
	;;#ASMEND
	v_and_b32_e32 v12, 0xffff, v29
	;;#ASMSTART
	v_cvt_f32_f16 v22, v12;
	;;#ASMEND
	;;#ASMSTART
	v_cvt_f32_f16 v16, v11;
	;;#ASMEND
	ds_read_b64 v[11:12], v1 offset:8
	v_fma_mixlo_f16 v29, v25, v3, 0 op_sel_hi:[0,1,0]
	v_or_b32_e32 v3, v0, v18
	v_fma_mixlo_f16 v27, v25, v3, 0 op_sel_hi:[0,1,0]
	v_fma_mixlo_f16 v25, v25, v0, 0 op_sel:[0,1,0] op_sel_hi:[0,1,0]
	s_waitcnt lgkmcnt(0)
	v_lshrrev_b32_e32 v3, 16, v11
	v_and_b32_e32 v0, 0xffff, v11
	v_and_b32_e32 v11, 0xffff, v36
	;;#ASMSTART
	v_cvt_f32_f16 v0, v0;
	;;#ASMEND
	;;#ASMSTART
	v_cvt_f32_f16 v3, v3;
	;;#ASMEND
	;; [unrolled: 3-line block ×3, first 2 shown]
	v_and_b32_e32 v18, 0xffff, v30
	;;#ASMSTART
	v_cvt_f32_f16 v18, v18;
	;;#ASMEND
	v_mul_f32_e32 v28, v0, v11
	v_mul_f32_e32 v30, v3, v18
	v_lshrrev_b32_e32 v3, 16, v12
	v_and_b32_e32 v0, 0xffff, v12
	v_and_b32_e32 v11, 0xffff, v33
	v_fmac_f32_e32 v30, v32, v17
	;;#ASMSTART
	v_cvt_f32_f16 v0, v0;
	;;#ASMEND
	;;#ASMSTART
	v_cvt_f32_f16 v3, v3;
	;;#ASMEND
	;; [unrolled: 3-line block ×3, first 2 shown]
	v_and_b32_e32 v11, 0xffff, v31
	;;#ASMSTART
	v_cvt_f32_f16 v18, v11;
	;;#ASMEND
	ds_read_b64 v[11:12], v1 offset:16
	v_mul_f32_e32 v31, v0, v17
	v_mul_f32_e32 v32, v3, v18
	v_fmac_f32_e32 v32, v49, v16
	v_fmac_f32_e32 v28, v20, v37
	s_waitcnt lgkmcnt(0)
	v_lshrrev_b32_e32 v3, 16, v11
	v_and_b32_e32 v0, 0xffff, v11
	v_and_b32_e32 v11, 0xffff, v41
	;;#ASMSTART
	v_cvt_f32_f16 v0, v0;
	;;#ASMEND
	;;#ASMSTART
	v_cvt_f32_f16 v3, v3;
	;;#ASMEND
	;; [unrolled: 3-line block ×3, first 2 shown]
	v_and_b32_e32 v11, 0xffff, v40
	;;#ASMSTART
	v_cvt_f32_f16 v17, v11;
	;;#ASMEND
	v_lshrrev_b32_e32 v11, 16, v12
	v_and_b32_e32 v12, 0xffff, v12
	;;#ASMSTART
	v_cvt_f32_f16 v18, v12;
	;;#ASMEND
	;;#ASMSTART
	v_cvt_f32_f16 v20, v11;
	;;#ASMEND
	v_and_b32_e32 v11, 0xffff, v35
	v_fmac_f32_e32 v31, v45, v22
	;;#ASMSTART
	v_cvt_f32_f16 v22, v11;
	;;#ASMEND
	v_and_b32_e32 v11, 0xffff, v34
	;;#ASMSTART
	v_cvt_f32_f16 v33, v11;
	;;#ASMEND
	ds_read_b64 v[11:12], v1 offset:24
	v_fmac_f32_e32 v28, v0, v16
	v_fmac_f32_e32 v30, v3, v17
	;; [unrolled: 1-line block ×4, first 2 shown]
	s_waitcnt lgkmcnt(0)
	v_lshrrev_b32_e32 v3, 16, v11
	v_and_b32_e32 v0, 0xffff, v11
	v_and_b32_e32 v11, 0xffff, v44
	;;#ASMSTART
	v_cvt_f32_f16 v0, v0;
	;;#ASMEND
	;;#ASMSTART
	v_cvt_f32_f16 v3, v3;
	;;#ASMEND
	;;#ASMSTART
	v_cvt_f32_f16 v16, v11;
	;;#ASMEND
	v_and_b32_e32 v11, 0xffff, v39
	;;#ASMSTART
	v_cvt_f32_f16 v17, v11;
	;;#ASMEND
	v_lshrrev_b32_e32 v11, 16, v12
	v_and_b32_e32 v12, 0xffff, v12
	;;#ASMSTART
	v_cvt_f32_f16 v18, v12;
	;;#ASMEND
	;;#ASMSTART
	v_cvt_f32_f16 v20, v11;
	;;#ASMEND
	v_and_b32_e32 v11, 0xffff, v38
	;;#ASMSTART
	v_cvt_f32_f16 v22, v11;
	;;#ASMEND
	v_and_b32_e32 v11, 0xffff, v23
	;;#ASMSTART
	v_cvt_f32_f16 v23, v11;
	;;#ASMEND
	ds_read_b64 v[11:12], v1 offset:32
	v_fmac_f32_e32 v28, v0, v16
	v_fmac_f32_e32 v30, v3, v17
	;; [unrolled: 1-line block ×4, first 2 shown]
	s_waitcnt lgkmcnt(0)
	v_lshrrev_b32_e32 v3, 16, v11
	v_and_b32_e32 v0, 0xffff, v11
	;;#ASMSTART
	v_cvt_f32_f16 v0, v0;
	;;#ASMEND
	;;#ASMSTART
	v_cvt_f32_f16 v11, v3;
	;;#ASMEND
	v_and_b32_e32 v3, 0xffff, v48
	;;#ASMSTART
	v_cvt_f32_f16 v16, v3;
	;;#ASMEND
	v_and_b32_e32 v3, 0xffff, v4
	;;#ASMSTART
	v_cvt_f32_f16 v17, v3;
	;;#ASMEND
	v_lshrrev_b32_e32 v3, 16, v12
	v_and_b32_e32 v4, 0xffff, v12
	;;#ASMSTART
	v_cvt_f32_f16 v12, v4;
	;;#ASMEND
	;;#ASMSTART
	v_cvt_f32_f16 v18, v3;
	;;#ASMEND
	v_and_b32_e32 v3, 0xffff, v43
	;;#ASMSTART
	v_cvt_f32_f16 v20, v3;
	;;#ASMEND
	v_and_b32_e32 v3, 0xffff, v42
	;;#ASMSTART
	v_cvt_f32_f16 v22, v3;
	;;#ASMEND
	ds_read_b64 v[3:4], v1 offset:40
	v_fmac_f32_e32 v28, v0, v16
	v_fmac_f32_e32 v30, v11, v17
	v_fmac_f32_e32 v31, v12, v20
	v_fmac_f32_e32 v32, v18, v22
	s_waitcnt lgkmcnt(0)
	v_lshrrev_b32_e32 v11, 16, v3
	v_and_b32_e32 v0, 0xffff, v3
	v_and_b32_e32 v3, 0xffff, v53
	;;#ASMSTART
	v_cvt_f32_f16 v0, v0;
	;;#ASMEND
	;;#ASMSTART
	v_cvt_f32_f16 v11, v11;
	;;#ASMEND
	;;#ASMSTART
	v_cvt_f32_f16 v12, v3;
	;;#ASMEND
	v_and_b32_e32 v3, 0xffff, v52
	;;#ASMSTART
	v_cvt_f32_f16 v16, v3;
	;;#ASMEND
	v_lshrrev_b32_e32 v3, 16, v4
	v_and_b32_e32 v4, 0xffff, v4
	;;#ASMSTART
	v_cvt_f32_f16 v17, v4;
	;;#ASMEND
	;;#ASMSTART
	v_cvt_f32_f16 v18, v3;
	;;#ASMEND
	v_and_b32_e32 v3, 0xffff, v47
	;;#ASMSTART
	v_cvt_f32_f16 v20, v3;
	;;#ASMEND
	v_and_b32_e32 v3, 0xffff, v46
	;;#ASMSTART
	v_cvt_f32_f16 v22, v3;
	;;#ASMEND
	ds_read_b64 v[3:4], v1 offset:48
	v_fmac_f32_e32 v28, v0, v12
	v_fmac_f32_e32 v30, v11, v16
	v_fmac_f32_e32 v31, v17, v20
	v_fmac_f32_e32 v32, v18, v22
	s_waitcnt lgkmcnt(0)
	v_lshrrev_b32_e32 v11, 16, v3
	v_and_b32_e32 v0, 0xffff, v3
	v_and_b32_e32 v3, 0xffff, v57
	;;#ASMSTART
	v_cvt_f32_f16 v0, v0;
	;;#ASMEND
	;;#ASMSTART
	v_cvt_f32_f16 v11, v11;
	;;#ASMEND
	;; [unrolled: 38-line block ×5, first 2 shown]
	;;#ASMSTART
	v_cvt_f32_f16 v12, v3;
	;;#ASMEND
	v_and_b32_e32 v3, 0xffff, v63
	;;#ASMSTART
	v_cvt_f32_f16 v13, v3;
	;;#ASMEND
	v_lshrrev_b32_e32 v3, 16, v4
	v_and_b32_e32 v4, 0xffff, v4
	;;#ASMSTART
	v_cvt_f32_f16 v14, v4;
	;;#ASMEND
	;;#ASMSTART
	v_cvt_f32_f16 v15, v3;
	;;#ASMEND
	v_and_b32_e32 v3, 0xffff, v62
	;;#ASMSTART
	v_cvt_f32_f16 v16, v3;
	;;#ASMEND
	v_and_b32_e32 v3, 0xffff, v10
	;;#ASMSTART
	v_cvt_f32_f16 v10, v3;
	;;#ASMEND
	ds_read_b64 v[3:4], v1 offset:80
	v_fmac_f32_e32 v28, v0, v12
	v_fmac_f32_e32 v32, v15, v10
	;; [unrolled: 1-line block ×4, first 2 shown]
	s_waitcnt lgkmcnt(0)
	v_lshrrev_b32_e32 v0, 16, v3
	v_and_b32_e32 v3, 0xffff, v3
	;;#ASMSTART
	v_cvt_f32_f16 v3, v3;
	;;#ASMEND
	;;#ASMSTART
	v_cvt_f32_f16 v10, v0;
	;;#ASMEND
	v_and_b32_e32 v0, 0xffff, v9
	;;#ASMSTART
	v_cvt_f32_f16 v9, v0;
	;;#ASMEND
	v_and_b32_e32 v0, 0xffff, v8
	;;#ASMSTART
	v_cvt_f32_f16 v8, v0;
	;;#ASMEND
	v_lshrrev_b32_e32 v0, 16, v4
	v_and_b32_e32 v4, 0xffff, v4
	;;#ASMSTART
	v_cvt_f32_f16 v4, v4;
	;;#ASMEND
	;;#ASMSTART
	v_cvt_f32_f16 v11, v0;
	;;#ASMEND
	v_and_b32_e32 v0, 0xffff, v7
	;;#ASMSTART
	v_cvt_f32_f16 v7, v0;
	;;#ASMEND
	buffer_load_dword v0, off, s[56:59], 0 offset:8 ; 4-byte Folded Reload
	v_fmac_f32_e32 v28, v3, v9
	v_fmac_f32_e32 v30, v10, v8
	;; [unrolled: 1-line block ×3, first 2 shown]
	v_and_b32_e32 v4, 0xffff, v29
	v_and_b32_e32 v7, 0xffff, v26
	s_waitcnt vmcnt(0)
	v_and_b32_e32 v0, 0xffff, v0
	;;#ASMSTART
	v_cvt_f32_f16 v12, v0;
	;;#ASMEND
	ds_read_b64 v[0:1], v1 offset:88
	v_fmac_f32_e32 v32, v11, v12
	s_waitcnt lgkmcnt(0)
	v_lshrrev_b32_e32 v3, 16, v0
	v_and_b32_e32 v0, 0xffff, v0
	;;#ASMSTART
	v_cvt_f32_f16 v0, v0;
	;;#ASMEND
	;;#ASMSTART
	v_cvt_f32_f16 v3, v3;
	;;#ASMEND
	;; [unrolled: 3-line block ×4, first 2 shown]
	v_fmac_f32_e32 v28, v0, v4
	v_fmac_f32_e32 v30, v3, v7
	v_lshrrev_b32_e32 v3, 16, v1
	v_and_b32_e32 v0, 0xffff, v1
	;;#ASMSTART
	v_cvt_f32_f16 v0, v0;
	;;#ASMEND
	;;#ASMSTART
	v_cvt_f32_f16 v1, v3;
	;;#ASMEND
	v_and_b32_e32 v3, 0xffff, v27
	v_and_b32_e32 v4, 0xffff, v25
	;;#ASMSTART
	v_cvt_f32_f16 v3, v3;
	;;#ASMEND
	;;#ASMSTART
	v_cvt_f32_f16 v4, v4;
	;;#ASMEND
	v_fmac_f32_e32 v32, v1, v4
	buffer_load_dword v4, off, s[56:59], 0 offset:28 ; 4-byte Folded Reload
	v_fmac_f32_e32 v31, v0, v3
	v_add_f32_e32 v0, v28, v30
	v_add_f32_e32 v0, v0, v31
	v_add_f32_e32 v0, v32, v0
	s_waitcnt vmcnt(0)
	v_and_b32_e32 v3, 64, v4
	v_xor_b32_e32 v1, 1, v4
	v_add_u32_e32 v3, 64, v3
	v_cmp_lt_i32_e64 s[4:5], v1, v3
	v_cndmask_b32_e64 v1, v4, v1, s[4:5]
	v_lshlrev_b32_e32 v1, 2, v1
	ds_bpermute_b32 v1, v1, v0
	s_and_saveexec_b64 s[40:41], vcc
	s_cbranch_execz .LBB257_11
; %bb.307:                              ;   in Loop: Header=BB257_13 Depth=1
	buffer_load_dword v3, off, s[56:59], 0 offset:36 ; 4-byte Folded Reload
	buffer_load_dword v4, off, s[56:59], 0 offset:32 ; 4-byte Folded Reload
	s_waitcnt lgkmcnt(0)
	v_add_f32_e32 v0, v0, v1
	s_waitcnt vmcnt(1)
	v_add_u32_e32 v3, v3, v19
	v_cvt_f32_i32_e32 v3, v3
	v_mul_f32_e32 v1, s48, v3
	buffer_load_dword v3, off, s[56:59], 0 offset:12 ; 4-byte Folded Reload
	s_waitcnt vmcnt(1)
	v_add_u32_e32 v4, v4, v19
	v_cndmask_b32_e64 v1, 0, v1, s[2:3]
	v_fmac_f32_e32 v1, s37, v0
	v_cmp_gt_i32_e64 s[4:5], s33, v4
	v_cndmask_b32_e64 v0, 0, v1, s[4:5]
	ds_write_b32 v21, v0
	s_waitcnt vmcnt(0)
	v_max_f32_e32 v0, v3, v3
	v_max_f32_e32 v0, v0, v1
	v_cndmask_b32_e64 v3, v3, v0, s[4:5]
	buffer_store_dword v3, off, s[56:59], 0 offset:12 ; 4-byte Folded Spill
	s_branch .LBB257_11
.LBB257_308:
	s_or_b64 exec, exec, s[38:39]
	buffer_load_dword v13, off, s[56:59], 0 offset:48 ; 4-byte Folded Reload
	buffer_load_dword v12, off, s[56:59], 0 offset:52 ; 4-byte Folded Reload
	;; [unrolled: 1-line block ×3, first 2 shown]
	v_mbcnt_lo_u32_b32 v2, -1, 0
.LBB257_309:
	s_or_b64 exec, exec, s[18:19]
	v_mbcnt_hi_u32_b32 v0, -1, v2
	v_and_b32_e32 v7, 64, v0
	v_add_u32_e32 v8, 64, v7
	s_waitcnt lgkmcnt(0)
	v_xor_b32_e32 v1, 32, v0
	v_cmp_lt_i32_e32 vcc, v1, v8
	v_cndmask_b32_e32 v1, v0, v1, vcc
	v_lshlrev_b32_e32 v1, 2, v1
	s_waitcnt vmcnt(0)
	ds_bpermute_b32 v2, v1, v3
	v_xor_b32_e32 v4, 16, v0
	v_max_f32_e32 v3, v3, v3
	v_cmp_lt_i32_e32 vcc, v4, v8
	v_xor_b32_e32 v5, 8, v0
	s_waitcnt lgkmcnt(0)
	v_max_f32_e32 v2, v2, v2
	v_max_f32_e32 v3, v3, v2
	v_cndmask_b32_e32 v2, v0, v4, vcc
	v_lshlrev_b32_e32 v2, 2, v2
	ds_bpermute_b32 v4, v2, v3
	v_cmp_lt_i32_e32 vcc, v5, v8
	v_xor_b32_e32 v6, 4, v0
	v_xor_b32_e32 v9, 2, v0
	v_and_b32_e32 v14, 63, v13
	s_waitcnt lgkmcnt(0)
	v_max_f32_e32 v4, v4, v4
	v_max_f32_e32 v4, v3, v4
	v_cndmask_b32_e32 v3, v0, v5, vcc
	v_lshlrev_b32_e32 v3, 2, v3
	ds_bpermute_b32 v5, v3, v4
	v_cmp_lt_i32_e32 vcc, v6, v8
	s_waitcnt lgkmcnt(0)
	v_max_f32_e32 v5, v5, v5
	v_max_f32_e32 v5, v4, v5
	v_cndmask_b32_e32 v4, v0, v6, vcc
	v_lshlrev_b32_e32 v4, 2, v4
	ds_bpermute_b32 v6, v4, v5
	v_cmp_lt_i32_e32 vcc, v9, v8
	s_waitcnt lgkmcnt(0)
	v_max_f32_e32 v6, v6, v6
	v_max_f32_e32 v6, v5, v6
	v_cndmask_b32_e32 v5, v0, v9, vcc
	v_lshlrev_b32_e32 v15, 2, v5
	buffer_load_dword v5, off, s[56:59], 0  ; 4-byte Folded Reload
	ds_bpermute_b32 v9, v15, v6
	v_cmp_eq_u32_e32 vcc, 0, v14
	s_waitcnt vmcnt(0)
	v_lshlrev_b32_e32 v5, 2, v5
	s_and_saveexec_b64 s[2:3], vcc
	s_cbranch_execz .LBB257_311
; %bb.310:
	s_waitcnt lgkmcnt(0)
	v_max_f32_e32 v9, v9, v9
	v_max_f32_e32 v6, v6, v6
	;; [unrolled: 1-line block ×3, first 2 shown]
	ds_write_b32 v5, v6 offset:192
.LBB257_311:
	s_or_b64 exec, exec, s[2:3]
	v_cmp_gt_u32_e64 s[2:3], 2, v14
	s_waitcnt lgkmcnt(0)
	v_mov_b32_e32 v9, 0xff7fffff
	v_lshlrev_b32_e32 v6, 2, v14
	s_barrier
	s_and_saveexec_b64 s[4:5], s[2:3]
; %bb.312:
	ds_read_b32 v9, v6 offset:192
; %bb.313:
	s_or_b64 exec, exec, s[4:5]
	v_xor_b32_e32 v10, 1, v0
	v_cmp_lt_i32_e64 s[4:5], v10, v8
	v_cndmask_b32_e64 v8, v0, v10, s[4:5]
	v_lshlrev_b32_e32 v16, 2, v8
	s_waitcnt lgkmcnt(0)
	ds_bpermute_b32 v8, v16, v9
	v_max_f32_e32 v9, v9, v9
	v_lshlrev_b32_e32 v7, 2, v7
	s_lshl_b32 s4, s47, 5
	s_min_i32 s37, s4, s33
	s_waitcnt lgkmcnt(0)
	v_max_f32_e32 v8, v8, v8
	v_max_f32_e32 v8, v9, v8
	ds_bpermute_b32 v8, v7, v8
	v_cmp_gt_i32_e64 s[4:5], s37, v13
	v_mov_b32_e32 v7, 0
	s_and_saveexec_b64 s[12:13], s[4:5]
	s_cbranch_execz .LBB257_317
; %bb.314:
	v_mov_b32_e32 v7, 0xd0
	v_lshl_add_u32 v9, v13, 2, v7
	v_mov_b32_e32 v7, 0
	s_mov_b64 s[18:19], 0
	v_mov_b32_e32 v10, v13
.LBB257_315:                            ; =>This Inner Loop Header: Depth=1
	ds_read_b32 v11, v9
	v_add_u32_e32 v10, 0x80, v10
	v_cmp_le_i32_e64 s[6:7], s37, v10
	s_or_b64 s[18:19], s[6:7], s[18:19]
	s_waitcnt lgkmcnt(0)
	v_sub_f32_e32 v11, v11, v8
	v_mul_f32_e32 v11, 0x3fb8aa3b, v11
	v_exp_f32_e32 v11, v11
	ds_write_b32 v9, v11
	v_add_f32_e32 v7, v7, v11
	v_add_u32_e32 v9, 0x200, v9
	s_andn2_b64 exec, exec, s[18:19]
	s_cbranch_execnz .LBB257_315
; %bb.316:
	s_or_b64 exec, exec, s[18:19]
.LBB257_317:
	s_or_b64 exec, exec, s[12:13]
	ds_bpermute_b32 v1, v1, v7
	s_waitcnt lgkmcnt(0)
	v_add_f32_e32 v1, v7, v1
	ds_bpermute_b32 v2, v2, v1
	s_waitcnt lgkmcnt(0)
	v_add_f32_e32 v1, v1, v2
	;; [unrolled: 3-line block ×6, first 2 shown]
	s_and_saveexec_b64 s[6:7], vcc
; %bb.318:
	ds_write_b32 v5, v1 offset:200
; %bb.319:
	s_or_b64 exec, exec, s[6:7]
	s_waitcnt lgkmcnt(0)
	s_barrier
	s_and_saveexec_b64 s[6:7], s[2:3]
; %bb.320:
	ds_read_b32 v1, v6 offset:200
; %bb.321:
	s_or_b64 exec, exec, s[6:7]
	s_waitcnt lgkmcnt(0)
	ds_bpermute_b32 v2, v16, v1
	v_lshlrev_b32_e32 v0, 2, v0
	v_and_b32_e32 v0, 0x100, v0
	s_waitcnt lgkmcnt(0)
	v_add_f32_e32 v1, v1, v2
	ds_bpermute_b32 v0, v0, v1
	s_and_saveexec_b64 s[2:3], s[4:5]
	s_cbranch_execz .LBB257_324
; %bb.322:
	s_waitcnt lgkmcnt(0)
	v_add_f32_e32 v1, 0x358637bd, v0
	v_div_scale_f32 v0, s[4:5], v1, v1, 1.0
	v_div_scale_f32 v2, vcc, 1.0, v1, 1.0
	s_mov_b64 s[4:5], 0
	v_rcp_f32_e32 v3, v0
	v_fma_f32 v4, -v0, v3, 1.0
	v_fmac_f32_e32 v3, v4, v3
	v_mul_f32_e32 v4, v2, v3
	v_fma_f32 v5, -v0, v4, v2
	v_fmac_f32_e32 v4, v5, v3
	v_fma_f32 v0, -v0, v4, v2
	v_div_fmas_f32 v2, v0, v3, v4
	v_mov_b32_e32 v0, 0xd0
	v_lshl_add_u32 v0, v13, 2, v0
	v_div_fixup_f32 v1, v2, v1, 1.0
	v_mov_b32_e32 v2, v13
.LBB257_323:                            ; =>This Inner Loop Header: Depth=1
	ds_read_b32 v3, v0
	v_add_u32_e32 v2, 0x80, v2
	v_cmp_le_i32_e32 vcc, s37, v2
	s_or_b64 s[4:5], vcc, s[4:5]
	s_waitcnt lgkmcnt(0)
	v_mul_f32_e32 v3, v1, v3
	ds_write_b32 v0, v3
	v_add_u32_e32 v0, 0x200, v0
	s_andn2_b64 exec, exec, s[4:5]
	s_cbranch_execnz .LBB257_323
.LBB257_324:
	s_or_b64 exec, exec, s[2:3]
	v_mov_b32_e32 v23, 0
	v_and_b32_e32 v17, 3, v13
	v_mov_b32_e32 v11, 0
	v_mov_b32_e32 v21, 0
	;; [unrolled: 1-line block ×5, first 2 shown]
	s_waitcnt lgkmcnt(0)
	s_barrier
	s_and_saveexec_b64 s[2:3], s[0:1]
	s_cbranch_execz .LBB257_630
; %bb.325:
	buffer_load_dword v1, off, s[56:59], 0 offset:44 ; 4-byte Folded Reload
	buffer_load_dword v4, off, s[56:59], 0 offset:40 ; 4-byte Folded Reload
	s_sub_i32 s37, s16, s21
	s_ashr_i32 s0, s20, 31
	s_add_u32 s1, s34, s20
	s_addc_u32 s0, s35, s0
	s_abs_i32 s22, s22
	v_cvt_f32_u32_e32 v0, s22
	s_sub_i32 s6, 0, s22
	s_add_i32 s35, s47, -1
	v_mov_b32_e32 v57, v13
	v_rcp_iflag_f32_e32 v0, v0
	s_mov_b32 s4, -1
	s_mov_b32 s34, s17
	s_mov_b32 s5, 0xffffff
	v_mul_f32_e32 v0, 0x4f7ffffe, v0
	v_cvt_u32_f32_e32 v0, v0
	v_mov_b32_e32 v2, 0
	v_mov_b32_e32 v26, 0x2000
	;; [unrolled: 1-line block ×3, first 2 shown]
	v_mul_lo_u32 v3, s6, v0
	s_mov_b64 s[6:7], 0
	v_mov_b32_e32 v19, 0
	v_mov_b32_e32 v20, 0
	v_mul_hi_u32 v6, v0, v3
	v_mov_b32_e32 v21, 0
	v_mov_b32_e32 v11, 0
	;; [unrolled: 1-line block ×3, first 2 shown]
	v_add_u32_e32 v13, v0, v6
	s_waitcnt vmcnt(1)
	v_and_b32_e32 v24, 24, v1
	v_and_b32_e32 v1, 0x1f8, v1
	v_add_co_u32_e32 v3, vcc, s1, v1
	buffer_load_dword v1, off, s[56:59], 0  ; 4-byte Folded Reload
	s_waitcnt vmcnt(1)
	v_and_b32_e32 v5, 60, v4
	v_mov_b32_e32 v4, s0
	s_lshl_b64 s[0:1], s[30:31], 2
	s_add_u32 s0, s28, s0
	v_addc_co_u32_e32 v4, vcc, 0, v4, vcc
	s_addc_u32 s1, s29, s1
	v_mov_b32_e32 v0, s1
	v_add_co_u32_e32 v5, vcc, s0, v5
	v_addc_co_u32_e32 v6, vcc, 0, v0, vcc
	v_lshlrev_b32_e32 v0, 5, v17
	s_movk_i32 s28, 0x80
	s_movk_i32 s29, 0x7f
	s_mov_b32 s30, 0x8000
	s_waitcnt vmcnt(0)
	v_lshl_or_b32 v0, v1, 7, v0
	v_add_u32_e32 v25, 0xd0, v0
	s_branch .LBB257_328
.LBB257_326:                            ;   in Loop: Header=BB257_328 Depth=1
	s_or_b64 exec, exec, s[0:1]
	;;#ASMSTART
	v_pk_mul_f16 v1, v38, v1;

	;;#ASMEND
	;;#ASMSTART
	v_pk_mul_f16 v0, v37, v0;

	;;#ASMEND
	;; [unrolled: 4-line block ×4, first 2 shown]
	;;#ASMSTART
	v_pk_add_f16 v0, v1, v0;

	;;#ASMEND
	v_add_f32_e32 v9, v9, v10
	;;#ASMSTART
	v_pk_add_f16 v0, v0, v8;

	;;#ASMEND
	v_add_f32_e32 v19, v19, v9
	v_add_f32_e32 v9, v45, v46
	;;#ASMSTART
	v_pk_add_f16 v0, v0, v7;

	;;#ASMEND
	v_add_f32_e32 v20, v20, v9
	v_add_f32_e32 v9, v43, v44
	v_lshrrev_b32_e32 v1, 16, v0
	v_and_b32_e32 v0, 0xffff, v0
	v_add_f32_e32 v21, v21, v9
	v_add_f32_e32 v9, v41, v42
	;;#ASMSTART
	v_cvt_f32_f16 v0, v0;
	;;#ASMEND
	v_add_f32_e32 v11, v11, v9
	v_add_f32_e32 v9, v39, v40
	;;#ASMSTART
	v_cvt_f32_f16 v1, v1;
	;;#ASMEND
	v_add_f32_e32 v0, v0, v1
	v_add_f32_e32 v23, v23, v9
	;; [unrolled: 1-line block ×3, first 2 shown]
.LBB257_327:                            ;   in Loop: Header=BB257_328 Depth=1
	s_or_b64 exec, exec, s[12:13]
	buffer_load_dword v0, off, s[56:59], 0  ; 4-byte Folded Reload
	v_add_co_u32_e32 v5, vcc, 8, v5
	v_addc_co_u32_e32 v6, vcc, 0, v6, vcc
	v_mov_b32_e32 v12, v58
	v_add_u32_e32 v12, 64, v12
	v_add_u32_e32 v25, 0x100, v25
	s_waitcnt vmcnt(0)
	v_add_u32_e32 v0, 2, v0
	v_cmp_le_i32_e32 vcc, s47, v0
	s_or_b64 s[6:7], vcc, s[6:7]
	buffer_store_dword v0, off, s[56:59], 0 ; 4-byte Folded Spill
	s_andn2_b64 exec, exec, s[6:7]
	s_cbranch_execz .LBB257_629
.LBB257_328:                            ; =>This Inner Loop Header: Depth=1
	v_mul_hi_u32 v0, v12, s46
	v_mov_b32_e32 v58, v12
	v_mul_lo_u32 v1, v0, s25
	v_add_u32_e32 v7, 1, v0
	v_sub_u32_e32 v1, v12, v1
	v_cmp_le_u32_e32 vcc, s25, v1
	v_cndmask_b32_e32 v0, v0, v7, vcc
	v_subrev_u32_e32 v7, s25, v1
	v_cndmask_b32_e32 v1, v1, v7, vcc
	v_add_u32_e32 v7, 1, v0
	v_cmp_le_u32_e32 vcc, s25, v1
	v_cndmask_b32_e32 v0, v0, v7, vcc
	v_xor_b32_e32 v0, s23, v0
	v_subrev_u32_e32 v0, s23, v0
	v_add_u32_e32 v1, s36, v0
	v_sub_u32_e32 v7, 0, v1
	v_max_i32_e32 v7, v1, v7
	v_mul_hi_u32 v8, v7, v13
	v_ashrrev_i32_e32 v1, 31, v1
	v_cmp_lt_i32_e64 s[0:1], s37, v0
	v_mul_lo_u32 v8, v8, s22
	v_sub_u32_e32 v7, v7, v8
	v_subrev_u32_e32 v8, s22, v7
	v_cmp_le_u32_e32 vcc, s22, v7
	v_cndmask_b32_e32 v7, v7, v8, vcc
	v_subrev_u32_e32 v8, s22, v7
	v_cmp_le_u32_e32 vcc, s22, v7
	v_cndmask_b32_e32 v7, v7, v8, vcc
	v_xor_b32_e32 v7, v7, v1
	v_sub_u32_e32 v1, v7, v1
	v_cmp_eq_u32_e32 vcc, 0, v1
	s_or_b64 s[0:1], vcc, s[0:1]
	s_and_saveexec_b64 s[12:13], s[0:1]
	s_cbranch_execz .LBB257_327
; %bb.329:                              ;   in Loop: Header=BB257_328 Depth=1
	global_load_dword v0, v[5:6], off
	ds_read2_b64 v[7:10], v25 offset1:1
	ds_read2_b64 v[27:30], v25 offset0:2 offset1:3
	s_waitcnt lgkmcnt(1)
	;;#ASMSTART
	v_cvt_f16_f32 v35, v7;

	;;#ASMEND
	;;#ASMSTART
	v_cvt_f16_f32 v36, v8;

	;;#ASMEND
	;; [unrolled: 4-line block ×4, first 2 shown]
	s_waitcnt lgkmcnt(0)
	;;#ASMSTART
	v_cvt_f16_f32 v40, v27;

	;;#ASMEND
	;;#ASMSTART
	v_cvt_f16_f32 v41, v28;

	;;#ASMEND
	;; [unrolled: 4-line block ×4, first 2 shown]
	v_mov_b32_e32 v29, 0
	global_load_dword v28, v29, s[14:15]
	v_mov_b32_e32 v30, 0
	s_waitcnt vmcnt(1)
	v_mad_i64_i32 v[7:8], s[0:1], v0, s34, v[3:4]
	global_load_dwordx2 v[9:10], v[7:8], off
	s_waitcnt vmcnt(0)
	v_cmp_ne_u16_sdwa s[16:17], v9, v2 src0_sel:BYTE_0 src1_sel:DWORD
	s_and_saveexec_b64 s[0:1], s[16:17]
	s_cbranch_execz .LBB257_335
; %bb.330:                              ;   in Loop: Header=BB257_328 Depth=1
	v_cmp_ne_u16_sdwa s[18:19], v9, s28 src0_sel:BYTE_0 src1_sel:DWORD
	v_mov_b32_e32 v30, 0x8000
	s_and_saveexec_b64 s[16:17], s[18:19]
	s_cbranch_execz .LBB257_334
; %bb.331:                              ;   in Loop: Header=BB257_328 Depth=1
	v_and_b32_e32 v0, 0x7f, v9
	v_cmp_ne_u32_e32 vcc, s29, v0
	v_mov_b32_e32 v30, 0x7c01
	s_and_saveexec_b64 s[18:19], vcc
	s_cbranch_execz .LBB257_333
; %bb.332:                              ;   in Loop: Header=BB257_328 Depth=1
	v_and_b32_e32 v1, 7, v9
	v_ffbh_u32_e32 v22, v1
	v_min_u32_e32 v22, 32, v22
	v_lshrrev_b32_e32 v12, 3, v0
	v_subrev_u32_e32 v27, 28, v22
	v_sub_u32_e32 v22, 29, v22
	v_cmp_gt_u32_e32 vcc, 8, v0
	v_lshlrev_b64 v[30:31], v27, v[9:10]
	v_cndmask_b32_e32 v0, v12, v22, vcc
	v_lshl_add_u32 v0, v0, 10, v26
	v_lshlrev_b32_e32 v12, 8, v9
	v_and_b32_e32 v22, 7, v30
	v_and_b32_e32 v0, 0xfc00, v0
	v_cndmask_b32_e32 v1, v1, v22, vcc
	v_and_or_b32 v0, v12, s30, v0
	v_lshl_or_b32 v30, v1, 7, v0
.LBB257_333:                            ;   in Loop: Header=BB257_328 Depth=1
	s_or_b64 exec, exec, s[18:19]
.LBB257_334:                            ;   in Loop: Header=BB257_328 Depth=1
	s_or_b64 exec, exec, s[16:17]
.LBB257_335:                            ;   in Loop: Header=BB257_328 Depth=1
	s_or_b64 exec, exec, s[0:1]
	v_lshrrev_b16_e32 v1, 8, v9
	v_cmp_ne_u16_e32 vcc, 0, v1
	s_and_saveexec_b64 s[0:1], vcc
	s_cbranch_execz .LBB257_341
; %bb.336:                              ;   in Loop: Header=BB257_328 Depth=1
	v_cmp_ne_u16_e32 vcc, s28, v1
	v_bfrev_b32_e32 v29, 1
	s_and_saveexec_b64 s[16:17], vcc
	s_cbranch_execz .LBB257_340
; %bb.337:                              ;   in Loop: Header=BB257_328 Depth=1
	v_and_b32_e32 v0, 0x7f, v1
	v_cmp_ne_u32_e32 vcc, s29, v0
	v_mov_b32_e32 v29, 0x7c010000
	s_and_saveexec_b64 s[18:19], vcc
	s_cbranch_execz .LBB257_339
; %bb.338:                              ;   in Loop: Header=BB257_328 Depth=1
	v_and_b32_e32 v12, 7, v1
	v_ffbh_u32_e32 v27, v12
	v_min_u32_e32 v27, 32, v27
	v_lshrrev_b32_e32 v22, 3, v0
	v_subrev_u32_e32 v29, 28, v27
	v_sub_u32_e32 v27, 29, v27
	v_cmp_gt_u32_e32 vcc, 8, v0
	v_lshlrev_b64 v[31:32], v29, v[1:2]
	v_cndmask_b32_e32 v0, v22, v27, vcc
	v_lshlrev_b32_e32 v1, 8, v1
	v_lshl_add_u32 v0, v0, 10, v26
	v_and_b32_e32 v22, 7, v31
	v_and_or_b32 v0, v1, s30, v0
	v_cndmask_b32_e32 v12, v12, v22, vcc
	v_lshlrev_b32_e32 v0, 16, v0
	v_lshl_or_b32 v29, v12, 23, v0
.LBB257_339:                            ;   in Loop: Header=BB257_328 Depth=1
	s_or_b64 exec, exec, s[18:19]
.LBB257_340:                            ;   in Loop: Header=BB257_328 Depth=1
	s_or_b64 exec, exec, s[16:17]
.LBB257_341:                            ;   in Loop: Header=BB257_328 Depth=1
	s_or_b64 exec, exec, s[0:1]
	v_lshrrev_b32_e32 v1, 16, v9
	v_cmp_ne_u16_sdwa s[16:17], v1, v2 src0_sel:BYTE_0 src1_sel:DWORD
	v_mov_b32_e32 v0, 0
	v_mov_b32_e32 v31, 0
	s_and_saveexec_b64 s[0:1], s[16:17]
	s_cbranch_execz .LBB257_347
; %bb.342:                              ;   in Loop: Header=BB257_328 Depth=1
	v_cmp_ne_u16_sdwa s[18:19], v1, s28 src0_sel:BYTE_0 src1_sel:DWORD
	v_mov_b32_e32 v31, 0x8000
	s_and_saveexec_b64 s[16:17], s[18:19]
	s_cbranch_execz .LBB257_346
; %bb.343:                              ;   in Loop: Header=BB257_328 Depth=1
	v_bfe_u32 v27, v9, 16, 7
	v_cmp_ne_u32_e32 vcc, s29, v27
	v_mov_b32_e32 v31, 0x7c01
	s_and_saveexec_b64 s[18:19], vcc
	s_cbranch_execz .LBB257_345
; %bb.344:                              ;   in Loop: Header=BB257_328 Depth=1
	v_and_b32_e32 v12, 7, v1
	v_ffbh_u32_e32 v31, v12
	v_min_u32_e32 v33, 32, v31
	v_subrev_u32_e32 v31, 28, v33
	v_lshlrev_b64 v[31:32], v31, v[1:2]
	v_lshrrev_b32_e32 v22, 3, v27
	v_sub_u32_e32 v32, 29, v33
	v_cmp_gt_u32_e32 vcc, 8, v27
	v_cndmask_b32_e32 v22, v22, v32, vcc
	v_lshl_add_u32 v22, v22, 10, v26
	v_lshlrev_b32_e32 v1, 8, v1
	v_and_b32_e32 v27, 7, v31
	v_and_b32_e32 v22, 0xfc00, v22
	v_cndmask_b32_e32 v12, v12, v27, vcc
	v_and_or_b32 v1, v1, s30, v22
	v_lshl_or_b32 v31, v12, 7, v1
.LBB257_345:                            ;   in Loop: Header=BB257_328 Depth=1
	s_or_b64 exec, exec, s[18:19]
.LBB257_346:                            ;   in Loop: Header=BB257_328 Depth=1
	s_or_b64 exec, exec, s[16:17]
.LBB257_347:                            ;   in Loop: Header=BB257_328 Depth=1
	s_or_b64 exec, exec, s[0:1]
	v_cmp_lt_u32_e32 vcc, s5, v9
	s_and_saveexec_b64 s[0:1], vcc
	s_cbranch_execz .LBB257_353
; %bb.348:                              ;   in Loop: Header=BB257_328 Depth=1
	v_lshrrev_b32_e32 v1, 24, v9
	v_cmp_ne_u32_e32 vcc, s28, v1
	v_bfrev_b32_e32 v0, 1
	s_and_saveexec_b64 s[16:17], vcc
	s_cbranch_execz .LBB257_352
; %bb.349:                              ;   in Loop: Header=BB257_328 Depth=1
	v_and_b32_e32 v27, 0x7f, v1
	v_cmp_ne_u32_e32 vcc, s29, v27
	v_mov_b32_e32 v0, 0x7c010000
	s_and_saveexec_b64 s[18:19], vcc
	s_cbranch_execz .LBB257_351
; %bb.350:                              ;   in Loop: Header=BB257_328 Depth=1
	v_and_b32_e32 v0, 7, v1
	v_ffbh_u32_e32 v22, v0
	v_min_u32_e32 v22, 32, v22
	v_lshrrev_b32_e32 v12, 3, v27
	v_subrev_u32_e32 v32, 28, v22
	v_sub_u32_e32 v22, 29, v22
	v_cmp_gt_u32_e32 vcc, 8, v27
	v_lshlrev_b64 v[32:33], v32, v[1:2]
	v_cndmask_b32_e32 v12, v12, v22, vcc
	v_lshlrev_b32_e32 v1, 8, v1
	v_lshl_add_u32 v12, v12, 10, v26
	v_and_b32_e32 v22, 7, v32
	v_and_or_b32 v1, v1, s30, v12
	v_cndmask_b32_e32 v0, v0, v22, vcc
	v_lshlrev_b32_e32 v1, 16, v1
	v_lshl_or_b32 v0, v0, 23, v1
.LBB257_351:                            ;   in Loop: Header=BB257_328 Depth=1
	s_or_b64 exec, exec, s[18:19]
.LBB257_352:                            ;   in Loop: Header=BB257_328 Depth=1
	s_or_b64 exec, exec, s[16:17]
.LBB257_353:                            ;   in Loop: Header=BB257_328 Depth=1
	s_or_b64 exec, exec, s[0:1]
	v_mov_b32_e32 v1, v10
	v_cmp_ne_u16_sdwa s[16:17], v10, v2 src0_sel:BYTE_0 src1_sel:DWORD
	v_mov_b32_e32 v32, 0
	v_mov_b32_e32 v33, 0
	s_and_saveexec_b64 s[0:1], s[16:17]
	s_cbranch_execz .LBB257_359
; %bb.354:                              ;   in Loop: Header=BB257_328 Depth=1
	v_cmp_ne_u16_sdwa s[18:19], v10, s28 src0_sel:BYTE_0 src1_sel:DWORD
	v_mov_b32_e32 v33, 0x8000
	s_and_saveexec_b64 s[16:17], s[18:19]
	s_cbranch_execz .LBB257_358
; %bb.355:                              ;   in Loop: Header=BB257_328 Depth=1
	v_and_b32_e32 v27, 0x7f, v10
	v_cmp_ne_u32_e32 vcc, s29, v27
	v_mov_b32_e32 v33, 0x7c01
	s_and_saveexec_b64 s[18:19], vcc
	s_cbranch_execz .LBB257_357
; %bb.356:                              ;   in Loop: Header=BB257_328 Depth=1
	v_and_b32_e32 v12, 7, v10
	v_ffbh_u32_e32 v33, v12
	v_min_u32_e32 v38, 32, v33
	v_subrev_u32_e32 v33, 28, v38
	v_lshlrev_b64 v[33:34], v33, v[1:2]
	v_lshrrev_b32_e32 v22, 3, v27
	v_sub_u32_e32 v34, 29, v38
	v_cmp_gt_u32_e32 vcc, 8, v27
	v_cndmask_b32_e32 v22, v22, v34, vcc
	v_lshl_add_u32 v22, v22, 10, v26
	v_lshlrev_b32_e32 v27, 8, v10
	v_and_b32_e32 v33, 7, v33
	v_and_b32_e32 v22, 0xfc00, v22
	v_cndmask_b32_e32 v12, v12, v33, vcc
	v_and_or_b32 v22, v27, s30, v22
	v_lshl_or_b32 v33, v12, 7, v22
.LBB257_357:                            ;   in Loop: Header=BB257_328 Depth=1
	s_or_b64 exec, exec, s[18:19]
.LBB257_358:                            ;   in Loop: Header=BB257_328 Depth=1
	s_or_b64 exec, exec, s[16:17]
.LBB257_359:                            ;   in Loop: Header=BB257_328 Depth=1
	s_or_b64 exec, exec, s[0:1]
	v_lshrrev_b16_e32 v1, 8, v1
	v_cmp_ne_u16_e32 vcc, 0, v1
	v_mov_b32_e32 v34, 0
	s_and_saveexec_b64 s[0:1], vcc
	s_cbranch_execz .LBB257_365
; %bb.360:                              ;   in Loop: Header=BB257_328 Depth=1
	v_cmp_ne_u16_e32 vcc, s28, v1
	v_bfrev_b32_e32 v34, 1
	s_and_saveexec_b64 s[16:17], vcc
	s_cbranch_execz .LBB257_364
; %bb.361:                              ;   in Loop: Header=BB257_328 Depth=1
	v_and_b32_e32 v27, 0x7f, v1
	v_cmp_ne_u32_e32 vcc, s29, v27
	v_mov_b32_e32 v34, 0x7c010000
	s_and_saveexec_b64 s[18:19], vcc
	s_cbranch_execz .LBB257_363
; %bb.362:                              ;   in Loop: Header=BB257_328 Depth=1
	v_and_b32_e32 v12, 7, v1
	v_ffbh_u32_e32 v34, v12
	v_min_u32_e32 v34, 32, v34
	v_lshrrev_b32_e32 v22, 3, v27
	v_subrev_u32_e32 v38, 28, v34
	v_sub_u32_e32 v34, 29, v34
	v_cmp_gt_u32_e32 vcc, 8, v27
	v_lshlrev_b64 v[44:45], v38, v[1:2]
	v_cndmask_b32_e32 v22, v22, v34, vcc
	v_lshlrev_b32_e32 v1, 8, v1
	v_lshl_add_u32 v22, v22, 10, v26
	v_and_b32_e32 v27, 7, v44
	v_and_or_b32 v1, v1, s30, v22
	v_cndmask_b32_e32 v12, v12, v27, vcc
	v_lshlrev_b32_e32 v1, 16, v1
	v_lshl_or_b32 v34, v12, 23, v1
.LBB257_363:                            ;   in Loop: Header=BB257_328 Depth=1
	s_or_b64 exec, exec, s[18:19]
.LBB257_364:                            ;   in Loop: Header=BB257_328 Depth=1
	s_or_b64 exec, exec, s[16:17]
.LBB257_365:                            ;   in Loop: Header=BB257_328 Depth=1
	s_or_b64 exec, exec, s[0:1]
	v_lshrrev_b32_e32 v1, 16, v10
	v_cmp_ne_u16_sdwa s[16:17], v1, v2 src0_sel:BYTE_0 src1_sel:DWORD
	s_and_saveexec_b64 s[0:1], s[16:17]
	s_cbranch_execz .LBB257_371
; %bb.366:                              ;   in Loop: Header=BB257_328 Depth=1
	v_cmp_ne_u16_sdwa s[18:19], v1, s28 src0_sel:BYTE_0 src1_sel:DWORD
	v_mov_b32_e32 v32, 0x8000
	s_and_saveexec_b64 s[16:17], s[18:19]
	s_cbranch_execz .LBB257_370
; %bb.367:                              ;   in Loop: Header=BB257_328 Depth=1
	v_bfe_u32 v27, v10, 16, 7
	v_cmp_ne_u32_e32 vcc, s29, v27
	v_mov_b32_e32 v32, 0x7c01
	s_and_saveexec_b64 s[18:19], vcc
	s_cbranch_execz .LBB257_369
; %bb.368:                              ;   in Loop: Header=BB257_328 Depth=1
	v_and_b32_e32 v12, 7, v1
	v_ffbh_u32_e32 v32, v12
	v_min_u32_e32 v32, 32, v32
	v_lshrrev_b32_e32 v22, 3, v27
	v_subrev_u32_e32 v38, 28, v32
	v_sub_u32_e32 v32, 29, v32
	v_cmp_gt_u32_e32 vcc, 8, v27
	v_lshlrev_b64 v[44:45], v38, v[1:2]
	v_cndmask_b32_e32 v22, v22, v32, vcc
	v_lshl_add_u32 v22, v22, 10, v26
	v_lshlrev_b32_e32 v1, 8, v1
	v_and_b32_e32 v27, 7, v44
	v_and_b32_e32 v22, 0xfc00, v22
	v_cndmask_b32_e32 v12, v12, v27, vcc
	v_and_or_b32 v1, v1, s30, v22
	v_lshl_or_b32 v32, v12, 7, v1
.LBB257_369:                            ;   in Loop: Header=BB257_328 Depth=1
	s_or_b64 exec, exec, s[18:19]
.LBB257_370:                            ;   in Loop: Header=BB257_328 Depth=1
	s_or_b64 exec, exec, s[16:17]
.LBB257_371:                            ;   in Loop: Header=BB257_328 Depth=1
	s_or_b64 exec, exec, s[0:1]
	v_cmp_lt_u64_e32 vcc, s[4:5], v[9:10]
	v_mov_b32_e32 v9, 0
	s_and_saveexec_b64 s[0:1], vcc
	s_cbranch_execz .LBB257_377
; %bb.372:                              ;   in Loop: Header=BB257_328 Depth=1
	v_lshrrev_b32_e32 v1, 24, v10
	v_cmp_ne_u32_e32 vcc, s28, v1
	v_bfrev_b32_e32 v9, 1
	s_and_saveexec_b64 s[16:17], vcc
	s_cbranch_execz .LBB257_376
; %bb.373:                              ;   in Loop: Header=BB257_328 Depth=1
	v_and_b32_e32 v10, 0x7f, v1
	v_cmp_ne_u32_e32 vcc, s29, v10
	v_mov_b32_e32 v9, 0x7c010000
	s_and_saveexec_b64 s[18:19], vcc
	s_cbranch_execz .LBB257_375
; %bb.374:                              ;   in Loop: Header=BB257_328 Depth=1
	v_and_b32_e32 v9, 7, v1
	v_ffbh_u32_e32 v22, v9
	v_min_u32_e32 v22, 32, v22
	v_lshrrev_b32_e32 v12, 3, v10
	v_subrev_u32_e32 v27, 28, v22
	v_sub_u32_e32 v22, 29, v22
	v_cmp_gt_u32_e32 vcc, 8, v10
	v_lshlrev_b64 v[44:45], v27, v[1:2]
	v_cndmask_b32_e32 v10, v12, v22, vcc
	v_lshlrev_b32_e32 v1, 8, v1
	v_lshl_add_u32 v10, v10, 10, v26
	v_and_b32_e32 v12, 7, v44
	v_and_or_b32 v1, v1, s30, v10
	v_cndmask_b32_e32 v9, v9, v12, vcc
	v_lshlrev_b32_e32 v1, 16, v1
	v_lshl_or_b32 v9, v9, 23, v1
.LBB257_375:                            ;   in Loop: Header=BB257_328 Depth=1
	s_or_b64 exec, exec, s[18:19]
.LBB257_376:                            ;   in Loop: Header=BB257_328 Depth=1
	s_or_b64 exec, exec, s[16:17]
.LBB257_377:                            ;   in Loop: Header=BB257_328 Depth=1
	s_or_b64 exec, exec, s[0:1]
	buffer_load_dword v1, off, s[56:59], 0  ; 4-byte Folded Reload
	v_fma_mixlo_f16 v10, v28, v29, 0 op_sel:[0,1,0] op_sel_hi:[0,1,0]
	v_fma_mixlo_f16 v12, v28, v34, 0 op_sel:[0,1,0] op_sel_hi:[0,1,0]
	v_lshlrev_b32_e32 v47, 16, v10
	v_or_b32_e32 v10, v34, v33
	v_lshlrev_b32_e32 v45, 16, v12
	v_or_b32_e32 v12, v9, v32
	v_fma_mixlo_f16 v10, v28, v10, 0 op_sel_hi:[0,1,0]
	v_fma_mixlo_f16 v12, v28, v12, 0 op_sel_hi:[0,1,0]
	v_fma_mixlo_f16 v9, v28, v9, 0 op_sel:[0,1,0] op_sel_hi:[0,1,0]
	v_add_u32_e32 v27, v24, v58
	v_and_b32_e32 v48, 0xffff, v10
	v_lshlrev_b32_e32 v46, 16, v9
	v_and_b32_e32 v49, 0xffff, v12
	v_or_b32_e32 v10, v45, v48
	v_or_b32_e32 v9, v46, v49
	v_add_u32_e32 v34, 1, v27
	v_add_u32_e32 v33, 2, v27
	v_add_u32_e32 v32, 3, v27
	s_waitcnt vmcnt(0)
	v_cmp_eq_u32_e32 vcc, s35, v1
	v_or_b32_e32 v1, v0, v31
	v_fma_mixlo_f16 v0, v28, v0, 0 op_sel:[0,1,0] op_sel_hi:[0,1,0]
	v_lshlrev_b32_e32 v38, 16, v0
	v_fma_mixlo_f16 v0, v28, v1, 0 op_sel_hi:[0,1,0]
	v_or_b32_e32 v1, v29, v30
	v_fma_mixlo_f16 v1, v28, v1, 0 op_sel_hi:[0,1,0]
	v_and_b32_e32 v44, 0xffff, v0
	v_and_b32_e32 v50, 0xffff, v1
	v_or_b32_e32 v0, v38, v44
	v_or_b32_e32 v1, v47, v50
	v_add_u32_e32 v31, 4, v27
	v_add_u32_e32 v30, 5, v27
	;; [unrolled: 1-line block ×4, first 2 shown]
	s_and_saveexec_b64 s[16:17], vcc
	s_cbranch_execz .LBB257_379
; %bb.378:                              ;   in Loop: Header=BB257_328 Depth=1
	v_cmp_gt_i32_e64 s[0:1], s33, v27
	v_cndmask_b32_e64 v0, 0, v50, s[0:1]
	v_cmp_gt_i32_e64 s[0:1], s33, v34
	v_cndmask_b32_e64 v1, 0, v47, s[0:1]
	v_cmp_gt_i32_e64 s[0:1], s33, v33
	v_or_b32_e32 v1, v1, v0
	v_cndmask_b32_e64 v0, 0, v44, s[0:1]
	v_cmp_gt_i32_e64 s[0:1], s33, v32
	v_cndmask_b32_e64 v9, 0, v38, s[0:1]
	v_cmp_gt_i32_e64 s[0:1], s33, v31
	v_or_b32_e32 v0, v9, v0
	;; [unrolled: 5-line block ×3, first 2 shown]
	v_cndmask_b32_e64 v9, 0, v49, s[0:1]
	v_cmp_gt_i32_e64 s[0:1], s33, v28
	v_cndmask_b32_e64 v12, 0, v46, s[0:1]
	v_or_b32_e32 v9, v12, v9
.LBB257_379:                            ;   in Loop: Header=BB257_328 Depth=1
	s_or_b64 exec, exec, s[16:17]
	v_and_b32_e32 v12, 0xffff, v35
	v_lshl_or_b32 v38, v36, 16, v12
	v_and_b32_e32 v12, 0xffff, v37
	v_lshl_or_b32 v37, v39, 16, v12
	;; [unrolled: 2-line block ×3, first 2 shown]
	v_and_b32_e32 v12, 0xffff, v42
	;;#ASMSTART
	v_pk_mul_f16 v1, v38, v1;

	;;#ASMEND
	;;#ASMSTART
	v_pk_mul_f16 v0, v37, v0;

	;;#ASMEND
	v_lshl_or_b32 v35, v43, 16, v12
	;;#ASMSTART
	v_pk_mul_f16 v10, v36, v10;

	;;#ASMEND
	;;#ASMSTART
	v_pk_mul_f16 v9, v35, v9;

	;;#ASMEND
	;;#ASMSTART
	v_pk_add_f16 v0, v1, v0;

	;;#ASMEND
	;;#ASMSTART
	v_pk_add_f16 v0, v0, v10;
	;; [unrolled: 4-line block ×3, first 2 shown]

	;;#ASMEND
	v_lshrrev_b32_e32 v1, 16, v0
	v_and_b32_e32 v0, 0xffff, v0
	;;#ASMSTART
	v_cvt_f32_f16 v39, v0;
	;;#ASMEND
	;;#ASMSTART
	v_cvt_f32_f16 v40, v1;
	;;#ASMEND
	global_load_dwordx2 v[9:10], v[7:8], off offset:512
	v_mov_b32_e32 v42, 0
	global_load_dword v41, v42, s[14:15]
	v_mov_b32_e32 v43, 0
	s_waitcnt vmcnt(1)
	v_cmp_ne_u16_sdwa s[0:1], v9, v2 src0_sel:BYTE_0 src1_sel:DWORD
	s_and_saveexec_b64 s[16:17], s[0:1]
	s_cbranch_execz .LBB257_385
; %bb.380:                              ;   in Loop: Header=BB257_328 Depth=1
	v_cmp_ne_u16_sdwa s[0:1], v9, s28 src0_sel:BYTE_0 src1_sel:DWORD
	v_mov_b32_e32 v43, 0x8000
	s_and_saveexec_b64 s[18:19], s[0:1]
	s_cbranch_execz .LBB257_384
; %bb.381:                              ;   in Loop: Header=BB257_328 Depth=1
	v_and_b32_e32 v0, 0x7f, v9
	v_cmp_ne_u32_e64 s[0:1], s29, v0
	v_mov_b32_e32 v43, 0x7c01
	s_and_saveexec_b64 s[20:21], s[0:1]
	s_cbranch_execz .LBB257_383
; %bb.382:                              ;   in Loop: Header=BB257_328 Depth=1
	v_and_b32_e32 v1, 7, v9
	v_ffbh_u32_e32 v22, v1
	v_min_u32_e32 v22, 32, v22
	v_lshrrev_b32_e32 v12, 3, v0
	v_subrev_u32_e32 v43, 28, v22
	v_sub_u32_e32 v22, 29, v22
	v_cmp_gt_u32_e64 s[0:1], 8, v0
	v_lshlrev_b64 v[43:44], v43, v[9:10]
	v_cndmask_b32_e64 v0, v12, v22, s[0:1]
	v_lshl_add_u32 v0, v0, 10, v26
	v_lshlrev_b32_e32 v12, 8, v9
	v_and_b32_e32 v22, 7, v43
	v_and_b32_e32 v0, 0xfc00, v0
	v_cndmask_b32_e64 v1, v1, v22, s[0:1]
	v_and_or_b32 v0, v12, s30, v0
	v_lshl_or_b32 v43, v1, 7, v0
.LBB257_383:                            ;   in Loop: Header=BB257_328 Depth=1
	s_or_b64 exec, exec, s[20:21]
.LBB257_384:                            ;   in Loop: Header=BB257_328 Depth=1
	s_or_b64 exec, exec, s[18:19]
.LBB257_385:                            ;   in Loop: Header=BB257_328 Depth=1
	s_or_b64 exec, exec, s[16:17]
	v_lshrrev_b16_e32 v1, 8, v9
	v_cmp_ne_u16_e64 s[0:1], 0, v1
	s_and_saveexec_b64 s[16:17], s[0:1]
	s_cbranch_execz .LBB257_391
; %bb.386:                              ;   in Loop: Header=BB257_328 Depth=1
	v_cmp_ne_u16_e64 s[0:1], s28, v1
	v_bfrev_b32_e32 v42, 1
	s_and_saveexec_b64 s[18:19], s[0:1]
	s_cbranch_execz .LBB257_390
; %bb.387:                              ;   in Loop: Header=BB257_328 Depth=1
	v_and_b32_e32 v0, 0x7f, v1
	v_cmp_ne_u32_e64 s[0:1], s29, v0
	v_mov_b32_e32 v42, 0x7c010000
	s_and_saveexec_b64 s[20:21], s[0:1]
	s_cbranch_execz .LBB257_389
; %bb.388:                              ;   in Loop: Header=BB257_328 Depth=1
	v_and_b32_e32 v12, 7, v1
	v_ffbh_u32_e32 v42, v12
	v_min_u32_e32 v42, 32, v42
	v_lshrrev_b32_e32 v22, 3, v0
	v_subrev_u32_e32 v44, 28, v42
	v_sub_u32_e32 v42, 29, v42
	v_cmp_gt_u32_e64 s[0:1], 8, v0
	v_lshlrev_b64 v[44:45], v44, v[1:2]
	v_cndmask_b32_e64 v0, v22, v42, s[0:1]
	v_lshlrev_b32_e32 v1, 8, v1
	v_lshl_add_u32 v0, v0, 10, v26
	v_and_b32_e32 v22, 7, v44
	v_and_or_b32 v0, v1, s30, v0
	v_cndmask_b32_e64 v12, v12, v22, s[0:1]
	v_lshlrev_b32_e32 v0, 16, v0
	v_lshl_or_b32 v42, v12, 23, v0
.LBB257_389:                            ;   in Loop: Header=BB257_328 Depth=1
	s_or_b64 exec, exec, s[20:21]
.LBB257_390:                            ;   in Loop: Header=BB257_328 Depth=1
	s_or_b64 exec, exec, s[18:19]
.LBB257_391:                            ;   in Loop: Header=BB257_328 Depth=1
	s_or_b64 exec, exec, s[16:17]
	v_lshrrev_b32_e32 v1, 16, v9
	v_cmp_ne_u16_sdwa s[0:1], v1, v2 src0_sel:BYTE_0 src1_sel:DWORD
	v_mov_b32_e32 v0, 0
	v_mov_b32_e32 v44, 0
	s_and_saveexec_b64 s[16:17], s[0:1]
	s_cbranch_execz .LBB257_397
; %bb.392:                              ;   in Loop: Header=BB257_328 Depth=1
	v_cmp_ne_u16_sdwa s[0:1], v1, s28 src0_sel:BYTE_0 src1_sel:DWORD
	v_mov_b32_e32 v44, 0x8000
	s_and_saveexec_b64 s[18:19], s[0:1]
	s_cbranch_execz .LBB257_396
; %bb.393:                              ;   in Loop: Header=BB257_328 Depth=1
	v_bfe_u32 v45, v9, 16, 7
	v_cmp_ne_u32_e64 s[0:1], s29, v45
	v_mov_b32_e32 v44, 0x7c01
	s_and_saveexec_b64 s[20:21], s[0:1]
	s_cbranch_execz .LBB257_395
; %bb.394:                              ;   in Loop: Header=BB257_328 Depth=1
	v_and_b32_e32 v12, 7, v1
	v_ffbh_u32_e32 v44, v12
	v_min_u32_e32 v44, 32, v44
	v_lshrrev_b32_e32 v22, 3, v45
	v_subrev_u32_e32 v46, 28, v44
	v_sub_u32_e32 v44, 29, v44
	v_cmp_gt_u32_e64 s[0:1], 8, v45
	v_lshlrev_b64 v[46:47], v46, v[1:2]
	v_cndmask_b32_e64 v22, v22, v44, s[0:1]
	v_lshl_add_u32 v22, v22, 10, v26
	v_lshlrev_b32_e32 v1, 8, v1
	v_and_b32_e32 v44, 7, v46
	v_and_b32_e32 v22, 0xfc00, v22
	v_cndmask_b32_e64 v12, v12, v44, s[0:1]
	v_and_or_b32 v1, v1, s30, v22
	v_lshl_or_b32 v44, v12, 7, v1
.LBB257_395:                            ;   in Loop: Header=BB257_328 Depth=1
	s_or_b64 exec, exec, s[20:21]
.LBB257_396:                            ;   in Loop: Header=BB257_328 Depth=1
	s_or_b64 exec, exec, s[18:19]
.LBB257_397:                            ;   in Loop: Header=BB257_328 Depth=1
	s_or_b64 exec, exec, s[16:17]
	v_cmp_lt_u32_e64 s[0:1], s5, v9
	s_and_saveexec_b64 s[16:17], s[0:1]
	s_cbranch_execz .LBB257_403
; %bb.398:                              ;   in Loop: Header=BB257_328 Depth=1
	v_lshrrev_b32_e32 v1, 24, v9
	v_cmp_ne_u32_e64 s[0:1], s28, v1
	v_bfrev_b32_e32 v0, 1
	s_and_saveexec_b64 s[18:19], s[0:1]
	s_cbranch_execz .LBB257_402
; %bb.399:                              ;   in Loop: Header=BB257_328 Depth=1
	v_and_b32_e32 v45, 0x7f, v1
	v_cmp_ne_u32_e64 s[0:1], s29, v45
	v_mov_b32_e32 v0, 0x7c010000
	s_and_saveexec_b64 s[20:21], s[0:1]
	s_cbranch_execz .LBB257_401
; %bb.400:                              ;   in Loop: Header=BB257_328 Depth=1
	v_and_b32_e32 v0, 7, v1
	v_ffbh_u32_e32 v22, v0
	v_min_u32_e32 v22, 32, v22
	v_lshrrev_b32_e32 v12, 3, v45
	v_subrev_u32_e32 v46, 28, v22
	v_sub_u32_e32 v22, 29, v22
	v_cmp_gt_u32_e64 s[0:1], 8, v45
	v_lshlrev_b64 v[46:47], v46, v[1:2]
	v_cndmask_b32_e64 v12, v12, v22, s[0:1]
	v_lshlrev_b32_e32 v1, 8, v1
	v_lshl_add_u32 v12, v12, 10, v26
	v_and_b32_e32 v22, 7, v46
	v_and_or_b32 v1, v1, s30, v12
	v_cndmask_b32_e64 v0, v0, v22, s[0:1]
	v_lshlrev_b32_e32 v1, 16, v1
	v_lshl_or_b32 v0, v0, 23, v1
.LBB257_401:                            ;   in Loop: Header=BB257_328 Depth=1
	s_or_b64 exec, exec, s[20:21]
.LBB257_402:                            ;   in Loop: Header=BB257_328 Depth=1
	s_or_b64 exec, exec, s[18:19]
.LBB257_403:                            ;   in Loop: Header=BB257_328 Depth=1
	s_or_b64 exec, exec, s[16:17]
	v_mov_b32_e32 v1, v10
	v_cmp_ne_u16_sdwa s[0:1], v10, v2 src0_sel:BYTE_0 src1_sel:DWORD
	v_mov_b32_e32 v45, 0
	v_mov_b32_e32 v46, 0
	s_and_saveexec_b64 s[16:17], s[0:1]
	s_cbranch_execz .LBB257_409
; %bb.404:                              ;   in Loop: Header=BB257_328 Depth=1
	v_cmp_ne_u16_sdwa s[0:1], v10, s28 src0_sel:BYTE_0 src1_sel:DWORD
	v_mov_b32_e32 v46, 0x8000
	s_and_saveexec_b64 s[18:19], s[0:1]
	s_cbranch_execz .LBB257_408
; %bb.405:                              ;   in Loop: Header=BB257_328 Depth=1
	v_and_b32_e32 v47, 0x7f, v10
	v_cmp_ne_u32_e64 s[0:1], s29, v47
	v_mov_b32_e32 v46, 0x7c01
	s_and_saveexec_b64 s[20:21], s[0:1]
	s_cbranch_execz .LBB257_407
; %bb.406:                              ;   in Loop: Header=BB257_328 Depth=1
	v_and_b32_e32 v12, 7, v10
	v_ffbh_u32_e32 v46, v12
	v_min_u32_e32 v46, 32, v46
	v_lshrrev_b32_e32 v22, 3, v47
	v_subrev_u32_e32 v48, 28, v46
	v_sub_u32_e32 v46, 29, v46
	v_cmp_gt_u32_e64 s[0:1], 8, v47
	v_lshlrev_b64 v[48:49], v48, v[1:2]
	v_cndmask_b32_e64 v22, v22, v46, s[0:1]
	v_lshl_add_u32 v22, v22, 10, v26
	v_lshlrev_b32_e32 v46, 8, v10
	v_and_b32_e32 v47, 7, v48
	v_and_b32_e32 v22, 0xfc00, v22
	v_cndmask_b32_e64 v12, v12, v47, s[0:1]
	v_and_or_b32 v22, v46, s30, v22
	v_lshl_or_b32 v46, v12, 7, v22
.LBB257_407:                            ;   in Loop: Header=BB257_328 Depth=1
	s_or_b64 exec, exec, s[20:21]
.LBB257_408:                            ;   in Loop: Header=BB257_328 Depth=1
	s_or_b64 exec, exec, s[18:19]
.LBB257_409:                            ;   in Loop: Header=BB257_328 Depth=1
	s_or_b64 exec, exec, s[16:17]
	v_lshrrev_b16_e32 v1, 8, v1
	v_cmp_ne_u16_e64 s[0:1], 0, v1
	v_mov_b32_e32 v47, 0
	s_and_saveexec_b64 s[16:17], s[0:1]
	s_cbranch_execz .LBB257_415
; %bb.410:                              ;   in Loop: Header=BB257_328 Depth=1
	v_cmp_ne_u16_e64 s[0:1], s28, v1
	v_bfrev_b32_e32 v47, 1
	s_and_saveexec_b64 s[18:19], s[0:1]
	s_cbranch_execz .LBB257_414
; %bb.411:                              ;   in Loop: Header=BB257_328 Depth=1
	v_and_b32_e32 v48, 0x7f, v1
	v_cmp_ne_u32_e64 s[0:1], s29, v48
	v_mov_b32_e32 v47, 0x7c010000
	s_and_saveexec_b64 s[20:21], s[0:1]
	s_cbranch_execz .LBB257_413
; %bb.412:                              ;   in Loop: Header=BB257_328 Depth=1
	v_and_b32_e32 v12, 7, v1
	v_ffbh_u32_e32 v47, v12
	v_min_u32_e32 v47, 32, v47
	v_lshrrev_b32_e32 v22, 3, v48
	v_subrev_u32_e32 v49, 28, v47
	v_sub_u32_e32 v47, 29, v47
	v_cmp_gt_u32_e64 s[0:1], 8, v48
	v_lshlrev_b64 v[49:50], v49, v[1:2]
	v_cndmask_b32_e64 v22, v22, v47, s[0:1]
	v_lshlrev_b32_e32 v1, 8, v1
	v_lshl_add_u32 v22, v22, 10, v26
	v_and_b32_e32 v47, 7, v49
	v_and_or_b32 v1, v1, s30, v22
	v_cndmask_b32_e64 v12, v12, v47, s[0:1]
	v_lshlrev_b32_e32 v1, 16, v1
	v_lshl_or_b32 v47, v12, 23, v1
.LBB257_413:                            ;   in Loop: Header=BB257_328 Depth=1
	s_or_b64 exec, exec, s[20:21]
.LBB257_414:                            ;   in Loop: Header=BB257_328 Depth=1
	s_or_b64 exec, exec, s[18:19]
.LBB257_415:                            ;   in Loop: Header=BB257_328 Depth=1
	s_or_b64 exec, exec, s[16:17]
	v_lshrrev_b32_e32 v1, 16, v10
	v_cmp_ne_u16_sdwa s[0:1], v1, v2 src0_sel:BYTE_0 src1_sel:DWORD
	s_and_saveexec_b64 s[16:17], s[0:1]
	s_cbranch_execz .LBB257_421
; %bb.416:                              ;   in Loop: Header=BB257_328 Depth=1
	v_cmp_ne_u16_sdwa s[0:1], v1, s28 src0_sel:BYTE_0 src1_sel:DWORD
	v_mov_b32_e32 v45, 0x8000
	s_and_saveexec_b64 s[18:19], s[0:1]
	s_cbranch_execz .LBB257_420
; %bb.417:                              ;   in Loop: Header=BB257_328 Depth=1
	v_bfe_u32 v48, v10, 16, 7
	v_cmp_ne_u32_e64 s[0:1], s29, v48
	v_mov_b32_e32 v45, 0x7c01
	s_and_saveexec_b64 s[20:21], s[0:1]
	s_cbranch_execz .LBB257_419
; %bb.418:                              ;   in Loop: Header=BB257_328 Depth=1
	v_and_b32_e32 v12, 7, v1
	v_ffbh_u32_e32 v45, v12
	v_min_u32_e32 v45, 32, v45
	v_lshrrev_b32_e32 v22, 3, v48
	v_subrev_u32_e32 v49, 28, v45
	v_sub_u32_e32 v45, 29, v45
	v_cmp_gt_u32_e64 s[0:1], 8, v48
	v_lshlrev_b64 v[49:50], v49, v[1:2]
	v_cndmask_b32_e64 v22, v22, v45, s[0:1]
	v_lshl_add_u32 v22, v22, 10, v26
	v_lshlrev_b32_e32 v1, 8, v1
	v_and_b32_e32 v45, 7, v49
	v_and_b32_e32 v22, 0xfc00, v22
	v_cndmask_b32_e64 v12, v12, v45, s[0:1]
	v_and_or_b32 v1, v1, s30, v22
	v_lshl_or_b32 v45, v12, 7, v1
.LBB257_419:                            ;   in Loop: Header=BB257_328 Depth=1
	s_or_b64 exec, exec, s[20:21]
.LBB257_420:                            ;   in Loop: Header=BB257_328 Depth=1
	s_or_b64 exec, exec, s[18:19]
.LBB257_421:                            ;   in Loop: Header=BB257_328 Depth=1
	s_or_b64 exec, exec, s[16:17]
	v_cmp_lt_u64_e64 s[0:1], s[4:5], v[9:10]
	v_mov_b32_e32 v9, 0
	s_and_saveexec_b64 s[16:17], s[0:1]
	s_cbranch_execz .LBB257_427
; %bb.422:                              ;   in Loop: Header=BB257_328 Depth=1
	v_lshrrev_b32_e32 v1, 24, v10
	v_cmp_ne_u32_e64 s[0:1], s28, v1
	v_bfrev_b32_e32 v9, 1
	s_and_saveexec_b64 s[18:19], s[0:1]
	s_cbranch_execz .LBB257_426
; %bb.423:                              ;   in Loop: Header=BB257_328 Depth=1
	v_and_b32_e32 v10, 0x7f, v1
	v_cmp_ne_u32_e64 s[0:1], s29, v10
	v_mov_b32_e32 v9, 0x7c010000
	s_and_saveexec_b64 s[20:21], s[0:1]
	s_cbranch_execz .LBB257_425
; %bb.424:                              ;   in Loop: Header=BB257_328 Depth=1
	v_and_b32_e32 v9, 7, v1
	v_ffbh_u32_e32 v22, v9
	v_min_u32_e32 v22, 32, v22
	v_lshrrev_b32_e32 v12, 3, v10
	v_subrev_u32_e32 v48, 28, v22
	v_sub_u32_e32 v22, 29, v22
	v_cmp_gt_u32_e64 s[0:1], 8, v10
	v_lshlrev_b64 v[48:49], v48, v[1:2]
	v_cndmask_b32_e64 v10, v12, v22, s[0:1]
	v_lshlrev_b32_e32 v1, 8, v1
	v_lshl_add_u32 v10, v10, 10, v26
	v_and_b32_e32 v12, 7, v48
	v_and_or_b32 v1, v1, s30, v10
	v_cndmask_b32_e64 v9, v9, v12, s[0:1]
	v_lshlrev_b32_e32 v1, 16, v1
	v_lshl_or_b32 v9, v9, 23, v1
.LBB257_425:                            ;   in Loop: Header=BB257_328 Depth=1
	s_or_b64 exec, exec, s[20:21]
.LBB257_426:                            ;   in Loop: Header=BB257_328 Depth=1
	s_or_b64 exec, exec, s[18:19]
.LBB257_427:                            ;   in Loop: Header=BB257_328 Depth=1
	s_or_b64 exec, exec, s[16:17]
	s_waitcnt vmcnt(0)
	v_fma_mixlo_f16 v12, v41, v42, 0 op_sel:[0,1,0] op_sel_hi:[0,1,0]
	v_lshlrev_b32_e32 v48, 16, v12
	v_or_b32_e32 v12, v47, v46
	v_or_b32_e32 v1, v0, v44
	v_fma_mixlo_f16 v0, v41, v0, 0 op_sel:[0,1,0] op_sel_hi:[0,1,0]
	v_fma_mixlo_f16 v12, v41, v12, 0 op_sel_hi:[0,1,0]
	v_lshlrev_b32_e32 v10, 16, v0
	v_fma_mixlo_f16 v0, v41, v1, 0 op_sel_hi:[0,1,0]
	v_or_b32_e32 v1, v42, v43
	v_and_b32_e32 v46, 0xffff, v12
	v_or_b32_e32 v12, v9, v45
	v_fma_mixlo_f16 v1, v41, v1, 0 op_sel_hi:[0,1,0]
	v_fma_mixlo_f16 v22, v41, v47, 0 op_sel:[0,1,0] op_sel_hi:[0,1,0]
	v_fma_mixlo_f16 v12, v41, v12, 0 op_sel_hi:[0,1,0]
	v_fma_mixlo_f16 v9, v41, v9, 0 op_sel:[0,1,0] op_sel_hi:[0,1,0]
	v_and_b32_e32 v44, 0xffff, v0
	v_and_b32_e32 v49, 0xffff, v1
	v_lshlrev_b32_e32 v43, 16, v22
	v_lshlrev_b32_e32 v9, 16, v9
	v_and_b32_e32 v41, 0xffff, v12
	v_or_b32_e32 v0, v10, v44
	v_or_b32_e32 v1, v48, v49
	;; [unrolled: 1-line block ×4, first 2 shown]
	s_and_saveexec_b64 s[16:17], vcc
	s_cbranch_execz .LBB257_429
; %bb.428:                              ;   in Loop: Header=BB257_328 Depth=1
	v_cmp_gt_i32_e64 s[0:1], s33, v27
	v_cndmask_b32_e64 v0, 0, v49, s[0:1]
	v_cmp_gt_i32_e64 s[0:1], s33, v34
	v_cndmask_b32_e64 v1, 0, v48, s[0:1]
	v_cmp_gt_i32_e64 s[0:1], s33, v33
	v_or_b32_e32 v1, v1, v0
	v_cndmask_b32_e64 v0, 0, v44, s[0:1]
	v_cmp_gt_i32_e64 s[0:1], s33, v32
	v_cndmask_b32_e64 v10, 0, v10, s[0:1]
	v_cmp_gt_i32_e64 s[0:1], s33, v31
	v_or_b32_e32 v0, v10, v0
	v_cndmask_b32_e64 v10, 0, v46, s[0:1]
	v_cmp_gt_i32_e64 s[0:1], s33, v30
	v_cndmask_b32_e64 v12, 0, v43, s[0:1]
	v_cmp_gt_i32_e64 s[0:1], s33, v29
	v_or_b32_e32 v42, v12, v10
	v_cndmask_b32_e64 v10, 0, v41, s[0:1]
	v_cmp_gt_i32_e64 s[0:1], s33, v28
	v_cndmask_b32_e64 v9, 0, v9, s[0:1]
	v_or_b32_e32 v45, v9, v10
.LBB257_429:                            ;   in Loop: Header=BB257_328 Depth=1
	s_or_b64 exec, exec, s[16:17]
	;;#ASMSTART
	v_pk_mul_f16 v1, v38, v1;

	;;#ASMEND
	;;#ASMSTART
	v_pk_mul_f16 v0, v37, v0;

	;;#ASMEND
	;; [unrolled: 4-line block ×4, first 2 shown]
	;;#ASMSTART
	v_pk_add_f16 v0, v1, v0;

	;;#ASMEND
	;;#ASMSTART
	v_pk_add_f16 v0, v0, v9;

	;;#ASMEND
	;; [unrolled: 4-line block ×3, first 2 shown]
	v_lshrrev_b32_e32 v1, 16, v0
	v_and_b32_e32 v0, 0xffff, v0
	;;#ASMSTART
	v_cvt_f32_f16 v41, v0;
	;;#ASMEND
	;;#ASMSTART
	v_cvt_f32_f16 v42, v1;
	;;#ASMEND
	global_load_dwordx2 v[9:10], v[7:8], off offset:1024
	v_mov_b32_e32 v44, 0
	global_load_dword v43, v44, s[14:15]
	v_mov_b32_e32 v45, 0
	s_waitcnt vmcnt(1)
	v_cmp_ne_u16_sdwa s[0:1], v9, v2 src0_sel:BYTE_0 src1_sel:DWORD
	s_and_saveexec_b64 s[16:17], s[0:1]
	s_cbranch_execz .LBB257_435
; %bb.430:                              ;   in Loop: Header=BB257_328 Depth=1
	v_cmp_ne_u16_sdwa s[0:1], v9, s28 src0_sel:BYTE_0 src1_sel:DWORD
	v_mov_b32_e32 v45, 0x8000
	s_and_saveexec_b64 s[18:19], s[0:1]
	s_cbranch_execz .LBB257_434
; %bb.431:                              ;   in Loop: Header=BB257_328 Depth=1
	v_and_b32_e32 v0, 0x7f, v9
	v_cmp_ne_u32_e64 s[0:1], s29, v0
	v_mov_b32_e32 v45, 0x7c01
	s_and_saveexec_b64 s[20:21], s[0:1]
	s_cbranch_execz .LBB257_433
; %bb.432:                              ;   in Loop: Header=BB257_328 Depth=1
	v_and_b32_e32 v1, 7, v9
	v_ffbh_u32_e32 v22, v1
	v_min_u32_e32 v22, 32, v22
	v_lshrrev_b32_e32 v12, 3, v0
	v_subrev_u32_e32 v45, 28, v22
	v_sub_u32_e32 v22, 29, v22
	v_cmp_gt_u32_e64 s[0:1], 8, v0
	v_lshlrev_b64 v[45:46], v45, v[9:10]
	v_cndmask_b32_e64 v0, v12, v22, s[0:1]
	v_lshl_add_u32 v0, v0, 10, v26
	v_lshlrev_b32_e32 v12, 8, v9
	v_and_b32_e32 v22, 7, v45
	v_and_b32_e32 v0, 0xfc00, v0
	v_cndmask_b32_e64 v1, v1, v22, s[0:1]
	v_and_or_b32 v0, v12, s30, v0
	v_lshl_or_b32 v45, v1, 7, v0
.LBB257_433:                            ;   in Loop: Header=BB257_328 Depth=1
	s_or_b64 exec, exec, s[20:21]
.LBB257_434:                            ;   in Loop: Header=BB257_328 Depth=1
	s_or_b64 exec, exec, s[18:19]
.LBB257_435:                            ;   in Loop: Header=BB257_328 Depth=1
	s_or_b64 exec, exec, s[16:17]
	v_lshrrev_b16_e32 v1, 8, v9
	v_cmp_ne_u16_e64 s[0:1], 0, v1
	s_and_saveexec_b64 s[16:17], s[0:1]
	s_cbranch_execz .LBB257_441
; %bb.436:                              ;   in Loop: Header=BB257_328 Depth=1
	v_cmp_ne_u16_e64 s[0:1], s28, v1
	v_bfrev_b32_e32 v44, 1
	s_and_saveexec_b64 s[18:19], s[0:1]
	s_cbranch_execz .LBB257_440
; %bb.437:                              ;   in Loop: Header=BB257_328 Depth=1
	v_and_b32_e32 v0, 0x7f, v1
	v_cmp_ne_u32_e64 s[0:1], s29, v0
	v_mov_b32_e32 v44, 0x7c010000
	s_and_saveexec_b64 s[20:21], s[0:1]
	s_cbranch_execz .LBB257_439
; %bb.438:                              ;   in Loop: Header=BB257_328 Depth=1
	v_and_b32_e32 v12, 7, v1
	v_ffbh_u32_e32 v44, v12
	v_min_u32_e32 v44, 32, v44
	v_lshrrev_b32_e32 v22, 3, v0
	v_subrev_u32_e32 v46, 28, v44
	v_sub_u32_e32 v44, 29, v44
	v_cmp_gt_u32_e64 s[0:1], 8, v0
	v_lshlrev_b64 v[46:47], v46, v[1:2]
	v_cndmask_b32_e64 v0, v22, v44, s[0:1]
	v_lshlrev_b32_e32 v1, 8, v1
	v_lshl_add_u32 v0, v0, 10, v26
	v_and_b32_e32 v22, 7, v46
	v_and_or_b32 v0, v1, s30, v0
	v_cndmask_b32_e64 v12, v12, v22, s[0:1]
	v_lshlrev_b32_e32 v0, 16, v0
	v_lshl_or_b32 v44, v12, 23, v0
.LBB257_439:                            ;   in Loop: Header=BB257_328 Depth=1
	s_or_b64 exec, exec, s[20:21]
.LBB257_440:                            ;   in Loop: Header=BB257_328 Depth=1
	s_or_b64 exec, exec, s[18:19]
.LBB257_441:                            ;   in Loop: Header=BB257_328 Depth=1
	s_or_b64 exec, exec, s[16:17]
	v_lshrrev_b32_e32 v1, 16, v9
	v_cmp_ne_u16_sdwa s[0:1], v1, v2 src0_sel:BYTE_0 src1_sel:DWORD
	v_mov_b32_e32 v0, 0
	v_mov_b32_e32 v46, 0
	s_and_saveexec_b64 s[16:17], s[0:1]
	s_cbranch_execz .LBB257_447
; %bb.442:                              ;   in Loop: Header=BB257_328 Depth=1
	v_cmp_ne_u16_sdwa s[0:1], v1, s28 src0_sel:BYTE_0 src1_sel:DWORD
	v_mov_b32_e32 v46, 0x8000
	s_and_saveexec_b64 s[18:19], s[0:1]
	s_cbranch_execz .LBB257_446
; %bb.443:                              ;   in Loop: Header=BB257_328 Depth=1
	v_bfe_u32 v47, v9, 16, 7
	v_cmp_ne_u32_e64 s[0:1], s29, v47
	v_mov_b32_e32 v46, 0x7c01
	s_and_saveexec_b64 s[20:21], s[0:1]
	s_cbranch_execz .LBB257_445
; %bb.444:                              ;   in Loop: Header=BB257_328 Depth=1
	v_and_b32_e32 v12, 7, v1
	v_ffbh_u32_e32 v46, v12
	v_min_u32_e32 v46, 32, v46
	v_lshrrev_b32_e32 v22, 3, v47
	v_subrev_u32_e32 v48, 28, v46
	v_sub_u32_e32 v46, 29, v46
	v_cmp_gt_u32_e64 s[0:1], 8, v47
	v_lshlrev_b64 v[48:49], v48, v[1:2]
	v_cndmask_b32_e64 v22, v22, v46, s[0:1]
	v_lshl_add_u32 v22, v22, 10, v26
	v_lshlrev_b32_e32 v1, 8, v1
	v_and_b32_e32 v46, 7, v48
	v_and_b32_e32 v22, 0xfc00, v22
	v_cndmask_b32_e64 v12, v12, v46, s[0:1]
	v_and_or_b32 v1, v1, s30, v22
	v_lshl_or_b32 v46, v12, 7, v1
.LBB257_445:                            ;   in Loop: Header=BB257_328 Depth=1
	s_or_b64 exec, exec, s[20:21]
.LBB257_446:                            ;   in Loop: Header=BB257_328 Depth=1
	s_or_b64 exec, exec, s[18:19]
.LBB257_447:                            ;   in Loop: Header=BB257_328 Depth=1
	s_or_b64 exec, exec, s[16:17]
	v_cmp_lt_u32_e64 s[0:1], s5, v9
	s_and_saveexec_b64 s[16:17], s[0:1]
	s_cbranch_execz .LBB257_453
; %bb.448:                              ;   in Loop: Header=BB257_328 Depth=1
	v_lshrrev_b32_e32 v1, 24, v9
	v_cmp_ne_u32_e64 s[0:1], s28, v1
	v_bfrev_b32_e32 v0, 1
	s_and_saveexec_b64 s[18:19], s[0:1]
	s_cbranch_execz .LBB257_452
; %bb.449:                              ;   in Loop: Header=BB257_328 Depth=1
	v_and_b32_e32 v47, 0x7f, v1
	v_cmp_ne_u32_e64 s[0:1], s29, v47
	v_mov_b32_e32 v0, 0x7c010000
	s_and_saveexec_b64 s[20:21], s[0:1]
	s_cbranch_execz .LBB257_451
; %bb.450:                              ;   in Loop: Header=BB257_328 Depth=1
	v_and_b32_e32 v0, 7, v1
	v_ffbh_u32_e32 v22, v0
	v_min_u32_e32 v22, 32, v22
	v_lshrrev_b32_e32 v12, 3, v47
	v_subrev_u32_e32 v48, 28, v22
	v_sub_u32_e32 v22, 29, v22
	v_cmp_gt_u32_e64 s[0:1], 8, v47
	v_lshlrev_b64 v[48:49], v48, v[1:2]
	v_cndmask_b32_e64 v12, v12, v22, s[0:1]
	v_lshlrev_b32_e32 v1, 8, v1
	v_lshl_add_u32 v12, v12, 10, v26
	v_and_b32_e32 v22, 7, v48
	v_and_or_b32 v1, v1, s30, v12
	v_cndmask_b32_e64 v0, v0, v22, s[0:1]
	v_lshlrev_b32_e32 v1, 16, v1
	v_lshl_or_b32 v0, v0, 23, v1
.LBB257_451:                            ;   in Loop: Header=BB257_328 Depth=1
	s_or_b64 exec, exec, s[20:21]
.LBB257_452:                            ;   in Loop: Header=BB257_328 Depth=1
	s_or_b64 exec, exec, s[18:19]
.LBB257_453:                            ;   in Loop: Header=BB257_328 Depth=1
	s_or_b64 exec, exec, s[16:17]
	v_mov_b32_e32 v1, v10
	v_cmp_ne_u16_sdwa s[0:1], v10, v2 src0_sel:BYTE_0 src1_sel:DWORD
	v_mov_b32_e32 v47, 0
	v_mov_b32_e32 v48, 0
	s_and_saveexec_b64 s[16:17], s[0:1]
	s_cbranch_execz .LBB257_459
; %bb.454:                              ;   in Loop: Header=BB257_328 Depth=1
	v_cmp_ne_u16_sdwa s[0:1], v10, s28 src0_sel:BYTE_0 src1_sel:DWORD
	v_mov_b32_e32 v48, 0x8000
	s_and_saveexec_b64 s[18:19], s[0:1]
	s_cbranch_execz .LBB257_458
; %bb.455:                              ;   in Loop: Header=BB257_328 Depth=1
	v_and_b32_e32 v49, 0x7f, v10
	v_cmp_ne_u32_e64 s[0:1], s29, v49
	v_mov_b32_e32 v48, 0x7c01
	s_and_saveexec_b64 s[20:21], s[0:1]
	s_cbranch_execz .LBB257_457
; %bb.456:                              ;   in Loop: Header=BB257_328 Depth=1
	v_and_b32_e32 v12, 7, v10
	v_ffbh_u32_e32 v48, v12
	v_min_u32_e32 v48, 32, v48
	v_lshrrev_b32_e32 v22, 3, v49
	v_subrev_u32_e32 v50, 28, v48
	v_sub_u32_e32 v48, 29, v48
	v_cmp_gt_u32_e64 s[0:1], 8, v49
	v_lshlrev_b64 v[50:51], v50, v[1:2]
	v_cndmask_b32_e64 v22, v22, v48, s[0:1]
	v_lshl_add_u32 v22, v22, 10, v26
	v_lshlrev_b32_e32 v48, 8, v10
	v_and_b32_e32 v49, 7, v50
	v_and_b32_e32 v22, 0xfc00, v22
	v_cndmask_b32_e64 v12, v12, v49, s[0:1]
	v_and_or_b32 v22, v48, s30, v22
	v_lshl_or_b32 v48, v12, 7, v22
.LBB257_457:                            ;   in Loop: Header=BB257_328 Depth=1
	s_or_b64 exec, exec, s[20:21]
.LBB257_458:                            ;   in Loop: Header=BB257_328 Depth=1
	s_or_b64 exec, exec, s[18:19]
.LBB257_459:                            ;   in Loop: Header=BB257_328 Depth=1
	s_or_b64 exec, exec, s[16:17]
	v_lshrrev_b16_e32 v1, 8, v1
	v_cmp_ne_u16_e64 s[0:1], 0, v1
	v_mov_b32_e32 v49, 0
	s_and_saveexec_b64 s[16:17], s[0:1]
	s_cbranch_execz .LBB257_465
; %bb.460:                              ;   in Loop: Header=BB257_328 Depth=1
	v_cmp_ne_u16_e64 s[0:1], s28, v1
	v_bfrev_b32_e32 v49, 1
	s_and_saveexec_b64 s[18:19], s[0:1]
	s_cbranch_execz .LBB257_464
; %bb.461:                              ;   in Loop: Header=BB257_328 Depth=1
	v_and_b32_e32 v50, 0x7f, v1
	v_cmp_ne_u32_e64 s[0:1], s29, v50
	v_mov_b32_e32 v49, 0x7c010000
	s_and_saveexec_b64 s[20:21], s[0:1]
	s_cbranch_execz .LBB257_463
; %bb.462:                              ;   in Loop: Header=BB257_328 Depth=1
	v_and_b32_e32 v12, 7, v1
	v_ffbh_u32_e32 v49, v12
	v_min_u32_e32 v49, 32, v49
	v_lshrrev_b32_e32 v22, 3, v50
	v_subrev_u32_e32 v51, 28, v49
	v_sub_u32_e32 v49, 29, v49
	v_cmp_gt_u32_e64 s[0:1], 8, v50
	v_lshlrev_b64 v[51:52], v51, v[1:2]
	v_cndmask_b32_e64 v22, v22, v49, s[0:1]
	v_lshlrev_b32_e32 v1, 8, v1
	v_lshl_add_u32 v22, v22, 10, v26
	v_and_b32_e32 v49, 7, v51
	v_and_or_b32 v1, v1, s30, v22
	v_cndmask_b32_e64 v12, v12, v49, s[0:1]
	v_lshlrev_b32_e32 v1, 16, v1
	v_lshl_or_b32 v49, v12, 23, v1
.LBB257_463:                            ;   in Loop: Header=BB257_328 Depth=1
	s_or_b64 exec, exec, s[20:21]
.LBB257_464:                            ;   in Loop: Header=BB257_328 Depth=1
	s_or_b64 exec, exec, s[18:19]
.LBB257_465:                            ;   in Loop: Header=BB257_328 Depth=1
	s_or_b64 exec, exec, s[16:17]
	v_lshrrev_b32_e32 v1, 16, v10
	v_cmp_ne_u16_sdwa s[0:1], v1, v2 src0_sel:BYTE_0 src1_sel:DWORD
	s_and_saveexec_b64 s[16:17], s[0:1]
	s_cbranch_execz .LBB257_471
; %bb.466:                              ;   in Loop: Header=BB257_328 Depth=1
	v_cmp_ne_u16_sdwa s[0:1], v1, s28 src0_sel:BYTE_0 src1_sel:DWORD
	v_mov_b32_e32 v47, 0x8000
	s_and_saveexec_b64 s[18:19], s[0:1]
	s_cbranch_execz .LBB257_470
; %bb.467:                              ;   in Loop: Header=BB257_328 Depth=1
	v_bfe_u32 v50, v10, 16, 7
	v_cmp_ne_u32_e64 s[0:1], s29, v50
	v_mov_b32_e32 v47, 0x7c01
	s_and_saveexec_b64 s[20:21], s[0:1]
	s_cbranch_execz .LBB257_469
; %bb.468:                              ;   in Loop: Header=BB257_328 Depth=1
	v_and_b32_e32 v12, 7, v1
	v_ffbh_u32_e32 v47, v12
	v_min_u32_e32 v47, 32, v47
	v_lshrrev_b32_e32 v22, 3, v50
	v_subrev_u32_e32 v51, 28, v47
	v_sub_u32_e32 v47, 29, v47
	v_cmp_gt_u32_e64 s[0:1], 8, v50
	v_lshlrev_b64 v[51:52], v51, v[1:2]
	v_cndmask_b32_e64 v22, v22, v47, s[0:1]
	v_lshl_add_u32 v22, v22, 10, v26
	v_lshlrev_b32_e32 v1, 8, v1
	v_and_b32_e32 v47, 7, v51
	v_and_b32_e32 v22, 0xfc00, v22
	v_cndmask_b32_e64 v12, v12, v47, s[0:1]
	v_and_or_b32 v1, v1, s30, v22
	v_lshl_or_b32 v47, v12, 7, v1
.LBB257_469:                            ;   in Loop: Header=BB257_328 Depth=1
	s_or_b64 exec, exec, s[20:21]
.LBB257_470:                            ;   in Loop: Header=BB257_328 Depth=1
	s_or_b64 exec, exec, s[18:19]
.LBB257_471:                            ;   in Loop: Header=BB257_328 Depth=1
	s_or_b64 exec, exec, s[16:17]
	v_cmp_lt_u64_e64 s[0:1], s[4:5], v[9:10]
	v_mov_b32_e32 v9, 0
	s_and_saveexec_b64 s[16:17], s[0:1]
	s_cbranch_execz .LBB257_477
; %bb.472:                              ;   in Loop: Header=BB257_328 Depth=1
	v_lshrrev_b32_e32 v1, 24, v10
	v_cmp_ne_u32_e64 s[0:1], s28, v1
	v_bfrev_b32_e32 v9, 1
	s_and_saveexec_b64 s[18:19], s[0:1]
	s_cbranch_execz .LBB257_476
; %bb.473:                              ;   in Loop: Header=BB257_328 Depth=1
	v_and_b32_e32 v10, 0x7f, v1
	v_cmp_ne_u32_e64 s[0:1], s29, v10
	v_mov_b32_e32 v9, 0x7c010000
	s_and_saveexec_b64 s[20:21], s[0:1]
	s_cbranch_execz .LBB257_475
; %bb.474:                              ;   in Loop: Header=BB257_328 Depth=1
	v_and_b32_e32 v9, 7, v1
	v_ffbh_u32_e32 v22, v9
	v_min_u32_e32 v22, 32, v22
	v_lshrrev_b32_e32 v12, 3, v10
	v_subrev_u32_e32 v50, 28, v22
	v_sub_u32_e32 v22, 29, v22
	v_cmp_gt_u32_e64 s[0:1], 8, v10
	v_lshlrev_b64 v[50:51], v50, v[1:2]
	v_cndmask_b32_e64 v10, v12, v22, s[0:1]
	v_lshlrev_b32_e32 v1, 8, v1
	v_lshl_add_u32 v10, v10, 10, v26
	v_and_b32_e32 v12, 7, v50
	v_and_or_b32 v1, v1, s30, v10
	v_cndmask_b32_e64 v9, v9, v12, s[0:1]
	v_lshlrev_b32_e32 v1, 16, v1
	v_lshl_or_b32 v9, v9, 23, v1
.LBB257_475:                            ;   in Loop: Header=BB257_328 Depth=1
	s_or_b64 exec, exec, s[20:21]
.LBB257_476:                            ;   in Loop: Header=BB257_328 Depth=1
	s_or_b64 exec, exec, s[18:19]
.LBB257_477:                            ;   in Loop: Header=BB257_328 Depth=1
	s_or_b64 exec, exec, s[16:17]
	s_waitcnt vmcnt(0)
	v_fma_mixlo_f16 v12, v43, v44, 0 op_sel:[0,1,0] op_sel_hi:[0,1,0]
	v_lshlrev_b32_e32 v50, 16, v12
	v_or_b32_e32 v12, v49, v48
	v_or_b32_e32 v1, v0, v46
	v_fma_mixlo_f16 v0, v43, v0, 0 op_sel:[0,1,0] op_sel_hi:[0,1,0]
	v_fma_mixlo_f16 v12, v43, v12, 0 op_sel_hi:[0,1,0]
	v_lshlrev_b32_e32 v10, 16, v0
	v_fma_mixlo_f16 v0, v43, v1, 0 op_sel_hi:[0,1,0]
	v_or_b32_e32 v1, v44, v45
	v_and_b32_e32 v48, 0xffff, v12
	v_or_b32_e32 v12, v9, v47
	v_fma_mixlo_f16 v1, v43, v1, 0 op_sel_hi:[0,1,0]
	v_fma_mixlo_f16 v22, v43, v49, 0 op_sel:[0,1,0] op_sel_hi:[0,1,0]
	v_fma_mixlo_f16 v12, v43, v12, 0 op_sel_hi:[0,1,0]
	v_fma_mixlo_f16 v9, v43, v9, 0 op_sel:[0,1,0] op_sel_hi:[0,1,0]
	v_and_b32_e32 v46, 0xffff, v0
	v_and_b32_e32 v51, 0xffff, v1
	v_lshlrev_b32_e32 v45, 16, v22
	v_lshlrev_b32_e32 v9, 16, v9
	v_and_b32_e32 v43, 0xffff, v12
	v_or_b32_e32 v0, v10, v46
	v_or_b32_e32 v1, v50, v51
	;; [unrolled: 1-line block ×4, first 2 shown]
	s_and_saveexec_b64 s[16:17], vcc
	s_cbranch_execz .LBB257_479
; %bb.478:                              ;   in Loop: Header=BB257_328 Depth=1
	v_cmp_gt_i32_e64 s[0:1], s33, v27
	v_cndmask_b32_e64 v0, 0, v51, s[0:1]
	v_cmp_gt_i32_e64 s[0:1], s33, v34
	v_cndmask_b32_e64 v1, 0, v50, s[0:1]
	v_cmp_gt_i32_e64 s[0:1], s33, v33
	v_or_b32_e32 v1, v1, v0
	v_cndmask_b32_e64 v0, 0, v46, s[0:1]
	v_cmp_gt_i32_e64 s[0:1], s33, v32
	v_cndmask_b32_e64 v10, 0, v10, s[0:1]
	v_cmp_gt_i32_e64 s[0:1], s33, v31
	v_or_b32_e32 v0, v10, v0
	;; [unrolled: 5-line block ×3, first 2 shown]
	v_cndmask_b32_e64 v10, 0, v43, s[0:1]
	v_cmp_gt_i32_e64 s[0:1], s33, v28
	v_cndmask_b32_e64 v9, 0, v9, s[0:1]
	v_or_b32_e32 v47, v9, v10
.LBB257_479:                            ;   in Loop: Header=BB257_328 Depth=1
	s_or_b64 exec, exec, s[16:17]
	;;#ASMSTART
	v_pk_mul_f16 v1, v38, v1;

	;;#ASMEND
	;;#ASMSTART
	v_pk_mul_f16 v0, v37, v0;

	;;#ASMEND
	;; [unrolled: 4-line block ×4, first 2 shown]
	;;#ASMSTART
	v_pk_add_f16 v0, v1, v0;

	;;#ASMEND
	;;#ASMSTART
	v_pk_add_f16 v0, v0, v9;

	;;#ASMEND
	;; [unrolled: 4-line block ×3, first 2 shown]
	v_lshrrev_b32_e32 v1, 16, v0
	v_and_b32_e32 v0, 0xffff, v0
	;;#ASMSTART
	v_cvt_f32_f16 v43, v0;
	;;#ASMEND
	;;#ASMSTART
	v_cvt_f32_f16 v44, v1;
	;;#ASMEND
	global_load_dwordx2 v[9:10], v[7:8], off offset:1536
	v_mov_b32_e32 v46, 0
	global_load_dword v45, v46, s[14:15]
	v_mov_b32_e32 v47, 0
	s_waitcnt vmcnt(1)
	v_cmp_ne_u16_sdwa s[0:1], v9, v2 src0_sel:BYTE_0 src1_sel:DWORD
	s_and_saveexec_b64 s[16:17], s[0:1]
	s_cbranch_execz .LBB257_485
; %bb.480:                              ;   in Loop: Header=BB257_328 Depth=1
	v_cmp_ne_u16_sdwa s[0:1], v9, s28 src0_sel:BYTE_0 src1_sel:DWORD
	v_mov_b32_e32 v47, 0x8000
	s_and_saveexec_b64 s[18:19], s[0:1]
	s_cbranch_execz .LBB257_484
; %bb.481:                              ;   in Loop: Header=BB257_328 Depth=1
	v_and_b32_e32 v0, 0x7f, v9
	v_cmp_ne_u32_e64 s[0:1], s29, v0
	v_mov_b32_e32 v47, 0x7c01
	s_and_saveexec_b64 s[20:21], s[0:1]
	s_cbranch_execz .LBB257_483
; %bb.482:                              ;   in Loop: Header=BB257_328 Depth=1
	v_and_b32_e32 v1, 7, v9
	v_ffbh_u32_e32 v22, v1
	v_min_u32_e32 v22, 32, v22
	v_lshrrev_b32_e32 v12, 3, v0
	v_subrev_u32_e32 v47, 28, v22
	v_sub_u32_e32 v22, 29, v22
	v_cmp_gt_u32_e64 s[0:1], 8, v0
	v_lshlrev_b64 v[47:48], v47, v[9:10]
	v_cndmask_b32_e64 v0, v12, v22, s[0:1]
	v_lshl_add_u32 v0, v0, 10, v26
	v_lshlrev_b32_e32 v12, 8, v9
	v_and_b32_e32 v22, 7, v47
	v_and_b32_e32 v0, 0xfc00, v0
	v_cndmask_b32_e64 v1, v1, v22, s[0:1]
	v_and_or_b32 v0, v12, s30, v0
	v_lshl_or_b32 v47, v1, 7, v0
.LBB257_483:                            ;   in Loop: Header=BB257_328 Depth=1
	s_or_b64 exec, exec, s[20:21]
.LBB257_484:                            ;   in Loop: Header=BB257_328 Depth=1
	s_or_b64 exec, exec, s[18:19]
.LBB257_485:                            ;   in Loop: Header=BB257_328 Depth=1
	s_or_b64 exec, exec, s[16:17]
	v_lshrrev_b16_e32 v1, 8, v9
	v_cmp_ne_u16_e64 s[0:1], 0, v1
	s_and_saveexec_b64 s[16:17], s[0:1]
	s_cbranch_execz .LBB257_491
; %bb.486:                              ;   in Loop: Header=BB257_328 Depth=1
	v_cmp_ne_u16_e64 s[0:1], s28, v1
	v_bfrev_b32_e32 v46, 1
	s_and_saveexec_b64 s[18:19], s[0:1]
	s_cbranch_execz .LBB257_490
; %bb.487:                              ;   in Loop: Header=BB257_328 Depth=1
	v_and_b32_e32 v0, 0x7f, v1
	v_cmp_ne_u32_e64 s[0:1], s29, v0
	v_mov_b32_e32 v46, 0x7c010000
	s_and_saveexec_b64 s[20:21], s[0:1]
	s_cbranch_execz .LBB257_489
; %bb.488:                              ;   in Loop: Header=BB257_328 Depth=1
	v_and_b32_e32 v12, 7, v1
	v_ffbh_u32_e32 v46, v12
	v_min_u32_e32 v46, 32, v46
	v_lshrrev_b32_e32 v22, 3, v0
	v_subrev_u32_e32 v48, 28, v46
	v_sub_u32_e32 v46, 29, v46
	v_cmp_gt_u32_e64 s[0:1], 8, v0
	v_lshlrev_b64 v[48:49], v48, v[1:2]
	v_cndmask_b32_e64 v0, v22, v46, s[0:1]
	v_lshlrev_b32_e32 v1, 8, v1
	v_lshl_add_u32 v0, v0, 10, v26
	v_and_b32_e32 v22, 7, v48
	v_and_or_b32 v0, v1, s30, v0
	v_cndmask_b32_e64 v12, v12, v22, s[0:1]
	v_lshlrev_b32_e32 v0, 16, v0
	v_lshl_or_b32 v46, v12, 23, v0
.LBB257_489:                            ;   in Loop: Header=BB257_328 Depth=1
	s_or_b64 exec, exec, s[20:21]
.LBB257_490:                            ;   in Loop: Header=BB257_328 Depth=1
	s_or_b64 exec, exec, s[18:19]
.LBB257_491:                            ;   in Loop: Header=BB257_328 Depth=1
	s_or_b64 exec, exec, s[16:17]
	v_lshrrev_b32_e32 v1, 16, v9
	v_cmp_ne_u16_sdwa s[0:1], v1, v2 src0_sel:BYTE_0 src1_sel:DWORD
	v_mov_b32_e32 v0, 0
	v_mov_b32_e32 v48, 0
	s_and_saveexec_b64 s[16:17], s[0:1]
	s_cbranch_execz .LBB257_497
; %bb.492:                              ;   in Loop: Header=BB257_328 Depth=1
	v_cmp_ne_u16_sdwa s[0:1], v1, s28 src0_sel:BYTE_0 src1_sel:DWORD
	v_mov_b32_e32 v48, 0x8000
	s_and_saveexec_b64 s[18:19], s[0:1]
	s_cbranch_execz .LBB257_496
; %bb.493:                              ;   in Loop: Header=BB257_328 Depth=1
	v_bfe_u32 v49, v9, 16, 7
	v_cmp_ne_u32_e64 s[0:1], s29, v49
	v_mov_b32_e32 v48, 0x7c01
	s_and_saveexec_b64 s[20:21], s[0:1]
	s_cbranch_execz .LBB257_495
; %bb.494:                              ;   in Loop: Header=BB257_328 Depth=1
	v_and_b32_e32 v12, 7, v1
	v_ffbh_u32_e32 v48, v12
	v_min_u32_e32 v48, 32, v48
	v_lshrrev_b32_e32 v22, 3, v49
	v_subrev_u32_e32 v50, 28, v48
	v_sub_u32_e32 v48, 29, v48
	v_cmp_gt_u32_e64 s[0:1], 8, v49
	v_lshlrev_b64 v[50:51], v50, v[1:2]
	v_cndmask_b32_e64 v22, v22, v48, s[0:1]
	v_lshl_add_u32 v22, v22, 10, v26
	v_lshlrev_b32_e32 v1, 8, v1
	v_and_b32_e32 v48, 7, v50
	v_and_b32_e32 v22, 0xfc00, v22
	v_cndmask_b32_e64 v12, v12, v48, s[0:1]
	v_and_or_b32 v1, v1, s30, v22
	v_lshl_or_b32 v48, v12, 7, v1
.LBB257_495:                            ;   in Loop: Header=BB257_328 Depth=1
	s_or_b64 exec, exec, s[20:21]
.LBB257_496:                            ;   in Loop: Header=BB257_328 Depth=1
	s_or_b64 exec, exec, s[18:19]
.LBB257_497:                            ;   in Loop: Header=BB257_328 Depth=1
	s_or_b64 exec, exec, s[16:17]
	v_cmp_lt_u32_e64 s[0:1], s5, v9
	s_and_saveexec_b64 s[16:17], s[0:1]
	s_cbranch_execz .LBB257_503
; %bb.498:                              ;   in Loop: Header=BB257_328 Depth=1
	v_lshrrev_b32_e32 v1, 24, v9
	v_cmp_ne_u32_e64 s[0:1], s28, v1
	v_bfrev_b32_e32 v0, 1
	s_and_saveexec_b64 s[18:19], s[0:1]
	s_cbranch_execz .LBB257_502
; %bb.499:                              ;   in Loop: Header=BB257_328 Depth=1
	v_and_b32_e32 v49, 0x7f, v1
	v_cmp_ne_u32_e64 s[0:1], s29, v49
	v_mov_b32_e32 v0, 0x7c010000
	s_and_saveexec_b64 s[20:21], s[0:1]
	s_cbranch_execz .LBB257_501
; %bb.500:                              ;   in Loop: Header=BB257_328 Depth=1
	v_and_b32_e32 v0, 7, v1
	v_ffbh_u32_e32 v22, v0
	v_min_u32_e32 v22, 32, v22
	v_lshrrev_b32_e32 v12, 3, v49
	v_subrev_u32_e32 v50, 28, v22
	v_sub_u32_e32 v22, 29, v22
	v_cmp_gt_u32_e64 s[0:1], 8, v49
	v_lshlrev_b64 v[50:51], v50, v[1:2]
	v_cndmask_b32_e64 v12, v12, v22, s[0:1]
	v_lshlrev_b32_e32 v1, 8, v1
	v_lshl_add_u32 v12, v12, 10, v26
	v_and_b32_e32 v22, 7, v50
	v_and_or_b32 v1, v1, s30, v12
	v_cndmask_b32_e64 v0, v0, v22, s[0:1]
	v_lshlrev_b32_e32 v1, 16, v1
	v_lshl_or_b32 v0, v0, 23, v1
.LBB257_501:                            ;   in Loop: Header=BB257_328 Depth=1
	s_or_b64 exec, exec, s[20:21]
.LBB257_502:                            ;   in Loop: Header=BB257_328 Depth=1
	s_or_b64 exec, exec, s[18:19]
.LBB257_503:                            ;   in Loop: Header=BB257_328 Depth=1
	s_or_b64 exec, exec, s[16:17]
	v_mov_b32_e32 v1, v10
	v_cmp_ne_u16_sdwa s[0:1], v10, v2 src0_sel:BYTE_0 src1_sel:DWORD
	v_mov_b32_e32 v49, 0
	v_mov_b32_e32 v50, 0
	s_and_saveexec_b64 s[16:17], s[0:1]
	s_cbranch_execz .LBB257_509
; %bb.504:                              ;   in Loop: Header=BB257_328 Depth=1
	v_cmp_ne_u16_sdwa s[0:1], v10, s28 src0_sel:BYTE_0 src1_sel:DWORD
	v_mov_b32_e32 v50, 0x8000
	s_and_saveexec_b64 s[18:19], s[0:1]
	s_cbranch_execz .LBB257_508
; %bb.505:                              ;   in Loop: Header=BB257_328 Depth=1
	v_and_b32_e32 v51, 0x7f, v10
	v_cmp_ne_u32_e64 s[0:1], s29, v51
	v_mov_b32_e32 v50, 0x7c01
	s_and_saveexec_b64 s[20:21], s[0:1]
	s_cbranch_execz .LBB257_507
; %bb.506:                              ;   in Loop: Header=BB257_328 Depth=1
	v_and_b32_e32 v12, 7, v10
	v_ffbh_u32_e32 v50, v12
	v_min_u32_e32 v50, 32, v50
	v_lshrrev_b32_e32 v22, 3, v51
	v_subrev_u32_e32 v52, 28, v50
	v_sub_u32_e32 v50, 29, v50
	v_cmp_gt_u32_e64 s[0:1], 8, v51
	v_lshlrev_b64 v[52:53], v52, v[1:2]
	v_cndmask_b32_e64 v22, v22, v50, s[0:1]
	v_lshl_add_u32 v22, v22, 10, v26
	v_lshlrev_b32_e32 v50, 8, v10
	v_and_b32_e32 v51, 7, v52
	v_and_b32_e32 v22, 0xfc00, v22
	v_cndmask_b32_e64 v12, v12, v51, s[0:1]
	v_and_or_b32 v22, v50, s30, v22
	v_lshl_or_b32 v50, v12, 7, v22
.LBB257_507:                            ;   in Loop: Header=BB257_328 Depth=1
	s_or_b64 exec, exec, s[20:21]
.LBB257_508:                            ;   in Loop: Header=BB257_328 Depth=1
	s_or_b64 exec, exec, s[18:19]
.LBB257_509:                            ;   in Loop: Header=BB257_328 Depth=1
	s_or_b64 exec, exec, s[16:17]
	v_lshrrev_b16_e32 v1, 8, v1
	v_cmp_ne_u16_e64 s[0:1], 0, v1
	v_mov_b32_e32 v51, 0
	s_and_saveexec_b64 s[16:17], s[0:1]
	s_cbranch_execz .LBB257_515
; %bb.510:                              ;   in Loop: Header=BB257_328 Depth=1
	v_cmp_ne_u16_e64 s[0:1], s28, v1
	v_bfrev_b32_e32 v51, 1
	s_and_saveexec_b64 s[18:19], s[0:1]
	s_cbranch_execz .LBB257_514
; %bb.511:                              ;   in Loop: Header=BB257_328 Depth=1
	v_and_b32_e32 v52, 0x7f, v1
	v_cmp_ne_u32_e64 s[0:1], s29, v52
	v_mov_b32_e32 v51, 0x7c010000
	s_and_saveexec_b64 s[20:21], s[0:1]
	s_cbranch_execz .LBB257_513
; %bb.512:                              ;   in Loop: Header=BB257_328 Depth=1
	v_and_b32_e32 v12, 7, v1
	v_ffbh_u32_e32 v51, v12
	v_min_u32_e32 v51, 32, v51
	v_lshrrev_b32_e32 v22, 3, v52
	v_subrev_u32_e32 v53, 28, v51
	v_sub_u32_e32 v51, 29, v51
	v_cmp_gt_u32_e64 s[0:1], 8, v52
	v_lshlrev_b64 v[53:54], v53, v[1:2]
	v_cndmask_b32_e64 v22, v22, v51, s[0:1]
	v_lshlrev_b32_e32 v1, 8, v1
	v_lshl_add_u32 v22, v22, 10, v26
	v_and_b32_e32 v51, 7, v53
	v_and_or_b32 v1, v1, s30, v22
	v_cndmask_b32_e64 v12, v12, v51, s[0:1]
	v_lshlrev_b32_e32 v1, 16, v1
	v_lshl_or_b32 v51, v12, 23, v1
.LBB257_513:                            ;   in Loop: Header=BB257_328 Depth=1
	s_or_b64 exec, exec, s[20:21]
.LBB257_514:                            ;   in Loop: Header=BB257_328 Depth=1
	s_or_b64 exec, exec, s[18:19]
.LBB257_515:                            ;   in Loop: Header=BB257_328 Depth=1
	s_or_b64 exec, exec, s[16:17]
	v_lshrrev_b32_e32 v1, 16, v10
	v_cmp_ne_u16_sdwa s[0:1], v1, v2 src0_sel:BYTE_0 src1_sel:DWORD
	s_and_saveexec_b64 s[16:17], s[0:1]
	s_cbranch_execz .LBB257_521
; %bb.516:                              ;   in Loop: Header=BB257_328 Depth=1
	v_cmp_ne_u16_sdwa s[0:1], v1, s28 src0_sel:BYTE_0 src1_sel:DWORD
	v_mov_b32_e32 v49, 0x8000
	s_and_saveexec_b64 s[18:19], s[0:1]
	s_cbranch_execz .LBB257_520
; %bb.517:                              ;   in Loop: Header=BB257_328 Depth=1
	v_bfe_u32 v52, v10, 16, 7
	v_cmp_ne_u32_e64 s[0:1], s29, v52
	v_mov_b32_e32 v49, 0x7c01
	s_and_saveexec_b64 s[20:21], s[0:1]
	s_cbranch_execz .LBB257_519
; %bb.518:                              ;   in Loop: Header=BB257_328 Depth=1
	v_and_b32_e32 v12, 7, v1
	v_ffbh_u32_e32 v49, v12
	v_min_u32_e32 v49, 32, v49
	v_lshrrev_b32_e32 v22, 3, v52
	v_subrev_u32_e32 v53, 28, v49
	v_sub_u32_e32 v49, 29, v49
	v_cmp_gt_u32_e64 s[0:1], 8, v52
	v_lshlrev_b64 v[53:54], v53, v[1:2]
	v_cndmask_b32_e64 v22, v22, v49, s[0:1]
	v_lshl_add_u32 v22, v22, 10, v26
	v_lshlrev_b32_e32 v1, 8, v1
	v_and_b32_e32 v49, 7, v53
	v_and_b32_e32 v22, 0xfc00, v22
	v_cndmask_b32_e64 v12, v12, v49, s[0:1]
	v_and_or_b32 v1, v1, s30, v22
	v_lshl_or_b32 v49, v12, 7, v1
.LBB257_519:                            ;   in Loop: Header=BB257_328 Depth=1
	s_or_b64 exec, exec, s[20:21]
.LBB257_520:                            ;   in Loop: Header=BB257_328 Depth=1
	s_or_b64 exec, exec, s[18:19]
.LBB257_521:                            ;   in Loop: Header=BB257_328 Depth=1
	s_or_b64 exec, exec, s[16:17]
	v_cmp_lt_u64_e64 s[0:1], s[4:5], v[9:10]
	v_mov_b32_e32 v9, 0
	s_and_saveexec_b64 s[16:17], s[0:1]
	s_cbranch_execz .LBB257_527
; %bb.522:                              ;   in Loop: Header=BB257_328 Depth=1
	v_lshrrev_b32_e32 v1, 24, v10
	v_cmp_ne_u32_e64 s[0:1], s28, v1
	v_bfrev_b32_e32 v9, 1
	s_and_saveexec_b64 s[18:19], s[0:1]
	s_cbranch_execz .LBB257_526
; %bb.523:                              ;   in Loop: Header=BB257_328 Depth=1
	v_and_b32_e32 v10, 0x7f, v1
	v_cmp_ne_u32_e64 s[0:1], s29, v10
	v_mov_b32_e32 v9, 0x7c010000
	s_and_saveexec_b64 s[20:21], s[0:1]
	s_cbranch_execz .LBB257_525
; %bb.524:                              ;   in Loop: Header=BB257_328 Depth=1
	v_and_b32_e32 v9, 7, v1
	v_ffbh_u32_e32 v22, v9
	v_min_u32_e32 v22, 32, v22
	v_lshrrev_b32_e32 v12, 3, v10
	v_subrev_u32_e32 v52, 28, v22
	v_sub_u32_e32 v22, 29, v22
	v_cmp_gt_u32_e64 s[0:1], 8, v10
	v_lshlrev_b64 v[52:53], v52, v[1:2]
	v_cndmask_b32_e64 v10, v12, v22, s[0:1]
	v_lshlrev_b32_e32 v1, 8, v1
	v_lshl_add_u32 v10, v10, 10, v26
	v_and_b32_e32 v12, 7, v52
	v_and_or_b32 v1, v1, s30, v10
	v_cndmask_b32_e64 v9, v9, v12, s[0:1]
	v_lshlrev_b32_e32 v1, 16, v1
	v_lshl_or_b32 v9, v9, 23, v1
.LBB257_525:                            ;   in Loop: Header=BB257_328 Depth=1
	s_or_b64 exec, exec, s[20:21]
.LBB257_526:                            ;   in Loop: Header=BB257_328 Depth=1
	s_or_b64 exec, exec, s[18:19]
.LBB257_527:                            ;   in Loop: Header=BB257_328 Depth=1
	s_or_b64 exec, exec, s[16:17]
	s_waitcnt vmcnt(0)
	v_fma_mixlo_f16 v12, v45, v46, 0 op_sel:[0,1,0] op_sel_hi:[0,1,0]
	v_lshlrev_b32_e32 v52, 16, v12
	v_or_b32_e32 v12, v51, v50
	v_or_b32_e32 v1, v0, v48
	v_fma_mixlo_f16 v0, v45, v0, 0 op_sel:[0,1,0] op_sel_hi:[0,1,0]
	v_fma_mixlo_f16 v12, v45, v12, 0 op_sel_hi:[0,1,0]
	v_lshlrev_b32_e32 v10, 16, v0
	v_fma_mixlo_f16 v0, v45, v1, 0 op_sel_hi:[0,1,0]
	v_or_b32_e32 v1, v46, v47
	v_and_b32_e32 v50, 0xffff, v12
	v_or_b32_e32 v12, v9, v49
	v_fma_mixlo_f16 v1, v45, v1, 0 op_sel_hi:[0,1,0]
	v_fma_mixlo_f16 v22, v45, v51, 0 op_sel:[0,1,0] op_sel_hi:[0,1,0]
	v_fma_mixlo_f16 v12, v45, v12, 0 op_sel_hi:[0,1,0]
	v_fma_mixlo_f16 v9, v45, v9, 0 op_sel:[0,1,0] op_sel_hi:[0,1,0]
	v_and_b32_e32 v48, 0xffff, v0
	v_and_b32_e32 v53, 0xffff, v1
	v_lshlrev_b32_e32 v47, 16, v22
	v_lshlrev_b32_e32 v9, 16, v9
	v_and_b32_e32 v45, 0xffff, v12
	v_or_b32_e32 v0, v10, v48
	v_or_b32_e32 v1, v52, v53
	;; [unrolled: 1-line block ×4, first 2 shown]
	s_and_saveexec_b64 s[16:17], vcc
	s_cbranch_execz .LBB257_529
; %bb.528:                              ;   in Loop: Header=BB257_328 Depth=1
	v_cmp_gt_i32_e64 s[0:1], s33, v27
	v_cndmask_b32_e64 v0, 0, v53, s[0:1]
	v_cmp_gt_i32_e64 s[0:1], s33, v34
	v_cndmask_b32_e64 v1, 0, v52, s[0:1]
	v_cmp_gt_i32_e64 s[0:1], s33, v33
	v_or_b32_e32 v1, v1, v0
	v_cndmask_b32_e64 v0, 0, v48, s[0:1]
	v_cmp_gt_i32_e64 s[0:1], s33, v32
	v_cndmask_b32_e64 v10, 0, v10, s[0:1]
	v_cmp_gt_i32_e64 s[0:1], s33, v31
	v_or_b32_e32 v0, v10, v0
	;; [unrolled: 5-line block ×3, first 2 shown]
	v_cndmask_b32_e64 v10, 0, v45, s[0:1]
	v_cmp_gt_i32_e64 s[0:1], s33, v28
	v_cndmask_b32_e64 v9, 0, v9, s[0:1]
	v_or_b32_e32 v49, v9, v10
.LBB257_529:                            ;   in Loop: Header=BB257_328 Depth=1
	s_or_b64 exec, exec, s[16:17]
	;;#ASMSTART
	v_pk_mul_f16 v1, v38, v1;

	;;#ASMEND
	;;#ASMSTART
	v_pk_mul_f16 v0, v37, v0;

	;;#ASMEND
	;; [unrolled: 4-line block ×4, first 2 shown]
	;;#ASMSTART
	v_pk_add_f16 v0, v1, v0;

	;;#ASMEND
	;;#ASMSTART
	v_pk_add_f16 v0, v0, v9;

	;;#ASMEND
	;; [unrolled: 4-line block ×3, first 2 shown]
	v_lshrrev_b32_e32 v1, 16, v0
	v_and_b32_e32 v0, 0xffff, v0
	;;#ASMSTART
	v_cvt_f32_f16 v45, v0;
	;;#ASMEND
	;;#ASMSTART
	v_cvt_f32_f16 v46, v1;
	;;#ASMEND
	global_load_dwordx2 v[9:10], v[7:8], off offset:2048
	v_mov_b32_e32 v48, 0
	global_load_dword v47, v48, s[14:15]
	v_mov_b32_e32 v49, 0
	s_waitcnt vmcnt(1)
	v_cmp_ne_u16_sdwa s[0:1], v9, v2 src0_sel:BYTE_0 src1_sel:DWORD
	s_and_saveexec_b64 s[16:17], s[0:1]
	s_cbranch_execz .LBB257_535
; %bb.530:                              ;   in Loop: Header=BB257_328 Depth=1
	v_cmp_ne_u16_sdwa s[0:1], v9, s28 src0_sel:BYTE_0 src1_sel:DWORD
	v_mov_b32_e32 v49, 0x8000
	s_and_saveexec_b64 s[18:19], s[0:1]
	s_cbranch_execz .LBB257_534
; %bb.531:                              ;   in Loop: Header=BB257_328 Depth=1
	v_and_b32_e32 v0, 0x7f, v9
	v_cmp_ne_u32_e64 s[0:1], s29, v0
	v_mov_b32_e32 v49, 0x7c01
	s_and_saveexec_b64 s[20:21], s[0:1]
	s_cbranch_execz .LBB257_533
; %bb.532:                              ;   in Loop: Header=BB257_328 Depth=1
	v_and_b32_e32 v1, 7, v9
	v_ffbh_u32_e32 v22, v1
	v_min_u32_e32 v22, 32, v22
	v_lshrrev_b32_e32 v12, 3, v0
	v_subrev_u32_e32 v49, 28, v22
	v_sub_u32_e32 v22, 29, v22
	v_cmp_gt_u32_e64 s[0:1], 8, v0
	v_lshlrev_b64 v[49:50], v49, v[9:10]
	v_cndmask_b32_e64 v0, v12, v22, s[0:1]
	v_lshl_add_u32 v0, v0, 10, v26
	v_lshlrev_b32_e32 v12, 8, v9
	v_and_b32_e32 v22, 7, v49
	v_and_b32_e32 v0, 0xfc00, v0
	v_cndmask_b32_e64 v1, v1, v22, s[0:1]
	v_and_or_b32 v0, v12, s30, v0
	v_lshl_or_b32 v49, v1, 7, v0
.LBB257_533:                            ;   in Loop: Header=BB257_328 Depth=1
	s_or_b64 exec, exec, s[20:21]
.LBB257_534:                            ;   in Loop: Header=BB257_328 Depth=1
	s_or_b64 exec, exec, s[18:19]
.LBB257_535:                            ;   in Loop: Header=BB257_328 Depth=1
	s_or_b64 exec, exec, s[16:17]
	v_lshrrev_b16_e32 v1, 8, v9
	v_cmp_ne_u16_e64 s[0:1], 0, v1
	s_and_saveexec_b64 s[16:17], s[0:1]
	s_cbranch_execz .LBB257_541
; %bb.536:                              ;   in Loop: Header=BB257_328 Depth=1
	v_cmp_ne_u16_e64 s[0:1], s28, v1
	v_bfrev_b32_e32 v48, 1
	s_and_saveexec_b64 s[18:19], s[0:1]
	s_cbranch_execz .LBB257_540
; %bb.537:                              ;   in Loop: Header=BB257_328 Depth=1
	v_and_b32_e32 v0, 0x7f, v1
	v_cmp_ne_u32_e64 s[0:1], s29, v0
	v_mov_b32_e32 v48, 0x7c010000
	s_and_saveexec_b64 s[20:21], s[0:1]
	s_cbranch_execz .LBB257_539
; %bb.538:                              ;   in Loop: Header=BB257_328 Depth=1
	v_and_b32_e32 v12, 7, v1
	v_ffbh_u32_e32 v48, v12
	v_min_u32_e32 v48, 32, v48
	v_lshrrev_b32_e32 v22, 3, v0
	v_subrev_u32_e32 v50, 28, v48
	v_sub_u32_e32 v48, 29, v48
	v_cmp_gt_u32_e64 s[0:1], 8, v0
	v_lshlrev_b64 v[50:51], v50, v[1:2]
	v_cndmask_b32_e64 v0, v22, v48, s[0:1]
	v_lshlrev_b32_e32 v1, 8, v1
	v_lshl_add_u32 v0, v0, 10, v26
	v_and_b32_e32 v22, 7, v50
	v_and_or_b32 v0, v1, s30, v0
	v_cndmask_b32_e64 v12, v12, v22, s[0:1]
	v_lshlrev_b32_e32 v0, 16, v0
	v_lshl_or_b32 v48, v12, 23, v0
.LBB257_539:                            ;   in Loop: Header=BB257_328 Depth=1
	s_or_b64 exec, exec, s[20:21]
.LBB257_540:                            ;   in Loop: Header=BB257_328 Depth=1
	s_or_b64 exec, exec, s[18:19]
.LBB257_541:                            ;   in Loop: Header=BB257_328 Depth=1
	s_or_b64 exec, exec, s[16:17]
	v_lshrrev_b32_e32 v1, 16, v9
	v_cmp_ne_u16_sdwa s[0:1], v1, v2 src0_sel:BYTE_0 src1_sel:DWORD
	v_mov_b32_e32 v0, 0
	v_mov_b32_e32 v50, 0
	s_and_saveexec_b64 s[16:17], s[0:1]
	s_cbranch_execz .LBB257_547
; %bb.542:                              ;   in Loop: Header=BB257_328 Depth=1
	v_cmp_ne_u16_sdwa s[0:1], v1, s28 src0_sel:BYTE_0 src1_sel:DWORD
	v_mov_b32_e32 v50, 0x8000
	s_and_saveexec_b64 s[18:19], s[0:1]
	s_cbranch_execz .LBB257_546
; %bb.543:                              ;   in Loop: Header=BB257_328 Depth=1
	v_bfe_u32 v51, v9, 16, 7
	v_cmp_ne_u32_e64 s[0:1], s29, v51
	v_mov_b32_e32 v50, 0x7c01
	s_and_saveexec_b64 s[20:21], s[0:1]
	s_cbranch_execz .LBB257_545
; %bb.544:                              ;   in Loop: Header=BB257_328 Depth=1
	v_and_b32_e32 v12, 7, v1
	v_ffbh_u32_e32 v50, v12
	v_min_u32_e32 v50, 32, v50
	v_lshrrev_b32_e32 v22, 3, v51
	v_subrev_u32_e32 v52, 28, v50
	v_sub_u32_e32 v50, 29, v50
	v_cmp_gt_u32_e64 s[0:1], 8, v51
	v_lshlrev_b64 v[52:53], v52, v[1:2]
	v_cndmask_b32_e64 v22, v22, v50, s[0:1]
	v_lshl_add_u32 v22, v22, 10, v26
	v_lshlrev_b32_e32 v1, 8, v1
	v_and_b32_e32 v50, 7, v52
	v_and_b32_e32 v22, 0xfc00, v22
	v_cndmask_b32_e64 v12, v12, v50, s[0:1]
	v_and_or_b32 v1, v1, s30, v22
	v_lshl_or_b32 v50, v12, 7, v1
.LBB257_545:                            ;   in Loop: Header=BB257_328 Depth=1
	s_or_b64 exec, exec, s[20:21]
.LBB257_546:                            ;   in Loop: Header=BB257_328 Depth=1
	s_or_b64 exec, exec, s[18:19]
.LBB257_547:                            ;   in Loop: Header=BB257_328 Depth=1
	s_or_b64 exec, exec, s[16:17]
	v_cmp_lt_u32_e64 s[0:1], s5, v9
	s_and_saveexec_b64 s[16:17], s[0:1]
	s_cbranch_execz .LBB257_553
; %bb.548:                              ;   in Loop: Header=BB257_328 Depth=1
	v_lshrrev_b32_e32 v1, 24, v9
	v_cmp_ne_u32_e64 s[0:1], s28, v1
	v_bfrev_b32_e32 v0, 1
	s_and_saveexec_b64 s[18:19], s[0:1]
	s_cbranch_execz .LBB257_552
; %bb.549:                              ;   in Loop: Header=BB257_328 Depth=1
	v_and_b32_e32 v51, 0x7f, v1
	v_cmp_ne_u32_e64 s[0:1], s29, v51
	v_mov_b32_e32 v0, 0x7c010000
	s_and_saveexec_b64 s[20:21], s[0:1]
	s_cbranch_execz .LBB257_551
; %bb.550:                              ;   in Loop: Header=BB257_328 Depth=1
	v_and_b32_e32 v0, 7, v1
	v_ffbh_u32_e32 v22, v0
	v_min_u32_e32 v22, 32, v22
	v_lshrrev_b32_e32 v12, 3, v51
	v_subrev_u32_e32 v52, 28, v22
	v_sub_u32_e32 v22, 29, v22
	v_cmp_gt_u32_e64 s[0:1], 8, v51
	v_lshlrev_b64 v[52:53], v52, v[1:2]
	v_cndmask_b32_e64 v12, v12, v22, s[0:1]
	v_lshlrev_b32_e32 v1, 8, v1
	v_lshl_add_u32 v12, v12, 10, v26
	v_and_b32_e32 v22, 7, v52
	v_and_or_b32 v1, v1, s30, v12
	v_cndmask_b32_e64 v0, v0, v22, s[0:1]
	v_lshlrev_b32_e32 v1, 16, v1
	v_lshl_or_b32 v0, v0, 23, v1
.LBB257_551:                            ;   in Loop: Header=BB257_328 Depth=1
	s_or_b64 exec, exec, s[20:21]
.LBB257_552:                            ;   in Loop: Header=BB257_328 Depth=1
	s_or_b64 exec, exec, s[18:19]
.LBB257_553:                            ;   in Loop: Header=BB257_328 Depth=1
	s_or_b64 exec, exec, s[16:17]
	v_mov_b32_e32 v1, v10
	v_cmp_ne_u16_sdwa s[0:1], v10, v2 src0_sel:BYTE_0 src1_sel:DWORD
	v_mov_b32_e32 v51, 0
	v_mov_b32_e32 v52, 0
	s_and_saveexec_b64 s[16:17], s[0:1]
	s_cbranch_execz .LBB257_559
; %bb.554:                              ;   in Loop: Header=BB257_328 Depth=1
	v_cmp_ne_u16_sdwa s[0:1], v10, s28 src0_sel:BYTE_0 src1_sel:DWORD
	v_mov_b32_e32 v52, 0x8000
	s_and_saveexec_b64 s[18:19], s[0:1]
	s_cbranch_execz .LBB257_558
; %bb.555:                              ;   in Loop: Header=BB257_328 Depth=1
	v_and_b32_e32 v53, 0x7f, v10
	v_cmp_ne_u32_e64 s[0:1], s29, v53
	v_mov_b32_e32 v52, 0x7c01
	s_and_saveexec_b64 s[20:21], s[0:1]
	s_cbranch_execz .LBB257_557
; %bb.556:                              ;   in Loop: Header=BB257_328 Depth=1
	v_and_b32_e32 v12, 7, v10
	v_ffbh_u32_e32 v52, v12
	v_min_u32_e32 v52, 32, v52
	v_lshrrev_b32_e32 v22, 3, v53
	v_subrev_u32_e32 v54, 28, v52
	v_sub_u32_e32 v52, 29, v52
	v_cmp_gt_u32_e64 s[0:1], 8, v53
	v_lshlrev_b64 v[54:55], v54, v[1:2]
	v_cndmask_b32_e64 v22, v22, v52, s[0:1]
	v_lshl_add_u32 v22, v22, 10, v26
	v_lshlrev_b32_e32 v52, 8, v10
	v_and_b32_e32 v53, 7, v54
	v_and_b32_e32 v22, 0xfc00, v22
	v_cndmask_b32_e64 v12, v12, v53, s[0:1]
	v_and_or_b32 v22, v52, s30, v22
	v_lshl_or_b32 v52, v12, 7, v22
.LBB257_557:                            ;   in Loop: Header=BB257_328 Depth=1
	s_or_b64 exec, exec, s[20:21]
.LBB257_558:                            ;   in Loop: Header=BB257_328 Depth=1
	s_or_b64 exec, exec, s[18:19]
.LBB257_559:                            ;   in Loop: Header=BB257_328 Depth=1
	s_or_b64 exec, exec, s[16:17]
	v_lshrrev_b16_e32 v1, 8, v1
	v_cmp_ne_u16_e64 s[0:1], 0, v1
	v_mov_b32_e32 v53, 0
	s_and_saveexec_b64 s[16:17], s[0:1]
	s_cbranch_execz .LBB257_565
; %bb.560:                              ;   in Loop: Header=BB257_328 Depth=1
	v_cmp_ne_u16_e64 s[0:1], s28, v1
	v_bfrev_b32_e32 v53, 1
	s_and_saveexec_b64 s[18:19], s[0:1]
	s_cbranch_execz .LBB257_564
; %bb.561:                              ;   in Loop: Header=BB257_328 Depth=1
	v_and_b32_e32 v54, 0x7f, v1
	v_cmp_ne_u32_e64 s[0:1], s29, v54
	v_mov_b32_e32 v53, 0x7c010000
	s_and_saveexec_b64 s[20:21], s[0:1]
	s_cbranch_execz .LBB257_563
; %bb.562:                              ;   in Loop: Header=BB257_328 Depth=1
	v_and_b32_e32 v12, 7, v1
	v_ffbh_u32_e32 v53, v12
	v_min_u32_e32 v53, 32, v53
	v_lshrrev_b32_e32 v22, 3, v54
	v_subrev_u32_e32 v55, 28, v53
	v_sub_u32_e32 v53, 29, v53
	v_cmp_gt_u32_e64 s[0:1], 8, v54
	v_lshlrev_b64 v[55:56], v55, v[1:2]
	v_cndmask_b32_e64 v22, v22, v53, s[0:1]
	v_lshlrev_b32_e32 v1, 8, v1
	v_lshl_add_u32 v22, v22, 10, v26
	v_and_b32_e32 v53, 7, v55
	v_and_or_b32 v1, v1, s30, v22
	v_cndmask_b32_e64 v12, v12, v53, s[0:1]
	v_lshlrev_b32_e32 v1, 16, v1
	v_lshl_or_b32 v53, v12, 23, v1
.LBB257_563:                            ;   in Loop: Header=BB257_328 Depth=1
	s_or_b64 exec, exec, s[20:21]
.LBB257_564:                            ;   in Loop: Header=BB257_328 Depth=1
	s_or_b64 exec, exec, s[18:19]
.LBB257_565:                            ;   in Loop: Header=BB257_328 Depth=1
	s_or_b64 exec, exec, s[16:17]
	v_lshrrev_b32_e32 v1, 16, v10
	v_cmp_ne_u16_sdwa s[0:1], v1, v2 src0_sel:BYTE_0 src1_sel:DWORD
	s_and_saveexec_b64 s[16:17], s[0:1]
	s_cbranch_execz .LBB257_571
; %bb.566:                              ;   in Loop: Header=BB257_328 Depth=1
	v_cmp_ne_u16_sdwa s[0:1], v1, s28 src0_sel:BYTE_0 src1_sel:DWORD
	v_mov_b32_e32 v51, 0x8000
	s_and_saveexec_b64 s[18:19], s[0:1]
	s_cbranch_execz .LBB257_570
; %bb.567:                              ;   in Loop: Header=BB257_328 Depth=1
	v_bfe_u32 v54, v10, 16, 7
	v_cmp_ne_u32_e64 s[0:1], s29, v54
	v_mov_b32_e32 v51, 0x7c01
	s_and_saveexec_b64 s[20:21], s[0:1]
	s_cbranch_execz .LBB257_569
; %bb.568:                              ;   in Loop: Header=BB257_328 Depth=1
	v_and_b32_e32 v12, 7, v1
	v_ffbh_u32_e32 v51, v12
	v_min_u32_e32 v51, 32, v51
	v_lshrrev_b32_e32 v22, 3, v54
	v_subrev_u32_e32 v55, 28, v51
	v_sub_u32_e32 v51, 29, v51
	v_cmp_gt_u32_e64 s[0:1], 8, v54
	v_lshlrev_b64 v[55:56], v55, v[1:2]
	v_cndmask_b32_e64 v22, v22, v51, s[0:1]
	v_lshl_add_u32 v22, v22, 10, v26
	v_lshlrev_b32_e32 v1, 8, v1
	v_and_b32_e32 v51, 7, v55
	v_and_b32_e32 v22, 0xfc00, v22
	v_cndmask_b32_e64 v12, v12, v51, s[0:1]
	v_and_or_b32 v1, v1, s30, v22
	v_lshl_or_b32 v51, v12, 7, v1
.LBB257_569:                            ;   in Loop: Header=BB257_328 Depth=1
	s_or_b64 exec, exec, s[20:21]
.LBB257_570:                            ;   in Loop: Header=BB257_328 Depth=1
	s_or_b64 exec, exec, s[18:19]
.LBB257_571:                            ;   in Loop: Header=BB257_328 Depth=1
	s_or_b64 exec, exec, s[16:17]
	v_cmp_lt_u64_e64 s[0:1], s[4:5], v[9:10]
	v_mov_b32_e32 v9, 0
	s_and_saveexec_b64 s[16:17], s[0:1]
	s_cbranch_execz .LBB257_577
; %bb.572:                              ;   in Loop: Header=BB257_328 Depth=1
	v_lshrrev_b32_e32 v1, 24, v10
	v_cmp_ne_u32_e64 s[0:1], s28, v1
	v_bfrev_b32_e32 v9, 1
	s_and_saveexec_b64 s[18:19], s[0:1]
	s_cbranch_execz .LBB257_576
; %bb.573:                              ;   in Loop: Header=BB257_328 Depth=1
	v_and_b32_e32 v10, 0x7f, v1
	v_cmp_ne_u32_e64 s[0:1], s29, v10
	v_mov_b32_e32 v9, 0x7c010000
	s_and_saveexec_b64 s[20:21], s[0:1]
	s_cbranch_execz .LBB257_575
; %bb.574:                              ;   in Loop: Header=BB257_328 Depth=1
	v_and_b32_e32 v9, 7, v1
	v_ffbh_u32_e32 v22, v9
	v_min_u32_e32 v22, 32, v22
	v_lshrrev_b32_e32 v12, 3, v10
	v_subrev_u32_e32 v54, 28, v22
	v_sub_u32_e32 v22, 29, v22
	v_cmp_gt_u32_e64 s[0:1], 8, v10
	v_lshlrev_b64 v[54:55], v54, v[1:2]
	v_cndmask_b32_e64 v10, v12, v22, s[0:1]
	v_lshlrev_b32_e32 v1, 8, v1
	v_lshl_add_u32 v10, v10, 10, v26
	v_and_b32_e32 v12, 7, v54
	v_and_or_b32 v1, v1, s30, v10
	v_cndmask_b32_e64 v9, v9, v12, s[0:1]
	v_lshlrev_b32_e32 v1, 16, v1
	v_lshl_or_b32 v9, v9, 23, v1
.LBB257_575:                            ;   in Loop: Header=BB257_328 Depth=1
	s_or_b64 exec, exec, s[20:21]
.LBB257_576:                            ;   in Loop: Header=BB257_328 Depth=1
	s_or_b64 exec, exec, s[18:19]
.LBB257_577:                            ;   in Loop: Header=BB257_328 Depth=1
	s_or_b64 exec, exec, s[16:17]
	s_waitcnt vmcnt(0)
	v_fma_mixlo_f16 v12, v47, v48, 0 op_sel:[0,1,0] op_sel_hi:[0,1,0]
	v_lshlrev_b32_e32 v54, 16, v12
	v_or_b32_e32 v12, v53, v52
	v_or_b32_e32 v1, v0, v50
	v_fma_mixlo_f16 v0, v47, v0, 0 op_sel:[0,1,0] op_sel_hi:[0,1,0]
	v_fma_mixlo_f16 v12, v47, v12, 0 op_sel_hi:[0,1,0]
	v_lshlrev_b32_e32 v10, 16, v0
	v_fma_mixlo_f16 v0, v47, v1, 0 op_sel_hi:[0,1,0]
	v_or_b32_e32 v1, v48, v49
	v_and_b32_e32 v52, 0xffff, v12
	v_or_b32_e32 v12, v9, v51
	v_fma_mixlo_f16 v1, v47, v1, 0 op_sel_hi:[0,1,0]
	v_fma_mixlo_f16 v22, v47, v53, 0 op_sel:[0,1,0] op_sel_hi:[0,1,0]
	v_fma_mixlo_f16 v12, v47, v12, 0 op_sel_hi:[0,1,0]
	v_fma_mixlo_f16 v9, v47, v9, 0 op_sel:[0,1,0] op_sel_hi:[0,1,0]
	v_and_b32_e32 v50, 0xffff, v0
	v_and_b32_e32 v55, 0xffff, v1
	v_lshlrev_b32_e32 v49, 16, v22
	v_lshlrev_b32_e32 v9, 16, v9
	v_and_b32_e32 v47, 0xffff, v12
	v_or_b32_e32 v0, v10, v50
	v_or_b32_e32 v1, v54, v55
	v_or_b32_e32 v48, v49, v52
	v_or_b32_e32 v51, v9, v47
	s_and_saveexec_b64 s[16:17], vcc
	s_cbranch_execz .LBB257_579
; %bb.578:                              ;   in Loop: Header=BB257_328 Depth=1
	v_cmp_gt_i32_e64 s[0:1], s33, v27
	v_cndmask_b32_e64 v0, 0, v55, s[0:1]
	v_cmp_gt_i32_e64 s[0:1], s33, v34
	v_cndmask_b32_e64 v1, 0, v54, s[0:1]
	v_cmp_gt_i32_e64 s[0:1], s33, v33
	v_or_b32_e32 v1, v1, v0
	v_cndmask_b32_e64 v0, 0, v50, s[0:1]
	v_cmp_gt_i32_e64 s[0:1], s33, v32
	v_cndmask_b32_e64 v10, 0, v10, s[0:1]
	v_cmp_gt_i32_e64 s[0:1], s33, v31
	v_or_b32_e32 v0, v10, v0
	;; [unrolled: 5-line block ×3, first 2 shown]
	v_cndmask_b32_e64 v10, 0, v47, s[0:1]
	v_cmp_gt_i32_e64 s[0:1], s33, v28
	v_cndmask_b32_e64 v9, 0, v9, s[0:1]
	v_or_b32_e32 v51, v9, v10
.LBB257_579:                            ;   in Loop: Header=BB257_328 Depth=1
	s_or_b64 exec, exec, s[16:17]
	;;#ASMSTART
	v_pk_mul_f16 v1, v38, v1;

	;;#ASMEND
	;;#ASMSTART
	v_pk_mul_f16 v0, v37, v0;

	;;#ASMEND
	;; [unrolled: 4-line block ×4, first 2 shown]
	;;#ASMSTART
	v_pk_add_f16 v0, v1, v0;

	;;#ASMEND
	;;#ASMSTART
	v_pk_add_f16 v0, v0, v9;

	;;#ASMEND
	;; [unrolled: 4-line block ×3, first 2 shown]
	v_lshrrev_b32_e32 v1, 16, v0
	v_and_b32_e32 v0, 0xffff, v0
	;;#ASMSTART
	v_cvt_f32_f16 v9, v0;
	;;#ASMEND
	;;#ASMSTART
	v_cvt_f32_f16 v10, v1;
	;;#ASMEND
	global_load_dwordx2 v[7:8], v[7:8], off offset:2560
	v_mov_b32_e32 v48, 0
	global_load_dword v47, v48, s[14:15]
	v_mov_b32_e32 v49, 0
	s_waitcnt vmcnt(1)
	v_cmp_ne_u16_sdwa s[0:1], v7, v2 src0_sel:BYTE_0 src1_sel:DWORD
	s_and_saveexec_b64 s[16:17], s[0:1]
	s_cbranch_execz .LBB257_585
; %bb.580:                              ;   in Loop: Header=BB257_328 Depth=1
	v_cmp_ne_u16_sdwa s[0:1], v7, s28 src0_sel:BYTE_0 src1_sel:DWORD
	v_mov_b32_e32 v49, 0x8000
	s_and_saveexec_b64 s[18:19], s[0:1]
	s_cbranch_execz .LBB257_584
; %bb.581:                              ;   in Loop: Header=BB257_328 Depth=1
	v_and_b32_e32 v0, 0x7f, v7
	v_cmp_ne_u32_e64 s[0:1], s29, v0
	v_mov_b32_e32 v49, 0x7c01
	s_and_saveexec_b64 s[20:21], s[0:1]
	s_cbranch_execz .LBB257_583
; %bb.582:                              ;   in Loop: Header=BB257_328 Depth=1
	v_and_b32_e32 v1, 7, v7
	v_ffbh_u32_e32 v22, v1
	v_min_u32_e32 v22, 32, v22
	v_lshrrev_b32_e32 v12, 3, v0
	v_subrev_u32_e32 v49, 28, v22
	v_sub_u32_e32 v22, 29, v22
	v_cmp_gt_u32_e64 s[0:1], 8, v0
	v_lshlrev_b64 v[49:50], v49, v[7:8]
	v_cndmask_b32_e64 v0, v12, v22, s[0:1]
	v_lshl_add_u32 v0, v0, 10, v26
	v_lshlrev_b32_e32 v12, 8, v7
	v_and_b32_e32 v22, 7, v49
	v_and_b32_e32 v0, 0xfc00, v0
	v_cndmask_b32_e64 v1, v1, v22, s[0:1]
	v_and_or_b32 v0, v12, s30, v0
	v_lshl_or_b32 v49, v1, 7, v0
.LBB257_583:                            ;   in Loop: Header=BB257_328 Depth=1
	s_or_b64 exec, exec, s[20:21]
.LBB257_584:                            ;   in Loop: Header=BB257_328 Depth=1
	s_or_b64 exec, exec, s[18:19]
.LBB257_585:                            ;   in Loop: Header=BB257_328 Depth=1
	s_or_b64 exec, exec, s[16:17]
	v_lshrrev_b16_e32 v1, 8, v7
	v_cmp_ne_u16_e64 s[0:1], 0, v1
	s_and_saveexec_b64 s[16:17], s[0:1]
	s_cbranch_execz .LBB257_591
; %bb.586:                              ;   in Loop: Header=BB257_328 Depth=1
	v_cmp_ne_u16_e64 s[0:1], s28, v1
	v_bfrev_b32_e32 v48, 1
	s_and_saveexec_b64 s[18:19], s[0:1]
	s_cbranch_execz .LBB257_590
; %bb.587:                              ;   in Loop: Header=BB257_328 Depth=1
	v_and_b32_e32 v0, 0x7f, v1
	v_cmp_ne_u32_e64 s[0:1], s29, v0
	v_mov_b32_e32 v48, 0x7c010000
	s_and_saveexec_b64 s[20:21], s[0:1]
	s_cbranch_execz .LBB257_589
; %bb.588:                              ;   in Loop: Header=BB257_328 Depth=1
	v_and_b32_e32 v12, 7, v1
	v_ffbh_u32_e32 v48, v12
	v_min_u32_e32 v48, 32, v48
	v_lshrrev_b32_e32 v22, 3, v0
	v_subrev_u32_e32 v50, 28, v48
	v_sub_u32_e32 v48, 29, v48
	v_cmp_gt_u32_e64 s[0:1], 8, v0
	v_lshlrev_b64 v[50:51], v50, v[1:2]
	v_cndmask_b32_e64 v0, v22, v48, s[0:1]
	v_lshlrev_b32_e32 v1, 8, v1
	v_lshl_add_u32 v0, v0, 10, v26
	v_and_b32_e32 v22, 7, v50
	v_and_or_b32 v0, v1, s30, v0
	v_cndmask_b32_e64 v12, v12, v22, s[0:1]
	v_lshlrev_b32_e32 v0, 16, v0
	v_lshl_or_b32 v48, v12, 23, v0
.LBB257_589:                            ;   in Loop: Header=BB257_328 Depth=1
	s_or_b64 exec, exec, s[20:21]
.LBB257_590:                            ;   in Loop: Header=BB257_328 Depth=1
	s_or_b64 exec, exec, s[18:19]
.LBB257_591:                            ;   in Loop: Header=BB257_328 Depth=1
	s_or_b64 exec, exec, s[16:17]
	v_lshrrev_b32_e32 v1, 16, v7
	v_cmp_ne_u16_sdwa s[0:1], v1, v2 src0_sel:BYTE_0 src1_sel:DWORD
	v_mov_b32_e32 v0, 0
	v_mov_b32_e32 v50, 0
	s_and_saveexec_b64 s[16:17], s[0:1]
	s_cbranch_execz .LBB257_597
; %bb.592:                              ;   in Loop: Header=BB257_328 Depth=1
	v_cmp_ne_u16_sdwa s[0:1], v1, s28 src0_sel:BYTE_0 src1_sel:DWORD
	v_mov_b32_e32 v50, 0x8000
	s_and_saveexec_b64 s[18:19], s[0:1]
	s_cbranch_execz .LBB257_596
; %bb.593:                              ;   in Loop: Header=BB257_328 Depth=1
	v_bfe_u32 v51, v7, 16, 7
	v_cmp_ne_u32_e64 s[0:1], s29, v51
	v_mov_b32_e32 v50, 0x7c01
	s_and_saveexec_b64 s[20:21], s[0:1]
	s_cbranch_execz .LBB257_595
; %bb.594:                              ;   in Loop: Header=BB257_328 Depth=1
	v_and_b32_e32 v12, 7, v1
	v_ffbh_u32_e32 v50, v12
	v_min_u32_e32 v50, 32, v50
	v_lshrrev_b32_e32 v22, 3, v51
	v_subrev_u32_e32 v52, 28, v50
	v_sub_u32_e32 v50, 29, v50
	v_cmp_gt_u32_e64 s[0:1], 8, v51
	v_lshlrev_b64 v[52:53], v52, v[1:2]
	v_cndmask_b32_e64 v22, v22, v50, s[0:1]
	v_lshl_add_u32 v22, v22, 10, v26
	v_lshlrev_b32_e32 v1, 8, v1
	v_and_b32_e32 v50, 7, v52
	v_and_b32_e32 v22, 0xfc00, v22
	v_cndmask_b32_e64 v12, v12, v50, s[0:1]
	v_and_or_b32 v1, v1, s30, v22
	v_lshl_or_b32 v50, v12, 7, v1
.LBB257_595:                            ;   in Loop: Header=BB257_328 Depth=1
	s_or_b64 exec, exec, s[20:21]
.LBB257_596:                            ;   in Loop: Header=BB257_328 Depth=1
	s_or_b64 exec, exec, s[18:19]
.LBB257_597:                            ;   in Loop: Header=BB257_328 Depth=1
	s_or_b64 exec, exec, s[16:17]
	v_cmp_lt_u32_e64 s[0:1], s5, v7
	s_and_saveexec_b64 s[16:17], s[0:1]
	s_cbranch_execz .LBB257_603
; %bb.598:                              ;   in Loop: Header=BB257_328 Depth=1
	v_lshrrev_b32_e32 v1, 24, v7
	v_cmp_ne_u32_e64 s[0:1], s28, v1
	v_bfrev_b32_e32 v0, 1
	s_and_saveexec_b64 s[18:19], s[0:1]
	s_cbranch_execz .LBB257_602
; %bb.599:                              ;   in Loop: Header=BB257_328 Depth=1
	v_and_b32_e32 v51, 0x7f, v1
	v_cmp_ne_u32_e64 s[0:1], s29, v51
	v_mov_b32_e32 v0, 0x7c010000
	s_and_saveexec_b64 s[20:21], s[0:1]
	s_cbranch_execz .LBB257_601
; %bb.600:                              ;   in Loop: Header=BB257_328 Depth=1
	v_and_b32_e32 v0, 7, v1
	v_ffbh_u32_e32 v22, v0
	v_min_u32_e32 v22, 32, v22
	v_lshrrev_b32_e32 v12, 3, v51
	v_subrev_u32_e32 v52, 28, v22
	v_sub_u32_e32 v22, 29, v22
	v_cmp_gt_u32_e64 s[0:1], 8, v51
	v_lshlrev_b64 v[52:53], v52, v[1:2]
	v_cndmask_b32_e64 v12, v12, v22, s[0:1]
	v_lshlrev_b32_e32 v1, 8, v1
	v_lshl_add_u32 v12, v12, 10, v26
	v_and_b32_e32 v22, 7, v52
	v_and_or_b32 v1, v1, s30, v12
	v_cndmask_b32_e64 v0, v0, v22, s[0:1]
	v_lshlrev_b32_e32 v1, 16, v1
	v_lshl_or_b32 v0, v0, 23, v1
.LBB257_601:                            ;   in Loop: Header=BB257_328 Depth=1
	s_or_b64 exec, exec, s[20:21]
.LBB257_602:                            ;   in Loop: Header=BB257_328 Depth=1
	s_or_b64 exec, exec, s[18:19]
.LBB257_603:                            ;   in Loop: Header=BB257_328 Depth=1
	s_or_b64 exec, exec, s[16:17]
	v_mov_b32_e32 v1, v8
	v_cmp_ne_u16_sdwa s[0:1], v8, v2 src0_sel:BYTE_0 src1_sel:DWORD
	v_mov_b32_e32 v51, 0
	v_mov_b32_e32 v52, 0
	s_and_saveexec_b64 s[16:17], s[0:1]
	s_cbranch_execz .LBB257_609
; %bb.604:                              ;   in Loop: Header=BB257_328 Depth=1
	v_cmp_ne_u16_sdwa s[0:1], v8, s28 src0_sel:BYTE_0 src1_sel:DWORD
	v_mov_b32_e32 v52, 0x8000
	s_and_saveexec_b64 s[18:19], s[0:1]
	s_cbranch_execz .LBB257_608
; %bb.605:                              ;   in Loop: Header=BB257_328 Depth=1
	v_and_b32_e32 v53, 0x7f, v8
	v_cmp_ne_u32_e64 s[0:1], s29, v53
	v_mov_b32_e32 v52, 0x7c01
	s_and_saveexec_b64 s[20:21], s[0:1]
	s_cbranch_execz .LBB257_607
; %bb.606:                              ;   in Loop: Header=BB257_328 Depth=1
	v_and_b32_e32 v12, 7, v8
	v_ffbh_u32_e32 v52, v12
	v_min_u32_e32 v52, 32, v52
	v_lshrrev_b32_e32 v22, 3, v53
	v_subrev_u32_e32 v54, 28, v52
	v_sub_u32_e32 v52, 29, v52
	v_cmp_gt_u32_e64 s[0:1], 8, v53
	v_lshlrev_b64 v[54:55], v54, v[1:2]
	v_cndmask_b32_e64 v22, v22, v52, s[0:1]
	v_lshl_add_u32 v22, v22, 10, v26
	v_lshlrev_b32_e32 v52, 8, v8
	v_and_b32_e32 v53, 7, v54
	v_and_b32_e32 v22, 0xfc00, v22
	v_cndmask_b32_e64 v12, v12, v53, s[0:1]
	v_and_or_b32 v22, v52, s30, v22
	v_lshl_or_b32 v52, v12, 7, v22
.LBB257_607:                            ;   in Loop: Header=BB257_328 Depth=1
	s_or_b64 exec, exec, s[20:21]
.LBB257_608:                            ;   in Loop: Header=BB257_328 Depth=1
	s_or_b64 exec, exec, s[18:19]
.LBB257_609:                            ;   in Loop: Header=BB257_328 Depth=1
	s_or_b64 exec, exec, s[16:17]
	v_lshrrev_b16_e32 v1, 8, v1
	v_cmp_ne_u16_e64 s[0:1], 0, v1
	v_mov_b32_e32 v53, 0
	s_and_saveexec_b64 s[16:17], s[0:1]
	s_cbranch_execz .LBB257_615
; %bb.610:                              ;   in Loop: Header=BB257_328 Depth=1
	v_cmp_ne_u16_e64 s[0:1], s28, v1
	v_bfrev_b32_e32 v53, 1
	s_and_saveexec_b64 s[18:19], s[0:1]
	s_cbranch_execz .LBB257_614
; %bb.611:                              ;   in Loop: Header=BB257_328 Depth=1
	v_and_b32_e32 v54, 0x7f, v1
	v_cmp_ne_u32_e64 s[0:1], s29, v54
	v_mov_b32_e32 v53, 0x7c010000
	s_and_saveexec_b64 s[20:21], s[0:1]
	s_cbranch_execz .LBB257_613
; %bb.612:                              ;   in Loop: Header=BB257_328 Depth=1
	v_and_b32_e32 v12, 7, v1
	v_ffbh_u32_e32 v53, v12
	v_min_u32_e32 v53, 32, v53
	v_lshrrev_b32_e32 v22, 3, v54
	v_subrev_u32_e32 v55, 28, v53
	v_sub_u32_e32 v53, 29, v53
	v_cmp_gt_u32_e64 s[0:1], 8, v54
	v_lshlrev_b64 v[55:56], v55, v[1:2]
	v_cndmask_b32_e64 v22, v22, v53, s[0:1]
	v_lshlrev_b32_e32 v1, 8, v1
	v_lshl_add_u32 v22, v22, 10, v26
	v_and_b32_e32 v53, 7, v55
	v_and_or_b32 v1, v1, s30, v22
	v_cndmask_b32_e64 v12, v12, v53, s[0:1]
	v_lshlrev_b32_e32 v1, 16, v1
	v_lshl_or_b32 v53, v12, 23, v1
.LBB257_613:                            ;   in Loop: Header=BB257_328 Depth=1
	s_or_b64 exec, exec, s[20:21]
.LBB257_614:                            ;   in Loop: Header=BB257_328 Depth=1
	s_or_b64 exec, exec, s[18:19]
.LBB257_615:                            ;   in Loop: Header=BB257_328 Depth=1
	s_or_b64 exec, exec, s[16:17]
	v_lshrrev_b32_e32 v1, 16, v8
	v_cmp_ne_u16_sdwa s[0:1], v1, v2 src0_sel:BYTE_0 src1_sel:DWORD
	s_and_saveexec_b64 s[16:17], s[0:1]
	s_cbranch_execz .LBB257_621
; %bb.616:                              ;   in Loop: Header=BB257_328 Depth=1
	v_cmp_ne_u16_sdwa s[0:1], v1, s28 src0_sel:BYTE_0 src1_sel:DWORD
	v_mov_b32_e32 v51, 0x8000
	s_and_saveexec_b64 s[18:19], s[0:1]
	s_cbranch_execz .LBB257_620
; %bb.617:                              ;   in Loop: Header=BB257_328 Depth=1
	v_bfe_u32 v54, v8, 16, 7
	v_cmp_ne_u32_e64 s[0:1], s29, v54
	v_mov_b32_e32 v51, 0x7c01
	s_and_saveexec_b64 s[20:21], s[0:1]
	s_cbranch_execz .LBB257_619
; %bb.618:                              ;   in Loop: Header=BB257_328 Depth=1
	v_and_b32_e32 v12, 7, v1
	v_ffbh_u32_e32 v51, v12
	v_min_u32_e32 v51, 32, v51
	v_lshrrev_b32_e32 v22, 3, v54
	v_subrev_u32_e32 v55, 28, v51
	v_sub_u32_e32 v51, 29, v51
	v_cmp_gt_u32_e64 s[0:1], 8, v54
	v_lshlrev_b64 v[55:56], v55, v[1:2]
	v_cndmask_b32_e64 v22, v22, v51, s[0:1]
	v_lshl_add_u32 v22, v22, 10, v26
	v_lshlrev_b32_e32 v1, 8, v1
	v_and_b32_e32 v51, 7, v55
	v_and_b32_e32 v22, 0xfc00, v22
	v_cndmask_b32_e64 v12, v12, v51, s[0:1]
	v_and_or_b32 v1, v1, s30, v22
	v_lshl_or_b32 v51, v12, 7, v1
.LBB257_619:                            ;   in Loop: Header=BB257_328 Depth=1
	s_or_b64 exec, exec, s[20:21]
.LBB257_620:                            ;   in Loop: Header=BB257_328 Depth=1
	s_or_b64 exec, exec, s[18:19]
.LBB257_621:                            ;   in Loop: Header=BB257_328 Depth=1
	s_or_b64 exec, exec, s[16:17]
	v_cmp_lt_u64_e64 s[0:1], s[4:5], v[7:8]
	v_mov_b32_e32 v7, 0
	s_and_saveexec_b64 s[16:17], s[0:1]
	s_cbranch_execz .LBB257_627
; %bb.622:                              ;   in Loop: Header=BB257_328 Depth=1
	v_lshrrev_b32_e32 v1, 24, v8
	v_cmp_ne_u32_e64 s[0:1], s28, v1
	v_bfrev_b32_e32 v7, 1
	s_and_saveexec_b64 s[18:19], s[0:1]
	s_cbranch_execz .LBB257_626
; %bb.623:                              ;   in Loop: Header=BB257_328 Depth=1
	v_and_b32_e32 v8, 0x7f, v1
	v_cmp_ne_u32_e64 s[0:1], s29, v8
	v_mov_b32_e32 v7, 0x7c010000
	s_and_saveexec_b64 s[20:21], s[0:1]
	s_cbranch_execz .LBB257_625
; %bb.624:                              ;   in Loop: Header=BB257_328 Depth=1
	v_and_b32_e32 v7, 7, v1
	v_ffbh_u32_e32 v22, v7
	v_min_u32_e32 v22, 32, v22
	v_lshrrev_b32_e32 v12, 3, v8
	v_subrev_u32_e32 v54, 28, v22
	v_sub_u32_e32 v22, 29, v22
	v_cmp_gt_u32_e64 s[0:1], 8, v8
	v_lshlrev_b64 v[54:55], v54, v[1:2]
	v_cndmask_b32_e64 v8, v12, v22, s[0:1]
	v_lshlrev_b32_e32 v1, 8, v1
	v_lshl_add_u32 v8, v8, 10, v26
	v_and_b32_e32 v12, 7, v54
	v_and_or_b32 v1, v1, s30, v8
	v_cndmask_b32_e64 v7, v7, v12, s[0:1]
	v_lshlrev_b32_e32 v1, 16, v1
	v_lshl_or_b32 v7, v7, 23, v1
.LBB257_625:                            ;   in Loop: Header=BB257_328 Depth=1
	s_or_b64 exec, exec, s[20:21]
.LBB257_626:                            ;   in Loop: Header=BB257_328 Depth=1
	s_or_b64 exec, exec, s[18:19]
.LBB257_627:                            ;   in Loop: Header=BB257_328 Depth=1
	s_or_b64 exec, exec, s[16:17]
	v_or_b32_e32 v1, v0, v50
	s_waitcnt vmcnt(0)
	v_fma_mixlo_f16 v0, v47, v0, 0 op_sel:[0,1,0] op_sel_hi:[0,1,0]
	v_fma_mixlo_f16 v8, v47, v48, 0 op_sel:[0,1,0] op_sel_hi:[0,1,0]
	v_fma_mixlo_f16 v12, v47, v53, 0 op_sel:[0,1,0] op_sel_hi:[0,1,0]
	v_lshlrev_b32_e32 v50, 16, v0
	v_fma_mixlo_f16 v0, v47, v1, 0 op_sel_hi:[0,1,0]
	v_or_b32_e32 v1, v48, v49
	v_lshlrev_b32_e32 v49, 16, v8
	v_or_b32_e32 v8, v53, v52
	v_lshlrev_b32_e32 v48, 16, v12
	v_or_b32_e32 v12, v7, v51
	v_fma_mixlo_f16 v1, v47, v1, 0 op_sel_hi:[0,1,0]
	v_fma_mixlo_f16 v8, v47, v8, 0 op_sel_hi:[0,1,0]
	;; [unrolled: 1-line block ×3, first 2 shown]
	v_fma_mixlo_f16 v7, v47, v7, 0 op_sel:[0,1,0] op_sel_hi:[0,1,0]
	v_and_b32_e32 v54, 0xffff, v0
	v_and_b32_e32 v55, 0xffff, v1
	;; [unrolled: 1-line block ×3, first 2 shown]
	v_lshlrev_b32_e32 v47, 16, v7
	v_and_b32_e32 v51, 0xffff, v12
	v_or_b32_e32 v0, v50, v54
	v_or_b32_e32 v1, v49, v55
	;; [unrolled: 1-line block ×4, first 2 shown]
	s_and_saveexec_b64 s[0:1], vcc
	s_cbranch_execz .LBB257_326
; %bb.628:                              ;   in Loop: Header=BB257_328 Depth=1
	v_cmp_gt_i32_e32 vcc, s33, v27
	v_cndmask_b32_e32 v0, 0, v55, vcc
	v_cmp_gt_i32_e32 vcc, s33, v34
	v_cndmask_b32_e32 v1, 0, v49, vcc
	v_cmp_gt_i32_e32 vcc, s33, v33
	v_or_b32_e32 v1, v1, v0
	v_cndmask_b32_e32 v0, 0, v54, vcc
	v_cmp_gt_i32_e32 vcc, s33, v32
	v_cndmask_b32_e32 v7, 0, v50, vcc
	v_cmp_gt_i32_e32 vcc, s33, v31
	v_or_b32_e32 v0, v7, v0
	v_cndmask_b32_e32 v7, 0, v52, vcc
	v_cmp_gt_i32_e32 vcc, s33, v30
	v_cndmask_b32_e32 v8, 0, v48, vcc
	v_cmp_gt_i32_e32 vcc, s33, v29
	v_or_b32_e32 v8, v8, v7
	v_cndmask_b32_e32 v7, 0, v51, vcc
	v_cmp_gt_i32_e32 vcc, s33, v28
	v_cndmask_b32_e32 v12, 0, v47, vcc
	v_or_b32_e32 v7, v12, v7
	s_branch .LBB257_326
.LBB257_629:
	s_or_b64 exec, exec, s[6:7]
	v_mov_b32_e32 v13, v57
.LBB257_630:
	s_or_b64 exec, exec, s[2:3]
	ds_bpermute_b32 v0, v15, v23
	ds_bpermute_b32 v2, v15, v21
	;; [unrolled: 1-line block ×5, first 2 shown]
	s_waitcnt lgkmcnt(4)
	v_add_f32_e32 v0, v23, v0
	ds_bpermute_b32 v5, v16, v0
	s_waitcnt lgkmcnt(4)
	v_add_f32_e32 v2, v21, v2
	s_waitcnt lgkmcnt(3)
	v_add_f32_e32 v1, v11, v1
	ds_bpermute_b32 v7, v16, v2
	s_waitcnt lgkmcnt(3)
	v_add_f32_e32 v3, v20, v3
	s_waitcnt lgkmcnt(1)
	v_add_f32_e32 v0, v0, v5
	ds_bpermute_b32 v5, v15, v18
	v_add_f32_e32 v9, v19, v4
	ds_bpermute_b32 v6, v16, v1
	ds_bpermute_b32 v8, v16, v3
	;; [unrolled: 1-line block ×3, first 2 shown]
	s_waitcnt lgkmcnt(3)
	v_add_f32_e32 v11, v18, v5
	ds_bpermute_b32 v12, v16, v11
	v_add_f32_e32 v4, v2, v7
	v_and_b32_e32 v7, 0x3c3, v13
	s_waitcnt lgkmcnt(3)
	v_add_f32_e32 v5, v1, v6
	s_waitcnt lgkmcnt(2)
	v_add_f32_e32 v3, v3, v8
	;; [unrolled: 2-line block ×4, first 2 shown]
	v_cmp_eq_u32_e32 vcc, 64, v7
	s_waitcnt vmcnt(0)
	s_barrier
	s_and_saveexec_b64 s[0:1], vcc
	s_cbranch_execz .LBB257_632
; %bb.631:
	v_add_u32_e32 v6, 0xd0, v14
	ds_write2_b32 v6, v0, v5 offset1:16
	ds_write2_b32 v6, v4, v3 offset0:32 offset1:48
	ds_write2_b32 v6, v2, v1 offset0:64 offset1:80
.LBB257_632:
	s_or_b64 exec, exec, s[0:1]
	v_cmp_gt_u32_e32 vcc, 64, v13
	v_lshrrev_b32_e32 v6, 2, v13
	s_waitcnt lgkmcnt(0)
	s_barrier
	s_and_saveexec_b64 s[0:1], vcc
	s_cbranch_execz .LBB257_641
; %bb.633:
	v_mov_b32_e32 v8, 0xd0
	v_cmp_eq_u32_e32 vcc, 0, v17
	v_lshl_add_u32 v8, v6, 2, v8
	s_and_saveexec_b64 s[2:3], vcc
	s_cbranch_execnz .LBB257_644
; %bb.634:
	s_or_b64 exec, exec, s[2:3]
	s_and_saveexec_b64 s[2:3], vcc
	s_cbranch_execnz .LBB257_645
.LBB257_635:
	s_or_b64 exec, exec, s[2:3]
	s_and_saveexec_b64 s[2:3], vcc
	s_cbranch_execnz .LBB257_646
.LBB257_636:
	s_or_b64 exec, exec, s[2:3]
	s_and_saveexec_b64 s[2:3], vcc
	s_cbranch_execnz .LBB257_647
.LBB257_637:
	s_or_b64 exec, exec, s[2:3]
	s_and_saveexec_b64 s[2:3], vcc
	s_cbranch_execnz .LBB257_648
.LBB257_638:
	s_or_b64 exec, exec, s[2:3]
	s_and_saveexec_b64 s[2:3], vcc
	s_cbranch_execz .LBB257_640
.LBB257_639:
	ds_read_b32 v8, v8 offset:320
	s_waitcnt lgkmcnt(0)
	v_add_f32_e32 v1, v1, v8
.LBB257_640:
	s_or_b64 exec, exec, s[2:3]
.LBB257_641:
	s_or_b64 exec, exec, s[0:1]
	v_cmp_eq_u32_e32 vcc, 0, v7
	s_barrier
	s_and_saveexec_b64 s[0:1], vcc
	s_cbranch_execz .LBB257_643
; %bb.642:
	s_mul_i32 s0, s10, s11
	s_mul_i32 s0, s0, s9
	s_mulk_i32 s0, 0x60
	s_ashr_i32 s1, s0, 31
	s_lshl_b64 s[0:1], s[0:1], 1
	s_add_u32 s2, s26, s0
	s_mul_i32 s0, s11, s24
	s_addc_u32 s3, s27, s1
	s_ashr_i32 s1, s0, 31
	s_lshl_b64 s[0:1], s[0:1], 1
	s_add_u32 s2, s2, s0
	s_mul_i32 s0, s8, 0x60
	s_addc_u32 s3, s3, s1
	s_ashr_i32 s1, s0, 31
	s_lshl_b64 s[0:1], s[0:1], 1
	s_add_u32 s0, s2, s0
	s_addc_u32 s1, s3, s1
	v_lshlrev_b32_e32 v6, 1, v6
	;;#ASMSTART
	v_cvt_f16_f32 v0, v0;

	;;#ASMEND
	global_store_short v6, v0, s[0:1]
	;;#ASMSTART
	v_cvt_f16_f32 v0, v5;

	;;#ASMEND
	global_store_short v6, v0, s[0:1] offset:32
	;;#ASMSTART
	v_cvt_f16_f32 v0, v4;

	;;#ASMEND
	global_store_short v6, v0, s[0:1] offset:64
	;; [unrolled: 5-line block ×5, first 2 shown]
.LBB257_643:
	s_endpgm
.LBB257_644:
	ds_read_b32 v9, v8
	s_waitcnt lgkmcnt(0)
	v_add_f32_e32 v0, v0, v9
	s_or_b64 exec, exec, s[2:3]
	s_and_saveexec_b64 s[2:3], vcc
	s_cbranch_execz .LBB257_635
.LBB257_645:
	ds_read_b32 v9, v8 offset:64
	s_waitcnt lgkmcnt(0)
	v_add_f32_e32 v5, v5, v9
	s_or_b64 exec, exec, s[2:3]
	s_and_saveexec_b64 s[2:3], vcc
	s_cbranch_execz .LBB257_636
.LBB257_646:
	ds_read_b32 v9, v8 offset:128
	s_waitcnt lgkmcnt(0)
	v_add_f32_e32 v4, v4, v9
	s_or_b64 exec, exec, s[2:3]
	s_and_saveexec_b64 s[2:3], vcc
	s_cbranch_execz .LBB257_637
.LBB257_647:
	ds_read_b32 v9, v8 offset:192
	s_waitcnt lgkmcnt(0)
	v_add_f32_e32 v3, v3, v9
	s_or_b64 exec, exec, s[2:3]
	s_and_saveexec_b64 s[2:3], vcc
	s_cbranch_execz .LBB257_638
.LBB257_648:
	ds_read_b32 v9, v8 offset:256
	s_waitcnt lgkmcnt(0)
	v_add_f32_e32 v2, v2, v9
	s_or_b64 exec, exec, s[2:3]
	s_and_saveexec_b64 s[2:3], vcc
	s_cbranch_execnz .LBB257_639
	s_branch .LBB257_640
	.section	.rodata,"a",@progbits
	.p2align	6, 0x0
	.amdhsa_kernel _ZN4vllm25paged_attention_v1_kernelIthLi96ELi32ELi128ELNS_18Fp8KVCacheDataTypeE1ELb1EEEvPT_PKS2_PKT0_S8_ifPKiSA_iPKfiiiSC_SC_iiiii
		.amdhsa_group_segment_fixed_size 208
		.amdhsa_private_segment_fixed_size 60
		.amdhsa_kernarg_size 384
		.amdhsa_user_sgpr_count 6
		.amdhsa_user_sgpr_private_segment_buffer 1
		.amdhsa_user_sgpr_dispatch_ptr 0
		.amdhsa_user_sgpr_queue_ptr 0
		.amdhsa_user_sgpr_kernarg_segment_ptr 1
		.amdhsa_user_sgpr_dispatch_id 0
		.amdhsa_user_sgpr_flat_scratch_init 0
		.amdhsa_user_sgpr_private_segment_size 0
		.amdhsa_uses_dynamic_stack 0
		.amdhsa_system_sgpr_private_segment_wavefront_offset 1
		.amdhsa_system_sgpr_workgroup_id_x 1
		.amdhsa_system_sgpr_workgroup_id_y 1
		.amdhsa_system_sgpr_workgroup_id_z 1
		.amdhsa_system_sgpr_workgroup_info 0
		.amdhsa_system_vgpr_workitem_id 0
		.amdhsa_next_free_vgpr 64
		.amdhsa_next_free_sgpr 60
		.amdhsa_reserve_vcc 1
		.amdhsa_reserve_flat_scratch 0
		.amdhsa_float_round_mode_32 0
		.amdhsa_float_round_mode_16_64 0
		.amdhsa_float_denorm_mode_32 3
		.amdhsa_float_denorm_mode_16_64 3
		.amdhsa_dx10_clamp 1
		.amdhsa_ieee_mode 1
		.amdhsa_fp16_overflow 0
		.amdhsa_exception_fp_ieee_invalid_op 0
		.amdhsa_exception_fp_denorm_src 0
		.amdhsa_exception_fp_ieee_div_zero 0
		.amdhsa_exception_fp_ieee_overflow 0
		.amdhsa_exception_fp_ieee_underflow 0
		.amdhsa_exception_fp_ieee_inexact 0
		.amdhsa_exception_int_div_zero 0
	.end_amdhsa_kernel
	.section	.text._ZN4vllm25paged_attention_v1_kernelIthLi96ELi32ELi128ELNS_18Fp8KVCacheDataTypeE1ELb1EEEvPT_PKS2_PKT0_S8_ifPKiSA_iPKfiiiSC_SC_iiiii,"axG",@progbits,_ZN4vllm25paged_attention_v1_kernelIthLi96ELi32ELi128ELNS_18Fp8KVCacheDataTypeE1ELb1EEEvPT_PKS2_PKT0_S8_ifPKiSA_iPKfiiiSC_SC_iiiii,comdat
.Lfunc_end257:
	.size	_ZN4vllm25paged_attention_v1_kernelIthLi96ELi32ELi128ELNS_18Fp8KVCacheDataTypeE1ELb1EEEvPT_PKS2_PKT0_S8_ifPKiSA_iPKfiiiSC_SC_iiiii, .Lfunc_end257-_ZN4vllm25paged_attention_v1_kernelIthLi96ELi32ELi128ELNS_18Fp8KVCacheDataTypeE1ELb1EEEvPT_PKS2_PKT0_S8_ifPKiSA_iPKfiiiSC_SC_iiiii
                                        ; -- End function
	.set _ZN4vllm25paged_attention_v1_kernelIthLi96ELi32ELi128ELNS_18Fp8KVCacheDataTypeE1ELb1EEEvPT_PKS2_PKT0_S8_ifPKiSA_iPKfiiiSC_SC_iiiii.num_vgpr, 64
	.set _ZN4vllm25paged_attention_v1_kernelIthLi96ELi32ELi128ELNS_18Fp8KVCacheDataTypeE1ELb1EEEvPT_PKS2_PKT0_S8_ifPKiSA_iPKfiiiSC_SC_iiiii.num_agpr, 0
	.set _ZN4vllm25paged_attention_v1_kernelIthLi96ELi32ELi128ELNS_18Fp8KVCacheDataTypeE1ELb1EEEvPT_PKS2_PKT0_S8_ifPKiSA_iPKfiiiSC_SC_iiiii.numbered_sgpr, 60
	.set _ZN4vllm25paged_attention_v1_kernelIthLi96ELi32ELi128ELNS_18Fp8KVCacheDataTypeE1ELb1EEEvPT_PKS2_PKT0_S8_ifPKiSA_iPKfiiiSC_SC_iiiii.num_named_barrier, 0
	.set _ZN4vllm25paged_attention_v1_kernelIthLi96ELi32ELi128ELNS_18Fp8KVCacheDataTypeE1ELb1EEEvPT_PKS2_PKT0_S8_ifPKiSA_iPKfiiiSC_SC_iiiii.private_seg_size, 60
	.set _ZN4vllm25paged_attention_v1_kernelIthLi96ELi32ELi128ELNS_18Fp8KVCacheDataTypeE1ELb1EEEvPT_PKS2_PKT0_S8_ifPKiSA_iPKfiiiSC_SC_iiiii.uses_vcc, 1
	.set _ZN4vllm25paged_attention_v1_kernelIthLi96ELi32ELi128ELNS_18Fp8KVCacheDataTypeE1ELb1EEEvPT_PKS2_PKT0_S8_ifPKiSA_iPKfiiiSC_SC_iiiii.uses_flat_scratch, 0
	.set _ZN4vllm25paged_attention_v1_kernelIthLi96ELi32ELi128ELNS_18Fp8KVCacheDataTypeE1ELb1EEEvPT_PKS2_PKT0_S8_ifPKiSA_iPKfiiiSC_SC_iiiii.has_dyn_sized_stack, 0
	.set _ZN4vllm25paged_attention_v1_kernelIthLi96ELi32ELi128ELNS_18Fp8KVCacheDataTypeE1ELb1EEEvPT_PKS2_PKT0_S8_ifPKiSA_iPKfiiiSC_SC_iiiii.has_recursion, 0
	.set _ZN4vllm25paged_attention_v1_kernelIthLi96ELi32ELi128ELNS_18Fp8KVCacheDataTypeE1ELb1EEEvPT_PKS2_PKT0_S8_ifPKiSA_iPKfiiiSC_SC_iiiii.has_indirect_call, 0
	.section	.AMDGPU.csdata,"",@progbits
; Kernel info:
; codeLenInByte = 26808
; TotalNumSgprs: 64
; NumVgprs: 64
; ScratchSize: 60
; MemoryBound: 0
; FloatMode: 240
; IeeeMode: 1
; LDSByteSize: 208 bytes/workgroup (compile time only)
; SGPRBlocks: 7
; VGPRBlocks: 15
; NumSGPRsForWavesPerEU: 64
; NumVGPRsForWavesPerEU: 64
; Occupancy: 4
; WaveLimiterHint : 1
; COMPUTE_PGM_RSRC2:SCRATCH_EN: 1
; COMPUTE_PGM_RSRC2:USER_SGPR: 6
; COMPUTE_PGM_RSRC2:TRAP_HANDLER: 0
; COMPUTE_PGM_RSRC2:TGID_X_EN: 1
; COMPUTE_PGM_RSRC2:TGID_Y_EN: 1
; COMPUTE_PGM_RSRC2:TGID_Z_EN: 1
; COMPUTE_PGM_RSRC2:TIDIG_COMP_CNT: 0
	.section	.text._ZN4vllm25paged_attention_v1_kernelIthLi112ELi32ELi128ELNS_18Fp8KVCacheDataTypeE1ELb1EEEvPT_PKS2_PKT0_S8_ifPKiSA_iPKfiiiSC_SC_iiiii,"axG",@progbits,_ZN4vllm25paged_attention_v1_kernelIthLi112ELi32ELi128ELNS_18Fp8KVCacheDataTypeE1ELb1EEEvPT_PKS2_PKT0_S8_ifPKiSA_iPKfiiiSC_SC_iiiii,comdat
	.protected	_ZN4vllm25paged_attention_v1_kernelIthLi112ELi32ELi128ELNS_18Fp8KVCacheDataTypeE1ELb1EEEvPT_PKS2_PKT0_S8_ifPKiSA_iPKfiiiSC_SC_iiiii ; -- Begin function _ZN4vllm25paged_attention_v1_kernelIthLi112ELi32ELi128ELNS_18Fp8KVCacheDataTypeE1ELb1EEEvPT_PKS2_PKT0_S8_ifPKiSA_iPKfiiiSC_SC_iiiii
	.globl	_ZN4vllm25paged_attention_v1_kernelIthLi112ELi32ELi128ELNS_18Fp8KVCacheDataTypeE1ELb1EEEvPT_PKS2_PKT0_S8_ifPKiSA_iPKfiiiSC_SC_iiiii
	.p2align	8
	.type	_ZN4vllm25paged_attention_v1_kernelIthLi112ELi32ELi128ELNS_18Fp8KVCacheDataTypeE1ELb1EEEvPT_PKS2_PKT0_S8_ifPKiSA_iPKfiiiSC_SC_iiiii,@function
_ZN4vllm25paged_attention_v1_kernelIthLi112ELi32ELi128ELNS_18Fp8KVCacheDataTypeE1ELb1EEEvPT_PKS2_PKT0_S8_ifPKiSA_iPKfiiiSC_SC_iiiii: ; @_ZN4vllm25paged_attention_v1_kernelIthLi112ELi32ELi128ELNS_18Fp8KVCacheDataTypeE1ELb1EEEvPT_PKS2_PKT0_S8_ifPKiSA_iPKfiiiSC_SC_iiiii
; %bb.0:
	s_mov_b64 s[58:59], s[2:3]
	s_mov_b64 s[56:57], s[0:1]
	s_add_u32 s56, s56, s9
	s_load_dword s9, s[4:5], 0x80
	s_load_dwordx2 s[0:1], s[4:5], 0x30
	s_load_dwordx2 s[36:37], s[4:5], 0x20
	s_addc_u32 s57, s57, 0
	s_mov_b32 s10, s7
	s_ashr_i32 s11, s7, 31
	s_lshl_b64 s[2:3], s[10:11], 2
	s_waitcnt lgkmcnt(0)
	s_add_u32 s0, s0, s2
	s_addc_u32 s1, s1, s3
	s_abs_i32 s2, s36
	v_mov_b32_e32 v12, v0
	v_cvt_f32_u32_e32 v0, s2
	s_sub_i32 s11, 0, s2
	s_abs_i32 s7, s9
	s_xor_b32 s3, s9, s36
	v_rcp_iflag_f32_e32 v0, v0
	s_ashr_i32 s3, s3, 31
	s_mov_b32 s48, 0
	v_mul_f32_e32 v0, 0x4f7ffffe, v0
	v_cvt_u32_f32_e32 v0, v0
	v_readfirstlane_b32 s12, v0
	s_mul_i32 s11, s11, s12
	s_mul_hi_u32 s11, s12, s11
	s_add_i32 s12, s12, s11
	s_mul_hi_u32 s11, s7, s12
	s_mul_i32 s12, s11, s2
	s_sub_i32 s7, s7, s12
	s_add_i32 s12, s11, 1
	s_sub_i32 s13, s7, s2
	s_cmp_ge_u32 s7, s2
	s_cselect_b32 s11, s12, s11
	s_cselect_b32 s7, s13, s7
	s_add_i32 s12, s11, 1
	s_cmp_ge_u32 s7, s2
	s_cselect_b32 s2, s12, s11
	s_xor_b32 s2, s2, s3
	s_sub_i32 s14, s2, s3
	s_abs_i32 s11, s14
	v_cvt_f32_u32_e32 v0, s11
	s_load_dwordx2 s[2:3], s[4:5], 0x40
	s_sub_i32 s7, 0, s11
	s_abs_i32 s12, s6
	v_rcp_iflag_f32_e32 v0, v0
	v_mul_f32_e32 v0, 0x4f7ffffe, v0
	v_cvt_u32_f32_e32 v0, v0
	v_readfirstlane_b32 s13, v0
	s_mul_i32 s7, s7, s13
	s_mul_hi_u32 s7, s13, s7
	s_add_i32 s13, s13, s7
	s_waitcnt lgkmcnt(0)
	s_cmp_eq_u64 s[2:3], 0
	s_mul_hi_u32 s13, s12, s13
	s_cbranch_scc1 .LBB258_2
; %bb.1:
	s_ashr_i32 s7, s6, 31
	s_lshl_b64 s[16:17], s[6:7], 2
	s_add_u32 s2, s2, s16
	s_addc_u32 s3, s3, s17
	s_load_dword s48, s[2:3], 0x0
.LBB258_2:
	s_load_dword s33, s[0:1], 0x0
	s_load_dwordx4 s[16:19], s[4:5], 0x48
	s_ashr_i32 s2, s6, 31
	s_ashr_i32 s7, s14, 31
	v_and_b32_e32 v0, 1, v12
	s_movk_i32 s3, 0x70
	s_mul_i32 s24, s6, 0x70
	v_cmp_gt_u32_e32 vcc, 28, v12
	v_lshlrev_b32_e32 v13, 3, v12
	s_and_saveexec_b64 s[0:1], vcc
	s_cbranch_execz .LBB258_4
; %bb.3:
	s_load_dwordx2 s[14:15], s[4:5], 0x8
	s_waitcnt lgkmcnt(0)
	s_mul_i32 s20, s16, s10
	s_ashr_i32 s21, s20, 31
	s_lshl_b64 s[20:21], s[20:21], 1
	v_lshlrev_b32_e32 v3, 2, v12
	s_add_u32 s16, s14, s20
	s_addc_u32 s19, s15, s21
	s_ashr_i32 s25, s24, 31
	s_lshl_b64 s[14:15], s[24:25], 1
	s_add_u32 s14, s16, s14
	s_addc_u32 s15, s19, s15
	global_load_dwordx2 v[1:2], v13, s[14:15]
	v_and_b32_e32 v3, 0xff8, v3
	v_mad_u32_u24 v3, v0, s3, v3
	s_waitcnt vmcnt(0)
	ds_write_b64 v3, v[1:2]
.LBB258_4:
	s_or_b64 exec, exec, s[0:1]
	s_mul_i32 s1, s13, s11
	s_sub_i32 s1, s12, s1
	s_xor_b32 s0, s2, s7
	s_add_i32 s2, s13, 1
	s_sub_i32 s7, s1, s11
	s_load_dwordx4 s[20:23], s[4:5], 0x68
	s_load_dword s3, s[4:5], 0x78
	s_cmp_ge_u32 s1, s11
	s_cselect_b32 s2, s2, s13
	s_cselect_b32 s1, s7, s1
	s_add_i32 s7, s2, 1
	s_cmp_ge_u32 s1, s11
	s_cselect_b32 s1, s7, s2
	s_waitcnt lgkmcnt(0)
	s_abs_i32 s25, s23
	v_cvt_f32_u32_e32 v1, s25
	s_xor_b32 s1, s1, s0
	s_sub_i32 s2, s1, s0
	s_sub_i32 s0, 0, s25
	v_rcp_iflag_f32_e32 v1, v1
	s_add_i32 s11, s33, -1
	s_abs_i32 s7, s11
	v_mul_f32_e32 v1, 0x4f7ffffe, v1
	v_cvt_u32_f32_e32 v1, v1
	s_barrier
	v_readfirstlane_b32 s46, v1
	s_mul_i32 s0, s0, s46
	s_mul_hi_u32 s0, s46, s0
	s_add_i32 s46, s46, s0
	s_cmp_lt_i32 s3, 0
	s_mul_hi_u32 s16, s7, s46
	s_cbranch_scc0 .LBB258_6
; %bb.5:
	s_mul_i32 s0, s20, s36
	s_add_i32 s0, s2, s0
	s_mul_i32 s0, s0, s3
	s_sub_i32 s36, 1, s0
	s_mov_b64 s[0:1], 0
	s_branch .LBB258_7
.LBB258_6:
	s_mov_b64 s[0:1], -1
                                        ; implicit-def: $sgpr36
.LBB258_7:
	s_load_dwordx2 s[28:29], s[4:5], 0x28
	s_ashr_i32 s19, s11, 31
	s_andn2_b64 vcc, exec, s[0:1]
	s_ashr_i32 s23, s23, 31
	s_cbranch_vccnz .LBB258_9
; %bb.8:
	s_mul_i32 s0, s9, s20
	s_add_i32 s0, s0, s6
	s_mul_i32 s0, s0, s3
	s_add_i32 s36, s0, 1
.LBB258_9:
	s_load_dword s0, s[4:5], 0x38
	s_load_dwordx2 s[26:27], s[4:5], 0x0
	s_load_dwordx2 s[34:35], s[4:5], 0x18
	s_load_dword s11, s[4:5], 0x88
	s_load_dwordx4 s[12:15], s[4:5], 0x58
	s_mul_i32 s1, s16, s25
	s_waitcnt lgkmcnt(0)
	s_mul_i32 s30, s0, s10
	s_sub_i32 s1, s7, s1
	s_ashr_i32 s31, s30, 31
	s_xor_b32 s0, s19, s23
	s_add_i32 s3, s16, 1
	s_sub_i32 s6, s1, s25
	s_cmp_ge_u32 s1, s25
	s_cselect_b32 s3, s3, s16
	s_cselect_b32 s1, s6, s1
	s_add_i32 s6, s3, 1
	s_cmp_ge_u32 s1, s25
	s_cselect_b32 s1, s6, s3
	s_xor_b32 s1, s1, s0
	s_sub_i32 s16, s1, s0
	s_add_i32 s0, s33, 31
	s_ashr_i32 s1, s0, 31
	s_lshr_b32 s1, s1, 27
	s_add_i32 s0, s0, s1
	s_ashr_i32 s47, s0, 5
	v_lshrrev_b32_e32 v1, 6, v12
	v_cmp_gt_i32_e64 s[0:1], s47, v1
	v_mov_b32_e32 v3, 0xff7fffff
	s_mul_i32 s20, s2, s18
	v_lshrrev_b32_e32 v26, 4, v12
	buffer_store_dword v1, off, s[56:59], 0 ; 4-byte Folded Spill
	v_lshlrev_b32_e32 v1, 5, v1
	v_mbcnt_lo_u32_b32 v2, -1, 0
	buffer_store_dword v1, off, s[56:59], 0 offset:96 ; 4-byte Folded Spill
	s_mov_b64 s[18:19], exec
	s_and_b64 s[2:3], s[18:19], s[0:1]
	buffer_store_dword v12, off, s[56:59], 0 offset:92 ; 4-byte Folded Spill
	s_mov_b64 exec, s[2:3]
	s_cbranch_execz .LBB258_357
; %bb.10:
	s_load_dwordx2 s[2:3], s[4:5], 0x10
	s_sub_i32 s49, s16, s21
	s_ashr_i32 s4, s20, 31
	v_cmp_eq_u32_e32 vcc, 0, v0
	v_lshlrev_b32_e32 v3, 2, v0
	s_waitcnt lgkmcnt(0)
	s_add_u32 s5, s2, s20
	s_addc_u32 s4, s3, s4
	s_abs_i32 s50, s22
	v_cvt_f32_u32_e32 v1, s50
	s_sub_i32 s2, 0, s50
	v_mul_u32_u24_e32 v16, 0x70, v0
	v_bfe_u32 v8, v12, 1, 5
	v_rcp_iflag_f32_e32 v1, v1
	v_lshlrev_b32_e32 v4, 4, v8
	v_mov_b32_e32 v5, s4
	v_add_co_u32_e64 v4, s[4:5], s5, v4
	v_mul_f32_e32 v1, 0x4f7ffffe, v1
	v_cvt_u32_f32_e32 v1, v1
	v_addc_co_u32_e64 v5, s[4:5], 0, v5, s[4:5]
	buffer_store_dword v13, off, s[56:59], 0 offset:100 ; 4-byte Folded Spill
	v_mul_lo_u32 v0, s2, v1
	v_mov_b32_e32 v7, v2
	s_mov_b32 s51, s17
	v_mov_b32_e32 v2, 0
	v_mul_hi_u32 v0, v1, v0
	v_cmp_neq_f32_e64 s[2:3], s48, 0
	s_mov_b64 s[38:39], 0
	s_movk_i32 s52, 0x80
	v_add_u32_e32 v0, v1, v0
	buffer_store_dword v0, off, s[56:59], 0 offset:28 ; 4-byte Folded Spill
	v_add_co_u32_e64 v0, s[4:5], v4, v3
	v_addc_co_u32_e64 v1, s[4:5], 0, v5, s[4:5]
	buffer_store_dword v0, off, s[56:59], 0 offset:72 ; 4-byte Folded Spill
	s_nop 0
	buffer_store_dword v1, off, s[56:59], 0 offset:76 ; 4-byte Folded Spill
	buffer_store_dword v26, off, s[56:59], 0 offset:104 ; 4-byte Folded Spill
	buffer_load_dword v24, off, s[56:59], 0 ; 4-byte Folded Reload
	s_lshl_b64 s[4:5], s[30:31], 2
	s_add_u32 s4, s28, s4
	v_and_b32_e32 v0, 60, v26
	s_addc_u32 s5, s29, s5
	v_mov_b32_e32 v1, s5
	v_add_co_u32_e64 v5, s[4:5], s4, v0
	v_subrev_u32_e32 v0, s33, v8
	v_add_u32_e32 v0, 1, v0
	buffer_store_dword v0, off, s[56:59], 0 offset:88 ; 4-byte Folded Spill
	buffer_store_dword v8, off, s[56:59], 0 offset:84 ; 4-byte Folded Spill
	v_lshlrev_b32_e32 v0, 2, v8
	v_addc_co_u32_e64 v6, s[4:5], 0, v1, s[4:5]
	s_movk_i32 s53, 0x7f
	s_mov_b32 s54, 0x8000
	s_mov_b32 s55, 0xffffff
	s_waitcnt vmcnt(2)
	v_lshl_or_b32 v0, v24, 7, v0
	v_add_u32_e32 v51, 0xf0, v0
	v_mbcnt_hi_u32_b32 v0, -1, v7
	v_lshlrev_b32_e32 v19, 5, v24
	buffer_store_dword v0, off, s[56:59], 0 offset:80 ; 4-byte Folded Spill
	v_mov_b32_e32 v0, 0xff7fffff
	buffer_store_dword v0, off, s[56:59], 0 offset:68 ; 4-byte Folded Spill
	s_branch .LBB258_13
.LBB258_11:                             ;   in Loop: Header=BB258_13 Depth=1
	s_or_b64 exec, exec, s[40:41]
.LBB258_12:                             ;   in Loop: Header=BB258_13 Depth=1
	s_or_b64 exec, exec, s[6:7]
	v_add_co_u32_e64 v5, s[4:5], 8, v5
	v_add_u32_e32 v24, 2, v24
	v_addc_co_u32_e64 v6, s[4:5], 0, v6, s[4:5]
	v_cmp_le_i32_e64 s[4:5], s47, v24
	v_add_u32_e32 v19, 64, v19
	s_or_b64 s[38:39], s[4:5], s[38:39]
	v_add_u32_e32 v51, 0x100, v51
	s_andn2_b64 exec, exec, s[38:39]
	s_cbranch_execz .LBB258_356
.LBB258_13:                             ; =>This Inner Loop Header: Depth=1
	buffer_load_dword v4, off, s[56:59], 0 offset:28 ; 4-byte Folded Reload
	v_mul_hi_u32 v0, v19, s46
	s_waitcnt lgkmcnt(0)
	v_mul_lo_u32 v1, v0, s25
	v_add_u32_e32 v3, 1, v0
	v_sub_u32_e32 v1, v19, v1
	v_cmp_le_u32_e64 s[4:5], s25, v1
	v_cndmask_b32_e64 v0, v0, v3, s[4:5]
	v_subrev_u32_e32 v3, s25, v1
	v_cndmask_b32_e64 v1, v1, v3, s[4:5]
	v_add_u32_e32 v3, 1, v0
	v_cmp_le_u32_e64 s[4:5], s25, v1
	v_cndmask_b32_e64 v0, v0, v3, s[4:5]
	v_xor_b32_e32 v0, s23, v0
	v_subrev_u32_e32 v0, s23, v0
	v_add_u32_e32 v1, s36, v0
	v_sub_u32_e32 v3, 0, v1
	v_max_i32_e32 v3, v1, v3
	v_ashrrev_i32_e32 v1, 31, v1
	v_cmp_ge_i32_e64 s[6:7], s49, v0
	s_waitcnt vmcnt(0)
	v_mul_hi_u32 v4, v3, v4
	v_mul_lo_u32 v4, v4, s50
	v_sub_u32_e32 v3, v3, v4
	v_subrev_u32_e32 v4, s50, v3
	v_cmp_le_u32_e64 s[4:5], s50, v3
	v_cndmask_b32_e64 v3, v3, v4, s[4:5]
	v_subrev_u32_e32 v4, s50, v3
	v_cmp_le_u32_e64 s[4:5], s50, v3
	v_cndmask_b32_e64 v3, v3, v4, s[4:5]
	v_xor_b32_e32 v3, v3, v1
	v_sub_u32_e32 v1, v3, v1
	v_cmp_ne_u32_e64 s[4:5], 0, v1
	s_and_b64 s[4:5], s[4:5], s[6:7]
	s_and_saveexec_b64 s[6:7], s[4:5]
	s_xor_b64 s[4:5], exec, s[6:7]
	s_cbranch_execz .LBB258_17
; %bb.14:                               ;   in Loop: Header=BB258_13 Depth=1
	s_and_saveexec_b64 s[6:7], vcc
; %bb.15:                               ;   in Loop: Header=BB258_13 Depth=1
	v_mov_b32_e32 v0, 0xff7fffff
	ds_write_b32 v51, v0
; %bb.16:                               ;   in Loop: Header=BB258_13 Depth=1
	s_or_b64 exec, exec, s[6:7]
.LBB258_17:                             ;   in Loop: Header=BB258_13 Depth=1
	s_andn2_saveexec_b64 s[6:7], s[4:5]
	s_cbranch_execz .LBB258_12
; %bb.18:                               ;   in Loop: Header=BB258_13 Depth=1
	global_load_dword v0, v[5:6], off
	buffer_load_dword v3, off, s[56:59], 0 offset:72 ; 4-byte Folded Reload
	buffer_load_dword v4, off, s[56:59], 0 offset:76 ; 4-byte Folded Reload
	v_mov_b32_e32 v21, 0
	global_load_dword v25, v21, s[12:13]
	v_mov_b32_e32 v57, 0
	s_waitcnt vmcnt(1)
	v_mad_i64_i32 v[7:8], s[4:5], v0, s51, v[3:4]
	global_load_dword v9, v[7:8], off
	s_waitcnt vmcnt(0)
	v_cmp_ne_u16_sdwa s[4:5], v9, v2 src0_sel:BYTE_0 src1_sel:DWORD
	s_and_saveexec_b64 s[40:41], s[4:5]
	s_cbranch_execz .LBB258_24
; %bb.19:                               ;   in Loop: Header=BB258_13 Depth=1
	v_cmp_ne_u16_sdwa s[4:5], v9, s52 src0_sel:BYTE_0 src1_sel:DWORD
	v_mov_b32_e32 v57, 0x8000
	s_and_saveexec_b64 s[42:43], s[4:5]
	s_cbranch_execz .LBB258_23
; %bb.20:                               ;   in Loop: Header=BB258_13 Depth=1
	v_and_b32_e32 v0, 0x7f, v9
	v_cmp_ne_u32_e64 s[4:5], s53, v0
	v_mov_b32_e32 v57, 0x7c01
	s_and_saveexec_b64 s[44:45], s[4:5]
	s_cbranch_execz .LBB258_22
; %bb.21:                               ;   in Loop: Header=BB258_13 Depth=1
	v_and_b32_e32 v1, 7, v9
	v_ffbh_u32_e32 v3, v1
	v_min_u32_e32 v11, 32, v3
	v_lshrrev_b32_e32 v10, 3, v0
	v_subrev_u32_e32 v3, 28, v11
	v_lshlrev_b64 v[3:4], v3, v[9:10]
	v_sub_u32_e32 v4, 29, v11
	v_cmp_gt_u32_e64 s[4:5], 8, v0
	v_cndmask_b32_e64 v0, v10, v4, s[4:5]
	v_mov_b32_e32 v10, 0x2000
	v_lshl_add_u32 v0, v0, 10, v10
	v_lshlrev_b32_e32 v4, 8, v9
	v_and_b32_e32 v3, 7, v3
	v_and_b32_e32 v0, 0xfc00, v0
	v_cndmask_b32_e64 v1, v1, v3, s[4:5]
	v_and_or_b32 v0, v4, s54, v0
	v_lshl_or_b32 v57, v1, 7, v0
.LBB258_22:                             ;   in Loop: Header=BB258_13 Depth=1
	s_or_b64 exec, exec, s[44:45]
.LBB258_23:                             ;   in Loop: Header=BB258_13 Depth=1
	s_or_b64 exec, exec, s[42:43]
.LBB258_24:                             ;   in Loop: Header=BB258_13 Depth=1
	s_or_b64 exec, exec, s[40:41]
	v_lshrrev_b16_e32 v1, 8, v9
	v_cmp_ne_u16_e64 s[4:5], 0, v1
	s_and_saveexec_b64 s[40:41], s[4:5]
	s_cbranch_execz .LBB258_30
; %bb.25:                               ;   in Loop: Header=BB258_13 Depth=1
	v_cmp_ne_u16_e64 s[4:5], s52, v1
	v_bfrev_b32_e32 v21, 1
	s_and_saveexec_b64 s[42:43], s[4:5]
	s_cbranch_execz .LBB258_29
; %bb.26:                               ;   in Loop: Header=BB258_13 Depth=1
	v_and_b32_e32 v0, 0x7f, v1
	v_cmp_ne_u32_e64 s[4:5], s53, v0
	v_mov_b32_e32 v21, 0x7c010000
	s_and_saveexec_b64 s[44:45], s[4:5]
	s_cbranch_execz .LBB258_28
; %bb.27:                               ;   in Loop: Header=BB258_13 Depth=1
	v_and_b32_e32 v10, 7, v1
	v_ffbh_u32_e32 v3, v10
	v_min_u32_e32 v12, 32, v3
	v_subrev_u32_e32 v3, 28, v12
	v_lshlrev_b64 v[3:4], v3, v[1:2]
	v_lshrrev_b32_e32 v11, 3, v0
	v_sub_u32_e32 v4, 29, v12
	v_cmp_gt_u32_e64 s[4:5], 8, v0
	v_cndmask_b32_e64 v0, v11, v4, s[4:5]
	v_mov_b32_e32 v4, 0x2000
	v_lshlrev_b32_e32 v1, 8, v1
	v_lshl_add_u32 v0, v0, 10, v4
	v_and_b32_e32 v3, 7, v3
	v_and_or_b32 v0, v1, s54, v0
	v_cndmask_b32_e64 v3, v10, v3, s[4:5]
	v_lshlrev_b32_e32 v0, 16, v0
	v_lshl_or_b32 v21, v3, 23, v0
.LBB258_28:                             ;   in Loop: Header=BB258_13 Depth=1
	s_or_b64 exec, exec, s[44:45]
.LBB258_29:                             ;   in Loop: Header=BB258_13 Depth=1
	s_or_b64 exec, exec, s[42:43]
.LBB258_30:                             ;   in Loop: Header=BB258_13 Depth=1
	s_or_b64 exec, exec, s[40:41]
	v_lshrrev_b32_e32 v1, 16, v9
	v_cmp_ne_u16_sdwa s[4:5], v1, v2 src0_sel:BYTE_0 src1_sel:DWORD
	v_mov_b32_e32 v35, 0
	v_mov_b32_e32 v39, 0
	s_and_saveexec_b64 s[40:41], s[4:5]
	s_cbranch_execz .LBB258_36
; %bb.31:                               ;   in Loop: Header=BB258_13 Depth=1
	v_cmp_ne_u16_sdwa s[4:5], v1, s52 src0_sel:BYTE_0 src1_sel:DWORD
	v_mov_b32_e32 v39, 0x8000
	s_and_saveexec_b64 s[42:43], s[4:5]
	s_cbranch_execz .LBB258_35
; %bb.32:                               ;   in Loop: Header=BB258_13 Depth=1
	v_bfe_u32 v0, v9, 16, 7
	v_cmp_ne_u32_e64 s[4:5], s53, v0
	v_mov_b32_e32 v39, 0x7c01
	s_and_saveexec_b64 s[44:45], s[4:5]
	s_cbranch_execz .LBB258_34
; %bb.33:                               ;   in Loop: Header=BB258_13 Depth=1
	v_and_b32_e32 v10, 7, v1
	v_ffbh_u32_e32 v3, v10
	v_min_u32_e32 v12, 32, v3
	v_subrev_u32_e32 v3, 28, v12
	v_lshlrev_b64 v[3:4], v3, v[1:2]
	v_lshrrev_b32_e32 v11, 3, v0
	v_sub_u32_e32 v4, 29, v12
	v_cmp_gt_u32_e64 s[4:5], 8, v0
	v_cndmask_b32_e64 v0, v11, v4, s[4:5]
	v_mov_b32_e32 v4, 0x2000
	v_lshl_add_u32 v0, v0, 10, v4
	v_lshlrev_b32_e32 v1, 8, v1
	v_and_b32_e32 v3, 7, v3
	v_and_b32_e32 v0, 0xfc00, v0
	v_cndmask_b32_e64 v3, v10, v3, s[4:5]
	v_and_or_b32 v0, v1, s54, v0
	v_lshl_or_b32 v39, v3, 7, v0
.LBB258_34:                             ;   in Loop: Header=BB258_13 Depth=1
	s_or_b64 exec, exec, s[44:45]
.LBB258_35:                             ;   in Loop: Header=BB258_13 Depth=1
	s_or_b64 exec, exec, s[42:43]
.LBB258_36:                             ;   in Loop: Header=BB258_13 Depth=1
	s_or_b64 exec, exec, s[40:41]
	v_cmp_lt_u32_e64 s[4:5], s55, v9
	s_and_saveexec_b64 s[40:41], s[4:5]
	s_cbranch_execz .LBB258_42
; %bb.37:                               ;   in Loop: Header=BB258_13 Depth=1
	v_lshrrev_b32_e32 v1, 24, v9
	v_cmp_ne_u32_e64 s[4:5], s52, v1
	v_bfrev_b32_e32 v35, 1
	s_and_saveexec_b64 s[42:43], s[4:5]
	s_cbranch_execz .LBB258_41
; %bb.38:                               ;   in Loop: Header=BB258_13 Depth=1
	v_and_b32_e32 v0, 0x7f, v1
	v_cmp_ne_u32_e64 s[4:5], s53, v0
	v_mov_b32_e32 v35, 0x7c010000
	s_and_saveexec_b64 s[44:45], s[4:5]
	s_cbranch_execz .LBB258_40
; %bb.39:                               ;   in Loop: Header=BB258_13 Depth=1
	v_and_b32_e32 v9, 7, v1
	v_ffbh_u32_e32 v3, v9
	v_min_u32_e32 v11, 32, v3
	v_subrev_u32_e32 v3, 28, v11
	v_lshlrev_b64 v[3:4], v3, v[1:2]
	v_lshrrev_b32_e32 v10, 3, v0
	v_sub_u32_e32 v4, 29, v11
	v_cmp_gt_u32_e64 s[4:5], 8, v0
	v_cndmask_b32_e64 v0, v10, v4, s[4:5]
	v_mov_b32_e32 v4, 0x2000
	v_lshlrev_b32_e32 v1, 8, v1
	v_lshl_add_u32 v0, v0, 10, v4
	v_and_b32_e32 v3, 7, v3
	v_and_or_b32 v0, v1, s54, v0
	v_cndmask_b32_e64 v3, v9, v3, s[4:5]
	v_lshlrev_b32_e32 v0, 16, v0
	v_lshl_or_b32 v35, v3, 23, v0
.LBB258_40:                             ;   in Loop: Header=BB258_13 Depth=1
	s_or_b64 exec, exec, s[44:45]
.LBB258_41:                             ;   in Loop: Header=BB258_13 Depth=1
	s_or_b64 exec, exec, s[42:43]
.LBB258_42:                             ;   in Loop: Header=BB258_13 Depth=1
	s_or_b64 exec, exec, s[40:41]
	global_load_dword v9, v[7:8], off offset:8
	v_mov_b32_e32 v33, 0
	v_mov_b32_e32 v31, 0
	s_waitcnt vmcnt(0)
	v_cmp_ne_u16_sdwa s[4:5], v9, v2 src0_sel:BYTE_0 src1_sel:DWORD
	s_and_saveexec_b64 s[40:41], s[4:5]
	s_cbranch_execz .LBB258_48
; %bb.43:                               ;   in Loop: Header=BB258_13 Depth=1
	v_cmp_ne_u16_sdwa s[4:5], v9, s52 src0_sel:BYTE_0 src1_sel:DWORD
	v_mov_b32_e32 v31, 0x8000
	s_and_saveexec_b64 s[42:43], s[4:5]
	s_cbranch_execz .LBB258_47
; %bb.44:                               ;   in Loop: Header=BB258_13 Depth=1
	v_and_b32_e32 v0, 0x7f, v9
	v_cmp_ne_u32_e64 s[4:5], s53, v0
	v_mov_b32_e32 v31, 0x7c01
	s_and_saveexec_b64 s[44:45], s[4:5]
	s_cbranch_execz .LBB258_46
; %bb.45:                               ;   in Loop: Header=BB258_13 Depth=1
	v_and_b32_e32 v1, 7, v9
	v_ffbh_u32_e32 v3, v1
	v_min_u32_e32 v11, 32, v3
	v_lshrrev_b32_e32 v10, 3, v0
	v_subrev_u32_e32 v3, 28, v11
	v_lshlrev_b64 v[3:4], v3, v[9:10]
	v_sub_u32_e32 v4, 29, v11
	v_cmp_gt_u32_e64 s[4:5], 8, v0
	v_cndmask_b32_e64 v0, v10, v4, s[4:5]
	v_mov_b32_e32 v10, 0x2000
	v_lshl_add_u32 v0, v0, 10, v10
	v_lshlrev_b32_e32 v4, 8, v9
	v_and_b32_e32 v3, 7, v3
	v_and_b32_e32 v0, 0xfc00, v0
	v_cndmask_b32_e64 v1, v1, v3, s[4:5]
	v_and_or_b32 v0, v4, s54, v0
	v_lshl_or_b32 v31, v1, 7, v0
.LBB258_46:                             ;   in Loop: Header=BB258_13 Depth=1
	s_or_b64 exec, exec, s[44:45]
.LBB258_47:                             ;   in Loop: Header=BB258_13 Depth=1
	s_or_b64 exec, exec, s[42:43]
.LBB258_48:                             ;   in Loop: Header=BB258_13 Depth=1
	s_or_b64 exec, exec, s[40:41]
	v_lshrrev_b16_e32 v1, 8, v9
	v_cmp_ne_u16_e64 s[4:5], 0, v1
	s_and_saveexec_b64 s[40:41], s[4:5]
	s_cbranch_execz .LBB258_54
; %bb.49:                               ;   in Loop: Header=BB258_13 Depth=1
	v_cmp_ne_u16_e64 s[4:5], s52, v1
	v_bfrev_b32_e32 v33, 1
	s_and_saveexec_b64 s[42:43], s[4:5]
	s_cbranch_execz .LBB258_53
; %bb.50:                               ;   in Loop: Header=BB258_13 Depth=1
	v_and_b32_e32 v0, 0x7f, v1
	v_cmp_ne_u32_e64 s[4:5], s53, v0
	v_mov_b32_e32 v33, 0x7c010000
	s_and_saveexec_b64 s[44:45], s[4:5]
	s_cbranch_execz .LBB258_52
; %bb.51:                               ;   in Loop: Header=BB258_13 Depth=1
	v_and_b32_e32 v10, 7, v1
	v_ffbh_u32_e32 v3, v10
	v_min_u32_e32 v12, 32, v3
	v_subrev_u32_e32 v3, 28, v12
	v_lshlrev_b64 v[3:4], v3, v[1:2]
	v_lshrrev_b32_e32 v11, 3, v0
	v_sub_u32_e32 v4, 29, v12
	v_cmp_gt_u32_e64 s[4:5], 8, v0
	v_cndmask_b32_e64 v0, v11, v4, s[4:5]
	v_mov_b32_e32 v4, 0x2000
	v_lshlrev_b32_e32 v1, 8, v1
	v_lshl_add_u32 v0, v0, 10, v4
	v_and_b32_e32 v3, 7, v3
	v_and_or_b32 v0, v1, s54, v0
	v_cndmask_b32_e64 v3, v10, v3, s[4:5]
	v_lshlrev_b32_e32 v0, 16, v0
	v_lshl_or_b32 v33, v3, 23, v0
.LBB258_52:                             ;   in Loop: Header=BB258_13 Depth=1
	s_or_b64 exec, exec, s[44:45]
.LBB258_53:                             ;   in Loop: Header=BB258_13 Depth=1
	s_or_b64 exec, exec, s[42:43]
.LBB258_54:                             ;   in Loop: Header=BB258_13 Depth=1
	s_or_b64 exec, exec, s[40:41]
	v_lshrrev_b32_e32 v1, 16, v9
	v_cmp_ne_u16_sdwa s[4:5], v1, v2 src0_sel:BYTE_0 src1_sel:DWORD
	v_mov_b32_e32 v32, 0
	v_mov_b32_e32 v41, 0
	s_and_saveexec_b64 s[40:41], s[4:5]
	s_cbranch_execz .LBB258_60
; %bb.55:                               ;   in Loop: Header=BB258_13 Depth=1
	v_cmp_ne_u16_sdwa s[4:5], v1, s52 src0_sel:BYTE_0 src1_sel:DWORD
	v_mov_b32_e32 v41, 0x8000
	s_and_saveexec_b64 s[42:43], s[4:5]
	s_cbranch_execz .LBB258_59
; %bb.56:                               ;   in Loop: Header=BB258_13 Depth=1
	v_bfe_u32 v0, v9, 16, 7
	v_cmp_ne_u32_e64 s[4:5], s53, v0
	v_mov_b32_e32 v41, 0x7c01
	s_and_saveexec_b64 s[44:45], s[4:5]
	s_cbranch_execz .LBB258_58
; %bb.57:                               ;   in Loop: Header=BB258_13 Depth=1
	v_and_b32_e32 v10, 7, v1
	v_ffbh_u32_e32 v3, v10
	v_min_u32_e32 v12, 32, v3
	v_subrev_u32_e32 v3, 28, v12
	v_lshlrev_b64 v[3:4], v3, v[1:2]
	v_lshrrev_b32_e32 v11, 3, v0
	v_sub_u32_e32 v4, 29, v12
	v_cmp_gt_u32_e64 s[4:5], 8, v0
	v_cndmask_b32_e64 v0, v11, v4, s[4:5]
	v_mov_b32_e32 v4, 0x2000
	v_lshl_add_u32 v0, v0, 10, v4
	v_lshlrev_b32_e32 v1, 8, v1
	v_and_b32_e32 v3, 7, v3
	v_and_b32_e32 v0, 0xfc00, v0
	v_cndmask_b32_e64 v3, v10, v3, s[4:5]
	v_and_or_b32 v0, v1, s54, v0
	v_lshl_or_b32 v41, v3, 7, v0
.LBB258_58:                             ;   in Loop: Header=BB258_13 Depth=1
	s_or_b64 exec, exec, s[44:45]
.LBB258_59:                             ;   in Loop: Header=BB258_13 Depth=1
	s_or_b64 exec, exec, s[42:43]
.LBB258_60:                             ;   in Loop: Header=BB258_13 Depth=1
	s_or_b64 exec, exec, s[40:41]
	v_cmp_lt_u32_e64 s[4:5], s55, v9
	s_and_saveexec_b64 s[40:41], s[4:5]
	s_cbranch_execz .LBB258_66
; %bb.61:                               ;   in Loop: Header=BB258_13 Depth=1
	v_lshrrev_b32_e32 v1, 24, v9
	v_cmp_ne_u32_e64 s[4:5], s52, v1
	v_bfrev_b32_e32 v32, 1
	s_and_saveexec_b64 s[42:43], s[4:5]
	s_cbranch_execz .LBB258_65
; %bb.62:                               ;   in Loop: Header=BB258_13 Depth=1
	v_and_b32_e32 v0, 0x7f, v1
	v_cmp_ne_u32_e64 s[4:5], s53, v0
	v_mov_b32_e32 v32, 0x7c010000
	s_and_saveexec_b64 s[44:45], s[4:5]
	s_cbranch_execz .LBB258_64
; %bb.63:                               ;   in Loop: Header=BB258_13 Depth=1
	v_and_b32_e32 v9, 7, v1
	v_ffbh_u32_e32 v3, v9
	v_min_u32_e32 v11, 32, v3
	v_subrev_u32_e32 v3, 28, v11
	v_lshlrev_b64 v[3:4], v3, v[1:2]
	v_lshrrev_b32_e32 v10, 3, v0
	v_sub_u32_e32 v4, 29, v11
	v_cmp_gt_u32_e64 s[4:5], 8, v0
	v_cndmask_b32_e64 v0, v10, v4, s[4:5]
	v_mov_b32_e32 v4, 0x2000
	v_lshlrev_b32_e32 v1, 8, v1
	v_lshl_add_u32 v0, v0, 10, v4
	v_and_b32_e32 v3, 7, v3
	v_and_or_b32 v0, v1, s54, v0
	v_cndmask_b32_e64 v3, v9, v3, s[4:5]
	v_lshlrev_b32_e32 v0, 16, v0
	v_lshl_or_b32 v32, v3, 23, v0
.LBB258_64:                             ;   in Loop: Header=BB258_13 Depth=1
	s_or_b64 exec, exec, s[44:45]
.LBB258_65:                             ;   in Loop: Header=BB258_13 Depth=1
	s_or_b64 exec, exec, s[42:43]
.LBB258_66:                             ;   in Loop: Header=BB258_13 Depth=1
	s_or_b64 exec, exec, s[40:41]
	global_load_dword v9, v[7:8], off offset:512
	v_mov_b32_e32 v34, 0
	v_mov_b32_e32 v45, 0
	s_waitcnt vmcnt(0)
	v_cmp_ne_u16_sdwa s[4:5], v9, v2 src0_sel:BYTE_0 src1_sel:DWORD
	s_and_saveexec_b64 s[40:41], s[4:5]
	s_cbranch_execz .LBB258_72
; %bb.67:                               ;   in Loop: Header=BB258_13 Depth=1
	v_cmp_ne_u16_sdwa s[4:5], v9, s52 src0_sel:BYTE_0 src1_sel:DWORD
	v_mov_b32_e32 v45, 0x8000
	s_and_saveexec_b64 s[42:43], s[4:5]
	s_cbranch_execz .LBB258_71
; %bb.68:                               ;   in Loop: Header=BB258_13 Depth=1
	v_and_b32_e32 v0, 0x7f, v9
	v_cmp_ne_u32_e64 s[4:5], s53, v0
	v_mov_b32_e32 v45, 0x7c01
	s_and_saveexec_b64 s[44:45], s[4:5]
	s_cbranch_execz .LBB258_70
; %bb.69:                               ;   in Loop: Header=BB258_13 Depth=1
	v_and_b32_e32 v1, 7, v9
	v_ffbh_u32_e32 v3, v1
	v_min_u32_e32 v11, 32, v3
	v_lshrrev_b32_e32 v10, 3, v0
	v_subrev_u32_e32 v3, 28, v11
	v_lshlrev_b64 v[3:4], v3, v[9:10]
	v_sub_u32_e32 v4, 29, v11
	v_cmp_gt_u32_e64 s[4:5], 8, v0
	v_cndmask_b32_e64 v0, v10, v4, s[4:5]
	v_mov_b32_e32 v10, 0x2000
	v_lshl_add_u32 v0, v0, 10, v10
	v_lshlrev_b32_e32 v4, 8, v9
	v_and_b32_e32 v3, 7, v3
	v_and_b32_e32 v0, 0xfc00, v0
	v_cndmask_b32_e64 v1, v1, v3, s[4:5]
	v_and_or_b32 v0, v4, s54, v0
	v_lshl_or_b32 v45, v1, 7, v0
.LBB258_70:                             ;   in Loop: Header=BB258_13 Depth=1
	s_or_b64 exec, exec, s[44:45]
.LBB258_71:                             ;   in Loop: Header=BB258_13 Depth=1
	s_or_b64 exec, exec, s[42:43]
.LBB258_72:                             ;   in Loop: Header=BB258_13 Depth=1
	s_or_b64 exec, exec, s[40:41]
	v_lshrrev_b16_e32 v1, 8, v9
	v_cmp_ne_u16_e64 s[4:5], 0, v1
	s_and_saveexec_b64 s[40:41], s[4:5]
	s_cbranch_execz .LBB258_78
; %bb.73:                               ;   in Loop: Header=BB258_13 Depth=1
	v_cmp_ne_u16_e64 s[4:5], s52, v1
	v_bfrev_b32_e32 v34, 1
	s_and_saveexec_b64 s[42:43], s[4:5]
	s_cbranch_execz .LBB258_77
; %bb.74:                               ;   in Loop: Header=BB258_13 Depth=1
	v_and_b32_e32 v0, 0x7f, v1
	v_cmp_ne_u32_e64 s[4:5], s53, v0
	v_mov_b32_e32 v34, 0x7c010000
	s_and_saveexec_b64 s[44:45], s[4:5]
	s_cbranch_execz .LBB258_76
; %bb.75:                               ;   in Loop: Header=BB258_13 Depth=1
	v_and_b32_e32 v10, 7, v1
	v_ffbh_u32_e32 v3, v10
	v_min_u32_e32 v12, 32, v3
	v_subrev_u32_e32 v3, 28, v12
	v_lshlrev_b64 v[3:4], v3, v[1:2]
	v_lshrrev_b32_e32 v11, 3, v0
	v_sub_u32_e32 v4, 29, v12
	v_cmp_gt_u32_e64 s[4:5], 8, v0
	v_cndmask_b32_e64 v0, v11, v4, s[4:5]
	v_mov_b32_e32 v4, 0x2000
	v_lshlrev_b32_e32 v1, 8, v1
	v_lshl_add_u32 v0, v0, 10, v4
	v_and_b32_e32 v3, 7, v3
	v_and_or_b32 v0, v1, s54, v0
	v_cndmask_b32_e64 v3, v10, v3, s[4:5]
	v_lshlrev_b32_e32 v0, 16, v0
	v_lshl_or_b32 v34, v3, 23, v0
.LBB258_76:                             ;   in Loop: Header=BB258_13 Depth=1
	s_or_b64 exec, exec, s[44:45]
.LBB258_77:                             ;   in Loop: Header=BB258_13 Depth=1
	s_or_b64 exec, exec, s[42:43]
.LBB258_78:                             ;   in Loop: Header=BB258_13 Depth=1
	s_or_b64 exec, exec, s[40:41]
	v_lshrrev_b32_e32 v1, 16, v9
	v_cmp_ne_u16_sdwa s[4:5], v1, v2 src0_sel:BYTE_0 src1_sel:DWORD
	v_mov_b32_e32 v36, 0
	v_mov_b32_e32 v47, 0
	s_and_saveexec_b64 s[40:41], s[4:5]
	s_cbranch_execz .LBB258_84
; %bb.79:                               ;   in Loop: Header=BB258_13 Depth=1
	v_cmp_ne_u16_sdwa s[4:5], v1, s52 src0_sel:BYTE_0 src1_sel:DWORD
	v_mov_b32_e32 v47, 0x8000
	s_and_saveexec_b64 s[42:43], s[4:5]
	s_cbranch_execz .LBB258_83
; %bb.80:                               ;   in Loop: Header=BB258_13 Depth=1
	v_bfe_u32 v0, v9, 16, 7
	v_cmp_ne_u32_e64 s[4:5], s53, v0
	v_mov_b32_e32 v47, 0x7c01
	s_and_saveexec_b64 s[44:45], s[4:5]
	s_cbranch_execz .LBB258_82
; %bb.81:                               ;   in Loop: Header=BB258_13 Depth=1
	v_and_b32_e32 v10, 7, v1
	v_ffbh_u32_e32 v3, v10
	v_min_u32_e32 v12, 32, v3
	v_subrev_u32_e32 v3, 28, v12
	v_lshlrev_b64 v[3:4], v3, v[1:2]
	v_lshrrev_b32_e32 v11, 3, v0
	v_sub_u32_e32 v4, 29, v12
	v_cmp_gt_u32_e64 s[4:5], 8, v0
	v_cndmask_b32_e64 v0, v11, v4, s[4:5]
	v_mov_b32_e32 v4, 0x2000
	v_lshl_add_u32 v0, v0, 10, v4
	v_lshlrev_b32_e32 v1, 8, v1
	v_and_b32_e32 v3, 7, v3
	v_and_b32_e32 v0, 0xfc00, v0
	v_cndmask_b32_e64 v3, v10, v3, s[4:5]
	v_and_or_b32 v0, v1, s54, v0
	v_lshl_or_b32 v47, v3, 7, v0
.LBB258_82:                             ;   in Loop: Header=BB258_13 Depth=1
	s_or_b64 exec, exec, s[44:45]
.LBB258_83:                             ;   in Loop: Header=BB258_13 Depth=1
	s_or_b64 exec, exec, s[42:43]
.LBB258_84:                             ;   in Loop: Header=BB258_13 Depth=1
	s_or_b64 exec, exec, s[40:41]
	v_cmp_lt_u32_e64 s[4:5], s55, v9
	s_and_saveexec_b64 s[40:41], s[4:5]
	s_cbranch_execz .LBB258_90
; %bb.85:                               ;   in Loop: Header=BB258_13 Depth=1
	v_lshrrev_b32_e32 v1, 24, v9
	v_cmp_ne_u32_e64 s[4:5], s52, v1
	v_bfrev_b32_e32 v36, 1
	s_and_saveexec_b64 s[42:43], s[4:5]
	s_cbranch_execz .LBB258_89
; %bb.86:                               ;   in Loop: Header=BB258_13 Depth=1
	v_and_b32_e32 v0, 0x7f, v1
	v_cmp_ne_u32_e64 s[4:5], s53, v0
	v_mov_b32_e32 v36, 0x7c010000
	s_and_saveexec_b64 s[44:45], s[4:5]
	s_cbranch_execz .LBB258_88
; %bb.87:                               ;   in Loop: Header=BB258_13 Depth=1
	v_and_b32_e32 v9, 7, v1
	v_ffbh_u32_e32 v3, v9
	v_min_u32_e32 v11, 32, v3
	v_subrev_u32_e32 v3, 28, v11
	v_lshlrev_b64 v[3:4], v3, v[1:2]
	v_lshrrev_b32_e32 v10, 3, v0
	v_sub_u32_e32 v4, 29, v11
	v_cmp_gt_u32_e64 s[4:5], 8, v0
	v_cndmask_b32_e64 v0, v10, v4, s[4:5]
	v_mov_b32_e32 v4, 0x2000
	v_lshlrev_b32_e32 v1, 8, v1
	v_lshl_add_u32 v0, v0, 10, v4
	v_and_b32_e32 v3, 7, v3
	v_and_or_b32 v0, v1, s54, v0
	v_cndmask_b32_e64 v3, v9, v3, s[4:5]
	v_lshlrev_b32_e32 v0, 16, v0
	v_lshl_or_b32 v36, v3, 23, v0
.LBB258_88:                             ;   in Loop: Header=BB258_13 Depth=1
	s_or_b64 exec, exec, s[44:45]
.LBB258_89:                             ;   in Loop: Header=BB258_13 Depth=1
	s_or_b64 exec, exec, s[42:43]
.LBB258_90:                             ;   in Loop: Header=BB258_13 Depth=1
	s_or_b64 exec, exec, s[40:41]
	global_load_dword v9, v[7:8], off offset:520
	v_mov_b32_e32 v38, 0
	v_mov_b32_e32 v49, 0
	s_waitcnt vmcnt(0)
	v_cmp_ne_u16_sdwa s[4:5], v9, v2 src0_sel:BYTE_0 src1_sel:DWORD
	s_and_saveexec_b64 s[40:41], s[4:5]
	s_cbranch_execz .LBB258_96
; %bb.91:                               ;   in Loop: Header=BB258_13 Depth=1
	v_cmp_ne_u16_sdwa s[4:5], v9, s52 src0_sel:BYTE_0 src1_sel:DWORD
	v_mov_b32_e32 v49, 0x8000
	s_and_saveexec_b64 s[42:43], s[4:5]
	s_cbranch_execz .LBB258_95
; %bb.92:                               ;   in Loop: Header=BB258_13 Depth=1
	v_and_b32_e32 v0, 0x7f, v9
	v_cmp_ne_u32_e64 s[4:5], s53, v0
	v_mov_b32_e32 v49, 0x7c01
	s_and_saveexec_b64 s[44:45], s[4:5]
	s_cbranch_execz .LBB258_94
; %bb.93:                               ;   in Loop: Header=BB258_13 Depth=1
	v_and_b32_e32 v1, 7, v9
	v_ffbh_u32_e32 v3, v1
	v_min_u32_e32 v11, 32, v3
	v_lshrrev_b32_e32 v10, 3, v0
	v_subrev_u32_e32 v3, 28, v11
	v_lshlrev_b64 v[3:4], v3, v[9:10]
	v_sub_u32_e32 v4, 29, v11
	v_cmp_gt_u32_e64 s[4:5], 8, v0
	v_cndmask_b32_e64 v0, v10, v4, s[4:5]
	v_mov_b32_e32 v10, 0x2000
	v_lshl_add_u32 v0, v0, 10, v10
	v_lshlrev_b32_e32 v4, 8, v9
	v_and_b32_e32 v3, 7, v3
	v_and_b32_e32 v0, 0xfc00, v0
	v_cndmask_b32_e64 v1, v1, v3, s[4:5]
	v_and_or_b32 v0, v4, s54, v0
	v_lshl_or_b32 v49, v1, 7, v0
.LBB258_94:                             ;   in Loop: Header=BB258_13 Depth=1
	s_or_b64 exec, exec, s[44:45]
.LBB258_95:                             ;   in Loop: Header=BB258_13 Depth=1
	s_or_b64 exec, exec, s[42:43]
.LBB258_96:                             ;   in Loop: Header=BB258_13 Depth=1
	s_or_b64 exec, exec, s[40:41]
	v_lshrrev_b16_e32 v1, 8, v9
	v_cmp_ne_u16_e64 s[4:5], 0, v1
	s_and_saveexec_b64 s[40:41], s[4:5]
	s_cbranch_execz .LBB258_102
; %bb.97:                               ;   in Loop: Header=BB258_13 Depth=1
	v_cmp_ne_u16_e64 s[4:5], s52, v1
	v_bfrev_b32_e32 v38, 1
	s_and_saveexec_b64 s[42:43], s[4:5]
	s_cbranch_execz .LBB258_101
; %bb.98:                               ;   in Loop: Header=BB258_13 Depth=1
	v_and_b32_e32 v0, 0x7f, v1
	v_cmp_ne_u32_e64 s[4:5], s53, v0
	v_mov_b32_e32 v38, 0x7c010000
	s_and_saveexec_b64 s[44:45], s[4:5]
	s_cbranch_execz .LBB258_100
; %bb.99:                               ;   in Loop: Header=BB258_13 Depth=1
	v_and_b32_e32 v10, 7, v1
	v_ffbh_u32_e32 v3, v10
	v_min_u32_e32 v12, 32, v3
	v_subrev_u32_e32 v3, 28, v12
	v_lshlrev_b64 v[3:4], v3, v[1:2]
	v_lshrrev_b32_e32 v11, 3, v0
	v_sub_u32_e32 v4, 29, v12
	v_cmp_gt_u32_e64 s[4:5], 8, v0
	v_cndmask_b32_e64 v0, v11, v4, s[4:5]
	v_mov_b32_e32 v4, 0x2000
	v_lshlrev_b32_e32 v1, 8, v1
	v_lshl_add_u32 v0, v0, 10, v4
	v_and_b32_e32 v3, 7, v3
	v_and_or_b32 v0, v1, s54, v0
	v_cndmask_b32_e64 v3, v10, v3, s[4:5]
	v_lshlrev_b32_e32 v0, 16, v0
	v_lshl_or_b32 v38, v3, 23, v0
.LBB258_100:                            ;   in Loop: Header=BB258_13 Depth=1
	s_or_b64 exec, exec, s[44:45]
.LBB258_101:                            ;   in Loop: Header=BB258_13 Depth=1
	s_or_b64 exec, exec, s[42:43]
.LBB258_102:                            ;   in Loop: Header=BB258_13 Depth=1
	s_or_b64 exec, exec, s[40:41]
	v_lshrrev_b32_e32 v1, 16, v9
	v_cmp_ne_u16_sdwa s[4:5], v1, v2 src0_sel:BYTE_0 src1_sel:DWORD
	v_mov_b32_e32 v40, 0
	v_mov_b32_e32 v26, 0
	s_and_saveexec_b64 s[40:41], s[4:5]
	s_cbranch_execz .LBB258_108
; %bb.103:                              ;   in Loop: Header=BB258_13 Depth=1
	v_cmp_ne_u16_sdwa s[4:5], v1, s52 src0_sel:BYTE_0 src1_sel:DWORD
	v_mov_b32_e32 v26, 0x8000
	s_and_saveexec_b64 s[42:43], s[4:5]
	s_cbranch_execz .LBB258_107
; %bb.104:                              ;   in Loop: Header=BB258_13 Depth=1
	v_bfe_u32 v0, v9, 16, 7
	v_cmp_ne_u32_e64 s[4:5], s53, v0
	v_mov_b32_e32 v26, 0x7c01
	s_and_saveexec_b64 s[44:45], s[4:5]
	s_cbranch_execz .LBB258_106
; %bb.105:                              ;   in Loop: Header=BB258_13 Depth=1
	v_and_b32_e32 v10, 7, v1
	v_ffbh_u32_e32 v3, v10
	v_min_u32_e32 v12, 32, v3
	v_subrev_u32_e32 v3, 28, v12
	v_lshlrev_b64 v[3:4], v3, v[1:2]
	v_lshrrev_b32_e32 v11, 3, v0
	v_sub_u32_e32 v4, 29, v12
	v_cmp_gt_u32_e64 s[4:5], 8, v0
	v_cndmask_b32_e64 v0, v11, v4, s[4:5]
	v_mov_b32_e32 v4, 0x2000
	v_lshl_add_u32 v0, v0, 10, v4
	v_lshlrev_b32_e32 v1, 8, v1
	v_and_b32_e32 v3, 7, v3
	v_and_b32_e32 v0, 0xfc00, v0
	v_cndmask_b32_e64 v3, v10, v3, s[4:5]
	v_and_or_b32 v0, v1, s54, v0
	v_lshl_or_b32 v26, v3, 7, v0
.LBB258_106:                            ;   in Loop: Header=BB258_13 Depth=1
	s_or_b64 exec, exec, s[44:45]
.LBB258_107:                            ;   in Loop: Header=BB258_13 Depth=1
	s_or_b64 exec, exec, s[42:43]
.LBB258_108:                            ;   in Loop: Header=BB258_13 Depth=1
	s_or_b64 exec, exec, s[40:41]
	v_cmp_lt_u32_e64 s[4:5], s55, v9
	s_and_saveexec_b64 s[40:41], s[4:5]
	s_cbranch_execz .LBB258_114
; %bb.109:                              ;   in Loop: Header=BB258_13 Depth=1
	v_lshrrev_b32_e32 v1, 24, v9
	v_cmp_ne_u32_e64 s[4:5], s52, v1
	v_bfrev_b32_e32 v40, 1
	s_and_saveexec_b64 s[42:43], s[4:5]
	s_cbranch_execz .LBB258_113
; %bb.110:                              ;   in Loop: Header=BB258_13 Depth=1
	v_and_b32_e32 v0, 0x7f, v1
	v_cmp_ne_u32_e64 s[4:5], s53, v0
	v_mov_b32_e32 v40, 0x7c010000
	s_and_saveexec_b64 s[44:45], s[4:5]
	s_cbranch_execz .LBB258_112
; %bb.111:                              ;   in Loop: Header=BB258_13 Depth=1
	v_and_b32_e32 v9, 7, v1
	v_ffbh_u32_e32 v3, v9
	v_min_u32_e32 v11, 32, v3
	v_subrev_u32_e32 v3, 28, v11
	v_lshlrev_b64 v[3:4], v3, v[1:2]
	v_lshrrev_b32_e32 v10, 3, v0
	v_sub_u32_e32 v4, 29, v11
	v_cmp_gt_u32_e64 s[4:5], 8, v0
	v_cndmask_b32_e64 v0, v10, v4, s[4:5]
	v_mov_b32_e32 v4, 0x2000
	v_lshlrev_b32_e32 v1, 8, v1
	v_lshl_add_u32 v0, v0, 10, v4
	v_and_b32_e32 v3, 7, v3
	v_and_or_b32 v0, v1, s54, v0
	v_cndmask_b32_e64 v3, v9, v3, s[4:5]
	v_lshlrev_b32_e32 v0, 16, v0
	v_lshl_or_b32 v40, v3, 23, v0
.LBB258_112:                            ;   in Loop: Header=BB258_13 Depth=1
	s_or_b64 exec, exec, s[44:45]
.LBB258_113:                            ;   in Loop: Header=BB258_13 Depth=1
	s_or_b64 exec, exec, s[42:43]
.LBB258_114:                            ;   in Loop: Header=BB258_13 Depth=1
	s_or_b64 exec, exec, s[40:41]
	global_load_dword v9, v[7:8], off offset:1024
	v_mov_b32_e32 v42, 0
	v_mov_b32_e32 v53, 0
	s_waitcnt vmcnt(0)
	v_cmp_ne_u16_sdwa s[4:5], v9, v2 src0_sel:BYTE_0 src1_sel:DWORD
	s_and_saveexec_b64 s[40:41], s[4:5]
	s_cbranch_execz .LBB258_120
; %bb.115:                              ;   in Loop: Header=BB258_13 Depth=1
	v_cmp_ne_u16_sdwa s[4:5], v9, s52 src0_sel:BYTE_0 src1_sel:DWORD
	v_mov_b32_e32 v53, 0x8000
	s_and_saveexec_b64 s[42:43], s[4:5]
	s_cbranch_execz .LBB258_119
; %bb.116:                              ;   in Loop: Header=BB258_13 Depth=1
	v_and_b32_e32 v0, 0x7f, v9
	v_cmp_ne_u32_e64 s[4:5], s53, v0
	v_mov_b32_e32 v53, 0x7c01
	s_and_saveexec_b64 s[44:45], s[4:5]
	s_cbranch_execz .LBB258_118
; %bb.117:                              ;   in Loop: Header=BB258_13 Depth=1
	v_and_b32_e32 v1, 7, v9
	v_ffbh_u32_e32 v3, v1
	v_min_u32_e32 v11, 32, v3
	v_lshrrev_b32_e32 v10, 3, v0
	v_subrev_u32_e32 v3, 28, v11
	v_lshlrev_b64 v[3:4], v3, v[9:10]
	v_sub_u32_e32 v4, 29, v11
	v_cmp_gt_u32_e64 s[4:5], 8, v0
	v_cndmask_b32_e64 v0, v10, v4, s[4:5]
	v_mov_b32_e32 v10, 0x2000
	v_lshl_add_u32 v0, v0, 10, v10
	v_lshlrev_b32_e32 v4, 8, v9
	v_and_b32_e32 v3, 7, v3
	v_and_b32_e32 v0, 0xfc00, v0
	v_cndmask_b32_e64 v1, v1, v3, s[4:5]
	v_and_or_b32 v0, v4, s54, v0
	v_lshl_or_b32 v53, v1, 7, v0
.LBB258_118:                            ;   in Loop: Header=BB258_13 Depth=1
	s_or_b64 exec, exec, s[44:45]
.LBB258_119:                            ;   in Loop: Header=BB258_13 Depth=1
	s_or_b64 exec, exec, s[42:43]
.LBB258_120:                            ;   in Loop: Header=BB258_13 Depth=1
	s_or_b64 exec, exec, s[40:41]
	v_lshrrev_b16_e32 v1, 8, v9
	v_cmp_ne_u16_e64 s[4:5], 0, v1
	s_and_saveexec_b64 s[40:41], s[4:5]
	s_cbranch_execz .LBB258_126
; %bb.121:                              ;   in Loop: Header=BB258_13 Depth=1
	v_cmp_ne_u16_e64 s[4:5], s52, v1
	v_bfrev_b32_e32 v42, 1
	s_and_saveexec_b64 s[42:43], s[4:5]
	s_cbranch_execz .LBB258_125
; %bb.122:                              ;   in Loop: Header=BB258_13 Depth=1
	v_and_b32_e32 v0, 0x7f, v1
	v_cmp_ne_u32_e64 s[4:5], s53, v0
	v_mov_b32_e32 v42, 0x7c010000
	s_and_saveexec_b64 s[44:45], s[4:5]
	s_cbranch_execz .LBB258_124
; %bb.123:                              ;   in Loop: Header=BB258_13 Depth=1
	v_and_b32_e32 v10, 7, v1
	v_ffbh_u32_e32 v3, v10
	v_min_u32_e32 v12, 32, v3
	v_subrev_u32_e32 v3, 28, v12
	v_lshlrev_b64 v[3:4], v3, v[1:2]
	v_lshrrev_b32_e32 v11, 3, v0
	v_sub_u32_e32 v4, 29, v12
	v_cmp_gt_u32_e64 s[4:5], 8, v0
	v_cndmask_b32_e64 v0, v11, v4, s[4:5]
	v_mov_b32_e32 v4, 0x2000
	v_lshlrev_b32_e32 v1, 8, v1
	v_lshl_add_u32 v0, v0, 10, v4
	v_and_b32_e32 v3, 7, v3
	v_and_or_b32 v0, v1, s54, v0
	v_cndmask_b32_e64 v3, v10, v3, s[4:5]
	v_lshlrev_b32_e32 v0, 16, v0
	v_lshl_or_b32 v42, v3, 23, v0
.LBB258_124:                            ;   in Loop: Header=BB258_13 Depth=1
	s_or_b64 exec, exec, s[44:45]
.LBB258_125:                            ;   in Loop: Header=BB258_13 Depth=1
	s_or_b64 exec, exec, s[42:43]
.LBB258_126:                            ;   in Loop: Header=BB258_13 Depth=1
	s_or_b64 exec, exec, s[40:41]
	v_lshrrev_b32_e32 v1, 16, v9
	v_cmp_ne_u16_sdwa s[4:5], v1, v2 src0_sel:BYTE_0 src1_sel:DWORD
	v_mov_b32_e32 v0, 0
	v_mov_b32_e32 v11, 0
	buffer_store_dword v0, off, s[56:59], 0 offset:4 ; 4-byte Folded Spill
	s_and_saveexec_b64 s[40:41], s[4:5]
	s_cbranch_execz .LBB258_132
; %bb.127:                              ;   in Loop: Header=BB258_13 Depth=1
	v_cmp_ne_u16_sdwa s[4:5], v1, s52 src0_sel:BYTE_0 src1_sel:DWORD
	v_mov_b32_e32 v11, 0x8000
	s_and_saveexec_b64 s[42:43], s[4:5]
	s_cbranch_execz .LBB258_131
; %bb.128:                              ;   in Loop: Header=BB258_13 Depth=1
	v_bfe_u32 v0, v9, 16, 7
	v_cmp_ne_u32_e64 s[4:5], s53, v0
	v_mov_b32_e32 v11, 0x7c01
	s_and_saveexec_b64 s[44:45], s[4:5]
	s_cbranch_execz .LBB258_130
; %bb.129:                              ;   in Loop: Header=BB258_13 Depth=1
	v_and_b32_e32 v10, 7, v1
	v_ffbh_u32_e32 v3, v10
	v_min_u32_e32 v12, 32, v3
	v_subrev_u32_e32 v3, 28, v12
	v_lshlrev_b64 v[3:4], v3, v[1:2]
	v_lshrrev_b32_e32 v11, 3, v0
	v_sub_u32_e32 v4, 29, v12
	v_cmp_gt_u32_e64 s[4:5], 8, v0
	v_cndmask_b32_e64 v0, v11, v4, s[4:5]
	v_mov_b32_e32 v4, 0x2000
	v_lshl_add_u32 v0, v0, 10, v4
	v_lshlrev_b32_e32 v1, 8, v1
	v_and_b32_e32 v3, 7, v3
	v_and_b32_e32 v0, 0xfc00, v0
	v_cndmask_b32_e64 v3, v10, v3, s[4:5]
	v_and_or_b32 v0, v1, s54, v0
	v_lshl_or_b32 v11, v3, 7, v0
.LBB258_130:                            ;   in Loop: Header=BB258_13 Depth=1
	s_or_b64 exec, exec, s[44:45]
.LBB258_131:                            ;   in Loop: Header=BB258_13 Depth=1
	s_or_b64 exec, exec, s[42:43]
.LBB258_132:                            ;   in Loop: Header=BB258_13 Depth=1
	s_or_b64 exec, exec, s[40:41]
	v_cmp_lt_u32_e64 s[4:5], s55, v9
	s_mov_b64 s[40:41], exec
	s_and_b64 s[4:5], s[40:41], s[4:5]
	buffer_store_dword v11, off, s[56:59], 0 offset:24 ; 4-byte Folded Spill
	s_mov_b64 exec, s[4:5]
	s_cbranch_execz .LBB258_138
; %bb.133:                              ;   in Loop: Header=BB258_13 Depth=1
	v_lshrrev_b32_e32 v1, 24, v9
	v_cmp_ne_u32_e64 s[4:5], s52, v1
	v_bfrev_b32_e32 v0, 1
	buffer_store_dword v0, off, s[56:59], 0 offset:4 ; 4-byte Folded Spill
	s_and_saveexec_b64 s[42:43], s[4:5]
	s_cbranch_execz .LBB258_137
; %bb.134:                              ;   in Loop: Header=BB258_13 Depth=1
	v_and_b32_e32 v0, 0x7f, v1
	v_cmp_ne_u32_e64 s[4:5], s53, v0
	v_mov_b32_e32 v3, 0x7c010000
	buffer_store_dword v3, off, s[56:59], 0 offset:4 ; 4-byte Folded Spill
	s_and_saveexec_b64 s[44:45], s[4:5]
	s_cbranch_execz .LBB258_136
; %bb.135:                              ;   in Loop: Header=BB258_13 Depth=1
	v_and_b32_e32 v9, 7, v1
	v_ffbh_u32_e32 v3, v9
	v_min_u32_e32 v11, 32, v3
	v_subrev_u32_e32 v3, 28, v11
	v_lshlrev_b64 v[3:4], v3, v[1:2]
	v_sub_u32_e32 v4, 29, v11
	buffer_load_dword v11, off, s[56:59], 0 offset:24 ; 4-byte Folded Reload
	v_lshrrev_b32_e32 v10, 3, v0
	v_cmp_gt_u32_e64 s[4:5], 8, v0
	v_cndmask_b32_e64 v0, v10, v4, s[4:5]
	v_mov_b32_e32 v4, 0x2000
	v_lshlrev_b32_e32 v1, 8, v1
	v_lshl_add_u32 v0, v0, 10, v4
	v_and_b32_e32 v3, 7, v3
	v_and_or_b32 v0, v1, s54, v0
	v_cndmask_b32_e64 v3, v9, v3, s[4:5]
	v_lshlrev_b32_e32 v0, 16, v0
	v_lshl_or_b32 v0, v3, 23, v0
	buffer_store_dword v0, off, s[56:59], 0 offset:4 ; 4-byte Folded Spill
.LBB258_136:                            ;   in Loop: Header=BB258_13 Depth=1
	s_or_b64 exec, exec, s[44:45]
.LBB258_137:                            ;   in Loop: Header=BB258_13 Depth=1
	s_or_b64 exec, exec, s[42:43]
.LBB258_138:                            ;   in Loop: Header=BB258_13 Depth=1
	s_or_b64 exec, exec, s[40:41]
	global_load_dword v9, v[7:8], off offset:1032
	v_mov_b32_e32 v46, 0
	v_mov_b32_e32 v30, 0
	s_waitcnt vmcnt(0)
	v_cmp_ne_u16_sdwa s[4:5], v9, v2 src0_sel:BYTE_0 src1_sel:DWORD
	s_and_saveexec_b64 s[40:41], s[4:5]
	s_cbranch_execz .LBB258_144
; %bb.139:                              ;   in Loop: Header=BB258_13 Depth=1
	v_cmp_ne_u16_sdwa s[4:5], v9, s52 src0_sel:BYTE_0 src1_sel:DWORD
	v_mov_b32_e32 v30, 0x8000
	s_and_saveexec_b64 s[42:43], s[4:5]
	s_cbranch_execz .LBB258_143
; %bb.140:                              ;   in Loop: Header=BB258_13 Depth=1
	v_and_b32_e32 v0, 0x7f, v9
	v_cmp_ne_u32_e64 s[4:5], s53, v0
	v_mov_b32_e32 v30, 0x7c01
	s_and_saveexec_b64 s[44:45], s[4:5]
	s_cbranch_execz .LBB258_142
; %bb.141:                              ;   in Loop: Header=BB258_13 Depth=1
	v_and_b32_e32 v1, 7, v9
	v_ffbh_u32_e32 v3, v1
	v_min_u32_e32 v11, 32, v3
	v_lshrrev_b32_e32 v10, 3, v0
	v_subrev_u32_e32 v3, 28, v11
	v_lshlrev_b64 v[3:4], v3, v[9:10]
	v_sub_u32_e32 v4, 29, v11
	buffer_load_dword v11, off, s[56:59], 0 offset:24 ; 4-byte Folded Reload
	v_cmp_gt_u32_e64 s[4:5], 8, v0
	v_cndmask_b32_e64 v0, v10, v4, s[4:5]
	v_mov_b32_e32 v10, 0x2000
	v_lshl_add_u32 v0, v0, 10, v10
	v_lshlrev_b32_e32 v4, 8, v9
	v_and_b32_e32 v3, 7, v3
	v_and_b32_e32 v0, 0xfc00, v0
	v_cndmask_b32_e64 v1, v1, v3, s[4:5]
	v_and_or_b32 v0, v4, s54, v0
	v_lshl_or_b32 v30, v1, 7, v0
.LBB258_142:                            ;   in Loop: Header=BB258_13 Depth=1
	s_or_b64 exec, exec, s[44:45]
.LBB258_143:                            ;   in Loop: Header=BB258_13 Depth=1
	s_or_b64 exec, exec, s[42:43]
.LBB258_144:                            ;   in Loop: Header=BB258_13 Depth=1
	s_or_b64 exec, exec, s[40:41]
	v_lshrrev_b16_e32 v1, 8, v9
	v_cmp_ne_u16_e64 s[4:5], 0, v1
	s_and_saveexec_b64 s[40:41], s[4:5]
	s_cbranch_execz .LBB258_150
; %bb.145:                              ;   in Loop: Header=BB258_13 Depth=1
	v_cmp_ne_u16_e64 s[4:5], s52, v1
	v_bfrev_b32_e32 v46, 1
	s_and_saveexec_b64 s[42:43], s[4:5]
	s_cbranch_execz .LBB258_149
; %bb.146:                              ;   in Loop: Header=BB258_13 Depth=1
	v_and_b32_e32 v0, 0x7f, v1
	v_cmp_ne_u32_e64 s[4:5], s53, v0
	v_mov_b32_e32 v46, 0x7c010000
	s_and_saveexec_b64 s[44:45], s[4:5]
	s_cbranch_execz .LBB258_148
; %bb.147:                              ;   in Loop: Header=BB258_13 Depth=1
	v_and_b32_e32 v10, 7, v1
	v_ffbh_u32_e32 v3, v10
	v_min_u32_e32 v12, 32, v3
	v_subrev_u32_e32 v3, 28, v12
	v_lshlrev_b64 v[3:4], v3, v[1:2]
	s_waitcnt vmcnt(0)
	v_lshrrev_b32_e32 v11, 3, v0
	v_sub_u32_e32 v4, 29, v12
	v_cmp_gt_u32_e64 s[4:5], 8, v0
	v_cndmask_b32_e64 v0, v11, v4, s[4:5]
	buffer_load_dword v11, off, s[56:59], 0 offset:24 ; 4-byte Folded Reload
	v_mov_b32_e32 v4, 0x2000
	v_lshlrev_b32_e32 v1, 8, v1
	v_lshl_add_u32 v0, v0, 10, v4
	v_and_b32_e32 v3, 7, v3
	v_and_or_b32 v0, v1, s54, v0
	v_cndmask_b32_e64 v3, v10, v3, s[4:5]
	v_lshlrev_b32_e32 v0, 16, v0
	v_lshl_or_b32 v46, v3, 23, v0
.LBB258_148:                            ;   in Loop: Header=BB258_13 Depth=1
	s_or_b64 exec, exec, s[44:45]
.LBB258_149:                            ;   in Loop: Header=BB258_13 Depth=1
	s_or_b64 exec, exec, s[42:43]
.LBB258_150:                            ;   in Loop: Header=BB258_13 Depth=1
	s_or_b64 exec, exec, s[40:41]
	v_lshrrev_b32_e32 v1, 16, v9
	v_cmp_ne_u16_sdwa s[4:5], v1, v2 src0_sel:BYTE_0 src1_sel:DWORD
	v_mov_b32_e32 v48, 0
	v_mov_b32_e32 v0, 0
	buffer_store_dword v0, off, s[56:59], 0 offset:8 ; 4-byte Folded Spill
	s_and_saveexec_b64 s[40:41], s[4:5]
	s_cbranch_execz .LBB258_156
; %bb.151:                              ;   in Loop: Header=BB258_13 Depth=1
	v_cmp_ne_u16_sdwa s[4:5], v1, s52 src0_sel:BYTE_0 src1_sel:DWORD
	v_mov_b32_e32 v0, 0x8000
	buffer_store_dword v0, off, s[56:59], 0 offset:8 ; 4-byte Folded Spill
	s_and_saveexec_b64 s[42:43], s[4:5]
	s_cbranch_execz .LBB258_155
; %bb.152:                              ;   in Loop: Header=BB258_13 Depth=1
	v_bfe_u32 v0, v9, 16, 7
	v_cmp_ne_u32_e64 s[4:5], s53, v0
	v_mov_b32_e32 v3, 0x7c01
	buffer_store_dword v3, off, s[56:59], 0 offset:8 ; 4-byte Folded Spill
	s_and_saveexec_b64 s[44:45], s[4:5]
	s_cbranch_execz .LBB258_154
; %bb.153:                              ;   in Loop: Header=BB258_13 Depth=1
	v_and_b32_e32 v10, 7, v1
	v_ffbh_u32_e32 v3, v10
	v_min_u32_e32 v12, 32, v3
	v_subrev_u32_e32 v3, 28, v12
	v_lshlrev_b64 v[3:4], v3, v[1:2]
	s_waitcnt vmcnt(3)
	v_lshrrev_b32_e32 v11, 3, v0
	v_sub_u32_e32 v4, 29, v12
	v_cmp_gt_u32_e64 s[4:5], 8, v0
	v_cndmask_b32_e64 v0, v11, v4, s[4:5]
	buffer_load_dword v11, off, s[56:59], 0 offset:24 ; 4-byte Folded Reload
	v_mov_b32_e32 v4, 0x2000
	v_lshl_add_u32 v0, v0, 10, v4
	v_lshlrev_b32_e32 v1, 8, v1
	v_and_b32_e32 v3, 7, v3
	v_and_b32_e32 v0, 0xfc00, v0
	v_cndmask_b32_e64 v3, v10, v3, s[4:5]
	v_and_or_b32 v0, v1, s54, v0
	v_lshl_or_b32 v0, v3, 7, v0
	buffer_store_dword v0, off, s[56:59], 0 offset:8 ; 4-byte Folded Spill
.LBB258_154:                            ;   in Loop: Header=BB258_13 Depth=1
	s_or_b64 exec, exec, s[44:45]
.LBB258_155:                            ;   in Loop: Header=BB258_13 Depth=1
	s_or_b64 exec, exec, s[42:43]
.LBB258_156:                            ;   in Loop: Header=BB258_13 Depth=1
	s_or_b64 exec, exec, s[40:41]
	v_cmp_lt_u32_e64 s[4:5], s55, v9
	s_and_saveexec_b64 s[40:41], s[4:5]
	s_cbranch_execz .LBB258_162
; %bb.157:                              ;   in Loop: Header=BB258_13 Depth=1
	v_lshrrev_b32_e32 v1, 24, v9
	v_cmp_ne_u32_e64 s[4:5], s52, v1
	v_bfrev_b32_e32 v48, 1
	s_and_saveexec_b64 s[42:43], s[4:5]
	s_cbranch_execz .LBB258_161
; %bb.158:                              ;   in Loop: Header=BB258_13 Depth=1
	v_and_b32_e32 v0, 0x7f, v1
	v_cmp_ne_u32_e64 s[4:5], s53, v0
	v_mov_b32_e32 v48, 0x7c010000
	s_and_saveexec_b64 s[44:45], s[4:5]
	s_cbranch_execz .LBB258_160
; %bb.159:                              ;   in Loop: Header=BB258_13 Depth=1
	v_and_b32_e32 v9, 7, v1
	v_ffbh_u32_e32 v3, v9
	s_waitcnt vmcnt(1)
	v_min_u32_e32 v11, 32, v3
	v_subrev_u32_e32 v3, 28, v11
	v_lshlrev_b64 v[3:4], v3, v[1:2]
	v_sub_u32_e32 v4, 29, v11
	buffer_load_dword v11, off, s[56:59], 0 offset:24 ; 4-byte Folded Reload
	v_lshrrev_b32_e32 v10, 3, v0
	v_cmp_gt_u32_e64 s[4:5], 8, v0
	v_cndmask_b32_e64 v0, v10, v4, s[4:5]
	v_mov_b32_e32 v4, 0x2000
	v_lshlrev_b32_e32 v1, 8, v1
	v_lshl_add_u32 v0, v0, 10, v4
	v_and_b32_e32 v3, 7, v3
	v_and_or_b32 v0, v1, s54, v0
	v_cndmask_b32_e64 v3, v9, v3, s[4:5]
	v_lshlrev_b32_e32 v0, 16, v0
	v_lshl_or_b32 v48, v3, 23, v0
.LBB258_160:                            ;   in Loop: Header=BB258_13 Depth=1
	s_or_b64 exec, exec, s[44:45]
.LBB258_161:                            ;   in Loop: Header=BB258_13 Depth=1
	s_or_b64 exec, exec, s[42:43]
.LBB258_162:                            ;   in Loop: Header=BB258_13 Depth=1
	s_or_b64 exec, exec, s[40:41]
	global_load_dword v9, v[7:8], off offset:1536
	v_mov_b32_e32 v50, 0
	v_mov_b32_e32 v0, 0
	buffer_store_dword v0, off, s[56:59], 0 offset:12 ; 4-byte Folded Spill
	s_waitcnt vmcnt(1)
	v_cmp_ne_u16_sdwa s[4:5], v9, v2 src0_sel:BYTE_0 src1_sel:DWORD
	s_and_saveexec_b64 s[40:41], s[4:5]
	s_cbranch_execz .LBB258_168
; %bb.163:                              ;   in Loop: Header=BB258_13 Depth=1
	v_cmp_ne_u16_sdwa s[4:5], v9, s52 src0_sel:BYTE_0 src1_sel:DWORD
	v_mov_b32_e32 v0, 0x8000
	buffer_store_dword v0, off, s[56:59], 0 offset:12 ; 4-byte Folded Spill
	s_and_saveexec_b64 s[42:43], s[4:5]
	s_cbranch_execz .LBB258_167
; %bb.164:                              ;   in Loop: Header=BB258_13 Depth=1
	v_and_b32_e32 v0, 0x7f, v9
	v_cmp_ne_u32_e64 s[4:5], s53, v0
	v_mov_b32_e32 v1, 0x7c01
	buffer_store_dword v1, off, s[56:59], 0 offset:12 ; 4-byte Folded Spill
	s_and_saveexec_b64 s[44:45], s[4:5]
	s_cbranch_execz .LBB258_166
; %bb.165:                              ;   in Loop: Header=BB258_13 Depth=1
	v_and_b32_e32 v1, 7, v9
	v_ffbh_u32_e32 v3, v1
	v_min_u32_e32 v11, 32, v3
	v_lshrrev_b32_e32 v10, 3, v0
	v_subrev_u32_e32 v3, 28, v11
	v_lshlrev_b64 v[3:4], v3, v[9:10]
	v_sub_u32_e32 v4, 29, v11
	buffer_load_dword v11, off, s[56:59], 0 offset:24 ; 4-byte Folded Reload
	v_cmp_gt_u32_e64 s[4:5], 8, v0
	v_cndmask_b32_e64 v0, v10, v4, s[4:5]
	v_mov_b32_e32 v10, 0x2000
	v_lshl_add_u32 v0, v0, 10, v10
	v_lshlrev_b32_e32 v4, 8, v9
	v_and_b32_e32 v3, 7, v3
	v_and_b32_e32 v0, 0xfc00, v0
	v_cndmask_b32_e64 v1, v1, v3, s[4:5]
	v_and_or_b32 v0, v4, s54, v0
	v_lshl_or_b32 v0, v1, 7, v0
	buffer_store_dword v0, off, s[56:59], 0 offset:12 ; 4-byte Folded Spill
.LBB258_166:                            ;   in Loop: Header=BB258_13 Depth=1
	s_or_b64 exec, exec, s[44:45]
.LBB258_167:                            ;   in Loop: Header=BB258_13 Depth=1
	s_or_b64 exec, exec, s[42:43]
.LBB258_168:                            ;   in Loop: Header=BB258_13 Depth=1
	s_or_b64 exec, exec, s[40:41]
	v_lshrrev_b16_e32 v1, 8, v9
	v_cmp_ne_u16_e64 s[4:5], 0, v1
	s_and_saveexec_b64 s[40:41], s[4:5]
	s_cbranch_execz .LBB258_174
; %bb.169:                              ;   in Loop: Header=BB258_13 Depth=1
	v_cmp_ne_u16_e64 s[4:5], s52, v1
	v_bfrev_b32_e32 v50, 1
	s_and_saveexec_b64 s[42:43], s[4:5]
	s_cbranch_execz .LBB258_173
; %bb.170:                              ;   in Loop: Header=BB258_13 Depth=1
	v_and_b32_e32 v0, 0x7f, v1
	v_cmp_ne_u32_e64 s[4:5], s53, v0
	v_mov_b32_e32 v50, 0x7c010000
	s_and_saveexec_b64 s[44:45], s[4:5]
	s_cbranch_execz .LBB258_172
; %bb.171:                              ;   in Loop: Header=BB258_13 Depth=1
	v_and_b32_e32 v10, 7, v1
	v_ffbh_u32_e32 v3, v10
	v_min_u32_e32 v12, 32, v3
	v_subrev_u32_e32 v3, 28, v12
	v_lshlrev_b64 v[3:4], v3, v[1:2]
	s_waitcnt vmcnt(1)
	v_lshrrev_b32_e32 v11, 3, v0
	v_sub_u32_e32 v4, 29, v12
	v_cmp_gt_u32_e64 s[4:5], 8, v0
	v_cndmask_b32_e64 v0, v11, v4, s[4:5]
	buffer_load_dword v11, off, s[56:59], 0 offset:24 ; 4-byte Folded Reload
	v_mov_b32_e32 v4, 0x2000
	v_lshlrev_b32_e32 v1, 8, v1
	v_lshl_add_u32 v0, v0, 10, v4
	v_and_b32_e32 v3, 7, v3
	v_and_or_b32 v0, v1, s54, v0
	v_cndmask_b32_e64 v3, v10, v3, s[4:5]
	v_lshlrev_b32_e32 v0, 16, v0
	v_lshl_or_b32 v50, v3, 23, v0
.LBB258_172:                            ;   in Loop: Header=BB258_13 Depth=1
	s_or_b64 exec, exec, s[44:45]
.LBB258_173:                            ;   in Loop: Header=BB258_13 Depth=1
	s_or_b64 exec, exec, s[42:43]
.LBB258_174:                            ;   in Loop: Header=BB258_13 Depth=1
	s_or_b64 exec, exec, s[40:41]
	v_lshrrev_b32_e32 v1, 16, v9
	v_cmp_ne_u16_sdwa s[4:5], v1, v2 src0_sel:BYTE_0 src1_sel:DWORD
	v_mov_b32_e32 v52, 0
	v_mov_b32_e32 v0, 0
	buffer_store_dword v0, off, s[56:59], 0 offset:16 ; 4-byte Folded Spill
	s_and_saveexec_b64 s[40:41], s[4:5]
	s_cbranch_execz .LBB258_180
; %bb.175:                              ;   in Loop: Header=BB258_13 Depth=1
	v_cmp_ne_u16_sdwa s[4:5], v1, s52 src0_sel:BYTE_0 src1_sel:DWORD
	v_mov_b32_e32 v0, 0x8000
	buffer_store_dword v0, off, s[56:59], 0 offset:16 ; 4-byte Folded Spill
	s_and_saveexec_b64 s[42:43], s[4:5]
	s_cbranch_execz .LBB258_179
; %bb.176:                              ;   in Loop: Header=BB258_13 Depth=1
	v_bfe_u32 v0, v9, 16, 7
	v_cmp_ne_u32_e64 s[4:5], s53, v0
	v_mov_b32_e32 v3, 0x7c01
	buffer_store_dword v3, off, s[56:59], 0 offset:16 ; 4-byte Folded Spill
	s_and_saveexec_b64 s[44:45], s[4:5]
	s_cbranch_execz .LBB258_178
; %bb.177:                              ;   in Loop: Header=BB258_13 Depth=1
	v_and_b32_e32 v10, 7, v1
	v_ffbh_u32_e32 v3, v10
	v_min_u32_e32 v12, 32, v3
	v_subrev_u32_e32 v3, 28, v12
	v_lshlrev_b64 v[3:4], v3, v[1:2]
	s_waitcnt vmcnt(3)
	v_lshrrev_b32_e32 v11, 3, v0
	v_sub_u32_e32 v4, 29, v12
	v_cmp_gt_u32_e64 s[4:5], 8, v0
	v_cndmask_b32_e64 v0, v11, v4, s[4:5]
	buffer_load_dword v11, off, s[56:59], 0 offset:24 ; 4-byte Folded Reload
	v_mov_b32_e32 v4, 0x2000
	v_lshl_add_u32 v0, v0, 10, v4
	v_lshlrev_b32_e32 v1, 8, v1
	v_and_b32_e32 v3, 7, v3
	v_and_b32_e32 v0, 0xfc00, v0
	v_cndmask_b32_e64 v3, v10, v3, s[4:5]
	v_and_or_b32 v0, v1, s54, v0
	v_lshl_or_b32 v0, v3, 7, v0
	buffer_store_dword v0, off, s[56:59], 0 offset:16 ; 4-byte Folded Spill
.LBB258_178:                            ;   in Loop: Header=BB258_13 Depth=1
	s_or_b64 exec, exec, s[44:45]
.LBB258_179:                            ;   in Loop: Header=BB258_13 Depth=1
	s_or_b64 exec, exec, s[42:43]
.LBB258_180:                            ;   in Loop: Header=BB258_13 Depth=1
	s_or_b64 exec, exec, s[40:41]
	v_cmp_lt_u32_e64 s[4:5], s55, v9
	s_and_saveexec_b64 s[40:41], s[4:5]
	s_cbranch_execz .LBB258_186
; %bb.181:                              ;   in Loop: Header=BB258_13 Depth=1
	v_lshrrev_b32_e32 v1, 24, v9
	v_cmp_ne_u32_e64 s[4:5], s52, v1
	v_bfrev_b32_e32 v52, 1
	s_and_saveexec_b64 s[42:43], s[4:5]
	s_cbranch_execz .LBB258_185
; %bb.182:                              ;   in Loop: Header=BB258_13 Depth=1
	v_and_b32_e32 v0, 0x7f, v1
	v_cmp_ne_u32_e64 s[4:5], s53, v0
	v_mov_b32_e32 v52, 0x7c010000
	s_and_saveexec_b64 s[44:45], s[4:5]
	s_cbranch_execz .LBB258_184
; %bb.183:                              ;   in Loop: Header=BB258_13 Depth=1
	v_and_b32_e32 v9, 7, v1
	v_ffbh_u32_e32 v3, v9
	s_waitcnt vmcnt(1)
	v_min_u32_e32 v11, 32, v3
	v_subrev_u32_e32 v3, 28, v11
	v_lshlrev_b64 v[3:4], v3, v[1:2]
	v_sub_u32_e32 v4, 29, v11
	buffer_load_dword v11, off, s[56:59], 0 offset:24 ; 4-byte Folded Reload
	v_lshrrev_b32_e32 v10, 3, v0
	v_cmp_gt_u32_e64 s[4:5], 8, v0
	v_cndmask_b32_e64 v0, v10, v4, s[4:5]
	v_mov_b32_e32 v4, 0x2000
	v_lshlrev_b32_e32 v1, 8, v1
	v_lshl_add_u32 v0, v0, 10, v4
	v_and_b32_e32 v3, 7, v3
	v_and_or_b32 v0, v1, s54, v0
	v_cndmask_b32_e64 v3, v9, v3, s[4:5]
	v_lshlrev_b32_e32 v0, 16, v0
	v_lshl_or_b32 v52, v3, 23, v0
.LBB258_184:                            ;   in Loop: Header=BB258_13 Depth=1
	s_or_b64 exec, exec, s[44:45]
.LBB258_185:                            ;   in Loop: Header=BB258_13 Depth=1
	s_or_b64 exec, exec, s[42:43]
.LBB258_186:                            ;   in Loop: Header=BB258_13 Depth=1
	s_or_b64 exec, exec, s[40:41]
	global_load_dword v9, v[7:8], off offset:1544
	v_mov_b32_e32 v54, 0
	v_mov_b32_e32 v0, 0
	buffer_store_dword v0, off, s[56:59], 0 offset:20 ; 4-byte Folded Spill
	s_waitcnt vmcnt(1)
	v_cmp_ne_u16_sdwa s[4:5], v9, v2 src0_sel:BYTE_0 src1_sel:DWORD
	s_and_saveexec_b64 s[40:41], s[4:5]
	s_cbranch_execz .LBB258_192
; %bb.187:                              ;   in Loop: Header=BB258_13 Depth=1
	v_cmp_ne_u16_sdwa s[4:5], v9, s52 src0_sel:BYTE_0 src1_sel:DWORD
	v_mov_b32_e32 v0, 0x8000
	buffer_store_dword v0, off, s[56:59], 0 offset:20 ; 4-byte Folded Spill
	s_and_saveexec_b64 s[42:43], s[4:5]
	s_cbranch_execz .LBB258_191
; %bb.188:                              ;   in Loop: Header=BB258_13 Depth=1
	v_and_b32_e32 v0, 0x7f, v9
	v_cmp_ne_u32_e64 s[4:5], s53, v0
	v_mov_b32_e32 v1, 0x7c01
	buffer_store_dword v1, off, s[56:59], 0 offset:20 ; 4-byte Folded Spill
	s_and_saveexec_b64 s[44:45], s[4:5]
	s_cbranch_execz .LBB258_190
; %bb.189:                              ;   in Loop: Header=BB258_13 Depth=1
	v_and_b32_e32 v1, 7, v9
	v_ffbh_u32_e32 v3, v1
	v_min_u32_e32 v11, 32, v3
	v_lshrrev_b32_e32 v10, 3, v0
	v_subrev_u32_e32 v3, 28, v11
	v_lshlrev_b64 v[3:4], v3, v[9:10]
	v_sub_u32_e32 v4, 29, v11
	buffer_load_dword v11, off, s[56:59], 0 offset:24 ; 4-byte Folded Reload
	v_cmp_gt_u32_e64 s[4:5], 8, v0
	v_cndmask_b32_e64 v0, v10, v4, s[4:5]
	v_mov_b32_e32 v10, 0x2000
	v_lshl_add_u32 v0, v0, 10, v10
	v_lshlrev_b32_e32 v4, 8, v9
	v_and_b32_e32 v3, 7, v3
	v_and_b32_e32 v0, 0xfc00, v0
	v_cndmask_b32_e64 v1, v1, v3, s[4:5]
	v_and_or_b32 v0, v4, s54, v0
	v_lshl_or_b32 v0, v1, 7, v0
	buffer_store_dword v0, off, s[56:59], 0 offset:20 ; 4-byte Folded Spill
.LBB258_190:                            ;   in Loop: Header=BB258_13 Depth=1
	s_or_b64 exec, exec, s[44:45]
.LBB258_191:                            ;   in Loop: Header=BB258_13 Depth=1
	s_or_b64 exec, exec, s[42:43]
.LBB258_192:                            ;   in Loop: Header=BB258_13 Depth=1
	s_or_b64 exec, exec, s[40:41]
	v_lshrrev_b16_e32 v1, 8, v9
	v_cmp_ne_u16_e64 s[4:5], 0, v1
	s_and_saveexec_b64 s[40:41], s[4:5]
	s_cbranch_execz .LBB258_198
; %bb.193:                              ;   in Loop: Header=BB258_13 Depth=1
	v_cmp_ne_u16_e64 s[4:5], s52, v1
	v_bfrev_b32_e32 v54, 1
	s_and_saveexec_b64 s[42:43], s[4:5]
	s_cbranch_execz .LBB258_197
; %bb.194:                              ;   in Loop: Header=BB258_13 Depth=1
	v_and_b32_e32 v0, 0x7f, v1
	v_cmp_ne_u32_e64 s[4:5], s53, v0
	v_mov_b32_e32 v54, 0x7c010000
	s_and_saveexec_b64 s[44:45], s[4:5]
	s_cbranch_execz .LBB258_196
; %bb.195:                              ;   in Loop: Header=BB258_13 Depth=1
	v_and_b32_e32 v10, 7, v1
	v_ffbh_u32_e32 v3, v10
	v_min_u32_e32 v13, 32, v3
	v_subrev_u32_e32 v3, 28, v13
	v_lshlrev_b64 v[3:4], v3, v[1:2]
	v_lshrrev_b32_e32 v12, 3, v0
	v_sub_u32_e32 v4, 29, v13
	v_cmp_gt_u32_e64 s[4:5], 8, v0
	v_cndmask_b32_e64 v0, v12, v4, s[4:5]
	v_mov_b32_e32 v4, 0x2000
	v_lshlrev_b32_e32 v1, 8, v1
	v_lshl_add_u32 v0, v0, 10, v4
	v_and_b32_e32 v3, 7, v3
	v_and_or_b32 v0, v1, s54, v0
	v_cndmask_b32_e64 v3, v10, v3, s[4:5]
	v_lshlrev_b32_e32 v0, 16, v0
	v_lshl_or_b32 v54, v3, 23, v0
.LBB258_196:                            ;   in Loop: Header=BB258_13 Depth=1
	s_or_b64 exec, exec, s[44:45]
.LBB258_197:                            ;   in Loop: Header=BB258_13 Depth=1
	s_or_b64 exec, exec, s[42:43]
.LBB258_198:                            ;   in Loop: Header=BB258_13 Depth=1
	s_or_b64 exec, exec, s[40:41]
	v_lshrrev_b32_e32 v1, 16, v9
	v_cmp_ne_u16_sdwa s[4:5], v1, v2 src0_sel:BYTE_0 src1_sel:DWORD
	v_mov_b32_e32 v56, 0
	v_mov_b32_e32 v12, 0
	s_and_saveexec_b64 s[40:41], s[4:5]
	s_cbranch_execz .LBB258_204
; %bb.199:                              ;   in Loop: Header=BB258_13 Depth=1
	v_cmp_ne_u16_sdwa s[4:5], v1, s52 src0_sel:BYTE_0 src1_sel:DWORD
	v_mov_b32_e32 v12, 0x8000
	s_and_saveexec_b64 s[42:43], s[4:5]
	s_cbranch_execz .LBB258_203
; %bb.200:                              ;   in Loop: Header=BB258_13 Depth=1
	v_bfe_u32 v0, v9, 16, 7
	v_cmp_ne_u32_e64 s[4:5], s53, v0
	v_mov_b32_e32 v12, 0x7c01
	s_and_saveexec_b64 s[44:45], s[4:5]
	s_cbranch_execz .LBB258_202
; %bb.201:                              ;   in Loop: Header=BB258_13 Depth=1
	v_and_b32_e32 v10, 7, v1
	v_lshrrev_b32_e32 v12, 3, v0
	v_cmp_gt_u32_e64 s[4:5], 8, v0
	v_ffbh_u32_e32 v0, v10
	v_min_u32_e32 v0, 32, v0
	v_subrev_u32_e32 v3, 28, v0
	v_lshlrev_b64 v[3:4], v3, v[1:2]
	v_sub_u32_e32 v0, 29, v0
	v_cndmask_b32_e64 v0, v12, v0, s[4:5]
	v_mov_b32_e32 v4, 0x2000
	v_lshl_add_u32 v0, v0, 10, v4
	v_lshlrev_b32_e32 v1, 8, v1
	v_and_b32_e32 v3, 7, v3
	v_and_b32_e32 v0, 0xfc00, v0
	v_cndmask_b32_e64 v3, v10, v3, s[4:5]
	v_and_or_b32 v0, v1, s54, v0
	v_lshl_or_b32 v12, v3, 7, v0
.LBB258_202:                            ;   in Loop: Header=BB258_13 Depth=1
	s_or_b64 exec, exec, s[44:45]
.LBB258_203:                            ;   in Loop: Header=BB258_13 Depth=1
	s_or_b64 exec, exec, s[42:43]
.LBB258_204:                            ;   in Loop: Header=BB258_13 Depth=1
	s_or_b64 exec, exec, s[40:41]
	v_cmp_lt_u32_e64 s[4:5], s55, v9
	s_and_saveexec_b64 s[40:41], s[4:5]
	s_cbranch_execz .LBB258_210
; %bb.205:                              ;   in Loop: Header=BB258_13 Depth=1
	v_lshrrev_b32_e32 v1, 24, v9
	v_cmp_ne_u32_e64 s[4:5], s52, v1
	v_bfrev_b32_e32 v56, 1
	s_and_saveexec_b64 s[42:43], s[4:5]
	s_cbranch_execz .LBB258_209
; %bb.206:                              ;   in Loop: Header=BB258_13 Depth=1
	v_and_b32_e32 v0, 0x7f, v1
	v_cmp_ne_u32_e64 s[4:5], s53, v0
	v_mov_b32_e32 v56, 0x7c010000
	s_and_saveexec_b64 s[44:45], s[4:5]
	s_cbranch_execz .LBB258_208
; %bb.207:                              ;   in Loop: Header=BB258_13 Depth=1
	v_and_b32_e32 v9, 7, v1
	v_ffbh_u32_e32 v3, v9
	v_min_u32_e32 v13, 32, v3
	v_subrev_u32_e32 v3, 28, v13
	v_lshlrev_b64 v[3:4], v3, v[1:2]
	v_lshrrev_b32_e32 v10, 3, v0
	v_sub_u32_e32 v4, 29, v13
	v_cmp_gt_u32_e64 s[4:5], 8, v0
	v_cndmask_b32_e64 v0, v10, v4, s[4:5]
	v_mov_b32_e32 v4, 0x2000
	v_lshlrev_b32_e32 v1, 8, v1
	v_lshl_add_u32 v0, v0, 10, v4
	v_and_b32_e32 v3, 7, v3
	v_and_or_b32 v0, v1, s54, v0
	v_cndmask_b32_e64 v3, v9, v3, s[4:5]
	v_lshlrev_b32_e32 v0, 16, v0
	v_lshl_or_b32 v56, v3, 23, v0
.LBB258_208:                            ;   in Loop: Header=BB258_13 Depth=1
	s_or_b64 exec, exec, s[44:45]
.LBB258_209:                            ;   in Loop: Header=BB258_13 Depth=1
	s_or_b64 exec, exec, s[42:43]
.LBB258_210:                            ;   in Loop: Header=BB258_13 Depth=1
	s_or_b64 exec, exec, s[40:41]
	global_load_dword v9, v[7:8], off offset:2048
	v_mov_b32_e32 v61, 0
	v_mov_b32_e32 v62, 0
	s_waitcnt vmcnt(0)
	v_cmp_ne_u16_sdwa s[4:5], v9, v2 src0_sel:BYTE_0 src1_sel:DWORD
	s_and_saveexec_b64 s[40:41], s[4:5]
	s_cbranch_execz .LBB258_216
; %bb.211:                              ;   in Loop: Header=BB258_13 Depth=1
	v_cmp_ne_u16_sdwa s[4:5], v9, s52 src0_sel:BYTE_0 src1_sel:DWORD
	v_mov_b32_e32 v62, 0x8000
	s_and_saveexec_b64 s[42:43], s[4:5]
	s_cbranch_execz .LBB258_215
; %bb.212:                              ;   in Loop: Header=BB258_13 Depth=1
	v_and_b32_e32 v0, 0x7f, v9
	v_cmp_ne_u32_e64 s[4:5], s53, v0
	v_mov_b32_e32 v62, 0x7c01
	s_and_saveexec_b64 s[44:45], s[4:5]
	s_cbranch_execz .LBB258_214
; %bb.213:                              ;   in Loop: Header=BB258_13 Depth=1
	v_and_b32_e32 v3, 7, v9
	v_lshrrev_b32_e32 v4, 3, v0
	v_cmp_gt_u32_e64 s[4:5], 8, v0
	v_ffbh_u32_e32 v0, v3
	v_min_u32_e32 v10, 32, v0
	v_subrev_u32_e32 v0, 28, v10
	v_lshlrev_b64 v[0:1], v0, v[9:10]
	v_sub_u32_e32 v1, 29, v10
	v_cndmask_b32_e64 v1, v4, v1, s[4:5]
	v_mov_b32_e32 v10, 0x2000
	v_lshl_add_u32 v1, v1, 10, v10
	v_lshlrev_b32_e32 v4, 8, v9
	v_and_b32_e32 v0, 7, v0
	v_and_b32_e32 v1, 0xfc00, v1
	v_cndmask_b32_e64 v0, v3, v0, s[4:5]
	v_and_or_b32 v1, v4, s54, v1
	v_lshl_or_b32 v62, v0, 7, v1
.LBB258_214:                            ;   in Loop: Header=BB258_13 Depth=1
	s_or_b64 exec, exec, s[44:45]
.LBB258_215:                            ;   in Loop: Header=BB258_13 Depth=1
	s_or_b64 exec, exec, s[42:43]
.LBB258_216:                            ;   in Loop: Header=BB258_13 Depth=1
	s_or_b64 exec, exec, s[40:41]
	v_lshrrev_b16_e32 v1, 8, v9
	v_cmp_ne_u16_e64 s[4:5], 0, v1
	s_and_saveexec_b64 s[40:41], s[4:5]
	s_cbranch_execz .LBB258_222
; %bb.217:                              ;   in Loop: Header=BB258_13 Depth=1
	v_cmp_ne_u16_e64 s[4:5], s52, v1
	v_bfrev_b32_e32 v61, 1
	s_and_saveexec_b64 s[42:43], s[4:5]
	s_cbranch_execz .LBB258_221
; %bb.218:                              ;   in Loop: Header=BB258_13 Depth=1
	v_and_b32_e32 v0, 0x7f, v1
	v_cmp_ne_u32_e64 s[4:5], s53, v0
	v_mov_b32_e32 v61, 0x7c010000
	s_and_saveexec_b64 s[44:45], s[4:5]
	s_cbranch_execz .LBB258_220
; %bb.219:                              ;   in Loop: Header=BB258_13 Depth=1
	v_and_b32_e32 v10, 7, v1
	v_lshrrev_b32_e32 v13, 3, v0
	v_cmp_gt_u32_e64 s[4:5], 8, v0
	v_ffbh_u32_e32 v0, v10
	v_min_u32_e32 v0, 32, v0
	v_subrev_u32_e32 v3, 28, v0
	v_lshlrev_b64 v[3:4], v3, v[1:2]
	v_sub_u32_e32 v0, 29, v0
	v_cndmask_b32_e64 v0, v13, v0, s[4:5]
	v_mov_b32_e32 v4, 0x2000
	v_lshlrev_b32_e32 v1, 8, v1
	v_lshl_add_u32 v0, v0, 10, v4
	v_and_b32_e32 v3, 7, v3
	v_and_or_b32 v0, v1, s54, v0
	v_cndmask_b32_e64 v3, v10, v3, s[4:5]
	v_lshlrev_b32_e32 v0, 16, v0
	v_lshl_or_b32 v61, v3, 23, v0
.LBB258_220:                            ;   in Loop: Header=BB258_13 Depth=1
	s_or_b64 exec, exec, s[44:45]
.LBB258_221:                            ;   in Loop: Header=BB258_13 Depth=1
	s_or_b64 exec, exec, s[42:43]
.LBB258_222:                            ;   in Loop: Header=BB258_13 Depth=1
	s_or_b64 exec, exec, s[40:41]
	v_lshrrev_b32_e32 v1, 16, v9
	v_cmp_ne_u16_sdwa s[4:5], v1, v2 src0_sel:BYTE_0 src1_sel:DWORD
	v_mov_b32_e32 v3, 0
	v_mov_b32_e32 v4, 0
	s_and_saveexec_b64 s[40:41], s[4:5]
	s_cbranch_execz .LBB258_228
; %bb.223:                              ;   in Loop: Header=BB258_13 Depth=1
	v_cmp_ne_u16_sdwa s[4:5], v1, s52 src0_sel:BYTE_0 src1_sel:DWORD
	v_mov_b32_e32 v4, 0x8000
	s_and_saveexec_b64 s[42:43], s[4:5]
	s_cbranch_execz .LBB258_227
; %bb.224:                              ;   in Loop: Header=BB258_13 Depth=1
	v_bfe_u32 v0, v9, 16, 7
	v_cmp_ne_u32_e64 s[4:5], s53, v0
	v_mov_b32_e32 v4, 0x7c01
	s_and_saveexec_b64 s[44:45], s[4:5]
	s_cbranch_execz .LBB258_226
; %bb.225:                              ;   in Loop: Header=BB258_13 Depth=1
	v_and_b32_e32 v4, 7, v1
	v_lshrrev_b32_e32 v10, 3, v0
	v_cmp_gt_u32_e64 s[4:5], 8, v0
	v_ffbh_u32_e32 v0, v4
	v_min_u32_e32 v0, 32, v0
	v_subrev_u32_e32 v13, 28, v0
	v_sub_u32_e32 v0, 29, v0
	v_lshlrev_b64 v[13:14], v13, v[1:2]
	v_cndmask_b32_e64 v0, v10, v0, s[4:5]
	v_mov_b32_e32 v10, 0x2000
	v_lshl_add_u32 v0, v0, 10, v10
	v_lshlrev_b32_e32 v1, 8, v1
	v_and_b32_e32 v10, 7, v13
	v_and_b32_e32 v0, 0xfc00, v0
	v_cndmask_b32_e64 v4, v4, v10, s[4:5]
	v_and_or_b32 v0, v1, s54, v0
	v_lshl_or_b32 v4, v4, 7, v0
.LBB258_226:                            ;   in Loop: Header=BB258_13 Depth=1
	s_or_b64 exec, exec, s[44:45]
.LBB258_227:                            ;   in Loop: Header=BB258_13 Depth=1
	s_or_b64 exec, exec, s[42:43]
.LBB258_228:                            ;   in Loop: Header=BB258_13 Depth=1
	s_or_b64 exec, exec, s[40:41]
	v_cmp_lt_u32_e64 s[4:5], s55, v9
	s_and_saveexec_b64 s[40:41], s[4:5]
	s_cbranch_execz .LBB258_234
; %bb.229:                              ;   in Loop: Header=BB258_13 Depth=1
	v_lshrrev_b32_e32 v1, 24, v9
	v_cmp_ne_u32_e64 s[4:5], s52, v1
	v_bfrev_b32_e32 v3, 1
	s_and_saveexec_b64 s[42:43], s[4:5]
	s_cbranch_execz .LBB258_233
; %bb.230:                              ;   in Loop: Header=BB258_13 Depth=1
	v_and_b32_e32 v0, 0x7f, v1
	v_cmp_ne_u32_e64 s[4:5], s53, v0
	v_mov_b32_e32 v3, 0x7c010000
	s_and_saveexec_b64 s[44:45], s[4:5]
	s_cbranch_execz .LBB258_232
; %bb.231:                              ;   in Loop: Header=BB258_13 Depth=1
	v_and_b32_e32 v3, 7, v1
	v_lshrrev_b32_e32 v13, 3, v0
	v_cmp_gt_u32_e64 s[4:5], 8, v0
	v_ffbh_u32_e32 v0, v3
	v_min_u32_e32 v0, 32, v0
	v_subrev_u32_e32 v9, 28, v0
	v_lshlrev_b64 v[9:10], v9, v[1:2]
	v_sub_u32_e32 v0, 29, v0
	v_cndmask_b32_e64 v0, v13, v0, s[4:5]
	v_mov_b32_e32 v10, 0x2000
	v_lshlrev_b32_e32 v1, 8, v1
	v_lshl_add_u32 v0, v0, 10, v10
	v_and_b32_e32 v9, 7, v9
	v_and_or_b32 v0, v1, s54, v0
	v_cndmask_b32_e64 v3, v3, v9, s[4:5]
	v_lshlrev_b32_e32 v0, 16, v0
	v_lshl_or_b32 v3, v3, 23, v0
.LBB258_232:                            ;   in Loop: Header=BB258_13 Depth=1
	s_or_b64 exec, exec, s[44:45]
.LBB258_233:                            ;   in Loop: Header=BB258_13 Depth=1
	s_or_b64 exec, exec, s[42:43]
.LBB258_234:                            ;   in Loop: Header=BB258_13 Depth=1
	s_or_b64 exec, exec, s[40:41]
	global_load_dword v9, v[7:8], off offset:2056
	v_mov_b32_e32 v0, 0
	v_mov_b32_e32 v17, 0
	s_waitcnt vmcnt(0)
	v_cmp_ne_u16_sdwa s[4:5], v9, v2 src0_sel:BYTE_0 src1_sel:DWORD
	s_and_saveexec_b64 s[40:41], s[4:5]
	s_cbranch_execz .LBB258_240
; %bb.235:                              ;   in Loop: Header=BB258_13 Depth=1
	v_cmp_ne_u16_sdwa s[4:5], v9, s52 src0_sel:BYTE_0 src1_sel:DWORD
	v_mov_b32_e32 v17, 0x8000
	s_and_saveexec_b64 s[42:43], s[4:5]
	s_cbranch_execz .LBB258_239
; %bb.236:                              ;   in Loop: Header=BB258_13 Depth=1
	v_and_b32_e32 v1, 0x7f, v9
	v_cmp_ne_u32_e64 s[4:5], s53, v1
	v_mov_b32_e32 v17, 0x7c01
	s_and_saveexec_b64 s[44:45], s[4:5]
	s_cbranch_execz .LBB258_238
; %bb.237:                              ;   in Loop: Header=BB258_13 Depth=1
	v_and_b32_e32 v10, 7, v9
	v_lshrrev_b32_e32 v15, 3, v1
	v_cmp_gt_u32_e64 s[4:5], 8, v1
	v_ffbh_u32_e32 v1, v10
	v_min_u32_e32 v1, 32, v1
	v_subrev_u32_e32 v13, 28, v1
	v_sub_u32_e32 v1, 29, v1
	v_lshlrev_b64 v[13:14], v13, v[9:10]
	v_cndmask_b32_e64 v1, v15, v1, s[4:5]
	v_mov_b32_e32 v15, 0x2000
	v_lshl_add_u32 v1, v1, 10, v15
	v_lshlrev_b32_e32 v14, 8, v9
	v_and_b32_e32 v13, 7, v13
	v_and_b32_e32 v1, 0xfc00, v1
	v_cndmask_b32_e64 v10, v10, v13, s[4:5]
	v_and_or_b32 v1, v14, s54, v1
	v_lshl_or_b32 v17, v10, 7, v1
.LBB258_238:                            ;   in Loop: Header=BB258_13 Depth=1
	s_or_b64 exec, exec, s[44:45]
.LBB258_239:                            ;   in Loop: Header=BB258_13 Depth=1
	s_or_b64 exec, exec, s[42:43]
.LBB258_240:                            ;   in Loop: Header=BB258_13 Depth=1
	s_or_b64 exec, exec, s[40:41]
	v_lshrrev_b16_e32 v1, 8, v9
	v_cmp_ne_u16_e64 s[4:5], 0, v1
	s_and_saveexec_b64 s[40:41], s[4:5]
	s_cbranch_execz .LBB258_246
; %bb.241:                              ;   in Loop: Header=BB258_13 Depth=1
	v_cmp_ne_u16_e64 s[4:5], s52, v1
	v_bfrev_b32_e32 v0, 1
	s_and_saveexec_b64 s[42:43], s[4:5]
	s_cbranch_execz .LBB258_245
; %bb.242:                              ;   in Loop: Header=BB258_13 Depth=1
	v_and_b32_e32 v10, 0x7f, v1
	v_cmp_ne_u32_e64 s[4:5], s53, v10
	v_mov_b32_e32 v0, 0x7c010000
	s_and_saveexec_b64 s[44:45], s[4:5]
	s_cbranch_execz .LBB258_244
; %bb.243:                              ;   in Loop: Header=BB258_13 Depth=1
	v_and_b32_e32 v0, 7, v1
	v_lshrrev_b32_e32 v15, 3, v10
	v_cmp_gt_u32_e64 s[4:5], 8, v10
	v_ffbh_u32_e32 v10, v0
	v_min_u32_e32 v10, 32, v10
	v_subrev_u32_e32 v13, 28, v10
	v_lshlrev_b64 v[13:14], v13, v[1:2]
	v_sub_u32_e32 v10, 29, v10
	v_cndmask_b32_e64 v10, v15, v10, s[4:5]
	v_mov_b32_e32 v14, 0x2000
	v_lshlrev_b32_e32 v1, 8, v1
	v_lshl_add_u32 v10, v10, 10, v14
	v_and_b32_e32 v13, 7, v13
	v_and_or_b32 v1, v1, s54, v10
	v_cndmask_b32_e64 v0, v0, v13, s[4:5]
	v_lshlrev_b32_e32 v1, 16, v1
	v_lshl_or_b32 v0, v0, 23, v1
.LBB258_244:                            ;   in Loop: Header=BB258_13 Depth=1
	s_or_b64 exec, exec, s[44:45]
.LBB258_245:                            ;   in Loop: Header=BB258_13 Depth=1
	s_or_b64 exec, exec, s[42:43]
.LBB258_246:                            ;   in Loop: Header=BB258_13 Depth=1
	s_or_b64 exec, exec, s[40:41]
	v_lshrrev_b32_e32 v1, 16, v9
	v_cmp_ne_u16_sdwa s[4:5], v1, v2 src0_sel:BYTE_0 src1_sel:DWORD
	v_mov_b32_e32 v22, 0
	v_mov_b32_e32 v23, 0
	s_and_saveexec_b64 s[40:41], s[4:5]
	s_cbranch_execz .LBB258_252
; %bb.247:                              ;   in Loop: Header=BB258_13 Depth=1
	v_cmp_ne_u16_sdwa s[4:5], v1, s52 src0_sel:BYTE_0 src1_sel:DWORD
	v_mov_b32_e32 v23, 0x8000
	s_and_saveexec_b64 s[42:43], s[4:5]
	s_cbranch_execz .LBB258_251
; %bb.248:                              ;   in Loop: Header=BB258_13 Depth=1
	v_bfe_u32 v10, v9, 16, 7
	v_cmp_ne_u32_e64 s[4:5], s53, v10
	v_mov_b32_e32 v23, 0x7c01
	s_and_saveexec_b64 s[44:45], s[4:5]
	s_cbranch_execz .LBB258_250
; %bb.249:                              ;   in Loop: Header=BB258_13 Depth=1
	v_and_b32_e32 v15, 7, v1
	v_lshrrev_b32_e32 v18, 3, v10
	v_cmp_gt_u32_e64 s[4:5], 8, v10
	v_ffbh_u32_e32 v10, v15
	v_min_u32_e32 v10, 32, v10
	v_subrev_u32_e32 v13, 28, v10
	v_lshlrev_b64 v[13:14], v13, v[1:2]
	v_sub_u32_e32 v10, 29, v10
	v_cndmask_b32_e64 v10, v18, v10, s[4:5]
	v_mov_b32_e32 v14, 0x2000
	v_lshl_add_u32 v10, v10, 10, v14
	v_lshlrev_b32_e32 v1, 8, v1
	v_and_b32_e32 v13, 7, v13
	v_and_b32_e32 v10, 0xfc00, v10
	v_cndmask_b32_e64 v13, v15, v13, s[4:5]
	v_and_or_b32 v1, v1, s54, v10
	v_lshl_or_b32 v23, v13, 7, v1
.LBB258_250:                            ;   in Loop: Header=BB258_13 Depth=1
	s_or_b64 exec, exec, s[44:45]
.LBB258_251:                            ;   in Loop: Header=BB258_13 Depth=1
	s_or_b64 exec, exec, s[42:43]
.LBB258_252:                            ;   in Loop: Header=BB258_13 Depth=1
	s_or_b64 exec, exec, s[40:41]
	v_cmp_lt_u32_e64 s[4:5], s55, v9
	s_and_saveexec_b64 s[40:41], s[4:5]
	s_cbranch_execz .LBB258_258
; %bb.253:                              ;   in Loop: Header=BB258_13 Depth=1
	v_lshrrev_b32_e32 v1, 24, v9
	v_cmp_ne_u32_e64 s[4:5], s52, v1
	v_bfrev_b32_e32 v22, 1
	s_and_saveexec_b64 s[42:43], s[4:5]
	s_cbranch_execz .LBB258_257
; %bb.254:                              ;   in Loop: Header=BB258_13 Depth=1
	v_and_b32_e32 v9, 0x7f, v1
	v_cmp_ne_u32_e64 s[4:5], s53, v9
	v_mov_b32_e32 v22, 0x7c010000
	s_and_saveexec_b64 s[44:45], s[4:5]
	s_cbranch_execz .LBB258_256
; %bb.255:                              ;   in Loop: Header=BB258_13 Depth=1
	v_and_b32_e32 v13, 7, v1
	v_lshrrev_b32_e32 v14, 3, v9
	v_cmp_gt_u32_e64 s[4:5], 8, v9
	v_ffbh_u32_e32 v9, v13
	v_min_u32_e32 v15, 32, v9
	v_subrev_u32_e32 v9, 28, v15
	v_lshlrev_b64 v[9:10], v9, v[1:2]
	v_sub_u32_e32 v10, 29, v15
	v_cndmask_b32_e64 v10, v14, v10, s[4:5]
	v_mov_b32_e32 v14, 0x2000
	v_lshlrev_b32_e32 v1, 8, v1
	v_lshl_add_u32 v10, v10, 10, v14
	v_and_b32_e32 v9, 7, v9
	v_and_or_b32 v1, v1, s54, v10
	v_cndmask_b32_e64 v9, v13, v9, s[4:5]
	v_lshlrev_b32_e32 v1, 16, v1
	v_lshl_or_b32 v22, v9, 23, v1
.LBB258_256:                            ;   in Loop: Header=BB258_13 Depth=1
	s_or_b64 exec, exec, s[44:45]
.LBB258_257:                            ;   in Loop: Header=BB258_13 Depth=1
	s_or_b64 exec, exec, s[42:43]
.LBB258_258:                            ;   in Loop: Header=BB258_13 Depth=1
	s_or_b64 exec, exec, s[40:41]
	global_load_dword v9, v[7:8], off offset:2560
	v_mov_b32_e32 v10, 0
	v_mov_b32_e32 v14, 0
	s_waitcnt vmcnt(0)
	v_cmp_ne_u16_sdwa s[4:5], v9, v2 src0_sel:BYTE_0 src1_sel:DWORD
	s_and_saveexec_b64 s[40:41], s[4:5]
	s_cbranch_execz .LBB258_264
; %bb.259:                              ;   in Loop: Header=BB258_13 Depth=1
	v_cmp_ne_u16_sdwa s[4:5], v9, s52 src0_sel:BYTE_0 src1_sel:DWORD
	v_mov_b32_e32 v14, 0x8000
	s_and_saveexec_b64 s[42:43], s[4:5]
	s_cbranch_execz .LBB258_263
; %bb.260:                              ;   in Loop: Header=BB258_13 Depth=1
	v_and_b32_e32 v1, 0x7f, v9
	v_cmp_ne_u32_e64 s[4:5], s53, v1
	v_mov_b32_e32 v14, 0x7c01
	s_and_saveexec_b64 s[44:45], s[4:5]
	s_cbranch_execz .LBB258_262
; %bb.261:                              ;   in Loop: Header=BB258_13 Depth=1
	v_and_b32_e32 v15, 7, v9
	v_lshrrev_b32_e32 v18, 3, v1
	v_cmp_gt_u32_e64 s[4:5], 8, v1
	v_ffbh_u32_e32 v1, v15
	v_min_u32_e32 v1, 32, v1
	v_subrev_u32_e32 v13, 28, v1
	v_sub_u32_e32 v1, 29, v1
	v_lshlrev_b64 v[13:14], v13, v[9:10]
	v_cndmask_b32_e64 v1, v18, v1, s[4:5]
	v_mov_b32_e32 v18, 0x2000
	v_lshl_add_u32 v1, v1, 10, v18
	v_lshlrev_b32_e32 v14, 8, v9
	v_and_b32_e32 v13, 7, v13
	v_and_b32_e32 v1, 0xfc00, v1
	v_cndmask_b32_e64 v13, v15, v13, s[4:5]
	v_and_or_b32 v1, v14, s54, v1
	v_lshl_or_b32 v14, v13, 7, v1
.LBB258_262:                            ;   in Loop: Header=BB258_13 Depth=1
	s_or_b64 exec, exec, s[44:45]
.LBB258_263:                            ;   in Loop: Header=BB258_13 Depth=1
	s_or_b64 exec, exec, s[42:43]
.LBB258_264:                            ;   in Loop: Header=BB258_13 Depth=1
	s_or_b64 exec, exec, s[40:41]
	v_lshrrev_b16_e32 v1, 8, v9
	v_cmp_ne_u16_e64 s[4:5], 0, v1
	s_and_saveexec_b64 s[40:41], s[4:5]
	s_cbranch_execz .LBB258_270
; %bb.265:                              ;   in Loop: Header=BB258_13 Depth=1
	v_cmp_ne_u16_e64 s[4:5], s52, v1
	v_bfrev_b32_e32 v10, 1
	s_and_saveexec_b64 s[42:43], s[4:5]
	s_cbranch_execz .LBB258_269
; %bb.266:                              ;   in Loop: Header=BB258_13 Depth=1
	v_and_b32_e32 v13, 0x7f, v1
	v_cmp_ne_u32_e64 s[4:5], s53, v13
	v_mov_b32_e32 v10, 0x7c010000
	s_and_saveexec_b64 s[44:45], s[4:5]
	s_cbranch_execz .LBB258_268
; %bb.267:                              ;   in Loop: Header=BB258_13 Depth=1
	v_and_b32_e32 v10, 7, v1
	v_lshrrev_b32_e32 v15, 3, v13
	v_cmp_gt_u32_e64 s[4:5], 8, v13
	v_ffbh_u32_e32 v13, v10
	v_min_u32_e32 v13, 32, v13
	v_subrev_u32_e32 v18, 28, v13
	v_sub_u32_e32 v13, 29, v13
	v_lshlrev_b64 v[27:28], v18, v[1:2]
	v_cndmask_b32_e64 v13, v15, v13, s[4:5]
	v_mov_b32_e32 v15, 0x2000
	v_lshlrev_b32_e32 v1, 8, v1
	v_lshl_add_u32 v13, v13, 10, v15
	v_and_b32_e32 v15, 7, v27
	v_and_or_b32 v1, v1, s54, v13
	v_cndmask_b32_e64 v10, v10, v15, s[4:5]
	v_lshlrev_b32_e32 v1, 16, v1
	v_lshl_or_b32 v10, v10, 23, v1
.LBB258_268:                            ;   in Loop: Header=BB258_13 Depth=1
	s_or_b64 exec, exec, s[44:45]
.LBB258_269:                            ;   in Loop: Header=BB258_13 Depth=1
	s_or_b64 exec, exec, s[42:43]
.LBB258_270:                            ;   in Loop: Header=BB258_13 Depth=1
	s_or_b64 exec, exec, s[40:41]
	v_lshrrev_b32_e32 v1, 16, v9
	v_cmp_ne_u16_sdwa s[4:5], v1, v2 src0_sel:BYTE_0 src1_sel:DWORD
	v_mov_b32_e32 v18, 0
	v_mov_b32_e32 v29, 0
	s_and_saveexec_b64 s[40:41], s[4:5]
	s_cbranch_execz .LBB258_276
; %bb.271:                              ;   in Loop: Header=BB258_13 Depth=1
	v_cmp_ne_u16_sdwa s[4:5], v1, s52 src0_sel:BYTE_0 src1_sel:DWORD
	v_mov_b32_e32 v29, 0x8000
	s_and_saveexec_b64 s[42:43], s[4:5]
	s_cbranch_execz .LBB258_275
; %bb.272:                              ;   in Loop: Header=BB258_13 Depth=1
	v_bfe_u32 v13, v9, 16, 7
	v_cmp_ne_u32_e64 s[4:5], s53, v13
	v_mov_b32_e32 v29, 0x7c01
	s_and_saveexec_b64 s[44:45], s[4:5]
	s_cbranch_execz .LBB258_274
; %bb.273:                              ;   in Loop: Header=BB258_13 Depth=1
	v_and_b32_e32 v15, 7, v1
	v_lshrrev_b32_e32 v20, 3, v13
	v_cmp_gt_u32_e64 s[4:5], 8, v13
	v_ffbh_u32_e32 v13, v15
	v_min_u32_e32 v13, 32, v13
	v_subrev_u32_e32 v27, 28, v13
	v_sub_u32_e32 v13, 29, v13
	v_lshlrev_b64 v[27:28], v27, v[1:2]
	v_cndmask_b32_e64 v13, v20, v13, s[4:5]
	v_mov_b32_e32 v20, 0x2000
	v_lshl_add_u32 v13, v13, 10, v20
	v_lshlrev_b32_e32 v1, 8, v1
	v_and_b32_e32 v20, 7, v27
	v_and_b32_e32 v13, 0xfc00, v13
	v_cndmask_b32_e64 v15, v15, v20, s[4:5]
	v_and_or_b32 v1, v1, s54, v13
	v_lshl_or_b32 v29, v15, 7, v1
.LBB258_274:                            ;   in Loop: Header=BB258_13 Depth=1
	s_or_b64 exec, exec, s[44:45]
.LBB258_275:                            ;   in Loop: Header=BB258_13 Depth=1
	s_or_b64 exec, exec, s[42:43]
.LBB258_276:                            ;   in Loop: Header=BB258_13 Depth=1
	s_or_b64 exec, exec, s[40:41]
	v_cmp_lt_u32_e64 s[4:5], s55, v9
	s_and_saveexec_b64 s[40:41], s[4:5]
	s_cbranch_execz .LBB258_282
; %bb.277:                              ;   in Loop: Header=BB258_13 Depth=1
	v_lshrrev_b32_e32 v1, 24, v9
	v_cmp_ne_u32_e64 s[4:5], s52, v1
	v_bfrev_b32_e32 v18, 1
	s_and_saveexec_b64 s[42:43], s[4:5]
	s_cbranch_execz .LBB258_281
; %bb.278:                              ;   in Loop: Header=BB258_13 Depth=1
	v_and_b32_e32 v9, 0x7f, v1
	v_cmp_ne_u32_e64 s[4:5], s53, v9
	v_mov_b32_e32 v18, 0x7c010000
	s_and_saveexec_b64 s[44:45], s[4:5]
	s_cbranch_execz .LBB258_280
; %bb.279:                              ;   in Loop: Header=BB258_13 Depth=1
	v_and_b32_e32 v13, 7, v1
	v_lshrrev_b32_e32 v15, 3, v9
	v_cmp_gt_u32_e64 s[4:5], 8, v9
	v_ffbh_u32_e32 v9, v13
	v_min_u32_e32 v9, 32, v9
	v_subrev_u32_e32 v18, 28, v9
	v_sub_u32_e32 v9, 29, v9
	v_lshlrev_b64 v[27:28], v18, v[1:2]
	v_cndmask_b32_e64 v9, v15, v9, s[4:5]
	v_mov_b32_e32 v15, 0x2000
	v_lshlrev_b32_e32 v1, 8, v1
	v_lshl_add_u32 v9, v9, 10, v15
	v_and_b32_e32 v15, 7, v27
	v_and_or_b32 v1, v1, s54, v9
	v_cndmask_b32_e64 v13, v13, v15, s[4:5]
	v_lshlrev_b32_e32 v1, 16, v1
	v_lshl_or_b32 v18, v13, 23, v1
.LBB258_280:                            ;   in Loop: Header=BB258_13 Depth=1
	s_or_b64 exec, exec, s[44:45]
.LBB258_281:                            ;   in Loop: Header=BB258_13 Depth=1
	s_or_b64 exec, exec, s[42:43]
.LBB258_282:                            ;   in Loop: Header=BB258_13 Depth=1
	s_or_b64 exec, exec, s[40:41]
	global_load_dword v9, v[7:8], off offset:2568
	v_mov_b32_e32 v13, 0
	v_mov_b32_e32 v15, 0
	s_waitcnt vmcnt(0)
	v_cmp_ne_u16_sdwa s[4:5], v9, v2 src0_sel:BYTE_0 src1_sel:DWORD
	s_and_saveexec_b64 s[40:41], s[4:5]
	s_cbranch_execz .LBB258_288
; %bb.283:                              ;   in Loop: Header=BB258_13 Depth=1
	v_cmp_ne_u16_sdwa s[4:5], v9, s52 src0_sel:BYTE_0 src1_sel:DWORD
	v_mov_b32_e32 v15, 0x8000
	s_and_saveexec_b64 s[42:43], s[4:5]
	s_cbranch_execz .LBB258_287
; %bb.284:                              ;   in Loop: Header=BB258_13 Depth=1
	v_and_b32_e32 v1, 0x7f, v9
	v_cmp_ne_u32_e64 s[4:5], s53, v1
	v_mov_b32_e32 v15, 0x7c01
	s_and_saveexec_b64 s[44:45], s[4:5]
	s_cbranch_execz .LBB258_286
; %bb.285:                              ;   in Loop: Header=BB258_13 Depth=1
	v_and_b32_e32 v15, 7, v9
	v_lshrrev_b32_e32 v20, 3, v1
	v_cmp_gt_u32_e64 s[4:5], 8, v1
	v_ffbh_u32_e32 v1, v15
	v_min_u32_e32 v1, 32, v1
	v_subrev_u32_e32 v27, 28, v1
	v_lshlrev_b64 v[27:28], v27, v[9:10]
	v_sub_u32_e32 v1, 29, v1
	v_cndmask_b32_e64 v1, v20, v1, s[4:5]
	v_mov_b32_e32 v28, 0x2000
	v_lshl_add_u32 v1, v1, 10, v28
	v_lshlrev_b32_e32 v20, 8, v9
	v_and_b32_e32 v27, 7, v27
	v_and_b32_e32 v1, 0xfc00, v1
	v_cndmask_b32_e64 v15, v15, v27, s[4:5]
	v_and_or_b32 v1, v20, s54, v1
	v_lshl_or_b32 v15, v15, 7, v1
.LBB258_286:                            ;   in Loop: Header=BB258_13 Depth=1
	s_or_b64 exec, exec, s[44:45]
.LBB258_287:                            ;   in Loop: Header=BB258_13 Depth=1
	s_or_b64 exec, exec, s[42:43]
.LBB258_288:                            ;   in Loop: Header=BB258_13 Depth=1
	s_or_b64 exec, exec, s[40:41]
	v_lshrrev_b16_e32 v1, 8, v9
	v_cmp_ne_u16_e64 s[4:5], 0, v1
	s_mov_b64 s[40:41], exec
	s_and_b64 s[4:5], s[40:41], s[4:5]
	v_mov_b32_e32 v44, v30
	s_mov_b64 exec, s[4:5]
	s_cbranch_execz .LBB258_294
; %bb.289:                              ;   in Loop: Header=BB258_13 Depth=1
	v_cmp_ne_u16_e64 s[4:5], s52, v1
	v_bfrev_b32_e32 v13, 1
	s_and_saveexec_b64 s[42:43], s[4:5]
	s_cbranch_execz .LBB258_293
; %bb.290:                              ;   in Loop: Header=BB258_13 Depth=1
	v_and_b32_e32 v20, 0x7f, v1
	v_cmp_ne_u32_e64 s[4:5], s53, v20
	v_mov_b32_e32 v13, 0x7c010000
	s_and_saveexec_b64 s[44:45], s[4:5]
	s_cbranch_execz .LBB258_292
; %bb.291:                              ;   in Loop: Header=BB258_13 Depth=1
	v_and_b32_e32 v13, 7, v1
	v_lshrrev_b32_e32 v30, 3, v20
	v_cmp_gt_u32_e64 s[4:5], 8, v20
	v_ffbh_u32_e32 v20, v13
	v_min_u32_e32 v20, 32, v20
	v_subrev_u32_e32 v27, 28, v20
	v_lshlrev_b64 v[27:28], v27, v[1:2]
	v_sub_u32_e32 v20, 29, v20
	v_cndmask_b32_e64 v20, v30, v20, s[4:5]
	v_mov_b32_e32 v28, 0x2000
	v_lshlrev_b32_e32 v1, 8, v1
	v_lshl_add_u32 v20, v20, 10, v28
	v_and_b32_e32 v27, 7, v27
	v_and_or_b32 v1, v1, s54, v20
	v_cndmask_b32_e64 v13, v13, v27, s[4:5]
	v_lshlrev_b32_e32 v1, 16, v1
	v_mov_b32_e32 v30, v44
	v_lshl_or_b32 v13, v13, 23, v1
.LBB258_292:                            ;   in Loop: Header=BB258_13 Depth=1
	s_or_b64 exec, exec, s[44:45]
.LBB258_293:                            ;   in Loop: Header=BB258_13 Depth=1
	s_or_b64 exec, exec, s[42:43]
.LBB258_294:                            ;   in Loop: Header=BB258_13 Depth=1
	s_or_b64 exec, exec, s[40:41]
	v_lshrrev_b32_e32 v1, 16, v9
	v_mov_b32_e32 v20, 0
	v_mov_b32_e32 v59, 0
	v_cmp_ne_u16_sdwa s[4:5], v1, v2 src0_sel:BYTE_0 src1_sel:DWORD
	s_mov_b64 s[40:41], exec
	s_and_b64 s[4:5], s[40:41], s[4:5]
	v_mov_b32_e32 v43, v31
	s_mov_b64 exec, s[4:5]
	s_cbranch_execz .LBB258_300
; %bb.295:                              ;   in Loop: Header=BB258_13 Depth=1
	v_cmp_ne_u16_sdwa s[4:5], v1, s52 src0_sel:BYTE_0 src1_sel:DWORD
	v_mov_b32_e32 v59, 0x8000
	s_and_saveexec_b64 s[42:43], s[4:5]
	s_cbranch_execz .LBB258_299
; %bb.296:                              ;   in Loop: Header=BB258_13 Depth=1
	v_bfe_u32 v27, v9, 16, 7
	v_cmp_ne_u32_e64 s[4:5], s53, v27
	v_mov_b32_e32 v59, 0x7c01
	s_and_saveexec_b64 s[44:45], s[4:5]
	s_cbranch_execz .LBB258_298
; %bb.297:                              ;   in Loop: Header=BB258_13 Depth=1
	v_and_b32_e32 v30, 7, v1
	v_lshrrev_b32_e32 v31, 3, v27
	v_cmp_gt_u32_e64 s[4:5], 8, v27
	v_ffbh_u32_e32 v27, v30
	v_min_u32_e32 v55, 32, v27
	v_subrev_u32_e32 v27, 28, v55
	v_lshlrev_b64 v[27:28], v27, v[1:2]
	v_sub_u32_e32 v28, 29, v55
	v_cndmask_b32_e64 v28, v31, v28, s[4:5]
	v_mov_b32_e32 v31, 0x2000
	v_lshl_add_u32 v28, v28, 10, v31
	v_lshlrev_b32_e32 v1, 8, v1
	v_and_b32_e32 v27, 7, v27
	v_and_b32_e32 v28, 0xfc00, v28
	v_cndmask_b32_e64 v27, v30, v27, s[4:5]
	v_and_or_b32 v1, v1, s54, v28
	v_mov_b32_e32 v31, v43
	v_mov_b32_e32 v30, v44
	v_lshl_or_b32 v59, v27, 7, v1
.LBB258_298:                            ;   in Loop: Header=BB258_13 Depth=1
	s_or_b64 exec, exec, s[44:45]
.LBB258_299:                            ;   in Loop: Header=BB258_13 Depth=1
	s_or_b64 exec, exec, s[42:43]
.LBB258_300:                            ;   in Loop: Header=BB258_13 Depth=1
	s_or_b64 exec, exec, s[40:41]
	v_cmp_lt_u32_e64 s[4:5], s55, v9
	s_and_saveexec_b64 s[40:41], s[4:5]
	s_cbranch_execz .LBB258_306
; %bb.301:                              ;   in Loop: Header=BB258_13 Depth=1
	v_lshrrev_b32_e32 v1, 24, v9
	v_cmp_ne_u32_e64 s[4:5], s52, v1
	v_bfrev_b32_e32 v20, 1
	s_and_saveexec_b64 s[42:43], s[4:5]
	s_cbranch_execz .LBB258_305
; %bb.302:                              ;   in Loop: Header=BB258_13 Depth=1
	v_and_b32_e32 v9, 0x7f, v1
	v_cmp_ne_u32_e64 s[4:5], s53, v9
	v_mov_b32_e32 v20, 0x7c010000
	s_and_saveexec_b64 s[44:45], s[4:5]
	s_cbranch_execz .LBB258_304
; %bb.303:                              ;   in Loop: Header=BB258_13 Depth=1
	v_and_b32_e32 v20, 7, v1
	v_lshrrev_b32_e32 v30, 3, v9
	v_cmp_gt_u32_e64 s[4:5], 8, v9
	v_ffbh_u32_e32 v9, v20
	v_min_u32_e32 v9, 32, v9
	v_subrev_u32_e32 v27, 28, v9
	v_lshlrev_b64 v[27:28], v27, v[1:2]
	v_sub_u32_e32 v9, 29, v9
	v_cndmask_b32_e64 v9, v30, v9, s[4:5]
	v_mov_b32_e32 v28, 0x2000
	v_lshlrev_b32_e32 v1, 8, v1
	v_lshl_add_u32 v9, v9, 10, v28
	v_and_b32_e32 v27, 7, v27
	v_and_or_b32 v1, v1, s54, v9
	v_cndmask_b32_e64 v20, v20, v27, s[4:5]
	v_lshlrev_b32_e32 v1, 16, v1
	v_mov_b32_e32 v30, v44
	v_lshl_or_b32 v20, v20, 23, v1
.LBB258_304:                            ;   in Loop: Header=BB258_13 Depth=1
	s_or_b64 exec, exec, s[44:45]
.LBB258_305:                            ;   in Loop: Header=BB258_13 Depth=1
	s_or_b64 exec, exec, s[42:43]
.LBB258_306:                            ;   in Loop: Header=BB258_13 Depth=1
	s_or_b64 exec, exec, s[40:41]
	global_load_dword v9, v[7:8], off offset:3072
	v_mov_b32_e32 v58, 0
	v_mov_b32_e32 v60, 0
	s_waitcnt vmcnt(0)
	v_cmp_ne_u16_sdwa s[4:5], v9, v2 src0_sel:BYTE_0 src1_sel:DWORD
	s_and_saveexec_b64 s[40:41], s[4:5]
	s_cbranch_execz .LBB258_312
; %bb.307:                              ;   in Loop: Header=BB258_13 Depth=1
	v_cmp_ne_u16_sdwa s[4:5], v9, s52 src0_sel:BYTE_0 src1_sel:DWORD
	v_mov_b32_e32 v60, 0x8000
	s_and_saveexec_b64 s[42:43], s[4:5]
	s_cbranch_execz .LBB258_311
; %bb.308:                              ;   in Loop: Header=BB258_13 Depth=1
	v_and_b32_e32 v1, 0x7f, v9
	v_cmp_ne_u32_e64 s[4:5], s53, v1
	v_mov_b32_e32 v60, 0x7c01
	s_and_saveexec_b64 s[44:45], s[4:5]
	s_cbranch_execz .LBB258_310
; %bb.309:                              ;   in Loop: Header=BB258_13 Depth=1
	v_and_b32_e32 v30, 7, v9
	v_lshrrev_b32_e32 v31, 3, v1
	v_cmp_gt_u32_e64 s[4:5], 8, v1
	v_ffbh_u32_e32 v1, v30
	v_min_u32_e32 v1, 32, v1
	v_subrev_u32_e32 v27, 28, v1
	v_sub_u32_e32 v1, 29, v1
	v_lshlrev_b64 v[27:28], v27, v[9:10]
	v_cndmask_b32_e64 v1, v31, v1, s[4:5]
	v_mov_b32_e32 v31, 0x2000
	v_lshl_add_u32 v1, v1, 10, v31
	v_lshlrev_b32_e32 v28, 8, v9
	v_and_b32_e32 v27, 7, v27
	v_and_b32_e32 v1, 0xfc00, v1
	v_cndmask_b32_e64 v27, v30, v27, s[4:5]
	v_and_or_b32 v1, v28, s54, v1
	v_mov_b32_e32 v31, v43
	v_mov_b32_e32 v30, v44
	v_lshl_or_b32 v60, v27, 7, v1
.LBB258_310:                            ;   in Loop: Header=BB258_13 Depth=1
	s_or_b64 exec, exec, s[44:45]
.LBB258_311:                            ;   in Loop: Header=BB258_13 Depth=1
	s_or_b64 exec, exec, s[42:43]
.LBB258_312:                            ;   in Loop: Header=BB258_13 Depth=1
	s_or_b64 exec, exec, s[40:41]
	v_lshrrev_b16_e32 v1, 8, v9
	v_cmp_ne_u16_e64 s[4:5], 0, v1
	s_and_saveexec_b64 s[40:41], s[4:5]
	s_cbranch_execz .LBB258_318
; %bb.313:                              ;   in Loop: Header=BB258_13 Depth=1
	v_cmp_ne_u16_e64 s[4:5], s52, v1
	v_bfrev_b32_e32 v58, 1
	s_and_saveexec_b64 s[42:43], s[4:5]
	s_cbranch_execz .LBB258_317
; %bb.314:                              ;   in Loop: Header=BB258_13 Depth=1
	v_and_b32_e32 v27, 0x7f, v1
	v_cmp_ne_u32_e64 s[4:5], s53, v27
	v_mov_b32_e32 v58, 0x7c010000
	s_and_saveexec_b64 s[44:45], s[4:5]
	s_cbranch_execz .LBB258_316
; %bb.315:                              ;   in Loop: Header=BB258_13 Depth=1
	v_and_b32_e32 v30, 7, v1
	v_lshrrev_b32_e32 v31, 3, v27
	v_cmp_gt_u32_e64 s[4:5], 8, v27
	v_ffbh_u32_e32 v27, v30
	v_min_u32_e32 v55, 32, v27
	v_subrev_u32_e32 v27, 28, v55
	v_lshlrev_b64 v[27:28], v27, v[1:2]
	v_sub_u32_e32 v28, 29, v55
	v_cndmask_b32_e64 v28, v31, v28, s[4:5]
	v_mov_b32_e32 v31, 0x2000
	v_lshlrev_b32_e32 v1, 8, v1
	v_lshl_add_u32 v28, v28, 10, v31
	v_and_b32_e32 v27, 7, v27
	v_and_or_b32 v1, v1, s54, v28
	v_cndmask_b32_e64 v27, v30, v27, s[4:5]
	v_lshlrev_b32_e32 v1, 16, v1
	v_mov_b32_e32 v31, v43
	v_mov_b32_e32 v30, v44
	v_lshl_or_b32 v58, v27, 23, v1
.LBB258_316:                            ;   in Loop: Header=BB258_13 Depth=1
	s_or_b64 exec, exec, s[44:45]
.LBB258_317:                            ;   in Loop: Header=BB258_13 Depth=1
	s_or_b64 exec, exec, s[42:43]
.LBB258_318:                            ;   in Loop: Header=BB258_13 Depth=1
	s_or_b64 exec, exec, s[40:41]
	v_lshrrev_b32_e32 v1, 16, v9
	v_cmp_ne_u16_sdwa s[4:5], v1, v2 src0_sel:BYTE_0 src1_sel:DWORD
	v_mov_b32_e32 v63, 0
	v_mov_b32_e32 v27, 0
	s_and_saveexec_b64 s[40:41], s[4:5]
	s_cbranch_execz .LBB258_324
; %bb.319:                              ;   in Loop: Header=BB258_13 Depth=1
	v_cmp_ne_u16_sdwa s[4:5], v1, s52 src0_sel:BYTE_0 src1_sel:DWORD
	v_mov_b32_e32 v27, 0x8000
	s_and_saveexec_b64 s[42:43], s[4:5]
	s_cbranch_execz .LBB258_323
; %bb.320:                              ;   in Loop: Header=BB258_13 Depth=1
	v_bfe_u32 v28, v9, 16, 7
	v_cmp_ne_u32_e64 s[4:5], s53, v28
	v_mov_b32_e32 v27, 0x7c01
	s_and_saveexec_b64 s[44:45], s[4:5]
	s_cbranch_execz .LBB258_322
; %bb.321:                              ;   in Loop: Header=BB258_13 Depth=1
	v_and_b32_e32 v30, 7, v1
	v_ffbh_u32_e32 v27, v30
	v_min_u32_e32 v55, 32, v27
	v_subrev_u32_e32 v27, 28, v55
	v_lshrrev_b32_e32 v31, 3, v28
	v_cmp_gt_u32_e64 s[4:5], 8, v28
	v_lshlrev_b64 v[27:28], v27, v[1:2]
	v_sub_u32_e32 v28, 29, v55
	v_cndmask_b32_e64 v28, v31, v28, s[4:5]
	v_mov_b32_e32 v31, 0x2000
	v_lshl_add_u32 v28, v28, 10, v31
	v_lshlrev_b32_e32 v1, 8, v1
	v_and_b32_e32 v27, 7, v27
	v_and_b32_e32 v28, 0xfc00, v28
	v_cndmask_b32_e64 v27, v30, v27, s[4:5]
	v_and_or_b32 v1, v1, s54, v28
	v_mov_b32_e32 v31, v43
	v_mov_b32_e32 v30, v44
	v_lshl_or_b32 v27, v27, 7, v1
.LBB258_322:                            ;   in Loop: Header=BB258_13 Depth=1
	s_or_b64 exec, exec, s[44:45]
.LBB258_323:                            ;   in Loop: Header=BB258_13 Depth=1
	s_or_b64 exec, exec, s[42:43]
.LBB258_324:                            ;   in Loop: Header=BB258_13 Depth=1
	s_or_b64 exec, exec, s[40:41]
	v_cmp_lt_u32_e64 s[4:5], s55, v9
	s_and_saveexec_b64 s[40:41], s[4:5]
	s_cbranch_execz .LBB258_330
; %bb.325:                              ;   in Loop: Header=BB258_13 Depth=1
	v_lshrrev_b32_e32 v1, 24, v9
	v_cmp_ne_u32_e64 s[4:5], s52, v1
	v_bfrev_b32_e32 v63, 1
	s_and_saveexec_b64 s[42:43], s[4:5]
	s_cbranch_execz .LBB258_329
; %bb.326:                              ;   in Loop: Header=BB258_13 Depth=1
	v_and_b32_e32 v9, 0x7f, v1
	v_cmp_ne_u32_e64 s[4:5], s53, v9
	v_mov_b32_e32 v63, 0x7c010000
	s_and_saveexec_b64 s[44:45], s[4:5]
	s_cbranch_execz .LBB258_328
; %bb.327:                              ;   in Loop: Header=BB258_13 Depth=1
	v_and_b32_e32 v28, 7, v1
	v_lshrrev_b32_e32 v55, 3, v9
	v_cmp_gt_u32_e64 s[4:5], 8, v9
	v_ffbh_u32_e32 v9, v28
	v_min_u32_e32 v9, 32, v9
	v_subrev_u32_e32 v30, 28, v9
	v_lshlrev_b64 v[30:31], v30, v[1:2]
	v_sub_u32_e32 v9, 29, v9
	v_cndmask_b32_e64 v9, v55, v9, s[4:5]
	v_mov_b32_e32 v31, 0x2000
	v_lshlrev_b32_e32 v1, 8, v1
	v_lshl_add_u32 v9, v9, 10, v31
	v_and_b32_e32 v30, 7, v30
	v_and_or_b32 v1, v1, s54, v9
	v_cndmask_b32_e64 v28, v28, v30, s[4:5]
	v_lshlrev_b32_e32 v1, 16, v1
	v_mov_b32_e32 v31, v43
	v_mov_b32_e32 v30, v44
	v_lshl_or_b32 v63, v28, 23, v1
.LBB258_328:                            ;   in Loop: Header=BB258_13 Depth=1
	s_or_b64 exec, exec, s[44:45]
.LBB258_329:                            ;   in Loop: Header=BB258_13 Depth=1
	s_or_b64 exec, exec, s[42:43]
.LBB258_330:                            ;   in Loop: Header=BB258_13 Depth=1
	s_or_b64 exec, exec, s[40:41]
	global_load_dword v7, v[7:8], off offset:3080
	v_mov_b32_e32 v9, 0
	v_mov_b32_e32 v28, 0
	s_waitcnt vmcnt(0)
	v_cmp_ne_u16_sdwa s[4:5], v7, v2 src0_sel:BYTE_0 src1_sel:DWORD
	s_and_saveexec_b64 s[40:41], s[4:5]
	s_cbranch_execz .LBB258_336
; %bb.331:                              ;   in Loop: Header=BB258_13 Depth=1
	v_cmp_ne_u16_sdwa s[4:5], v7, s52 src0_sel:BYTE_0 src1_sel:DWORD
	v_mov_b32_e32 v28, 0x8000
	s_and_saveexec_b64 s[42:43], s[4:5]
	s_cbranch_execz .LBB258_335
; %bb.332:                              ;   in Loop: Header=BB258_13 Depth=1
	v_and_b32_e32 v1, 0x7f, v7
	v_cmp_ne_u32_e64 s[4:5], s53, v1
	v_mov_b32_e32 v28, 0x7c01
	s_and_saveexec_b64 s[44:45], s[4:5]
	s_cbranch_execz .LBB258_334
; %bb.333:                              ;   in Loop: Header=BB258_13 Depth=1
	v_and_b32_e32 v8, 7, v7
	v_lshrrev_b32_e32 v28, 3, v1
	v_cmp_gt_u32_e64 s[4:5], 8, v1
	v_ffbh_u32_e32 v1, v8
	v_min_u32_e32 v1, 32, v1
	v_subrev_u32_e32 v30, 28, v1
	v_lshlrev_b64 v[30:31], v30, v[7:8]
	v_sub_u32_e32 v1, 29, v1
	v_cndmask_b32_e64 v1, v28, v1, s[4:5]
	v_mov_b32_e32 v31, 0x2000
	v_lshl_add_u32 v1, v1, 10, v31
	v_lshlrev_b32_e32 v28, 8, v7
	v_and_b32_e32 v30, 7, v30
	v_and_b32_e32 v1, 0xfc00, v1
	v_cndmask_b32_e64 v8, v8, v30, s[4:5]
	v_and_or_b32 v1, v28, s54, v1
	v_mov_b32_e32 v31, v43
	v_mov_b32_e32 v30, v44
	v_lshl_or_b32 v28, v8, 7, v1
.LBB258_334:                            ;   in Loop: Header=BB258_13 Depth=1
	s_or_b64 exec, exec, s[44:45]
.LBB258_335:                            ;   in Loop: Header=BB258_13 Depth=1
	s_or_b64 exec, exec, s[42:43]
.LBB258_336:                            ;   in Loop: Header=BB258_13 Depth=1
	s_or_b64 exec, exec, s[40:41]
	v_lshrrev_b16_e32 v1, 8, v7
	v_cmp_ne_u16_e64 s[4:5], 0, v1
	s_and_saveexec_b64 s[40:41], s[4:5]
	s_cbranch_execz .LBB258_342
; %bb.337:                              ;   in Loop: Header=BB258_13 Depth=1
	v_cmp_ne_u16_e64 s[4:5], s52, v1
	v_bfrev_b32_e32 v9, 1
	s_and_saveexec_b64 s[42:43], s[4:5]
	s_cbranch_execz .LBB258_341
; %bb.338:                              ;   in Loop: Header=BB258_13 Depth=1
	v_and_b32_e32 v8, 0x7f, v1
	v_cmp_ne_u32_e64 s[4:5], s53, v8
	v_mov_b32_e32 v9, 0x7c010000
	s_and_saveexec_b64 s[44:45], s[4:5]
	s_cbranch_execz .LBB258_340
; %bb.339:                              ;   in Loop: Header=BB258_13 Depth=1
	v_and_b32_e32 v30, 7, v1
	v_lshrrev_b32_e32 v31, 3, v8
	v_cmp_gt_u32_e64 s[4:5], 8, v8
	v_ffbh_u32_e32 v8, v30
	v_min_u32_e32 v55, 32, v8
	v_subrev_u32_e32 v8, 28, v55
	v_lshlrev_b64 v[8:9], v8, v[1:2]
	v_sub_u32_e32 v9, 29, v55
	v_cndmask_b32_e64 v9, v31, v9, s[4:5]
	v_mov_b32_e32 v31, 0x2000
	v_lshlrev_b32_e32 v1, 8, v1
	v_lshl_add_u32 v9, v9, 10, v31
	v_and_b32_e32 v8, 7, v8
	v_and_or_b32 v1, v1, s54, v9
	v_cndmask_b32_e64 v8, v30, v8, s[4:5]
	v_lshlrev_b32_e32 v1, 16, v1
	v_mov_b32_e32 v31, v43
	v_mov_b32_e32 v30, v44
	v_lshl_or_b32 v9, v8, 23, v1
.LBB258_340:                            ;   in Loop: Header=BB258_13 Depth=1
	s_or_b64 exec, exec, s[44:45]
.LBB258_341:                            ;   in Loop: Header=BB258_13 Depth=1
	s_or_b64 exec, exec, s[42:43]
.LBB258_342:                            ;   in Loop: Header=BB258_13 Depth=1
	s_or_b64 exec, exec, s[40:41]
	v_lshrrev_b32_e32 v1, 16, v7
	v_cmp_ne_u16_sdwa s[4:5], v1, v2 src0_sel:BYTE_0 src1_sel:DWORD
	v_mov_b32_e32 v55, 0
	v_mov_b32_e32 v8, 0
	s_and_saveexec_b64 s[40:41], s[4:5]
	s_cbranch_execz .LBB258_348
; %bb.343:                              ;   in Loop: Header=BB258_13 Depth=1
	v_cmp_ne_u16_sdwa s[4:5], v1, s52 src0_sel:BYTE_0 src1_sel:DWORD
	v_mov_b32_e32 v8, 0x8000
	s_and_saveexec_b64 s[42:43], s[4:5]
	s_cbranch_execz .LBB258_347
; %bb.344:                              ;   in Loop: Header=BB258_13 Depth=1
	v_mov_b32_e32 v37, v57
	v_bfe_u32 v57, v7, 16, 7
	v_cmp_ne_u32_e64 s[4:5], s53, v57
	v_mov_b32_e32 v8, 0x7c01
	s_and_saveexec_b64 s[44:45], s[4:5]
	s_cbranch_execz .LBB258_346
; %bb.345:                              ;   in Loop: Header=BB258_13 Depth=1
	v_and_b32_e32 v8, 7, v1
	v_ffbh_u32_e32 v30, v8
	v_mov_b32_e32 v11, v42
	v_mov_b32_e32 v42, v53
	v_mov_b32_e32 v53, v40
	v_mov_b32_e32 v40, v26
	v_mov_b32_e32 v26, v38
	v_mov_b32_e32 v38, v21
	v_mov_b32_e32 v21, v36
	v_mov_b32_e32 v36, v49
	v_mov_b32_e32 v49, v34
	v_mov_b32_e32 v34, v47
	v_mov_b32_e32 v47, v32
	v_mov_b32_e32 v32, v45
	v_mov_b32_e32 v45, v33
	v_mov_b32_e32 v33, v41
	v_mov_b32_e32 v41, v39
	v_mov_b32_e32 v39, v35
	v_lshrrev_b32_e32 v35, 3, v57
	v_cmp_gt_u32_e64 s[4:5], 8, v57
	v_min_u32_e32 v57, 32, v30
	v_subrev_u32_e32 v30, 28, v57
	v_lshlrev_b64 v[30:31], v30, v[1:2]
	v_sub_u32_e32 v31, 29, v57
	v_cndmask_b32_e64 v31, v35, v31, s[4:5]
	v_mov_b32_e32 v35, 0x2000
	v_lshl_add_u32 v31, v31, 10, v35
	v_mov_b32_e32 v35, v39
	v_mov_b32_e32 v39, v41
	v_mov_b32_e32 v41, v33
	v_mov_b32_e32 v33, v45
	v_mov_b32_e32 v45, v32
	v_mov_b32_e32 v32, v47
	v_mov_b32_e32 v47, v34
	v_mov_b32_e32 v34, v49
	v_mov_b32_e32 v49, v36
	v_mov_b32_e32 v36, v21
	v_mov_b32_e32 v21, v38
	v_mov_b32_e32 v38, v26
	v_mov_b32_e32 v26, v40
	v_mov_b32_e32 v40, v53
	v_mov_b32_e32 v53, v42
	v_mov_b32_e32 v42, v11
	buffer_load_dword v11, off, s[56:59], 0 offset:24 ; 4-byte Folded Reload
	v_and_b32_e32 v30, 7, v30
	v_lshlrev_b32_e32 v1, 8, v1
	v_cndmask_b32_e64 v8, v8, v30, s[4:5]
	v_and_b32_e32 v30, 0xfc00, v31
	v_and_or_b32 v1, v1, s54, v30
	v_mov_b32_e32 v31, v43
	v_mov_b32_e32 v30, v44
	v_lshl_or_b32 v8, v8, 7, v1
.LBB258_346:                            ;   in Loop: Header=BB258_13 Depth=1
	s_or_b64 exec, exec, s[44:45]
	v_mov_b32_e32 v57, v37
.LBB258_347:                            ;   in Loop: Header=BB258_13 Depth=1
	s_or_b64 exec, exec, s[42:43]
.LBB258_348:                            ;   in Loop: Header=BB258_13 Depth=1
	s_or_b64 exec, exec, s[40:41]
	v_mov_b32_e32 v37, v35
	v_cmp_lt_u32_e64 s[4:5], s55, v7
	s_and_saveexec_b64 s[40:41], s[4:5]
	s_cbranch_execz .LBB258_354
; %bb.349:                              ;   in Loop: Header=BB258_13 Depth=1
	v_lshrrev_b32_e32 v1, 24, v7
	v_cmp_ne_u32_e64 s[4:5], s52, v1
	v_bfrev_b32_e32 v55, 1
	s_and_saveexec_b64 s[42:43], s[4:5]
	s_cbranch_execz .LBB258_353
; %bb.350:                              ;   in Loop: Header=BB258_13 Depth=1
	v_and_b32_e32 v7, 0x7f, v1
	v_cmp_ne_u32_e64 s[4:5], s53, v7
	v_mov_b32_e32 v55, 0x7c010000
	s_and_saveexec_b64 s[44:45], s[4:5]
	s_cbranch_execz .LBB258_352
; %bb.351:                              ;   in Loop: Header=BB258_13 Depth=1
	v_and_b32_e32 v35, 7, v1
	v_lshrrev_b32_e32 v55, 3, v7
	v_cmp_gt_u32_e64 s[4:5], 8, v7
	v_ffbh_u32_e32 v7, v35
	v_min_u32_e32 v7, 32, v7
	v_subrev_u32_e32 v30, 28, v7
	v_lshlrev_b64 v[30:31], v30, v[1:2]
	v_sub_u32_e32 v7, 29, v7
	v_cndmask_b32_e64 v7, v55, v7, s[4:5]
	v_mov_b32_e32 v31, 0x2000
	v_lshlrev_b32_e32 v1, 8, v1
	v_lshl_add_u32 v7, v7, 10, v31
	v_and_b32_e32 v30, 7, v30
	v_and_or_b32 v1, v1, s54, v7
	v_cndmask_b32_e64 v30, v35, v30, s[4:5]
	v_lshlrev_b32_e32 v1, 16, v1
	v_mov_b32_e32 v31, v43
	v_lshl_or_b32 v55, v30, 23, v1
	v_mov_b32_e32 v30, v44
.LBB258_352:                            ;   in Loop: Header=BB258_13 Depth=1
	s_or_b64 exec, exec, s[44:45]
.LBB258_353:                            ;   in Loop: Header=BB258_13 Depth=1
	s_or_b64 exec, exec, s[42:43]
.LBB258_354:                            ;   in Loop: Header=BB258_13 Depth=1
	s_or_b64 exec, exec, s[40:41]
	v_or_b32_e32 v1, v58, v60
	v_fma_mixlo_f16 v1, v25, v1, 0 op_sel_hi:[0,1,0]
	buffer_store_dword v1, off, s[56:59], 0 offset:40 ; 4-byte Folded Spill
	v_or_b32_e32 v1, v63, v27
	v_fma_mixlo_f16 v1, v25, v1, 0 op_sel_hi:[0,1,0]
	buffer_store_dword v1, off, s[56:59], 0 offset:32 ; 4-byte Folded Spill
	v_fma_mixlo_f16 v1, v25, v63, 0 op_sel:[0,1,0] op_sel_hi:[0,1,0]
	buffer_store_dword v1, off, s[56:59], 0 offset:24 ; 4-byte Folded Spill
	v_or_b32_e32 v1, v13, v15
	v_fma_mixlo_f16 v1, v25, v1, 0 op_sel_hi:[0,1,0]
	buffer_store_dword v1, off, s[56:59], 0 offset:56 ; 4-byte Folded Spill
	v_or_b32_e32 v1, v20, v59
	v_fma_mixlo_f16 v1, v25, v1, 0 op_sel_hi:[0,1,0]
	buffer_store_dword v1, off, s[56:59], 0 offset:48 ; 4-byte Folded Spill
	v_fma_mixlo_f16 v1, v25, v20, 0 op_sel:[0,1,0] op_sel_hi:[0,1,0]
	buffer_store_dword v1, off, s[56:59], 0 offset:44 ; 4-byte Folded Spill
	v_or_b32_e32 v1, v10, v14
	v_fma_mixlo_f16 v60, v25, v1, 0 op_sel_hi:[0,1,0]
	v_or_b32_e32 v1, v18, v29
	v_fma_mixlo_f16 v1, v25, v1, 0 op_sel_hi:[0,1,0]
	buffer_store_dword v1, off, s[56:59], 0 offset:64 ; 4-byte Folded Spill
	v_fma_mixlo_f16 v1, v25, v18, 0 op_sel:[0,1,0] op_sel_hi:[0,1,0]
	v_fma_mixlo_f16 v7, v25, v58, 0 op_sel:[0,1,0] op_sel_hi:[0,1,0]
	buffer_store_dword v1, off, s[56:59], 0 offset:60 ; 4-byte Folded Spill
	v_or_b32_e32 v1, v0, v17
	v_fma_mixlo_f16 v58, v25, v0, 0 op_sel:[0,1,0] op_sel_hi:[0,1,0]
	v_or_b32_e32 v0, v22, v23
	v_fma_mixlo_f16 v23, v25, v0, 0 op_sel_hi:[0,1,0]
	v_or_b32_e32 v0, v61, v62
	v_fma_mixlo_f16 v62, v25, v0, 0 op_sel_hi:[0,1,0]
	;; [unrolled: 2-line block ×3, first 2 shown]
	buffer_load_dword v0, off, s[56:59], 0 offset:20 ; 4-byte Folded Reload
	v_fma_mixlo_f16 v63, v25, v10, 0 op_sel:[0,1,0] op_sel_hi:[0,1,0]
	v_fma_mixlo_f16 v27, v25, v1, 0 op_sel_hi:[0,1,0]
	buffer_store_dword v7, off, s[56:59], 0 offset:36 ; 4-byte Folded Spill
	v_fma_mixlo_f16 v7, v25, v13, 0 op_sel:[0,1,0] op_sel_hi:[0,1,0]
	buffer_store_dword v7, off, s[56:59], 0 offset:52 ; 4-byte Folded Spill
	v_fma_mixlo_f16 v20, v25, v3, 0 op_sel:[0,1,0] op_sel_hi:[0,1,0]
	v_fma_mixlo_f16 v59, v25, v22, 0 op_sel:[0,1,0] op_sel_hi:[0,1,0]
	;; [unrolled: 1-line block ×4, first 2 shown]
	v_or_b32_e32 v8, v55, v8
	v_fma_mixlo_f16 v61, v25, v61, 0 op_sel:[0,1,0] op_sel_hi:[0,1,0]
	buffer_load_dword v1, off, s[56:59], 0 offset:4 ; 4-byte Folded Reload
	s_waitcnt vmcnt(3)
	v_or_b32_e32 v0, v54, v0
	v_fma_mixlo_f16 v29, v25, v0, 0 op_sel_hi:[0,1,0]
	v_or_b32_e32 v0, v56, v12
	v_fma_mixlo_f16 v17, v25, v0, 0 op_sel_hi:[0,1,0]
	buffer_load_dword v0, off, s[56:59], 0 offset:12 ; 4-byte Folded Reload
	v_fma_mixlo_f16 v54, v25, v56, 0 op_sel:[0,1,0] op_sel_hi:[0,1,0]
	v_fma_mixlo_f16 v56, v25, v50, 0 op_sel:[0,1,0] op_sel_hi:[0,1,0]
	s_waitcnt vmcnt(0)
	v_or_b32_e32 v0, v50, v0
	v_fma_mixlo_f16 v14, v25, v0, 0 op_sel_hi:[0,1,0]
	buffer_load_dword v0, off, s[56:59], 0 offset:16 ; 4-byte Folded Reload
	v_fma_mixlo_f16 v50, v25, v52, 0 op_sel:[0,1,0] op_sel_hi:[0,1,0]
	s_waitcnt vmcnt(0)
	v_or_b32_e32 v0, v52, v0
	v_fma_mixlo_f16 v15, v25, v0, 0 op_sel_hi:[0,1,0]
	v_or_b32_e32 v0, v46, v30
	v_fma_mixlo_f16 v10, v25, v0, 0 op_sel_hi:[0,1,0]
	buffer_load_dword v0, off, s[56:59], 0 offset:8 ; 4-byte Folded Reload
	v_fma_mixlo_f16 v52, v25, v46, 0 op_sel:[0,1,0] op_sel_hi:[0,1,0]
	v_fma_mixlo_f16 v46, v25, v48, 0 op_sel:[0,1,0] op_sel_hi:[0,1,0]
	;; [unrolled: 1-line block ×3, first 2 shown]
	v_and_b32_e32 v30, 0xffff, v30
	s_waitcnt vmcnt(0)
	v_or_b32_e32 v0, v48, v0
	v_fma_mixlo_f16 v13, v25, v0, 0 op_sel_hi:[0,1,0]
	v_or_b32_e32 v0, v42, v53
	v_fma_mixlo_f16 v7, v25, v0, 0 op_sel_hi:[0,1,0]
	;; [unrolled: 2-line block ×5, first 2 shown]
	v_or_b32_e32 v0, v34, v45
	v_fma_mixlo_f16 v48, v25, v42, 0 op_sel:[0,1,0] op_sel_hi:[0,1,0]
	v_fma_mixlo_f16 v42, v25, v1, 0 op_sel:[0,1,0] op_sel_hi:[0,1,0]
	v_fma_mixlo_f16 v1, v25, v0, 0 op_sel_hi:[0,1,0]
	v_or_b32_e32 v0, v36, v47
	v_fma_mixlo_f16 v35, v25, v0, 0 op_sel_hi:[0,1,0]
	v_or_b32_e32 v0, v33, v31
	v_fma_mixlo_f16 v38, v25, v40, 0 op_sel:[0,1,0] op_sel_hi:[0,1,0]
	v_fma_mixlo_f16 v40, v25, v34, 0 op_sel:[0,1,0] op_sel_hi:[0,1,0]
	;; [unrolled: 1-line block ×3, first 2 shown]
	v_fma_mixlo_f16 v36, v25, v0, 0 op_sel_hi:[0,1,0]
	v_or_b32_e32 v0, v32, v41
	v_fma_mixlo_f16 v33, v25, v0, 0 op_sel_hi:[0,1,0]
	v_or_b32_e32 v11, v21, v57
	v_fma_mixlo_f16 v0, v25, v21, 0 op_sel:[0,1,0] op_sel_hi:[0,1,0]
	v_mov_b32_e32 v21, v37
	v_or_b32_e32 v12, v21, v39
	v_fma_mixlo_f16 v37, v25, v12, 0 op_sel_hi:[0,1,0]
	v_or_b32_e32 v12, v9, v28
	v_fma_mixlo_f16 v31, v25, v32, 0 op_sel:[0,1,0] op_sel_hi:[0,1,0]
	v_fma_mixlo_f16 v11, v25, v11, 0 op_sel_hi:[0,1,0]
	v_fma_mixlo_f16 v32, v25, v21, 0 op_sel:[0,1,0] op_sel_hi:[0,1,0]
	v_fma_mixlo_f16 v9, v25, v9, 0 op_sel:[0,1,0] op_sel_hi:[0,1,0]
	v_fma_mixlo_f16 v28, v25, v12, 0 op_sel_hi:[0,1,0]
	v_fma_mixlo_f16 v41, v25, v8, 0 op_sel_hi:[0,1,0]
	v_fma_mixlo_f16 v39, v25, v55, 0 op_sel:[0,1,0] op_sel_hi:[0,1,0]
	ds_read_b64 v[25:26], v16
	v_and_b32_e32 v11, 0xffff, v11
	v_and_b32_e32 v0, 0xffff, v0
	;; [unrolled: 1-line block ×3, first 2 shown]
	s_waitcnt lgkmcnt(0)
	v_lshrrev_b32_e32 v8, 16, v25
	v_and_b32_e32 v12, 0xffff, v25
	;;#ASMSTART
	v_cvt_f32_f16 v57, v12;
	;;#ASMEND
	;;#ASMSTART
	v_cvt_f32_f16 v8, v8;
	;;#ASMEND
	;; [unrolled: 3-line block ×4, first 2 shown]
	v_lshrrev_b32_e32 v11, 16, v26
	v_and_b32_e32 v0, 0xffff, v26
	v_and_b32_e32 v25, 0xffff, v37
	;;#ASMSTART
	v_cvt_f32_f16 v0, v0;
	;;#ASMEND
	;;#ASMSTART
	v_cvt_f32_f16 v11, v11;
	;;#ASMEND
	;;#ASMSTART
	v_cvt_f32_f16 v37, v25;
	;;#ASMEND
	v_and_b32_e32 v25, 0xffff, v32
	;;#ASMSTART
	v_cvt_f32_f16 v55, v25;
	;;#ASMEND
	ds_read_b64 v[25:26], v16 offset:8
	s_waitcnt lgkmcnt(0)
	v_lshrrev_b32_e32 v32, 16, v25
	v_and_b32_e32 v25, 0xffff, v25
	;;#ASMSTART
	v_cvt_f32_f16 v25, v25;
	;;#ASMEND
	;;#ASMSTART
	v_cvt_f32_f16 v32, v32;
	;;#ASMEND
	;; [unrolled: 3-line block ×4, first 2 shown]
	v_mul_f32_e32 v30, v32, v30
	v_fmac_f32_e32 v30, v8, v12
	v_lshrrev_b32_e32 v12, 16, v26
	v_and_b32_e32 v8, 0xffff, v26
	v_mul_f32_e32 v25, v25, v36
	;;#ASMSTART
	v_cvt_f32_f16 v8, v8;
	;;#ASMEND
	;;#ASMSTART
	v_cvt_f32_f16 v32, v12;
	;;#ASMEND
	v_and_b32_e32 v12, 0xffff, v33
	v_fmac_f32_e32 v25, v57, v21
	;;#ASMSTART
	v_cvt_f32_f16 v12, v12;
	;;#ASMEND
	v_and_b32_e32 v21, 0xffff, v31
	;;#ASMSTART
	v_cvt_f32_f16 v33, v21;
	;;#ASMEND
	v_mul_f32_e32 v32, v32, v33
	v_mul_f32_e32 v31, v8, v12
	v_fmac_f32_e32 v32, v11, v55
	ds_read_b64 v[11:12], v16 offset:16
	v_fmac_f32_e32 v31, v0, v37
	v_and_b32_e32 v21, 0xffff, v40
	s_waitcnt lgkmcnt(0)
	v_lshrrev_b32_e32 v8, 16, v11
	v_and_b32_e32 v0, 0xffff, v11
	v_and_b32_e32 v11, 0xffff, v1
	;;#ASMSTART
	v_cvt_f32_f16 v0, v0;
	;;#ASMEND
	;;#ASMSTART
	v_cvt_f32_f16 v8, v8;
	;;#ASMEND
	;; [unrolled: 3-line block ×4, first 2 shown]
	v_fmac_f32_e32 v25, v0, v11
	v_fmac_f32_e32 v30, v8, v21
	v_lshrrev_b32_e32 v8, 16, v12
	v_and_b32_e32 v0, 0xffff, v12
	v_and_b32_e32 v11, 0xffff, v35
	;; [unrolled: 1-line block ×3, first 2 shown]
	;;#ASMSTART
	v_cvt_f32_f16 v0, v0;
	;;#ASMEND
	;;#ASMSTART
	v_cvt_f32_f16 v8, v8;
	;;#ASMEND
	;; [unrolled: 3-line block ×4, first 2 shown]
	v_fmac_f32_e32 v31, v0, v11
	v_fmac_f32_e32 v32, v8, v12
	ds_read_b64 v[11:12], v16 offset:24
	v_and_b32_e32 v21, 0xffff, v44
	v_and_b32_e32 v1, 0xffff, v14
	s_waitcnt lgkmcnt(0)
	v_lshrrev_b32_e32 v8, 16, v11
	v_and_b32_e32 v0, 0xffff, v11
	v_and_b32_e32 v11, 0xffff, v3
	;;#ASMSTART
	v_cvt_f32_f16 v0, v0;
	;;#ASMEND
	;;#ASMSTART
	v_cvt_f32_f16 v8, v8;
	;;#ASMEND
	;; [unrolled: 3-line block ×4, first 2 shown]
	v_fmac_f32_e32 v25, v0, v11
	v_fmac_f32_e32 v30, v8, v21
	v_lshrrev_b32_e32 v8, 16, v12
	v_and_b32_e32 v0, 0xffff, v12
	v_and_b32_e32 v11, 0xffff, v4
	;; [unrolled: 1-line block ×3, first 2 shown]
	;;#ASMSTART
	v_cvt_f32_f16 v0, v0;
	;;#ASMEND
	;;#ASMSTART
	v_cvt_f32_f16 v8, v8;
	;;#ASMEND
	;; [unrolled: 3-line block ×4, first 2 shown]
	v_fmac_f32_e32 v31, v0, v11
	v_fmac_f32_e32 v32, v8, v12
	ds_read_b64 v[11:12], v16 offset:32
	v_and_b32_e32 v21, 0xffff, v48
	v_and_b32_e32 v3, 0xffff, v15
	;; [unrolled: 1-line block ×3, first 2 shown]
	s_waitcnt lgkmcnt(0)
	v_lshrrev_b32_e32 v8, 16, v11
	v_and_b32_e32 v0, 0xffff, v11
	v_and_b32_e32 v11, 0xffff, v7
	;;#ASMSTART
	v_cvt_f32_f16 v0, v0;
	;;#ASMEND
	;;#ASMSTART
	v_cvt_f32_f16 v8, v8;
	;;#ASMEND
	;; [unrolled: 3-line block ×4, first 2 shown]
	v_fmac_f32_e32 v25, v0, v11
	v_fmac_f32_e32 v30, v8, v21
	v_lshrrev_b32_e32 v8, 16, v12
	v_and_b32_e32 v0, 0xffff, v12
	v_and_b32_e32 v11, 0xffff, v43
	;; [unrolled: 1-line block ×3, first 2 shown]
	;;#ASMSTART
	v_cvt_f32_f16 v0, v0;
	;;#ASMEND
	;;#ASMSTART
	v_cvt_f32_f16 v8, v8;
	;;#ASMEND
	;;#ASMSTART
	v_cvt_f32_f16 v11, v11;
	;;#ASMEND
	;;#ASMSTART
	v_cvt_f32_f16 v12, v12;
	;;#ASMEND
	v_fmac_f32_e32 v31, v0, v11
	v_fmac_f32_e32 v32, v8, v12
	ds_read_b64 v[11:12], v16 offset:40
	v_and_b32_e32 v21, 0xffff, v52
	v_and_b32_e32 v7, 0xffff, v58
	s_waitcnt lgkmcnt(0)
	v_lshrrev_b32_e32 v8, 16, v11
	v_and_b32_e32 v0, 0xffff, v11
	v_and_b32_e32 v11, 0xffff, v10
	;;#ASMSTART
	v_cvt_f32_f16 v0, v0;
	;;#ASMEND
	;;#ASMSTART
	v_cvt_f32_f16 v8, v8;
	;;#ASMEND
	;;#ASMSTART
	v_cvt_f32_f16 v11, v11;
	;;#ASMEND
	;;#ASMSTART
	v_cvt_f32_f16 v21, v21;
	;;#ASMEND
	v_fmac_f32_e32 v25, v0, v11
	v_fmac_f32_e32 v30, v8, v21
	v_lshrrev_b32_e32 v8, 16, v12
	v_and_b32_e32 v0, 0xffff, v12
	v_and_b32_e32 v11, 0xffff, v13
	;; [unrolled: 1-line block ×3, first 2 shown]
	;;#ASMSTART
	v_cvt_f32_f16 v0, v0;
	;;#ASMEND
	;;#ASMSTART
	v_cvt_f32_f16 v8, v8;
	;;#ASMEND
	;; [unrolled: 3-line block ×4, first 2 shown]
	v_fmac_f32_e32 v31, v0, v11
	v_fmac_f32_e32 v32, v8, v12
	ds_read_b64 v[11:12], v16 offset:48
	s_waitcnt lgkmcnt(0)
	v_lshrrev_b32_e32 v8, 16, v11
	v_and_b32_e32 v0, 0xffff, v11
	;;#ASMSTART
	v_cvt_f32_f16 v0, v0;
	;;#ASMEND
	;;#ASMSTART
	v_cvt_f32_f16 v8, v8;
	;;#ASMEND
	;; [unrolled: 3-line block ×3, first 2 shown]
	v_and_b32_e32 v11, 0xffff, v56
	v_fmac_f32_e32 v25, v0, v1
	v_lshrrev_b32_e32 v1, 16, v12
	v_and_b32_e32 v0, 0xffff, v12
	;;#ASMSTART
	v_cvt_f32_f16 v11, v11;
	;;#ASMEND
	v_fmac_f32_e32 v30, v8, v11
	;;#ASMSTART
	v_cvt_f32_f16 v0, v0;
	;;#ASMEND
	;;#ASMSTART
	v_cvt_f32_f16 v1, v1;
	;;#ASMEND
	v_and_b32_e32 v8, 0xffff, v50
	;;#ASMSTART
	v_cvt_f32_f16 v3, v3;
	;;#ASMEND
	;;#ASMSTART
	v_cvt_f32_f16 v8, v8;
	;;#ASMEND
	v_fmac_f32_e32 v31, v0, v3
	v_fmac_f32_e32 v32, v1, v8
	ds_read_b64 v[0:1], v16 offset:56
	v_and_b32_e32 v8, 0xffff, v29
	v_and_b32_e32 v11, 0xffff, v22
	s_waitcnt lgkmcnt(0)
	v_lshrrev_b32_e32 v3, 16, v0
	v_and_b32_e32 v0, 0xffff, v0
	;;#ASMSTART
	v_cvt_f32_f16 v0, v0;
	;;#ASMEND
	;;#ASMSTART
	v_cvt_f32_f16 v3, v3;
	;;#ASMEND
	;; [unrolled: 3-line block ×4, first 2 shown]
	v_fmac_f32_e32 v25, v0, v8
	v_fmac_f32_e32 v30, v3, v11
	v_lshrrev_b32_e32 v3, 16, v1
	v_and_b32_e32 v0, 0xffff, v1
	;;#ASMSTART
	v_cvt_f32_f16 v0, v0;
	;;#ASMEND
	;;#ASMSTART
	v_cvt_f32_f16 v1, v3;
	;;#ASMEND
	v_and_b32_e32 v3, 0xffff, v17
	;;#ASMSTART
	v_cvt_f32_f16 v3, v3;
	;;#ASMEND
	;;#ASMSTART
	v_cvt_f32_f16 v4, v4;
	;;#ASMEND
	v_fmac_f32_e32 v31, v0, v3
	v_fmac_f32_e32 v32, v1, v4
	ds_read_b64 v[0:1], v16 offset:64
	v_and_b32_e32 v4, 0xffff, v62
	v_and_b32_e32 v8, 0xffff, v61
	s_waitcnt lgkmcnt(0)
	v_lshrrev_b32_e32 v3, 16, v0
	v_and_b32_e32 v0, 0xffff, v0
	;;#ASMSTART
	v_cvt_f32_f16 v0, v0;
	;;#ASMEND
	;;#ASMSTART
	v_cvt_f32_f16 v3, v3;
	;;#ASMEND
	;; [unrolled: 3-line block ×4, first 2 shown]
	v_fmac_f32_e32 v25, v0, v4
	v_fmac_f32_e32 v30, v3, v8
	v_lshrrev_b32_e32 v3, 16, v1
	v_and_b32_e32 v0, 0xffff, v1
	;;#ASMSTART
	v_cvt_f32_f16 v0, v0;
	;;#ASMEND
	;;#ASMSTART
	v_cvt_f32_f16 v1, v3;
	;;#ASMEND
	v_and_b32_e32 v3, 0xffff, v18
	v_and_b32_e32 v4, 0xffff, v20
	;;#ASMSTART
	v_cvt_f32_f16 v3, v3;
	;;#ASMEND
	;;#ASMSTART
	v_cvt_f32_f16 v4, v4;
	;;#ASMEND
	v_fmac_f32_e32 v31, v0, v3
	v_fmac_f32_e32 v32, v1, v4
	ds_read_b64 v[0:1], v16 offset:72
	v_and_b32_e32 v4, 0xffff, v27
	s_waitcnt lgkmcnt(0)
	v_lshrrev_b32_e32 v3, 16, v0
	v_and_b32_e32 v0, 0xffff, v0
	;;#ASMSTART
	v_cvt_f32_f16 v0, v0;
	;;#ASMEND
	;;#ASMSTART
	v_cvt_f32_f16 v3, v3;
	;;#ASMEND
	;; [unrolled: 3-line block ×4, first 2 shown]
	v_fmac_f32_e32 v25, v0, v4
	v_fmac_f32_e32 v30, v3, v7
	v_lshrrev_b32_e32 v3, 16, v1
	v_and_b32_e32 v0, 0xffff, v1
	;;#ASMSTART
	v_cvt_f32_f16 v0, v0;
	;;#ASMEND
	;;#ASMSTART
	v_cvt_f32_f16 v1, v3;
	;;#ASMEND
	v_and_b32_e32 v3, 0xffff, v23
	v_and_b32_e32 v4, 0xffff, v59
	;;#ASMSTART
	v_cvt_f32_f16 v3, v3;
	;;#ASMEND
	;;#ASMSTART
	v_cvt_f32_f16 v4, v4;
	;;#ASMEND
	v_fmac_f32_e32 v31, v0, v3
	v_fmac_f32_e32 v32, v1, v4
	ds_read_b64 v[0:1], v16 offset:80
	v_and_b32_e32 v4, 0xffff, v60
	v_and_b32_e32 v7, 0xffff, v63
	s_waitcnt lgkmcnt(0)
	v_lshrrev_b32_e32 v3, 16, v0
	v_and_b32_e32 v0, 0xffff, v0
	;;#ASMSTART
	v_cvt_f32_f16 v0, v0;
	;;#ASMEND
	;;#ASMSTART
	v_cvt_f32_f16 v3, v3;
	;;#ASMEND
	;; [unrolled: 3-line block ×4, first 2 shown]
	v_fmac_f32_e32 v25, v0, v4
	v_fmac_f32_e32 v30, v3, v7
	v_lshrrev_b32_e32 v3, 16, v1
	v_and_b32_e32 v0, 0xffff, v1
	;;#ASMSTART
	v_cvt_f32_f16 v0, v0;
	;;#ASMEND
	;;#ASMSTART
	v_cvt_f32_f16 v1, v3;
	;;#ASMEND
	buffer_load_dword v3, off, s[56:59], 0 offset:64 ; 4-byte Folded Reload
	s_waitcnt vmcnt(0)
	v_and_b32_e32 v3, 0xffff, v3
	;;#ASMSTART
	v_cvt_f32_f16 v3, v3;
	;;#ASMEND
	buffer_load_dword v4, off, s[56:59], 0 offset:60 ; 4-byte Folded Reload
	v_fmac_f32_e32 v31, v0, v3
	s_waitcnt vmcnt(0)
	v_and_b32_e32 v4, 0xffff, v4
	;;#ASMSTART
	v_cvt_f32_f16 v4, v4;
	;;#ASMEND
	v_fmac_f32_e32 v32, v1, v4
	ds_read_b64 v[0:1], v16 offset:88
	s_waitcnt lgkmcnt(0)
	v_lshrrev_b32_e32 v3, 16, v0
	v_and_b32_e32 v0, 0xffff, v0
	;;#ASMSTART
	v_cvt_f32_f16 v0, v0;
	;;#ASMEND
	;;#ASMSTART
	v_cvt_f32_f16 v3, v3;
	;;#ASMEND
	buffer_load_dword v4, off, s[56:59], 0 offset:56 ; 4-byte Folded Reload
	s_waitcnt vmcnt(0)
	v_and_b32_e32 v4, 0xffff, v4
	;;#ASMSTART
	v_cvt_f32_f16 v4, v4;
	;;#ASMEND
	buffer_load_dword v7, off, s[56:59], 0 offset:52 ; 4-byte Folded Reload
	v_fmac_f32_e32 v25, v0, v4
	v_and_b32_e32 v0, 0xffff, v1
	s_waitcnt vmcnt(0)
	v_and_b32_e32 v7, 0xffff, v7
	;;#ASMSTART
	v_cvt_f32_f16 v7, v7;
	;;#ASMEND
	v_fmac_f32_e32 v30, v3, v7
	v_lshrrev_b32_e32 v3, 16, v1
	;;#ASMSTART
	v_cvt_f32_f16 v0, v0;
	;;#ASMEND
	;;#ASMSTART
	v_cvt_f32_f16 v1, v3;
	;;#ASMEND
	buffer_load_dword v3, off, s[56:59], 0 offset:48 ; 4-byte Folded Reload
	s_waitcnt vmcnt(0)
	v_and_b32_e32 v3, 0xffff, v3
	;;#ASMSTART
	v_cvt_f32_f16 v3, v3;
	;;#ASMEND
	buffer_load_dword v4, off, s[56:59], 0 offset:44 ; 4-byte Folded Reload
	v_fmac_f32_e32 v31, v0, v3
	s_waitcnt vmcnt(0)
	v_and_b32_e32 v4, 0xffff, v4
	;;#ASMSTART
	v_cvt_f32_f16 v4, v4;
	;;#ASMEND
	v_fmac_f32_e32 v32, v1, v4
	ds_read_b64 v[0:1], v16 offset:96
	s_waitcnt lgkmcnt(0)
	v_lshrrev_b32_e32 v3, 16, v0
	v_and_b32_e32 v0, 0xffff, v0
	;;#ASMSTART
	v_cvt_f32_f16 v0, v0;
	;;#ASMEND
	;;#ASMSTART
	v_cvt_f32_f16 v3, v3;
	;;#ASMEND
	buffer_load_dword v4, off, s[56:59], 0 offset:40 ; 4-byte Folded Reload
	s_waitcnt vmcnt(0)
	v_and_b32_e32 v4, 0xffff, v4
	;;#ASMSTART
	v_cvt_f32_f16 v4, v4;
	;;#ASMEND
	buffer_load_dword v7, off, s[56:59], 0 offset:36 ; 4-byte Folded Reload
	v_fmac_f32_e32 v25, v0, v4
	v_and_b32_e32 v0, 0xffff, v1
	s_waitcnt vmcnt(0)
	v_and_b32_e32 v7, 0xffff, v7
	;;#ASMSTART
	v_cvt_f32_f16 v7, v7;
	;;#ASMEND
	v_fmac_f32_e32 v30, v3, v7
	v_lshrrev_b32_e32 v3, 16, v1
	;;#ASMSTART
	v_cvt_f32_f16 v0, v0;
	;;#ASMEND
	;;#ASMSTART
	v_cvt_f32_f16 v1, v3;
	;;#ASMEND
	buffer_load_dword v3, off, s[56:59], 0 offset:32 ; 4-byte Folded Reload
	v_and_b32_e32 v7, 0xffff, v9
	s_waitcnt vmcnt(0)
	v_and_b32_e32 v3, 0xffff, v3
	;;#ASMSTART
	v_cvt_f32_f16 v3, v3;
	;;#ASMEND
	buffer_load_dword v4, off, s[56:59], 0 offset:24 ; 4-byte Folded Reload
	v_fmac_f32_e32 v31, v0, v3
	s_waitcnt vmcnt(0)
	v_and_b32_e32 v4, 0xffff, v4
	;;#ASMSTART
	v_cvt_f32_f16 v4, v4;
	;;#ASMEND
	v_fmac_f32_e32 v32, v1, v4
	ds_read_b64 v[0:1], v16 offset:104
	v_and_b32_e32 v4, 0xffff, v28
	s_waitcnt lgkmcnt(0)
	v_lshrrev_b32_e32 v3, 16, v0
	v_and_b32_e32 v0, 0xffff, v0
	;;#ASMSTART
	v_cvt_f32_f16 v0, v0;
	;;#ASMEND
	;;#ASMSTART
	v_cvt_f32_f16 v3, v3;
	;;#ASMEND
	;; [unrolled: 3-line block ×4, first 2 shown]
	v_fmac_f32_e32 v25, v0, v4
	v_fmac_f32_e32 v30, v3, v7
	v_lshrrev_b32_e32 v3, 16, v1
	v_and_b32_e32 v0, 0xffff, v1
	;;#ASMSTART
	v_cvt_f32_f16 v0, v0;
	;;#ASMEND
	;;#ASMSTART
	v_cvt_f32_f16 v1, v3;
	;;#ASMEND
	v_and_b32_e32 v3, 0xffff, v41
	v_and_b32_e32 v4, 0xffff, v39
	;;#ASMSTART
	v_cvt_f32_f16 v3, v3;
	;;#ASMEND
	;;#ASMSTART
	v_cvt_f32_f16 v4, v4;
	;;#ASMEND
	v_fmac_f32_e32 v32, v1, v4
	buffer_load_dword v4, off, s[56:59], 0 offset:80 ; 4-byte Folded Reload
	v_fmac_f32_e32 v31, v0, v3
	v_add_f32_e32 v0, v25, v30
	v_add_f32_e32 v0, v0, v31
	;; [unrolled: 1-line block ×3, first 2 shown]
	s_waitcnt vmcnt(0)
	v_and_b32_e32 v3, 64, v4
	v_xor_b32_e32 v1, 1, v4
	v_add_u32_e32 v3, 64, v3
	v_cmp_lt_i32_e64 s[4:5], v1, v3
	v_cndmask_b32_e64 v1, v4, v1, s[4:5]
	v_lshlrev_b32_e32 v1, 2, v1
	ds_bpermute_b32 v1, v1, v0
	s_and_saveexec_b64 s[40:41], vcc
	s_cbranch_execz .LBB258_11
; %bb.355:                              ;   in Loop: Header=BB258_13 Depth=1
	buffer_load_dword v3, off, s[56:59], 0 offset:88 ; 4-byte Folded Reload
	buffer_load_dword v4, off, s[56:59], 0 offset:84 ; 4-byte Folded Reload
	s_waitcnt lgkmcnt(0)
	v_add_f32_e32 v0, v0, v1
	s_waitcnt vmcnt(1)
	v_add_u32_e32 v3, v3, v19
	v_cvt_f32_i32_e32 v3, v3
	v_mul_f32_e32 v1, s48, v3
	buffer_load_dword v3, off, s[56:59], 0 offset:68 ; 4-byte Folded Reload
	s_waitcnt vmcnt(1)
	v_add_u32_e32 v4, v4, v19
	v_cndmask_b32_e64 v1, 0, v1, s[2:3]
	v_fmac_f32_e32 v1, s37, v0
	v_cmp_gt_i32_e64 s[4:5], s33, v4
	v_cndmask_b32_e64 v0, 0, v1, s[4:5]
	ds_write_b32 v51, v0
	s_waitcnt vmcnt(0)
	v_max_f32_e32 v0, v3, v3
	v_max_f32_e32 v0, v0, v1
	v_cndmask_b32_e64 v3, v3, v0, s[4:5]
	buffer_store_dword v3, off, s[56:59], 0 offset:68 ; 4-byte Folded Spill
	s_branch .LBB258_11
.LBB258_356:
	s_or_b64 exec, exec, s[38:39]
	buffer_load_dword v12, off, s[56:59], 0 offset:92 ; 4-byte Folded Reload
	buffer_load_dword v13, off, s[56:59], 0 offset:100 ; 4-byte Folded Reload
	;; [unrolled: 1-line block ×4, first 2 shown]
	v_mbcnt_lo_u32_b32 v2, -1, 0
.LBB258_357:
	s_or_b64 exec, exec, s[18:19]
	v_mbcnt_hi_u32_b32 v0, -1, v2
	v_and_b32_e32 v7, 64, v0
	v_add_u32_e32 v8, 64, v7
	s_waitcnt lgkmcnt(0)
	v_xor_b32_e32 v1, 32, v0
	v_cmp_lt_i32_e32 vcc, v1, v8
	v_cndmask_b32_e32 v1, v0, v1, vcc
	v_lshlrev_b32_e32 v1, 2, v1
	s_waitcnt vmcnt(0)
	ds_bpermute_b32 v2, v1, v3
	v_xor_b32_e32 v4, 16, v0
	v_max_f32_e32 v3, v3, v3
	v_cmp_lt_i32_e32 vcc, v4, v8
	v_xor_b32_e32 v5, 8, v0
	s_waitcnt lgkmcnt(0)
	v_max_f32_e32 v2, v2, v2
	v_max_f32_e32 v3, v3, v2
	v_cndmask_b32_e32 v2, v0, v4, vcc
	v_lshlrev_b32_e32 v2, 2, v2
	ds_bpermute_b32 v4, v2, v3
	v_cmp_lt_i32_e32 vcc, v5, v8
	v_xor_b32_e32 v6, 4, v0
	v_xor_b32_e32 v9, 2, v0
	v_and_b32_e32 v14, 63, v12
	s_waitcnt lgkmcnt(0)
	v_max_f32_e32 v4, v4, v4
	v_max_f32_e32 v4, v3, v4
	v_cndmask_b32_e32 v3, v0, v5, vcc
	v_lshlrev_b32_e32 v3, 2, v3
	ds_bpermute_b32 v5, v3, v4
	v_cmp_lt_i32_e32 vcc, v6, v8
	s_waitcnt lgkmcnt(0)
	v_max_f32_e32 v5, v5, v5
	v_max_f32_e32 v5, v4, v5
	v_cndmask_b32_e32 v4, v0, v6, vcc
	v_lshlrev_b32_e32 v4, 2, v4
	ds_bpermute_b32 v6, v4, v5
	v_cmp_lt_i32_e32 vcc, v9, v8
	s_waitcnt lgkmcnt(0)
	v_max_f32_e32 v6, v6, v6
	v_max_f32_e32 v6, v5, v6
	v_cndmask_b32_e32 v5, v0, v9, vcc
	v_lshlrev_b32_e32 v15, 2, v5
	buffer_load_dword v5, off, s[56:59], 0  ; 4-byte Folded Reload
	ds_bpermute_b32 v9, v15, v6
	v_cmp_eq_u32_e32 vcc, 0, v14
	s_waitcnt vmcnt(0)
	v_lshlrev_b32_e32 v5, 2, v5
	s_and_saveexec_b64 s[2:3], vcc
	s_cbranch_execz .LBB258_359
; %bb.358:
	s_waitcnt lgkmcnt(0)
	v_max_f32_e32 v9, v9, v9
	v_max_f32_e32 v6, v6, v6
	;; [unrolled: 1-line block ×3, first 2 shown]
	ds_write_b32 v5, v6 offset:224
.LBB258_359:
	s_or_b64 exec, exec, s[2:3]
	v_cmp_gt_u32_e64 s[2:3], 2, v14
	s_waitcnt lgkmcnt(0)
	v_mov_b32_e32 v9, 0xff7fffff
	v_lshlrev_b32_e32 v6, 2, v14
	s_barrier
	s_and_saveexec_b64 s[4:5], s[2:3]
; %bb.360:
	ds_read_b32 v9, v6 offset:224
; %bb.361:
	s_or_b64 exec, exec, s[4:5]
	v_xor_b32_e32 v10, 1, v0
	v_cmp_lt_i32_e64 s[4:5], v10, v8
	v_cndmask_b32_e64 v8, v0, v10, s[4:5]
	v_lshlrev_b32_e32 v16, 2, v8
	s_waitcnt lgkmcnt(0)
	ds_bpermute_b32 v8, v16, v9
	v_max_f32_e32 v9, v9, v9
	v_lshlrev_b32_e32 v7, 2, v7
	s_lshl_b32 s4, s47, 5
	s_min_i32 s37, s4, s33
	s_waitcnt lgkmcnt(0)
	v_max_f32_e32 v8, v8, v8
	v_max_f32_e32 v8, v9, v8
	ds_bpermute_b32 v8, v7, v8
	v_cmp_gt_i32_e64 s[4:5], s37, v12
	v_mov_b32_e32 v7, 0
	s_and_saveexec_b64 s[12:13], s[4:5]
	s_cbranch_execz .LBB258_365
; %bb.362:
	v_mov_b32_e32 v7, 0xf0
	v_lshl_add_u32 v9, v12, 2, v7
	v_mov_b32_e32 v7, 0
	s_mov_b64 s[18:19], 0
	v_mov_b32_e32 v10, v12
.LBB258_363:                            ; =>This Inner Loop Header: Depth=1
	ds_read_b32 v11, v9
	v_add_u32_e32 v10, 0x80, v10
	v_cmp_le_i32_e64 s[6:7], s37, v10
	s_or_b64 s[18:19], s[6:7], s[18:19]
	s_waitcnt lgkmcnt(0)
	v_sub_f32_e32 v11, v11, v8
	v_mul_f32_e32 v11, 0x3fb8aa3b, v11
	v_exp_f32_e32 v11, v11
	ds_write_b32 v9, v11
	v_add_f32_e32 v7, v7, v11
	v_add_u32_e32 v9, 0x200, v9
	s_andn2_b64 exec, exec, s[18:19]
	s_cbranch_execnz .LBB258_363
; %bb.364:
	s_or_b64 exec, exec, s[18:19]
.LBB258_365:
	s_or_b64 exec, exec, s[12:13]
	ds_bpermute_b32 v1, v1, v7
	s_waitcnt lgkmcnt(0)
	v_add_f32_e32 v1, v7, v1
	ds_bpermute_b32 v2, v2, v1
	s_waitcnt lgkmcnt(0)
	v_add_f32_e32 v1, v1, v2
	;; [unrolled: 3-line block ×6, first 2 shown]
	s_and_saveexec_b64 s[6:7], vcc
; %bb.366:
	ds_write_b32 v5, v1 offset:232
; %bb.367:
	s_or_b64 exec, exec, s[6:7]
	s_waitcnt lgkmcnt(0)
	s_barrier
	s_and_saveexec_b64 s[6:7], s[2:3]
; %bb.368:
	ds_read_b32 v1, v6 offset:232
; %bb.369:
	s_or_b64 exec, exec, s[6:7]
	s_waitcnt lgkmcnt(0)
	ds_bpermute_b32 v2, v16, v1
	v_lshlrev_b32_e32 v0, 2, v0
	v_and_b32_e32 v0, 0x100, v0
	s_waitcnt lgkmcnt(0)
	v_add_f32_e32 v1, v1, v2
	ds_bpermute_b32 v0, v0, v1
	s_and_saveexec_b64 s[2:3], s[4:5]
	s_cbranch_execz .LBB258_372
; %bb.370:
	s_waitcnt lgkmcnt(0)
	v_add_f32_e32 v1, 0x358637bd, v0
	v_div_scale_f32 v0, s[4:5], v1, v1, 1.0
	v_div_scale_f32 v2, vcc, 1.0, v1, 1.0
	s_mov_b64 s[4:5], 0
	v_rcp_f32_e32 v3, v0
	v_fma_f32 v4, -v0, v3, 1.0
	v_fmac_f32_e32 v3, v4, v3
	v_mul_f32_e32 v4, v2, v3
	v_fma_f32 v5, -v0, v4, v2
	v_fmac_f32_e32 v4, v5, v3
	v_fma_f32 v0, -v0, v4, v2
	v_div_fmas_f32 v2, v0, v3, v4
	v_mov_b32_e32 v0, 0xf0
	v_lshl_add_u32 v0, v12, 2, v0
	v_div_fixup_f32 v1, v2, v1, 1.0
	v_mov_b32_e32 v2, v12
.LBB258_371:                            ; =>This Inner Loop Header: Depth=1
	ds_read_b32 v3, v0
	v_add_u32_e32 v2, 0x80, v2
	v_cmp_le_i32_e32 vcc, s37, v2
	s_or_b64 s[4:5], vcc, s[4:5]
	s_waitcnt lgkmcnt(0)
	v_mul_f32_e32 v3, v1, v3
	ds_write_b32 v0, v3
	v_add_u32_e32 v0, 0x200, v0
	s_andn2_b64 exec, exec, s[4:5]
	s_cbranch_execnz .LBB258_371
.LBB258_372:
	s_or_b64 exec, exec, s[2:3]
	v_mov_b32_e32 v24, 0
	v_and_b32_e32 v17, 3, v12
	v_mov_b32_e32 v25, 0
	v_mov_b32_e32 v22, 0
	;; [unrolled: 1-line block ×6, first 2 shown]
	s_waitcnt lgkmcnt(0)
	s_barrier
	s_and_saveexec_b64 s[2:3], s[0:1]
	s_cbranch_execz .LBB258_728
; %bb.373:
	s_sub_i32 s37, s16, s21
	s_ashr_i32 s0, s20, 31
	s_add_u32 s1, s34, s20
	s_addc_u32 s0, s35, s0
	s_abs_i32 s22, s22
	v_cvt_f32_u32_e32 v0, s22
	s_sub_i32 s6, 0, s22
	v_and_b32_e32 v1, 0x1f8, v13
	s_add_i32 s35, s47, -1
	v_rcp_iflag_f32_e32 v0, v0
	v_mov_b32_e32 v4, s0
	v_and_b32_e32 v5, 60, v26
	v_and_b32_e32 v23, 24, v13
	v_mul_f32_e32 v0, 0x4f7ffffe, v0
	v_cvt_u32_f32_e32 v0, v0
	s_mov_b32 s4, -1
	s_mov_b32 s34, s17
	s_mov_b32 s5, 0xffffff
	v_mul_lo_u32 v3, s6, v0
	v_mov_b32_e32 v2, 0
	buffer_load_dword v8, off, s[56:59], 0 offset:96 ; 4-byte Folded Reload
	s_mov_b64 s[6:7], 0
	v_mul_hi_u32 v6, v0, v3
	v_add_co_u32_e32 v3, vcc, s1, v1
	buffer_load_dword v1, off, s[56:59], 0  ; 4-byte Folded Reload
	s_lshl_b64 s[0:1], s[30:31], 2
	s_add_u32 s0, s28, s0
	v_addc_co_u32_e32 v4, vcc, 0, v4, vcc
	s_addc_u32 s1, s29, s1
	v_add_u32_e32 v13, v0, v6
	v_mov_b32_e32 v0, s1
	v_add_co_u32_e32 v5, vcc, s0, v5
	v_addc_co_u32_e32 v6, vcc, 0, v0, vcc
	v_lshlrev_b32_e32 v0, 5, v17
	s_movk_i32 s28, 0x80
	s_movk_i32 s29, 0x7f
	s_mov_b32 s30, 0x8000
	v_mov_b32_e32 v27, 0x2000
	v_mov_b32_e32 v18, 0
	;; [unrolled: 1-line block ×8, first 2 shown]
	s_waitcnt vmcnt(0)
	v_lshl_or_b32 v0, v1, 7, v0
	v_add_u32_e32 v26, 0xf0, v0
	s_branch .LBB258_376
.LBB258_374:                            ;   in Loop: Header=BB258_376 Depth=1
	s_or_b64 exec, exec, s[0:1]
	v_add_f32_e32 v0, v0, v48
	v_add_f32_e32 v20, v20, v0
	;; [unrolled: 1-line block ×10, first 2 shown]
	;;#ASMSTART
	v_pk_mul_f16 v0, v39, v7;

	;;#ASMEND
	;;#ASMSTART
	v_pk_mul_f16 v1, v38, v1;

	;;#ASMEND
	;; [unrolled: 4-line block ×4, first 2 shown]
	;;#ASMSTART
	v_pk_add_f16 v0, v0, v1;

	;;#ASMEND
	;;#ASMSTART
	v_pk_add_f16 v0, v0, v7;

	;;#ASMEND
	;; [unrolled: 4-line block ×3, first 2 shown]
	v_lshrrev_b32_e32 v1, 16, v0
	v_and_b32_e32 v0, 0xffff, v0
	;;#ASMSTART
	v_cvt_f32_f16 v0, v0;
	;;#ASMEND
	v_add_f32_e32 v9, v9, v10
	;;#ASMSTART
	v_cvt_f32_f16 v1, v1;
	;;#ASMEND
	v_add_f32_e32 v0, v0, v1
	v_add_f32_e32 v19, v19, v9
	;; [unrolled: 1-line block ×3, first 2 shown]
.LBB258_375:                            ;   in Loop: Header=BB258_376 Depth=1
	s_or_b64 exec, exec, s[12:13]
	buffer_load_dword v0, off, s[56:59], 0  ; 4-byte Folded Reload
	v_add_co_u32_e32 v5, vcc, 8, v5
	v_addc_co_u32_e32 v6, vcc, 0, v6, vcc
	v_mov_b32_e32 v8, v60
	v_add_u32_e32 v8, 64, v8
	v_add_u32_e32 v26, 0x100, v26
	s_waitcnt vmcnt(0)
	v_add_u32_e32 v0, 2, v0
	v_cmp_le_i32_e32 vcc, s47, v0
	s_or_b64 s[6:7], vcc, s[6:7]
	buffer_store_dword v0, off, s[56:59], 0 ; 4-byte Folded Spill
	s_andn2_b64 exec, exec, s[6:7]
	s_cbranch_execz .LBB258_727
.LBB258_376:                            ; =>This Inner Loop Header: Depth=1
	v_mul_hi_u32 v0, v8, s46
	v_mov_b32_e32 v60, v8
	v_mul_lo_u32 v1, v0, s25
	v_add_u32_e32 v7, 1, v0
	v_sub_u32_e32 v1, v8, v1
	v_cmp_le_u32_e32 vcc, s25, v1
	v_cndmask_b32_e32 v0, v0, v7, vcc
	v_subrev_u32_e32 v7, s25, v1
	v_cndmask_b32_e32 v1, v1, v7, vcc
	v_add_u32_e32 v7, 1, v0
	v_cmp_le_u32_e32 vcc, s25, v1
	v_cndmask_b32_e32 v0, v0, v7, vcc
	v_xor_b32_e32 v0, s23, v0
	v_subrev_u32_e32 v0, s23, v0
	v_add_u32_e32 v1, s36, v0
	v_sub_u32_e32 v7, 0, v1
	v_max_i32_e32 v7, v1, v7
	v_mul_hi_u32 v8, v7, v13
	v_ashrrev_i32_e32 v1, 31, v1
	v_cmp_lt_i32_e64 s[0:1], s37, v0
	v_mul_lo_u32 v8, v8, s22
	v_sub_u32_e32 v7, v7, v8
	v_subrev_u32_e32 v8, s22, v7
	v_cmp_le_u32_e32 vcc, s22, v7
	v_cndmask_b32_e32 v7, v7, v8, vcc
	v_subrev_u32_e32 v8, s22, v7
	v_cmp_le_u32_e32 vcc, s22, v7
	v_cndmask_b32_e32 v7, v7, v8, vcc
	v_xor_b32_e32 v7, v7, v1
	v_sub_u32_e32 v1, v7, v1
	v_cmp_eq_u32_e32 vcc, 0, v1
	s_or_b64 s[0:1], vcc, s[0:1]
	s_and_saveexec_b64 s[12:13], s[0:1]
	s_cbranch_execz .LBB258_375
; %bb.377:                              ;   in Loop: Header=BB258_376 Depth=1
	global_load_dword v1, v[5:6], off
	ds_read2_b64 v[7:10], v26 offset1:1
	ds_read2_b64 v[28:31], v26 offset0:2 offset1:3
	s_waitcnt lgkmcnt(1)
	;;#ASMSTART
	v_cvt_f16_f32 v0, v7;

	;;#ASMEND
	;;#ASMSTART
	v_cvt_f16_f32 v36, v8;

	;;#ASMEND
	;; [unrolled: 4-line block ×4, first 2 shown]
	s_waitcnt lgkmcnt(0)
	;;#ASMSTART
	v_cvt_f16_f32 v40, v28;

	;;#ASMEND
	;;#ASMSTART
	v_cvt_f16_f32 v41, v29;

	;;#ASMEND
	;; [unrolled: 4-line block ×4, first 2 shown]
	v_mov_b32_e32 v30, 0
	global_load_dword v29, v30, s[14:15]
	v_mov_b32_e32 v31, 0
	s_waitcnt vmcnt(1)
	v_mad_i64_i32 v[7:8], s[0:1], v1, s34, v[3:4]
	global_load_dwordx2 v[9:10], v[7:8], off
	s_waitcnt vmcnt(0)
	v_cmp_ne_u16_sdwa s[16:17], v9, v2 src0_sel:BYTE_0 src1_sel:DWORD
	s_and_saveexec_b64 s[0:1], s[16:17]
	s_cbranch_execz .LBB258_383
; %bb.378:                              ;   in Loop: Header=BB258_376 Depth=1
	v_cmp_ne_u16_sdwa s[18:19], v9, s28 src0_sel:BYTE_0 src1_sel:DWORD
	v_mov_b32_e32 v31, 0x8000
	s_and_saveexec_b64 s[16:17], s[18:19]
	s_cbranch_execz .LBB258_382
; %bb.379:                              ;   in Loop: Header=BB258_376 Depth=1
	v_and_b32_e32 v1, 0x7f, v9
	v_cmp_ne_u32_e32 vcc, s29, v1
	v_mov_b32_e32 v31, 0x7c01
	s_and_saveexec_b64 s[18:19], vcc
	s_cbranch_execz .LBB258_381
; %bb.380:                              ;   in Loop: Header=BB258_376 Depth=1
	v_and_b32_e32 v28, 7, v9
	v_ffbh_u32_e32 v11, v28
	v_min_u32_e32 v32, 32, v11
	v_subrev_u32_e32 v11, 28, v32
	v_lshlrev_b64 v[11:12], v11, v[9:10]
	v_lshrrev_b32_e32 v31, 3, v1
	v_sub_u32_e32 v12, 29, v32
	v_cmp_gt_u32_e32 vcc, 8, v1
	v_cndmask_b32_e32 v1, v31, v12, vcc
	v_lshl_add_u32 v1, v1, 10, v27
	v_lshlrev_b32_e32 v12, 8, v9
	v_and_b32_e32 v11, 7, v11
	v_and_b32_e32 v1, 0xfc00, v1
	v_cndmask_b32_e32 v11, v28, v11, vcc
	v_and_or_b32 v1, v12, s30, v1
	v_lshl_or_b32 v31, v11, 7, v1
.LBB258_381:                            ;   in Loop: Header=BB258_376 Depth=1
	s_or_b64 exec, exec, s[18:19]
.LBB258_382:                            ;   in Loop: Header=BB258_376 Depth=1
	s_or_b64 exec, exec, s[16:17]
.LBB258_383:                            ;   in Loop: Header=BB258_376 Depth=1
	s_or_b64 exec, exec, s[0:1]
	v_lshrrev_b16_e32 v1, 8, v9
	v_cmp_ne_u16_e32 vcc, 0, v1
	s_and_saveexec_b64 s[0:1], vcc
	s_cbranch_execz .LBB258_389
; %bb.384:                              ;   in Loop: Header=BB258_376 Depth=1
	v_cmp_ne_u16_e32 vcc, s28, v1
	v_bfrev_b32_e32 v30, 1
	s_and_saveexec_b64 s[16:17], vcc
	s_cbranch_execz .LBB258_388
; %bb.385:                              ;   in Loop: Header=BB258_376 Depth=1
	v_and_b32_e32 v11, 0x7f, v1
	v_cmp_ne_u32_e32 vcc, s29, v11
	v_mov_b32_e32 v30, 0x7c010000
	s_and_saveexec_b64 s[18:19], vcc
	s_cbranch_execz .LBB258_387
; %bb.386:                              ;   in Loop: Header=BB258_376 Depth=1
	v_and_b32_e32 v12, 7, v1
	v_ffbh_u32_e32 v30, v12
	v_min_u32_e32 v30, 32, v30
	v_lshrrev_b32_e32 v28, 3, v11
	v_subrev_u32_e32 v32, 28, v30
	v_sub_u32_e32 v30, 29, v30
	v_cmp_gt_u32_e32 vcc, 8, v11
	v_lshlrev_b64 v[32:33], v32, v[1:2]
	v_cndmask_b32_e32 v11, v28, v30, vcc
	v_lshlrev_b32_e32 v1, 8, v1
	v_lshl_add_u32 v11, v11, 10, v27
	v_and_b32_e32 v28, 7, v32
	v_and_or_b32 v1, v1, s30, v11
	v_cndmask_b32_e32 v12, v12, v28, vcc
	v_lshlrev_b32_e32 v1, 16, v1
	v_lshl_or_b32 v30, v12, 23, v1
.LBB258_387:                            ;   in Loop: Header=BB258_376 Depth=1
	s_or_b64 exec, exec, s[18:19]
.LBB258_388:                            ;   in Loop: Header=BB258_376 Depth=1
	s_or_b64 exec, exec, s[16:17]
.LBB258_389:                            ;   in Loop: Header=BB258_376 Depth=1
	s_or_b64 exec, exec, s[0:1]
	v_lshrrev_b32_e32 v1, 16, v9
	v_cmp_ne_u16_sdwa s[16:17], v1, v2 src0_sel:BYTE_0 src1_sel:DWORD
	v_mov_b32_e32 v11, 0
	v_mov_b32_e32 v32, 0
	s_and_saveexec_b64 s[0:1], s[16:17]
	s_cbranch_execz .LBB258_395
; %bb.390:                              ;   in Loop: Header=BB258_376 Depth=1
	v_cmp_ne_u16_sdwa s[18:19], v1, s28 src0_sel:BYTE_0 src1_sel:DWORD
	v_mov_b32_e32 v32, 0x8000
	s_and_saveexec_b64 s[16:17], s[18:19]
	s_cbranch_execz .LBB258_394
; %bb.391:                              ;   in Loop: Header=BB258_376 Depth=1
	v_bfe_u32 v12, v9, 16, 7
	v_cmp_ne_u32_e32 vcc, s29, v12
	v_mov_b32_e32 v32, 0x7c01
	s_and_saveexec_b64 s[18:19], vcc
	s_cbranch_execz .LBB258_393
; %bb.392:                              ;   in Loop: Header=BB258_376 Depth=1
	v_and_b32_e32 v28, 7, v1
	v_ffbh_u32_e32 v32, v28
	v_min_u32_e32 v35, 32, v32
	v_subrev_u32_e32 v32, 28, v35
	v_lshlrev_b64 v[32:33], v32, v[1:2]
	v_lshrrev_b32_e32 v34, 3, v12
	v_sub_u32_e32 v33, 29, v35
	v_cmp_gt_u32_e32 vcc, 8, v12
	v_cndmask_b32_e32 v12, v34, v33, vcc
	v_lshl_add_u32 v12, v12, 10, v27
	v_lshlrev_b32_e32 v1, 8, v1
	v_and_b32_e32 v32, 7, v32
	v_and_b32_e32 v12, 0xfc00, v12
	v_cndmask_b32_e32 v28, v28, v32, vcc
	v_and_or_b32 v1, v1, s30, v12
	v_lshl_or_b32 v32, v28, 7, v1
.LBB258_393:                            ;   in Loop: Header=BB258_376 Depth=1
	s_or_b64 exec, exec, s[18:19]
.LBB258_394:                            ;   in Loop: Header=BB258_376 Depth=1
	s_or_b64 exec, exec, s[16:17]
.LBB258_395:                            ;   in Loop: Header=BB258_376 Depth=1
	s_or_b64 exec, exec, s[0:1]
	v_cmp_lt_u32_e32 vcc, s5, v9
	s_and_saveexec_b64 s[0:1], vcc
	s_cbranch_execz .LBB258_401
; %bb.396:                              ;   in Loop: Header=BB258_376 Depth=1
	v_lshrrev_b32_e32 v1, 24, v9
	v_cmp_ne_u32_e32 vcc, s28, v1
	v_bfrev_b32_e32 v11, 1
	s_and_saveexec_b64 s[16:17], vcc
	s_cbranch_execz .LBB258_400
; %bb.397:                              ;   in Loop: Header=BB258_376 Depth=1
	v_and_b32_e32 v12, 0x7f, v1
	v_cmp_ne_u32_e32 vcc, s29, v12
	v_mov_b32_e32 v11, 0x7c010000
	s_and_saveexec_b64 s[18:19], vcc
	s_cbranch_execz .LBB258_399
; %bb.398:                              ;   in Loop: Header=BB258_376 Depth=1
	v_and_b32_e32 v11, 7, v1
	v_ffbh_u32_e32 v33, v11
	v_min_u32_e32 v35, 32, v33
	v_subrev_u32_e32 v33, 28, v35
	v_lshlrev_b64 v[33:34], v33, v[1:2]
	v_lshrrev_b32_e32 v28, 3, v12
	v_sub_u32_e32 v34, 29, v35
	v_cmp_gt_u32_e32 vcc, 8, v12
	v_cndmask_b32_e32 v12, v28, v34, vcc
	v_lshlrev_b32_e32 v1, 8, v1
	v_lshl_add_u32 v12, v12, 10, v27
	v_and_b32_e32 v28, 7, v33
	v_and_or_b32 v1, v1, s30, v12
	v_cndmask_b32_e32 v11, v11, v28, vcc
	v_lshlrev_b32_e32 v1, 16, v1
	v_lshl_or_b32 v11, v11, 23, v1
.LBB258_399:                            ;   in Loop: Header=BB258_376 Depth=1
	s_or_b64 exec, exec, s[18:19]
.LBB258_400:                            ;   in Loop: Header=BB258_376 Depth=1
	s_or_b64 exec, exec, s[16:17]
.LBB258_401:                            ;   in Loop: Header=BB258_376 Depth=1
	s_or_b64 exec, exec, s[0:1]
	v_mov_b32_e32 v1, v10
	v_cmp_ne_u16_sdwa s[16:17], v10, v2 src0_sel:BYTE_0 src1_sel:DWORD
	v_mov_b32_e32 v33, 0
	v_mov_b32_e32 v34, 0
	s_and_saveexec_b64 s[0:1], s[16:17]
	s_cbranch_execz .LBB258_407
; %bb.402:                              ;   in Loop: Header=BB258_376 Depth=1
	v_cmp_ne_u16_sdwa s[18:19], v10, s28 src0_sel:BYTE_0 src1_sel:DWORD
	v_mov_b32_e32 v34, 0x8000
	s_and_saveexec_b64 s[16:17], s[18:19]
	s_cbranch_execz .LBB258_406
; %bb.403:                              ;   in Loop: Header=BB258_376 Depth=1
	v_and_b32_e32 v12, 0x7f, v10
	v_cmp_ne_u32_e32 vcc, s29, v12
	v_mov_b32_e32 v34, 0x7c01
	s_and_saveexec_b64 s[18:19], vcc
	s_cbranch_execz .LBB258_405
; %bb.404:                              ;   in Loop: Header=BB258_376 Depth=1
	v_and_b32_e32 v28, 7, v10
	v_ffbh_u32_e32 v34, v28
	v_min_u32_e32 v44, 32, v34
	v_subrev_u32_e32 v34, 28, v44
	v_lshlrev_b64 v[34:35], v34, v[1:2]
	v_lshrrev_b32_e32 v39, 3, v12
	v_sub_u32_e32 v35, 29, v44
	v_cmp_gt_u32_e32 vcc, 8, v12
	v_cndmask_b32_e32 v12, v39, v35, vcc
	v_lshl_add_u32 v12, v12, 10, v27
	v_lshlrev_b32_e32 v35, 8, v10
	v_and_b32_e32 v34, 7, v34
	v_and_b32_e32 v12, 0xfc00, v12
	v_cndmask_b32_e32 v28, v28, v34, vcc
	v_and_or_b32 v12, v35, s30, v12
	v_lshl_or_b32 v34, v28, 7, v12
.LBB258_405:                            ;   in Loop: Header=BB258_376 Depth=1
	s_or_b64 exec, exec, s[18:19]
.LBB258_406:                            ;   in Loop: Header=BB258_376 Depth=1
	s_or_b64 exec, exec, s[16:17]
.LBB258_407:                            ;   in Loop: Header=BB258_376 Depth=1
	s_or_b64 exec, exec, s[0:1]
	v_lshrrev_b16_e32 v1, 8, v1
	v_cmp_ne_u16_e32 vcc, 0, v1
	v_mov_b32_e32 v35, 0
	s_and_saveexec_b64 s[0:1], vcc
	s_cbranch_execz .LBB258_413
; %bb.408:                              ;   in Loop: Header=BB258_376 Depth=1
	v_cmp_ne_u16_e32 vcc, s28, v1
	v_bfrev_b32_e32 v35, 1
	s_and_saveexec_b64 s[16:17], vcc
	s_cbranch_execz .LBB258_412
; %bb.409:                              ;   in Loop: Header=BB258_376 Depth=1
	v_and_b32_e32 v12, 0x7f, v1
	v_cmp_ne_u32_e32 vcc, s29, v12
	v_mov_b32_e32 v35, 0x7c010000
	s_and_saveexec_b64 s[18:19], vcc
	s_cbranch_execz .LBB258_411
; %bb.410:                              ;   in Loop: Header=BB258_376 Depth=1
	v_and_b32_e32 v28, 7, v1
	v_ffbh_u32_e32 v39, v28
	v_min_u32_e32 v39, 32, v39
	v_lshrrev_b32_e32 v35, 3, v12
	v_subrev_u32_e32 v44, 28, v39
	v_sub_u32_e32 v39, 29, v39
	v_cmp_gt_u32_e32 vcc, 8, v12
	v_lshlrev_b64 v[44:45], v44, v[1:2]
	v_cndmask_b32_e32 v12, v35, v39, vcc
	v_lshlrev_b32_e32 v1, 8, v1
	v_lshl_add_u32 v12, v12, 10, v27
	v_and_b32_e32 v35, 7, v44
	v_and_or_b32 v1, v1, s30, v12
	v_cndmask_b32_e32 v28, v28, v35, vcc
	v_lshlrev_b32_e32 v1, 16, v1
	v_lshl_or_b32 v35, v28, 23, v1
.LBB258_411:                            ;   in Loop: Header=BB258_376 Depth=1
	s_or_b64 exec, exec, s[18:19]
.LBB258_412:                            ;   in Loop: Header=BB258_376 Depth=1
	s_or_b64 exec, exec, s[16:17]
.LBB258_413:                            ;   in Loop: Header=BB258_376 Depth=1
	s_or_b64 exec, exec, s[0:1]
	v_lshrrev_b32_e32 v1, 16, v10
	v_cmp_ne_u16_sdwa s[16:17], v1, v2 src0_sel:BYTE_0 src1_sel:DWORD
	s_and_saveexec_b64 s[0:1], s[16:17]
	s_cbranch_execz .LBB258_419
; %bb.414:                              ;   in Loop: Header=BB258_376 Depth=1
	v_cmp_ne_u16_sdwa s[18:19], v1, s28 src0_sel:BYTE_0 src1_sel:DWORD
	v_mov_b32_e32 v33, 0x8000
	s_and_saveexec_b64 s[16:17], s[18:19]
	s_cbranch_execz .LBB258_418
; %bb.415:                              ;   in Loop: Header=BB258_376 Depth=1
	v_bfe_u32 v12, v10, 16, 7
	v_cmp_ne_u32_e32 vcc, s29, v12
	v_mov_b32_e32 v33, 0x7c01
	s_and_saveexec_b64 s[18:19], vcc
	s_cbranch_execz .LBB258_417
; %bb.416:                              ;   in Loop: Header=BB258_376 Depth=1
	v_and_b32_e32 v28, 7, v1
	v_ffbh_u32_e32 v39, v28
	v_min_u32_e32 v39, 32, v39
	v_lshrrev_b32_e32 v33, 3, v12
	v_subrev_u32_e32 v44, 28, v39
	v_sub_u32_e32 v39, 29, v39
	v_cmp_gt_u32_e32 vcc, 8, v12
	v_lshlrev_b64 v[44:45], v44, v[1:2]
	v_cndmask_b32_e32 v12, v33, v39, vcc
	v_lshl_add_u32 v12, v12, 10, v27
	v_lshlrev_b32_e32 v1, 8, v1
	v_and_b32_e32 v33, 7, v44
	v_and_b32_e32 v12, 0xfc00, v12
	v_cndmask_b32_e32 v28, v28, v33, vcc
	v_and_or_b32 v1, v1, s30, v12
	v_lshl_or_b32 v33, v28, 7, v1
.LBB258_417:                            ;   in Loop: Header=BB258_376 Depth=1
	s_or_b64 exec, exec, s[18:19]
.LBB258_418:                            ;   in Loop: Header=BB258_376 Depth=1
	s_or_b64 exec, exec, s[16:17]
.LBB258_419:                            ;   in Loop: Header=BB258_376 Depth=1
	s_or_b64 exec, exec, s[0:1]
	v_cmp_lt_u64_e32 vcc, s[4:5], v[9:10]
	v_mov_b32_e32 v12, 0
	s_and_saveexec_b64 s[0:1], vcc
	s_cbranch_execz .LBB258_425
; %bb.420:                              ;   in Loop: Header=BB258_376 Depth=1
	v_lshrrev_b32_e32 v1, 24, v10
	v_cmp_ne_u32_e32 vcc, s28, v1
	v_bfrev_b32_e32 v12, 1
	s_and_saveexec_b64 s[16:17], vcc
	s_cbranch_execz .LBB258_424
; %bb.421:                              ;   in Loop: Header=BB258_376 Depth=1
	v_and_b32_e32 v9, 0x7f, v1
	v_cmp_ne_u32_e32 vcc, s29, v9
	v_mov_b32_e32 v12, 0x7c010000
	s_and_saveexec_b64 s[18:19], vcc
	s_cbranch_execz .LBB258_423
; %bb.422:                              ;   in Loop: Header=BB258_376 Depth=1
	v_and_b32_e32 v10, 7, v1
	v_ffbh_u32_e32 v28, v10
	v_min_u32_e32 v28, 32, v28
	v_lshrrev_b32_e32 v12, 3, v9
	v_subrev_u32_e32 v39, 28, v28
	v_sub_u32_e32 v28, 29, v28
	v_cmp_gt_u32_e32 vcc, 8, v9
	v_lshlrev_b64 v[44:45], v39, v[1:2]
	v_cndmask_b32_e32 v9, v12, v28, vcc
	v_lshlrev_b32_e32 v1, 8, v1
	v_lshl_add_u32 v9, v9, 10, v27
	v_and_b32_e32 v12, 7, v44
	v_and_or_b32 v1, v1, s30, v9
	v_cndmask_b32_e32 v10, v10, v12, vcc
	v_lshlrev_b32_e32 v1, 16, v1
	v_lshl_or_b32 v12, v10, 23, v1
.LBB258_423:                            ;   in Loop: Header=BB258_376 Depth=1
	s_or_b64 exec, exec, s[18:19]
.LBB258_424:                            ;   in Loop: Header=BB258_376 Depth=1
	s_or_b64 exec, exec, s[16:17]
.LBB258_425:                            ;   in Loop: Header=BB258_376 Depth=1
	s_or_b64 exec, exec, s[0:1]
	buffer_load_dword v1, off, s[56:59], 0  ; 4-byte Folded Reload
	v_fma_mixlo_f16 v9, v29, v11, 0 op_sel:[0,1,0] op_sel_hi:[0,1,0]
	v_fma_mixlo_f16 v10, v29, v30, 0 op_sel:[0,1,0] op_sel_hi:[0,1,0]
	v_lshlrev_b32_e32 v46, 16, v10
	v_or_b32_e32 v10, v35, v34
	v_fma_mixlo_f16 v10, v29, v10, 0 op_sel_hi:[0,1,0]
	v_add_u32_e32 v28, v23, v60
	v_and_b32_e32 v47, 0xffff, v10
	v_add_u32_e32 v34, 2, v28
	s_waitcnt vmcnt(0)
	v_cmp_eq_u32_e32 vcc, s35, v1
	v_or_b32_e32 v1, v11, v32
	v_lshlrev_b32_e32 v11, 16, v9
	v_or_b32_e32 v9, v30, v31
	v_fma_mixlo_f16 v30, v29, v35, 0 op_sel:[0,1,0] op_sel_hi:[0,1,0]
	v_lshlrev_b32_e32 v44, 16, v30
	v_or_b32_e32 v30, v12, v33
	v_fma_mixlo_f16 v1, v29, v1, 0 op_sel_hi:[0,1,0]
	v_fma_mixlo_f16 v9, v29, v9, 0 op_sel_hi:[0,1,0]
	;; [unrolled: 1-line block ×3, first 2 shown]
	v_fma_mixlo_f16 v12, v29, v12, 0 op_sel:[0,1,0] op_sel_hi:[0,1,0]
	v_and_b32_e32 v39, 0xffff, v1
	v_and_b32_e32 v49, 0xffff, v9
	v_lshlrev_b32_e32 v45, 16, v12
	v_and_b32_e32 v48, 0xffff, v30
	v_or_b32_e32 v1, v11, v39
	v_or_b32_e32 v9, v46, v49
	;; [unrolled: 1-line block ×4, first 2 shown]
	v_add_u32_e32 v35, 1, v28
	v_add_u32_e32 v33, 3, v28
	;; [unrolled: 1-line block ×6, first 2 shown]
	s_and_saveexec_b64 s[16:17], vcc
	s_cbranch_execz .LBB258_427
; %bb.426:                              ;   in Loop: Header=BB258_376 Depth=1
	v_cmp_gt_i32_e64 s[0:1], s33, v28
	v_cndmask_b32_e64 v1, 0, v49, s[0:1]
	v_cmp_gt_i32_e64 s[0:1], s33, v35
	v_cndmask_b32_e64 v9, 0, v46, s[0:1]
	v_cmp_gt_i32_e64 s[0:1], s33, v34
	v_or_b32_e32 v9, v9, v1
	v_cndmask_b32_e64 v1, 0, v39, s[0:1]
	v_cmp_gt_i32_e64 s[0:1], s33, v33
	v_cndmask_b32_e64 v10, 0, v11, s[0:1]
	v_cmp_gt_i32_e64 s[0:1], s33, v32
	v_or_b32_e32 v1, v10, v1
	v_cndmask_b32_e64 v10, 0, v47, s[0:1]
	v_cmp_gt_i32_e64 s[0:1], s33, v31
	v_cndmask_b32_e64 v11, 0, v44, s[0:1]
	v_cmp_gt_i32_e64 s[0:1], s33, v30
	v_or_b32_e32 v10, v11, v10
	v_cndmask_b32_e64 v11, 0, v48, s[0:1]
	v_cmp_gt_i32_e64 s[0:1], s33, v29
	v_cndmask_b32_e64 v12, 0, v45, s[0:1]
	v_or_b32_e32 v12, v12, v11
.LBB258_427:                            ;   in Loop: Header=BB258_376 Depth=1
	s_or_b64 exec, exec, s[16:17]
	v_and_b32_e32 v0, 0xffff, v0
	v_lshl_or_b32 v39, v36, 16, v0
	v_and_b32_e32 v0, 0xffff, v37
	v_lshl_or_b32 v38, v38, 16, v0
	;; [unrolled: 2-line block ×4, first 2 shown]
	;;#ASMSTART
	v_pk_mul_f16 v0, v39, v9;

	;;#ASMEND
	;;#ASMSTART
	v_pk_mul_f16 v1, v38, v1;

	;;#ASMEND
	;; [unrolled: 4-line block ×4, first 2 shown]
	;;#ASMSTART
	v_pk_add_f16 v0, v0, v1;

	;;#ASMEND
	;;#ASMSTART
	v_pk_add_f16 v0, v0, v9;

	;;#ASMEND
	;; [unrolled: 4-line block ×3, first 2 shown]
	v_lshrrev_b32_e32 v1, 16, v0
	v_and_b32_e32 v0, 0xffff, v0
	;;#ASMSTART
	v_cvt_f32_f16 v40, v0;
	;;#ASMEND
	;;#ASMSTART
	v_cvt_f32_f16 v41, v1;
	;;#ASMEND
	global_load_dwordx2 v[9:10], v[7:8], off offset:512
	v_mov_b32_e32 v42, 0
	global_load_dword v0, v42, s[14:15]
	v_mov_b32_e32 v43, 0
	s_waitcnt vmcnt(1)
	v_cmp_ne_u16_sdwa s[0:1], v9, v2 src0_sel:BYTE_0 src1_sel:DWORD
	s_and_saveexec_b64 s[16:17], s[0:1]
	s_cbranch_execz .LBB258_433
; %bb.428:                              ;   in Loop: Header=BB258_376 Depth=1
	v_cmp_ne_u16_sdwa s[0:1], v9, s28 src0_sel:BYTE_0 src1_sel:DWORD
	v_mov_b32_e32 v43, 0x8000
	s_and_saveexec_b64 s[18:19], s[0:1]
	s_cbranch_execz .LBB258_432
; %bb.429:                              ;   in Loop: Header=BB258_376 Depth=1
	v_and_b32_e32 v1, 0x7f, v9
	v_cmp_ne_u32_e64 s[0:1], s29, v1
	v_mov_b32_e32 v43, 0x7c01
	s_and_saveexec_b64 s[20:21], s[0:1]
	s_cbranch_execz .LBB258_431
; %bb.430:                              ;   in Loop: Header=BB258_376 Depth=1
	v_and_b32_e32 v43, 7, v9
	v_ffbh_u32_e32 v11, v43
	v_min_u32_e32 v45, 32, v11
	v_subrev_u32_e32 v11, 28, v45
	v_lshlrev_b64 v[11:12], v11, v[9:10]
	v_lshrrev_b32_e32 v44, 3, v1
	v_sub_u32_e32 v12, 29, v45
	v_cmp_gt_u32_e64 s[0:1], 8, v1
	v_cndmask_b32_e64 v1, v44, v12, s[0:1]
	v_lshl_add_u32 v1, v1, 10, v27
	v_lshlrev_b32_e32 v12, 8, v9
	v_and_b32_e32 v11, 7, v11
	v_and_b32_e32 v1, 0xfc00, v1
	v_cndmask_b32_e64 v11, v43, v11, s[0:1]
	v_and_or_b32 v1, v12, s30, v1
	v_lshl_or_b32 v43, v11, 7, v1
.LBB258_431:                            ;   in Loop: Header=BB258_376 Depth=1
	s_or_b64 exec, exec, s[20:21]
.LBB258_432:                            ;   in Loop: Header=BB258_376 Depth=1
	s_or_b64 exec, exec, s[18:19]
.LBB258_433:                            ;   in Loop: Header=BB258_376 Depth=1
	s_or_b64 exec, exec, s[16:17]
	v_lshrrev_b16_e32 v1, 8, v9
	v_cmp_ne_u16_e64 s[0:1], 0, v1
	s_and_saveexec_b64 s[16:17], s[0:1]
	s_cbranch_execz .LBB258_439
; %bb.434:                              ;   in Loop: Header=BB258_376 Depth=1
	v_cmp_ne_u16_e64 s[0:1], s28, v1
	v_bfrev_b32_e32 v42, 1
	s_and_saveexec_b64 s[18:19], s[0:1]
	s_cbranch_execz .LBB258_438
; %bb.435:                              ;   in Loop: Header=BB258_376 Depth=1
	v_and_b32_e32 v11, 0x7f, v1
	v_cmp_ne_u32_e64 s[0:1], s29, v11
	v_mov_b32_e32 v42, 0x7c010000
	s_and_saveexec_b64 s[20:21], s[0:1]
	s_cbranch_execz .LBB258_437
; %bb.436:                              ;   in Loop: Header=BB258_376 Depth=1
	v_and_b32_e32 v12, 7, v1
	v_ffbh_u32_e32 v44, v12
	v_min_u32_e32 v46, 32, v44
	v_subrev_u32_e32 v44, 28, v46
	v_lshlrev_b64 v[44:45], v44, v[1:2]
	v_lshrrev_b32_e32 v42, 3, v11
	v_sub_u32_e32 v45, 29, v46
	v_cmp_gt_u32_e64 s[0:1], 8, v11
	v_cndmask_b32_e64 v11, v42, v45, s[0:1]
	v_lshlrev_b32_e32 v1, 8, v1
	v_lshl_add_u32 v11, v11, 10, v27
	v_and_b32_e32 v42, 7, v44
	v_and_or_b32 v1, v1, s30, v11
	v_cndmask_b32_e64 v12, v12, v42, s[0:1]
	v_lshlrev_b32_e32 v1, 16, v1
	v_lshl_or_b32 v42, v12, 23, v1
.LBB258_437:                            ;   in Loop: Header=BB258_376 Depth=1
	s_or_b64 exec, exec, s[20:21]
.LBB258_438:                            ;   in Loop: Header=BB258_376 Depth=1
	s_or_b64 exec, exec, s[18:19]
.LBB258_439:                            ;   in Loop: Header=BB258_376 Depth=1
	s_or_b64 exec, exec, s[16:17]
	v_lshrrev_b32_e32 v1, 16, v9
	v_cmp_ne_u16_sdwa s[0:1], v1, v2 src0_sel:BYTE_0 src1_sel:DWORD
	v_mov_b32_e32 v11, 0
	v_mov_b32_e32 v44, 0
	s_and_saveexec_b64 s[16:17], s[0:1]
	s_cbranch_execz .LBB258_445
; %bb.440:                              ;   in Loop: Header=BB258_376 Depth=1
	v_cmp_ne_u16_sdwa s[0:1], v1, s28 src0_sel:BYTE_0 src1_sel:DWORD
	v_mov_b32_e32 v44, 0x8000
	s_and_saveexec_b64 s[18:19], s[0:1]
	s_cbranch_execz .LBB258_444
; %bb.441:                              ;   in Loop: Header=BB258_376 Depth=1
	v_bfe_u32 v12, v9, 16, 7
	v_cmp_ne_u32_e64 s[0:1], s29, v12
	v_mov_b32_e32 v44, 0x7c01
	s_and_saveexec_b64 s[20:21], s[0:1]
	s_cbranch_execz .LBB258_443
; %bb.442:                              ;   in Loop: Header=BB258_376 Depth=1
	v_and_b32_e32 v46, 7, v1
	v_ffbh_u32_e32 v44, v46
	v_min_u32_e32 v48, 32, v44
	v_subrev_u32_e32 v44, 28, v48
	v_lshlrev_b64 v[44:45], v44, v[1:2]
	v_lshrrev_b32_e32 v47, 3, v12
	v_sub_u32_e32 v45, 29, v48
	v_cmp_gt_u32_e64 s[0:1], 8, v12
	v_cndmask_b32_e64 v12, v47, v45, s[0:1]
	v_lshl_add_u32 v12, v12, 10, v27
	v_lshlrev_b32_e32 v1, 8, v1
	v_and_b32_e32 v44, 7, v44
	v_and_b32_e32 v12, 0xfc00, v12
	v_cndmask_b32_e64 v44, v46, v44, s[0:1]
	v_and_or_b32 v1, v1, s30, v12
	v_lshl_or_b32 v44, v44, 7, v1
.LBB258_443:                            ;   in Loop: Header=BB258_376 Depth=1
	s_or_b64 exec, exec, s[20:21]
.LBB258_444:                            ;   in Loop: Header=BB258_376 Depth=1
	s_or_b64 exec, exec, s[18:19]
.LBB258_445:                            ;   in Loop: Header=BB258_376 Depth=1
	s_or_b64 exec, exec, s[16:17]
	v_cmp_lt_u32_e64 s[0:1], s5, v9
	s_and_saveexec_b64 s[16:17], s[0:1]
	s_cbranch_execz .LBB258_451
; %bb.446:                              ;   in Loop: Header=BB258_376 Depth=1
	v_lshrrev_b32_e32 v1, 24, v9
	v_cmp_ne_u32_e64 s[0:1], s28, v1
	v_bfrev_b32_e32 v11, 1
	s_and_saveexec_b64 s[18:19], s[0:1]
	s_cbranch_execz .LBB258_450
; %bb.447:                              ;   in Loop: Header=BB258_376 Depth=1
	v_and_b32_e32 v12, 0x7f, v1
	v_cmp_ne_u32_e64 s[0:1], s29, v12
	v_mov_b32_e32 v11, 0x7c010000
	s_and_saveexec_b64 s[20:21], s[0:1]
	s_cbranch_execz .LBB258_449
; %bb.448:                              ;   in Loop: Header=BB258_376 Depth=1
	v_and_b32_e32 v11, 7, v1
	v_ffbh_u32_e32 v45, v11
	v_min_u32_e32 v48, 32, v45
	v_subrev_u32_e32 v45, 28, v48
	v_lshlrev_b64 v[45:46], v45, v[1:2]
	v_lshrrev_b32_e32 v47, 3, v12
	v_sub_u32_e32 v46, 29, v48
	v_cmp_gt_u32_e64 s[0:1], 8, v12
	v_cndmask_b32_e64 v12, v47, v46, s[0:1]
	v_lshlrev_b32_e32 v1, 8, v1
	v_lshl_add_u32 v12, v12, 10, v27
	v_and_b32_e32 v45, 7, v45
	v_and_or_b32 v1, v1, s30, v12
	v_cndmask_b32_e64 v11, v11, v45, s[0:1]
	v_lshlrev_b32_e32 v1, 16, v1
	v_lshl_or_b32 v11, v11, 23, v1
.LBB258_449:                            ;   in Loop: Header=BB258_376 Depth=1
	s_or_b64 exec, exec, s[20:21]
.LBB258_450:                            ;   in Loop: Header=BB258_376 Depth=1
	s_or_b64 exec, exec, s[18:19]
.LBB258_451:                            ;   in Loop: Header=BB258_376 Depth=1
	s_or_b64 exec, exec, s[16:17]
	v_mov_b32_e32 v1, v10
	v_cmp_ne_u16_sdwa s[0:1], v10, v2 src0_sel:BYTE_0 src1_sel:DWORD
	v_mov_b32_e32 v45, 0
	v_mov_b32_e32 v46, 0
	s_and_saveexec_b64 s[16:17], s[0:1]
	s_cbranch_execz .LBB258_457
; %bb.452:                              ;   in Loop: Header=BB258_376 Depth=1
	v_cmp_ne_u16_sdwa s[0:1], v10, s28 src0_sel:BYTE_0 src1_sel:DWORD
	v_mov_b32_e32 v46, 0x8000
	s_and_saveexec_b64 s[18:19], s[0:1]
	s_cbranch_execz .LBB258_456
; %bb.453:                              ;   in Loop: Header=BB258_376 Depth=1
	v_and_b32_e32 v12, 0x7f, v10
	v_cmp_ne_u32_e64 s[0:1], s29, v12
	v_mov_b32_e32 v46, 0x7c01
	s_and_saveexec_b64 s[20:21], s[0:1]
	s_cbranch_execz .LBB258_455
; %bb.454:                              ;   in Loop: Header=BB258_376 Depth=1
	v_and_b32_e32 v48, 7, v10
	v_ffbh_u32_e32 v46, v48
	v_min_u32_e32 v50, 32, v46
	v_subrev_u32_e32 v46, 28, v50
	v_lshlrev_b64 v[46:47], v46, v[1:2]
	v_lshrrev_b32_e32 v49, 3, v12
	v_sub_u32_e32 v47, 29, v50
	v_cmp_gt_u32_e64 s[0:1], 8, v12
	v_cndmask_b32_e64 v12, v49, v47, s[0:1]
	v_lshl_add_u32 v12, v12, 10, v27
	v_lshlrev_b32_e32 v47, 8, v10
	v_and_b32_e32 v46, 7, v46
	v_and_b32_e32 v12, 0xfc00, v12
	v_cndmask_b32_e64 v46, v48, v46, s[0:1]
	v_and_or_b32 v12, v47, s30, v12
	v_lshl_or_b32 v46, v46, 7, v12
.LBB258_455:                            ;   in Loop: Header=BB258_376 Depth=1
	s_or_b64 exec, exec, s[20:21]
.LBB258_456:                            ;   in Loop: Header=BB258_376 Depth=1
	s_or_b64 exec, exec, s[18:19]
.LBB258_457:                            ;   in Loop: Header=BB258_376 Depth=1
	s_or_b64 exec, exec, s[16:17]
	v_lshrrev_b16_e32 v1, 8, v1
	v_cmp_ne_u16_e64 s[0:1], 0, v1
	v_mov_b32_e32 v47, 0
	s_and_saveexec_b64 s[16:17], s[0:1]
	s_cbranch_execz .LBB258_463
; %bb.458:                              ;   in Loop: Header=BB258_376 Depth=1
	v_cmp_ne_u16_e64 s[0:1], s28, v1
	v_bfrev_b32_e32 v47, 1
	s_and_saveexec_b64 s[18:19], s[0:1]
	s_cbranch_execz .LBB258_462
; %bb.459:                              ;   in Loop: Header=BB258_376 Depth=1
	v_and_b32_e32 v12, 0x7f, v1
	v_cmp_ne_u32_e64 s[0:1], s29, v12
	v_mov_b32_e32 v47, 0x7c010000
	s_and_saveexec_b64 s[20:21], s[0:1]
	s_cbranch_execz .LBB258_461
; %bb.460:                              ;   in Loop: Header=BB258_376 Depth=1
	v_and_b32_e32 v49, 7, v1
	v_ffbh_u32_e32 v47, v49
	v_min_u32_e32 v51, 32, v47
	v_subrev_u32_e32 v47, 28, v51
	v_lshlrev_b64 v[47:48], v47, v[1:2]
	v_lshrrev_b32_e32 v50, 3, v12
	v_sub_u32_e32 v48, 29, v51
	v_cmp_gt_u32_e64 s[0:1], 8, v12
	v_cndmask_b32_e64 v12, v50, v48, s[0:1]
	v_lshlrev_b32_e32 v1, 8, v1
	v_lshl_add_u32 v12, v12, 10, v27
	v_and_b32_e32 v47, 7, v47
	v_and_or_b32 v1, v1, s30, v12
	v_cndmask_b32_e64 v47, v49, v47, s[0:1]
	v_lshlrev_b32_e32 v1, 16, v1
	v_lshl_or_b32 v47, v47, 23, v1
.LBB258_461:                            ;   in Loop: Header=BB258_376 Depth=1
	s_or_b64 exec, exec, s[20:21]
.LBB258_462:                            ;   in Loop: Header=BB258_376 Depth=1
	s_or_b64 exec, exec, s[18:19]
.LBB258_463:                            ;   in Loop: Header=BB258_376 Depth=1
	s_or_b64 exec, exec, s[16:17]
	v_lshrrev_b32_e32 v1, 16, v10
	v_cmp_ne_u16_sdwa s[0:1], v1, v2 src0_sel:BYTE_0 src1_sel:DWORD
	s_and_saveexec_b64 s[16:17], s[0:1]
	s_cbranch_execz .LBB258_469
; %bb.464:                              ;   in Loop: Header=BB258_376 Depth=1
	v_cmp_ne_u16_sdwa s[0:1], v1, s28 src0_sel:BYTE_0 src1_sel:DWORD
	v_mov_b32_e32 v45, 0x8000
	s_and_saveexec_b64 s[18:19], s[0:1]
	s_cbranch_execz .LBB258_468
; %bb.465:                              ;   in Loop: Header=BB258_376 Depth=1
	v_bfe_u32 v12, v10, 16, 7
	v_cmp_ne_u32_e64 s[0:1], s29, v12
	v_mov_b32_e32 v45, 0x7c01
	s_and_saveexec_b64 s[20:21], s[0:1]
	s_cbranch_execz .LBB258_467
; %bb.466:                              ;   in Loop: Header=BB258_376 Depth=1
	v_and_b32_e32 v45, 7, v1
	v_ffbh_u32_e32 v48, v45
	v_min_u32_e32 v51, 32, v48
	v_subrev_u32_e32 v48, 28, v51
	v_lshlrev_b64 v[48:49], v48, v[1:2]
	v_lshrrev_b32_e32 v50, 3, v12
	v_sub_u32_e32 v49, 29, v51
	v_cmp_gt_u32_e64 s[0:1], 8, v12
	v_cndmask_b32_e64 v12, v50, v49, s[0:1]
	v_lshl_add_u32 v12, v12, 10, v27
	v_lshlrev_b32_e32 v1, 8, v1
	v_and_b32_e32 v48, 7, v48
	v_and_b32_e32 v12, 0xfc00, v12
	v_cndmask_b32_e64 v45, v45, v48, s[0:1]
	v_and_or_b32 v1, v1, s30, v12
	v_lshl_or_b32 v45, v45, 7, v1
.LBB258_467:                            ;   in Loop: Header=BB258_376 Depth=1
	s_or_b64 exec, exec, s[20:21]
.LBB258_468:                            ;   in Loop: Header=BB258_376 Depth=1
	s_or_b64 exec, exec, s[18:19]
.LBB258_469:                            ;   in Loop: Header=BB258_376 Depth=1
	s_or_b64 exec, exec, s[16:17]
	v_cmp_lt_u64_e64 s[0:1], s[4:5], v[9:10]
	v_mov_b32_e32 v9, 0
	s_and_saveexec_b64 s[16:17], s[0:1]
	s_cbranch_execz .LBB258_475
; %bb.470:                              ;   in Loop: Header=BB258_376 Depth=1
	v_lshrrev_b32_e32 v1, 24, v10
	v_cmp_ne_u32_e64 s[0:1], s28, v1
	v_bfrev_b32_e32 v9, 1
	s_and_saveexec_b64 s[18:19], s[0:1]
	s_cbranch_execz .LBB258_474
; %bb.471:                              ;   in Loop: Header=BB258_376 Depth=1
	v_and_b32_e32 v10, 0x7f, v1
	v_cmp_ne_u32_e64 s[0:1], s29, v10
	v_mov_b32_e32 v9, 0x7c010000
	s_and_saveexec_b64 s[20:21], s[0:1]
	s_cbranch_execz .LBB258_473
; %bb.472:                              ;   in Loop: Header=BB258_376 Depth=1
	v_and_b32_e32 v9, 7, v1
	v_ffbh_u32_e32 v48, v9
	v_min_u32_e32 v50, 32, v48
	v_subrev_u32_e32 v48, 28, v50
	v_lshlrev_b64 v[48:49], v48, v[1:2]
	v_lshrrev_b32_e32 v12, 3, v10
	v_sub_u32_e32 v49, 29, v50
	v_cmp_gt_u32_e64 s[0:1], 8, v10
	v_cndmask_b32_e64 v10, v12, v49, s[0:1]
	v_lshlrev_b32_e32 v1, 8, v1
	v_lshl_add_u32 v10, v10, 10, v27
	v_and_b32_e32 v12, 7, v48
	v_and_or_b32 v1, v1, s30, v10
	v_cndmask_b32_e64 v9, v9, v12, s[0:1]
	v_lshlrev_b32_e32 v1, 16, v1
	v_lshl_or_b32 v9, v9, 23, v1
.LBB258_473:                            ;   in Loop: Header=BB258_376 Depth=1
	s_or_b64 exec, exec, s[20:21]
.LBB258_474:                            ;   in Loop: Header=BB258_376 Depth=1
	s_or_b64 exec, exec, s[18:19]
.LBB258_475:                            ;   in Loop: Header=BB258_376 Depth=1
	s_or_b64 exec, exec, s[16:17]
	s_waitcnt vmcnt(0)
	v_fma_mixlo_f16 v10, v0, v11, 0 op_sel:[0,1,0] op_sel_hi:[0,1,0]
	v_fma_mixlo_f16 v12, v0, v42, 0 op_sel:[0,1,0] op_sel_hi:[0,1,0]
	v_or_b32_e32 v1, v11, v44
	v_lshlrev_b32_e32 v11, 16, v10
	v_or_b32_e32 v10, v42, v43
	v_lshlrev_b32_e32 v43, 16, v12
	v_or_b32_e32 v12, v47, v46
	v_or_b32_e32 v45, v9, v45
	v_fma_mixlo_f16 v1, v0, v1, 0 op_sel_hi:[0,1,0]
	v_fma_mixlo_f16 v10, v0, v10, 0 op_sel_hi:[0,1,0]
	v_fma_mixlo_f16 v42, v0, v47, 0 op_sel:[0,1,0] op_sel_hi:[0,1,0]
	v_fma_mixlo_f16 v12, v0, v12, 0 op_sel_hi:[0,1,0]
	v_fma_mixlo_f16 v45, v0, v45, 0 op_sel_hi:[0,1,0]
	v_fma_mixlo_f16 v0, v0, v9, 0 op_sel:[0,1,0] op_sel_hi:[0,1,0]
	v_and_b32_e32 v44, 0xffff, v1
	v_and_b32_e32 v48, 0xffff, v10
	v_lshlrev_b32_e32 v42, 16, v42
	v_and_b32_e32 v46, 0xffff, v12
	v_lshlrev_b32_e32 v0, 16, v0
	v_and_b32_e32 v9, 0xffff, v45
	v_or_b32_e32 v1, v11, v44
	v_or_b32_e32 v10, v43, v48
	;; [unrolled: 1-line block ×4, first 2 shown]
	s_and_saveexec_b64 s[16:17], vcc
	s_cbranch_execz .LBB258_477
; %bb.476:                              ;   in Loop: Header=BB258_376 Depth=1
	v_cmp_gt_i32_e64 s[0:1], s33, v28
	v_cndmask_b32_e64 v1, 0, v48, s[0:1]
	v_cmp_gt_i32_e64 s[0:1], s33, v35
	v_cndmask_b32_e64 v10, 0, v43, s[0:1]
	v_cmp_gt_i32_e64 s[0:1], s33, v34
	v_or_b32_e32 v10, v10, v1
	v_cndmask_b32_e64 v1, 0, v44, s[0:1]
	v_cmp_gt_i32_e64 s[0:1], s33, v33
	v_cndmask_b32_e64 v11, 0, v11, s[0:1]
	v_cmp_gt_i32_e64 s[0:1], s33, v32
	v_or_b32_e32 v1, v11, v1
	v_cndmask_b32_e64 v11, 0, v46, s[0:1]
	v_cmp_gt_i32_e64 s[0:1], s33, v31
	v_cndmask_b32_e64 v12, 0, v42, s[0:1]
	v_cmp_gt_i32_e64 s[0:1], s33, v30
	;; [unrolled: 2-line block ×3, first 2 shown]
	v_cndmask_b32_e64 v0, 0, v0, s[0:1]
	v_or_b32_e32 v12, v12, v11
	v_or_b32_e32 v45, v0, v9
.LBB258_477:                            ;   in Loop: Header=BB258_376 Depth=1
	s_or_b64 exec, exec, s[16:17]
	;;#ASMSTART
	v_pk_mul_f16 v0, v39, v10;

	;;#ASMEND
	;;#ASMSTART
	v_pk_mul_f16 v1, v38, v1;

	;;#ASMEND
	;; [unrolled: 4-line block ×4, first 2 shown]
	;;#ASMSTART
	v_pk_add_f16 v0, v0, v1;

	;;#ASMEND
	;;#ASMSTART
	v_pk_add_f16 v0, v0, v9;

	;;#ASMEND
	;; [unrolled: 4-line block ×3, first 2 shown]
	v_lshrrev_b32_e32 v1, 16, v0
	v_and_b32_e32 v0, 0xffff, v0
	;;#ASMSTART
	v_cvt_f32_f16 v42, v0;
	;;#ASMEND
	;;#ASMSTART
	v_cvt_f32_f16 v43, v1;
	;;#ASMEND
	global_load_dwordx2 v[9:10], v[7:8], off offset:1024
	v_mov_b32_e32 v44, 0
	global_load_dword v0, v44, s[14:15]
	v_mov_b32_e32 v45, 0
	s_waitcnt vmcnt(1)
	v_cmp_ne_u16_sdwa s[0:1], v9, v2 src0_sel:BYTE_0 src1_sel:DWORD
	s_and_saveexec_b64 s[16:17], s[0:1]
	s_cbranch_execz .LBB258_483
; %bb.478:                              ;   in Loop: Header=BB258_376 Depth=1
	v_cmp_ne_u16_sdwa s[0:1], v9, s28 src0_sel:BYTE_0 src1_sel:DWORD
	v_mov_b32_e32 v45, 0x8000
	s_and_saveexec_b64 s[18:19], s[0:1]
	s_cbranch_execz .LBB258_482
; %bb.479:                              ;   in Loop: Header=BB258_376 Depth=1
	v_and_b32_e32 v1, 0x7f, v9
	v_cmp_ne_u32_e64 s[0:1], s29, v1
	v_mov_b32_e32 v45, 0x7c01
	s_and_saveexec_b64 s[20:21], s[0:1]
	s_cbranch_execz .LBB258_481
; %bb.480:                              ;   in Loop: Header=BB258_376 Depth=1
	v_and_b32_e32 v45, 7, v9
	v_ffbh_u32_e32 v11, v45
	v_min_u32_e32 v47, 32, v11
	v_subrev_u32_e32 v11, 28, v47
	v_lshlrev_b64 v[11:12], v11, v[9:10]
	v_lshrrev_b32_e32 v46, 3, v1
	v_sub_u32_e32 v12, 29, v47
	v_cmp_gt_u32_e64 s[0:1], 8, v1
	v_cndmask_b32_e64 v1, v46, v12, s[0:1]
	v_lshl_add_u32 v1, v1, 10, v27
	v_lshlrev_b32_e32 v12, 8, v9
	v_and_b32_e32 v11, 7, v11
	v_and_b32_e32 v1, 0xfc00, v1
	v_cndmask_b32_e64 v11, v45, v11, s[0:1]
	v_and_or_b32 v1, v12, s30, v1
	v_lshl_or_b32 v45, v11, 7, v1
.LBB258_481:                            ;   in Loop: Header=BB258_376 Depth=1
	s_or_b64 exec, exec, s[20:21]
.LBB258_482:                            ;   in Loop: Header=BB258_376 Depth=1
	s_or_b64 exec, exec, s[18:19]
.LBB258_483:                            ;   in Loop: Header=BB258_376 Depth=1
	s_or_b64 exec, exec, s[16:17]
	v_lshrrev_b16_e32 v1, 8, v9
	v_cmp_ne_u16_e64 s[0:1], 0, v1
	s_and_saveexec_b64 s[16:17], s[0:1]
	s_cbranch_execz .LBB258_489
; %bb.484:                              ;   in Loop: Header=BB258_376 Depth=1
	v_cmp_ne_u16_e64 s[0:1], s28, v1
	v_bfrev_b32_e32 v44, 1
	s_and_saveexec_b64 s[18:19], s[0:1]
	s_cbranch_execz .LBB258_488
; %bb.485:                              ;   in Loop: Header=BB258_376 Depth=1
	v_and_b32_e32 v11, 0x7f, v1
	v_cmp_ne_u32_e64 s[0:1], s29, v11
	v_mov_b32_e32 v44, 0x7c010000
	s_and_saveexec_b64 s[20:21], s[0:1]
	s_cbranch_execz .LBB258_487
; %bb.486:                              ;   in Loop: Header=BB258_376 Depth=1
	v_and_b32_e32 v12, 7, v1
	v_ffbh_u32_e32 v46, v12
	v_min_u32_e32 v48, 32, v46
	v_subrev_u32_e32 v46, 28, v48
	v_lshlrev_b64 v[46:47], v46, v[1:2]
	v_lshrrev_b32_e32 v44, 3, v11
	v_sub_u32_e32 v47, 29, v48
	v_cmp_gt_u32_e64 s[0:1], 8, v11
	v_cndmask_b32_e64 v11, v44, v47, s[0:1]
	v_lshlrev_b32_e32 v1, 8, v1
	v_lshl_add_u32 v11, v11, 10, v27
	v_and_b32_e32 v44, 7, v46
	v_and_or_b32 v1, v1, s30, v11
	v_cndmask_b32_e64 v12, v12, v44, s[0:1]
	v_lshlrev_b32_e32 v1, 16, v1
	v_lshl_or_b32 v44, v12, 23, v1
.LBB258_487:                            ;   in Loop: Header=BB258_376 Depth=1
	s_or_b64 exec, exec, s[20:21]
.LBB258_488:                            ;   in Loop: Header=BB258_376 Depth=1
	s_or_b64 exec, exec, s[18:19]
.LBB258_489:                            ;   in Loop: Header=BB258_376 Depth=1
	s_or_b64 exec, exec, s[16:17]
	v_lshrrev_b32_e32 v1, 16, v9
	v_cmp_ne_u16_sdwa s[0:1], v1, v2 src0_sel:BYTE_0 src1_sel:DWORD
	v_mov_b32_e32 v11, 0
	v_mov_b32_e32 v46, 0
	s_and_saveexec_b64 s[16:17], s[0:1]
	s_cbranch_execz .LBB258_495
; %bb.490:                              ;   in Loop: Header=BB258_376 Depth=1
	v_cmp_ne_u16_sdwa s[0:1], v1, s28 src0_sel:BYTE_0 src1_sel:DWORD
	v_mov_b32_e32 v46, 0x8000
	s_and_saveexec_b64 s[18:19], s[0:1]
	s_cbranch_execz .LBB258_494
; %bb.491:                              ;   in Loop: Header=BB258_376 Depth=1
	v_bfe_u32 v12, v9, 16, 7
	v_cmp_ne_u32_e64 s[0:1], s29, v12
	v_mov_b32_e32 v46, 0x7c01
	s_and_saveexec_b64 s[20:21], s[0:1]
	s_cbranch_execz .LBB258_493
; %bb.492:                              ;   in Loop: Header=BB258_376 Depth=1
	v_and_b32_e32 v48, 7, v1
	v_ffbh_u32_e32 v46, v48
	v_min_u32_e32 v50, 32, v46
	v_subrev_u32_e32 v46, 28, v50
	v_lshlrev_b64 v[46:47], v46, v[1:2]
	v_lshrrev_b32_e32 v49, 3, v12
	v_sub_u32_e32 v47, 29, v50
	v_cmp_gt_u32_e64 s[0:1], 8, v12
	v_cndmask_b32_e64 v12, v49, v47, s[0:1]
	v_lshl_add_u32 v12, v12, 10, v27
	v_lshlrev_b32_e32 v1, 8, v1
	v_and_b32_e32 v46, 7, v46
	v_and_b32_e32 v12, 0xfc00, v12
	v_cndmask_b32_e64 v46, v48, v46, s[0:1]
	v_and_or_b32 v1, v1, s30, v12
	v_lshl_or_b32 v46, v46, 7, v1
.LBB258_493:                            ;   in Loop: Header=BB258_376 Depth=1
	s_or_b64 exec, exec, s[20:21]
.LBB258_494:                            ;   in Loop: Header=BB258_376 Depth=1
	s_or_b64 exec, exec, s[18:19]
.LBB258_495:                            ;   in Loop: Header=BB258_376 Depth=1
	s_or_b64 exec, exec, s[16:17]
	v_cmp_lt_u32_e64 s[0:1], s5, v9
	s_and_saveexec_b64 s[16:17], s[0:1]
	s_cbranch_execz .LBB258_501
; %bb.496:                              ;   in Loop: Header=BB258_376 Depth=1
	v_lshrrev_b32_e32 v1, 24, v9
	v_cmp_ne_u32_e64 s[0:1], s28, v1
	v_bfrev_b32_e32 v11, 1
	s_and_saveexec_b64 s[18:19], s[0:1]
	s_cbranch_execz .LBB258_500
; %bb.497:                              ;   in Loop: Header=BB258_376 Depth=1
	v_and_b32_e32 v12, 0x7f, v1
	v_cmp_ne_u32_e64 s[0:1], s29, v12
	v_mov_b32_e32 v11, 0x7c010000
	s_and_saveexec_b64 s[20:21], s[0:1]
	s_cbranch_execz .LBB258_499
; %bb.498:                              ;   in Loop: Header=BB258_376 Depth=1
	v_and_b32_e32 v11, 7, v1
	v_ffbh_u32_e32 v47, v11
	v_min_u32_e32 v50, 32, v47
	v_subrev_u32_e32 v47, 28, v50
	v_lshlrev_b64 v[47:48], v47, v[1:2]
	v_lshrrev_b32_e32 v49, 3, v12
	v_sub_u32_e32 v48, 29, v50
	v_cmp_gt_u32_e64 s[0:1], 8, v12
	v_cndmask_b32_e64 v12, v49, v48, s[0:1]
	v_lshlrev_b32_e32 v1, 8, v1
	v_lshl_add_u32 v12, v12, 10, v27
	v_and_b32_e32 v47, 7, v47
	v_and_or_b32 v1, v1, s30, v12
	v_cndmask_b32_e64 v11, v11, v47, s[0:1]
	v_lshlrev_b32_e32 v1, 16, v1
	v_lshl_or_b32 v11, v11, 23, v1
.LBB258_499:                            ;   in Loop: Header=BB258_376 Depth=1
	s_or_b64 exec, exec, s[20:21]
.LBB258_500:                            ;   in Loop: Header=BB258_376 Depth=1
	s_or_b64 exec, exec, s[18:19]
.LBB258_501:                            ;   in Loop: Header=BB258_376 Depth=1
	s_or_b64 exec, exec, s[16:17]
	v_mov_b32_e32 v1, v10
	v_cmp_ne_u16_sdwa s[0:1], v10, v2 src0_sel:BYTE_0 src1_sel:DWORD
	v_mov_b32_e32 v47, 0
	v_mov_b32_e32 v48, 0
	s_and_saveexec_b64 s[16:17], s[0:1]
	s_cbranch_execz .LBB258_507
; %bb.502:                              ;   in Loop: Header=BB258_376 Depth=1
	v_cmp_ne_u16_sdwa s[0:1], v10, s28 src0_sel:BYTE_0 src1_sel:DWORD
	v_mov_b32_e32 v48, 0x8000
	s_and_saveexec_b64 s[18:19], s[0:1]
	s_cbranch_execz .LBB258_506
; %bb.503:                              ;   in Loop: Header=BB258_376 Depth=1
	v_and_b32_e32 v12, 0x7f, v10
	v_cmp_ne_u32_e64 s[0:1], s29, v12
	v_mov_b32_e32 v48, 0x7c01
	s_and_saveexec_b64 s[20:21], s[0:1]
	s_cbranch_execz .LBB258_505
; %bb.504:                              ;   in Loop: Header=BB258_376 Depth=1
	v_and_b32_e32 v50, 7, v10
	v_ffbh_u32_e32 v48, v50
	v_min_u32_e32 v52, 32, v48
	v_subrev_u32_e32 v48, 28, v52
	v_lshlrev_b64 v[48:49], v48, v[1:2]
	v_lshrrev_b32_e32 v51, 3, v12
	v_sub_u32_e32 v49, 29, v52
	v_cmp_gt_u32_e64 s[0:1], 8, v12
	v_cndmask_b32_e64 v12, v51, v49, s[0:1]
	v_lshl_add_u32 v12, v12, 10, v27
	v_lshlrev_b32_e32 v49, 8, v10
	v_and_b32_e32 v48, 7, v48
	v_and_b32_e32 v12, 0xfc00, v12
	v_cndmask_b32_e64 v48, v50, v48, s[0:1]
	v_and_or_b32 v12, v49, s30, v12
	v_lshl_or_b32 v48, v48, 7, v12
.LBB258_505:                            ;   in Loop: Header=BB258_376 Depth=1
	s_or_b64 exec, exec, s[20:21]
.LBB258_506:                            ;   in Loop: Header=BB258_376 Depth=1
	s_or_b64 exec, exec, s[18:19]
.LBB258_507:                            ;   in Loop: Header=BB258_376 Depth=1
	s_or_b64 exec, exec, s[16:17]
	v_lshrrev_b16_e32 v1, 8, v1
	v_cmp_ne_u16_e64 s[0:1], 0, v1
	v_mov_b32_e32 v49, 0
	s_and_saveexec_b64 s[16:17], s[0:1]
	s_cbranch_execz .LBB258_513
; %bb.508:                              ;   in Loop: Header=BB258_376 Depth=1
	v_cmp_ne_u16_e64 s[0:1], s28, v1
	v_bfrev_b32_e32 v49, 1
	s_and_saveexec_b64 s[18:19], s[0:1]
	s_cbranch_execz .LBB258_512
; %bb.509:                              ;   in Loop: Header=BB258_376 Depth=1
	v_and_b32_e32 v12, 0x7f, v1
	v_cmp_ne_u32_e64 s[0:1], s29, v12
	v_mov_b32_e32 v49, 0x7c010000
	s_and_saveexec_b64 s[20:21], s[0:1]
	s_cbranch_execz .LBB258_511
; %bb.510:                              ;   in Loop: Header=BB258_376 Depth=1
	v_and_b32_e32 v51, 7, v1
	v_ffbh_u32_e32 v49, v51
	v_min_u32_e32 v53, 32, v49
	v_subrev_u32_e32 v49, 28, v53
	v_lshlrev_b64 v[49:50], v49, v[1:2]
	v_lshrrev_b32_e32 v52, 3, v12
	v_sub_u32_e32 v50, 29, v53
	v_cmp_gt_u32_e64 s[0:1], 8, v12
	v_cndmask_b32_e64 v12, v52, v50, s[0:1]
	v_lshlrev_b32_e32 v1, 8, v1
	v_lshl_add_u32 v12, v12, 10, v27
	v_and_b32_e32 v49, 7, v49
	v_and_or_b32 v1, v1, s30, v12
	v_cndmask_b32_e64 v49, v51, v49, s[0:1]
	v_lshlrev_b32_e32 v1, 16, v1
	v_lshl_or_b32 v49, v49, 23, v1
.LBB258_511:                            ;   in Loop: Header=BB258_376 Depth=1
	s_or_b64 exec, exec, s[20:21]
.LBB258_512:                            ;   in Loop: Header=BB258_376 Depth=1
	s_or_b64 exec, exec, s[18:19]
.LBB258_513:                            ;   in Loop: Header=BB258_376 Depth=1
	s_or_b64 exec, exec, s[16:17]
	v_lshrrev_b32_e32 v1, 16, v10
	v_cmp_ne_u16_sdwa s[0:1], v1, v2 src0_sel:BYTE_0 src1_sel:DWORD
	s_and_saveexec_b64 s[16:17], s[0:1]
	s_cbranch_execz .LBB258_519
; %bb.514:                              ;   in Loop: Header=BB258_376 Depth=1
	v_cmp_ne_u16_sdwa s[0:1], v1, s28 src0_sel:BYTE_0 src1_sel:DWORD
	v_mov_b32_e32 v47, 0x8000
	s_and_saveexec_b64 s[18:19], s[0:1]
	s_cbranch_execz .LBB258_518
; %bb.515:                              ;   in Loop: Header=BB258_376 Depth=1
	v_bfe_u32 v12, v10, 16, 7
	v_cmp_ne_u32_e64 s[0:1], s29, v12
	v_mov_b32_e32 v47, 0x7c01
	s_and_saveexec_b64 s[20:21], s[0:1]
	s_cbranch_execz .LBB258_517
; %bb.516:                              ;   in Loop: Header=BB258_376 Depth=1
	v_and_b32_e32 v47, 7, v1
	v_ffbh_u32_e32 v50, v47
	v_min_u32_e32 v53, 32, v50
	v_subrev_u32_e32 v50, 28, v53
	v_lshlrev_b64 v[50:51], v50, v[1:2]
	v_lshrrev_b32_e32 v52, 3, v12
	v_sub_u32_e32 v51, 29, v53
	v_cmp_gt_u32_e64 s[0:1], 8, v12
	v_cndmask_b32_e64 v12, v52, v51, s[0:1]
	v_lshl_add_u32 v12, v12, 10, v27
	v_lshlrev_b32_e32 v1, 8, v1
	v_and_b32_e32 v50, 7, v50
	v_and_b32_e32 v12, 0xfc00, v12
	v_cndmask_b32_e64 v47, v47, v50, s[0:1]
	v_and_or_b32 v1, v1, s30, v12
	v_lshl_or_b32 v47, v47, 7, v1
.LBB258_517:                            ;   in Loop: Header=BB258_376 Depth=1
	s_or_b64 exec, exec, s[20:21]
.LBB258_518:                            ;   in Loop: Header=BB258_376 Depth=1
	s_or_b64 exec, exec, s[18:19]
.LBB258_519:                            ;   in Loop: Header=BB258_376 Depth=1
	s_or_b64 exec, exec, s[16:17]
	v_cmp_lt_u64_e64 s[0:1], s[4:5], v[9:10]
	v_mov_b32_e32 v9, 0
	s_and_saveexec_b64 s[16:17], s[0:1]
	s_cbranch_execz .LBB258_525
; %bb.520:                              ;   in Loop: Header=BB258_376 Depth=1
	v_lshrrev_b32_e32 v1, 24, v10
	v_cmp_ne_u32_e64 s[0:1], s28, v1
	v_bfrev_b32_e32 v9, 1
	s_and_saveexec_b64 s[18:19], s[0:1]
	s_cbranch_execz .LBB258_524
; %bb.521:                              ;   in Loop: Header=BB258_376 Depth=1
	v_and_b32_e32 v10, 0x7f, v1
	v_cmp_ne_u32_e64 s[0:1], s29, v10
	v_mov_b32_e32 v9, 0x7c010000
	s_and_saveexec_b64 s[20:21], s[0:1]
	s_cbranch_execz .LBB258_523
; %bb.522:                              ;   in Loop: Header=BB258_376 Depth=1
	v_and_b32_e32 v9, 7, v1
	v_ffbh_u32_e32 v50, v9
	v_min_u32_e32 v52, 32, v50
	v_subrev_u32_e32 v50, 28, v52
	v_lshlrev_b64 v[50:51], v50, v[1:2]
	v_lshrrev_b32_e32 v12, 3, v10
	v_sub_u32_e32 v51, 29, v52
	v_cmp_gt_u32_e64 s[0:1], 8, v10
	v_cndmask_b32_e64 v10, v12, v51, s[0:1]
	v_lshlrev_b32_e32 v1, 8, v1
	v_lshl_add_u32 v10, v10, 10, v27
	v_and_b32_e32 v12, 7, v50
	v_and_or_b32 v1, v1, s30, v10
	v_cndmask_b32_e64 v9, v9, v12, s[0:1]
	v_lshlrev_b32_e32 v1, 16, v1
	v_lshl_or_b32 v9, v9, 23, v1
.LBB258_523:                            ;   in Loop: Header=BB258_376 Depth=1
	s_or_b64 exec, exec, s[20:21]
.LBB258_524:                            ;   in Loop: Header=BB258_376 Depth=1
	s_or_b64 exec, exec, s[18:19]
.LBB258_525:                            ;   in Loop: Header=BB258_376 Depth=1
	s_or_b64 exec, exec, s[16:17]
	s_waitcnt vmcnt(0)
	v_fma_mixlo_f16 v10, v0, v11, 0 op_sel:[0,1,0] op_sel_hi:[0,1,0]
	v_fma_mixlo_f16 v12, v0, v44, 0 op_sel:[0,1,0] op_sel_hi:[0,1,0]
	v_or_b32_e32 v1, v11, v46
	v_lshlrev_b32_e32 v11, 16, v10
	v_or_b32_e32 v10, v44, v45
	v_lshlrev_b32_e32 v45, 16, v12
	v_or_b32_e32 v12, v49, v48
	v_or_b32_e32 v47, v9, v47
	v_fma_mixlo_f16 v1, v0, v1, 0 op_sel_hi:[0,1,0]
	v_fma_mixlo_f16 v10, v0, v10, 0 op_sel_hi:[0,1,0]
	v_fma_mixlo_f16 v44, v0, v49, 0 op_sel:[0,1,0] op_sel_hi:[0,1,0]
	v_fma_mixlo_f16 v12, v0, v12, 0 op_sel_hi:[0,1,0]
	v_fma_mixlo_f16 v47, v0, v47, 0 op_sel_hi:[0,1,0]
	v_fma_mixlo_f16 v0, v0, v9, 0 op_sel:[0,1,0] op_sel_hi:[0,1,0]
	v_and_b32_e32 v46, 0xffff, v1
	v_and_b32_e32 v50, 0xffff, v10
	v_lshlrev_b32_e32 v44, 16, v44
	v_and_b32_e32 v48, 0xffff, v12
	v_lshlrev_b32_e32 v0, 16, v0
	v_and_b32_e32 v9, 0xffff, v47
	v_or_b32_e32 v1, v11, v46
	v_or_b32_e32 v10, v45, v50
	;; [unrolled: 1-line block ×4, first 2 shown]
	s_and_saveexec_b64 s[16:17], vcc
	s_cbranch_execz .LBB258_527
; %bb.526:                              ;   in Loop: Header=BB258_376 Depth=1
	v_cmp_gt_i32_e64 s[0:1], s33, v28
	v_cndmask_b32_e64 v1, 0, v50, s[0:1]
	v_cmp_gt_i32_e64 s[0:1], s33, v35
	v_cndmask_b32_e64 v10, 0, v45, s[0:1]
	v_cmp_gt_i32_e64 s[0:1], s33, v34
	v_or_b32_e32 v10, v10, v1
	v_cndmask_b32_e64 v1, 0, v46, s[0:1]
	v_cmp_gt_i32_e64 s[0:1], s33, v33
	v_cndmask_b32_e64 v11, 0, v11, s[0:1]
	v_cmp_gt_i32_e64 s[0:1], s33, v32
	v_or_b32_e32 v1, v11, v1
	v_cndmask_b32_e64 v11, 0, v48, s[0:1]
	v_cmp_gt_i32_e64 s[0:1], s33, v31
	v_cndmask_b32_e64 v12, 0, v44, s[0:1]
	v_cmp_gt_i32_e64 s[0:1], s33, v30
	;; [unrolled: 2-line block ×3, first 2 shown]
	v_cndmask_b32_e64 v0, 0, v0, s[0:1]
	v_or_b32_e32 v12, v12, v11
	v_or_b32_e32 v47, v0, v9
.LBB258_527:                            ;   in Loop: Header=BB258_376 Depth=1
	s_or_b64 exec, exec, s[16:17]
	;;#ASMSTART
	v_pk_mul_f16 v0, v39, v10;

	;;#ASMEND
	;;#ASMSTART
	v_pk_mul_f16 v1, v38, v1;

	;;#ASMEND
	;; [unrolled: 4-line block ×4, first 2 shown]
	;;#ASMSTART
	v_pk_add_f16 v0, v0, v1;

	;;#ASMEND
	;;#ASMSTART
	v_pk_add_f16 v0, v0, v9;

	;;#ASMEND
	;; [unrolled: 4-line block ×3, first 2 shown]
	v_lshrrev_b32_e32 v1, 16, v0
	v_and_b32_e32 v0, 0xffff, v0
	;;#ASMSTART
	v_cvt_f32_f16 v44, v0;
	;;#ASMEND
	;;#ASMSTART
	v_cvt_f32_f16 v45, v1;
	;;#ASMEND
	global_load_dwordx2 v[9:10], v[7:8], off offset:1536
	v_mov_b32_e32 v46, 0
	global_load_dword v0, v46, s[14:15]
	v_mov_b32_e32 v47, 0
	s_waitcnt vmcnt(1)
	v_cmp_ne_u16_sdwa s[0:1], v9, v2 src0_sel:BYTE_0 src1_sel:DWORD
	s_and_saveexec_b64 s[16:17], s[0:1]
	s_cbranch_execz .LBB258_533
; %bb.528:                              ;   in Loop: Header=BB258_376 Depth=1
	v_cmp_ne_u16_sdwa s[0:1], v9, s28 src0_sel:BYTE_0 src1_sel:DWORD
	v_mov_b32_e32 v47, 0x8000
	s_and_saveexec_b64 s[18:19], s[0:1]
	s_cbranch_execz .LBB258_532
; %bb.529:                              ;   in Loop: Header=BB258_376 Depth=1
	v_and_b32_e32 v1, 0x7f, v9
	v_cmp_ne_u32_e64 s[0:1], s29, v1
	v_mov_b32_e32 v47, 0x7c01
	s_and_saveexec_b64 s[20:21], s[0:1]
	s_cbranch_execz .LBB258_531
; %bb.530:                              ;   in Loop: Header=BB258_376 Depth=1
	v_and_b32_e32 v47, 7, v9
	v_ffbh_u32_e32 v11, v47
	v_min_u32_e32 v49, 32, v11
	v_subrev_u32_e32 v11, 28, v49
	v_lshlrev_b64 v[11:12], v11, v[9:10]
	v_lshrrev_b32_e32 v48, 3, v1
	v_sub_u32_e32 v12, 29, v49
	v_cmp_gt_u32_e64 s[0:1], 8, v1
	v_cndmask_b32_e64 v1, v48, v12, s[0:1]
	v_lshl_add_u32 v1, v1, 10, v27
	v_lshlrev_b32_e32 v12, 8, v9
	v_and_b32_e32 v11, 7, v11
	v_and_b32_e32 v1, 0xfc00, v1
	v_cndmask_b32_e64 v11, v47, v11, s[0:1]
	v_and_or_b32 v1, v12, s30, v1
	v_lshl_or_b32 v47, v11, 7, v1
.LBB258_531:                            ;   in Loop: Header=BB258_376 Depth=1
	s_or_b64 exec, exec, s[20:21]
.LBB258_532:                            ;   in Loop: Header=BB258_376 Depth=1
	s_or_b64 exec, exec, s[18:19]
.LBB258_533:                            ;   in Loop: Header=BB258_376 Depth=1
	s_or_b64 exec, exec, s[16:17]
	v_lshrrev_b16_e32 v1, 8, v9
	v_cmp_ne_u16_e64 s[0:1], 0, v1
	s_and_saveexec_b64 s[16:17], s[0:1]
	s_cbranch_execz .LBB258_539
; %bb.534:                              ;   in Loop: Header=BB258_376 Depth=1
	v_cmp_ne_u16_e64 s[0:1], s28, v1
	v_bfrev_b32_e32 v46, 1
	s_and_saveexec_b64 s[18:19], s[0:1]
	s_cbranch_execz .LBB258_538
; %bb.535:                              ;   in Loop: Header=BB258_376 Depth=1
	v_and_b32_e32 v11, 0x7f, v1
	v_cmp_ne_u32_e64 s[0:1], s29, v11
	v_mov_b32_e32 v46, 0x7c010000
	s_and_saveexec_b64 s[20:21], s[0:1]
	s_cbranch_execz .LBB258_537
; %bb.536:                              ;   in Loop: Header=BB258_376 Depth=1
	v_and_b32_e32 v12, 7, v1
	v_ffbh_u32_e32 v48, v12
	v_min_u32_e32 v50, 32, v48
	v_subrev_u32_e32 v48, 28, v50
	v_lshlrev_b64 v[48:49], v48, v[1:2]
	v_lshrrev_b32_e32 v46, 3, v11
	v_sub_u32_e32 v49, 29, v50
	v_cmp_gt_u32_e64 s[0:1], 8, v11
	v_cndmask_b32_e64 v11, v46, v49, s[0:1]
	v_lshlrev_b32_e32 v1, 8, v1
	v_lshl_add_u32 v11, v11, 10, v27
	v_and_b32_e32 v46, 7, v48
	v_and_or_b32 v1, v1, s30, v11
	v_cndmask_b32_e64 v12, v12, v46, s[0:1]
	v_lshlrev_b32_e32 v1, 16, v1
	v_lshl_or_b32 v46, v12, 23, v1
.LBB258_537:                            ;   in Loop: Header=BB258_376 Depth=1
	s_or_b64 exec, exec, s[20:21]
.LBB258_538:                            ;   in Loop: Header=BB258_376 Depth=1
	s_or_b64 exec, exec, s[18:19]
.LBB258_539:                            ;   in Loop: Header=BB258_376 Depth=1
	s_or_b64 exec, exec, s[16:17]
	v_lshrrev_b32_e32 v1, 16, v9
	v_cmp_ne_u16_sdwa s[0:1], v1, v2 src0_sel:BYTE_0 src1_sel:DWORD
	v_mov_b32_e32 v11, 0
	v_mov_b32_e32 v48, 0
	s_and_saveexec_b64 s[16:17], s[0:1]
	s_cbranch_execz .LBB258_545
; %bb.540:                              ;   in Loop: Header=BB258_376 Depth=1
	v_cmp_ne_u16_sdwa s[0:1], v1, s28 src0_sel:BYTE_0 src1_sel:DWORD
	v_mov_b32_e32 v48, 0x8000
	s_and_saveexec_b64 s[18:19], s[0:1]
	s_cbranch_execz .LBB258_544
; %bb.541:                              ;   in Loop: Header=BB258_376 Depth=1
	v_bfe_u32 v12, v9, 16, 7
	v_cmp_ne_u32_e64 s[0:1], s29, v12
	v_mov_b32_e32 v48, 0x7c01
	s_and_saveexec_b64 s[20:21], s[0:1]
	s_cbranch_execz .LBB258_543
; %bb.542:                              ;   in Loop: Header=BB258_376 Depth=1
	v_and_b32_e32 v50, 7, v1
	v_ffbh_u32_e32 v48, v50
	v_min_u32_e32 v52, 32, v48
	v_subrev_u32_e32 v48, 28, v52
	v_lshlrev_b64 v[48:49], v48, v[1:2]
	v_lshrrev_b32_e32 v51, 3, v12
	v_sub_u32_e32 v49, 29, v52
	v_cmp_gt_u32_e64 s[0:1], 8, v12
	v_cndmask_b32_e64 v12, v51, v49, s[0:1]
	v_lshl_add_u32 v12, v12, 10, v27
	v_lshlrev_b32_e32 v1, 8, v1
	v_and_b32_e32 v48, 7, v48
	v_and_b32_e32 v12, 0xfc00, v12
	v_cndmask_b32_e64 v48, v50, v48, s[0:1]
	v_and_or_b32 v1, v1, s30, v12
	v_lshl_or_b32 v48, v48, 7, v1
.LBB258_543:                            ;   in Loop: Header=BB258_376 Depth=1
	s_or_b64 exec, exec, s[20:21]
.LBB258_544:                            ;   in Loop: Header=BB258_376 Depth=1
	s_or_b64 exec, exec, s[18:19]
.LBB258_545:                            ;   in Loop: Header=BB258_376 Depth=1
	s_or_b64 exec, exec, s[16:17]
	v_cmp_lt_u32_e64 s[0:1], s5, v9
	s_and_saveexec_b64 s[16:17], s[0:1]
	s_cbranch_execz .LBB258_551
; %bb.546:                              ;   in Loop: Header=BB258_376 Depth=1
	v_lshrrev_b32_e32 v1, 24, v9
	v_cmp_ne_u32_e64 s[0:1], s28, v1
	v_bfrev_b32_e32 v11, 1
	s_and_saveexec_b64 s[18:19], s[0:1]
	s_cbranch_execz .LBB258_550
; %bb.547:                              ;   in Loop: Header=BB258_376 Depth=1
	v_and_b32_e32 v12, 0x7f, v1
	v_cmp_ne_u32_e64 s[0:1], s29, v12
	v_mov_b32_e32 v11, 0x7c010000
	s_and_saveexec_b64 s[20:21], s[0:1]
	s_cbranch_execz .LBB258_549
; %bb.548:                              ;   in Loop: Header=BB258_376 Depth=1
	v_and_b32_e32 v11, 7, v1
	v_ffbh_u32_e32 v49, v11
	v_min_u32_e32 v52, 32, v49
	v_subrev_u32_e32 v49, 28, v52
	v_lshlrev_b64 v[49:50], v49, v[1:2]
	v_lshrrev_b32_e32 v51, 3, v12
	v_sub_u32_e32 v50, 29, v52
	v_cmp_gt_u32_e64 s[0:1], 8, v12
	v_cndmask_b32_e64 v12, v51, v50, s[0:1]
	v_lshlrev_b32_e32 v1, 8, v1
	v_lshl_add_u32 v12, v12, 10, v27
	v_and_b32_e32 v49, 7, v49
	v_and_or_b32 v1, v1, s30, v12
	v_cndmask_b32_e64 v11, v11, v49, s[0:1]
	v_lshlrev_b32_e32 v1, 16, v1
	v_lshl_or_b32 v11, v11, 23, v1
.LBB258_549:                            ;   in Loop: Header=BB258_376 Depth=1
	s_or_b64 exec, exec, s[20:21]
.LBB258_550:                            ;   in Loop: Header=BB258_376 Depth=1
	s_or_b64 exec, exec, s[18:19]
.LBB258_551:                            ;   in Loop: Header=BB258_376 Depth=1
	s_or_b64 exec, exec, s[16:17]
	v_mov_b32_e32 v1, v10
	v_cmp_ne_u16_sdwa s[0:1], v10, v2 src0_sel:BYTE_0 src1_sel:DWORD
	v_mov_b32_e32 v49, 0
	v_mov_b32_e32 v50, 0
	s_and_saveexec_b64 s[16:17], s[0:1]
	s_cbranch_execz .LBB258_557
; %bb.552:                              ;   in Loop: Header=BB258_376 Depth=1
	v_cmp_ne_u16_sdwa s[0:1], v10, s28 src0_sel:BYTE_0 src1_sel:DWORD
	v_mov_b32_e32 v50, 0x8000
	s_and_saveexec_b64 s[18:19], s[0:1]
	s_cbranch_execz .LBB258_556
; %bb.553:                              ;   in Loop: Header=BB258_376 Depth=1
	v_and_b32_e32 v12, 0x7f, v10
	v_cmp_ne_u32_e64 s[0:1], s29, v12
	v_mov_b32_e32 v50, 0x7c01
	s_and_saveexec_b64 s[20:21], s[0:1]
	s_cbranch_execz .LBB258_555
; %bb.554:                              ;   in Loop: Header=BB258_376 Depth=1
	v_and_b32_e32 v52, 7, v10
	v_ffbh_u32_e32 v50, v52
	v_min_u32_e32 v54, 32, v50
	v_subrev_u32_e32 v50, 28, v54
	v_lshlrev_b64 v[50:51], v50, v[1:2]
	v_lshrrev_b32_e32 v53, 3, v12
	v_sub_u32_e32 v51, 29, v54
	v_cmp_gt_u32_e64 s[0:1], 8, v12
	v_cndmask_b32_e64 v12, v53, v51, s[0:1]
	v_lshl_add_u32 v12, v12, 10, v27
	v_lshlrev_b32_e32 v51, 8, v10
	v_and_b32_e32 v50, 7, v50
	v_and_b32_e32 v12, 0xfc00, v12
	v_cndmask_b32_e64 v50, v52, v50, s[0:1]
	v_and_or_b32 v12, v51, s30, v12
	v_lshl_or_b32 v50, v50, 7, v12
.LBB258_555:                            ;   in Loop: Header=BB258_376 Depth=1
	s_or_b64 exec, exec, s[20:21]
.LBB258_556:                            ;   in Loop: Header=BB258_376 Depth=1
	s_or_b64 exec, exec, s[18:19]
.LBB258_557:                            ;   in Loop: Header=BB258_376 Depth=1
	s_or_b64 exec, exec, s[16:17]
	v_lshrrev_b16_e32 v1, 8, v1
	v_cmp_ne_u16_e64 s[0:1], 0, v1
	v_mov_b32_e32 v51, 0
	s_and_saveexec_b64 s[16:17], s[0:1]
	s_cbranch_execz .LBB258_563
; %bb.558:                              ;   in Loop: Header=BB258_376 Depth=1
	v_cmp_ne_u16_e64 s[0:1], s28, v1
	v_bfrev_b32_e32 v51, 1
	s_and_saveexec_b64 s[18:19], s[0:1]
	s_cbranch_execz .LBB258_562
; %bb.559:                              ;   in Loop: Header=BB258_376 Depth=1
	v_and_b32_e32 v12, 0x7f, v1
	v_cmp_ne_u32_e64 s[0:1], s29, v12
	v_mov_b32_e32 v51, 0x7c010000
	s_and_saveexec_b64 s[20:21], s[0:1]
	s_cbranch_execz .LBB258_561
; %bb.560:                              ;   in Loop: Header=BB258_376 Depth=1
	v_and_b32_e32 v53, 7, v1
	v_ffbh_u32_e32 v51, v53
	v_min_u32_e32 v55, 32, v51
	v_subrev_u32_e32 v51, 28, v55
	v_lshlrev_b64 v[51:52], v51, v[1:2]
	v_lshrrev_b32_e32 v54, 3, v12
	v_sub_u32_e32 v52, 29, v55
	v_cmp_gt_u32_e64 s[0:1], 8, v12
	v_cndmask_b32_e64 v12, v54, v52, s[0:1]
	v_lshlrev_b32_e32 v1, 8, v1
	v_lshl_add_u32 v12, v12, 10, v27
	v_and_b32_e32 v51, 7, v51
	v_and_or_b32 v1, v1, s30, v12
	v_cndmask_b32_e64 v51, v53, v51, s[0:1]
	v_lshlrev_b32_e32 v1, 16, v1
	v_lshl_or_b32 v51, v51, 23, v1
.LBB258_561:                            ;   in Loop: Header=BB258_376 Depth=1
	s_or_b64 exec, exec, s[20:21]
.LBB258_562:                            ;   in Loop: Header=BB258_376 Depth=1
	s_or_b64 exec, exec, s[18:19]
.LBB258_563:                            ;   in Loop: Header=BB258_376 Depth=1
	s_or_b64 exec, exec, s[16:17]
	v_lshrrev_b32_e32 v1, 16, v10
	v_cmp_ne_u16_sdwa s[0:1], v1, v2 src0_sel:BYTE_0 src1_sel:DWORD
	s_and_saveexec_b64 s[16:17], s[0:1]
	s_cbranch_execz .LBB258_569
; %bb.564:                              ;   in Loop: Header=BB258_376 Depth=1
	v_cmp_ne_u16_sdwa s[0:1], v1, s28 src0_sel:BYTE_0 src1_sel:DWORD
	v_mov_b32_e32 v49, 0x8000
	s_and_saveexec_b64 s[18:19], s[0:1]
	s_cbranch_execz .LBB258_568
; %bb.565:                              ;   in Loop: Header=BB258_376 Depth=1
	v_bfe_u32 v12, v10, 16, 7
	v_cmp_ne_u32_e64 s[0:1], s29, v12
	v_mov_b32_e32 v49, 0x7c01
	s_and_saveexec_b64 s[20:21], s[0:1]
	s_cbranch_execz .LBB258_567
; %bb.566:                              ;   in Loop: Header=BB258_376 Depth=1
	v_and_b32_e32 v49, 7, v1
	v_ffbh_u32_e32 v52, v49
	v_min_u32_e32 v55, 32, v52
	v_subrev_u32_e32 v52, 28, v55
	v_lshlrev_b64 v[52:53], v52, v[1:2]
	v_lshrrev_b32_e32 v54, 3, v12
	v_sub_u32_e32 v53, 29, v55
	v_cmp_gt_u32_e64 s[0:1], 8, v12
	v_cndmask_b32_e64 v12, v54, v53, s[0:1]
	v_lshl_add_u32 v12, v12, 10, v27
	v_lshlrev_b32_e32 v1, 8, v1
	v_and_b32_e32 v52, 7, v52
	v_and_b32_e32 v12, 0xfc00, v12
	v_cndmask_b32_e64 v49, v49, v52, s[0:1]
	v_and_or_b32 v1, v1, s30, v12
	v_lshl_or_b32 v49, v49, 7, v1
.LBB258_567:                            ;   in Loop: Header=BB258_376 Depth=1
	s_or_b64 exec, exec, s[20:21]
.LBB258_568:                            ;   in Loop: Header=BB258_376 Depth=1
	s_or_b64 exec, exec, s[18:19]
.LBB258_569:                            ;   in Loop: Header=BB258_376 Depth=1
	s_or_b64 exec, exec, s[16:17]
	v_cmp_lt_u64_e64 s[0:1], s[4:5], v[9:10]
	v_mov_b32_e32 v9, 0
	s_and_saveexec_b64 s[16:17], s[0:1]
	s_cbranch_execz .LBB258_575
; %bb.570:                              ;   in Loop: Header=BB258_376 Depth=1
	v_lshrrev_b32_e32 v1, 24, v10
	v_cmp_ne_u32_e64 s[0:1], s28, v1
	v_bfrev_b32_e32 v9, 1
	s_and_saveexec_b64 s[18:19], s[0:1]
	s_cbranch_execz .LBB258_574
; %bb.571:                              ;   in Loop: Header=BB258_376 Depth=1
	v_and_b32_e32 v10, 0x7f, v1
	v_cmp_ne_u32_e64 s[0:1], s29, v10
	v_mov_b32_e32 v9, 0x7c010000
	s_and_saveexec_b64 s[20:21], s[0:1]
	s_cbranch_execz .LBB258_573
; %bb.572:                              ;   in Loop: Header=BB258_376 Depth=1
	v_and_b32_e32 v9, 7, v1
	v_ffbh_u32_e32 v52, v9
	v_min_u32_e32 v54, 32, v52
	v_subrev_u32_e32 v52, 28, v54
	v_lshlrev_b64 v[52:53], v52, v[1:2]
	v_lshrrev_b32_e32 v12, 3, v10
	v_sub_u32_e32 v53, 29, v54
	v_cmp_gt_u32_e64 s[0:1], 8, v10
	v_cndmask_b32_e64 v10, v12, v53, s[0:1]
	v_lshlrev_b32_e32 v1, 8, v1
	v_lshl_add_u32 v10, v10, 10, v27
	v_and_b32_e32 v12, 7, v52
	v_and_or_b32 v1, v1, s30, v10
	v_cndmask_b32_e64 v9, v9, v12, s[0:1]
	v_lshlrev_b32_e32 v1, 16, v1
	v_lshl_or_b32 v9, v9, 23, v1
.LBB258_573:                            ;   in Loop: Header=BB258_376 Depth=1
	s_or_b64 exec, exec, s[20:21]
.LBB258_574:                            ;   in Loop: Header=BB258_376 Depth=1
	s_or_b64 exec, exec, s[18:19]
.LBB258_575:                            ;   in Loop: Header=BB258_376 Depth=1
	s_or_b64 exec, exec, s[16:17]
	s_waitcnt vmcnt(0)
	v_fma_mixlo_f16 v10, v0, v11, 0 op_sel:[0,1,0] op_sel_hi:[0,1,0]
	v_fma_mixlo_f16 v12, v0, v46, 0 op_sel:[0,1,0] op_sel_hi:[0,1,0]
	v_or_b32_e32 v1, v11, v48
	v_lshlrev_b32_e32 v11, 16, v10
	v_or_b32_e32 v10, v46, v47
	v_lshlrev_b32_e32 v47, 16, v12
	v_or_b32_e32 v12, v51, v50
	v_or_b32_e32 v49, v9, v49
	v_fma_mixlo_f16 v1, v0, v1, 0 op_sel_hi:[0,1,0]
	v_fma_mixlo_f16 v10, v0, v10, 0 op_sel_hi:[0,1,0]
	v_fma_mixlo_f16 v46, v0, v51, 0 op_sel:[0,1,0] op_sel_hi:[0,1,0]
	v_fma_mixlo_f16 v12, v0, v12, 0 op_sel_hi:[0,1,0]
	v_fma_mixlo_f16 v49, v0, v49, 0 op_sel_hi:[0,1,0]
	v_fma_mixlo_f16 v0, v0, v9, 0 op_sel:[0,1,0] op_sel_hi:[0,1,0]
	v_and_b32_e32 v48, 0xffff, v1
	v_and_b32_e32 v52, 0xffff, v10
	v_lshlrev_b32_e32 v46, 16, v46
	v_and_b32_e32 v50, 0xffff, v12
	v_lshlrev_b32_e32 v0, 16, v0
	v_and_b32_e32 v9, 0xffff, v49
	v_or_b32_e32 v1, v11, v48
	v_or_b32_e32 v10, v47, v52
	;; [unrolled: 1-line block ×4, first 2 shown]
	s_and_saveexec_b64 s[16:17], vcc
	s_cbranch_execz .LBB258_577
; %bb.576:                              ;   in Loop: Header=BB258_376 Depth=1
	v_cmp_gt_i32_e64 s[0:1], s33, v28
	v_cndmask_b32_e64 v1, 0, v52, s[0:1]
	v_cmp_gt_i32_e64 s[0:1], s33, v35
	v_cndmask_b32_e64 v10, 0, v47, s[0:1]
	v_cmp_gt_i32_e64 s[0:1], s33, v34
	v_or_b32_e32 v10, v10, v1
	v_cndmask_b32_e64 v1, 0, v48, s[0:1]
	v_cmp_gt_i32_e64 s[0:1], s33, v33
	v_cndmask_b32_e64 v11, 0, v11, s[0:1]
	v_cmp_gt_i32_e64 s[0:1], s33, v32
	v_or_b32_e32 v1, v11, v1
	v_cndmask_b32_e64 v11, 0, v50, s[0:1]
	v_cmp_gt_i32_e64 s[0:1], s33, v31
	v_cndmask_b32_e64 v12, 0, v46, s[0:1]
	v_cmp_gt_i32_e64 s[0:1], s33, v30
	;; [unrolled: 2-line block ×3, first 2 shown]
	v_cndmask_b32_e64 v0, 0, v0, s[0:1]
	v_or_b32_e32 v12, v12, v11
	v_or_b32_e32 v49, v0, v9
.LBB258_577:                            ;   in Loop: Header=BB258_376 Depth=1
	s_or_b64 exec, exec, s[16:17]
	;;#ASMSTART
	v_pk_mul_f16 v0, v39, v10;

	;;#ASMEND
	;;#ASMSTART
	v_pk_mul_f16 v1, v38, v1;

	;;#ASMEND
	;; [unrolled: 4-line block ×4, first 2 shown]
	;;#ASMSTART
	v_pk_add_f16 v0, v0, v1;

	;;#ASMEND
	;;#ASMSTART
	v_pk_add_f16 v0, v0, v9;

	;;#ASMEND
	;; [unrolled: 4-line block ×3, first 2 shown]
	v_lshrrev_b32_e32 v1, 16, v0
	v_and_b32_e32 v0, 0xffff, v0
	;;#ASMSTART
	v_cvt_f32_f16 v46, v0;
	;;#ASMEND
	;;#ASMSTART
	v_cvt_f32_f16 v47, v1;
	;;#ASMEND
	global_load_dwordx2 v[9:10], v[7:8], off offset:2048
	v_mov_b32_e32 v48, 0
	global_load_dword v0, v48, s[14:15]
	v_mov_b32_e32 v49, 0
	s_waitcnt vmcnt(1)
	v_cmp_ne_u16_sdwa s[0:1], v9, v2 src0_sel:BYTE_0 src1_sel:DWORD
	s_and_saveexec_b64 s[16:17], s[0:1]
	s_cbranch_execz .LBB258_583
; %bb.578:                              ;   in Loop: Header=BB258_376 Depth=1
	v_cmp_ne_u16_sdwa s[0:1], v9, s28 src0_sel:BYTE_0 src1_sel:DWORD
	v_mov_b32_e32 v49, 0x8000
	s_and_saveexec_b64 s[18:19], s[0:1]
	s_cbranch_execz .LBB258_582
; %bb.579:                              ;   in Loop: Header=BB258_376 Depth=1
	v_and_b32_e32 v1, 0x7f, v9
	v_cmp_ne_u32_e64 s[0:1], s29, v1
	v_mov_b32_e32 v49, 0x7c01
	s_and_saveexec_b64 s[20:21], s[0:1]
	s_cbranch_execz .LBB258_581
; %bb.580:                              ;   in Loop: Header=BB258_376 Depth=1
	v_and_b32_e32 v49, 7, v9
	v_ffbh_u32_e32 v11, v49
	v_min_u32_e32 v51, 32, v11
	v_subrev_u32_e32 v11, 28, v51
	v_lshlrev_b64 v[11:12], v11, v[9:10]
	v_lshrrev_b32_e32 v50, 3, v1
	v_sub_u32_e32 v12, 29, v51
	v_cmp_gt_u32_e64 s[0:1], 8, v1
	v_cndmask_b32_e64 v1, v50, v12, s[0:1]
	v_lshl_add_u32 v1, v1, 10, v27
	v_lshlrev_b32_e32 v12, 8, v9
	v_and_b32_e32 v11, 7, v11
	v_and_b32_e32 v1, 0xfc00, v1
	v_cndmask_b32_e64 v11, v49, v11, s[0:1]
	v_and_or_b32 v1, v12, s30, v1
	v_lshl_or_b32 v49, v11, 7, v1
.LBB258_581:                            ;   in Loop: Header=BB258_376 Depth=1
	s_or_b64 exec, exec, s[20:21]
.LBB258_582:                            ;   in Loop: Header=BB258_376 Depth=1
	s_or_b64 exec, exec, s[18:19]
.LBB258_583:                            ;   in Loop: Header=BB258_376 Depth=1
	s_or_b64 exec, exec, s[16:17]
	v_lshrrev_b16_e32 v1, 8, v9
	v_cmp_ne_u16_e64 s[0:1], 0, v1
	s_and_saveexec_b64 s[16:17], s[0:1]
	s_cbranch_execz .LBB258_589
; %bb.584:                              ;   in Loop: Header=BB258_376 Depth=1
	v_cmp_ne_u16_e64 s[0:1], s28, v1
	v_bfrev_b32_e32 v48, 1
	s_and_saveexec_b64 s[18:19], s[0:1]
	s_cbranch_execz .LBB258_588
; %bb.585:                              ;   in Loop: Header=BB258_376 Depth=1
	v_and_b32_e32 v11, 0x7f, v1
	v_cmp_ne_u32_e64 s[0:1], s29, v11
	v_mov_b32_e32 v48, 0x7c010000
	s_and_saveexec_b64 s[20:21], s[0:1]
	s_cbranch_execz .LBB258_587
; %bb.586:                              ;   in Loop: Header=BB258_376 Depth=1
	v_and_b32_e32 v12, 7, v1
	v_ffbh_u32_e32 v50, v12
	v_min_u32_e32 v52, 32, v50
	v_subrev_u32_e32 v50, 28, v52
	v_lshlrev_b64 v[50:51], v50, v[1:2]
	v_lshrrev_b32_e32 v48, 3, v11
	v_sub_u32_e32 v51, 29, v52
	v_cmp_gt_u32_e64 s[0:1], 8, v11
	v_cndmask_b32_e64 v11, v48, v51, s[0:1]
	v_lshlrev_b32_e32 v1, 8, v1
	v_lshl_add_u32 v11, v11, 10, v27
	v_and_b32_e32 v48, 7, v50
	v_and_or_b32 v1, v1, s30, v11
	v_cndmask_b32_e64 v12, v12, v48, s[0:1]
	v_lshlrev_b32_e32 v1, 16, v1
	v_lshl_or_b32 v48, v12, 23, v1
.LBB258_587:                            ;   in Loop: Header=BB258_376 Depth=1
	s_or_b64 exec, exec, s[20:21]
.LBB258_588:                            ;   in Loop: Header=BB258_376 Depth=1
	s_or_b64 exec, exec, s[18:19]
.LBB258_589:                            ;   in Loop: Header=BB258_376 Depth=1
	s_or_b64 exec, exec, s[16:17]
	v_lshrrev_b32_e32 v1, 16, v9
	v_cmp_ne_u16_sdwa s[0:1], v1, v2 src0_sel:BYTE_0 src1_sel:DWORD
	v_mov_b32_e32 v11, 0
	v_mov_b32_e32 v50, 0
	s_and_saveexec_b64 s[16:17], s[0:1]
	s_cbranch_execz .LBB258_595
; %bb.590:                              ;   in Loop: Header=BB258_376 Depth=1
	v_cmp_ne_u16_sdwa s[0:1], v1, s28 src0_sel:BYTE_0 src1_sel:DWORD
	v_mov_b32_e32 v50, 0x8000
	s_and_saveexec_b64 s[18:19], s[0:1]
	s_cbranch_execz .LBB258_594
; %bb.591:                              ;   in Loop: Header=BB258_376 Depth=1
	v_bfe_u32 v12, v9, 16, 7
	v_cmp_ne_u32_e64 s[0:1], s29, v12
	v_mov_b32_e32 v50, 0x7c01
	s_and_saveexec_b64 s[20:21], s[0:1]
	s_cbranch_execz .LBB258_593
; %bb.592:                              ;   in Loop: Header=BB258_376 Depth=1
	v_and_b32_e32 v52, 7, v1
	v_ffbh_u32_e32 v50, v52
	v_min_u32_e32 v54, 32, v50
	v_subrev_u32_e32 v50, 28, v54
	v_lshlrev_b64 v[50:51], v50, v[1:2]
	v_lshrrev_b32_e32 v53, 3, v12
	v_sub_u32_e32 v51, 29, v54
	v_cmp_gt_u32_e64 s[0:1], 8, v12
	v_cndmask_b32_e64 v12, v53, v51, s[0:1]
	v_lshl_add_u32 v12, v12, 10, v27
	v_lshlrev_b32_e32 v1, 8, v1
	v_and_b32_e32 v50, 7, v50
	v_and_b32_e32 v12, 0xfc00, v12
	v_cndmask_b32_e64 v50, v52, v50, s[0:1]
	v_and_or_b32 v1, v1, s30, v12
	v_lshl_or_b32 v50, v50, 7, v1
.LBB258_593:                            ;   in Loop: Header=BB258_376 Depth=1
	s_or_b64 exec, exec, s[20:21]
.LBB258_594:                            ;   in Loop: Header=BB258_376 Depth=1
	s_or_b64 exec, exec, s[18:19]
.LBB258_595:                            ;   in Loop: Header=BB258_376 Depth=1
	s_or_b64 exec, exec, s[16:17]
	v_cmp_lt_u32_e64 s[0:1], s5, v9
	s_and_saveexec_b64 s[16:17], s[0:1]
	s_cbranch_execz .LBB258_601
; %bb.596:                              ;   in Loop: Header=BB258_376 Depth=1
	v_lshrrev_b32_e32 v1, 24, v9
	v_cmp_ne_u32_e64 s[0:1], s28, v1
	v_bfrev_b32_e32 v11, 1
	s_and_saveexec_b64 s[18:19], s[0:1]
	s_cbranch_execz .LBB258_600
; %bb.597:                              ;   in Loop: Header=BB258_376 Depth=1
	v_and_b32_e32 v12, 0x7f, v1
	v_cmp_ne_u32_e64 s[0:1], s29, v12
	v_mov_b32_e32 v11, 0x7c010000
	s_and_saveexec_b64 s[20:21], s[0:1]
	s_cbranch_execz .LBB258_599
; %bb.598:                              ;   in Loop: Header=BB258_376 Depth=1
	v_and_b32_e32 v11, 7, v1
	v_ffbh_u32_e32 v51, v11
	v_min_u32_e32 v54, 32, v51
	v_subrev_u32_e32 v51, 28, v54
	v_lshlrev_b64 v[51:52], v51, v[1:2]
	v_lshrrev_b32_e32 v53, 3, v12
	v_sub_u32_e32 v52, 29, v54
	v_cmp_gt_u32_e64 s[0:1], 8, v12
	v_cndmask_b32_e64 v12, v53, v52, s[0:1]
	v_lshlrev_b32_e32 v1, 8, v1
	v_lshl_add_u32 v12, v12, 10, v27
	v_and_b32_e32 v51, 7, v51
	v_and_or_b32 v1, v1, s30, v12
	v_cndmask_b32_e64 v11, v11, v51, s[0:1]
	v_lshlrev_b32_e32 v1, 16, v1
	v_lshl_or_b32 v11, v11, 23, v1
.LBB258_599:                            ;   in Loop: Header=BB258_376 Depth=1
	s_or_b64 exec, exec, s[20:21]
.LBB258_600:                            ;   in Loop: Header=BB258_376 Depth=1
	s_or_b64 exec, exec, s[18:19]
.LBB258_601:                            ;   in Loop: Header=BB258_376 Depth=1
	s_or_b64 exec, exec, s[16:17]
	v_mov_b32_e32 v1, v10
	v_cmp_ne_u16_sdwa s[0:1], v10, v2 src0_sel:BYTE_0 src1_sel:DWORD
	v_mov_b32_e32 v51, 0
	v_mov_b32_e32 v52, 0
	s_and_saveexec_b64 s[16:17], s[0:1]
	s_cbranch_execz .LBB258_607
; %bb.602:                              ;   in Loop: Header=BB258_376 Depth=1
	v_cmp_ne_u16_sdwa s[0:1], v10, s28 src0_sel:BYTE_0 src1_sel:DWORD
	v_mov_b32_e32 v52, 0x8000
	s_and_saveexec_b64 s[18:19], s[0:1]
	s_cbranch_execz .LBB258_606
; %bb.603:                              ;   in Loop: Header=BB258_376 Depth=1
	v_and_b32_e32 v12, 0x7f, v10
	v_cmp_ne_u32_e64 s[0:1], s29, v12
	v_mov_b32_e32 v52, 0x7c01
	s_and_saveexec_b64 s[20:21], s[0:1]
	s_cbranch_execz .LBB258_605
; %bb.604:                              ;   in Loop: Header=BB258_376 Depth=1
	v_and_b32_e32 v54, 7, v10
	v_ffbh_u32_e32 v52, v54
	v_min_u32_e32 v56, 32, v52
	v_subrev_u32_e32 v52, 28, v56
	v_lshlrev_b64 v[52:53], v52, v[1:2]
	v_lshrrev_b32_e32 v55, 3, v12
	v_sub_u32_e32 v53, 29, v56
	v_cmp_gt_u32_e64 s[0:1], 8, v12
	v_cndmask_b32_e64 v12, v55, v53, s[0:1]
	v_lshl_add_u32 v12, v12, 10, v27
	v_lshlrev_b32_e32 v53, 8, v10
	v_and_b32_e32 v52, 7, v52
	v_and_b32_e32 v12, 0xfc00, v12
	v_cndmask_b32_e64 v52, v54, v52, s[0:1]
	v_and_or_b32 v12, v53, s30, v12
	v_lshl_or_b32 v52, v52, 7, v12
.LBB258_605:                            ;   in Loop: Header=BB258_376 Depth=1
	s_or_b64 exec, exec, s[20:21]
.LBB258_606:                            ;   in Loop: Header=BB258_376 Depth=1
	s_or_b64 exec, exec, s[18:19]
.LBB258_607:                            ;   in Loop: Header=BB258_376 Depth=1
	s_or_b64 exec, exec, s[16:17]
	v_lshrrev_b16_e32 v1, 8, v1
	v_cmp_ne_u16_e64 s[0:1], 0, v1
	v_mov_b32_e32 v53, 0
	s_and_saveexec_b64 s[16:17], s[0:1]
	s_cbranch_execz .LBB258_613
; %bb.608:                              ;   in Loop: Header=BB258_376 Depth=1
	v_cmp_ne_u16_e64 s[0:1], s28, v1
	v_bfrev_b32_e32 v53, 1
	s_and_saveexec_b64 s[18:19], s[0:1]
	s_cbranch_execz .LBB258_612
; %bb.609:                              ;   in Loop: Header=BB258_376 Depth=1
	v_and_b32_e32 v12, 0x7f, v1
	v_cmp_ne_u32_e64 s[0:1], s29, v12
	v_mov_b32_e32 v53, 0x7c010000
	s_and_saveexec_b64 s[20:21], s[0:1]
	s_cbranch_execz .LBB258_611
; %bb.610:                              ;   in Loop: Header=BB258_376 Depth=1
	v_and_b32_e32 v55, 7, v1
	v_ffbh_u32_e32 v53, v55
	v_min_u32_e32 v57, 32, v53
	v_subrev_u32_e32 v53, 28, v57
	v_lshlrev_b64 v[53:54], v53, v[1:2]
	v_lshrrev_b32_e32 v56, 3, v12
	v_sub_u32_e32 v54, 29, v57
	v_cmp_gt_u32_e64 s[0:1], 8, v12
	v_cndmask_b32_e64 v12, v56, v54, s[0:1]
	v_lshlrev_b32_e32 v1, 8, v1
	v_lshl_add_u32 v12, v12, 10, v27
	v_and_b32_e32 v53, 7, v53
	v_and_or_b32 v1, v1, s30, v12
	v_cndmask_b32_e64 v53, v55, v53, s[0:1]
	v_lshlrev_b32_e32 v1, 16, v1
	v_lshl_or_b32 v53, v53, 23, v1
.LBB258_611:                            ;   in Loop: Header=BB258_376 Depth=1
	s_or_b64 exec, exec, s[20:21]
.LBB258_612:                            ;   in Loop: Header=BB258_376 Depth=1
	s_or_b64 exec, exec, s[18:19]
.LBB258_613:                            ;   in Loop: Header=BB258_376 Depth=1
	s_or_b64 exec, exec, s[16:17]
	v_lshrrev_b32_e32 v1, 16, v10
	v_cmp_ne_u16_sdwa s[0:1], v1, v2 src0_sel:BYTE_0 src1_sel:DWORD
	s_and_saveexec_b64 s[16:17], s[0:1]
	s_cbranch_execz .LBB258_619
; %bb.614:                              ;   in Loop: Header=BB258_376 Depth=1
	v_cmp_ne_u16_sdwa s[0:1], v1, s28 src0_sel:BYTE_0 src1_sel:DWORD
	v_mov_b32_e32 v51, 0x8000
	s_and_saveexec_b64 s[18:19], s[0:1]
	s_cbranch_execz .LBB258_618
; %bb.615:                              ;   in Loop: Header=BB258_376 Depth=1
	v_bfe_u32 v12, v10, 16, 7
	v_cmp_ne_u32_e64 s[0:1], s29, v12
	v_mov_b32_e32 v51, 0x7c01
	s_and_saveexec_b64 s[20:21], s[0:1]
	s_cbranch_execz .LBB258_617
; %bb.616:                              ;   in Loop: Header=BB258_376 Depth=1
	v_and_b32_e32 v51, 7, v1
	v_ffbh_u32_e32 v54, v51
	v_min_u32_e32 v57, 32, v54
	v_subrev_u32_e32 v54, 28, v57
	v_lshlrev_b64 v[54:55], v54, v[1:2]
	v_lshrrev_b32_e32 v56, 3, v12
	v_sub_u32_e32 v55, 29, v57
	v_cmp_gt_u32_e64 s[0:1], 8, v12
	v_cndmask_b32_e64 v12, v56, v55, s[0:1]
	v_lshl_add_u32 v12, v12, 10, v27
	v_lshlrev_b32_e32 v1, 8, v1
	v_and_b32_e32 v54, 7, v54
	v_and_b32_e32 v12, 0xfc00, v12
	v_cndmask_b32_e64 v51, v51, v54, s[0:1]
	v_and_or_b32 v1, v1, s30, v12
	v_lshl_or_b32 v51, v51, 7, v1
.LBB258_617:                            ;   in Loop: Header=BB258_376 Depth=1
	s_or_b64 exec, exec, s[20:21]
.LBB258_618:                            ;   in Loop: Header=BB258_376 Depth=1
	s_or_b64 exec, exec, s[18:19]
.LBB258_619:                            ;   in Loop: Header=BB258_376 Depth=1
	s_or_b64 exec, exec, s[16:17]
	v_cmp_lt_u64_e64 s[0:1], s[4:5], v[9:10]
	v_mov_b32_e32 v9, 0
	s_and_saveexec_b64 s[16:17], s[0:1]
	s_cbranch_execz .LBB258_625
; %bb.620:                              ;   in Loop: Header=BB258_376 Depth=1
	v_lshrrev_b32_e32 v1, 24, v10
	v_cmp_ne_u32_e64 s[0:1], s28, v1
	v_bfrev_b32_e32 v9, 1
	s_and_saveexec_b64 s[18:19], s[0:1]
	s_cbranch_execz .LBB258_624
; %bb.621:                              ;   in Loop: Header=BB258_376 Depth=1
	v_and_b32_e32 v10, 0x7f, v1
	v_cmp_ne_u32_e64 s[0:1], s29, v10
	v_mov_b32_e32 v9, 0x7c010000
	s_and_saveexec_b64 s[20:21], s[0:1]
	s_cbranch_execz .LBB258_623
; %bb.622:                              ;   in Loop: Header=BB258_376 Depth=1
	v_and_b32_e32 v9, 7, v1
	v_ffbh_u32_e32 v54, v9
	v_min_u32_e32 v56, 32, v54
	v_subrev_u32_e32 v54, 28, v56
	v_lshlrev_b64 v[54:55], v54, v[1:2]
	v_lshrrev_b32_e32 v12, 3, v10
	v_sub_u32_e32 v55, 29, v56
	v_cmp_gt_u32_e64 s[0:1], 8, v10
	v_cndmask_b32_e64 v10, v12, v55, s[0:1]
	v_lshlrev_b32_e32 v1, 8, v1
	v_lshl_add_u32 v10, v10, 10, v27
	v_and_b32_e32 v12, 7, v54
	v_and_or_b32 v1, v1, s30, v10
	v_cndmask_b32_e64 v9, v9, v12, s[0:1]
	v_lshlrev_b32_e32 v1, 16, v1
	v_lshl_or_b32 v9, v9, 23, v1
.LBB258_623:                            ;   in Loop: Header=BB258_376 Depth=1
	s_or_b64 exec, exec, s[20:21]
.LBB258_624:                            ;   in Loop: Header=BB258_376 Depth=1
	s_or_b64 exec, exec, s[18:19]
.LBB258_625:                            ;   in Loop: Header=BB258_376 Depth=1
	s_or_b64 exec, exec, s[16:17]
	s_waitcnt vmcnt(0)
	v_fma_mixlo_f16 v10, v0, v11, 0 op_sel:[0,1,0] op_sel_hi:[0,1,0]
	v_fma_mixlo_f16 v12, v0, v48, 0 op_sel:[0,1,0] op_sel_hi:[0,1,0]
	v_or_b32_e32 v1, v11, v50
	v_lshlrev_b32_e32 v11, 16, v10
	v_or_b32_e32 v10, v48, v49
	v_lshlrev_b32_e32 v49, 16, v12
	v_or_b32_e32 v12, v53, v52
	v_or_b32_e32 v51, v9, v51
	v_fma_mixlo_f16 v1, v0, v1, 0 op_sel_hi:[0,1,0]
	v_fma_mixlo_f16 v10, v0, v10, 0 op_sel_hi:[0,1,0]
	v_fma_mixlo_f16 v48, v0, v53, 0 op_sel:[0,1,0] op_sel_hi:[0,1,0]
	v_fma_mixlo_f16 v12, v0, v12, 0 op_sel_hi:[0,1,0]
	v_fma_mixlo_f16 v51, v0, v51, 0 op_sel_hi:[0,1,0]
	v_fma_mixlo_f16 v0, v0, v9, 0 op_sel:[0,1,0] op_sel_hi:[0,1,0]
	v_and_b32_e32 v50, 0xffff, v1
	v_and_b32_e32 v54, 0xffff, v10
	v_lshlrev_b32_e32 v48, 16, v48
	v_and_b32_e32 v52, 0xffff, v12
	v_lshlrev_b32_e32 v0, 16, v0
	v_and_b32_e32 v9, 0xffff, v51
	v_or_b32_e32 v1, v11, v50
	v_or_b32_e32 v10, v49, v54
	;; [unrolled: 1-line block ×4, first 2 shown]
	s_and_saveexec_b64 s[16:17], vcc
	s_cbranch_execz .LBB258_627
; %bb.626:                              ;   in Loop: Header=BB258_376 Depth=1
	v_cmp_gt_i32_e64 s[0:1], s33, v28
	v_cndmask_b32_e64 v1, 0, v54, s[0:1]
	v_cmp_gt_i32_e64 s[0:1], s33, v35
	v_cndmask_b32_e64 v10, 0, v49, s[0:1]
	v_cmp_gt_i32_e64 s[0:1], s33, v34
	v_or_b32_e32 v10, v10, v1
	v_cndmask_b32_e64 v1, 0, v50, s[0:1]
	v_cmp_gt_i32_e64 s[0:1], s33, v33
	v_cndmask_b32_e64 v11, 0, v11, s[0:1]
	v_cmp_gt_i32_e64 s[0:1], s33, v32
	v_or_b32_e32 v1, v11, v1
	v_cndmask_b32_e64 v11, 0, v52, s[0:1]
	v_cmp_gt_i32_e64 s[0:1], s33, v31
	v_cndmask_b32_e64 v12, 0, v48, s[0:1]
	v_cmp_gt_i32_e64 s[0:1], s33, v30
	;; [unrolled: 2-line block ×3, first 2 shown]
	v_cndmask_b32_e64 v0, 0, v0, s[0:1]
	v_or_b32_e32 v12, v12, v11
	v_or_b32_e32 v51, v0, v9
.LBB258_627:                            ;   in Loop: Header=BB258_376 Depth=1
	s_or_b64 exec, exec, s[16:17]
	;;#ASMSTART
	v_pk_mul_f16 v0, v39, v10;

	;;#ASMEND
	;;#ASMSTART
	v_pk_mul_f16 v1, v38, v1;

	;;#ASMEND
	;; [unrolled: 4-line block ×4, first 2 shown]
	;;#ASMSTART
	v_pk_add_f16 v0, v0, v1;

	;;#ASMEND
	;;#ASMSTART
	v_pk_add_f16 v0, v0, v9;

	;;#ASMEND
	;; [unrolled: 4-line block ×3, first 2 shown]
	v_lshrrev_b32_e32 v1, 16, v0
	v_and_b32_e32 v0, 0xffff, v0
	;;#ASMSTART
	v_cvt_f32_f16 v0, v0;
	;;#ASMEND
	;;#ASMSTART
	v_cvt_f32_f16 v48, v1;
	;;#ASMEND
	global_load_dwordx2 v[9:10], v[7:8], off offset:2560
	v_mov_b32_e32 v50, 0
	global_load_dword v49, v50, s[14:15]
	v_mov_b32_e32 v51, 0
	s_waitcnt vmcnt(1)
	v_cmp_ne_u16_sdwa s[0:1], v9, v2 src0_sel:BYTE_0 src1_sel:DWORD
	s_and_saveexec_b64 s[16:17], s[0:1]
	s_cbranch_execz .LBB258_633
; %bb.628:                              ;   in Loop: Header=BB258_376 Depth=1
	v_cmp_ne_u16_sdwa s[0:1], v9, s28 src0_sel:BYTE_0 src1_sel:DWORD
	v_mov_b32_e32 v51, 0x8000
	s_and_saveexec_b64 s[18:19], s[0:1]
	s_cbranch_execz .LBB258_632
; %bb.629:                              ;   in Loop: Header=BB258_376 Depth=1
	v_and_b32_e32 v1, 0x7f, v9
	v_cmp_ne_u32_e64 s[0:1], s29, v1
	v_mov_b32_e32 v51, 0x7c01
	s_and_saveexec_b64 s[20:21], s[0:1]
	s_cbranch_execz .LBB258_631
; %bb.630:                              ;   in Loop: Header=BB258_376 Depth=1
	v_and_b32_e32 v51, 7, v9
	v_ffbh_u32_e32 v11, v51
	v_min_u32_e32 v53, 32, v11
	v_subrev_u32_e32 v11, 28, v53
	v_lshlrev_b64 v[11:12], v11, v[9:10]
	v_lshrrev_b32_e32 v52, 3, v1
	v_sub_u32_e32 v12, 29, v53
	v_cmp_gt_u32_e64 s[0:1], 8, v1
	v_cndmask_b32_e64 v1, v52, v12, s[0:1]
	v_lshl_add_u32 v1, v1, 10, v27
	v_lshlrev_b32_e32 v12, 8, v9
	v_and_b32_e32 v11, 7, v11
	v_and_b32_e32 v1, 0xfc00, v1
	v_cndmask_b32_e64 v11, v51, v11, s[0:1]
	v_and_or_b32 v1, v12, s30, v1
	v_lshl_or_b32 v51, v11, 7, v1
.LBB258_631:                            ;   in Loop: Header=BB258_376 Depth=1
	s_or_b64 exec, exec, s[20:21]
.LBB258_632:                            ;   in Loop: Header=BB258_376 Depth=1
	s_or_b64 exec, exec, s[18:19]
.LBB258_633:                            ;   in Loop: Header=BB258_376 Depth=1
	s_or_b64 exec, exec, s[16:17]
	v_lshrrev_b16_e32 v1, 8, v9
	v_cmp_ne_u16_e64 s[0:1], 0, v1
	s_and_saveexec_b64 s[16:17], s[0:1]
	s_cbranch_execz .LBB258_639
; %bb.634:                              ;   in Loop: Header=BB258_376 Depth=1
	v_cmp_ne_u16_e64 s[0:1], s28, v1
	v_bfrev_b32_e32 v50, 1
	s_and_saveexec_b64 s[18:19], s[0:1]
	s_cbranch_execz .LBB258_638
; %bb.635:                              ;   in Loop: Header=BB258_376 Depth=1
	v_and_b32_e32 v11, 0x7f, v1
	v_cmp_ne_u32_e64 s[0:1], s29, v11
	v_mov_b32_e32 v50, 0x7c010000
	s_and_saveexec_b64 s[20:21], s[0:1]
	s_cbranch_execz .LBB258_637
; %bb.636:                              ;   in Loop: Header=BB258_376 Depth=1
	v_and_b32_e32 v12, 7, v1
	v_ffbh_u32_e32 v52, v12
	v_min_u32_e32 v54, 32, v52
	v_subrev_u32_e32 v52, 28, v54
	v_lshlrev_b64 v[52:53], v52, v[1:2]
	v_lshrrev_b32_e32 v50, 3, v11
	v_sub_u32_e32 v53, 29, v54
	v_cmp_gt_u32_e64 s[0:1], 8, v11
	v_cndmask_b32_e64 v11, v50, v53, s[0:1]
	v_lshlrev_b32_e32 v1, 8, v1
	v_lshl_add_u32 v11, v11, 10, v27
	v_and_b32_e32 v50, 7, v52
	v_and_or_b32 v1, v1, s30, v11
	v_cndmask_b32_e64 v12, v12, v50, s[0:1]
	v_lshlrev_b32_e32 v1, 16, v1
	v_lshl_or_b32 v50, v12, 23, v1
.LBB258_637:                            ;   in Loop: Header=BB258_376 Depth=1
	s_or_b64 exec, exec, s[20:21]
.LBB258_638:                            ;   in Loop: Header=BB258_376 Depth=1
	s_or_b64 exec, exec, s[18:19]
.LBB258_639:                            ;   in Loop: Header=BB258_376 Depth=1
	s_or_b64 exec, exec, s[16:17]
	v_lshrrev_b32_e32 v1, 16, v9
	v_cmp_ne_u16_sdwa s[0:1], v1, v2 src0_sel:BYTE_0 src1_sel:DWORD
	v_mov_b32_e32 v11, 0
	v_mov_b32_e32 v52, 0
	s_and_saveexec_b64 s[16:17], s[0:1]
	s_cbranch_execz .LBB258_645
; %bb.640:                              ;   in Loop: Header=BB258_376 Depth=1
	v_cmp_ne_u16_sdwa s[0:1], v1, s28 src0_sel:BYTE_0 src1_sel:DWORD
	v_mov_b32_e32 v52, 0x8000
	s_and_saveexec_b64 s[18:19], s[0:1]
	s_cbranch_execz .LBB258_644
; %bb.641:                              ;   in Loop: Header=BB258_376 Depth=1
	v_bfe_u32 v12, v9, 16, 7
	v_cmp_ne_u32_e64 s[0:1], s29, v12
	v_mov_b32_e32 v52, 0x7c01
	s_and_saveexec_b64 s[20:21], s[0:1]
	s_cbranch_execz .LBB258_643
; %bb.642:                              ;   in Loop: Header=BB258_376 Depth=1
	v_and_b32_e32 v54, 7, v1
	v_ffbh_u32_e32 v52, v54
	v_min_u32_e32 v56, 32, v52
	v_subrev_u32_e32 v52, 28, v56
	v_lshlrev_b64 v[52:53], v52, v[1:2]
	v_lshrrev_b32_e32 v55, 3, v12
	v_sub_u32_e32 v53, 29, v56
	v_cmp_gt_u32_e64 s[0:1], 8, v12
	v_cndmask_b32_e64 v12, v55, v53, s[0:1]
	v_lshl_add_u32 v12, v12, 10, v27
	v_lshlrev_b32_e32 v1, 8, v1
	v_and_b32_e32 v52, 7, v52
	v_and_b32_e32 v12, 0xfc00, v12
	v_cndmask_b32_e64 v52, v54, v52, s[0:1]
	v_and_or_b32 v1, v1, s30, v12
	v_lshl_or_b32 v52, v52, 7, v1
.LBB258_643:                            ;   in Loop: Header=BB258_376 Depth=1
	s_or_b64 exec, exec, s[20:21]
.LBB258_644:                            ;   in Loop: Header=BB258_376 Depth=1
	s_or_b64 exec, exec, s[18:19]
.LBB258_645:                            ;   in Loop: Header=BB258_376 Depth=1
	s_or_b64 exec, exec, s[16:17]
	v_cmp_lt_u32_e64 s[0:1], s5, v9
	s_and_saveexec_b64 s[16:17], s[0:1]
	s_cbranch_execz .LBB258_651
; %bb.646:                              ;   in Loop: Header=BB258_376 Depth=1
	v_lshrrev_b32_e32 v1, 24, v9
	v_cmp_ne_u32_e64 s[0:1], s28, v1
	v_bfrev_b32_e32 v11, 1
	s_and_saveexec_b64 s[18:19], s[0:1]
	s_cbranch_execz .LBB258_650
; %bb.647:                              ;   in Loop: Header=BB258_376 Depth=1
	v_and_b32_e32 v12, 0x7f, v1
	v_cmp_ne_u32_e64 s[0:1], s29, v12
	v_mov_b32_e32 v11, 0x7c010000
	s_and_saveexec_b64 s[20:21], s[0:1]
	s_cbranch_execz .LBB258_649
; %bb.648:                              ;   in Loop: Header=BB258_376 Depth=1
	v_and_b32_e32 v11, 7, v1
	v_ffbh_u32_e32 v53, v11
	v_min_u32_e32 v56, 32, v53
	v_subrev_u32_e32 v53, 28, v56
	v_lshlrev_b64 v[53:54], v53, v[1:2]
	v_lshrrev_b32_e32 v55, 3, v12
	v_sub_u32_e32 v54, 29, v56
	v_cmp_gt_u32_e64 s[0:1], 8, v12
	v_cndmask_b32_e64 v12, v55, v54, s[0:1]
	v_lshlrev_b32_e32 v1, 8, v1
	v_lshl_add_u32 v12, v12, 10, v27
	v_and_b32_e32 v53, 7, v53
	v_and_or_b32 v1, v1, s30, v12
	v_cndmask_b32_e64 v11, v11, v53, s[0:1]
	v_lshlrev_b32_e32 v1, 16, v1
	v_lshl_or_b32 v11, v11, 23, v1
.LBB258_649:                            ;   in Loop: Header=BB258_376 Depth=1
	s_or_b64 exec, exec, s[20:21]
.LBB258_650:                            ;   in Loop: Header=BB258_376 Depth=1
	s_or_b64 exec, exec, s[18:19]
.LBB258_651:                            ;   in Loop: Header=BB258_376 Depth=1
	s_or_b64 exec, exec, s[16:17]
	v_mov_b32_e32 v1, v10
	v_cmp_ne_u16_sdwa s[0:1], v10, v2 src0_sel:BYTE_0 src1_sel:DWORD
	v_mov_b32_e32 v53, 0
	v_mov_b32_e32 v54, 0
	s_and_saveexec_b64 s[16:17], s[0:1]
	s_cbranch_execz .LBB258_657
; %bb.652:                              ;   in Loop: Header=BB258_376 Depth=1
	v_cmp_ne_u16_sdwa s[0:1], v10, s28 src0_sel:BYTE_0 src1_sel:DWORD
	v_mov_b32_e32 v54, 0x8000
	s_and_saveexec_b64 s[18:19], s[0:1]
	s_cbranch_execz .LBB258_656
; %bb.653:                              ;   in Loop: Header=BB258_376 Depth=1
	v_and_b32_e32 v12, 0x7f, v10
	v_cmp_ne_u32_e64 s[0:1], s29, v12
	v_mov_b32_e32 v54, 0x7c01
	s_and_saveexec_b64 s[20:21], s[0:1]
	s_cbranch_execz .LBB258_655
; %bb.654:                              ;   in Loop: Header=BB258_376 Depth=1
	v_and_b32_e32 v56, 7, v10
	v_ffbh_u32_e32 v54, v56
	v_min_u32_e32 v58, 32, v54
	v_subrev_u32_e32 v54, 28, v58
	v_lshlrev_b64 v[54:55], v54, v[1:2]
	v_lshrrev_b32_e32 v57, 3, v12
	v_sub_u32_e32 v55, 29, v58
	v_cmp_gt_u32_e64 s[0:1], 8, v12
	v_cndmask_b32_e64 v12, v57, v55, s[0:1]
	v_lshl_add_u32 v12, v12, 10, v27
	v_lshlrev_b32_e32 v55, 8, v10
	v_and_b32_e32 v54, 7, v54
	v_and_b32_e32 v12, 0xfc00, v12
	v_cndmask_b32_e64 v54, v56, v54, s[0:1]
	v_and_or_b32 v12, v55, s30, v12
	v_lshl_or_b32 v54, v54, 7, v12
.LBB258_655:                            ;   in Loop: Header=BB258_376 Depth=1
	s_or_b64 exec, exec, s[20:21]
.LBB258_656:                            ;   in Loop: Header=BB258_376 Depth=1
	s_or_b64 exec, exec, s[18:19]
.LBB258_657:                            ;   in Loop: Header=BB258_376 Depth=1
	s_or_b64 exec, exec, s[16:17]
	v_lshrrev_b16_e32 v1, 8, v1
	v_cmp_ne_u16_e64 s[0:1], 0, v1
	v_mov_b32_e32 v55, 0
	s_and_saveexec_b64 s[16:17], s[0:1]
	s_cbranch_execz .LBB258_663
; %bb.658:                              ;   in Loop: Header=BB258_376 Depth=1
	v_cmp_ne_u16_e64 s[0:1], s28, v1
	v_bfrev_b32_e32 v55, 1
	s_and_saveexec_b64 s[18:19], s[0:1]
	s_cbranch_execz .LBB258_662
; %bb.659:                              ;   in Loop: Header=BB258_376 Depth=1
	v_and_b32_e32 v12, 0x7f, v1
	v_cmp_ne_u32_e64 s[0:1], s29, v12
	v_mov_b32_e32 v55, 0x7c010000
	s_and_saveexec_b64 s[20:21], s[0:1]
	s_cbranch_execz .LBB258_661
; %bb.660:                              ;   in Loop: Header=BB258_376 Depth=1
	v_and_b32_e32 v57, 7, v1
	v_ffbh_u32_e32 v55, v57
	v_min_u32_e32 v59, 32, v55
	v_subrev_u32_e32 v55, 28, v59
	v_lshlrev_b64 v[55:56], v55, v[1:2]
	v_lshrrev_b32_e32 v58, 3, v12
	v_sub_u32_e32 v56, 29, v59
	v_cmp_gt_u32_e64 s[0:1], 8, v12
	v_cndmask_b32_e64 v12, v58, v56, s[0:1]
	v_lshlrev_b32_e32 v1, 8, v1
	v_lshl_add_u32 v12, v12, 10, v27
	v_and_b32_e32 v55, 7, v55
	v_and_or_b32 v1, v1, s30, v12
	v_cndmask_b32_e64 v55, v57, v55, s[0:1]
	v_lshlrev_b32_e32 v1, 16, v1
	v_lshl_or_b32 v55, v55, 23, v1
.LBB258_661:                            ;   in Loop: Header=BB258_376 Depth=1
	s_or_b64 exec, exec, s[20:21]
.LBB258_662:                            ;   in Loop: Header=BB258_376 Depth=1
	s_or_b64 exec, exec, s[18:19]
.LBB258_663:                            ;   in Loop: Header=BB258_376 Depth=1
	s_or_b64 exec, exec, s[16:17]
	v_lshrrev_b32_e32 v1, 16, v10
	v_cmp_ne_u16_sdwa s[0:1], v1, v2 src0_sel:BYTE_0 src1_sel:DWORD
	s_and_saveexec_b64 s[16:17], s[0:1]
	s_cbranch_execz .LBB258_669
; %bb.664:                              ;   in Loop: Header=BB258_376 Depth=1
	v_cmp_ne_u16_sdwa s[0:1], v1, s28 src0_sel:BYTE_0 src1_sel:DWORD
	v_mov_b32_e32 v53, 0x8000
	s_and_saveexec_b64 s[18:19], s[0:1]
	s_cbranch_execz .LBB258_668
; %bb.665:                              ;   in Loop: Header=BB258_376 Depth=1
	v_bfe_u32 v12, v10, 16, 7
	v_cmp_ne_u32_e64 s[0:1], s29, v12
	v_mov_b32_e32 v53, 0x7c01
	s_and_saveexec_b64 s[20:21], s[0:1]
	s_cbranch_execz .LBB258_667
; %bb.666:                              ;   in Loop: Header=BB258_376 Depth=1
	v_and_b32_e32 v53, 7, v1
	v_ffbh_u32_e32 v56, v53
	v_min_u32_e32 v59, 32, v56
	v_subrev_u32_e32 v56, 28, v59
	v_lshlrev_b64 v[56:57], v56, v[1:2]
	v_lshrrev_b32_e32 v58, 3, v12
	v_sub_u32_e32 v57, 29, v59
	v_cmp_gt_u32_e64 s[0:1], 8, v12
	v_cndmask_b32_e64 v12, v58, v57, s[0:1]
	v_lshl_add_u32 v12, v12, 10, v27
	v_lshlrev_b32_e32 v1, 8, v1
	v_and_b32_e32 v56, 7, v56
	v_and_b32_e32 v12, 0xfc00, v12
	v_cndmask_b32_e64 v53, v53, v56, s[0:1]
	v_and_or_b32 v1, v1, s30, v12
	v_lshl_or_b32 v53, v53, 7, v1
.LBB258_667:                            ;   in Loop: Header=BB258_376 Depth=1
	s_or_b64 exec, exec, s[20:21]
.LBB258_668:                            ;   in Loop: Header=BB258_376 Depth=1
	s_or_b64 exec, exec, s[18:19]
.LBB258_669:                            ;   in Loop: Header=BB258_376 Depth=1
	s_or_b64 exec, exec, s[16:17]
	v_cmp_lt_u64_e64 s[0:1], s[4:5], v[9:10]
	v_mov_b32_e32 v9, 0
	s_and_saveexec_b64 s[16:17], s[0:1]
	s_cbranch_execz .LBB258_675
; %bb.670:                              ;   in Loop: Header=BB258_376 Depth=1
	v_lshrrev_b32_e32 v1, 24, v10
	v_cmp_ne_u32_e64 s[0:1], s28, v1
	v_bfrev_b32_e32 v9, 1
	s_and_saveexec_b64 s[18:19], s[0:1]
	s_cbranch_execz .LBB258_674
; %bb.671:                              ;   in Loop: Header=BB258_376 Depth=1
	v_and_b32_e32 v10, 0x7f, v1
	v_cmp_ne_u32_e64 s[0:1], s29, v10
	v_mov_b32_e32 v9, 0x7c010000
	s_and_saveexec_b64 s[20:21], s[0:1]
	s_cbranch_execz .LBB258_673
; %bb.672:                              ;   in Loop: Header=BB258_376 Depth=1
	v_and_b32_e32 v9, 7, v1
	v_ffbh_u32_e32 v56, v9
	v_min_u32_e32 v58, 32, v56
	v_subrev_u32_e32 v56, 28, v58
	v_lshlrev_b64 v[56:57], v56, v[1:2]
	v_lshrrev_b32_e32 v12, 3, v10
	v_sub_u32_e32 v57, 29, v58
	v_cmp_gt_u32_e64 s[0:1], 8, v10
	v_cndmask_b32_e64 v10, v12, v57, s[0:1]
	v_lshlrev_b32_e32 v1, 8, v1
	v_lshl_add_u32 v10, v10, 10, v27
	v_and_b32_e32 v12, 7, v56
	v_and_or_b32 v1, v1, s30, v10
	v_cndmask_b32_e64 v9, v9, v12, s[0:1]
	v_lshlrev_b32_e32 v1, 16, v1
	v_lshl_or_b32 v9, v9, 23, v1
.LBB258_673:                            ;   in Loop: Header=BB258_376 Depth=1
	s_or_b64 exec, exec, s[20:21]
.LBB258_674:                            ;   in Loop: Header=BB258_376 Depth=1
	s_or_b64 exec, exec, s[18:19]
.LBB258_675:                            ;   in Loop: Header=BB258_376 Depth=1
	s_or_b64 exec, exec, s[16:17]
	s_waitcnt vmcnt(0)
	v_fma_mixlo_f16 v10, v49, v11, 0 op_sel:[0,1,0] op_sel_hi:[0,1,0]
	v_fma_mixlo_f16 v12, v49, v50, 0 op_sel:[0,1,0] op_sel_hi:[0,1,0]
	v_or_b32_e32 v1, v11, v52
	v_lshlrev_b32_e32 v11, 16, v10
	v_or_b32_e32 v10, v50, v51
	v_lshlrev_b32_e32 v51, 16, v12
	v_or_b32_e32 v12, v55, v54
	v_or_b32_e32 v53, v9, v53
	v_fma_mixlo_f16 v1, v49, v1, 0 op_sel_hi:[0,1,0]
	v_fma_mixlo_f16 v10, v49, v10, 0 op_sel_hi:[0,1,0]
	v_fma_mixlo_f16 v50, v49, v55, 0 op_sel:[0,1,0] op_sel_hi:[0,1,0]
	v_fma_mixlo_f16 v12, v49, v12, 0 op_sel_hi:[0,1,0]
	v_fma_mixlo_f16 v53, v49, v53, 0 op_sel_hi:[0,1,0]
	v_fma_mixlo_f16 v9, v49, v9, 0 op_sel:[0,1,0] op_sel_hi:[0,1,0]
	v_and_b32_e32 v52, 0xffff, v1
	v_and_b32_e32 v56, 0xffff, v10
	v_lshlrev_b32_e32 v50, 16, v50
	v_and_b32_e32 v54, 0xffff, v12
	v_lshlrev_b32_e32 v9, 16, v9
	v_and_b32_e32 v49, 0xffff, v53
	v_or_b32_e32 v1, v11, v52
	v_or_b32_e32 v10, v51, v56
	;; [unrolled: 1-line block ×4, first 2 shown]
	s_and_saveexec_b64 s[16:17], vcc
	s_cbranch_execz .LBB258_677
; %bb.676:                              ;   in Loop: Header=BB258_376 Depth=1
	v_cmp_gt_i32_e64 s[0:1], s33, v28
	v_cndmask_b32_e64 v1, 0, v56, s[0:1]
	v_cmp_gt_i32_e64 s[0:1], s33, v35
	v_cndmask_b32_e64 v10, 0, v51, s[0:1]
	v_cmp_gt_i32_e64 s[0:1], s33, v34
	v_or_b32_e32 v10, v10, v1
	v_cndmask_b32_e64 v1, 0, v52, s[0:1]
	v_cmp_gt_i32_e64 s[0:1], s33, v33
	v_cndmask_b32_e64 v11, 0, v11, s[0:1]
	v_cmp_gt_i32_e64 s[0:1], s33, v32
	v_or_b32_e32 v1, v11, v1
	;; [unrolled: 5-line block ×3, first 2 shown]
	v_cndmask_b32_e64 v11, 0, v49, s[0:1]
	v_cmp_gt_i32_e64 s[0:1], s33, v29
	v_cndmask_b32_e64 v9, 0, v9, s[0:1]
	v_or_b32_e32 v53, v9, v11
.LBB258_677:                            ;   in Loop: Header=BB258_376 Depth=1
	s_or_b64 exec, exec, s[16:17]
	;;#ASMSTART
	v_pk_mul_f16 v9, v39, v10;

	;;#ASMEND
	;;#ASMSTART
	v_pk_mul_f16 v1, v38, v1;

	;;#ASMEND
	;; [unrolled: 4-line block ×4, first 2 shown]
	;;#ASMSTART
	v_pk_add_f16 v1, v9, v1;

	;;#ASMEND
	;;#ASMSTART
	v_pk_add_f16 v1, v1, v10;

	;;#ASMEND
	;; [unrolled: 4-line block ×3, first 2 shown]
	v_lshrrev_b32_e32 v10, 16, v1
	v_and_b32_e32 v1, 0xffff, v1
	;;#ASMSTART
	v_cvt_f32_f16 v9, v1;
	;;#ASMEND
	;;#ASMSTART
	v_cvt_f32_f16 v10, v10;
	;;#ASMEND
	global_load_dwordx2 v[7:8], v[7:8], off offset:3072
	v_mov_b32_e32 v50, 0
	global_load_dword v49, v50, s[14:15]
	v_mov_b32_e32 v51, 0
	s_waitcnt vmcnt(1)
	v_cmp_ne_u16_sdwa s[0:1], v7, v2 src0_sel:BYTE_0 src1_sel:DWORD
	s_and_saveexec_b64 s[16:17], s[0:1]
	s_cbranch_execz .LBB258_683
; %bb.678:                              ;   in Loop: Header=BB258_376 Depth=1
	v_cmp_ne_u16_sdwa s[0:1], v7, s28 src0_sel:BYTE_0 src1_sel:DWORD
	v_mov_b32_e32 v51, 0x8000
	s_and_saveexec_b64 s[18:19], s[0:1]
	s_cbranch_execz .LBB258_682
; %bb.679:                              ;   in Loop: Header=BB258_376 Depth=1
	v_and_b32_e32 v1, 0x7f, v7
	v_cmp_ne_u32_e64 s[0:1], s29, v1
	v_mov_b32_e32 v51, 0x7c01
	s_and_saveexec_b64 s[20:21], s[0:1]
	s_cbranch_execz .LBB258_681
; %bb.680:                              ;   in Loop: Header=BB258_376 Depth=1
	v_and_b32_e32 v51, 7, v7
	v_ffbh_u32_e32 v11, v51
	v_min_u32_e32 v53, 32, v11
	v_subrev_u32_e32 v11, 28, v53
	v_lshlrev_b64 v[11:12], v11, v[7:8]
	v_lshrrev_b32_e32 v52, 3, v1
	v_sub_u32_e32 v12, 29, v53
	v_cmp_gt_u32_e64 s[0:1], 8, v1
	v_cndmask_b32_e64 v1, v52, v12, s[0:1]
	v_lshl_add_u32 v1, v1, 10, v27
	v_lshlrev_b32_e32 v12, 8, v7
	v_and_b32_e32 v11, 7, v11
	v_and_b32_e32 v1, 0xfc00, v1
	v_cndmask_b32_e64 v11, v51, v11, s[0:1]
	v_and_or_b32 v1, v12, s30, v1
	v_lshl_or_b32 v51, v11, 7, v1
.LBB258_681:                            ;   in Loop: Header=BB258_376 Depth=1
	s_or_b64 exec, exec, s[20:21]
.LBB258_682:                            ;   in Loop: Header=BB258_376 Depth=1
	s_or_b64 exec, exec, s[18:19]
.LBB258_683:                            ;   in Loop: Header=BB258_376 Depth=1
	s_or_b64 exec, exec, s[16:17]
	v_lshrrev_b16_e32 v1, 8, v7
	v_cmp_ne_u16_e64 s[0:1], 0, v1
	s_and_saveexec_b64 s[16:17], s[0:1]
	s_cbranch_execz .LBB258_689
; %bb.684:                              ;   in Loop: Header=BB258_376 Depth=1
	v_cmp_ne_u16_e64 s[0:1], s28, v1
	v_bfrev_b32_e32 v50, 1
	s_and_saveexec_b64 s[18:19], s[0:1]
	s_cbranch_execz .LBB258_688
; %bb.685:                              ;   in Loop: Header=BB258_376 Depth=1
	v_and_b32_e32 v11, 0x7f, v1
	v_cmp_ne_u32_e64 s[0:1], s29, v11
	v_mov_b32_e32 v50, 0x7c010000
	s_and_saveexec_b64 s[20:21], s[0:1]
	s_cbranch_execz .LBB258_687
; %bb.686:                              ;   in Loop: Header=BB258_376 Depth=1
	v_and_b32_e32 v12, 7, v1
	v_ffbh_u32_e32 v52, v12
	v_min_u32_e32 v54, 32, v52
	v_subrev_u32_e32 v52, 28, v54
	v_lshlrev_b64 v[52:53], v52, v[1:2]
	v_lshrrev_b32_e32 v50, 3, v11
	v_sub_u32_e32 v53, 29, v54
	v_cmp_gt_u32_e64 s[0:1], 8, v11
	v_cndmask_b32_e64 v11, v50, v53, s[0:1]
	v_lshlrev_b32_e32 v1, 8, v1
	v_lshl_add_u32 v11, v11, 10, v27
	v_and_b32_e32 v50, 7, v52
	v_and_or_b32 v1, v1, s30, v11
	v_cndmask_b32_e64 v12, v12, v50, s[0:1]
	v_lshlrev_b32_e32 v1, 16, v1
	v_lshl_or_b32 v50, v12, 23, v1
.LBB258_687:                            ;   in Loop: Header=BB258_376 Depth=1
	s_or_b64 exec, exec, s[20:21]
.LBB258_688:                            ;   in Loop: Header=BB258_376 Depth=1
	s_or_b64 exec, exec, s[18:19]
.LBB258_689:                            ;   in Loop: Header=BB258_376 Depth=1
	s_or_b64 exec, exec, s[16:17]
	v_lshrrev_b32_e32 v1, 16, v7
	v_cmp_ne_u16_sdwa s[0:1], v1, v2 src0_sel:BYTE_0 src1_sel:DWORD
	v_mov_b32_e32 v11, 0
	v_mov_b32_e32 v52, 0
	s_and_saveexec_b64 s[16:17], s[0:1]
	s_cbranch_execz .LBB258_695
; %bb.690:                              ;   in Loop: Header=BB258_376 Depth=1
	v_cmp_ne_u16_sdwa s[0:1], v1, s28 src0_sel:BYTE_0 src1_sel:DWORD
	v_mov_b32_e32 v52, 0x8000
	s_and_saveexec_b64 s[18:19], s[0:1]
	s_cbranch_execz .LBB258_694
; %bb.691:                              ;   in Loop: Header=BB258_376 Depth=1
	v_bfe_u32 v12, v7, 16, 7
	v_cmp_ne_u32_e64 s[0:1], s29, v12
	v_mov_b32_e32 v52, 0x7c01
	s_and_saveexec_b64 s[20:21], s[0:1]
	s_cbranch_execz .LBB258_693
; %bb.692:                              ;   in Loop: Header=BB258_376 Depth=1
	v_and_b32_e32 v54, 7, v1
	v_ffbh_u32_e32 v52, v54
	v_min_u32_e32 v56, 32, v52
	v_subrev_u32_e32 v52, 28, v56
	v_lshlrev_b64 v[52:53], v52, v[1:2]
	v_lshrrev_b32_e32 v55, 3, v12
	v_sub_u32_e32 v53, 29, v56
	v_cmp_gt_u32_e64 s[0:1], 8, v12
	v_cndmask_b32_e64 v12, v55, v53, s[0:1]
	v_lshl_add_u32 v12, v12, 10, v27
	v_lshlrev_b32_e32 v1, 8, v1
	v_and_b32_e32 v52, 7, v52
	v_and_b32_e32 v12, 0xfc00, v12
	v_cndmask_b32_e64 v52, v54, v52, s[0:1]
	v_and_or_b32 v1, v1, s30, v12
	v_lshl_or_b32 v52, v52, 7, v1
.LBB258_693:                            ;   in Loop: Header=BB258_376 Depth=1
	s_or_b64 exec, exec, s[20:21]
.LBB258_694:                            ;   in Loop: Header=BB258_376 Depth=1
	s_or_b64 exec, exec, s[18:19]
.LBB258_695:                            ;   in Loop: Header=BB258_376 Depth=1
	s_or_b64 exec, exec, s[16:17]
	v_cmp_lt_u32_e64 s[0:1], s5, v7
	s_and_saveexec_b64 s[16:17], s[0:1]
	s_cbranch_execz .LBB258_701
; %bb.696:                              ;   in Loop: Header=BB258_376 Depth=1
	v_lshrrev_b32_e32 v1, 24, v7
	v_cmp_ne_u32_e64 s[0:1], s28, v1
	v_bfrev_b32_e32 v11, 1
	s_and_saveexec_b64 s[18:19], s[0:1]
	s_cbranch_execz .LBB258_700
; %bb.697:                              ;   in Loop: Header=BB258_376 Depth=1
	v_and_b32_e32 v12, 0x7f, v1
	v_cmp_ne_u32_e64 s[0:1], s29, v12
	v_mov_b32_e32 v11, 0x7c010000
	s_and_saveexec_b64 s[20:21], s[0:1]
	s_cbranch_execz .LBB258_699
; %bb.698:                              ;   in Loop: Header=BB258_376 Depth=1
	v_and_b32_e32 v11, 7, v1
	v_ffbh_u32_e32 v53, v11
	v_min_u32_e32 v56, 32, v53
	v_subrev_u32_e32 v53, 28, v56
	v_lshlrev_b64 v[53:54], v53, v[1:2]
	v_lshrrev_b32_e32 v55, 3, v12
	v_sub_u32_e32 v54, 29, v56
	v_cmp_gt_u32_e64 s[0:1], 8, v12
	v_cndmask_b32_e64 v12, v55, v54, s[0:1]
	v_lshlrev_b32_e32 v1, 8, v1
	v_lshl_add_u32 v12, v12, 10, v27
	v_and_b32_e32 v53, 7, v53
	v_and_or_b32 v1, v1, s30, v12
	v_cndmask_b32_e64 v11, v11, v53, s[0:1]
	v_lshlrev_b32_e32 v1, 16, v1
	v_lshl_or_b32 v11, v11, 23, v1
.LBB258_699:                            ;   in Loop: Header=BB258_376 Depth=1
	s_or_b64 exec, exec, s[20:21]
.LBB258_700:                            ;   in Loop: Header=BB258_376 Depth=1
	s_or_b64 exec, exec, s[18:19]
.LBB258_701:                            ;   in Loop: Header=BB258_376 Depth=1
	s_or_b64 exec, exec, s[16:17]
	v_mov_b32_e32 v1, v8
	v_cmp_ne_u16_sdwa s[0:1], v8, v2 src0_sel:BYTE_0 src1_sel:DWORD
	v_mov_b32_e32 v53, 0
	v_mov_b32_e32 v54, 0
	s_and_saveexec_b64 s[16:17], s[0:1]
	s_cbranch_execz .LBB258_707
; %bb.702:                              ;   in Loop: Header=BB258_376 Depth=1
	v_cmp_ne_u16_sdwa s[0:1], v8, s28 src0_sel:BYTE_0 src1_sel:DWORD
	v_mov_b32_e32 v54, 0x8000
	s_and_saveexec_b64 s[18:19], s[0:1]
	s_cbranch_execz .LBB258_706
; %bb.703:                              ;   in Loop: Header=BB258_376 Depth=1
	v_and_b32_e32 v12, 0x7f, v8
	v_cmp_ne_u32_e64 s[0:1], s29, v12
	v_mov_b32_e32 v54, 0x7c01
	s_and_saveexec_b64 s[20:21], s[0:1]
	s_cbranch_execz .LBB258_705
; %bb.704:                              ;   in Loop: Header=BB258_376 Depth=1
	v_and_b32_e32 v56, 7, v8
	v_ffbh_u32_e32 v54, v56
	v_min_u32_e32 v58, 32, v54
	v_subrev_u32_e32 v54, 28, v58
	v_lshlrev_b64 v[54:55], v54, v[1:2]
	v_lshrrev_b32_e32 v57, 3, v12
	v_sub_u32_e32 v55, 29, v58
	v_cmp_gt_u32_e64 s[0:1], 8, v12
	v_cndmask_b32_e64 v12, v57, v55, s[0:1]
	v_lshl_add_u32 v12, v12, 10, v27
	v_lshlrev_b32_e32 v55, 8, v8
	v_and_b32_e32 v54, 7, v54
	v_and_b32_e32 v12, 0xfc00, v12
	v_cndmask_b32_e64 v54, v56, v54, s[0:1]
	v_and_or_b32 v12, v55, s30, v12
	v_lshl_or_b32 v54, v54, 7, v12
.LBB258_705:                            ;   in Loop: Header=BB258_376 Depth=1
	s_or_b64 exec, exec, s[20:21]
.LBB258_706:                            ;   in Loop: Header=BB258_376 Depth=1
	s_or_b64 exec, exec, s[18:19]
.LBB258_707:                            ;   in Loop: Header=BB258_376 Depth=1
	s_or_b64 exec, exec, s[16:17]
	v_lshrrev_b16_e32 v1, 8, v1
	v_cmp_ne_u16_e64 s[0:1], 0, v1
	v_mov_b32_e32 v55, 0
	s_and_saveexec_b64 s[16:17], s[0:1]
	s_cbranch_execz .LBB258_713
; %bb.708:                              ;   in Loop: Header=BB258_376 Depth=1
	v_cmp_ne_u16_e64 s[0:1], s28, v1
	v_bfrev_b32_e32 v55, 1
	s_and_saveexec_b64 s[18:19], s[0:1]
	s_cbranch_execz .LBB258_712
; %bb.709:                              ;   in Loop: Header=BB258_376 Depth=1
	v_and_b32_e32 v12, 0x7f, v1
	v_cmp_ne_u32_e64 s[0:1], s29, v12
	v_mov_b32_e32 v55, 0x7c010000
	s_and_saveexec_b64 s[20:21], s[0:1]
	s_cbranch_execz .LBB258_711
; %bb.710:                              ;   in Loop: Header=BB258_376 Depth=1
	v_and_b32_e32 v57, 7, v1
	v_ffbh_u32_e32 v55, v57
	v_min_u32_e32 v59, 32, v55
	v_subrev_u32_e32 v55, 28, v59
	v_lshlrev_b64 v[55:56], v55, v[1:2]
	v_lshrrev_b32_e32 v58, 3, v12
	v_sub_u32_e32 v56, 29, v59
	v_cmp_gt_u32_e64 s[0:1], 8, v12
	v_cndmask_b32_e64 v12, v58, v56, s[0:1]
	v_lshlrev_b32_e32 v1, 8, v1
	v_lshl_add_u32 v12, v12, 10, v27
	v_and_b32_e32 v55, 7, v55
	v_and_or_b32 v1, v1, s30, v12
	v_cndmask_b32_e64 v55, v57, v55, s[0:1]
	v_lshlrev_b32_e32 v1, 16, v1
	v_lshl_or_b32 v55, v55, 23, v1
.LBB258_711:                            ;   in Loop: Header=BB258_376 Depth=1
	s_or_b64 exec, exec, s[20:21]
.LBB258_712:                            ;   in Loop: Header=BB258_376 Depth=1
	s_or_b64 exec, exec, s[18:19]
.LBB258_713:                            ;   in Loop: Header=BB258_376 Depth=1
	s_or_b64 exec, exec, s[16:17]
	v_lshrrev_b32_e32 v1, 16, v8
	v_cmp_ne_u16_sdwa s[0:1], v1, v2 src0_sel:BYTE_0 src1_sel:DWORD
	s_and_saveexec_b64 s[16:17], s[0:1]
	s_cbranch_execz .LBB258_719
; %bb.714:                              ;   in Loop: Header=BB258_376 Depth=1
	v_cmp_ne_u16_sdwa s[0:1], v1, s28 src0_sel:BYTE_0 src1_sel:DWORD
	v_mov_b32_e32 v53, 0x8000
	s_and_saveexec_b64 s[18:19], s[0:1]
	s_cbranch_execz .LBB258_718
; %bb.715:                              ;   in Loop: Header=BB258_376 Depth=1
	v_bfe_u32 v12, v8, 16, 7
	v_cmp_ne_u32_e64 s[0:1], s29, v12
	v_mov_b32_e32 v53, 0x7c01
	s_and_saveexec_b64 s[20:21], s[0:1]
	s_cbranch_execz .LBB258_717
; %bb.716:                              ;   in Loop: Header=BB258_376 Depth=1
	v_and_b32_e32 v53, 7, v1
	v_ffbh_u32_e32 v56, v53
	v_min_u32_e32 v59, 32, v56
	v_subrev_u32_e32 v56, 28, v59
	v_lshlrev_b64 v[56:57], v56, v[1:2]
	v_lshrrev_b32_e32 v58, 3, v12
	v_sub_u32_e32 v57, 29, v59
	v_cmp_gt_u32_e64 s[0:1], 8, v12
	v_cndmask_b32_e64 v12, v58, v57, s[0:1]
	v_lshl_add_u32 v12, v12, 10, v27
	v_lshlrev_b32_e32 v1, 8, v1
	v_and_b32_e32 v56, 7, v56
	v_and_b32_e32 v12, 0xfc00, v12
	v_cndmask_b32_e64 v53, v53, v56, s[0:1]
	v_and_or_b32 v1, v1, s30, v12
	v_lshl_or_b32 v53, v53, 7, v1
.LBB258_717:                            ;   in Loop: Header=BB258_376 Depth=1
	s_or_b64 exec, exec, s[20:21]
.LBB258_718:                            ;   in Loop: Header=BB258_376 Depth=1
	s_or_b64 exec, exec, s[18:19]
.LBB258_719:                            ;   in Loop: Header=BB258_376 Depth=1
	s_or_b64 exec, exec, s[16:17]
	v_cmp_lt_u64_e64 s[0:1], s[4:5], v[7:8]
	v_mov_b32_e32 v12, 0
	s_and_saveexec_b64 s[16:17], s[0:1]
	s_cbranch_execz .LBB258_725
; %bb.720:                              ;   in Loop: Header=BB258_376 Depth=1
	v_lshrrev_b32_e32 v1, 24, v8
	v_cmp_ne_u32_e64 s[0:1], s28, v1
	v_bfrev_b32_e32 v12, 1
	s_and_saveexec_b64 s[18:19], s[0:1]
	s_cbranch_execz .LBB258_724
; %bb.721:                              ;   in Loop: Header=BB258_376 Depth=1
	v_and_b32_e32 v7, 0x7f, v1
	v_cmp_ne_u32_e64 s[0:1], s29, v7
	v_mov_b32_e32 v12, 0x7c010000
	s_and_saveexec_b64 s[20:21], s[0:1]
	s_cbranch_execz .LBB258_723
; %bb.722:                              ;   in Loop: Header=BB258_376 Depth=1
	v_and_b32_e32 v8, 7, v1
	v_ffbh_u32_e32 v56, v8
	v_min_u32_e32 v58, 32, v56
	v_subrev_u32_e32 v56, 28, v58
	v_lshlrev_b64 v[56:57], v56, v[1:2]
	v_lshrrev_b32_e32 v12, 3, v7
	v_sub_u32_e32 v57, 29, v58
	v_cmp_gt_u32_e64 s[0:1], 8, v7
	v_cndmask_b32_e64 v7, v12, v57, s[0:1]
	v_lshlrev_b32_e32 v1, 8, v1
	v_lshl_add_u32 v7, v7, 10, v27
	v_and_b32_e32 v12, 7, v56
	v_and_or_b32 v1, v1, s30, v7
	v_cndmask_b32_e64 v8, v8, v12, s[0:1]
	v_lshlrev_b32_e32 v1, 16, v1
	v_lshl_or_b32 v12, v8, 23, v1
.LBB258_723:                            ;   in Loop: Header=BB258_376 Depth=1
	s_or_b64 exec, exec, s[20:21]
.LBB258_724:                            ;   in Loop: Header=BB258_376 Depth=1
	s_or_b64 exec, exec, s[18:19]
.LBB258_725:                            ;   in Loop: Header=BB258_376 Depth=1
	s_or_b64 exec, exec, s[16:17]
	v_or_b32_e32 v1, v11, v52
	s_waitcnt vmcnt(0)
	v_fma_mixlo_f16 v7, v49, v11, 0 op_sel:[0,1,0] op_sel_hi:[0,1,0]
	v_fma_mixlo_f16 v8, v49, v50, 0 op_sel:[0,1,0] op_sel_hi:[0,1,0]
	;; [unrolled: 1-line block ×3, first 2 shown]
	v_lshlrev_b32_e32 v52, 16, v7
	v_or_b32_e32 v7, v50, v51
	v_lshlrev_b32_e32 v51, 16, v8
	v_or_b32_e32 v8, v55, v54
	;; [unrolled: 2-line block ×3, first 2 shown]
	v_fma_mixlo_f16 v1, v49, v1, 0 op_sel_hi:[0,1,0]
	v_fma_mixlo_f16 v7, v49, v7, 0 op_sel_hi:[0,1,0]
	;; [unrolled: 1-line block ×4, first 2 shown]
	v_fma_mixlo_f16 v12, v49, v12, 0 op_sel:[0,1,0] op_sel_hi:[0,1,0]
	v_and_b32_e32 v56, 0xffff, v1
	v_and_b32_e32 v57, 0xffff, v7
	;; [unrolled: 1-line block ×3, first 2 shown]
	v_lshlrev_b32_e32 v12, 16, v12
	v_and_b32_e32 v49, 0xffff, v11
	v_or_b32_e32 v1, v52, v56
	v_or_b32_e32 v7, v51, v57
	;; [unrolled: 1-line block ×4, first 2 shown]
	s_and_saveexec_b64 s[0:1], vcc
	s_cbranch_execz .LBB258_374
; %bb.726:                              ;   in Loop: Header=BB258_376 Depth=1
	v_cmp_gt_i32_e32 vcc, s33, v28
	v_cndmask_b32_e32 v1, 0, v57, vcc
	v_cmp_gt_i32_e32 vcc, s33, v35
	v_cndmask_b32_e32 v7, 0, v51, vcc
	v_cmp_gt_i32_e32 vcc, s33, v34
	v_or_b32_e32 v7, v7, v1
	v_cndmask_b32_e32 v1, 0, v56, vcc
	v_cmp_gt_i32_e32 vcc, s33, v33
	v_cndmask_b32_e32 v8, 0, v52, vcc
	v_cmp_gt_i32_e32 vcc, s33, v32
	v_or_b32_e32 v1, v8, v1
	;; [unrolled: 5-line block ×3, first 2 shown]
	v_cndmask_b32_e32 v11, 0, v49, vcc
	v_cmp_gt_i32_e32 vcc, s33, v29
	v_cndmask_b32_e32 v12, 0, v12, vcc
	v_or_b32_e32 v11, v12, v11
	s_branch .LBB258_374
.LBB258_727:
	s_or_b64 exec, exec, s[6:7]
.LBB258_728:
	s_or_b64 exec, exec, s[2:3]
	ds_bpermute_b32 v0, v15, v24
	ds_bpermute_b32 v1, v15, v25
	;; [unrolled: 1-line block ×3, first 2 shown]
	s_waitcnt vmcnt(0) lgkmcnt(0)
	s_barrier
	v_add_f32_e32 v0, v24, v0
	v_add_f32_e32 v3, v25, v1
	ds_bpermute_b32 v1, v16, v0
	ds_bpermute_b32 v4, v16, v3
	s_waitcnt lgkmcnt(0)
	ds_bpermute_b32 v2, v15, v22
	ds_bpermute_b32 v8, v15, v18
	v_add_f32_e32 v1, v0, v1
	v_add_f32_e32 v0, v3, v4
	ds_bpermute_b32 v3, v15, v20
	v_add_f32_e32 v4, v21, v5
	ds_bpermute_b32 v5, v15, v19
	ds_bpermute_b32 v7, v16, v4
	s_waitcnt lgkmcnt(4)
	v_add_f32_e32 v2, v22, v2
	s_waitcnt lgkmcnt(2)
	v_add_f32_e32 v3, v20, v3
	ds_bpermute_b32 v9, v16, v3
	s_waitcnt lgkmcnt(2)
	v_add_f32_e32 v10, v19, v5
	s_waitcnt lgkmcnt(1)
	v_add_f32_e32 v5, v4, v7
	v_add_f32_e32 v8, v18, v8
	ds_bpermute_b32 v6, v16, v2
	s_waitcnt lgkmcnt(1)
	v_add_f32_e32 v4, v3, v9
	buffer_load_dword v9, off, s[56:59], 0 offset:92 ; 4-byte Folded Reload
	ds_bpermute_b32 v12, v16, v8
	ds_bpermute_b32 v11, v16, v10
	s_waitcnt lgkmcnt(2)
	v_add_f32_e32 v6, v2, v6
	s_waitcnt lgkmcnt(1)
	v_add_f32_e32 v2, v8, v12
	;; [unrolled: 2-line block ×3, first 2 shown]
	s_waitcnt vmcnt(0)
	v_and_b32_e32 v8, 0x3c3, v9
	v_cmp_eq_u32_e32 vcc, 64, v8
	s_and_saveexec_b64 s[0:1], vcc
	s_cbranch_execz .LBB258_730
; %bb.729:
	v_add_u32_e32 v7, 0xf0, v14
	ds_write2_b32 v7, v1, v0 offset1:16
	ds_write2_b32 v7, v6, v5 offset0:32 offset1:48
	ds_write2_b32 v7, v4, v3 offset0:64 offset1:80
	ds_write_b32 v7, v2 offset:384
.LBB258_730:
	s_or_b64 exec, exec, s[0:1]
	v_cmp_gt_u32_e32 vcc, 64, v9
	v_lshrrev_b32_e32 v7, 2, v9
	s_waitcnt lgkmcnt(0)
	s_barrier
	s_and_saveexec_b64 s[0:1], vcc
	s_cbranch_execz .LBB258_740
; %bb.731:
	v_mov_b32_e32 v9, 0xf0
	v_cmp_eq_u32_e32 vcc, 0, v17
	v_lshl_add_u32 v9, v7, 2, v9
	s_and_saveexec_b64 s[2:3], vcc
	s_cbranch_execnz .LBB258_743
; %bb.732:
	s_or_b64 exec, exec, s[2:3]
	s_and_saveexec_b64 s[2:3], vcc
	s_cbranch_execnz .LBB258_744
.LBB258_733:
	s_or_b64 exec, exec, s[2:3]
	s_and_saveexec_b64 s[2:3], vcc
	s_cbranch_execnz .LBB258_745
.LBB258_734:
	s_or_b64 exec, exec, s[2:3]
	s_and_saveexec_b64 s[2:3], vcc
	s_cbranch_execnz .LBB258_746
.LBB258_735:
	s_or_b64 exec, exec, s[2:3]
	s_and_saveexec_b64 s[2:3], vcc
	s_cbranch_execnz .LBB258_747
.LBB258_736:
	s_or_b64 exec, exec, s[2:3]
	s_and_saveexec_b64 s[2:3], vcc
	s_cbranch_execnz .LBB258_748
.LBB258_737:
	s_or_b64 exec, exec, s[2:3]
	s_and_saveexec_b64 s[2:3], vcc
	s_cbranch_execz .LBB258_739
.LBB258_738:
	ds_read_b32 v9, v9 offset:384
	s_waitcnt lgkmcnt(0)
	v_add_f32_e32 v2, v2, v9
.LBB258_739:
	s_or_b64 exec, exec, s[2:3]
.LBB258_740:
	s_or_b64 exec, exec, s[0:1]
	v_cmp_eq_u32_e32 vcc, 0, v8
	s_barrier
	s_and_saveexec_b64 s[0:1], vcc
	s_cbranch_execz .LBB258_742
; %bb.741:
	s_mul_i32 s0, s10, s11
	s_mul_i32 s0, s0, s9
	s_mulk_i32 s0, 0x70
	s_ashr_i32 s1, s0, 31
	s_lshl_b64 s[0:1], s[0:1], 1
	s_add_u32 s2, s26, s0
	s_mul_i32 s0, s11, s24
	s_addc_u32 s3, s27, s1
	s_ashr_i32 s1, s0, 31
	s_lshl_b64 s[0:1], s[0:1], 1
	s_add_u32 s2, s2, s0
	s_mul_i32 s0, s8, 0x70
	s_addc_u32 s3, s3, s1
	s_ashr_i32 s1, s0, 31
	s_lshl_b64 s[0:1], s[0:1], 1
	s_add_u32 s0, s2, s0
	s_addc_u32 s1, s3, s1
	v_lshlrev_b32_e32 v7, 1, v7
	;;#ASMSTART
	v_cvt_f16_f32 v1, v1;

	;;#ASMEND
	global_store_short v7, v1, s[0:1]
	;;#ASMSTART
	v_cvt_f16_f32 v0, v0;

	;;#ASMEND
	global_store_short v7, v0, s[0:1] offset:32
	;;#ASMSTART
	v_cvt_f16_f32 v0, v6;

	;;#ASMEND
	global_store_short v7, v0, s[0:1] offset:64
	;; [unrolled: 5-line block ×6, first 2 shown]
.LBB258_742:
	s_endpgm
.LBB258_743:
	ds_read_b32 v10, v9
	s_waitcnt lgkmcnt(0)
	v_add_f32_e32 v1, v1, v10
	s_or_b64 exec, exec, s[2:3]
	s_and_saveexec_b64 s[2:3], vcc
	s_cbranch_execz .LBB258_733
.LBB258_744:
	ds_read_b32 v10, v9 offset:64
	s_waitcnt lgkmcnt(0)
	v_add_f32_e32 v0, v0, v10
	s_or_b64 exec, exec, s[2:3]
	s_and_saveexec_b64 s[2:3], vcc
	s_cbranch_execz .LBB258_734
.LBB258_745:
	ds_read_b32 v10, v9 offset:128
	s_waitcnt lgkmcnt(0)
	v_add_f32_e32 v6, v6, v10
	s_or_b64 exec, exec, s[2:3]
	s_and_saveexec_b64 s[2:3], vcc
	s_cbranch_execz .LBB258_735
.LBB258_746:
	ds_read_b32 v10, v9 offset:192
	s_waitcnt lgkmcnt(0)
	v_add_f32_e32 v5, v5, v10
	s_or_b64 exec, exec, s[2:3]
	s_and_saveexec_b64 s[2:3], vcc
	s_cbranch_execz .LBB258_736
.LBB258_747:
	ds_read_b32 v10, v9 offset:256
	s_waitcnt lgkmcnt(0)
	v_add_f32_e32 v4, v4, v10
	s_or_b64 exec, exec, s[2:3]
	s_and_saveexec_b64 s[2:3], vcc
	s_cbranch_execz .LBB258_737
.LBB258_748:
	ds_read_b32 v10, v9 offset:320
	s_waitcnt lgkmcnt(0)
	v_add_f32_e32 v3, v3, v10
	s_or_b64 exec, exec, s[2:3]
	s_and_saveexec_b64 s[2:3], vcc
	s_cbranch_execnz .LBB258_738
	s_branch .LBB258_739
	.section	.rodata,"a",@progbits
	.p2align	6, 0x0
	.amdhsa_kernel _ZN4vllm25paged_attention_v1_kernelIthLi112ELi32ELi128ELNS_18Fp8KVCacheDataTypeE1ELb1EEEvPT_PKS2_PKT0_S8_ifPKiSA_iPKfiiiSC_SC_iiiii
		.amdhsa_group_segment_fixed_size 240
		.amdhsa_private_segment_fixed_size 112
		.amdhsa_kernarg_size 384
		.amdhsa_user_sgpr_count 6
		.amdhsa_user_sgpr_private_segment_buffer 1
		.amdhsa_user_sgpr_dispatch_ptr 0
		.amdhsa_user_sgpr_queue_ptr 0
		.amdhsa_user_sgpr_kernarg_segment_ptr 1
		.amdhsa_user_sgpr_dispatch_id 0
		.amdhsa_user_sgpr_flat_scratch_init 0
		.amdhsa_user_sgpr_private_segment_size 0
		.amdhsa_uses_dynamic_stack 0
		.amdhsa_system_sgpr_private_segment_wavefront_offset 1
		.amdhsa_system_sgpr_workgroup_id_x 1
		.amdhsa_system_sgpr_workgroup_id_y 1
		.amdhsa_system_sgpr_workgroup_id_z 1
		.amdhsa_system_sgpr_workgroup_info 0
		.amdhsa_system_vgpr_workitem_id 0
		.amdhsa_next_free_vgpr 64
		.amdhsa_next_free_sgpr 60
		.amdhsa_reserve_vcc 1
		.amdhsa_reserve_flat_scratch 0
		.amdhsa_float_round_mode_32 0
		.amdhsa_float_round_mode_16_64 0
		.amdhsa_float_denorm_mode_32 3
		.amdhsa_float_denorm_mode_16_64 3
		.amdhsa_dx10_clamp 1
		.amdhsa_ieee_mode 1
		.amdhsa_fp16_overflow 0
		.amdhsa_exception_fp_ieee_invalid_op 0
		.amdhsa_exception_fp_denorm_src 0
		.amdhsa_exception_fp_ieee_div_zero 0
		.amdhsa_exception_fp_ieee_overflow 0
		.amdhsa_exception_fp_ieee_underflow 0
		.amdhsa_exception_fp_ieee_inexact 0
		.amdhsa_exception_int_div_zero 0
	.end_amdhsa_kernel
	.section	.text._ZN4vllm25paged_attention_v1_kernelIthLi112ELi32ELi128ELNS_18Fp8KVCacheDataTypeE1ELb1EEEvPT_PKS2_PKT0_S8_ifPKiSA_iPKfiiiSC_SC_iiiii,"axG",@progbits,_ZN4vllm25paged_attention_v1_kernelIthLi112ELi32ELi128ELNS_18Fp8KVCacheDataTypeE1ELb1EEEvPT_PKS2_PKT0_S8_ifPKiSA_iPKfiiiSC_SC_iiiii,comdat
.Lfunc_end258:
	.size	_ZN4vllm25paged_attention_v1_kernelIthLi112ELi32ELi128ELNS_18Fp8KVCacheDataTypeE1ELb1EEEvPT_PKS2_PKT0_S8_ifPKiSA_iPKfiiiSC_SC_iiiii, .Lfunc_end258-_ZN4vllm25paged_attention_v1_kernelIthLi112ELi32ELi128ELNS_18Fp8KVCacheDataTypeE1ELb1EEEvPT_PKS2_PKT0_S8_ifPKiSA_iPKfiiiSC_SC_iiiii
                                        ; -- End function
	.set _ZN4vllm25paged_attention_v1_kernelIthLi112ELi32ELi128ELNS_18Fp8KVCacheDataTypeE1ELb1EEEvPT_PKS2_PKT0_S8_ifPKiSA_iPKfiiiSC_SC_iiiii.num_vgpr, 64
	.set _ZN4vllm25paged_attention_v1_kernelIthLi112ELi32ELi128ELNS_18Fp8KVCacheDataTypeE1ELb1EEEvPT_PKS2_PKT0_S8_ifPKiSA_iPKfiiiSC_SC_iiiii.num_agpr, 0
	.set _ZN4vllm25paged_attention_v1_kernelIthLi112ELi32ELi128ELNS_18Fp8KVCacheDataTypeE1ELb1EEEvPT_PKS2_PKT0_S8_ifPKiSA_iPKfiiiSC_SC_iiiii.numbered_sgpr, 60
	.set _ZN4vllm25paged_attention_v1_kernelIthLi112ELi32ELi128ELNS_18Fp8KVCacheDataTypeE1ELb1EEEvPT_PKS2_PKT0_S8_ifPKiSA_iPKfiiiSC_SC_iiiii.num_named_barrier, 0
	.set _ZN4vllm25paged_attention_v1_kernelIthLi112ELi32ELi128ELNS_18Fp8KVCacheDataTypeE1ELb1EEEvPT_PKS2_PKT0_S8_ifPKiSA_iPKfiiiSC_SC_iiiii.private_seg_size, 112
	.set _ZN4vllm25paged_attention_v1_kernelIthLi112ELi32ELi128ELNS_18Fp8KVCacheDataTypeE1ELb1EEEvPT_PKS2_PKT0_S8_ifPKiSA_iPKfiiiSC_SC_iiiii.uses_vcc, 1
	.set _ZN4vllm25paged_attention_v1_kernelIthLi112ELi32ELi128ELNS_18Fp8KVCacheDataTypeE1ELb1EEEvPT_PKS2_PKT0_S8_ifPKiSA_iPKfiiiSC_SC_iiiii.uses_flat_scratch, 0
	.set _ZN4vllm25paged_attention_v1_kernelIthLi112ELi32ELi128ELNS_18Fp8KVCacheDataTypeE1ELb1EEEvPT_PKS2_PKT0_S8_ifPKiSA_iPKfiiiSC_SC_iiiii.has_dyn_sized_stack, 0
	.set _ZN4vllm25paged_attention_v1_kernelIthLi112ELi32ELi128ELNS_18Fp8KVCacheDataTypeE1ELb1EEEvPT_PKS2_PKT0_S8_ifPKiSA_iPKfiiiSC_SC_iiiii.has_recursion, 0
	.set _ZN4vllm25paged_attention_v1_kernelIthLi112ELi32ELi128ELNS_18Fp8KVCacheDataTypeE1ELb1EEEvPT_PKS2_PKT0_S8_ifPKiSA_iPKfiiiSC_SC_iiiii.has_indirect_call, 0
	.section	.AMDGPU.csdata,"",@progbits
; Kernel info:
; codeLenInByte = 31456
; TotalNumSgprs: 64
; NumVgprs: 64
; ScratchSize: 112
; MemoryBound: 0
; FloatMode: 240
; IeeeMode: 1
; LDSByteSize: 240 bytes/workgroup (compile time only)
; SGPRBlocks: 7
; VGPRBlocks: 15
; NumSGPRsForWavesPerEU: 64
; NumVGPRsForWavesPerEU: 64
; Occupancy: 4
; WaveLimiterHint : 1
; COMPUTE_PGM_RSRC2:SCRATCH_EN: 1
; COMPUTE_PGM_RSRC2:USER_SGPR: 6
; COMPUTE_PGM_RSRC2:TRAP_HANDLER: 0
; COMPUTE_PGM_RSRC2:TGID_X_EN: 1
; COMPUTE_PGM_RSRC2:TGID_Y_EN: 1
; COMPUTE_PGM_RSRC2:TGID_Z_EN: 1
; COMPUTE_PGM_RSRC2:TIDIG_COMP_CNT: 0
	.section	.text._ZN4vllm25paged_attention_v1_kernelIthLi120ELi32ELi128ELNS_18Fp8KVCacheDataTypeE1ELb1EEEvPT_PKS2_PKT0_S8_ifPKiSA_iPKfiiiSC_SC_iiiii,"axG",@progbits,_ZN4vllm25paged_attention_v1_kernelIthLi120ELi32ELi128ELNS_18Fp8KVCacheDataTypeE1ELb1EEEvPT_PKS2_PKT0_S8_ifPKiSA_iPKfiiiSC_SC_iiiii,comdat
	.protected	_ZN4vllm25paged_attention_v1_kernelIthLi120ELi32ELi128ELNS_18Fp8KVCacheDataTypeE1ELb1EEEvPT_PKS2_PKT0_S8_ifPKiSA_iPKfiiiSC_SC_iiiii ; -- Begin function _ZN4vllm25paged_attention_v1_kernelIthLi120ELi32ELi128ELNS_18Fp8KVCacheDataTypeE1ELb1EEEvPT_PKS2_PKT0_S8_ifPKiSA_iPKfiiiSC_SC_iiiii
	.globl	_ZN4vllm25paged_attention_v1_kernelIthLi120ELi32ELi128ELNS_18Fp8KVCacheDataTypeE1ELb1EEEvPT_PKS2_PKT0_S8_ifPKiSA_iPKfiiiSC_SC_iiiii
	.p2align	8
	.type	_ZN4vllm25paged_attention_v1_kernelIthLi120ELi32ELi128ELNS_18Fp8KVCacheDataTypeE1ELb1EEEvPT_PKS2_PKT0_S8_ifPKiSA_iPKfiiiSC_SC_iiiii,@function
_ZN4vllm25paged_attention_v1_kernelIthLi120ELi32ELi128ELNS_18Fp8KVCacheDataTypeE1ELb1EEEvPT_PKS2_PKT0_S8_ifPKiSA_iPKfiiiSC_SC_iiiii: ; @_ZN4vllm25paged_attention_v1_kernelIthLi120ELi32ELi128ELNS_18Fp8KVCacheDataTypeE1ELb1EEEvPT_PKS2_PKT0_S8_ifPKiSA_iPKfiiiSC_SC_iiiii
; %bb.0:
	s_mov_b64 s[58:59], s[2:3]
	s_mov_b64 s[56:57], s[0:1]
	s_add_u32 s56, s56, s9
	s_load_dword s9, s[4:5], 0x80
	s_load_dwordx2 s[0:1], s[4:5], 0x30
	s_load_dwordx2 s[36:37], s[4:5], 0x20
	s_addc_u32 s57, s57, 0
	s_mov_b32 s10, s7
	s_ashr_i32 s11, s7, 31
	s_lshl_b64 s[2:3], s[10:11], 2
	s_waitcnt lgkmcnt(0)
	s_add_u32 s0, s0, s2
	s_addc_u32 s1, s1, s3
	s_abs_i32 s2, s36
	v_mov_b32_e32 v56, v0
	v_cvt_f32_u32_e32 v0, s2
	s_sub_i32 s11, 0, s2
	s_abs_i32 s7, s9
	s_xor_b32 s3, s9, s36
	v_rcp_iflag_f32_e32 v0, v0
	s_ashr_i32 s3, s3, 31
	s_mov_b32 s49, 0
	v_mul_f32_e32 v0, 0x4f7ffffe, v0
	v_cvt_u32_f32_e32 v0, v0
	v_readfirstlane_b32 s12, v0
	s_mul_i32 s11, s11, s12
	s_mul_hi_u32 s11, s12, s11
	s_add_i32 s12, s12, s11
	s_mul_hi_u32 s11, s7, s12
	s_mul_i32 s12, s11, s2
	s_sub_i32 s7, s7, s12
	s_add_i32 s12, s11, 1
	s_sub_i32 s13, s7, s2
	s_cmp_ge_u32 s7, s2
	s_cselect_b32 s11, s12, s11
	s_cselect_b32 s7, s13, s7
	s_add_i32 s12, s11, 1
	s_cmp_ge_u32 s7, s2
	s_cselect_b32 s2, s12, s11
	s_xor_b32 s2, s2, s3
	s_sub_i32 s14, s2, s3
	s_abs_i32 s11, s14
	v_cvt_f32_u32_e32 v0, s11
	s_load_dwordx2 s[2:3], s[4:5], 0x40
	s_sub_i32 s7, 0, s11
	s_abs_i32 s12, s6
	v_rcp_iflag_f32_e32 v0, v0
	v_mul_f32_e32 v0, 0x4f7ffffe, v0
	v_cvt_u32_f32_e32 v0, v0
	v_readfirstlane_b32 s13, v0
	s_mul_i32 s7, s7, s13
	s_mul_hi_u32 s7, s13, s7
	s_add_i32 s13, s13, s7
	s_waitcnt lgkmcnt(0)
	s_cmp_eq_u64 s[2:3], 0
	s_mul_hi_u32 s13, s12, s13
	s_cbranch_scc1 .LBB259_2
; %bb.1:
	s_ashr_i32 s7, s6, 31
	s_lshl_b64 s[16:17], s[6:7], 2
	s_add_u32 s2, s2, s16
	s_addc_u32 s3, s3, s17
	s_load_dword s49, s[2:3], 0x0
.LBB259_2:
	s_load_dword s33, s[0:1], 0x0
	s_load_dwordx4 s[16:19], s[4:5], 0x48
	s_ashr_i32 s2, s6, 31
	s_ashr_i32 s7, s14, 31
	v_and_b32_e32 v0, 1, v56
	s_movk_i32 s3, 0x78
	s_mul_i32 s24, s6, 0x78
	v_cmp_gt_u32_e32 vcc, 30, v56
	v_lshlrev_b32_e32 v13, 3, v56
	s_and_saveexec_b64 s[0:1], vcc
	s_cbranch_execz .LBB259_4
; %bb.3:
	s_load_dwordx2 s[14:15], s[4:5], 0x8
	s_waitcnt lgkmcnt(0)
	s_mul_i32 s20, s16, s10
	s_ashr_i32 s21, s20, 31
	s_lshl_b64 s[20:21], s[20:21], 1
	v_lshlrev_b32_e32 v3, 2, v56
	s_add_u32 s16, s14, s20
	s_addc_u32 s19, s15, s21
	s_ashr_i32 s25, s24, 31
	s_lshl_b64 s[14:15], s[24:25], 1
	s_add_u32 s14, s16, s14
	s_addc_u32 s15, s19, s15
	global_load_dwordx2 v[1:2], v13, s[14:15]
	v_and_b32_e32 v3, 0xff8, v3
	v_mad_u32_u24 v3, v0, s3, v3
	s_waitcnt vmcnt(0)
	ds_write_b64 v3, v[1:2]
.LBB259_4:
	s_or_b64 exec, exec, s[0:1]
	s_mul_i32 s1, s13, s11
	s_sub_i32 s1, s12, s1
	s_xor_b32 s0, s2, s7
	s_add_i32 s2, s13, 1
	s_sub_i32 s7, s1, s11
	s_load_dwordx4 s[20:23], s[4:5], 0x68
	s_load_dword s3, s[4:5], 0x78
	s_cmp_ge_u32 s1, s11
	s_cselect_b32 s2, s2, s13
	s_cselect_b32 s1, s7, s1
	s_add_i32 s7, s2, 1
	s_cmp_ge_u32 s1, s11
	s_cselect_b32 s1, s7, s2
	s_waitcnt lgkmcnt(0)
	s_abs_i32 s25, s23
	v_cvt_f32_u32_e32 v1, s25
	s_xor_b32 s1, s1, s0
	s_sub_i32 s2, s1, s0
	s_sub_i32 s0, 0, s25
	v_rcp_iflag_f32_e32 v1, v1
	s_add_i32 s11, s33, -1
	s_abs_i32 s7, s11
	v_mul_f32_e32 v1, 0x4f7ffffe, v1
	v_cvt_u32_f32_e32 v1, v1
	s_barrier
	v_readfirstlane_b32 s46, v1
	s_mul_i32 s0, s0, s46
	s_mul_hi_u32 s0, s46, s0
	s_add_i32 s46, s46, s0
	s_cmp_lt_i32 s3, 0
	s_mul_hi_u32 s16, s7, s46
	s_cbranch_scc0 .LBB259_6
; %bb.5:
	s_mul_i32 s0, s20, s36
	s_add_i32 s0, s2, s0
	s_mul_i32 s0, s0, s3
	s_sub_i32 s36, 1, s0
	s_mov_b64 s[0:1], 0
	s_branch .LBB259_7
.LBB259_6:
	s_mov_b64 s[0:1], -1
                                        ; implicit-def: $sgpr36
.LBB259_7:
	s_load_dwordx2 s[28:29], s[4:5], 0x28
	s_ashr_i32 s19, s11, 31
	s_andn2_b64 vcc, exec, s[0:1]
	s_ashr_i32 s47, s23, 31
	s_cbranch_vccnz .LBB259_9
; %bb.8:
	s_mul_i32 s0, s9, s20
	s_add_i32 s0, s0, s6
	s_mul_i32 s0, s0, s3
	s_add_i32 s36, s0, 1
.LBB259_9:
	s_load_dword s0, s[4:5], 0x38
	s_load_dwordx2 s[26:27], s[4:5], 0x0
	s_load_dwordx2 s[34:35], s[4:5], 0x18
	s_load_dword s11, s[4:5], 0x88
	s_load_dwordx4 s[12:15], s[4:5], 0x58
	s_mul_i32 s1, s16, s25
	s_waitcnt lgkmcnt(0)
	s_mul_i32 s30, s0, s10
	s_sub_i32 s1, s7, s1
	s_ashr_i32 s31, s30, 31
	s_xor_b32 s0, s19, s47
	s_add_i32 s3, s16, 1
	s_sub_i32 s6, s1, s25
	s_cmp_ge_u32 s1, s25
	s_cselect_b32 s3, s3, s16
	s_cselect_b32 s1, s6, s1
	s_add_i32 s6, s3, 1
	s_cmp_ge_u32 s1, s25
	s_cselect_b32 s1, s6, s3
	s_xor_b32 s1, s1, s0
	s_sub_i32 s16, s1, s0
	s_add_i32 s0, s33, 31
	s_ashr_i32 s1, s0, 31
	s_lshr_b32 s1, s1, 27
	s_add_i32 s0, s0, s1
	s_ashr_i32 s48, s0, 5
	v_lshrrev_b32_e32 v57, 6, v56
	v_lshrrev_b32_e32 v1, 4, v56
	v_cmp_le_i32_e64 s[0:1], s48, v57
	v_cmp_gt_i32_e32 vcc, s48, v57
	v_mov_b32_e32 v3, 0xff7fffff
	s_mul_i32 s20, s2, s18
	buffer_store_dword v1, off, s[56:59], 0 offset:116 ; 4-byte Folded Spill
	v_lshlrev_b32_e32 v1, 5, v57
	v_mbcnt_lo_u32_b32 v2, -1, 0
	buffer_store_dword v1, off, s[56:59], 0 offset:112 ; 4-byte Folded Spill
	s_and_saveexec_b64 s[18:19], vcc
	s_cbranch_execz .LBB259_381
; %bb.10:
	s_load_dwordx2 s[2:3], s[4:5], 0x10
	s_sub_i32 s23, s16, s21
	s_ashr_i32 s4, s20, 31
	v_cmp_eq_u32_e32 vcc, 0, v0
	v_lshlrev_b32_e32 v3, 2, v0
	s_waitcnt lgkmcnt(0)
	s_add_u32 s5, s2, s20
	s_addc_u32 s4, s3, s4
	s_abs_i32 s50, s22
	v_cvt_f32_u32_e32 v1, s50
	s_sub_i32 s2, 0, s50
	v_mul_u32_u24_e32 v16, 0x78, v0
	v_bfe_u32 v8, v56, 1, 5
	v_rcp_iflag_f32_e32 v1, v1
	v_lshlrev_b32_e32 v4, 4, v8
	v_mov_b32_e32 v5, s4
	v_add_co_u32_e64 v4, s[4:5], s5, v4
	v_mul_f32_e32 v1, 0x4f7ffffe, v1
	v_cvt_u32_f32_e32 v1, v1
	v_addc_co_u32_e64 v5, s[4:5], 0, v5, s[4:5]
	buffer_store_dword v13, off, s[56:59], 0 offset:128 ; 4-byte Folded Spill
	v_mul_lo_u32 v0, s2, v1
	buffer_store_dword v56, off, s[56:59], 0 offset:120 ; 4-byte Folded Spill
	v_mov_b32_e32 v7, v2
	v_lshlrev_b32_e32 v19, 5, v57
	v_mul_hi_u32 v0, v1, v0
	v_mov_b32_e32 v24, v57
	s_mov_b32 s51, s17
	v_mov_b32_e32 v2, 0
	v_add_u32_e32 v0, v1, v0
	buffer_store_dword v0, off, s[56:59], 0 offset:44 ; 4-byte Folded Spill
	v_add_co_u32_e64 v0, s[4:5], v4, v3
	v_addc_co_u32_e64 v1, s[4:5], 0, v5, s[4:5]
	buffer_store_dword v0, off, s[56:59], 0 offset:92 ; 4-byte Folded Spill
	s_nop 0
	buffer_store_dword v1, off, s[56:59], 0 offset:96 ; 4-byte Folded Spill
	buffer_load_dword v0, off, s[56:59], 0 offset:116 ; 4-byte Folded Reload
	s_lshl_b64 s[4:5], s[30:31], 2
	s_add_u32 s4, s28, s4
	s_addc_u32 s5, s29, s5
	v_mov_b32_e32 v1, s5
	v_cmp_neq_f32_e64 s[2:3], s49, 0
	s_mov_b64 s[38:39], 0
	s_movk_i32 s52, 0x80
	s_movk_i32 s53, 0x7f
	s_mov_b32 s54, 0x8000
	s_mov_b32 s55, 0xffffff
	s_waitcnt vmcnt(0)
	v_and_b32_e32 v0, 60, v0
	v_add_co_u32_e64 v5, s[4:5], s4, v0
	v_subrev_u32_e32 v0, s33, v8
	v_add_u32_e32 v0, 1, v0
	buffer_store_dword v0, off, s[56:59], 0 offset:108 ; 4-byte Folded Spill
	buffer_store_dword v8, off, s[56:59], 0 offset:104 ; 4-byte Folded Spill
	v_lshlrev_b32_e32 v0, 2, v8
	v_lshl_or_b32 v0, v57, 7, v0
	v_add_u32_e32 v57, 0x100, v0
	v_mbcnt_hi_u32_b32 v0, -1, v7
	v_addc_co_u32_e64 v6, s[4:5], 0, v1, s[4:5]
	buffer_store_dword v0, off, s[56:59], 0 offset:100 ; 4-byte Folded Spill
	v_mov_b32_e32 v0, 0xff7fffff
	buffer_store_dword v0, off, s[56:59], 0 offset:88 ; 4-byte Folded Spill
	buffer_store_dword v24, off, s[56:59], 0 offset:124 ; 4-byte Folded Spill
	s_branch .LBB259_13
.LBB259_11:                             ;   in Loop: Header=BB259_13 Depth=1
	s_or_b64 exec, exec, s[40:41]
.LBB259_12:                             ;   in Loop: Header=BB259_13 Depth=1
	s_or_b64 exec, exec, s[6:7]
	v_add_co_u32_e64 v5, s[4:5], 8, v5
	v_add_u32_e32 v24, 2, v24
	v_addc_co_u32_e64 v6, s[4:5], 0, v6, s[4:5]
	v_cmp_le_i32_e64 s[4:5], s48, v24
	v_add_u32_e32 v19, 64, v19
	s_or_b64 s[38:39], s[4:5], s[38:39]
	v_add_u32_e32 v57, 0x100, v57
	s_andn2_b64 exec, exec, s[38:39]
	s_cbranch_execz .LBB259_380
.LBB259_13:                             ; =>This Inner Loop Header: Depth=1
	buffer_load_dword v4, off, s[56:59], 0 offset:44 ; 4-byte Folded Reload
	v_mul_hi_u32 v0, v19, s46
	s_waitcnt lgkmcnt(0)
	v_mul_lo_u32 v1, v0, s25
	v_add_u32_e32 v3, 1, v0
	v_sub_u32_e32 v1, v19, v1
	v_cmp_le_u32_e64 s[4:5], s25, v1
	v_cndmask_b32_e64 v0, v0, v3, s[4:5]
	v_subrev_u32_e32 v3, s25, v1
	v_cndmask_b32_e64 v1, v1, v3, s[4:5]
	v_add_u32_e32 v3, 1, v0
	v_cmp_le_u32_e64 s[4:5], s25, v1
	v_cndmask_b32_e64 v0, v0, v3, s[4:5]
	v_xor_b32_e32 v0, s47, v0
	v_subrev_u32_e32 v0, s47, v0
	v_add_u32_e32 v1, s36, v0
	v_sub_u32_e32 v3, 0, v1
	v_max_i32_e32 v3, v1, v3
	v_ashrrev_i32_e32 v1, 31, v1
	v_cmp_ge_i32_e64 s[6:7], s23, v0
	s_waitcnt vmcnt(0)
	v_mul_hi_u32 v4, v3, v4
	v_mul_lo_u32 v4, v4, s50
	v_sub_u32_e32 v3, v3, v4
	v_subrev_u32_e32 v4, s50, v3
	v_cmp_le_u32_e64 s[4:5], s50, v3
	v_cndmask_b32_e64 v3, v3, v4, s[4:5]
	v_subrev_u32_e32 v4, s50, v3
	v_cmp_le_u32_e64 s[4:5], s50, v3
	v_cndmask_b32_e64 v3, v3, v4, s[4:5]
	v_xor_b32_e32 v3, v3, v1
	v_sub_u32_e32 v1, v3, v1
	v_cmp_ne_u32_e64 s[4:5], 0, v1
	s_and_b64 s[4:5], s[4:5], s[6:7]
	s_and_saveexec_b64 s[6:7], s[4:5]
	s_xor_b64 s[4:5], exec, s[6:7]
	s_cbranch_execz .LBB259_17
; %bb.14:                               ;   in Loop: Header=BB259_13 Depth=1
	s_and_saveexec_b64 s[6:7], vcc
; %bb.15:                               ;   in Loop: Header=BB259_13 Depth=1
	v_mov_b32_e32 v0, 0xff7fffff
	ds_write_b32 v57, v0
; %bb.16:                               ;   in Loop: Header=BB259_13 Depth=1
	s_or_b64 exec, exec, s[6:7]
.LBB259_17:                             ;   in Loop: Header=BB259_13 Depth=1
	s_andn2_saveexec_b64 s[6:7], s[4:5]
	s_cbranch_execz .LBB259_12
; %bb.18:                               ;   in Loop: Header=BB259_13 Depth=1
	global_load_dword v0, v[5:6], off
	buffer_load_dword v3, off, s[56:59], 0 offset:92 ; 4-byte Folded Reload
	buffer_load_dword v4, off, s[56:59], 0 offset:96 ; 4-byte Folded Reload
	v_mov_b32_e32 v51, 0
	global_load_dword v25, v51, s[12:13]
	v_mov_b32_e32 v40, 0
	s_waitcnt vmcnt(1)
	v_mad_i64_i32 v[7:8], s[4:5], v0, s51, v[3:4]
	global_load_dword v9, v[7:8], off
	s_waitcnt vmcnt(0)
	v_cmp_ne_u16_sdwa s[4:5], v9, v2 src0_sel:BYTE_0 src1_sel:DWORD
	s_and_saveexec_b64 s[40:41], s[4:5]
	s_cbranch_execz .LBB259_24
; %bb.19:                               ;   in Loop: Header=BB259_13 Depth=1
	v_cmp_ne_u16_sdwa s[4:5], v9, s52 src0_sel:BYTE_0 src1_sel:DWORD
	v_mov_b32_e32 v40, 0x8000
	s_and_saveexec_b64 s[42:43], s[4:5]
	s_cbranch_execz .LBB259_23
; %bb.20:                               ;   in Loop: Header=BB259_13 Depth=1
	v_and_b32_e32 v0, 0x7f, v9
	v_cmp_ne_u32_e64 s[4:5], s53, v0
	v_mov_b32_e32 v40, 0x7c01
	s_and_saveexec_b64 s[44:45], s[4:5]
	s_cbranch_execz .LBB259_22
; %bb.21:                               ;   in Loop: Header=BB259_13 Depth=1
	v_and_b32_e32 v1, 7, v9
	v_ffbh_u32_e32 v3, v1
	v_min_u32_e32 v11, 32, v3
	v_lshrrev_b32_e32 v10, 3, v0
	v_subrev_u32_e32 v3, 28, v11
	v_lshlrev_b64 v[3:4], v3, v[9:10]
	v_sub_u32_e32 v4, 29, v11
	v_cmp_gt_u32_e64 s[4:5], 8, v0
	v_cndmask_b32_e64 v0, v10, v4, s[4:5]
	v_mov_b32_e32 v10, 0x2000
	v_lshl_add_u32 v0, v0, 10, v10
	v_lshlrev_b32_e32 v4, 8, v9
	v_and_b32_e32 v3, 7, v3
	v_and_b32_e32 v0, 0xfc00, v0
	v_cndmask_b32_e64 v1, v1, v3, s[4:5]
	v_and_or_b32 v0, v4, s54, v0
	v_lshl_or_b32 v40, v1, 7, v0
.LBB259_22:                             ;   in Loop: Header=BB259_13 Depth=1
	s_or_b64 exec, exec, s[44:45]
.LBB259_23:                             ;   in Loop: Header=BB259_13 Depth=1
	s_or_b64 exec, exec, s[42:43]
.LBB259_24:                             ;   in Loop: Header=BB259_13 Depth=1
	s_or_b64 exec, exec, s[40:41]
	v_lshrrev_b16_e32 v1, 8, v9
	v_cmp_ne_u16_e64 s[4:5], 0, v1
	s_and_saveexec_b64 s[40:41], s[4:5]
	s_cbranch_execz .LBB259_30
; %bb.25:                               ;   in Loop: Header=BB259_13 Depth=1
	v_cmp_ne_u16_e64 s[4:5], s52, v1
	v_bfrev_b32_e32 v51, 1
	s_and_saveexec_b64 s[42:43], s[4:5]
	s_cbranch_execz .LBB259_29
; %bb.26:                               ;   in Loop: Header=BB259_13 Depth=1
	v_and_b32_e32 v0, 0x7f, v1
	v_cmp_ne_u32_e64 s[4:5], s53, v0
	v_mov_b32_e32 v51, 0x7c010000
	s_and_saveexec_b64 s[44:45], s[4:5]
	s_cbranch_execz .LBB259_28
; %bb.27:                               ;   in Loop: Header=BB259_13 Depth=1
	v_and_b32_e32 v10, 7, v1
	v_ffbh_u32_e32 v3, v10
	v_min_u32_e32 v12, 32, v3
	v_subrev_u32_e32 v3, 28, v12
	v_lshlrev_b64 v[3:4], v3, v[1:2]
	v_lshrrev_b32_e32 v11, 3, v0
	v_sub_u32_e32 v4, 29, v12
	v_cmp_gt_u32_e64 s[4:5], 8, v0
	v_cndmask_b32_e64 v0, v11, v4, s[4:5]
	v_mov_b32_e32 v4, 0x2000
	v_lshlrev_b32_e32 v1, 8, v1
	v_lshl_add_u32 v0, v0, 10, v4
	v_and_b32_e32 v3, 7, v3
	v_and_or_b32 v0, v1, s54, v0
	v_cndmask_b32_e64 v3, v10, v3, s[4:5]
	v_lshlrev_b32_e32 v0, 16, v0
	v_lshl_or_b32 v51, v3, 23, v0
.LBB259_28:                             ;   in Loop: Header=BB259_13 Depth=1
	s_or_b64 exec, exec, s[44:45]
.LBB259_29:                             ;   in Loop: Header=BB259_13 Depth=1
	s_or_b64 exec, exec, s[42:43]
.LBB259_30:                             ;   in Loop: Header=BB259_13 Depth=1
	s_or_b64 exec, exec, s[40:41]
	v_lshrrev_b32_e32 v1, 16, v9
	v_cmp_ne_u16_sdwa s[4:5], v1, v2 src0_sel:BYTE_0 src1_sel:DWORD
	v_mov_b32_e32 v41, 0
	v_mov_b32_e32 v21, 0
	s_and_saveexec_b64 s[40:41], s[4:5]
	s_cbranch_execz .LBB259_36
; %bb.31:                               ;   in Loop: Header=BB259_13 Depth=1
	v_cmp_ne_u16_sdwa s[4:5], v1, s52 src0_sel:BYTE_0 src1_sel:DWORD
	v_mov_b32_e32 v21, 0x8000
	s_and_saveexec_b64 s[42:43], s[4:5]
	s_cbranch_execz .LBB259_35
; %bb.32:                               ;   in Loop: Header=BB259_13 Depth=1
	v_bfe_u32 v0, v9, 16, 7
	v_cmp_ne_u32_e64 s[4:5], s53, v0
	v_mov_b32_e32 v21, 0x7c01
	s_and_saveexec_b64 s[44:45], s[4:5]
	s_cbranch_execz .LBB259_34
; %bb.33:                               ;   in Loop: Header=BB259_13 Depth=1
	v_and_b32_e32 v10, 7, v1
	v_ffbh_u32_e32 v3, v10
	v_min_u32_e32 v12, 32, v3
	v_subrev_u32_e32 v3, 28, v12
	v_lshlrev_b64 v[3:4], v3, v[1:2]
	v_lshrrev_b32_e32 v11, 3, v0
	v_sub_u32_e32 v4, 29, v12
	v_cmp_gt_u32_e64 s[4:5], 8, v0
	v_cndmask_b32_e64 v0, v11, v4, s[4:5]
	v_mov_b32_e32 v4, 0x2000
	v_lshl_add_u32 v0, v0, 10, v4
	v_lshlrev_b32_e32 v1, 8, v1
	v_and_b32_e32 v3, 7, v3
	v_and_b32_e32 v0, 0xfc00, v0
	v_cndmask_b32_e64 v3, v10, v3, s[4:5]
	v_and_or_b32 v0, v1, s54, v0
	v_lshl_or_b32 v21, v3, 7, v0
.LBB259_34:                             ;   in Loop: Header=BB259_13 Depth=1
	s_or_b64 exec, exec, s[44:45]
.LBB259_35:                             ;   in Loop: Header=BB259_13 Depth=1
	s_or_b64 exec, exec, s[42:43]
.LBB259_36:                             ;   in Loop: Header=BB259_13 Depth=1
	s_or_b64 exec, exec, s[40:41]
	v_cmp_lt_u32_e64 s[4:5], s55, v9
	s_and_saveexec_b64 s[40:41], s[4:5]
	s_cbranch_execz .LBB259_42
; %bb.37:                               ;   in Loop: Header=BB259_13 Depth=1
	v_lshrrev_b32_e32 v1, 24, v9
	v_cmp_ne_u32_e64 s[4:5], s52, v1
	v_bfrev_b32_e32 v41, 1
	s_and_saveexec_b64 s[42:43], s[4:5]
	s_cbranch_execz .LBB259_41
; %bb.38:                               ;   in Loop: Header=BB259_13 Depth=1
	v_and_b32_e32 v0, 0x7f, v1
	v_cmp_ne_u32_e64 s[4:5], s53, v0
	v_mov_b32_e32 v41, 0x7c010000
	s_and_saveexec_b64 s[44:45], s[4:5]
	s_cbranch_execz .LBB259_40
; %bb.39:                               ;   in Loop: Header=BB259_13 Depth=1
	v_and_b32_e32 v9, 7, v1
	v_ffbh_u32_e32 v3, v9
	v_min_u32_e32 v11, 32, v3
	v_subrev_u32_e32 v3, 28, v11
	v_lshlrev_b64 v[3:4], v3, v[1:2]
	v_lshrrev_b32_e32 v10, 3, v0
	v_sub_u32_e32 v4, 29, v11
	v_cmp_gt_u32_e64 s[4:5], 8, v0
	v_cndmask_b32_e64 v0, v10, v4, s[4:5]
	v_mov_b32_e32 v4, 0x2000
	v_lshlrev_b32_e32 v1, 8, v1
	v_lshl_add_u32 v0, v0, 10, v4
	v_and_b32_e32 v3, 7, v3
	v_and_or_b32 v0, v1, s54, v0
	v_cndmask_b32_e64 v3, v9, v3, s[4:5]
	v_lshlrev_b32_e32 v0, 16, v0
	v_lshl_or_b32 v41, v3, 23, v0
.LBB259_40:                             ;   in Loop: Header=BB259_13 Depth=1
	s_or_b64 exec, exec, s[44:45]
.LBB259_41:                             ;   in Loop: Header=BB259_13 Depth=1
	s_or_b64 exec, exec, s[42:43]
.LBB259_42:                             ;   in Loop: Header=BB259_13 Depth=1
	s_or_b64 exec, exec, s[40:41]
	global_load_dword v9, v[7:8], off offset:8
	v_mov_b32_e32 v30, 0
	v_mov_b32_e32 v28, 0
	s_waitcnt vmcnt(0)
	v_cmp_ne_u16_sdwa s[4:5], v9, v2 src0_sel:BYTE_0 src1_sel:DWORD
	s_and_saveexec_b64 s[40:41], s[4:5]
	s_cbranch_execz .LBB259_48
; %bb.43:                               ;   in Loop: Header=BB259_13 Depth=1
	v_cmp_ne_u16_sdwa s[4:5], v9, s52 src0_sel:BYTE_0 src1_sel:DWORD
	v_mov_b32_e32 v28, 0x8000
	s_and_saveexec_b64 s[42:43], s[4:5]
	s_cbranch_execz .LBB259_47
; %bb.44:                               ;   in Loop: Header=BB259_13 Depth=1
	v_and_b32_e32 v0, 0x7f, v9
	v_cmp_ne_u32_e64 s[4:5], s53, v0
	v_mov_b32_e32 v28, 0x7c01
	s_and_saveexec_b64 s[44:45], s[4:5]
	s_cbranch_execz .LBB259_46
; %bb.45:                               ;   in Loop: Header=BB259_13 Depth=1
	v_and_b32_e32 v1, 7, v9
	v_ffbh_u32_e32 v3, v1
	v_min_u32_e32 v11, 32, v3
	v_lshrrev_b32_e32 v10, 3, v0
	v_subrev_u32_e32 v3, 28, v11
	v_lshlrev_b64 v[3:4], v3, v[9:10]
	v_sub_u32_e32 v4, 29, v11
	v_cmp_gt_u32_e64 s[4:5], 8, v0
	v_cndmask_b32_e64 v0, v10, v4, s[4:5]
	v_mov_b32_e32 v10, 0x2000
	v_lshl_add_u32 v0, v0, 10, v10
	v_lshlrev_b32_e32 v4, 8, v9
	v_and_b32_e32 v3, 7, v3
	v_and_b32_e32 v0, 0xfc00, v0
	v_cndmask_b32_e64 v1, v1, v3, s[4:5]
	v_and_or_b32 v0, v4, s54, v0
	v_lshl_or_b32 v28, v1, 7, v0
.LBB259_46:                             ;   in Loop: Header=BB259_13 Depth=1
	s_or_b64 exec, exec, s[44:45]
.LBB259_47:                             ;   in Loop: Header=BB259_13 Depth=1
	s_or_b64 exec, exec, s[42:43]
.LBB259_48:                             ;   in Loop: Header=BB259_13 Depth=1
	s_or_b64 exec, exec, s[40:41]
	v_lshrrev_b16_e32 v1, 8, v9
	v_cmp_ne_u16_e64 s[4:5], 0, v1
	s_and_saveexec_b64 s[40:41], s[4:5]
	s_cbranch_execz .LBB259_54
; %bb.49:                               ;   in Loop: Header=BB259_13 Depth=1
	v_cmp_ne_u16_e64 s[4:5], s52, v1
	v_bfrev_b32_e32 v30, 1
	s_and_saveexec_b64 s[42:43], s[4:5]
	s_cbranch_execz .LBB259_53
; %bb.50:                               ;   in Loop: Header=BB259_13 Depth=1
	v_and_b32_e32 v0, 0x7f, v1
	v_cmp_ne_u32_e64 s[4:5], s53, v0
	v_mov_b32_e32 v30, 0x7c010000
	s_and_saveexec_b64 s[44:45], s[4:5]
	s_cbranch_execz .LBB259_52
; %bb.51:                               ;   in Loop: Header=BB259_13 Depth=1
	v_and_b32_e32 v10, 7, v1
	v_ffbh_u32_e32 v3, v10
	v_min_u32_e32 v12, 32, v3
	v_subrev_u32_e32 v3, 28, v12
	v_lshlrev_b64 v[3:4], v3, v[1:2]
	v_lshrrev_b32_e32 v11, 3, v0
	v_sub_u32_e32 v4, 29, v12
	v_cmp_gt_u32_e64 s[4:5], 8, v0
	v_cndmask_b32_e64 v0, v11, v4, s[4:5]
	v_mov_b32_e32 v4, 0x2000
	v_lshlrev_b32_e32 v1, 8, v1
	v_lshl_add_u32 v0, v0, 10, v4
	v_and_b32_e32 v3, 7, v3
	v_and_or_b32 v0, v1, s54, v0
	v_cndmask_b32_e64 v3, v10, v3, s[4:5]
	v_lshlrev_b32_e32 v0, 16, v0
	v_lshl_or_b32 v30, v3, 23, v0
.LBB259_52:                             ;   in Loop: Header=BB259_13 Depth=1
	s_or_b64 exec, exec, s[44:45]
.LBB259_53:                             ;   in Loop: Header=BB259_13 Depth=1
	s_or_b64 exec, exec, s[42:43]
.LBB259_54:                             ;   in Loop: Header=BB259_13 Depth=1
	s_or_b64 exec, exec, s[40:41]
	v_lshrrev_b32_e32 v1, 16, v9
	v_mov_b32_e32 v0, 0
	v_cmp_ne_u16_sdwa s[4:5], v1, v2 src0_sel:BYTE_0 src1_sel:DWORD
	buffer_store_dword v0, off, s[56:59], 0 ; 4-byte Folded Spill
	v_mov_b32_e32 v0, 0
	buffer_store_dword v0, off, s[56:59], 0 offset:4 ; 4-byte Folded Spill
	s_and_saveexec_b64 s[40:41], s[4:5]
	s_cbranch_execz .LBB259_60
; %bb.55:                               ;   in Loop: Header=BB259_13 Depth=1
	v_cmp_ne_u16_sdwa s[4:5], v1, s52 src0_sel:BYTE_0 src1_sel:DWORD
	v_mov_b32_e32 v0, 0x8000
	buffer_store_dword v0, off, s[56:59], 0 offset:4 ; 4-byte Folded Spill
	s_and_saveexec_b64 s[42:43], s[4:5]
	s_cbranch_execz .LBB259_59
; %bb.56:                               ;   in Loop: Header=BB259_13 Depth=1
	v_bfe_u32 v0, v9, 16, 7
	v_cmp_ne_u32_e64 s[4:5], s53, v0
	v_mov_b32_e32 v3, 0x7c01
	buffer_store_dword v3, off, s[56:59], 0 offset:4 ; 4-byte Folded Spill
	s_and_saveexec_b64 s[44:45], s[4:5]
	s_cbranch_execz .LBB259_58
; %bb.57:                               ;   in Loop: Header=BB259_13 Depth=1
	v_and_b32_e32 v10, 7, v1
	v_ffbh_u32_e32 v3, v10
	v_min_u32_e32 v12, 32, v3
	v_subrev_u32_e32 v3, 28, v12
	v_lshlrev_b64 v[3:4], v3, v[1:2]
	v_lshrrev_b32_e32 v11, 3, v0
	v_sub_u32_e32 v4, 29, v12
	v_cmp_gt_u32_e64 s[4:5], 8, v0
	v_cndmask_b32_e64 v0, v11, v4, s[4:5]
	v_mov_b32_e32 v4, 0x2000
	v_lshl_add_u32 v0, v0, 10, v4
	v_lshlrev_b32_e32 v1, 8, v1
	v_and_b32_e32 v3, 7, v3
	v_and_b32_e32 v0, 0xfc00, v0
	v_cndmask_b32_e64 v3, v10, v3, s[4:5]
	v_and_or_b32 v0, v1, s54, v0
	v_lshl_or_b32 v0, v3, 7, v0
	buffer_store_dword v0, off, s[56:59], 0 offset:4 ; 4-byte Folded Spill
.LBB259_58:                             ;   in Loop: Header=BB259_13 Depth=1
	s_or_b64 exec, exec, s[44:45]
.LBB259_59:                             ;   in Loop: Header=BB259_13 Depth=1
	s_or_b64 exec, exec, s[42:43]
.LBB259_60:                             ;   in Loop: Header=BB259_13 Depth=1
	s_or_b64 exec, exec, s[40:41]
	v_cmp_lt_u32_e64 s[4:5], s55, v9
	s_and_saveexec_b64 s[40:41], s[4:5]
	s_cbranch_execz .LBB259_66
; %bb.61:                               ;   in Loop: Header=BB259_13 Depth=1
	v_lshrrev_b32_e32 v1, 24, v9
	v_cmp_ne_u32_e64 s[4:5], s52, v1
	v_bfrev_b32_e32 v0, 1
	buffer_store_dword v0, off, s[56:59], 0 ; 4-byte Folded Spill
	s_and_saveexec_b64 s[42:43], s[4:5]
	s_cbranch_execz .LBB259_65
; %bb.62:                               ;   in Loop: Header=BB259_13 Depth=1
	v_and_b32_e32 v0, 0x7f, v1
	v_cmp_ne_u32_e64 s[4:5], s53, v0
	v_mov_b32_e32 v3, 0x7c010000
	buffer_store_dword v3, off, s[56:59], 0 ; 4-byte Folded Spill
	s_and_saveexec_b64 s[44:45], s[4:5]
	s_cbranch_execz .LBB259_64
; %bb.63:                               ;   in Loop: Header=BB259_13 Depth=1
	v_and_b32_e32 v9, 7, v1
	v_ffbh_u32_e32 v3, v9
	v_min_u32_e32 v11, 32, v3
	v_subrev_u32_e32 v3, 28, v11
	v_lshlrev_b64 v[3:4], v3, v[1:2]
	v_lshrrev_b32_e32 v10, 3, v0
	v_sub_u32_e32 v4, 29, v11
	v_cmp_gt_u32_e64 s[4:5], 8, v0
	v_cndmask_b32_e64 v0, v10, v4, s[4:5]
	v_mov_b32_e32 v4, 0x2000
	v_lshlrev_b32_e32 v1, 8, v1
	v_lshl_add_u32 v0, v0, 10, v4
	v_and_b32_e32 v3, 7, v3
	v_and_or_b32 v0, v1, s54, v0
	v_cndmask_b32_e64 v3, v9, v3, s[4:5]
	v_lshlrev_b32_e32 v0, 16, v0
	v_lshl_or_b32 v0, v3, 23, v0
	buffer_store_dword v0, off, s[56:59], 0 ; 4-byte Folded Spill
.LBB259_64:                             ;   in Loop: Header=BB259_13 Depth=1
	s_or_b64 exec, exec, s[44:45]
.LBB259_65:                             ;   in Loop: Header=BB259_13 Depth=1
	s_or_b64 exec, exec, s[42:43]
.LBB259_66:                             ;   in Loop: Header=BB259_13 Depth=1
	s_or_b64 exec, exec, s[40:41]
	global_load_dword v9, v[7:8], off offset:512
	v_mov_b32_e32 v0, 0
	buffer_store_dword v0, off, s[56:59], 0 offset:8 ; 4-byte Folded Spill
	v_mov_b32_e32 v0, 0
	buffer_store_dword v0, off, s[56:59], 0 offset:12 ; 4-byte Folded Spill
	s_waitcnt vmcnt(2)
	v_cmp_ne_u16_sdwa s[4:5], v9, v2 src0_sel:BYTE_0 src1_sel:DWORD
	s_and_saveexec_b64 s[40:41], s[4:5]
	s_cbranch_execz .LBB259_72
; %bb.67:                               ;   in Loop: Header=BB259_13 Depth=1
	v_cmp_ne_u16_sdwa s[4:5], v9, s52 src0_sel:BYTE_0 src1_sel:DWORD
	v_mov_b32_e32 v0, 0x8000
	buffer_store_dword v0, off, s[56:59], 0 offset:12 ; 4-byte Folded Spill
	s_and_saveexec_b64 s[42:43], s[4:5]
	s_cbranch_execz .LBB259_71
; %bb.68:                               ;   in Loop: Header=BB259_13 Depth=1
	v_and_b32_e32 v0, 0x7f, v9
	v_cmp_ne_u32_e64 s[4:5], s53, v0
	v_mov_b32_e32 v1, 0x7c01
	buffer_store_dword v1, off, s[56:59], 0 offset:12 ; 4-byte Folded Spill
	s_and_saveexec_b64 s[44:45], s[4:5]
	s_cbranch_execz .LBB259_70
; %bb.69:                               ;   in Loop: Header=BB259_13 Depth=1
	v_and_b32_e32 v1, 7, v9
	v_ffbh_u32_e32 v3, v1
	v_min_u32_e32 v11, 32, v3
	v_lshrrev_b32_e32 v10, 3, v0
	v_subrev_u32_e32 v3, 28, v11
	v_lshlrev_b64 v[3:4], v3, v[9:10]
	v_sub_u32_e32 v4, 29, v11
	v_cmp_gt_u32_e64 s[4:5], 8, v0
	v_cndmask_b32_e64 v0, v10, v4, s[4:5]
	v_mov_b32_e32 v10, 0x2000
	v_lshl_add_u32 v0, v0, 10, v10
	v_lshlrev_b32_e32 v4, 8, v9
	v_and_b32_e32 v3, 7, v3
	v_and_b32_e32 v0, 0xfc00, v0
	v_cndmask_b32_e64 v1, v1, v3, s[4:5]
	v_and_or_b32 v0, v4, s54, v0
	v_lshl_or_b32 v0, v1, 7, v0
	buffer_store_dword v0, off, s[56:59], 0 offset:12 ; 4-byte Folded Spill
.LBB259_70:                             ;   in Loop: Header=BB259_13 Depth=1
	s_or_b64 exec, exec, s[44:45]
.LBB259_71:                             ;   in Loop: Header=BB259_13 Depth=1
	s_or_b64 exec, exec, s[42:43]
.LBB259_72:                             ;   in Loop: Header=BB259_13 Depth=1
	s_or_b64 exec, exec, s[40:41]
	v_lshrrev_b16_e32 v1, 8, v9
	v_cmp_ne_u16_e64 s[4:5], 0, v1
	s_and_saveexec_b64 s[40:41], s[4:5]
	s_cbranch_execz .LBB259_78
; %bb.73:                               ;   in Loop: Header=BB259_13 Depth=1
	v_cmp_ne_u16_e64 s[4:5], s52, v1
	v_bfrev_b32_e32 v0, 1
	buffer_store_dword v0, off, s[56:59], 0 offset:8 ; 4-byte Folded Spill
	s_and_saveexec_b64 s[42:43], s[4:5]
	s_cbranch_execz .LBB259_77
; %bb.74:                               ;   in Loop: Header=BB259_13 Depth=1
	v_and_b32_e32 v0, 0x7f, v1
	v_cmp_ne_u32_e64 s[4:5], s53, v0
	v_mov_b32_e32 v3, 0x7c010000
	buffer_store_dword v3, off, s[56:59], 0 offset:8 ; 4-byte Folded Spill
	s_and_saveexec_b64 s[44:45], s[4:5]
	s_cbranch_execz .LBB259_76
; %bb.75:                               ;   in Loop: Header=BB259_13 Depth=1
	v_and_b32_e32 v10, 7, v1
	v_ffbh_u32_e32 v3, v10
	v_min_u32_e32 v12, 32, v3
	v_subrev_u32_e32 v3, 28, v12
	v_lshlrev_b64 v[3:4], v3, v[1:2]
	v_lshrrev_b32_e32 v11, 3, v0
	v_sub_u32_e32 v4, 29, v12
	v_cmp_gt_u32_e64 s[4:5], 8, v0
	v_cndmask_b32_e64 v0, v11, v4, s[4:5]
	v_mov_b32_e32 v4, 0x2000
	v_lshlrev_b32_e32 v1, 8, v1
	v_lshl_add_u32 v0, v0, 10, v4
	v_and_b32_e32 v3, 7, v3
	v_and_or_b32 v0, v1, s54, v0
	v_cndmask_b32_e64 v3, v10, v3, s[4:5]
	v_lshlrev_b32_e32 v0, 16, v0
	v_lshl_or_b32 v0, v3, 23, v0
	buffer_store_dword v0, off, s[56:59], 0 offset:8 ; 4-byte Folded Spill
.LBB259_76:                             ;   in Loop: Header=BB259_13 Depth=1
	s_or_b64 exec, exec, s[44:45]
.LBB259_77:                             ;   in Loop: Header=BB259_13 Depth=1
	s_or_b64 exec, exec, s[42:43]
.LBB259_78:                             ;   in Loop: Header=BB259_13 Depth=1
	s_or_b64 exec, exec, s[40:41]
	v_lshrrev_b32_e32 v1, 16, v9
	v_mov_b32_e32 v0, 0
	v_cmp_ne_u16_sdwa s[4:5], v1, v2 src0_sel:BYTE_0 src1_sel:DWORD
	buffer_store_dword v0, off, s[56:59], 0 offset:16 ; 4-byte Folded Spill
	v_mov_b32_e32 v0, 0
	buffer_store_dword v0, off, s[56:59], 0 offset:20 ; 4-byte Folded Spill
	s_and_saveexec_b64 s[40:41], s[4:5]
	s_cbranch_execz .LBB259_84
; %bb.79:                               ;   in Loop: Header=BB259_13 Depth=1
	v_cmp_ne_u16_sdwa s[4:5], v1, s52 src0_sel:BYTE_0 src1_sel:DWORD
	v_mov_b32_e32 v0, 0x8000
	buffer_store_dword v0, off, s[56:59], 0 offset:20 ; 4-byte Folded Spill
	s_and_saveexec_b64 s[42:43], s[4:5]
	s_cbranch_execz .LBB259_83
; %bb.80:                               ;   in Loop: Header=BB259_13 Depth=1
	v_bfe_u32 v0, v9, 16, 7
	v_cmp_ne_u32_e64 s[4:5], s53, v0
	v_mov_b32_e32 v3, 0x7c01
	buffer_store_dword v3, off, s[56:59], 0 offset:20 ; 4-byte Folded Spill
	s_and_saveexec_b64 s[44:45], s[4:5]
	s_cbranch_execz .LBB259_82
; %bb.81:                               ;   in Loop: Header=BB259_13 Depth=1
	v_and_b32_e32 v10, 7, v1
	v_ffbh_u32_e32 v3, v10
	v_min_u32_e32 v12, 32, v3
	v_subrev_u32_e32 v3, 28, v12
	v_lshlrev_b64 v[3:4], v3, v[1:2]
	v_lshrrev_b32_e32 v11, 3, v0
	v_sub_u32_e32 v4, 29, v12
	v_cmp_gt_u32_e64 s[4:5], 8, v0
	v_cndmask_b32_e64 v0, v11, v4, s[4:5]
	v_mov_b32_e32 v4, 0x2000
	v_lshl_add_u32 v0, v0, 10, v4
	v_lshlrev_b32_e32 v1, 8, v1
	v_and_b32_e32 v3, 7, v3
	v_and_b32_e32 v0, 0xfc00, v0
	v_cndmask_b32_e64 v3, v10, v3, s[4:5]
	v_and_or_b32 v0, v1, s54, v0
	v_lshl_or_b32 v0, v3, 7, v0
	buffer_store_dword v0, off, s[56:59], 0 offset:20 ; 4-byte Folded Spill
.LBB259_82:                             ;   in Loop: Header=BB259_13 Depth=1
	s_or_b64 exec, exec, s[44:45]
.LBB259_83:                             ;   in Loop: Header=BB259_13 Depth=1
	s_or_b64 exec, exec, s[42:43]
.LBB259_84:                             ;   in Loop: Header=BB259_13 Depth=1
	s_or_b64 exec, exec, s[40:41]
	v_cmp_lt_u32_e64 s[4:5], s55, v9
	s_and_saveexec_b64 s[40:41], s[4:5]
	s_cbranch_execz .LBB259_90
; %bb.85:                               ;   in Loop: Header=BB259_13 Depth=1
	v_lshrrev_b32_e32 v1, 24, v9
	v_cmp_ne_u32_e64 s[4:5], s52, v1
	v_bfrev_b32_e32 v0, 1
	buffer_store_dword v0, off, s[56:59], 0 offset:16 ; 4-byte Folded Spill
	s_and_saveexec_b64 s[42:43], s[4:5]
	s_cbranch_execz .LBB259_89
; %bb.86:                               ;   in Loop: Header=BB259_13 Depth=1
	v_and_b32_e32 v0, 0x7f, v1
	v_cmp_ne_u32_e64 s[4:5], s53, v0
	v_mov_b32_e32 v3, 0x7c010000
	buffer_store_dword v3, off, s[56:59], 0 offset:16 ; 4-byte Folded Spill
	s_and_saveexec_b64 s[44:45], s[4:5]
	s_cbranch_execz .LBB259_88
; %bb.87:                               ;   in Loop: Header=BB259_13 Depth=1
	v_and_b32_e32 v9, 7, v1
	v_ffbh_u32_e32 v3, v9
	v_min_u32_e32 v11, 32, v3
	v_subrev_u32_e32 v3, 28, v11
	v_lshlrev_b64 v[3:4], v3, v[1:2]
	v_lshrrev_b32_e32 v10, 3, v0
	v_sub_u32_e32 v4, 29, v11
	v_cmp_gt_u32_e64 s[4:5], 8, v0
	v_cndmask_b32_e64 v0, v10, v4, s[4:5]
	v_mov_b32_e32 v4, 0x2000
	v_lshlrev_b32_e32 v1, 8, v1
	v_lshl_add_u32 v0, v0, 10, v4
	v_and_b32_e32 v3, 7, v3
	v_and_or_b32 v0, v1, s54, v0
	v_cndmask_b32_e64 v3, v9, v3, s[4:5]
	v_lshlrev_b32_e32 v0, 16, v0
	v_lshl_or_b32 v0, v3, 23, v0
	buffer_store_dword v0, off, s[56:59], 0 offset:16 ; 4-byte Folded Spill
.LBB259_88:                             ;   in Loop: Header=BB259_13 Depth=1
	s_or_b64 exec, exec, s[44:45]
.LBB259_89:                             ;   in Loop: Header=BB259_13 Depth=1
	s_or_b64 exec, exec, s[42:43]
.LBB259_90:                             ;   in Loop: Header=BB259_13 Depth=1
	s_or_b64 exec, exec, s[40:41]
	global_load_dword v9, v[7:8], off offset:520
	v_mov_b32_e32 v45, 0
	v_mov_b32_e32 v0, 0
	buffer_store_dword v0, off, s[56:59], 0 offset:24 ; 4-byte Folded Spill
	s_waitcnt vmcnt(1)
	v_cmp_ne_u16_sdwa s[4:5], v9, v2 src0_sel:BYTE_0 src1_sel:DWORD
	s_and_saveexec_b64 s[40:41], s[4:5]
	s_cbranch_execz .LBB259_96
; %bb.91:                               ;   in Loop: Header=BB259_13 Depth=1
	v_cmp_ne_u16_sdwa s[4:5], v9, s52 src0_sel:BYTE_0 src1_sel:DWORD
	v_mov_b32_e32 v0, 0x8000
	buffer_store_dword v0, off, s[56:59], 0 offset:24 ; 4-byte Folded Spill
	s_and_saveexec_b64 s[42:43], s[4:5]
	s_cbranch_execz .LBB259_95
; %bb.92:                               ;   in Loop: Header=BB259_13 Depth=1
	v_and_b32_e32 v0, 0x7f, v9
	v_cmp_ne_u32_e64 s[4:5], s53, v0
	v_mov_b32_e32 v1, 0x7c01
	buffer_store_dword v1, off, s[56:59], 0 offset:24 ; 4-byte Folded Spill
	s_and_saveexec_b64 s[44:45], s[4:5]
	s_cbranch_execz .LBB259_94
; %bb.93:                               ;   in Loop: Header=BB259_13 Depth=1
	v_and_b32_e32 v1, 7, v9
	v_ffbh_u32_e32 v3, v1
	v_min_u32_e32 v11, 32, v3
	v_lshrrev_b32_e32 v10, 3, v0
	v_subrev_u32_e32 v3, 28, v11
	v_lshlrev_b64 v[3:4], v3, v[9:10]
	v_sub_u32_e32 v4, 29, v11
	v_cmp_gt_u32_e64 s[4:5], 8, v0
	v_cndmask_b32_e64 v0, v10, v4, s[4:5]
	v_mov_b32_e32 v10, 0x2000
	v_lshl_add_u32 v0, v0, 10, v10
	v_lshlrev_b32_e32 v4, 8, v9
	v_and_b32_e32 v3, 7, v3
	v_and_b32_e32 v0, 0xfc00, v0
	v_cndmask_b32_e64 v1, v1, v3, s[4:5]
	v_and_or_b32 v0, v4, s54, v0
	v_lshl_or_b32 v0, v1, 7, v0
	buffer_store_dword v0, off, s[56:59], 0 offset:24 ; 4-byte Folded Spill
.LBB259_94:                             ;   in Loop: Header=BB259_13 Depth=1
	s_or_b64 exec, exec, s[44:45]
.LBB259_95:                             ;   in Loop: Header=BB259_13 Depth=1
	s_or_b64 exec, exec, s[42:43]
.LBB259_96:                             ;   in Loop: Header=BB259_13 Depth=1
	s_or_b64 exec, exec, s[40:41]
	v_lshrrev_b16_e32 v1, 8, v9
	v_cmp_ne_u16_e64 s[4:5], 0, v1
	s_and_saveexec_b64 s[40:41], s[4:5]
	s_cbranch_execz .LBB259_102
; %bb.97:                               ;   in Loop: Header=BB259_13 Depth=1
	v_cmp_ne_u16_e64 s[4:5], s52, v1
	v_bfrev_b32_e32 v45, 1
	s_and_saveexec_b64 s[42:43], s[4:5]
	s_cbranch_execz .LBB259_101
; %bb.98:                               ;   in Loop: Header=BB259_13 Depth=1
	v_and_b32_e32 v0, 0x7f, v1
	v_cmp_ne_u32_e64 s[4:5], s53, v0
	v_mov_b32_e32 v45, 0x7c010000
	s_and_saveexec_b64 s[44:45], s[4:5]
	s_cbranch_execz .LBB259_100
; %bb.99:                               ;   in Loop: Header=BB259_13 Depth=1
	v_and_b32_e32 v10, 7, v1
	v_ffbh_u32_e32 v3, v10
	v_min_u32_e32 v12, 32, v3
	v_subrev_u32_e32 v3, 28, v12
	v_lshlrev_b64 v[3:4], v3, v[1:2]
	v_lshrrev_b32_e32 v11, 3, v0
	v_sub_u32_e32 v4, 29, v12
	v_cmp_gt_u32_e64 s[4:5], 8, v0
	v_cndmask_b32_e64 v0, v11, v4, s[4:5]
	v_mov_b32_e32 v4, 0x2000
	v_lshlrev_b32_e32 v1, 8, v1
	v_lshl_add_u32 v0, v0, 10, v4
	v_and_b32_e32 v3, 7, v3
	v_and_or_b32 v0, v1, s54, v0
	v_cndmask_b32_e64 v3, v10, v3, s[4:5]
	v_lshlrev_b32_e32 v0, 16, v0
	v_lshl_or_b32 v45, v3, 23, v0
.LBB259_100:                            ;   in Loop: Header=BB259_13 Depth=1
	s_or_b64 exec, exec, s[44:45]
.LBB259_101:                            ;   in Loop: Header=BB259_13 Depth=1
	s_or_b64 exec, exec, s[42:43]
.LBB259_102:                            ;   in Loop: Header=BB259_13 Depth=1
	s_or_b64 exec, exec, s[40:41]
	v_lshrrev_b32_e32 v1, 16, v9
	v_cmp_ne_u16_sdwa s[4:5], v1, v2 src0_sel:BYTE_0 src1_sel:DWORD
	v_mov_b32_e32 v34, 0
	v_mov_b32_e32 v0, 0
	buffer_store_dword v0, off, s[56:59], 0 offset:28 ; 4-byte Folded Spill
	s_and_saveexec_b64 s[40:41], s[4:5]
	s_cbranch_execz .LBB259_108
; %bb.103:                              ;   in Loop: Header=BB259_13 Depth=1
	v_cmp_ne_u16_sdwa s[4:5], v1, s52 src0_sel:BYTE_0 src1_sel:DWORD
	v_mov_b32_e32 v0, 0x8000
	buffer_store_dword v0, off, s[56:59], 0 offset:28 ; 4-byte Folded Spill
	s_and_saveexec_b64 s[42:43], s[4:5]
	s_cbranch_execz .LBB259_107
; %bb.104:                              ;   in Loop: Header=BB259_13 Depth=1
	v_bfe_u32 v0, v9, 16, 7
	v_cmp_ne_u32_e64 s[4:5], s53, v0
	v_mov_b32_e32 v3, 0x7c01
	buffer_store_dword v3, off, s[56:59], 0 offset:28 ; 4-byte Folded Spill
	s_and_saveexec_b64 s[44:45], s[4:5]
	s_cbranch_execz .LBB259_106
; %bb.105:                              ;   in Loop: Header=BB259_13 Depth=1
	v_and_b32_e32 v10, 7, v1
	v_ffbh_u32_e32 v3, v10
	v_min_u32_e32 v12, 32, v3
	v_subrev_u32_e32 v3, 28, v12
	v_lshlrev_b64 v[3:4], v3, v[1:2]
	v_lshrrev_b32_e32 v11, 3, v0
	v_sub_u32_e32 v4, 29, v12
	v_cmp_gt_u32_e64 s[4:5], 8, v0
	v_cndmask_b32_e64 v0, v11, v4, s[4:5]
	v_mov_b32_e32 v4, 0x2000
	v_lshl_add_u32 v0, v0, 10, v4
	v_lshlrev_b32_e32 v1, 8, v1
	v_and_b32_e32 v3, 7, v3
	v_and_b32_e32 v0, 0xfc00, v0
	v_cndmask_b32_e64 v3, v10, v3, s[4:5]
	v_and_or_b32 v0, v1, s54, v0
	v_lshl_or_b32 v0, v3, 7, v0
	buffer_store_dword v0, off, s[56:59], 0 offset:28 ; 4-byte Folded Spill
.LBB259_106:                            ;   in Loop: Header=BB259_13 Depth=1
	s_or_b64 exec, exec, s[44:45]
.LBB259_107:                            ;   in Loop: Header=BB259_13 Depth=1
	s_or_b64 exec, exec, s[42:43]
.LBB259_108:                            ;   in Loop: Header=BB259_13 Depth=1
	s_or_b64 exec, exec, s[40:41]
	v_cmp_lt_u32_e64 s[4:5], s55, v9
	s_and_saveexec_b64 s[40:41], s[4:5]
	s_cbranch_execz .LBB259_114
; %bb.109:                              ;   in Loop: Header=BB259_13 Depth=1
	v_lshrrev_b32_e32 v1, 24, v9
	v_cmp_ne_u32_e64 s[4:5], s52, v1
	v_bfrev_b32_e32 v34, 1
	s_and_saveexec_b64 s[42:43], s[4:5]
	s_cbranch_execz .LBB259_113
; %bb.110:                              ;   in Loop: Header=BB259_13 Depth=1
	v_and_b32_e32 v0, 0x7f, v1
	v_cmp_ne_u32_e64 s[4:5], s53, v0
	v_mov_b32_e32 v34, 0x7c010000
	s_and_saveexec_b64 s[44:45], s[4:5]
	s_cbranch_execz .LBB259_112
; %bb.111:                              ;   in Loop: Header=BB259_13 Depth=1
	v_and_b32_e32 v9, 7, v1
	v_ffbh_u32_e32 v3, v9
	v_min_u32_e32 v11, 32, v3
	v_subrev_u32_e32 v3, 28, v11
	v_lshlrev_b64 v[3:4], v3, v[1:2]
	v_lshrrev_b32_e32 v10, 3, v0
	v_sub_u32_e32 v4, 29, v11
	v_cmp_gt_u32_e64 s[4:5], 8, v0
	v_cndmask_b32_e64 v0, v10, v4, s[4:5]
	v_mov_b32_e32 v4, 0x2000
	v_lshlrev_b32_e32 v1, 8, v1
	v_lshl_add_u32 v0, v0, 10, v4
	v_and_b32_e32 v3, 7, v3
	v_and_or_b32 v0, v1, s54, v0
	v_cndmask_b32_e64 v3, v9, v3, s[4:5]
	v_lshlrev_b32_e32 v0, 16, v0
	v_lshl_or_b32 v34, v3, 23, v0
.LBB259_112:                            ;   in Loop: Header=BB259_13 Depth=1
	s_or_b64 exec, exec, s[44:45]
.LBB259_113:                            ;   in Loop: Header=BB259_13 Depth=1
	s_or_b64 exec, exec, s[42:43]
.LBB259_114:                            ;   in Loop: Header=BB259_13 Depth=1
	s_or_b64 exec, exec, s[40:41]
	global_load_dword v9, v[7:8], off offset:1024
	v_mov_b32_e32 v42, 0
	v_mov_b32_e32 v0, 0
	buffer_store_dword v0, off, s[56:59], 0 offset:32 ; 4-byte Folded Spill
	s_waitcnt vmcnt(1)
	v_cmp_ne_u16_sdwa s[4:5], v9, v2 src0_sel:BYTE_0 src1_sel:DWORD
	s_and_saveexec_b64 s[40:41], s[4:5]
	s_cbranch_execz .LBB259_120
; %bb.115:                              ;   in Loop: Header=BB259_13 Depth=1
	v_cmp_ne_u16_sdwa s[4:5], v9, s52 src0_sel:BYTE_0 src1_sel:DWORD
	v_mov_b32_e32 v0, 0x8000
	buffer_store_dword v0, off, s[56:59], 0 offset:32 ; 4-byte Folded Spill
	s_and_saveexec_b64 s[42:43], s[4:5]
	s_cbranch_execz .LBB259_119
; %bb.116:                              ;   in Loop: Header=BB259_13 Depth=1
	v_and_b32_e32 v0, 0x7f, v9
	v_cmp_ne_u32_e64 s[4:5], s53, v0
	v_mov_b32_e32 v1, 0x7c01
	buffer_store_dword v1, off, s[56:59], 0 offset:32 ; 4-byte Folded Spill
	s_and_saveexec_b64 s[44:45], s[4:5]
	s_cbranch_execz .LBB259_118
; %bb.117:                              ;   in Loop: Header=BB259_13 Depth=1
	v_and_b32_e32 v1, 7, v9
	v_ffbh_u32_e32 v3, v1
	v_min_u32_e32 v11, 32, v3
	v_lshrrev_b32_e32 v10, 3, v0
	v_subrev_u32_e32 v3, 28, v11
	v_lshlrev_b64 v[3:4], v3, v[9:10]
	v_sub_u32_e32 v4, 29, v11
	v_cmp_gt_u32_e64 s[4:5], 8, v0
	v_cndmask_b32_e64 v0, v10, v4, s[4:5]
	v_mov_b32_e32 v10, 0x2000
	v_lshl_add_u32 v0, v0, 10, v10
	v_lshlrev_b32_e32 v4, 8, v9
	v_and_b32_e32 v3, 7, v3
	v_and_b32_e32 v0, 0xfc00, v0
	v_cndmask_b32_e64 v1, v1, v3, s[4:5]
	v_and_or_b32 v0, v4, s54, v0
	v_lshl_or_b32 v0, v1, 7, v0
	buffer_store_dword v0, off, s[56:59], 0 offset:32 ; 4-byte Folded Spill
.LBB259_118:                            ;   in Loop: Header=BB259_13 Depth=1
	s_or_b64 exec, exec, s[44:45]
.LBB259_119:                            ;   in Loop: Header=BB259_13 Depth=1
	s_or_b64 exec, exec, s[42:43]
.LBB259_120:                            ;   in Loop: Header=BB259_13 Depth=1
	s_or_b64 exec, exec, s[40:41]
	v_lshrrev_b16_e32 v1, 8, v9
	v_cmp_ne_u16_e64 s[4:5], 0, v1
	s_and_saveexec_b64 s[40:41], s[4:5]
	s_cbranch_execz .LBB259_126
; %bb.121:                              ;   in Loop: Header=BB259_13 Depth=1
	v_cmp_ne_u16_e64 s[4:5], s52, v1
	v_bfrev_b32_e32 v42, 1
	s_and_saveexec_b64 s[42:43], s[4:5]
	s_cbranch_execz .LBB259_125
; %bb.122:                              ;   in Loop: Header=BB259_13 Depth=1
	v_and_b32_e32 v0, 0x7f, v1
	v_cmp_ne_u32_e64 s[4:5], s53, v0
	v_mov_b32_e32 v42, 0x7c010000
	s_and_saveexec_b64 s[44:45], s[4:5]
	s_cbranch_execz .LBB259_124
; %bb.123:                              ;   in Loop: Header=BB259_13 Depth=1
	v_and_b32_e32 v10, 7, v1
	v_ffbh_u32_e32 v3, v10
	v_min_u32_e32 v12, 32, v3
	v_subrev_u32_e32 v3, 28, v12
	v_lshlrev_b64 v[3:4], v3, v[1:2]
	v_lshrrev_b32_e32 v11, 3, v0
	v_sub_u32_e32 v4, 29, v12
	v_cmp_gt_u32_e64 s[4:5], 8, v0
	v_cndmask_b32_e64 v0, v11, v4, s[4:5]
	v_mov_b32_e32 v4, 0x2000
	v_lshlrev_b32_e32 v1, 8, v1
	v_lshl_add_u32 v0, v0, 10, v4
	v_and_b32_e32 v3, 7, v3
	v_and_or_b32 v0, v1, s54, v0
	v_cndmask_b32_e64 v3, v10, v3, s[4:5]
	v_lshlrev_b32_e32 v0, 16, v0
	v_lshl_or_b32 v42, v3, 23, v0
.LBB259_124:                            ;   in Loop: Header=BB259_13 Depth=1
	s_or_b64 exec, exec, s[44:45]
.LBB259_125:                            ;   in Loop: Header=BB259_13 Depth=1
	s_or_b64 exec, exec, s[42:43]
.LBB259_126:                            ;   in Loop: Header=BB259_13 Depth=1
	s_or_b64 exec, exec, s[40:41]
	v_lshrrev_b32_e32 v1, 16, v9
	v_cmp_ne_u16_sdwa s[4:5], v1, v2 src0_sel:BYTE_0 src1_sel:DWORD
	v_mov_b32_e32 v44, 0
	v_mov_b32_e32 v0, 0
	buffer_store_dword v0, off, s[56:59], 0 offset:36 ; 4-byte Folded Spill
	s_and_saveexec_b64 s[40:41], s[4:5]
	s_cbranch_execz .LBB259_132
; %bb.127:                              ;   in Loop: Header=BB259_13 Depth=1
	v_cmp_ne_u16_sdwa s[4:5], v1, s52 src0_sel:BYTE_0 src1_sel:DWORD
	v_mov_b32_e32 v0, 0x8000
	buffer_store_dword v0, off, s[56:59], 0 offset:36 ; 4-byte Folded Spill
	s_and_saveexec_b64 s[42:43], s[4:5]
	s_cbranch_execz .LBB259_131
; %bb.128:                              ;   in Loop: Header=BB259_13 Depth=1
	v_bfe_u32 v0, v9, 16, 7
	v_cmp_ne_u32_e64 s[4:5], s53, v0
	v_mov_b32_e32 v3, 0x7c01
	buffer_store_dword v3, off, s[56:59], 0 offset:36 ; 4-byte Folded Spill
	s_and_saveexec_b64 s[44:45], s[4:5]
	s_cbranch_execz .LBB259_130
; %bb.129:                              ;   in Loop: Header=BB259_13 Depth=1
	v_and_b32_e32 v10, 7, v1
	v_ffbh_u32_e32 v3, v10
	v_min_u32_e32 v12, 32, v3
	v_subrev_u32_e32 v3, 28, v12
	v_lshlrev_b64 v[3:4], v3, v[1:2]
	v_lshrrev_b32_e32 v11, 3, v0
	v_sub_u32_e32 v4, 29, v12
	v_cmp_gt_u32_e64 s[4:5], 8, v0
	v_cndmask_b32_e64 v0, v11, v4, s[4:5]
	v_mov_b32_e32 v4, 0x2000
	v_lshl_add_u32 v0, v0, 10, v4
	v_lshlrev_b32_e32 v1, 8, v1
	v_and_b32_e32 v3, 7, v3
	v_and_b32_e32 v0, 0xfc00, v0
	v_cndmask_b32_e64 v3, v10, v3, s[4:5]
	v_and_or_b32 v0, v1, s54, v0
	v_lshl_or_b32 v0, v3, 7, v0
	buffer_store_dword v0, off, s[56:59], 0 offset:36 ; 4-byte Folded Spill
.LBB259_130:                            ;   in Loop: Header=BB259_13 Depth=1
	s_or_b64 exec, exec, s[44:45]
.LBB259_131:                            ;   in Loop: Header=BB259_13 Depth=1
	s_or_b64 exec, exec, s[42:43]
.LBB259_132:                            ;   in Loop: Header=BB259_13 Depth=1
	s_or_b64 exec, exec, s[40:41]
	v_cmp_lt_u32_e64 s[4:5], s55, v9
	s_and_saveexec_b64 s[40:41], s[4:5]
	s_cbranch_execz .LBB259_138
; %bb.133:                              ;   in Loop: Header=BB259_13 Depth=1
	v_lshrrev_b32_e32 v1, 24, v9
	v_cmp_ne_u32_e64 s[4:5], s52, v1
	v_bfrev_b32_e32 v44, 1
	s_and_saveexec_b64 s[42:43], s[4:5]
	s_cbranch_execz .LBB259_137
; %bb.134:                              ;   in Loop: Header=BB259_13 Depth=1
	v_and_b32_e32 v0, 0x7f, v1
	v_cmp_ne_u32_e64 s[4:5], s53, v0
	v_mov_b32_e32 v44, 0x7c010000
	s_and_saveexec_b64 s[44:45], s[4:5]
	s_cbranch_execz .LBB259_136
; %bb.135:                              ;   in Loop: Header=BB259_13 Depth=1
	v_and_b32_e32 v9, 7, v1
	v_ffbh_u32_e32 v3, v9
	v_min_u32_e32 v11, 32, v3
	v_subrev_u32_e32 v3, 28, v11
	v_lshlrev_b64 v[3:4], v3, v[1:2]
	v_lshrrev_b32_e32 v10, 3, v0
	v_sub_u32_e32 v4, 29, v11
	v_cmp_gt_u32_e64 s[4:5], 8, v0
	v_cndmask_b32_e64 v0, v10, v4, s[4:5]
	v_mov_b32_e32 v4, 0x2000
	v_lshlrev_b32_e32 v1, 8, v1
	v_lshl_add_u32 v0, v0, 10, v4
	v_and_b32_e32 v3, 7, v3
	v_and_or_b32 v0, v1, s54, v0
	v_cndmask_b32_e64 v3, v9, v3, s[4:5]
	v_lshlrev_b32_e32 v0, 16, v0
	v_lshl_or_b32 v44, v3, 23, v0
.LBB259_136:                            ;   in Loop: Header=BB259_13 Depth=1
	s_or_b64 exec, exec, s[44:45]
.LBB259_137:                            ;   in Loop: Header=BB259_13 Depth=1
	s_or_b64 exec, exec, s[42:43]
.LBB259_138:                            ;   in Loop: Header=BB259_13 Depth=1
	s_or_b64 exec, exec, s[40:41]
	global_load_dword v9, v[7:8], off offset:1032
	v_mov_b32_e32 v46, 0
	v_mov_b32_e32 v0, 0
	buffer_store_dword v0, off, s[56:59], 0 offset:40 ; 4-byte Folded Spill
	s_waitcnt vmcnt(1)
	v_cmp_ne_u16_sdwa s[4:5], v9, v2 src0_sel:BYTE_0 src1_sel:DWORD
	s_and_saveexec_b64 s[40:41], s[4:5]
	s_cbranch_execz .LBB259_144
; %bb.139:                              ;   in Loop: Header=BB259_13 Depth=1
	v_cmp_ne_u16_sdwa s[4:5], v9, s52 src0_sel:BYTE_0 src1_sel:DWORD
	v_mov_b32_e32 v0, 0x8000
	buffer_store_dword v0, off, s[56:59], 0 offset:40 ; 4-byte Folded Spill
	s_and_saveexec_b64 s[42:43], s[4:5]
	s_cbranch_execz .LBB259_143
; %bb.140:                              ;   in Loop: Header=BB259_13 Depth=1
	v_and_b32_e32 v0, 0x7f, v9
	v_cmp_ne_u32_e64 s[4:5], s53, v0
	v_mov_b32_e32 v1, 0x7c01
	buffer_store_dword v1, off, s[56:59], 0 offset:40 ; 4-byte Folded Spill
	s_and_saveexec_b64 s[44:45], s[4:5]
	s_cbranch_execz .LBB259_142
; %bb.141:                              ;   in Loop: Header=BB259_13 Depth=1
	v_and_b32_e32 v1, 7, v9
	v_ffbh_u32_e32 v3, v1
	v_min_u32_e32 v11, 32, v3
	v_lshrrev_b32_e32 v10, 3, v0
	v_subrev_u32_e32 v3, 28, v11
	v_lshlrev_b64 v[3:4], v3, v[9:10]
	v_sub_u32_e32 v4, 29, v11
	v_cmp_gt_u32_e64 s[4:5], 8, v0
	v_cndmask_b32_e64 v0, v10, v4, s[4:5]
	v_mov_b32_e32 v10, 0x2000
	v_lshl_add_u32 v0, v0, 10, v10
	v_lshlrev_b32_e32 v4, 8, v9
	v_and_b32_e32 v3, 7, v3
	v_and_b32_e32 v0, 0xfc00, v0
	v_cndmask_b32_e64 v1, v1, v3, s[4:5]
	v_and_or_b32 v0, v4, s54, v0
	v_lshl_or_b32 v0, v1, 7, v0
	buffer_store_dword v0, off, s[56:59], 0 offset:40 ; 4-byte Folded Spill
.LBB259_142:                            ;   in Loop: Header=BB259_13 Depth=1
	s_or_b64 exec, exec, s[44:45]
.LBB259_143:                            ;   in Loop: Header=BB259_13 Depth=1
	s_or_b64 exec, exec, s[42:43]
.LBB259_144:                            ;   in Loop: Header=BB259_13 Depth=1
	s_or_b64 exec, exec, s[40:41]
	v_lshrrev_b16_e32 v1, 8, v9
	v_cmp_ne_u16_e64 s[4:5], 0, v1
	s_and_saveexec_b64 s[40:41], s[4:5]
	s_cbranch_execz .LBB259_150
; %bb.145:                              ;   in Loop: Header=BB259_13 Depth=1
	v_cmp_ne_u16_e64 s[4:5], s52, v1
	v_bfrev_b32_e32 v46, 1
	s_and_saveexec_b64 s[42:43], s[4:5]
	s_cbranch_execz .LBB259_149
; %bb.146:                              ;   in Loop: Header=BB259_13 Depth=1
	v_and_b32_e32 v0, 0x7f, v1
	v_cmp_ne_u32_e64 s[4:5], s53, v0
	v_mov_b32_e32 v46, 0x7c010000
	s_and_saveexec_b64 s[44:45], s[4:5]
	s_cbranch_execz .LBB259_148
; %bb.147:                              ;   in Loop: Header=BB259_13 Depth=1
	v_and_b32_e32 v10, 7, v1
	v_ffbh_u32_e32 v3, v10
	v_min_u32_e32 v12, 32, v3
	v_subrev_u32_e32 v3, 28, v12
	v_lshlrev_b64 v[3:4], v3, v[1:2]
	v_lshrrev_b32_e32 v11, 3, v0
	v_sub_u32_e32 v4, 29, v12
	v_cmp_gt_u32_e64 s[4:5], 8, v0
	v_cndmask_b32_e64 v0, v11, v4, s[4:5]
	v_mov_b32_e32 v4, 0x2000
	v_lshlrev_b32_e32 v1, 8, v1
	v_lshl_add_u32 v0, v0, 10, v4
	v_and_b32_e32 v3, 7, v3
	v_and_or_b32 v0, v1, s54, v0
	v_cndmask_b32_e64 v3, v10, v3, s[4:5]
	v_lshlrev_b32_e32 v0, 16, v0
	v_lshl_or_b32 v46, v3, 23, v0
.LBB259_148:                            ;   in Loop: Header=BB259_13 Depth=1
	s_or_b64 exec, exec, s[44:45]
.LBB259_149:                            ;   in Loop: Header=BB259_13 Depth=1
	s_or_b64 exec, exec, s[42:43]
.LBB259_150:                            ;   in Loop: Header=BB259_13 Depth=1
	s_or_b64 exec, exec, s[40:41]
	v_lshrrev_b32_e32 v1, 16, v9
	v_cmp_ne_u16_sdwa s[4:5], v1, v2 src0_sel:BYTE_0 src1_sel:DWORD
	v_mov_b32_e32 v48, 0
	v_mov_b32_e32 v49, 0
	s_and_saveexec_b64 s[40:41], s[4:5]
	s_cbranch_execz .LBB259_156
; %bb.151:                              ;   in Loop: Header=BB259_13 Depth=1
	v_cmp_ne_u16_sdwa s[4:5], v1, s52 src0_sel:BYTE_0 src1_sel:DWORD
	v_mov_b32_e32 v49, 0x8000
	s_and_saveexec_b64 s[42:43], s[4:5]
	s_cbranch_execz .LBB259_155
; %bb.152:                              ;   in Loop: Header=BB259_13 Depth=1
	v_bfe_u32 v0, v9, 16, 7
	v_cmp_ne_u32_e64 s[4:5], s53, v0
	v_mov_b32_e32 v49, 0x7c01
	s_and_saveexec_b64 s[44:45], s[4:5]
	s_cbranch_execz .LBB259_154
; %bb.153:                              ;   in Loop: Header=BB259_13 Depth=1
	v_and_b32_e32 v10, 7, v1
	v_ffbh_u32_e32 v3, v10
	v_min_u32_e32 v12, 32, v3
	v_subrev_u32_e32 v3, 28, v12
	v_lshlrev_b64 v[3:4], v3, v[1:2]
	v_lshrrev_b32_e32 v11, 3, v0
	v_sub_u32_e32 v4, 29, v12
	v_cmp_gt_u32_e64 s[4:5], 8, v0
	v_cndmask_b32_e64 v0, v11, v4, s[4:5]
	v_mov_b32_e32 v4, 0x2000
	v_lshl_add_u32 v0, v0, 10, v4
	v_lshlrev_b32_e32 v1, 8, v1
	v_and_b32_e32 v3, 7, v3
	v_and_b32_e32 v0, 0xfc00, v0
	v_cndmask_b32_e64 v3, v10, v3, s[4:5]
	v_and_or_b32 v0, v1, s54, v0
	v_lshl_or_b32 v49, v3, 7, v0
.LBB259_154:                            ;   in Loop: Header=BB259_13 Depth=1
	s_or_b64 exec, exec, s[44:45]
.LBB259_155:                            ;   in Loop: Header=BB259_13 Depth=1
	s_or_b64 exec, exec, s[42:43]
.LBB259_156:                            ;   in Loop: Header=BB259_13 Depth=1
	s_or_b64 exec, exec, s[40:41]
	v_cmp_lt_u32_e64 s[4:5], s55, v9
	s_and_saveexec_b64 s[40:41], s[4:5]
	s_cbranch_execz .LBB259_162
; %bb.157:                              ;   in Loop: Header=BB259_13 Depth=1
	v_lshrrev_b32_e32 v1, 24, v9
	v_cmp_ne_u32_e64 s[4:5], s52, v1
	v_bfrev_b32_e32 v48, 1
	s_and_saveexec_b64 s[42:43], s[4:5]
	s_cbranch_execz .LBB259_161
; %bb.158:                              ;   in Loop: Header=BB259_13 Depth=1
	v_and_b32_e32 v0, 0x7f, v1
	v_cmp_ne_u32_e64 s[4:5], s53, v0
	v_mov_b32_e32 v48, 0x7c010000
	s_and_saveexec_b64 s[44:45], s[4:5]
	s_cbranch_execz .LBB259_160
; %bb.159:                              ;   in Loop: Header=BB259_13 Depth=1
	v_and_b32_e32 v9, 7, v1
	v_ffbh_u32_e32 v3, v9
	v_min_u32_e32 v11, 32, v3
	v_subrev_u32_e32 v3, 28, v11
	v_lshlrev_b64 v[3:4], v3, v[1:2]
	v_lshrrev_b32_e32 v10, 3, v0
	v_sub_u32_e32 v4, 29, v11
	v_cmp_gt_u32_e64 s[4:5], 8, v0
	v_cndmask_b32_e64 v0, v10, v4, s[4:5]
	v_mov_b32_e32 v4, 0x2000
	v_lshlrev_b32_e32 v1, 8, v1
	v_lshl_add_u32 v0, v0, 10, v4
	v_and_b32_e32 v3, 7, v3
	v_and_or_b32 v0, v1, s54, v0
	v_cndmask_b32_e64 v3, v9, v3, s[4:5]
	v_lshlrev_b32_e32 v0, 16, v0
	v_lshl_or_b32 v48, v3, 23, v0
.LBB259_160:                            ;   in Loop: Header=BB259_13 Depth=1
	s_or_b64 exec, exec, s[44:45]
.LBB259_161:                            ;   in Loop: Header=BB259_13 Depth=1
	s_or_b64 exec, exec, s[42:43]
.LBB259_162:                            ;   in Loop: Header=BB259_13 Depth=1
	s_or_b64 exec, exec, s[40:41]
	global_load_dword v9, v[7:8], off offset:1536
	v_mov_b32_e32 v50, 0
	v_mov_b32_e32 v43, 0
	s_waitcnt vmcnt(0)
	v_cmp_ne_u16_sdwa s[4:5], v9, v2 src0_sel:BYTE_0 src1_sel:DWORD
	s_and_saveexec_b64 s[40:41], s[4:5]
	s_cbranch_execz .LBB259_168
; %bb.163:                              ;   in Loop: Header=BB259_13 Depth=1
	v_cmp_ne_u16_sdwa s[4:5], v9, s52 src0_sel:BYTE_0 src1_sel:DWORD
	v_mov_b32_e32 v43, 0x8000
	s_and_saveexec_b64 s[42:43], s[4:5]
	s_cbranch_execz .LBB259_167
; %bb.164:                              ;   in Loop: Header=BB259_13 Depth=1
	v_and_b32_e32 v0, 0x7f, v9
	v_cmp_ne_u32_e64 s[4:5], s53, v0
	v_mov_b32_e32 v43, 0x7c01
	s_and_saveexec_b64 s[44:45], s[4:5]
	s_cbranch_execz .LBB259_166
; %bb.165:                              ;   in Loop: Header=BB259_13 Depth=1
	v_and_b32_e32 v1, 7, v9
	v_ffbh_u32_e32 v3, v1
	v_min_u32_e32 v11, 32, v3
	v_lshrrev_b32_e32 v10, 3, v0
	v_subrev_u32_e32 v3, 28, v11
	v_lshlrev_b64 v[3:4], v3, v[9:10]
	v_sub_u32_e32 v4, 29, v11
	v_cmp_gt_u32_e64 s[4:5], 8, v0
	v_cndmask_b32_e64 v0, v10, v4, s[4:5]
	v_mov_b32_e32 v10, 0x2000
	v_lshl_add_u32 v0, v0, 10, v10
	v_lshlrev_b32_e32 v4, 8, v9
	v_and_b32_e32 v3, 7, v3
	v_and_b32_e32 v0, 0xfc00, v0
	v_cndmask_b32_e64 v1, v1, v3, s[4:5]
	v_and_or_b32 v0, v4, s54, v0
	v_lshl_or_b32 v43, v1, 7, v0
.LBB259_166:                            ;   in Loop: Header=BB259_13 Depth=1
	s_or_b64 exec, exec, s[44:45]
.LBB259_167:                            ;   in Loop: Header=BB259_13 Depth=1
	s_or_b64 exec, exec, s[42:43]
.LBB259_168:                            ;   in Loop: Header=BB259_13 Depth=1
	s_or_b64 exec, exec, s[40:41]
	v_lshrrev_b16_e32 v1, 8, v9
	v_cmp_ne_u16_e64 s[4:5], 0, v1
	s_and_saveexec_b64 s[40:41], s[4:5]
	s_cbranch_execz .LBB259_174
; %bb.169:                              ;   in Loop: Header=BB259_13 Depth=1
	v_cmp_ne_u16_e64 s[4:5], s52, v1
	v_bfrev_b32_e32 v50, 1
	s_and_saveexec_b64 s[42:43], s[4:5]
	s_cbranch_execz .LBB259_173
; %bb.170:                              ;   in Loop: Header=BB259_13 Depth=1
	v_and_b32_e32 v0, 0x7f, v1
	v_cmp_ne_u32_e64 s[4:5], s53, v0
	v_mov_b32_e32 v50, 0x7c010000
	s_and_saveexec_b64 s[44:45], s[4:5]
	s_cbranch_execz .LBB259_172
; %bb.171:                              ;   in Loop: Header=BB259_13 Depth=1
	v_and_b32_e32 v10, 7, v1
	v_ffbh_u32_e32 v3, v10
	v_min_u32_e32 v12, 32, v3
	v_subrev_u32_e32 v3, 28, v12
	v_lshlrev_b64 v[3:4], v3, v[1:2]
	v_lshrrev_b32_e32 v11, 3, v0
	v_sub_u32_e32 v4, 29, v12
	v_cmp_gt_u32_e64 s[4:5], 8, v0
	v_cndmask_b32_e64 v0, v11, v4, s[4:5]
	v_mov_b32_e32 v4, 0x2000
	v_lshlrev_b32_e32 v1, 8, v1
	v_lshl_add_u32 v0, v0, 10, v4
	v_and_b32_e32 v3, 7, v3
	v_and_or_b32 v0, v1, s54, v0
	v_cndmask_b32_e64 v3, v10, v3, s[4:5]
	v_lshlrev_b32_e32 v0, 16, v0
	v_lshl_or_b32 v50, v3, 23, v0
.LBB259_172:                            ;   in Loop: Header=BB259_13 Depth=1
	s_or_b64 exec, exec, s[44:45]
.LBB259_173:                            ;   in Loop: Header=BB259_13 Depth=1
	s_or_b64 exec, exec, s[42:43]
.LBB259_174:                            ;   in Loop: Header=BB259_13 Depth=1
	s_or_b64 exec, exec, s[40:41]
	v_lshrrev_b32_e32 v1, 16, v9
	v_cmp_ne_u16_sdwa s[4:5], v1, v2 src0_sel:BYTE_0 src1_sel:DWORD
	v_mov_b32_e32 v52, 0
	v_mov_b32_e32 v53, 0
	s_and_saveexec_b64 s[40:41], s[4:5]
	s_cbranch_execz .LBB259_180
; %bb.175:                              ;   in Loop: Header=BB259_13 Depth=1
	v_cmp_ne_u16_sdwa s[4:5], v1, s52 src0_sel:BYTE_0 src1_sel:DWORD
	v_mov_b32_e32 v53, 0x8000
	s_and_saveexec_b64 s[42:43], s[4:5]
	s_cbranch_execz .LBB259_179
; %bb.176:                              ;   in Loop: Header=BB259_13 Depth=1
	v_bfe_u32 v0, v9, 16, 7
	v_cmp_ne_u32_e64 s[4:5], s53, v0
	v_mov_b32_e32 v53, 0x7c01
	s_and_saveexec_b64 s[44:45], s[4:5]
	s_cbranch_execz .LBB259_178
; %bb.177:                              ;   in Loop: Header=BB259_13 Depth=1
	v_and_b32_e32 v10, 7, v1
	v_ffbh_u32_e32 v3, v10
	v_min_u32_e32 v12, 32, v3
	v_subrev_u32_e32 v3, 28, v12
	v_lshlrev_b64 v[3:4], v3, v[1:2]
	v_lshrrev_b32_e32 v11, 3, v0
	v_sub_u32_e32 v4, 29, v12
	v_cmp_gt_u32_e64 s[4:5], 8, v0
	v_cndmask_b32_e64 v0, v11, v4, s[4:5]
	v_mov_b32_e32 v4, 0x2000
	v_lshl_add_u32 v0, v0, 10, v4
	v_lshlrev_b32_e32 v1, 8, v1
	v_and_b32_e32 v3, 7, v3
	v_and_b32_e32 v0, 0xfc00, v0
	v_cndmask_b32_e64 v3, v10, v3, s[4:5]
	v_and_or_b32 v0, v1, s54, v0
	v_lshl_or_b32 v53, v3, 7, v0
.LBB259_178:                            ;   in Loop: Header=BB259_13 Depth=1
	s_or_b64 exec, exec, s[44:45]
.LBB259_179:                            ;   in Loop: Header=BB259_13 Depth=1
	s_or_b64 exec, exec, s[42:43]
.LBB259_180:                            ;   in Loop: Header=BB259_13 Depth=1
	s_or_b64 exec, exec, s[40:41]
	v_cmp_lt_u32_e64 s[4:5], s55, v9
	s_and_saveexec_b64 s[40:41], s[4:5]
	s_cbranch_execz .LBB259_186
; %bb.181:                              ;   in Loop: Header=BB259_13 Depth=1
	v_lshrrev_b32_e32 v1, 24, v9
	v_cmp_ne_u32_e64 s[4:5], s52, v1
	v_bfrev_b32_e32 v52, 1
	s_and_saveexec_b64 s[42:43], s[4:5]
	s_cbranch_execz .LBB259_185
; %bb.182:                              ;   in Loop: Header=BB259_13 Depth=1
	v_and_b32_e32 v0, 0x7f, v1
	v_cmp_ne_u32_e64 s[4:5], s53, v0
	v_mov_b32_e32 v52, 0x7c010000
	s_and_saveexec_b64 s[44:45], s[4:5]
	s_cbranch_execz .LBB259_184
; %bb.183:                              ;   in Loop: Header=BB259_13 Depth=1
	v_and_b32_e32 v9, 7, v1
	v_ffbh_u32_e32 v3, v9
	v_min_u32_e32 v11, 32, v3
	v_subrev_u32_e32 v3, 28, v11
	v_lshlrev_b64 v[3:4], v3, v[1:2]
	v_lshrrev_b32_e32 v10, 3, v0
	v_sub_u32_e32 v4, 29, v11
	v_cmp_gt_u32_e64 s[4:5], 8, v0
	v_cndmask_b32_e64 v0, v10, v4, s[4:5]
	v_mov_b32_e32 v4, 0x2000
	v_lshlrev_b32_e32 v1, 8, v1
	v_lshl_add_u32 v0, v0, 10, v4
	v_and_b32_e32 v3, 7, v3
	v_and_or_b32 v0, v1, s54, v0
	v_cndmask_b32_e64 v3, v9, v3, s[4:5]
	v_lshlrev_b32_e32 v0, 16, v0
	v_lshl_or_b32 v52, v3, 23, v0
.LBB259_184:                            ;   in Loop: Header=BB259_13 Depth=1
	s_or_b64 exec, exec, s[44:45]
.LBB259_185:                            ;   in Loop: Header=BB259_13 Depth=1
	s_or_b64 exec, exec, s[42:43]
.LBB259_186:                            ;   in Loop: Header=BB259_13 Depth=1
	s_or_b64 exec, exec, s[40:41]
	global_load_dword v9, v[7:8], off offset:1544
	v_mov_b32_e32 v54, 0
	v_mov_b32_e32 v60, 0
	s_waitcnt vmcnt(0)
	v_cmp_ne_u16_sdwa s[4:5], v9, v2 src0_sel:BYTE_0 src1_sel:DWORD
	s_and_saveexec_b64 s[40:41], s[4:5]
	s_cbranch_execz .LBB259_192
; %bb.187:                              ;   in Loop: Header=BB259_13 Depth=1
	v_cmp_ne_u16_sdwa s[4:5], v9, s52 src0_sel:BYTE_0 src1_sel:DWORD
	v_mov_b32_e32 v60, 0x8000
	s_and_saveexec_b64 s[42:43], s[4:5]
	s_cbranch_execz .LBB259_191
; %bb.188:                              ;   in Loop: Header=BB259_13 Depth=1
	v_and_b32_e32 v0, 0x7f, v9
	v_cmp_ne_u32_e64 s[4:5], s53, v0
	v_mov_b32_e32 v60, 0x7c01
	s_and_saveexec_b64 s[44:45], s[4:5]
	s_cbranch_execz .LBB259_190
; %bb.189:                              ;   in Loop: Header=BB259_13 Depth=1
	v_and_b32_e32 v1, 7, v9
	v_ffbh_u32_e32 v3, v1
	v_min_u32_e32 v11, 32, v3
	v_lshrrev_b32_e32 v10, 3, v0
	v_subrev_u32_e32 v3, 28, v11
	v_lshlrev_b64 v[3:4], v3, v[9:10]
	v_sub_u32_e32 v4, 29, v11
	v_cmp_gt_u32_e64 s[4:5], 8, v0
	v_cndmask_b32_e64 v0, v10, v4, s[4:5]
	v_mov_b32_e32 v10, 0x2000
	v_lshl_add_u32 v0, v0, 10, v10
	v_lshlrev_b32_e32 v4, 8, v9
	v_and_b32_e32 v3, 7, v3
	v_and_b32_e32 v0, 0xfc00, v0
	v_cndmask_b32_e64 v1, v1, v3, s[4:5]
	v_and_or_b32 v0, v4, s54, v0
	v_lshl_or_b32 v60, v1, 7, v0
.LBB259_190:                            ;   in Loop: Header=BB259_13 Depth=1
	s_or_b64 exec, exec, s[44:45]
.LBB259_191:                            ;   in Loop: Header=BB259_13 Depth=1
	s_or_b64 exec, exec, s[42:43]
.LBB259_192:                            ;   in Loop: Header=BB259_13 Depth=1
	s_or_b64 exec, exec, s[40:41]
	v_lshrrev_b16_e32 v1, 8, v9
	v_cmp_ne_u16_e64 s[4:5], 0, v1
	s_and_saveexec_b64 s[40:41], s[4:5]
	s_cbranch_execz .LBB259_198
; %bb.193:                              ;   in Loop: Header=BB259_13 Depth=1
	v_cmp_ne_u16_e64 s[4:5], s52, v1
	v_bfrev_b32_e32 v54, 1
	s_and_saveexec_b64 s[42:43], s[4:5]
	s_cbranch_execz .LBB259_197
; %bb.194:                              ;   in Loop: Header=BB259_13 Depth=1
	v_and_b32_e32 v0, 0x7f, v1
	v_cmp_ne_u32_e64 s[4:5], s53, v0
	v_mov_b32_e32 v54, 0x7c010000
	s_and_saveexec_b64 s[44:45], s[4:5]
	s_cbranch_execz .LBB259_196
; %bb.195:                              ;   in Loop: Header=BB259_13 Depth=1
	v_and_b32_e32 v10, 7, v1
	v_ffbh_u32_e32 v3, v10
	v_min_u32_e32 v12, 32, v3
	v_subrev_u32_e32 v3, 28, v12
	v_lshlrev_b64 v[3:4], v3, v[1:2]
	v_lshrrev_b32_e32 v11, 3, v0
	v_sub_u32_e32 v4, 29, v12
	v_cmp_gt_u32_e64 s[4:5], 8, v0
	v_cndmask_b32_e64 v0, v11, v4, s[4:5]
	v_mov_b32_e32 v4, 0x2000
	v_lshlrev_b32_e32 v1, 8, v1
	v_lshl_add_u32 v0, v0, 10, v4
	v_and_b32_e32 v3, 7, v3
	v_and_or_b32 v0, v1, s54, v0
	v_cndmask_b32_e64 v3, v10, v3, s[4:5]
	v_lshlrev_b32_e32 v0, 16, v0
	v_lshl_or_b32 v54, v3, 23, v0
.LBB259_196:                            ;   in Loop: Header=BB259_13 Depth=1
	s_or_b64 exec, exec, s[44:45]
.LBB259_197:                            ;   in Loop: Header=BB259_13 Depth=1
	s_or_b64 exec, exec, s[42:43]
.LBB259_198:                            ;   in Loop: Header=BB259_13 Depth=1
	s_or_b64 exec, exec, s[40:41]
	v_lshrrev_b32_e32 v1, 16, v9
	v_cmp_ne_u16_sdwa s[4:5], v1, v2 src0_sel:BYTE_0 src1_sel:DWORD
	v_mov_b32_e32 v56, 0
	v_mov_b32_e32 v47, 0
	s_and_saveexec_b64 s[40:41], s[4:5]
	s_cbranch_execz .LBB259_204
; %bb.199:                              ;   in Loop: Header=BB259_13 Depth=1
	v_cmp_ne_u16_sdwa s[4:5], v1, s52 src0_sel:BYTE_0 src1_sel:DWORD
	v_mov_b32_e32 v47, 0x8000
	s_and_saveexec_b64 s[42:43], s[4:5]
	s_cbranch_execz .LBB259_203
; %bb.200:                              ;   in Loop: Header=BB259_13 Depth=1
	v_bfe_u32 v0, v9, 16, 7
	v_cmp_ne_u32_e64 s[4:5], s53, v0
	v_mov_b32_e32 v47, 0x7c01
	s_and_saveexec_b64 s[44:45], s[4:5]
	s_cbranch_execz .LBB259_202
; %bb.201:                              ;   in Loop: Header=BB259_13 Depth=1
	v_and_b32_e32 v10, 7, v1
	v_lshrrev_b32_e32 v11, 3, v0
	v_cmp_gt_u32_e64 s[4:5], 8, v0
	v_ffbh_u32_e32 v0, v10
	v_min_u32_e32 v0, 32, v0
	v_subrev_u32_e32 v3, 28, v0
	v_lshlrev_b64 v[3:4], v3, v[1:2]
	v_sub_u32_e32 v0, 29, v0
	v_cndmask_b32_e64 v0, v11, v0, s[4:5]
	v_mov_b32_e32 v4, 0x2000
	v_lshl_add_u32 v0, v0, 10, v4
	v_lshlrev_b32_e32 v1, 8, v1
	v_and_b32_e32 v3, 7, v3
	v_and_b32_e32 v0, 0xfc00, v0
	v_cndmask_b32_e64 v3, v10, v3, s[4:5]
	v_and_or_b32 v0, v1, s54, v0
	v_lshl_or_b32 v47, v3, 7, v0
.LBB259_202:                            ;   in Loop: Header=BB259_13 Depth=1
	s_or_b64 exec, exec, s[44:45]
.LBB259_203:                            ;   in Loop: Header=BB259_13 Depth=1
	s_or_b64 exec, exec, s[42:43]
.LBB259_204:                            ;   in Loop: Header=BB259_13 Depth=1
	s_or_b64 exec, exec, s[40:41]
	v_cmp_lt_u32_e64 s[4:5], s55, v9
	s_and_saveexec_b64 s[40:41], s[4:5]
	s_cbranch_execz .LBB259_210
; %bb.205:                              ;   in Loop: Header=BB259_13 Depth=1
	v_lshrrev_b32_e32 v1, 24, v9
	v_cmp_ne_u32_e64 s[4:5], s52, v1
	v_bfrev_b32_e32 v56, 1
	s_and_saveexec_b64 s[42:43], s[4:5]
	s_cbranch_execz .LBB259_209
; %bb.206:                              ;   in Loop: Header=BB259_13 Depth=1
	v_and_b32_e32 v0, 0x7f, v1
	v_cmp_ne_u32_e64 s[4:5], s53, v0
	v_mov_b32_e32 v56, 0x7c010000
	s_and_saveexec_b64 s[44:45], s[4:5]
	s_cbranch_execz .LBB259_208
; %bb.207:                              ;   in Loop: Header=BB259_13 Depth=1
	v_and_b32_e32 v9, 7, v1
	v_ffbh_u32_e32 v3, v9
	v_min_u32_e32 v11, 32, v3
	v_subrev_u32_e32 v3, 28, v11
	v_lshlrev_b64 v[3:4], v3, v[1:2]
	v_lshrrev_b32_e32 v10, 3, v0
	v_sub_u32_e32 v4, 29, v11
	v_cmp_gt_u32_e64 s[4:5], 8, v0
	v_cndmask_b32_e64 v0, v10, v4, s[4:5]
	v_mov_b32_e32 v4, 0x2000
	v_lshlrev_b32_e32 v1, 8, v1
	v_lshl_add_u32 v0, v0, 10, v4
	v_and_b32_e32 v3, 7, v3
	v_and_or_b32 v0, v1, s54, v0
	v_cndmask_b32_e64 v3, v9, v3, s[4:5]
	v_lshlrev_b32_e32 v0, 16, v0
	v_lshl_or_b32 v56, v3, 23, v0
.LBB259_208:                            ;   in Loop: Header=BB259_13 Depth=1
	s_or_b64 exec, exec, s[44:45]
.LBB259_209:                            ;   in Loop: Header=BB259_13 Depth=1
	s_or_b64 exec, exec, s[42:43]
.LBB259_210:                            ;   in Loop: Header=BB259_13 Depth=1
	s_or_b64 exec, exec, s[40:41]
	global_load_dword v9, v[7:8], off offset:2048
	v_mov_b32_e32 v58, 0
	v_mov_b32_e32 v61, 0
	s_waitcnt vmcnt(0)
	v_cmp_ne_u16_sdwa s[4:5], v9, v2 src0_sel:BYTE_0 src1_sel:DWORD
	s_and_saveexec_b64 s[40:41], s[4:5]
	s_cbranch_execz .LBB259_216
; %bb.211:                              ;   in Loop: Header=BB259_13 Depth=1
	v_cmp_ne_u16_sdwa s[4:5], v9, s52 src0_sel:BYTE_0 src1_sel:DWORD
	v_mov_b32_e32 v61, 0x8000
	s_and_saveexec_b64 s[42:43], s[4:5]
	s_cbranch_execz .LBB259_215
; %bb.212:                              ;   in Loop: Header=BB259_13 Depth=1
	v_and_b32_e32 v0, 0x7f, v9
	v_cmp_ne_u32_e64 s[4:5], s53, v0
	v_mov_b32_e32 v61, 0x7c01
	s_and_saveexec_b64 s[44:45], s[4:5]
	s_cbranch_execz .LBB259_214
; %bb.213:                              ;   in Loop: Header=BB259_13 Depth=1
	v_and_b32_e32 v3, 7, v9
	v_lshrrev_b32_e32 v4, 3, v0
	v_cmp_gt_u32_e64 s[4:5], 8, v0
	v_ffbh_u32_e32 v0, v3
	v_min_u32_e32 v10, 32, v0
	v_subrev_u32_e32 v0, 28, v10
	v_lshlrev_b64 v[0:1], v0, v[9:10]
	v_sub_u32_e32 v1, 29, v10
	v_cndmask_b32_e64 v1, v4, v1, s[4:5]
	v_mov_b32_e32 v10, 0x2000
	v_lshl_add_u32 v1, v1, 10, v10
	v_lshlrev_b32_e32 v4, 8, v9
	v_and_b32_e32 v0, 7, v0
	v_and_b32_e32 v1, 0xfc00, v1
	v_cndmask_b32_e64 v0, v3, v0, s[4:5]
	v_and_or_b32 v1, v4, s54, v1
	v_lshl_or_b32 v61, v0, 7, v1
.LBB259_214:                            ;   in Loop: Header=BB259_13 Depth=1
	s_or_b64 exec, exec, s[44:45]
.LBB259_215:                            ;   in Loop: Header=BB259_13 Depth=1
	s_or_b64 exec, exec, s[42:43]
.LBB259_216:                            ;   in Loop: Header=BB259_13 Depth=1
	s_or_b64 exec, exec, s[40:41]
	v_lshrrev_b16_e32 v1, 8, v9
	v_cmp_ne_u16_e64 s[4:5], 0, v1
	s_and_saveexec_b64 s[40:41], s[4:5]
	s_cbranch_execz .LBB259_222
; %bb.217:                              ;   in Loop: Header=BB259_13 Depth=1
	v_cmp_ne_u16_e64 s[4:5], s52, v1
	v_bfrev_b32_e32 v58, 1
	s_and_saveexec_b64 s[42:43], s[4:5]
	s_cbranch_execz .LBB259_221
; %bb.218:                              ;   in Loop: Header=BB259_13 Depth=1
	v_and_b32_e32 v0, 0x7f, v1
	v_cmp_ne_u32_e64 s[4:5], s53, v0
	v_mov_b32_e32 v58, 0x7c010000
	s_and_saveexec_b64 s[44:45], s[4:5]
	s_cbranch_execz .LBB259_220
; %bb.219:                              ;   in Loop: Header=BB259_13 Depth=1
	v_and_b32_e32 v10, 7, v1
	v_lshrrev_b32_e32 v11, 3, v0
	v_cmp_gt_u32_e64 s[4:5], 8, v0
	v_ffbh_u32_e32 v0, v10
	v_min_u32_e32 v0, 32, v0
	v_subrev_u32_e32 v3, 28, v0
	v_lshlrev_b64 v[3:4], v3, v[1:2]
	v_sub_u32_e32 v0, 29, v0
	v_cndmask_b32_e64 v0, v11, v0, s[4:5]
	v_mov_b32_e32 v4, 0x2000
	v_lshlrev_b32_e32 v1, 8, v1
	v_lshl_add_u32 v0, v0, 10, v4
	v_and_b32_e32 v3, 7, v3
	v_and_or_b32 v0, v1, s54, v0
	v_cndmask_b32_e64 v3, v10, v3, s[4:5]
	v_lshlrev_b32_e32 v0, 16, v0
	v_lshl_or_b32 v58, v3, 23, v0
.LBB259_220:                            ;   in Loop: Header=BB259_13 Depth=1
	s_or_b64 exec, exec, s[44:45]
.LBB259_221:                            ;   in Loop: Header=BB259_13 Depth=1
	s_or_b64 exec, exec, s[42:43]
.LBB259_222:                            ;   in Loop: Header=BB259_13 Depth=1
	s_or_b64 exec, exec, s[40:41]
	v_lshrrev_b32_e32 v1, 16, v9
	v_cmp_ne_u16_sdwa s[4:5], v1, v2 src0_sel:BYTE_0 src1_sel:DWORD
	v_mov_b32_e32 v62, 0
	v_mov_b32_e32 v63, 0
	s_and_saveexec_b64 s[40:41], s[4:5]
	s_cbranch_execz .LBB259_228
; %bb.223:                              ;   in Loop: Header=BB259_13 Depth=1
	v_cmp_ne_u16_sdwa s[4:5], v1, s52 src0_sel:BYTE_0 src1_sel:DWORD
	v_mov_b32_e32 v63, 0x8000
	s_and_saveexec_b64 s[42:43], s[4:5]
	s_cbranch_execz .LBB259_227
; %bb.224:                              ;   in Loop: Header=BB259_13 Depth=1
	v_bfe_u32 v0, v9, 16, 7
	v_cmp_ne_u32_e64 s[4:5], s53, v0
	v_mov_b32_e32 v63, 0x7c01
	s_and_saveexec_b64 s[44:45], s[4:5]
	s_cbranch_execz .LBB259_226
; %bb.225:                              ;   in Loop: Header=BB259_13 Depth=1
	v_and_b32_e32 v10, 7, v1
	v_lshrrev_b32_e32 v11, 3, v0
	v_cmp_gt_u32_e64 s[4:5], 8, v0
	v_ffbh_u32_e32 v0, v10
	v_min_u32_e32 v0, 32, v0
	v_subrev_u32_e32 v3, 28, v0
	v_lshlrev_b64 v[3:4], v3, v[1:2]
	v_sub_u32_e32 v0, 29, v0
	v_cndmask_b32_e64 v0, v11, v0, s[4:5]
	v_mov_b32_e32 v4, 0x2000
	v_lshl_add_u32 v0, v0, 10, v4
	v_lshlrev_b32_e32 v1, 8, v1
	v_and_b32_e32 v3, 7, v3
	v_and_b32_e32 v0, 0xfc00, v0
	v_cndmask_b32_e64 v3, v10, v3, s[4:5]
	v_and_or_b32 v0, v1, s54, v0
	v_lshl_or_b32 v63, v3, 7, v0
.LBB259_226:                            ;   in Loop: Header=BB259_13 Depth=1
	s_or_b64 exec, exec, s[44:45]
.LBB259_227:                            ;   in Loop: Header=BB259_13 Depth=1
	s_or_b64 exec, exec, s[42:43]
.LBB259_228:                            ;   in Loop: Header=BB259_13 Depth=1
	s_or_b64 exec, exec, s[40:41]
	v_cmp_lt_u32_e64 s[4:5], s55, v9
	s_and_saveexec_b64 s[40:41], s[4:5]
	s_cbranch_execz .LBB259_234
; %bb.229:                              ;   in Loop: Header=BB259_13 Depth=1
	v_lshrrev_b32_e32 v1, 24, v9
	v_cmp_ne_u32_e64 s[4:5], s52, v1
	v_bfrev_b32_e32 v62, 1
	s_and_saveexec_b64 s[42:43], s[4:5]
	s_cbranch_execz .LBB259_233
; %bb.230:                              ;   in Loop: Header=BB259_13 Depth=1
	v_and_b32_e32 v0, 0x7f, v1
	v_cmp_ne_u32_e64 s[4:5], s53, v0
	v_mov_b32_e32 v62, 0x7c010000
	s_and_saveexec_b64 s[44:45], s[4:5]
	s_cbranch_execz .LBB259_232
; %bb.231:                              ;   in Loop: Header=BB259_13 Depth=1
	v_and_b32_e32 v9, 7, v1
	v_lshrrev_b32_e32 v10, 3, v0
	v_cmp_gt_u32_e64 s[4:5], 8, v0
	v_ffbh_u32_e32 v0, v9
	v_min_u32_e32 v0, 32, v0
	v_subrev_u32_e32 v3, 28, v0
	v_lshlrev_b64 v[3:4], v3, v[1:2]
	v_sub_u32_e32 v0, 29, v0
	v_cndmask_b32_e64 v0, v10, v0, s[4:5]
	v_mov_b32_e32 v4, 0x2000
	v_lshlrev_b32_e32 v1, 8, v1
	v_lshl_add_u32 v0, v0, 10, v4
	v_and_b32_e32 v3, 7, v3
	v_and_or_b32 v0, v1, s54, v0
	v_cndmask_b32_e64 v3, v9, v3, s[4:5]
	v_lshlrev_b32_e32 v0, 16, v0
	v_lshl_or_b32 v62, v3, 23, v0
.LBB259_232:                            ;   in Loop: Header=BB259_13 Depth=1
	s_or_b64 exec, exec, s[44:45]
.LBB259_233:                            ;   in Loop: Header=BB259_13 Depth=1
	s_or_b64 exec, exec, s[42:43]
.LBB259_234:                            ;   in Loop: Header=BB259_13 Depth=1
	s_or_b64 exec, exec, s[40:41]
	global_load_dword v9, v[7:8], off offset:2056
	v_mov_b32_e32 v0, 0
	v_mov_b32_e32 v18, 0
	s_waitcnt vmcnt(0)
	v_cmp_ne_u16_sdwa s[4:5], v9, v2 src0_sel:BYTE_0 src1_sel:DWORD
	s_and_saveexec_b64 s[40:41], s[4:5]
	s_cbranch_execz .LBB259_240
; %bb.235:                              ;   in Loop: Header=BB259_13 Depth=1
	v_cmp_ne_u16_sdwa s[4:5], v9, s52 src0_sel:BYTE_0 src1_sel:DWORD
	v_mov_b32_e32 v18, 0x8000
	s_and_saveexec_b64 s[42:43], s[4:5]
	s_cbranch_execz .LBB259_239
; %bb.236:                              ;   in Loop: Header=BB259_13 Depth=1
	v_and_b32_e32 v1, 0x7f, v9
	v_cmp_ne_u32_e64 s[4:5], s53, v1
	v_mov_b32_e32 v18, 0x7c01
	s_and_saveexec_b64 s[44:45], s[4:5]
	s_cbranch_execz .LBB259_238
; %bb.237:                              ;   in Loop: Header=BB259_13 Depth=1
	v_and_b32_e32 v10, 7, v9
	v_lshrrev_b32_e32 v11, 3, v1
	v_cmp_gt_u32_e64 s[4:5], 8, v1
	v_ffbh_u32_e32 v1, v10
	v_min_u32_e32 v1, 32, v1
	v_subrev_u32_e32 v3, 28, v1
	v_sub_u32_e32 v1, 29, v1
	v_lshlrev_b64 v[3:4], v3, v[9:10]
	v_cndmask_b32_e64 v1, v11, v1, s[4:5]
	v_mov_b32_e32 v11, 0x2000
	v_lshl_add_u32 v1, v1, 10, v11
	v_lshlrev_b32_e32 v4, 8, v9
	v_and_b32_e32 v3, 7, v3
	v_and_b32_e32 v1, 0xfc00, v1
	v_cndmask_b32_e64 v3, v10, v3, s[4:5]
	v_and_or_b32 v1, v4, s54, v1
	v_lshl_or_b32 v18, v3, 7, v1
.LBB259_238:                            ;   in Loop: Header=BB259_13 Depth=1
	s_or_b64 exec, exec, s[44:45]
.LBB259_239:                            ;   in Loop: Header=BB259_13 Depth=1
	s_or_b64 exec, exec, s[42:43]
.LBB259_240:                            ;   in Loop: Header=BB259_13 Depth=1
	s_or_b64 exec, exec, s[40:41]
	v_lshrrev_b16_e32 v1, 8, v9
	v_cmp_ne_u16_e64 s[4:5], 0, v1
	s_and_saveexec_b64 s[40:41], s[4:5]
	s_cbranch_execz .LBB259_246
; %bb.241:                              ;   in Loop: Header=BB259_13 Depth=1
	v_cmp_ne_u16_e64 s[4:5], s52, v1
	v_bfrev_b32_e32 v0, 1
	s_and_saveexec_b64 s[42:43], s[4:5]
	s_cbranch_execz .LBB259_245
; %bb.242:                              ;   in Loop: Header=BB259_13 Depth=1
	v_and_b32_e32 v3, 0x7f, v1
	v_cmp_ne_u32_e64 s[4:5], s53, v3
	v_mov_b32_e32 v0, 0x7c010000
	s_and_saveexec_b64 s[44:45], s[4:5]
	s_cbranch_execz .LBB259_244
; %bb.243:                              ;   in Loop: Header=BB259_13 Depth=1
	v_and_b32_e32 v0, 7, v1
	v_lshrrev_b32_e32 v10, 3, v3
	v_cmp_gt_u32_e64 s[4:5], 8, v3
	v_ffbh_u32_e32 v3, v0
	v_min_u32_e32 v11, 32, v3
	v_subrev_u32_e32 v3, 28, v11
	v_lshlrev_b64 v[3:4], v3, v[1:2]
	v_sub_u32_e32 v4, 29, v11
	v_cndmask_b32_e64 v4, v10, v4, s[4:5]
	v_mov_b32_e32 v10, 0x2000
	v_lshlrev_b32_e32 v1, 8, v1
	v_lshl_add_u32 v4, v4, 10, v10
	v_and_b32_e32 v3, 7, v3
	v_and_or_b32 v1, v1, s54, v4
	v_cndmask_b32_e64 v0, v0, v3, s[4:5]
	v_lshlrev_b32_e32 v1, 16, v1
	v_lshl_or_b32 v0, v0, 23, v1
.LBB259_244:                            ;   in Loop: Header=BB259_13 Depth=1
	s_or_b64 exec, exec, s[44:45]
.LBB259_245:                            ;   in Loop: Header=BB259_13 Depth=1
	s_or_b64 exec, exec, s[42:43]
.LBB259_246:                            ;   in Loop: Header=BB259_13 Depth=1
	s_or_b64 exec, exec, s[40:41]
	v_lshrrev_b32_e32 v1, 16, v9
	v_cmp_ne_u16_sdwa s[4:5], v1, v2 src0_sel:BYTE_0 src1_sel:DWORD
	v_mov_b32_e32 v27, 0
	v_mov_b32_e32 v37, 0
	s_and_saveexec_b64 s[40:41], s[4:5]
	s_cbranch_execz .LBB259_252
; %bb.247:                              ;   in Loop: Header=BB259_13 Depth=1
	v_cmp_ne_u16_sdwa s[4:5], v1, s52 src0_sel:BYTE_0 src1_sel:DWORD
	v_mov_b32_e32 v37, 0x8000
	s_and_saveexec_b64 s[42:43], s[4:5]
	s_cbranch_execz .LBB259_251
; %bb.248:                              ;   in Loop: Header=BB259_13 Depth=1
	v_bfe_u32 v3, v9, 16, 7
	v_cmp_ne_u32_e64 s[4:5], s53, v3
	v_mov_b32_e32 v37, 0x7c01
	s_and_saveexec_b64 s[44:45], s[4:5]
	s_cbranch_execz .LBB259_250
; %bb.249:                              ;   in Loop: Header=BB259_13 Depth=1
	v_and_b32_e32 v10, 7, v1
	v_lshrrev_b32_e32 v11, 3, v3
	v_cmp_gt_u32_e64 s[4:5], 8, v3
	v_ffbh_u32_e32 v3, v10
	v_min_u32_e32 v12, 32, v3
	v_subrev_u32_e32 v3, 28, v12
	v_lshlrev_b64 v[3:4], v3, v[1:2]
	v_sub_u32_e32 v4, 29, v12
	v_cndmask_b32_e64 v4, v11, v4, s[4:5]
	v_mov_b32_e32 v11, 0x2000
	v_lshl_add_u32 v4, v4, 10, v11
	v_lshlrev_b32_e32 v1, 8, v1
	v_and_b32_e32 v3, 7, v3
	v_and_b32_e32 v4, 0xfc00, v4
	v_cndmask_b32_e64 v3, v10, v3, s[4:5]
	v_and_or_b32 v1, v1, s54, v4
	v_lshl_or_b32 v37, v3, 7, v1
.LBB259_250:                            ;   in Loop: Header=BB259_13 Depth=1
	s_or_b64 exec, exec, s[44:45]
.LBB259_251:                            ;   in Loop: Header=BB259_13 Depth=1
	s_or_b64 exec, exec, s[42:43]
.LBB259_252:                            ;   in Loop: Header=BB259_13 Depth=1
	s_or_b64 exec, exec, s[40:41]
	v_cmp_lt_u32_e64 s[4:5], s55, v9
	s_and_saveexec_b64 s[40:41], s[4:5]
	s_cbranch_execz .LBB259_258
; %bb.253:                              ;   in Loop: Header=BB259_13 Depth=1
	v_lshrrev_b32_e32 v1, 24, v9
	v_cmp_ne_u32_e64 s[4:5], s52, v1
	v_bfrev_b32_e32 v27, 1
	s_and_saveexec_b64 s[42:43], s[4:5]
	s_cbranch_execz .LBB259_257
; %bb.254:                              ;   in Loop: Header=BB259_13 Depth=1
	v_and_b32_e32 v3, 0x7f, v1
	v_cmp_ne_u32_e64 s[4:5], s53, v3
	v_mov_b32_e32 v27, 0x7c010000
	s_and_saveexec_b64 s[44:45], s[4:5]
	s_cbranch_execz .LBB259_256
; %bb.255:                              ;   in Loop: Header=BB259_13 Depth=1
	v_and_b32_e32 v9, 7, v1
	v_lshrrev_b32_e32 v10, 3, v3
	v_cmp_gt_u32_e64 s[4:5], 8, v3
	v_ffbh_u32_e32 v3, v9
	v_min_u32_e32 v11, 32, v3
	v_subrev_u32_e32 v3, 28, v11
	v_lshlrev_b64 v[3:4], v3, v[1:2]
	v_sub_u32_e32 v4, 29, v11
	v_cndmask_b32_e64 v4, v10, v4, s[4:5]
	v_mov_b32_e32 v10, 0x2000
	v_lshlrev_b32_e32 v1, 8, v1
	v_lshl_add_u32 v4, v4, 10, v10
	v_and_b32_e32 v3, 7, v3
	v_and_or_b32 v1, v1, s54, v4
	v_cndmask_b32_e64 v3, v9, v3, s[4:5]
	v_lshlrev_b32_e32 v1, 16, v1
	v_lshl_or_b32 v27, v3, 23, v1
.LBB259_256:                            ;   in Loop: Header=BB259_13 Depth=1
	s_or_b64 exec, exec, s[44:45]
.LBB259_257:                            ;   in Loop: Header=BB259_13 Depth=1
	s_or_b64 exec, exec, s[42:43]
.LBB259_258:                            ;   in Loop: Header=BB259_13 Depth=1
	s_or_b64 exec, exec, s[40:41]
	global_load_dword v9, v[7:8], off offset:2560
	v_mov_b32_e32 v17, 0
	v_mov_b32_e32 v22, 0
	s_waitcnt vmcnt(0)
	v_cmp_ne_u16_sdwa s[4:5], v9, v2 src0_sel:BYTE_0 src1_sel:DWORD
	s_and_saveexec_b64 s[40:41], s[4:5]
	s_cbranch_execz .LBB259_264
; %bb.259:                              ;   in Loop: Header=BB259_13 Depth=1
	v_cmp_ne_u16_sdwa s[4:5], v9, s52 src0_sel:BYTE_0 src1_sel:DWORD
	v_mov_b32_e32 v22, 0x8000
	s_and_saveexec_b64 s[42:43], s[4:5]
	s_cbranch_execz .LBB259_263
; %bb.260:                              ;   in Loop: Header=BB259_13 Depth=1
	v_and_b32_e32 v1, 0x7f, v9
	v_cmp_ne_u32_e64 s[4:5], s53, v1
	v_mov_b32_e32 v22, 0x7c01
	s_and_saveexec_b64 s[44:45], s[4:5]
	s_cbranch_execz .LBB259_262
; %bb.261:                              ;   in Loop: Header=BB259_13 Depth=1
	v_and_b32_e32 v10, 7, v9
	v_lshrrev_b32_e32 v11, 3, v1
	v_cmp_gt_u32_e64 s[4:5], 8, v1
	v_ffbh_u32_e32 v1, v10
	v_min_u32_e32 v1, 32, v1
	v_subrev_u32_e32 v3, 28, v1
	v_sub_u32_e32 v1, 29, v1
	v_lshlrev_b64 v[3:4], v3, v[9:10]
	v_cndmask_b32_e64 v1, v11, v1, s[4:5]
	v_mov_b32_e32 v11, 0x2000
	v_lshl_add_u32 v1, v1, 10, v11
	v_lshlrev_b32_e32 v4, 8, v9
	v_and_b32_e32 v3, 7, v3
	v_and_b32_e32 v1, 0xfc00, v1
	v_cndmask_b32_e64 v3, v10, v3, s[4:5]
	v_and_or_b32 v1, v4, s54, v1
	v_lshl_or_b32 v22, v3, 7, v1
.LBB259_262:                            ;   in Loop: Header=BB259_13 Depth=1
	s_or_b64 exec, exec, s[44:45]
.LBB259_263:                            ;   in Loop: Header=BB259_13 Depth=1
	s_or_b64 exec, exec, s[42:43]
.LBB259_264:                            ;   in Loop: Header=BB259_13 Depth=1
	s_or_b64 exec, exec, s[40:41]
	v_lshrrev_b16_e32 v1, 8, v9
	v_cmp_ne_u16_e64 s[4:5], 0, v1
	s_and_saveexec_b64 s[40:41], s[4:5]
	s_cbranch_execz .LBB259_270
; %bb.265:                              ;   in Loop: Header=BB259_13 Depth=1
	v_cmp_ne_u16_e64 s[4:5], s52, v1
	v_bfrev_b32_e32 v17, 1
	s_and_saveexec_b64 s[42:43], s[4:5]
	s_cbranch_execz .LBB259_269
; %bb.266:                              ;   in Loop: Header=BB259_13 Depth=1
	v_and_b32_e32 v3, 0x7f, v1
	v_cmp_ne_u32_e64 s[4:5], s53, v3
	v_mov_b32_e32 v17, 0x7c010000
	s_and_saveexec_b64 s[44:45], s[4:5]
	s_cbranch_execz .LBB259_268
; %bb.267:                              ;   in Loop: Header=BB259_13 Depth=1
	v_and_b32_e32 v10, 7, v1
	v_lshrrev_b32_e32 v11, 3, v3
	v_cmp_gt_u32_e64 s[4:5], 8, v3
	v_ffbh_u32_e32 v3, v10
	v_min_u32_e32 v12, 32, v3
	v_subrev_u32_e32 v3, 28, v12
	v_lshlrev_b64 v[3:4], v3, v[1:2]
	v_sub_u32_e32 v4, 29, v12
	v_cndmask_b32_e64 v4, v11, v4, s[4:5]
	v_mov_b32_e32 v11, 0x2000
	v_lshlrev_b32_e32 v1, 8, v1
	v_lshl_add_u32 v4, v4, 10, v11
	v_and_b32_e32 v3, 7, v3
	v_and_or_b32 v1, v1, s54, v4
	v_cndmask_b32_e64 v3, v10, v3, s[4:5]
	v_lshlrev_b32_e32 v1, 16, v1
	v_lshl_or_b32 v17, v3, 23, v1
.LBB259_268:                            ;   in Loop: Header=BB259_13 Depth=1
	s_or_b64 exec, exec, s[44:45]
.LBB259_269:                            ;   in Loop: Header=BB259_13 Depth=1
	s_or_b64 exec, exec, s[42:43]
.LBB259_270:                            ;   in Loop: Header=BB259_13 Depth=1
	s_or_b64 exec, exec, s[40:41]
	v_lshrrev_b32_e32 v1, 16, v9
	v_cmp_ne_u16_sdwa s[4:5], v1, v2 src0_sel:BYTE_0 src1_sel:DWORD
	v_mov_b32_e32 v33, 0
	v_mov_b32_e32 v35, 0
	s_and_saveexec_b64 s[40:41], s[4:5]
	s_cbranch_execz .LBB259_276
; %bb.271:                              ;   in Loop: Header=BB259_13 Depth=1
	v_cmp_ne_u16_sdwa s[4:5], v1, s52 src0_sel:BYTE_0 src1_sel:DWORD
	v_mov_b32_e32 v35, 0x8000
	s_and_saveexec_b64 s[42:43], s[4:5]
	s_cbranch_execz .LBB259_275
; %bb.272:                              ;   in Loop: Header=BB259_13 Depth=1
	v_bfe_u32 v3, v9, 16, 7
	v_cmp_ne_u32_e64 s[4:5], s53, v3
	v_mov_b32_e32 v35, 0x7c01
	s_and_saveexec_b64 s[44:45], s[4:5]
	s_cbranch_execz .LBB259_274
; %bb.273:                              ;   in Loop: Header=BB259_13 Depth=1
	v_and_b32_e32 v10, 7, v1
	v_lshrrev_b32_e32 v11, 3, v3
	v_cmp_gt_u32_e64 s[4:5], 8, v3
	v_ffbh_u32_e32 v3, v10
	v_min_u32_e32 v12, 32, v3
	v_subrev_u32_e32 v3, 28, v12
	v_lshlrev_b64 v[3:4], v3, v[1:2]
	v_sub_u32_e32 v4, 29, v12
	v_cndmask_b32_e64 v4, v11, v4, s[4:5]
	v_mov_b32_e32 v11, 0x2000
	v_lshl_add_u32 v4, v4, 10, v11
	v_lshlrev_b32_e32 v1, 8, v1
	v_and_b32_e32 v3, 7, v3
	v_and_b32_e32 v4, 0xfc00, v4
	v_cndmask_b32_e64 v3, v10, v3, s[4:5]
	v_and_or_b32 v1, v1, s54, v4
	v_lshl_or_b32 v35, v3, 7, v1
.LBB259_274:                            ;   in Loop: Header=BB259_13 Depth=1
	s_or_b64 exec, exec, s[44:45]
.LBB259_275:                            ;   in Loop: Header=BB259_13 Depth=1
	s_or_b64 exec, exec, s[42:43]
.LBB259_276:                            ;   in Loop: Header=BB259_13 Depth=1
	s_or_b64 exec, exec, s[40:41]
	v_cmp_lt_u32_e64 s[4:5], s55, v9
	s_and_saveexec_b64 s[40:41], s[4:5]
	s_cbranch_execz .LBB259_282
; %bb.277:                              ;   in Loop: Header=BB259_13 Depth=1
	v_lshrrev_b32_e32 v1, 24, v9
	v_cmp_ne_u32_e64 s[4:5], s52, v1
	v_bfrev_b32_e32 v33, 1
	s_and_saveexec_b64 s[42:43], s[4:5]
	s_cbranch_execz .LBB259_281
; %bb.278:                              ;   in Loop: Header=BB259_13 Depth=1
	v_and_b32_e32 v3, 0x7f, v1
	v_cmp_ne_u32_e64 s[4:5], s53, v3
	v_mov_b32_e32 v33, 0x7c010000
	s_and_saveexec_b64 s[44:45], s[4:5]
	s_cbranch_execz .LBB259_280
; %bb.279:                              ;   in Loop: Header=BB259_13 Depth=1
	v_and_b32_e32 v9, 7, v1
	v_lshrrev_b32_e32 v10, 3, v3
	v_cmp_gt_u32_e64 s[4:5], 8, v3
	v_ffbh_u32_e32 v3, v9
	v_min_u32_e32 v11, 32, v3
	v_subrev_u32_e32 v3, 28, v11
	v_lshlrev_b64 v[3:4], v3, v[1:2]
	v_sub_u32_e32 v4, 29, v11
	v_cndmask_b32_e64 v4, v10, v4, s[4:5]
	v_mov_b32_e32 v10, 0x2000
	v_lshlrev_b32_e32 v1, 8, v1
	v_lshl_add_u32 v4, v4, 10, v10
	v_and_b32_e32 v3, 7, v3
	v_and_or_b32 v1, v1, s54, v4
	v_cndmask_b32_e64 v3, v9, v3, s[4:5]
	v_lshlrev_b32_e32 v1, 16, v1
	v_lshl_or_b32 v33, v3, 23, v1
.LBB259_280:                            ;   in Loop: Header=BB259_13 Depth=1
	s_or_b64 exec, exec, s[44:45]
.LBB259_281:                            ;   in Loop: Header=BB259_13 Depth=1
	s_or_b64 exec, exec, s[42:43]
.LBB259_282:                            ;   in Loop: Header=BB259_13 Depth=1
	s_or_b64 exec, exec, s[40:41]
	global_load_dword v9, v[7:8], off offset:2568
	v_mov_b32_e32 v3, 0
	v_mov_b32_e32 v4, 0
	s_waitcnt vmcnt(0)
	v_cmp_ne_u16_sdwa s[4:5], v9, v2 src0_sel:BYTE_0 src1_sel:DWORD
	s_and_saveexec_b64 s[40:41], s[4:5]
	s_cbranch_execz .LBB259_288
; %bb.283:                              ;   in Loop: Header=BB259_13 Depth=1
	v_cmp_ne_u16_sdwa s[4:5], v9, s52 src0_sel:BYTE_0 src1_sel:DWORD
	v_mov_b32_e32 v4, 0x8000
	s_and_saveexec_b64 s[42:43], s[4:5]
	s_cbranch_execz .LBB259_287
; %bb.284:                              ;   in Loop: Header=BB259_13 Depth=1
	v_and_b32_e32 v1, 0x7f, v9
	v_cmp_ne_u32_e64 s[4:5], s53, v1
	v_mov_b32_e32 v4, 0x7c01
	s_and_saveexec_b64 s[44:45], s[4:5]
	s_cbranch_execz .LBB259_286
; %bb.285:                              ;   in Loop: Header=BB259_13 Depth=1
	v_and_b32_e32 v4, 7, v9
	v_lshrrev_b32_e32 v12, 3, v1
	v_cmp_gt_u32_e64 s[4:5], 8, v1
	v_ffbh_u32_e32 v1, v4
	v_min_u32_e32 v1, 32, v1
	v_subrev_u32_e32 v10, 28, v1
	v_sub_u32_e32 v1, 29, v1
	v_lshlrev_b64 v[10:11], v10, v[9:10]
	v_cndmask_b32_e64 v1, v12, v1, s[4:5]
	v_mov_b32_e32 v12, 0x2000
	v_lshl_add_u32 v1, v1, 10, v12
	v_lshlrev_b32_e32 v11, 8, v9
	v_and_b32_e32 v10, 7, v10
	v_and_b32_e32 v1, 0xfc00, v1
	v_cndmask_b32_e64 v4, v4, v10, s[4:5]
	v_and_or_b32 v1, v11, s54, v1
	v_lshl_or_b32 v4, v4, 7, v1
.LBB259_286:                            ;   in Loop: Header=BB259_13 Depth=1
	s_or_b64 exec, exec, s[44:45]
.LBB259_287:                            ;   in Loop: Header=BB259_13 Depth=1
	s_or_b64 exec, exec, s[42:43]
.LBB259_288:                            ;   in Loop: Header=BB259_13 Depth=1
	s_or_b64 exec, exec, s[40:41]
	v_lshrrev_b16_e32 v1, 8, v9
	v_cmp_ne_u16_e64 s[4:5], 0, v1
	s_and_saveexec_b64 s[40:41], s[4:5]
	s_cbranch_execz .LBB259_294
; %bb.289:                              ;   in Loop: Header=BB259_13 Depth=1
	v_cmp_ne_u16_e64 s[4:5], s52, v1
	v_bfrev_b32_e32 v3, 1
	s_and_saveexec_b64 s[42:43], s[4:5]
	s_cbranch_execz .LBB259_293
; %bb.290:                              ;   in Loop: Header=BB259_13 Depth=1
	v_and_b32_e32 v10, 0x7f, v1
	v_cmp_ne_u32_e64 s[4:5], s53, v10
	v_mov_b32_e32 v3, 0x7c010000
	s_and_saveexec_b64 s[44:45], s[4:5]
	s_cbranch_execz .LBB259_292
; %bb.291:                              ;   in Loop: Header=BB259_13 Depth=1
	v_and_b32_e32 v3, 7, v1
	v_lshrrev_b32_e32 v12, 3, v10
	v_cmp_gt_u32_e64 s[4:5], 8, v10
	v_ffbh_u32_e32 v10, v3
	v_min_u32_e32 v13, 32, v10
	v_subrev_u32_e32 v10, 28, v13
	v_lshlrev_b64 v[10:11], v10, v[1:2]
	v_sub_u32_e32 v11, 29, v13
	v_cndmask_b32_e64 v11, v12, v11, s[4:5]
	v_mov_b32_e32 v12, 0x2000
	v_lshlrev_b32_e32 v1, 8, v1
	v_lshl_add_u32 v11, v11, 10, v12
	v_and_b32_e32 v10, 7, v10
	v_and_or_b32 v1, v1, s54, v11
	v_cndmask_b32_e64 v3, v3, v10, s[4:5]
	v_lshlrev_b32_e32 v1, 16, v1
	v_lshl_or_b32 v3, v3, 23, v1
.LBB259_292:                            ;   in Loop: Header=BB259_13 Depth=1
	s_or_b64 exec, exec, s[44:45]
.LBB259_293:                            ;   in Loop: Header=BB259_13 Depth=1
	s_or_b64 exec, exec, s[42:43]
.LBB259_294:                            ;   in Loop: Header=BB259_13 Depth=1
	s_or_b64 exec, exec, s[40:41]
	v_lshrrev_b32_e32 v1, 16, v9
	v_cmp_ne_u16_sdwa s[4:5], v1, v2 src0_sel:BYTE_0 src1_sel:DWORD
	v_mov_b32_e32 v20, 0
	v_mov_b32_e32 v29, 0
	s_and_saveexec_b64 s[40:41], s[4:5]
	s_cbranch_execz .LBB259_300
; %bb.295:                              ;   in Loop: Header=BB259_13 Depth=1
	v_cmp_ne_u16_sdwa s[4:5], v1, s52 src0_sel:BYTE_0 src1_sel:DWORD
	v_mov_b32_e32 v29, 0x8000
	s_and_saveexec_b64 s[42:43], s[4:5]
	s_cbranch_execz .LBB259_299
; %bb.296:                              ;   in Loop: Header=BB259_13 Depth=1
	v_bfe_u32 v10, v9, 16, 7
	v_cmp_ne_u32_e64 s[4:5], s53, v10
	v_mov_b32_e32 v29, 0x7c01
	s_and_saveexec_b64 s[44:45], s[4:5]
	s_cbranch_execz .LBB259_298
; %bb.297:                              ;   in Loop: Header=BB259_13 Depth=1
	v_and_b32_e32 v12, 7, v1
	v_lshrrev_b32_e32 v13, 3, v10
	v_cmp_gt_u32_e64 s[4:5], 8, v10
	v_ffbh_u32_e32 v10, v12
	v_min_u32_e32 v14, 32, v10
	v_subrev_u32_e32 v10, 28, v14
	v_lshlrev_b64 v[10:11], v10, v[1:2]
	v_sub_u32_e32 v11, 29, v14
	v_cndmask_b32_e64 v11, v13, v11, s[4:5]
	v_mov_b32_e32 v13, 0x2000
	v_lshl_add_u32 v11, v11, 10, v13
	v_lshlrev_b32_e32 v1, 8, v1
	v_and_b32_e32 v10, 7, v10
	v_and_b32_e32 v11, 0xfc00, v11
	v_cndmask_b32_e64 v10, v12, v10, s[4:5]
	v_and_or_b32 v1, v1, s54, v11
	v_lshl_or_b32 v29, v10, 7, v1
.LBB259_298:                            ;   in Loop: Header=BB259_13 Depth=1
	s_or_b64 exec, exec, s[44:45]
.LBB259_299:                            ;   in Loop: Header=BB259_13 Depth=1
	s_or_b64 exec, exec, s[42:43]
.LBB259_300:                            ;   in Loop: Header=BB259_13 Depth=1
	s_or_b64 exec, exec, s[40:41]
	v_cmp_lt_u32_e64 s[4:5], s55, v9
	s_and_saveexec_b64 s[40:41], s[4:5]
	s_cbranch_execz .LBB259_306
; %bb.301:                              ;   in Loop: Header=BB259_13 Depth=1
	v_lshrrev_b32_e32 v1, 24, v9
	v_cmp_ne_u32_e64 s[4:5], s52, v1
	v_bfrev_b32_e32 v20, 1
	s_and_saveexec_b64 s[42:43], s[4:5]
	s_cbranch_execz .LBB259_305
; %bb.302:                              ;   in Loop: Header=BB259_13 Depth=1
	v_and_b32_e32 v9, 0x7f, v1
	v_cmp_ne_u32_e64 s[4:5], s53, v9
	v_mov_b32_e32 v20, 0x7c010000
	s_and_saveexec_b64 s[44:45], s[4:5]
	s_cbranch_execz .LBB259_304
; %bb.303:                              ;   in Loop: Header=BB259_13 Depth=1
	v_and_b32_e32 v11, 7, v1
	v_lshrrev_b32_e32 v12, 3, v9
	v_cmp_gt_u32_e64 s[4:5], 8, v9
	v_ffbh_u32_e32 v9, v11
	v_min_u32_e32 v13, 32, v9
	v_subrev_u32_e32 v9, 28, v13
	v_lshlrev_b64 v[9:10], v9, v[1:2]
	v_sub_u32_e32 v10, 29, v13
	v_cndmask_b32_e64 v10, v12, v10, s[4:5]
	v_mov_b32_e32 v12, 0x2000
	v_lshlrev_b32_e32 v1, 8, v1
	v_lshl_add_u32 v10, v10, 10, v12
	v_and_b32_e32 v9, 7, v9
	v_and_or_b32 v1, v1, s54, v10
	v_cndmask_b32_e64 v9, v11, v9, s[4:5]
	v_lshlrev_b32_e32 v1, 16, v1
	v_lshl_or_b32 v20, v9, 23, v1
.LBB259_304:                            ;   in Loop: Header=BB259_13 Depth=1
	s_or_b64 exec, exec, s[44:45]
.LBB259_305:                            ;   in Loop: Header=BB259_13 Depth=1
	s_or_b64 exec, exec, s[42:43]
.LBB259_306:                            ;   in Loop: Header=BB259_13 Depth=1
	s_or_b64 exec, exec, s[40:41]
	global_load_dword v9, v[7:8], off offset:3072
	v_mov_b32_e32 v10, 0
	v_mov_b32_e32 v13, 0
	s_waitcnt vmcnt(0)
	v_cmp_ne_u16_sdwa s[4:5], v9, v2 src0_sel:BYTE_0 src1_sel:DWORD
	s_and_saveexec_b64 s[40:41], s[4:5]
	s_cbranch_execz .LBB259_312
; %bb.307:                              ;   in Loop: Header=BB259_13 Depth=1
	v_cmp_ne_u16_sdwa s[4:5], v9, s52 src0_sel:BYTE_0 src1_sel:DWORD
	v_mov_b32_e32 v13, 0x8000
	s_and_saveexec_b64 s[42:43], s[4:5]
	s_cbranch_execz .LBB259_311
; %bb.308:                              ;   in Loop: Header=BB259_13 Depth=1
	v_and_b32_e32 v1, 0x7f, v9
	v_cmp_ne_u32_e64 s[4:5], s53, v1
	v_mov_b32_e32 v13, 0x7c01
	s_and_saveexec_b64 s[44:45], s[4:5]
	s_cbranch_execz .LBB259_310
; %bb.309:                              ;   in Loop: Header=BB259_13 Depth=1
	v_and_b32_e32 v13, 7, v9
	v_lshrrev_b32_e32 v14, 3, v1
	v_cmp_gt_u32_e64 s[4:5], 8, v1
	v_ffbh_u32_e32 v1, v13
	v_min_u32_e32 v1, 32, v1
	v_subrev_u32_e32 v11, 28, v1
	v_sub_u32_e32 v1, 29, v1
	v_lshlrev_b64 v[11:12], v11, v[9:10]
	v_cndmask_b32_e64 v1, v14, v1, s[4:5]
	v_mov_b32_e32 v14, 0x2000
	v_lshl_add_u32 v1, v1, 10, v14
	v_lshlrev_b32_e32 v12, 8, v9
	v_and_b32_e32 v11, 7, v11
	v_and_b32_e32 v1, 0xfc00, v1
	v_cndmask_b32_e64 v11, v13, v11, s[4:5]
	v_and_or_b32 v1, v12, s54, v1
	v_lshl_or_b32 v13, v11, 7, v1
.LBB259_310:                            ;   in Loop: Header=BB259_13 Depth=1
	s_or_b64 exec, exec, s[44:45]
.LBB259_311:                            ;   in Loop: Header=BB259_13 Depth=1
	s_or_b64 exec, exec, s[42:43]
.LBB259_312:                            ;   in Loop: Header=BB259_13 Depth=1
	s_or_b64 exec, exec, s[40:41]
	v_lshrrev_b16_e32 v1, 8, v9
	v_cmp_ne_u16_e64 s[4:5], 0, v1
	s_and_saveexec_b64 s[40:41], s[4:5]
	s_cbranch_execz .LBB259_318
; %bb.313:                              ;   in Loop: Header=BB259_13 Depth=1
	v_cmp_ne_u16_e64 s[4:5], s52, v1
	v_bfrev_b32_e32 v10, 1
	s_and_saveexec_b64 s[42:43], s[4:5]
	s_cbranch_execz .LBB259_317
; %bb.314:                              ;   in Loop: Header=BB259_13 Depth=1
	v_and_b32_e32 v11, 0x7f, v1
	v_cmp_ne_u32_e64 s[4:5], s53, v11
	v_mov_b32_e32 v10, 0x7c010000
	s_and_saveexec_b64 s[44:45], s[4:5]
	s_cbranch_execz .LBB259_316
; %bb.315:                              ;   in Loop: Header=BB259_13 Depth=1
	v_and_b32_e32 v12, 7, v1
	v_ffbh_u32_e32 v10, v12
	v_min_u32_e32 v15, 32, v10
	v_subrev_u32_e32 v10, 28, v15
	v_lshrrev_b32_e32 v14, 3, v11
	v_cmp_gt_u32_e64 s[4:5], 8, v11
	v_lshlrev_b64 v[10:11], v10, v[1:2]
	v_sub_u32_e32 v11, 29, v15
	v_cndmask_b32_e64 v11, v14, v11, s[4:5]
	v_mov_b32_e32 v14, 0x2000
	v_lshlrev_b32_e32 v1, 8, v1
	v_lshl_add_u32 v11, v11, 10, v14
	v_and_b32_e32 v10, 7, v10
	v_and_or_b32 v1, v1, s54, v11
	v_cndmask_b32_e64 v10, v12, v10, s[4:5]
	v_lshlrev_b32_e32 v1, 16, v1
	v_lshl_or_b32 v10, v10, 23, v1
.LBB259_316:                            ;   in Loop: Header=BB259_13 Depth=1
	s_or_b64 exec, exec, s[44:45]
.LBB259_317:                            ;   in Loop: Header=BB259_13 Depth=1
	s_or_b64 exec, exec, s[42:43]
.LBB259_318:                            ;   in Loop: Header=BB259_13 Depth=1
	s_or_b64 exec, exec, s[40:41]
	v_lshrrev_b32_e32 v1, 16, v9
	v_cmp_ne_u16_sdwa s[4:5], v1, v2 src0_sel:BYTE_0 src1_sel:DWORD
	v_mov_b32_e32 v14, 0
	v_mov_b32_e32 v23, 0
	s_and_saveexec_b64 s[40:41], s[4:5]
	s_cbranch_execz .LBB259_324
; %bb.319:                              ;   in Loop: Header=BB259_13 Depth=1
	v_cmp_ne_u16_sdwa s[4:5], v1, s52 src0_sel:BYTE_0 src1_sel:DWORD
	v_mov_b32_e32 v23, 0x8000
	s_and_saveexec_b64 s[42:43], s[4:5]
	s_cbranch_execz .LBB259_323
; %bb.320:                              ;   in Loop: Header=BB259_13 Depth=1
	v_bfe_u32 v11, v9, 16, 7
	v_cmp_ne_u32_e64 s[4:5], s53, v11
	v_mov_b32_e32 v23, 0x7c01
	s_and_saveexec_b64 s[44:45], s[4:5]
	s_cbranch_execz .LBB259_322
; %bb.321:                              ;   in Loop: Header=BB259_13 Depth=1
	v_and_b32_e32 v15, 7, v1
	v_lshrrev_b32_e32 v23, 3, v11
	v_cmp_gt_u32_e64 s[4:5], 8, v11
	v_ffbh_u32_e32 v11, v15
	v_min_u32_e32 v26, 32, v11
	v_subrev_u32_e32 v11, 28, v26
	v_lshlrev_b64 v[11:12], v11, v[1:2]
	v_sub_u32_e32 v12, 29, v26
	v_cndmask_b32_e64 v12, v23, v12, s[4:5]
	v_mov_b32_e32 v23, 0x2000
	v_lshl_add_u32 v12, v12, 10, v23
	v_lshlrev_b32_e32 v1, 8, v1
	v_and_b32_e32 v11, 7, v11
	v_and_b32_e32 v12, 0xfc00, v12
	v_cndmask_b32_e64 v11, v15, v11, s[4:5]
	v_and_or_b32 v1, v1, s54, v12
	v_lshl_or_b32 v23, v11, 7, v1
.LBB259_322:                            ;   in Loop: Header=BB259_13 Depth=1
	s_or_b64 exec, exec, s[44:45]
.LBB259_323:                            ;   in Loop: Header=BB259_13 Depth=1
	s_or_b64 exec, exec, s[42:43]
.LBB259_324:                            ;   in Loop: Header=BB259_13 Depth=1
	s_or_b64 exec, exec, s[40:41]
	v_cmp_lt_u32_e64 s[4:5], s55, v9
	s_and_saveexec_b64 s[40:41], s[4:5]
	s_cbranch_execz .LBB259_330
; %bb.325:                              ;   in Loop: Header=BB259_13 Depth=1
	v_lshrrev_b32_e32 v1, 24, v9
	v_cmp_ne_u32_e64 s[4:5], s52, v1
	v_bfrev_b32_e32 v14, 1
	s_and_saveexec_b64 s[42:43], s[4:5]
	s_cbranch_execz .LBB259_329
; %bb.326:                              ;   in Loop: Header=BB259_13 Depth=1
	v_and_b32_e32 v9, 0x7f, v1
	v_cmp_ne_u32_e64 s[4:5], s53, v9
	v_mov_b32_e32 v14, 0x7c010000
	s_and_saveexec_b64 s[44:45], s[4:5]
	s_cbranch_execz .LBB259_328
; %bb.327:                              ;   in Loop: Header=BB259_13 Depth=1
	v_and_b32_e32 v14, 7, v1
	v_lshrrev_b32_e32 v15, 3, v9
	v_cmp_gt_u32_e64 s[4:5], 8, v9
	v_ffbh_u32_e32 v9, v14
	v_min_u32_e32 v9, 32, v9
	v_subrev_u32_e32 v11, 28, v9
	v_lshlrev_b64 v[11:12], v11, v[1:2]
	v_sub_u32_e32 v9, 29, v9
	v_cndmask_b32_e64 v9, v15, v9, s[4:5]
	v_mov_b32_e32 v12, 0x2000
	v_lshlrev_b32_e32 v1, 8, v1
	v_lshl_add_u32 v9, v9, 10, v12
	v_and_b32_e32 v11, 7, v11
	v_and_or_b32 v1, v1, s54, v9
	v_cndmask_b32_e64 v11, v14, v11, s[4:5]
	v_lshlrev_b32_e32 v1, 16, v1
	v_lshl_or_b32 v14, v11, 23, v1
.LBB259_328:                            ;   in Loop: Header=BB259_13 Depth=1
	s_or_b64 exec, exec, s[44:45]
.LBB259_329:                            ;   in Loop: Header=BB259_13 Depth=1
	s_or_b64 exec, exec, s[42:43]
.LBB259_330:                            ;   in Loop: Header=BB259_13 Depth=1
	s_or_b64 exec, exec, s[40:41]
	global_load_dword v9, v[7:8], off offset:3080
	v_mov_b32_e32 v11, 0
	v_mov_b32_e32 v15, 0
	s_waitcnt vmcnt(0)
	v_cmp_ne_u16_sdwa s[4:5], v9, v2 src0_sel:BYTE_0 src1_sel:DWORD
	s_and_saveexec_b64 s[40:41], s[4:5]
	s_cbranch_execz .LBB259_336
; %bb.331:                              ;   in Loop: Header=BB259_13 Depth=1
	v_cmp_ne_u16_sdwa s[4:5], v9, s52 src0_sel:BYTE_0 src1_sel:DWORD
	v_mov_b32_e32 v15, 0x8000
	s_and_saveexec_b64 s[42:43], s[4:5]
	s_cbranch_execz .LBB259_335
; %bb.332:                              ;   in Loop: Header=BB259_13 Depth=1
	v_and_b32_e32 v1, 0x7f, v9
	v_cmp_ne_u32_e64 s[4:5], s53, v1
	v_mov_b32_e32 v15, 0x7c01
	s_and_saveexec_b64 s[44:45], s[4:5]
	s_cbranch_execz .LBB259_334
; %bb.333:                              ;   in Loop: Header=BB259_13 Depth=1
	v_and_b32_e32 v12, 7, v9
	v_lshrrev_b32_e32 v15, 3, v1
	v_cmp_gt_u32_e64 s[4:5], 8, v1
	v_ffbh_u32_e32 v1, v12
	v_min_u32_e32 v1, 32, v1
	v_subrev_u32_e32 v26, 28, v1
	v_sub_u32_e32 v1, 29, v1
	v_mov_b32_e32 v32, v30
	v_lshlrev_b64 v[30:31], v26, v[9:10]
	v_cndmask_b32_e64 v1, v15, v1, s[4:5]
	v_mov_b32_e32 v26, 0x2000
	v_lshl_add_u32 v1, v1, 10, v26
	v_lshlrev_b32_e32 v15, 8, v9
	v_and_b32_e32 v26, 7, v30
	v_and_b32_e32 v1, 0xfc00, v1
	v_cndmask_b32_e64 v12, v12, v26, s[4:5]
	v_and_or_b32 v1, v15, s54, v1
	v_mov_b32_e32 v30, v32
	v_lshl_or_b32 v15, v12, 7, v1
.LBB259_334:                            ;   in Loop: Header=BB259_13 Depth=1
	s_or_b64 exec, exec, s[44:45]
.LBB259_335:                            ;   in Loop: Header=BB259_13 Depth=1
	s_or_b64 exec, exec, s[42:43]
.LBB259_336:                            ;   in Loop: Header=BB259_13 Depth=1
	s_or_b64 exec, exec, s[40:41]
	v_lshrrev_b16_e32 v1, 8, v9
	v_cmp_ne_u16_e64 s[4:5], 0, v1
	s_and_saveexec_b64 s[40:41], s[4:5]
	s_cbranch_execz .LBB259_342
; %bb.337:                              ;   in Loop: Header=BB259_13 Depth=1
	v_cmp_ne_u16_e64 s[4:5], s52, v1
	v_bfrev_b32_e32 v11, 1
	s_and_saveexec_b64 s[42:43], s[4:5]
	s_cbranch_execz .LBB259_341
; %bb.338:                              ;   in Loop: Header=BB259_13 Depth=1
	v_and_b32_e32 v12, 0x7f, v1
	v_cmp_ne_u32_e64 s[4:5], s53, v12
	v_mov_b32_e32 v11, 0x7c010000
	s_and_saveexec_b64 s[44:45], s[4:5]
	s_cbranch_execz .LBB259_340
; %bb.339:                              ;   in Loop: Header=BB259_13 Depth=1
	v_and_b32_e32 v26, 7, v1
	v_ffbh_u32_e32 v11, v26
	v_min_u32_e32 v31, 32, v11
	v_subrev_u32_e32 v11, 28, v31
	v_mov_b32_e32 v32, v30
	v_lshrrev_b32_e32 v30, 3, v12
	v_cmp_gt_u32_e64 s[4:5], 8, v12
	v_lshlrev_b64 v[11:12], v11, v[1:2]
	v_sub_u32_e32 v12, 29, v31
	v_cndmask_b32_e64 v12, v30, v12, s[4:5]
	v_mov_b32_e32 v30, 0x2000
	v_lshlrev_b32_e32 v1, 8, v1
	v_lshl_add_u32 v12, v12, 10, v30
	v_and_b32_e32 v11, 7, v11
	v_and_or_b32 v1, v1, s54, v12
	v_cndmask_b32_e64 v11, v26, v11, s[4:5]
	v_lshlrev_b32_e32 v1, 16, v1
	v_mov_b32_e32 v30, v32
	v_lshl_or_b32 v11, v11, 23, v1
.LBB259_340:                            ;   in Loop: Header=BB259_13 Depth=1
	s_or_b64 exec, exec, s[44:45]
.LBB259_341:                            ;   in Loop: Header=BB259_13 Depth=1
	s_or_b64 exec, exec, s[42:43]
.LBB259_342:                            ;   in Loop: Header=BB259_13 Depth=1
	s_or_b64 exec, exec, s[40:41]
	v_lshrrev_b32_e32 v1, 16, v9
	v_mov_b32_e32 v31, 0
	v_mov_b32_e32 v39, 0
	v_cmp_ne_u16_sdwa s[4:5], v1, v2 src0_sel:BYTE_0 src1_sel:DWORD
	s_mov_b64 s[40:41], exec
	s_and_b64 s[4:5], s[40:41], s[4:5]
	v_mov_b32_e32 v32, v21
	s_mov_b64 exec, s[4:5]
	s_cbranch_execz .LBB259_348
; %bb.343:                              ;   in Loop: Header=BB259_13 Depth=1
	v_cmp_ne_u16_sdwa s[4:5], v1, s52 src0_sel:BYTE_0 src1_sel:DWORD
	v_mov_b32_e32 v39, 0x8000
	s_and_saveexec_b64 s[42:43], s[4:5]
	s_cbranch_execz .LBB259_347
; %bb.344:                              ;   in Loop: Header=BB259_13 Depth=1
	v_bfe_u32 v12, v9, 16, 7
	v_cmp_ne_u32_e64 s[4:5], s53, v12
	v_mov_b32_e32 v39, 0x7c01
	s_and_saveexec_b64 s[44:45], s[4:5]
	s_cbranch_execz .LBB259_346
; %bb.345:                              ;   in Loop: Header=BB259_13 Depth=1
	v_and_b32_e32 v26, 7, v1
	v_mov_b32_e32 v21, v30
	v_lshrrev_b32_e32 v30, 3, v12
	v_cmp_gt_u32_e64 s[4:5], 8, v12
	v_ffbh_u32_e32 v12, v26
	v_min_u32_e32 v12, 32, v12
	v_subrev_u32_e32 v38, 28, v12
	v_sub_u32_e32 v12, 29, v12
	v_lshlrev_b64 v[38:39], v38, v[1:2]
	v_cndmask_b32_e64 v12, v30, v12, s[4:5]
	v_mov_b32_e32 v30, 0x2000
	v_lshl_add_u32 v12, v12, 10, v30
	v_lshlrev_b32_e32 v1, 8, v1
	v_and_b32_e32 v30, 7, v38
	v_and_b32_e32 v12, 0xfc00, v12
	v_cndmask_b32_e64 v26, v26, v30, s[4:5]
	v_and_or_b32 v1, v1, s54, v12
	v_mov_b32_e32 v30, v21
	v_lshl_or_b32 v39, v26, 7, v1
.LBB259_346:                            ;   in Loop: Header=BB259_13 Depth=1
	s_or_b64 exec, exec, s[44:45]
.LBB259_347:                            ;   in Loop: Header=BB259_13 Depth=1
	s_or_b64 exec, exec, s[42:43]
.LBB259_348:                            ;   in Loop: Header=BB259_13 Depth=1
	s_or_b64 exec, exec, s[40:41]
	v_cmp_lt_u32_e64 s[4:5], s55, v9
	s_and_saveexec_b64 s[40:41], s[4:5]
	s_cbranch_execz .LBB259_354
; %bb.349:                              ;   in Loop: Header=BB259_13 Depth=1
	v_lshrrev_b32_e32 v1, 24, v9
	v_cmp_ne_u32_e64 s[4:5], s52, v1
	v_bfrev_b32_e32 v31, 1
	s_and_saveexec_b64 s[42:43], s[4:5]
	s_cbranch_execz .LBB259_353
; %bb.350:                              ;   in Loop: Header=BB259_13 Depth=1
	v_and_b32_e32 v9, 0x7f, v1
	v_cmp_ne_u32_e64 s[4:5], s53, v9
	v_mov_b32_e32 v31, 0x7c010000
	s_and_saveexec_b64 s[44:45], s[4:5]
	s_cbranch_execz .LBB259_352
; %bb.351:                              ;   in Loop: Header=BB259_13 Depth=1
	v_and_b32_e32 v12, 7, v1
	v_lshrrev_b32_e32 v26, 3, v9
	v_cmp_gt_u32_e64 s[4:5], 8, v9
	v_ffbh_u32_e32 v9, v12
	v_min_u32_e32 v9, 32, v9
	v_mov_b32_e32 v21, v30
	v_subrev_u32_e32 v30, 28, v9
	v_sub_u32_e32 v9, 29, v9
	v_lshlrev_b64 v[30:31], v30, v[1:2]
	v_cndmask_b32_e64 v9, v26, v9, s[4:5]
	v_mov_b32_e32 v26, 0x2000
	v_lshlrev_b32_e32 v1, 8, v1
	v_lshl_add_u32 v9, v9, 10, v26
	v_and_b32_e32 v26, 7, v30
	v_and_or_b32 v1, v1, s54, v9
	v_cndmask_b32_e64 v12, v12, v26, s[4:5]
	v_lshlrev_b32_e32 v1, 16, v1
	v_mov_b32_e32 v30, v21
	v_lshl_or_b32 v31, v12, 23, v1
.LBB259_352:                            ;   in Loop: Header=BB259_13 Depth=1
	s_or_b64 exec, exec, s[44:45]
.LBB259_353:                            ;   in Loop: Header=BB259_13 Depth=1
	s_or_b64 exec, exec, s[42:43]
.LBB259_354:                            ;   in Loop: Header=BB259_13 Depth=1
	s_or_b64 exec, exec, s[40:41]
	global_load_dword v7, v[7:8], off offset:3584
	v_mov_b32_e32 v9, 0
	v_mov_b32_e32 v26, 0
	s_waitcnt vmcnt(0)
	v_cmp_ne_u16_sdwa s[4:5], v7, v2 src0_sel:BYTE_0 src1_sel:DWORD
	s_mov_b64 s[40:41], exec
	s_and_b64 s[4:5], s[40:41], s[4:5]
	v_mov_b32_e32 v36, v40
	v_mov_b32_e32 v21, v41
	s_mov_b64 exec, s[4:5]
	s_cbranch_execz .LBB259_360
; %bb.355:                              ;   in Loop: Header=BB259_13 Depth=1
	v_cmp_ne_u16_sdwa s[4:5], v7, s52 src0_sel:BYTE_0 src1_sel:DWORD
	v_mov_b32_e32 v26, 0x8000
	s_and_saveexec_b64 s[42:43], s[4:5]
	s_cbranch_execz .LBB259_359
; %bb.356:                              ;   in Loop: Header=BB259_13 Depth=1
	v_and_b32_e32 v1, 0x7f, v7
	v_cmp_ne_u32_e64 s[4:5], s53, v1
	v_mov_b32_e32 v26, 0x7c01
	s_and_saveexec_b64 s[44:45], s[4:5]
	s_cbranch_execz .LBB259_358
; %bb.357:                              ;   in Loop: Header=BB259_13 Depth=1
	v_and_b32_e32 v8, 7, v7
	v_lshrrev_b32_e32 v12, 3, v1
	v_cmp_gt_u32_e64 s[4:5], 8, v1
	v_ffbh_u32_e32 v1, v8
	v_min_u32_e32 v1, 32, v1
	v_subrev_u32_e32 v26, 28, v1
	v_sub_u32_e32 v1, 29, v1
	v_lshlrev_b64 v[40:41], v26, v[7:8]
	v_cndmask_b32_e64 v1, v12, v1, s[4:5]
	v_mov_b32_e32 v26, 0x2000
	v_lshl_add_u32 v1, v1, 10, v26
	v_lshlrev_b32_e32 v12, 8, v7
	v_and_b32_e32 v26, 7, v40
	v_and_b32_e32 v1, 0xfc00, v1
	v_cndmask_b32_e64 v8, v8, v26, s[4:5]
	v_and_or_b32 v1, v12, s54, v1
	v_lshl_or_b32 v26, v8, 7, v1
.LBB259_358:                            ;   in Loop: Header=BB259_13 Depth=1
	s_or_b64 exec, exec, s[44:45]
.LBB259_359:                            ;   in Loop: Header=BB259_13 Depth=1
	s_or_b64 exec, exec, s[42:43]
.LBB259_360:                            ;   in Loop: Header=BB259_13 Depth=1
	s_or_b64 exec, exec, s[40:41]
	v_lshrrev_b16_e32 v1, 8, v7
	v_cmp_ne_u16_e64 s[4:5], 0, v1
	s_and_saveexec_b64 s[40:41], s[4:5]
	s_cbranch_execz .LBB259_366
; %bb.361:                              ;   in Loop: Header=BB259_13 Depth=1
	v_cmp_ne_u16_e64 s[4:5], s52, v1
	v_bfrev_b32_e32 v9, 1
	s_and_saveexec_b64 s[42:43], s[4:5]
	s_cbranch_execz .LBB259_365
; %bb.362:                              ;   in Loop: Header=BB259_13 Depth=1
	v_and_b32_e32 v8, 0x7f, v1
	v_cmp_ne_u32_e64 s[4:5], s53, v8
	v_mov_b32_e32 v9, 0x7c010000
	s_and_saveexec_b64 s[44:45], s[4:5]
	s_cbranch_execz .LBB259_364
; %bb.363:                              ;   in Loop: Header=BB259_13 Depth=1
	v_and_b32_e32 v12, 7, v1
	v_mov_b32_e32 v40, v30
	v_lshrrev_b32_e32 v30, 3, v8
	v_cmp_gt_u32_e64 s[4:5], 8, v8
	v_ffbh_u32_e32 v8, v12
	v_min_u32_e32 v38, 32, v8
	v_subrev_u32_e32 v8, 28, v38
	v_lshlrev_b64 v[8:9], v8, v[1:2]
	v_sub_u32_e32 v9, 29, v38
	v_cndmask_b32_e64 v9, v30, v9, s[4:5]
	v_mov_b32_e32 v30, 0x2000
	v_lshlrev_b32_e32 v1, 8, v1
	v_lshl_add_u32 v9, v9, 10, v30
	v_and_b32_e32 v8, 7, v8
	v_and_or_b32 v1, v1, s54, v9
	v_cndmask_b32_e64 v8, v12, v8, s[4:5]
	v_lshlrev_b32_e32 v1, 16, v1
	v_mov_b32_e32 v30, v40
	v_lshl_or_b32 v9, v8, 23, v1
.LBB259_364:                            ;   in Loop: Header=BB259_13 Depth=1
	s_or_b64 exec, exec, s[44:45]
.LBB259_365:                            ;   in Loop: Header=BB259_13 Depth=1
	s_or_b64 exec, exec, s[42:43]
.LBB259_366:                            ;   in Loop: Header=BB259_13 Depth=1
	s_or_b64 exec, exec, s[40:41]
	v_lshrrev_b32_e32 v1, 16, v7
	v_cmp_ne_u16_sdwa s[4:5], v1, v2 src0_sel:BYTE_0 src1_sel:DWORD
	v_mov_b32_e32 v55, 0
	v_mov_b32_e32 v59, 0
	s_and_saveexec_b64 s[40:41], s[4:5]
	s_cbranch_execz .LBB259_372
; %bb.367:                              ;   in Loop: Header=BB259_13 Depth=1
	v_cmp_ne_u16_sdwa s[4:5], v1, s52 src0_sel:BYTE_0 src1_sel:DWORD
	v_mov_b32_e32 v59, 0x8000
	s_and_saveexec_b64 s[42:43], s[4:5]
	s_cbranch_execz .LBB259_371
; %bb.368:                              ;   in Loop: Header=BB259_13 Depth=1
	v_bfe_u32 v8, v7, 16, 7
	v_cmp_ne_u32_e64 s[4:5], s53, v8
	v_mov_b32_e32 v59, 0x7c01
	s_and_saveexec_b64 s[44:45], s[4:5]
	s_cbranch_execz .LBB259_370
; %bb.369:                              ;   in Loop: Header=BB259_13 Depth=1
	v_and_b32_e32 v12, 7, v1
	v_mov_b32_e32 v59, v30
	v_lshrrev_b32_e32 v30, 3, v8
	v_cmp_gt_u32_e64 s[4:5], 8, v8
	v_ffbh_u32_e32 v8, v12
	v_min_u32_e32 v8, 32, v8
	v_subrev_u32_e32 v38, 28, v8
	v_sub_u32_e32 v8, 29, v8
	v_lshlrev_b64 v[40:41], v38, v[1:2]
	v_cndmask_b32_e64 v8, v30, v8, s[4:5]
	v_mov_b32_e32 v30, 0x2000
	v_lshl_add_u32 v8, v8, 10, v30
	v_lshlrev_b32_e32 v1, 8, v1
	v_and_b32_e32 v30, 7, v40
	v_and_b32_e32 v8, 0xfc00, v8
	v_cndmask_b32_e64 v12, v12, v30, s[4:5]
	v_and_or_b32 v1, v1, s54, v8
	v_mov_b32_e32 v30, v59
	v_lshl_or_b32 v59, v12, 7, v1
.LBB259_370:                            ;   in Loop: Header=BB259_13 Depth=1
	s_or_b64 exec, exec, s[44:45]
.LBB259_371:                            ;   in Loop: Header=BB259_13 Depth=1
	s_or_b64 exec, exec, s[42:43]
.LBB259_372:                            ;   in Loop: Header=BB259_13 Depth=1
	s_or_b64 exec, exec, s[40:41]
	v_cmp_lt_u32_e64 s[4:5], s55, v7
	s_and_saveexec_b64 s[40:41], s[4:5]
	s_cbranch_execz .LBB259_378
; %bb.373:                              ;   in Loop: Header=BB259_13 Depth=1
	v_lshrrev_b32_e32 v1, 24, v7
	v_cmp_ne_u32_e64 s[4:5], s52, v1
	v_bfrev_b32_e32 v55, 1
	s_and_saveexec_b64 s[42:43], s[4:5]
	s_cbranch_execz .LBB259_377
; %bb.374:                              ;   in Loop: Header=BB259_13 Depth=1
	v_and_b32_e32 v7, 0x7f, v1
	v_cmp_ne_u32_e64 s[4:5], s53, v7
	v_mov_b32_e32 v55, 0x7c010000
	s_and_saveexec_b64 s[44:45], s[4:5]
	s_cbranch_execz .LBB259_376
; %bb.375:                              ;   in Loop: Header=BB259_13 Depth=1
	v_and_b32_e32 v12, 7, v1
	v_mov_b32_e32 v40, v30
	v_lshrrev_b32_e32 v30, 3, v7
	v_cmp_gt_u32_e64 s[4:5], 8, v7
	v_ffbh_u32_e32 v7, v12
	v_min_u32_e32 v38, 32, v7
	v_subrev_u32_e32 v7, 28, v38
	v_lshlrev_b64 v[7:8], v7, v[1:2]
	v_sub_u32_e32 v8, 29, v38
	v_cndmask_b32_e64 v8, v30, v8, s[4:5]
	v_mov_b32_e32 v30, 0x2000
	v_lshlrev_b32_e32 v1, 8, v1
	v_lshl_add_u32 v8, v8, 10, v30
	v_and_b32_e32 v7, 7, v7
	v_and_or_b32 v1, v1, s54, v8
	v_cndmask_b32_e64 v7, v12, v7, s[4:5]
	v_lshlrev_b32_e32 v1, 16, v1
	v_mov_b32_e32 v30, v40
	v_lshl_or_b32 v55, v7, 23, v1
.LBB259_376:                            ;   in Loop: Header=BB259_13 Depth=1
	s_or_b64 exec, exec, s[44:45]
.LBB259_377:                            ;   in Loop: Header=BB259_13 Depth=1
	s_or_b64 exec, exec, s[42:43]
.LBB259_378:                            ;   in Loop: Header=BB259_13 Depth=1
	s_or_b64 exec, exec, s[40:41]
	v_or_b32_e32 v1, v11, v15
	v_fma_mixlo_f16 v1, v25, v1, 0 op_sel_hi:[0,1,0]
	buffer_store_dword v1, off, s[56:59], 0 offset:60 ; 4-byte Folded Spill
	v_or_b32_e32 v1, v31, v39
	v_fma_mixlo_f16 v1, v25, v1, 0 op_sel_hi:[0,1,0]
	buffer_store_dword v1, off, s[56:59], 0 offset:52 ; 4-byte Folded Spill
	v_fma_mixlo_f16 v1, v25, v31, 0 op_sel:[0,1,0] op_sel_hi:[0,1,0]
	buffer_store_dword v1, off, s[56:59], 0 offset:48 ; 4-byte Folded Spill
	v_or_b32_e32 v1, v10, v13
	v_fma_mixlo_f16 v1, v25, v1, 0 op_sel_hi:[0,1,0]
	buffer_store_dword v1, off, s[56:59], 0 offset:76 ; 4-byte Folded Spill
	v_or_b32_e32 v1, v14, v23
	v_fma_mixlo_f16 v1, v25, v1, 0 op_sel_hi:[0,1,0]
	buffer_store_dword v1, off, s[56:59], 0 offset:68 ; 4-byte Folded Spill
	v_fma_mixlo_f16 v1, v25, v14, 0 op_sel:[0,1,0] op_sel_hi:[0,1,0]
	buffer_store_dword v1, off, s[56:59], 0 offset:64 ; 4-byte Folded Spill
	v_or_b32_e32 v1, v3, v4
	v_fma_mixlo_f16 v23, v25, v1, 0 op_sel_hi:[0,1,0]
	v_or_b32_e32 v1, v20, v29
	v_fma_mixlo_f16 v1, v25, v1, 0 op_sel_hi:[0,1,0]
	buffer_store_dword v1, off, s[56:59], 0 offset:80 ; 4-byte Folded Spill
	v_or_b32_e32 v1, v17, v22
	v_fma_mixlo_f16 v31, v25, v1, 0 op_sel_hi:[0,1,0]
	v_or_b32_e32 v1, v33, v35
	v_fma_mixlo_f16 v29, v25, v17, 0 op_sel:[0,1,0] op_sel_hi:[0,1,0]
	v_fma_mixlo_f16 v22, v25, v1, 0 op_sel_hi:[0,1,0]
	v_fma_mixlo_f16 v17, v25, v33, 0 op_sel:[0,1,0] op_sel_hi:[0,1,0]
	v_or_b32_e32 v1, v0, v18
	v_fma_mixlo_f16 v33, v25, v0, 0 op_sel:[0,1,0] op_sel_hi:[0,1,0]
	v_or_b32_e32 v0, v27, v37
	v_fma_mixlo_f16 v18, v25, v0, 0 op_sel_hi:[0,1,0]
	v_or_b32_e32 v0, v58, v61
	v_fma_mixlo_f16 v39, v25, v0, 0 op_sel_hi:[0,1,0]
	v_or_b32_e32 v0, v62, v63
	v_fma_mixlo_f16 v13, v25, v58, 0 op_sel:[0,1,0] op_sel_hi:[0,1,0]
	v_fma_mixlo_f16 v58, v25, v0, 0 op_sel_hi:[0,1,0]
	v_or_b32_e32 v0, v54, v60
	v_fma_mixlo_f16 v63, v25, v0, 0 op_sel_hi:[0,1,0]
	v_or_b32_e32 v0, v56, v47
	v_fma_mixlo_f16 v15, v25, v27, 0 op_sel:[0,1,0] op_sel_hi:[0,1,0]
	v_fma_mixlo_f16 v27, v25, v0, 0 op_sel_hi:[0,1,0]
	v_or_b32_e32 v0, v50, v43
	v_fma_mixlo_f16 v7, v25, v11, 0 op_sel:[0,1,0] op_sel_hi:[0,1,0]
	v_fma_mixlo_f16 v4, v25, v0, 0 op_sel_hi:[0,1,0]
	v_or_b32_e32 v0, v52, v53
	buffer_store_dword v7, off, s[56:59], 0 offset:56 ; 4-byte Folded Spill
	v_fma_mixlo_f16 v7, v25, v10, 0 op_sel:[0,1,0] op_sel_hi:[0,1,0]
	v_fma_mixlo_f16 v10, v25, v0, 0 op_sel_hi:[0,1,0]
	buffer_load_dword v0, off, s[56:59], 0 offset:40 ; 4-byte Folded Reload
	v_fma_mixlo_f16 v37, v25, v62, 0 op_sel:[0,1,0] op_sel_hi:[0,1,0]
	v_fma_mixlo_f16 v62, v25, v54, 0 op_sel:[0,1,0] op_sel_hi:[0,1,0]
	;; [unrolled: 1-line block ×7, first 2 shown]
	buffer_store_dword v7, off, s[56:59], 0 offset:72 ; 4-byte Folded Spill
	buffer_store_dword v3, off, s[56:59], 0 offset:84 ; 4-byte Folded Spill
	v_fma_mixlo_f16 v35, v25, v1, 0 op_sel_hi:[0,1,0]
	v_fma_mixlo_f16 v38, v25, v34, 0 op_sel:[0,1,0] op_sel_hi:[0,1,0]
	v_fma_mixlo_f16 v61, v25, v51, 0 op_sel:[0,1,0] op_sel_hi:[0,1,0]
	v_fma_mixlo_f16 v20, v25, v20, 0 op_sel:[0,1,0] op_sel_hi:[0,1,0]
	v_and_b32_e32 v4, 0xffff, v4
	s_waitcnt vmcnt(2)
	v_or_b32_e32 v0, v46, v0
	v_fma_mixlo_f16 v53, v25, v0, 0 op_sel_hi:[0,1,0]
	v_or_b32_e32 v0, v48, v49
	v_fma_mixlo_f16 v47, v25, v0, 0 op_sel_hi:[0,1,0]
	buffer_load_dword v0, off, s[56:59], 0 offset:32 ; 4-byte Folded Reload
	v_fma_mixlo_f16 v46, v25, v48, 0 op_sel:[0,1,0] op_sel_hi:[0,1,0]
	v_fma_mixlo_f16 v48, v25, v42, 0 op_sel:[0,1,0] op_sel_hi:[0,1,0]
	s_waitcnt vmcnt(0)
	v_or_b32_e32 v0, v42, v0
	v_fma_mixlo_f16 v49, v25, v0, 0 op_sel_hi:[0,1,0]
	buffer_load_dword v0, off, s[56:59], 0 offset:36 ; 4-byte Folded Reload
	v_fma_mixlo_f16 v42, v25, v44, 0 op_sel:[0,1,0] op_sel_hi:[0,1,0]
	s_waitcnt vmcnt(0)
	v_or_b32_e32 v0, v44, v0
	v_fma_mixlo_f16 v43, v25, v0, 0 op_sel_hi:[0,1,0]
	buffer_load_dword v0, off, s[56:59], 0 offset:24 ; 4-byte Folded Reload
	;; [unrolled: 5-line block ×3, first 2 shown]
	s_waitcnt vmcnt(0)
	v_or_b32_e32 v0, v34, v0
	v_fma_mixlo_f16 v41, v25, v0, 0 op_sel_hi:[0,1,0]
	buffer_load_dword v1, off, s[56:59], 0 offset:8 ; 4-byte Folded Reload
	buffer_load_dword v0, off, s[56:59], 0 offset:12 ; 4-byte Folded Reload
	s_waitcnt vmcnt(1)
	v_fma_mixlo_f16 v11, v25, v1, 0 op_sel:[0,1,0] op_sel_hi:[0,1,0]
	s_waitcnt vmcnt(0)
	v_or_b32_e32 v0, v1, v0
	v_fma_mixlo_f16 v60, v25, v0, 0 op_sel_hi:[0,1,0]
	buffer_load_dword v1, off, s[56:59], 0 offset:16 ; 4-byte Folded Reload
	buffer_load_dword v0, off, s[56:59], 0 offset:20 ; 4-byte Folded Reload
	s_waitcnt vmcnt(1)
	v_fma_mixlo_f16 v40, v25, v1, 0 op_sel:[0,1,0] op_sel_hi:[0,1,0]
	s_waitcnt vmcnt(0)
	v_or_b32_e32 v0, v1, v0
	v_fma_mixlo_f16 v14, v25, v0, 0 op_sel_hi:[0,1,0]
	v_or_b32_e32 v0, v30, v28
	v_fma_mixlo_f16 v34, v25, v0, 0 op_sel_hi:[0,1,0]
	buffer_load_dword v1, off, s[56:59], 0  ; 4-byte Folded Reload
	buffer_load_dword v0, off, s[56:59], 0 offset:4 ; 4-byte Folded Reload
	v_fma_mixlo_f16 v30, v25, v30, 0 op_sel:[0,1,0] op_sel_hi:[0,1,0]
	v_and_b32_e32 v34, 0xffff, v34
	v_and_b32_e32 v30, 0xffff, v30
	s_waitcnt vmcnt(1)
	v_fma_mixlo_f16 v7, v25, v1, 0 op_sel:[0,1,0] op_sel_hi:[0,1,0]
	s_waitcnt vmcnt(0)
	v_or_b32_e32 v0, v1, v0
	v_fma_mixlo_f16 v8, v25, v0, 0 op_sel_hi:[0,1,0]
	v_or_b32_e32 v0, v51, v36
	v_fma_mixlo_f16 v28, v25, v0, 0 op_sel_hi:[0,1,0]
	;; [unrolled: 2-line block ×3, first 2 shown]
	v_or_b32_e32 v0, v9, v26
	v_fma_mixlo_f16 v26, v25, v9, 0 op_sel:[0,1,0] op_sel_hi:[0,1,0]
	v_fma_mixlo_f16 v9, v25, v0, 0 op_sel_hi:[0,1,0]
	v_or_b32_e32 v0, v55, v59
	v_fma_mixlo_f16 v0, v25, v0, 0 op_sel_hi:[0,1,0]
	buffer_store_dword v0, off, s[56:59], 0 ; 4-byte Folded Spill
	ds_read_b64 v[0:1], v16
	v_fma_mixlo_f16 v32, v25, v21, 0 op_sel:[0,1,0] op_sel_hi:[0,1,0]
	v_fma_mixlo_f16 v25, v25, v55, 0 op_sel:[0,1,0] op_sel_hi:[0,1,0]
	v_and_b32_e32 v8, 0xffff, v8
	v_and_b32_e32 v7, 0xffff, v7
	s_waitcnt lgkmcnt(0)
	v_lshrrev_b32_e32 v3, 16, v0
	v_and_b32_e32 v0, 0xffff, v0
	;;#ASMSTART
	v_cvt_f32_f16 v59, v0;
	;;#ASMEND
	v_and_b32_e32 v0, 0xffff, v28
	;;#ASMSTART
	v_cvt_f32_f16 v55, v3;
	;;#ASMEND
	;;#ASMSTART
	v_cvt_f32_f16 v12, v0;
	;;#ASMEND
	v_and_b32_e32 v0, 0xffff, v61
	;;#ASMSTART
	v_cvt_f32_f16 v28, v0;
	;;#ASMEND
	v_lshrrev_b32_e32 v0, 16, v1
	v_and_b32_e32 v1, 0xffff, v1
	;;#ASMSTART
	v_cvt_f32_f16 v61, v1;
	;;#ASMEND
	;;#ASMSTART
	v_cvt_f32_f16 v3, v0;
	;;#ASMEND
	v_and_b32_e32 v0, 0xffff, v36
	;;#ASMSTART
	v_cvt_f32_f16 v36, v0;
	;;#ASMEND
	v_and_b32_e32 v0, 0xffff, v32
	;;#ASMSTART
	v_cvt_f32_f16 v21, v0;
	;;#ASMEND
	ds_read_b64 v[0:1], v16 offset:8
	s_waitcnt lgkmcnt(0)
	v_lshrrev_b32_e32 v32, 16, v0
	v_and_b32_e32 v0, 0xffff, v0
	;;#ASMSTART
	v_cvt_f32_f16 v0, v0;
	;;#ASMEND
	;;#ASMSTART
	v_cvt_f32_f16 v32, v32;
	;;#ASMEND
	;; [unrolled: 3-line block ×4, first 2 shown]
	v_mul_f32_e32 v30, v0, v34
	v_and_b32_e32 v0, 0xffff, v1
	v_fmac_f32_e32 v30, v59, v12
	v_lshrrev_b32_e32 v12, 16, v1
	;;#ASMSTART
	v_cvt_f32_f16 v0, v0;
	;;#ASMEND
	;;#ASMSTART
	v_cvt_f32_f16 v1, v12;
	;;#ASMEND
	;; [unrolled: 3-line block ×4, first 2 shown]
	v_mul_f32_e32 v34, v0, v8
	v_fmac_f32_e32 v34, v61, v36
	v_mul_f32_e32 v36, v1, v7
	ds_read_b64 v[7:8], v16 offset:16
	v_mul_f32_e32 v32, v32, v51
	v_fmac_f32_e32 v32, v55, v28
	v_fmac_f32_e32 v36, v3, v21
	v_and_b32_e32 v3, 0xffff, v11
	s_waitcnt lgkmcnt(0)
	v_lshrrev_b32_e32 v1, 16, v7
	v_and_b32_e32 v0, 0xffff, v7
	;;#ASMSTART
	v_cvt_f32_f16 v0, v0;
	;;#ASMEND
	;;#ASMSTART
	v_cvt_f32_f16 v7, v1;
	;;#ASMEND
	v_and_b32_e32 v1, 0xffff, v60
	;;#ASMSTART
	v_cvt_f32_f16 v1, v1;
	;;#ASMEND
	v_fmac_f32_e32 v30, v0, v1
	v_lshrrev_b32_e32 v1, 16, v8
	v_and_b32_e32 v0, 0xffff, v8
	;;#ASMSTART
	v_cvt_f32_f16 v11, v3;
	;;#ASMEND
	v_fmac_f32_e32 v32, v7, v11
	;;#ASMSTART
	v_cvt_f32_f16 v0, v0;
	;;#ASMEND
	;;#ASMSTART
	v_cvt_f32_f16 v1, v1;
	;;#ASMEND
	v_and_b32_e32 v3, 0xffff, v14
	v_and_b32_e32 v7, 0xffff, v40
	;;#ASMSTART
	v_cvt_f32_f16 v3, v3;
	;;#ASMEND
	;;#ASMSTART
	v_cvt_f32_f16 v7, v7;
	;;#ASMEND
	v_fmac_f32_e32 v34, v0, v3
	v_fmac_f32_e32 v36, v1, v7
	ds_read_b64 v[0:1], v16 offset:24
	v_and_b32_e32 v7, 0xffff, v45
	v_and_b32_e32 v8, 0xffff, v44
	s_waitcnt lgkmcnt(0)
	v_lshrrev_b32_e32 v3, 16, v0
	v_and_b32_e32 v0, 0xffff, v0
	;;#ASMSTART
	v_cvt_f32_f16 v0, v0;
	;;#ASMEND
	;;#ASMSTART
	v_cvt_f32_f16 v3, v3;
	;;#ASMEND
	;;#ASMSTART
	v_cvt_f32_f16 v7, v7;
	;;#ASMEND
	;;#ASMSTART
	v_cvt_f32_f16 v8, v8;
	;;#ASMEND
	v_fmac_f32_e32 v30, v0, v7
	v_fmac_f32_e32 v32, v3, v8
	v_lshrrev_b32_e32 v3, 16, v1
	v_and_b32_e32 v0, 0xffff, v1
	;;#ASMSTART
	v_cvt_f32_f16 v0, v0;
	;;#ASMEND
	;;#ASMSTART
	v_cvt_f32_f16 v1, v3;
	;;#ASMEND
	v_and_b32_e32 v3, 0xffff, v41
	v_and_b32_e32 v7, 0xffff, v38
	;;#ASMSTART
	v_cvt_f32_f16 v3, v3;
	;;#ASMEND
	;;#ASMSTART
	v_cvt_f32_f16 v7, v7;
	;;#ASMEND
	v_fmac_f32_e32 v34, v0, v3
	v_fmac_f32_e32 v36, v1, v7
	ds_read_b64 v[0:1], v16 offset:32
	v_and_b32_e32 v7, 0xffff, v49
	v_and_b32_e32 v8, 0xffff, v48
	s_waitcnt lgkmcnt(0)
	v_lshrrev_b32_e32 v3, 16, v0
	v_and_b32_e32 v0, 0xffff, v0
	;;#ASMSTART
	v_cvt_f32_f16 v0, v0;
	;;#ASMEND
	;;#ASMSTART
	v_cvt_f32_f16 v3, v3;
	;;#ASMEND
	;;#ASMSTART
	v_cvt_f32_f16 v7, v7;
	;;#ASMEND
	;;#ASMSTART
	v_cvt_f32_f16 v8, v8;
	;;#ASMEND
	v_fmac_f32_e32 v30, v0, v7
	v_fmac_f32_e32 v32, v3, v8
	v_lshrrev_b32_e32 v3, 16, v1
	v_and_b32_e32 v0, 0xffff, v1
	;; [unrolled: 38-line block ×3, first 2 shown]
	;;#ASMSTART
	v_cvt_f32_f16 v0, v0;
	;;#ASMEND
	;;#ASMSTART
	v_cvt_f32_f16 v1, v3;
	;;#ASMEND
	v_and_b32_e32 v3, 0xffff, v47
	v_and_b32_e32 v7, 0xffff, v46
	;;#ASMSTART
	v_cvt_f32_f16 v3, v3;
	;;#ASMEND
	;;#ASMSTART
	v_cvt_f32_f16 v7, v7;
	;;#ASMEND
	v_fmac_f32_e32 v34, v0, v3
	v_fmac_f32_e32 v36, v1, v7
	ds_read_b64 v[0:1], v16 offset:48
	v_and_b32_e32 v7, 0xffff, v56
	s_waitcnt lgkmcnt(0)
	v_lshrrev_b32_e32 v3, 16, v0
	v_and_b32_e32 v0, 0xffff, v0
	;;#ASMSTART
	v_cvt_f32_f16 v0, v0;
	;;#ASMEND
	;;#ASMSTART
	v_cvt_f32_f16 v3, v3;
	;;#ASMEND
	;;#ASMSTART
	v_cvt_f32_f16 v4, v4;
	;;#ASMEND
	;;#ASMSTART
	v_cvt_f32_f16 v7, v7;
	;;#ASMEND
	v_fmac_f32_e32 v30, v0, v4
	v_fmac_f32_e32 v32, v3, v7
	v_lshrrev_b32_e32 v3, 16, v1
	v_and_b32_e32 v0, 0xffff, v1
	;;#ASMSTART
	v_cvt_f32_f16 v0, v0;
	;;#ASMEND
	;;#ASMSTART
	v_cvt_f32_f16 v1, v3;
	;;#ASMEND
	v_and_b32_e32 v3, 0xffff, v10
	v_and_b32_e32 v4, 0xffff, v50
	;;#ASMSTART
	v_cvt_f32_f16 v3, v3;
	;;#ASMEND
	;;#ASMSTART
	v_cvt_f32_f16 v4, v4;
	;;#ASMEND
	v_fmac_f32_e32 v34, v0, v3
	v_fmac_f32_e32 v36, v1, v4
	ds_read_b64 v[0:1], v16 offset:56
	v_and_b32_e32 v4, 0xffff, v63
	v_and_b32_e32 v7, 0xffff, v62
	s_waitcnt lgkmcnt(0)
	v_lshrrev_b32_e32 v3, 16, v0
	v_and_b32_e32 v0, 0xffff, v0
	;;#ASMSTART
	v_cvt_f32_f16 v0, v0;
	;;#ASMEND
	;;#ASMSTART
	v_cvt_f32_f16 v3, v3;
	;;#ASMEND
	;;#ASMSTART
	v_cvt_f32_f16 v4, v4;
	;;#ASMEND
	;;#ASMSTART
	v_cvt_f32_f16 v7, v7;
	;;#ASMEND
	v_fmac_f32_e32 v30, v0, v4
	v_fmac_f32_e32 v32, v3, v7
	v_lshrrev_b32_e32 v3, 16, v1
	v_and_b32_e32 v0, 0xffff, v1
	;;#ASMSTART
	v_cvt_f32_f16 v0, v0;
	;;#ASMEND
	;;#ASMSTART
	v_cvt_f32_f16 v1, v3;
	;;#ASMEND
	v_and_b32_e32 v3, 0xffff, v27
	v_and_b32_e32 v4, 0xffff, v54
	;;#ASMSTART
	v_cvt_f32_f16 v3, v3;
	;;#ASMEND
	;;#ASMSTART
	v_cvt_f32_f16 v4, v4;
	;;#ASMEND
	v_fmac_f32_e32 v34, v0, v3
	v_fmac_f32_e32 v36, v1, v4
	ds_read_b64 v[0:1], v16 offset:64
	v_and_b32_e32 v4, 0xffff, v39
	;; [unrolled: 38-line block ×5, first 2 shown]
	s_waitcnt lgkmcnt(0)
	v_lshrrev_b32_e32 v3, 16, v0
	v_and_b32_e32 v0, 0xffff, v0
	;;#ASMSTART
	v_cvt_f32_f16 v0, v0;
	;;#ASMEND
	;;#ASMSTART
	v_cvt_f32_f16 v3, v3;
	;;#ASMEND
	;; [unrolled: 3-line block ×3, first 2 shown]
	buffer_load_dword v7, off, s[56:59], 0 offset:84 ; 4-byte Folded Reload
	v_fmac_f32_e32 v30, v0, v4
	v_and_b32_e32 v0, 0xffff, v1
	v_and_b32_e32 v4, 0xffff, v20
	s_waitcnt vmcnt(0)
	v_and_b32_e32 v7, 0xffff, v7
	;;#ASMSTART
	v_cvt_f32_f16 v7, v7;
	;;#ASMEND
	v_fmac_f32_e32 v32, v3, v7
	v_lshrrev_b32_e32 v3, 16, v1
	;;#ASMSTART
	v_cvt_f32_f16 v0, v0;
	;;#ASMEND
	;;#ASMSTART
	v_cvt_f32_f16 v1, v3;
	;;#ASMEND
	buffer_load_dword v3, off, s[56:59], 0 offset:80 ; 4-byte Folded Reload
	s_waitcnt vmcnt(0)
	v_and_b32_e32 v3, 0xffff, v3
	;;#ASMSTART
	v_cvt_f32_f16 v3, v3;
	;;#ASMEND
	;;#ASMSTART
	v_cvt_f32_f16 v4, v4;
	;;#ASMEND
	v_fmac_f32_e32 v34, v0, v3
	v_fmac_f32_e32 v36, v1, v4
	ds_read_b64 v[0:1], v16 offset:96
	s_waitcnt lgkmcnt(0)
	v_lshrrev_b32_e32 v3, 16, v0
	v_and_b32_e32 v0, 0xffff, v0
	;;#ASMSTART
	v_cvt_f32_f16 v0, v0;
	;;#ASMEND
	;;#ASMSTART
	v_cvt_f32_f16 v3, v3;
	;;#ASMEND
	buffer_load_dword v4, off, s[56:59], 0 offset:76 ; 4-byte Folded Reload
	s_waitcnt vmcnt(0)
	v_and_b32_e32 v4, 0xffff, v4
	;;#ASMSTART
	v_cvt_f32_f16 v4, v4;
	;;#ASMEND
	buffer_load_dword v7, off, s[56:59], 0 offset:72 ; 4-byte Folded Reload
	v_fmac_f32_e32 v30, v0, v4
	v_and_b32_e32 v0, 0xffff, v1
	s_waitcnt vmcnt(0)
	v_and_b32_e32 v7, 0xffff, v7
	;;#ASMSTART
	v_cvt_f32_f16 v7, v7;
	;;#ASMEND
	v_fmac_f32_e32 v32, v3, v7
	v_lshrrev_b32_e32 v3, 16, v1
	;;#ASMSTART
	v_cvt_f32_f16 v0, v0;
	;;#ASMEND
	;;#ASMSTART
	v_cvt_f32_f16 v1, v3;
	;;#ASMEND
	buffer_load_dword v3, off, s[56:59], 0 offset:68 ; 4-byte Folded Reload
	s_waitcnt vmcnt(0)
	v_and_b32_e32 v3, 0xffff, v3
	;;#ASMSTART
	v_cvt_f32_f16 v3, v3;
	;;#ASMEND
	buffer_load_dword v4, off, s[56:59], 0 offset:64 ; 4-byte Folded Reload
	v_fmac_f32_e32 v34, v0, v3
	s_waitcnt vmcnt(0)
	v_and_b32_e32 v4, 0xffff, v4
	;;#ASMSTART
	v_cvt_f32_f16 v4, v4;
	;;#ASMEND
	v_fmac_f32_e32 v36, v1, v4
	ds_read_b64 v[0:1], v16 offset:104
	s_waitcnt lgkmcnt(0)
	v_lshrrev_b32_e32 v3, 16, v0
	v_and_b32_e32 v0, 0xffff, v0
	;;#ASMSTART
	v_cvt_f32_f16 v0, v0;
	;;#ASMEND
	;;#ASMSTART
	v_cvt_f32_f16 v3, v3;
	;;#ASMEND
	buffer_load_dword v4, off, s[56:59], 0 offset:60 ; 4-byte Folded Reload
	s_waitcnt vmcnt(0)
	v_and_b32_e32 v4, 0xffff, v4
	;;#ASMSTART
	v_cvt_f32_f16 v4, v4;
	;;#ASMEND
	buffer_load_dword v7, off, s[56:59], 0 offset:56 ; 4-byte Folded Reload
	v_fmac_f32_e32 v30, v0, v4
	v_and_b32_e32 v0, 0xffff, v1
	s_waitcnt vmcnt(0)
	v_and_b32_e32 v7, 0xffff, v7
	;;#ASMSTART
	v_cvt_f32_f16 v7, v7;
	;;#ASMEND
	v_fmac_f32_e32 v32, v3, v7
	v_lshrrev_b32_e32 v3, 16, v1
	;;#ASMSTART
	v_cvt_f32_f16 v0, v0;
	;;#ASMEND
	;;#ASMSTART
	v_cvt_f32_f16 v1, v3;
	;;#ASMEND
	buffer_load_dword v3, off, s[56:59], 0 offset:52 ; 4-byte Folded Reload
	v_and_b32_e32 v7, 0xffff, v26
	s_waitcnt vmcnt(0)
	v_and_b32_e32 v3, 0xffff, v3
	;;#ASMSTART
	v_cvt_f32_f16 v3, v3;
	;;#ASMEND
	buffer_load_dword v4, off, s[56:59], 0 offset:48 ; 4-byte Folded Reload
	v_fmac_f32_e32 v34, v0, v3
	s_waitcnt vmcnt(0)
	v_and_b32_e32 v4, 0xffff, v4
	;;#ASMSTART
	v_cvt_f32_f16 v4, v4;
	;;#ASMEND
	v_fmac_f32_e32 v36, v1, v4
	ds_read_b64 v[0:1], v16 offset:112
	v_and_b32_e32 v4, 0xffff, v9
	s_waitcnt lgkmcnt(0)
	v_lshrrev_b32_e32 v3, 16, v0
	v_and_b32_e32 v0, 0xffff, v0
	;;#ASMSTART
	v_cvt_f32_f16 v0, v0;
	;;#ASMEND
	;;#ASMSTART
	v_cvt_f32_f16 v3, v3;
	;;#ASMEND
	;; [unrolled: 3-line block ×4, first 2 shown]
	v_fmac_f32_e32 v30, v0, v4
	v_fmac_f32_e32 v32, v3, v7
	v_lshrrev_b32_e32 v3, 16, v1
	v_and_b32_e32 v0, 0xffff, v1
	;;#ASMSTART
	v_cvt_f32_f16 v0, v0;
	;;#ASMEND
	;;#ASMSTART
	v_cvt_f32_f16 v1, v3;
	;;#ASMEND
	buffer_load_dword v3, off, s[56:59], 0  ; 4-byte Folded Reload
	v_and_b32_e32 v4, 0xffff, v25
	s_waitcnt vmcnt(0)
	v_and_b32_e32 v3, 0xffff, v3
	;;#ASMSTART
	v_cvt_f32_f16 v3, v3;
	;;#ASMEND
	;;#ASMSTART
	v_cvt_f32_f16 v4, v4;
	;;#ASMEND
	v_fmac_f32_e32 v36, v1, v4
	buffer_load_dword v4, off, s[56:59], 0 offset:100 ; 4-byte Folded Reload
	v_fmac_f32_e32 v34, v0, v3
	v_add_f32_e32 v0, v30, v32
	v_add_f32_e32 v0, v0, v34
	;; [unrolled: 1-line block ×3, first 2 shown]
	s_waitcnt vmcnt(0)
	v_and_b32_e32 v3, 64, v4
	v_xor_b32_e32 v1, 1, v4
	v_add_u32_e32 v3, 64, v3
	v_cmp_lt_i32_e64 s[4:5], v1, v3
	v_cndmask_b32_e64 v1, v4, v1, s[4:5]
	v_lshlrev_b32_e32 v1, 2, v1
	ds_bpermute_b32 v1, v1, v0
	s_and_saveexec_b64 s[40:41], vcc
	s_cbranch_execz .LBB259_11
; %bb.379:                              ;   in Loop: Header=BB259_13 Depth=1
	buffer_load_dword v3, off, s[56:59], 0 offset:108 ; 4-byte Folded Reload
	buffer_load_dword v4, off, s[56:59], 0 offset:104 ; 4-byte Folded Reload
	s_waitcnt lgkmcnt(0)
	v_add_f32_e32 v0, v0, v1
	s_waitcnt vmcnt(1)
	v_add_u32_e32 v3, v3, v19
	v_cvt_f32_i32_e32 v3, v3
	v_mul_f32_e32 v1, s49, v3
	buffer_load_dword v3, off, s[56:59], 0 offset:88 ; 4-byte Folded Reload
	s_waitcnt vmcnt(1)
	v_add_u32_e32 v4, v4, v19
	v_cndmask_b32_e64 v1, 0, v1, s[2:3]
	v_fmac_f32_e32 v1, s37, v0
	v_cmp_gt_i32_e64 s[4:5], s33, v4
	v_cndmask_b32_e64 v0, 0, v1, s[4:5]
	ds_write_b32 v57, v0
	s_waitcnt vmcnt(0)
	v_max_f32_e32 v0, v3, v3
	v_max_f32_e32 v0, v0, v1
	v_cndmask_b32_e64 v3, v3, v0, s[4:5]
	buffer_store_dword v3, off, s[56:59], 0 offset:88 ; 4-byte Folded Spill
	s_branch .LBB259_11
.LBB259_380:
	s_or_b64 exec, exec, s[38:39]
	buffer_load_dword v56, off, s[56:59], 0 offset:120 ; 4-byte Folded Reload
	buffer_load_dword v57, off, s[56:59], 0 offset:124 ; 4-byte Folded Reload
	;; [unrolled: 1-line block ×4, first 2 shown]
	v_mbcnt_lo_u32_b32 v2, -1, 0
.LBB259_381:
	s_or_b64 exec, exec, s[18:19]
	s_waitcnt lgkmcnt(0)
	v_mbcnt_hi_u32_b32 v1, -1, v2
	v_and_b32_e32 v8, 64, v1
	v_add_u32_e32 v9, 64, v8
	v_xor_b32_e32 v0, 32, v1
	v_cmp_lt_i32_e32 vcc, v0, v9
	v_cndmask_b32_e32 v0, v1, v0, vcc
	v_lshlrev_b32_e32 v2, 2, v0
	s_waitcnt vmcnt(0)
	ds_bpermute_b32 v0, v2, v3
	v_xor_b32_e32 v4, 16, v1
	v_max_f32_e32 v3, v3, v3
	v_cmp_lt_i32_e32 vcc, v4, v9
	v_xor_b32_e32 v5, 8, v1
	s_waitcnt lgkmcnt(0)
	v_max_f32_e32 v0, v0, v0
	v_max_f32_e32 v0, v3, v0
	v_cndmask_b32_e32 v3, v1, v4, vcc
	v_lshlrev_b32_e32 v3, 2, v3
	ds_bpermute_b32 v4, v3, v0
	v_cmp_lt_i32_e32 vcc, v5, v9
	v_xor_b32_e32 v6, 4, v1
	v_xor_b32_e32 v10, 2, v1
	s_waitcnt lgkmcnt(0)
	v_max_f32_e32 v4, v4, v4
	v_max_f32_e32 v0, v0, v4
	v_cndmask_b32_e32 v4, v1, v5, vcc
	v_lshlrev_b32_e32 v4, 2, v4
	ds_bpermute_b32 v5, v4, v0
	v_cmp_lt_i32_e32 vcc, v6, v9
	s_waitcnt lgkmcnt(0)
	v_max_f32_e32 v5, v5, v5
	v_max_f32_e32 v0, v0, v5
	v_cndmask_b32_e32 v5, v1, v6, vcc
	v_lshlrev_b32_e32 v5, 2, v5
	ds_bpermute_b32 v6, v5, v0
	v_cmp_lt_i32_e32 vcc, v10, v9
	s_waitcnt lgkmcnt(0)
	v_max_f32_e32 v6, v6, v6
	v_max_f32_e32 v7, v0, v6
	v_cndmask_b32_e32 v0, v1, v10, vcc
	v_lshlrev_b32_e32 v14, 2, v0
	ds_bpermute_b32 v10, v14, v7
	v_and_b32_e32 v0, 63, v56
	v_cmp_eq_u32_e32 vcc, 0, v0
	v_lshlrev_b32_e32 v6, 2, v57
	s_and_saveexec_b64 s[2:3], vcc
	s_cbranch_execz .LBB259_383
; %bb.382:
	s_waitcnt lgkmcnt(0)
	v_max_f32_e32 v10, v10, v10
	v_max_f32_e32 v7, v7, v7
	;; [unrolled: 1-line block ×3, first 2 shown]
	ds_write_b32 v6, v7 offset:240
.LBB259_383:
	s_or_b64 exec, exec, s[2:3]
	v_cmp_gt_u32_e64 s[2:3], 2, v0
	s_waitcnt lgkmcnt(0)
	v_mov_b32_e32 v10, 0xff7fffff
	v_lshlrev_b32_e32 v7, 2, v0
	s_barrier
	s_and_saveexec_b64 s[4:5], s[2:3]
; %bb.384:
	ds_read_b32 v10, v7 offset:240
; %bb.385:
	s_or_b64 exec, exec, s[4:5]
	v_xor_b32_e32 v11, 1, v1
	v_cmp_lt_i32_e64 s[4:5], v11, v9
	v_cndmask_b32_e64 v9, v1, v11, s[4:5]
	v_lshlrev_b32_e32 v15, 2, v9
	s_waitcnt lgkmcnt(0)
	ds_bpermute_b32 v9, v15, v10
	v_max_f32_e32 v10, v10, v10
	v_lshlrev_b32_e32 v8, 2, v8
	s_lshl_b32 s4, s48, 5
	s_min_i32 s23, s4, s33
	s_waitcnt lgkmcnt(0)
	v_max_f32_e32 v9, v9, v9
	v_max_f32_e32 v9, v10, v9
	ds_bpermute_b32 v9, v8, v9
	v_cmp_gt_i32_e64 s[4:5], s23, v56
	v_mov_b32_e32 v8, 0
	s_and_saveexec_b64 s[12:13], s[4:5]
	s_cbranch_execz .LBB259_389
; %bb.386:
	v_mov_b32_e32 v8, 0x100
	v_lshl_add_u32 v10, v56, 2, v8
	v_mov_b32_e32 v8, 0
	s_mov_b64 s[18:19], 0
	v_mov_b32_e32 v11, v56
.LBB259_387:                            ; =>This Inner Loop Header: Depth=1
	ds_read_b32 v12, v10
	v_add_u32_e32 v11, 0x80, v11
	v_cmp_le_i32_e64 s[6:7], s23, v11
	s_or_b64 s[18:19], s[6:7], s[18:19]
	s_waitcnt lgkmcnt(0)
	v_sub_f32_e32 v12, v12, v9
	v_mul_f32_e32 v12, 0x3fb8aa3b, v12
	v_exp_f32_e32 v12, v12
	ds_write_b32 v10, v12
	v_add_f32_e32 v8, v8, v12
	v_add_u32_e32 v10, 0x200, v10
	s_andn2_b64 exec, exec, s[18:19]
	s_cbranch_execnz .LBB259_387
; %bb.388:
	s_or_b64 exec, exec, s[18:19]
.LBB259_389:
	s_or_b64 exec, exec, s[12:13]
	ds_bpermute_b32 v2, v2, v8
	s_waitcnt lgkmcnt(0)
	v_add_f32_e32 v2, v8, v2
	ds_bpermute_b32 v3, v3, v2
	s_waitcnt lgkmcnt(0)
	v_add_f32_e32 v2, v2, v3
	;; [unrolled: 3-line block ×6, first 2 shown]
	s_and_saveexec_b64 s[6:7], vcc
; %bb.390:
	ds_write_b32 v6, v2 offset:248
; %bb.391:
	s_or_b64 exec, exec, s[6:7]
	s_waitcnt lgkmcnt(0)
	s_barrier
	s_and_saveexec_b64 s[6:7], s[2:3]
; %bb.392:
	ds_read_b32 v2, v7 offset:248
; %bb.393:
	s_or_b64 exec, exec, s[6:7]
	s_waitcnt lgkmcnt(0)
	ds_bpermute_b32 v3, v15, v2
	v_lshlrev_b32_e32 v1, 2, v1
	v_and_b32_e32 v1, 0x100, v1
	s_waitcnt lgkmcnt(0)
	v_add_f32_e32 v2, v2, v3
	ds_bpermute_b32 v1, v1, v2
	s_and_saveexec_b64 s[2:3], s[4:5]
	s_cbranch_execz .LBB259_396
; %bb.394:
	s_waitcnt lgkmcnt(0)
	v_add_f32_e32 v2, 0x358637bd, v1
	v_div_scale_f32 v1, s[4:5], v2, v2, 1.0
	v_div_scale_f32 v3, vcc, 1.0, v2, 1.0
	s_mov_b64 s[4:5], 0
	v_rcp_f32_e32 v4, v1
	v_fma_f32 v5, -v1, v4, 1.0
	v_fmac_f32_e32 v4, v5, v4
	v_mul_f32_e32 v5, v3, v4
	v_fma_f32 v6, -v1, v5, v3
	v_fmac_f32_e32 v5, v6, v4
	v_fma_f32 v1, -v1, v5, v3
	v_div_fmas_f32 v3, v1, v4, v5
	v_mov_b32_e32 v1, 0x100
	v_lshl_add_u32 v1, v56, 2, v1
	v_div_fixup_f32 v2, v3, v2, 1.0
	v_mov_b32_e32 v3, v56
.LBB259_395:                            ; =>This Inner Loop Header: Depth=1
	ds_read_b32 v4, v1
	v_add_u32_e32 v3, 0x80, v3
	v_cmp_le_i32_e32 vcc, s23, v3
	s_or_b64 s[4:5], vcc, s[4:5]
	s_waitcnt lgkmcnt(0)
	v_mul_f32_e32 v4, v2, v4
	ds_write_b32 v1, v4
	v_add_u32_e32 v1, 0x200, v1
	s_andn2_b64 exec, exec, s[4:5]
	s_cbranch_execnz .LBB259_395
.LBB259_396:
	s_or_b64 exec, exec, s[2:3]
	buffer_load_dword v6, off, s[56:59], 0 offset:112 ; 4-byte Folded Reload
	v_lshrrev_b32_e32 v16, 2, v0
	s_waitcnt vmcnt(0) lgkmcnt(0)
	s_barrier
	s_and_saveexec_b64 s[2:3], s[0:1]
	s_xor_b64 s[0:1], exec, s[2:3]
; %bb.397:
	v_lshrrev_b32_e32 v16, 2, v0
                                        ; implicit-def: $vgpr6
                                        ; implicit-def: $vgpr57
                                        ; implicit-def: $vgpr13
                                        ; implicit-def: $vgpr0
                                        ; kill: killed $vgpr0
; %bb.398:
	s_or_saveexec_b64 s[4:5], s[0:1]
	v_mov_b32_e32 v25, 0
	v_and_b32_e32 v17, 3, v56
	v_mov_b32_e32 v28, 0
	v_mov_b32_e32 v23, 0
	;; [unrolled: 1-line block ×7, first 2 shown]
	s_xor_b64 exec, exec, s[4:5]
	s_cbranch_execz .LBB259_806
; %bb.399:
	buffer_load_dword v4, off, s[56:59], 0 offset:116 ; 4-byte Folded Reload
	s_sub_i32 s37, s16, s21
	s_ashr_i32 s0, s20, 31
	s_add_u32 s6, s34, s20
	s_addc_u32 s7, s35, s0
	s_abs_i32 s34, s22
	v_cvt_f32_u32_e32 v0, s34
	s_sub_i32 s1, 0, s34
	v_or_b32_e32 v1, 0x70, v16
	s_movk_i32 s0, 0x78
	v_rcp_iflag_f32_e32 v0, v0
	v_cmp_gt_u32_e32 vcc, s0, v1
	s_add_i32 s38, s48, -1
	v_and_b32_e32 v24, 24, v13
	v_mul_f32_e32 v0, 0x4f7ffffe, v0
	v_cvt_u32_f32_e32 v0, v0
	s_mov_b32 s12, -1
	s_mov_b32 s35, s17
	s_mov_b32 s13, 0xffffff
	v_mul_lo_u32 v3, s1, v0
	s_lshl_b64 s[0:1], s[30:31], 2
	s_add_u32 s0, s28, s0
	s_addc_u32 s1, s29, s1
	v_mul_hi_u32 v3, v0, v3
	v_mov_b32_e32 v2, 0
	v_lshl_or_b32 v13, v16, 5, v24
	v_lshl_or_b32 v27, v1, 5, v24
	v_add_u32_e32 v47, v0, v3
	v_mov_b32_e32 v0, s1
	s_mov_b64 s[16:17], 0
	s_movk_i32 s39, 0x80
	s_movk_i32 s40, 0x7f
	s_mov_b32 s41, 0x8000
	v_mov_b32_e32 v30, 0x2000
	v_mov_b32_e32 v19, 0
	;; [unrolled: 1-line block ×9, first 2 shown]
	s_waitcnt vmcnt(0)
	v_and_b32_e32 v4, 60, v4
	v_add_co_u32_e64 v3, s[0:1], s0, v4
	v_addc_co_u32_e64 v4, s[0:1], 0, v0, s[0:1]
	v_lshlrev_b32_e32 v0, 5, v17
	v_lshl_or_b32 v0, v57, 7, v0
	v_add_u32_e32 v29, 0x100, v0
	s_branch .LBB259_403
.LBB259_400:                            ;   in Loop: Header=BB259_403 Depth=1
	s_or_b64 exec, exec, s[2:3]
	;;#ASMSTART
	v_pk_mul_f16 v5, v37, v5;

	;;#ASMEND
	;;#ASMSTART
	v_pk_mul_f16 v1, v36, v1;

	;;#ASMEND
	;; [unrolled: 4-line block ×4, first 2 shown]
	;;#ASMSTART
	v_pk_add_f16 v1, v5, v1;

	;;#ASMEND
	;;#ASMSTART
	v_pk_add_f16 v1, v1, v6;

	;;#ASMEND
	;; [unrolled: 4-line block ×3, first 2 shown]
	v_lshrrev_b32_e32 v5, 16, v1
	v_and_b32_e32 v1, 0xffff, v1
	;;#ASMSTART
	v_cvt_f32_f16 v1, v1;
	;;#ASMEND
	;;#ASMSTART
	v_cvt_f32_f16 v5, v5;
	;;#ASMEND
	v_add_f32_e32 v1, v1, v5
	v_add_f32_e32 v19, v19, v1
.LBB259_401:                            ;   in Loop: Header=BB259_403 Depth=1
	s_or_b64 exec, exec, s[20:21]
	v_add_f32_e32 v0, v0, v9
	v_add_f32_e32 v20, v20, v0
	;; [unrolled: 1-line block ×14, first 2 shown]
.LBB259_402:                            ;   in Loop: Header=BB259_403 Depth=1
	s_or_b64 exec, exec, s[18:19]
	v_add_co_u32_e64 v3, s[0:1], 8, v3
	v_add_u32_e32 v57, 2, v57
	v_addc_co_u32_e64 v4, s[0:1], 0, v4, s[0:1]
	v_mov_b32_e32 v6, v58
	v_cmp_le_i32_e64 s[0:1], s48, v57
	v_add_u32_e32 v6, 64, v6
	s_or_b64 s[16:17], s[0:1], s[16:17]
	v_add_u32_e32 v29, 0x100, v29
	s_andn2_b64 exec, exec, s[16:17]
	s_cbranch_execz .LBB259_805
.LBB259_403:                            ; =>This Inner Loop Header: Depth=1
	v_mul_hi_u32 v0, v6, s46
	v_mov_b32_e32 v58, v6
	v_mul_lo_u32 v1, v0, s25
	v_add_u32_e32 v5, 1, v0
	v_sub_u32_e32 v1, v6, v1
	v_cmp_le_u32_e64 s[0:1], s25, v1
	v_cndmask_b32_e64 v0, v0, v5, s[0:1]
	v_subrev_u32_e32 v5, s25, v1
	v_cndmask_b32_e64 v1, v1, v5, s[0:1]
	v_add_u32_e32 v5, 1, v0
	v_cmp_le_u32_e64 s[0:1], s25, v1
	v_cndmask_b32_e64 v0, v0, v5, s[0:1]
	v_xor_b32_e32 v0, s47, v0
	v_subrev_u32_e32 v0, s47, v0
	v_add_u32_e32 v1, s36, v0
	v_sub_u32_e32 v5, 0, v1
	v_max_i32_e32 v5, v1, v5
	v_mul_hi_u32 v6, v5, v47
	v_ashrrev_i32_e32 v1, 31, v1
	v_cmp_lt_i32_e64 s[2:3], s37, v0
	v_mul_lo_u32 v6, v6, s34
	v_sub_u32_e32 v5, v5, v6
	v_subrev_u32_e32 v6, s34, v5
	v_cmp_le_u32_e64 s[0:1], s34, v5
	v_cndmask_b32_e64 v5, v5, v6, s[0:1]
	v_subrev_u32_e32 v6, s34, v5
	v_cmp_le_u32_e64 s[0:1], s34, v5
	v_cndmask_b32_e64 v5, v5, v6, s[0:1]
	v_xor_b32_e32 v5, v5, v1
	v_sub_u32_e32 v1, v5, v1
	v_cmp_eq_u32_e64 s[0:1], 0, v1
	s_or_b64 s[0:1], s[0:1], s[2:3]
	s_and_saveexec_b64 s[18:19], s[0:1]
	s_cbranch_execz .LBB259_402
; %bb.404:                              ;   in Loop: Header=BB259_403 Depth=1
	global_load_dword v1, v[3:4], off
	ds_read2_b64 v[5:8], v29 offset1:1
	ds_read2_b64 v[34:37], v29 offset0:2 offset1:3
	v_mov_b32_e32 v10, s7
	v_mov_b32_e32 v9, s6
	s_waitcnt lgkmcnt(1)
	;;#ASMSTART
	v_cvt_f16_f32 v0, v5;

	;;#ASMEND
	;;#ASMSTART
	v_cvt_f16_f32 v11, v6;

	;;#ASMEND
	;; [unrolled: 4-line block ×4, first 2 shown]
	s_waitcnt lgkmcnt(0)
	;;#ASMSTART
	v_cvt_f16_f32 v34, v34;

	;;#ASMEND
	;;#ASMSTART
	v_cvt_f16_f32 v35, v35;

	;;#ASMEND
	;; [unrolled: 4-line block ×4, first 2 shown]
	v_mov_b32_e32 v37, 0
	global_load_dword v36, v37, s[14:15]
	v_mov_b32_e32 v40, 0
	s_waitcnt vmcnt(1)
	v_mad_i64_i32 v[5:6], s[0:1], v1, s35, v[9:10]
	v_add_co_u32_e64 v7, s[0:1], v5, v13
	v_addc_co_u32_e64 v8, s[0:1], 0, v6, s[0:1]
	global_load_dwordx2 v[9:10], v[7:8], off
	s_waitcnt vmcnt(0)
	v_cmp_ne_u16_sdwa s[0:1], v9, v2 src0_sel:BYTE_0 src1_sel:DWORD
	s_and_saveexec_b64 s[2:3], s[0:1]
	s_cbranch_execz .LBB259_410
; %bb.405:                              ;   in Loop: Header=BB259_403 Depth=1
	v_cmp_ne_u16_sdwa s[0:1], v9, s39 src0_sel:BYTE_0 src1_sel:DWORD
	v_mov_b32_e32 v40, 0x8000
	s_and_saveexec_b64 s[20:21], s[0:1]
	s_cbranch_execz .LBB259_409
; %bb.406:                              ;   in Loop: Header=BB259_403 Depth=1
	v_and_b32_e32 v1, 0x7f, v9
	v_cmp_ne_u32_e64 s[0:1], s40, v1
	v_mov_b32_e32 v40, 0x7c01
	s_and_saveexec_b64 s[22:23], s[0:1]
	s_cbranch_execz .LBB259_408
; %bb.407:                              ;   in Loop: Header=BB259_403 Depth=1
	v_and_b32_e32 v12, 7, v9
	v_ffbh_u32_e32 v31, v12
	v_min_u32_e32 v31, 32, v31
	v_lshrrev_b32_e32 v26, 3, v1
	v_subrev_u32_e32 v40, 28, v31
	v_sub_u32_e32 v31, 29, v31
	v_cmp_gt_u32_e64 s[0:1], 8, v1
	v_lshlrev_b64 v[40:41], v40, v[9:10]
	v_cndmask_b32_e64 v1, v26, v31, s[0:1]
	v_lshl_add_u32 v1, v1, 10, v30
	v_lshlrev_b32_e32 v26, 8, v9
	v_and_b32_e32 v31, 7, v40
	v_and_b32_e32 v1, 0xfc00, v1
	v_cndmask_b32_e64 v12, v12, v31, s[0:1]
	v_and_or_b32 v1, v26, s41, v1
	v_lshl_or_b32 v40, v12, 7, v1
.LBB259_408:                            ;   in Loop: Header=BB259_403 Depth=1
	s_or_b64 exec, exec, s[22:23]
.LBB259_409:                            ;   in Loop: Header=BB259_403 Depth=1
	s_or_b64 exec, exec, s[20:21]
.LBB259_410:                            ;   in Loop: Header=BB259_403 Depth=1
	s_or_b64 exec, exec, s[2:3]
	v_lshrrev_b16_e32 v1, 8, v9
	v_cmp_ne_u16_e64 s[0:1], 0, v1
	s_and_saveexec_b64 s[2:3], s[0:1]
	s_cbranch_execz .LBB259_416
; %bb.411:                              ;   in Loop: Header=BB259_403 Depth=1
	v_cmp_ne_u16_e64 s[0:1], s39, v1
	v_bfrev_b32_e32 v37, 1
	s_and_saveexec_b64 s[20:21], s[0:1]
	s_cbranch_execz .LBB259_415
; %bb.412:                              ;   in Loop: Header=BB259_403 Depth=1
	v_and_b32_e32 v12, 0x7f, v1
	v_cmp_ne_u32_e64 s[0:1], s40, v12
	v_mov_b32_e32 v37, 0x7c010000
	s_and_saveexec_b64 s[22:23], s[0:1]
	s_cbranch_execz .LBB259_414
; %bb.413:                              ;   in Loop: Header=BB259_403 Depth=1
	v_and_b32_e32 v26, 7, v1
	v_ffbh_u32_e32 v37, v26
	v_min_u32_e32 v37, 32, v37
	v_lshrrev_b32_e32 v31, 3, v12
	v_subrev_u32_e32 v41, 28, v37
	v_sub_u32_e32 v37, 29, v37
	v_cmp_gt_u32_e64 s[0:1], 8, v12
	v_lshlrev_b64 v[41:42], v41, v[1:2]
	v_cndmask_b32_e64 v12, v31, v37, s[0:1]
	v_lshlrev_b32_e32 v1, 8, v1
	v_lshl_add_u32 v12, v12, 10, v30
	v_and_b32_e32 v31, 7, v41
	v_and_or_b32 v1, v1, s41, v12
	v_cndmask_b32_e64 v26, v26, v31, s[0:1]
	v_lshlrev_b32_e32 v1, 16, v1
	v_lshl_or_b32 v37, v26, 23, v1
.LBB259_414:                            ;   in Loop: Header=BB259_403 Depth=1
	s_or_b64 exec, exec, s[22:23]
.LBB259_415:                            ;   in Loop: Header=BB259_403 Depth=1
	s_or_b64 exec, exec, s[20:21]
.LBB259_416:                            ;   in Loop: Header=BB259_403 Depth=1
	s_or_b64 exec, exec, s[2:3]
	v_lshrrev_b32_e32 v1, 16, v9
	v_cmp_ne_u16_sdwa s[0:1], v1, v2 src0_sel:BYTE_0 src1_sel:DWORD
	v_mov_b32_e32 v41, 0
	v_mov_b32_e32 v42, 0
	s_and_saveexec_b64 s[2:3], s[0:1]
	s_cbranch_execz .LBB259_422
; %bb.417:                              ;   in Loop: Header=BB259_403 Depth=1
	v_cmp_ne_u16_sdwa s[0:1], v1, s39 src0_sel:BYTE_0 src1_sel:DWORD
	v_mov_b32_e32 v42, 0x8000
	s_and_saveexec_b64 s[20:21], s[0:1]
	s_cbranch_execz .LBB259_421
; %bb.418:                              ;   in Loop: Header=BB259_403 Depth=1
	v_bfe_u32 v12, v9, 16, 7
	v_cmp_ne_u32_e64 s[0:1], s40, v12
	v_mov_b32_e32 v42, 0x7c01
	s_and_saveexec_b64 s[22:23], s[0:1]
	s_cbranch_execz .LBB259_420
; %bb.419:                              ;   in Loop: Header=BB259_403 Depth=1
	v_and_b32_e32 v26, 7, v1
	v_ffbh_u32_e32 v42, v26
	v_min_u32_e32 v44, 32, v42
	v_subrev_u32_e32 v42, 28, v44
	v_lshlrev_b64 v[42:43], v42, v[1:2]
	v_lshrrev_b32_e32 v31, 3, v12
	v_sub_u32_e32 v43, 29, v44
	v_cmp_gt_u32_e64 s[0:1], 8, v12
	v_cndmask_b32_e64 v12, v31, v43, s[0:1]
	v_lshl_add_u32 v12, v12, 10, v30
	v_lshlrev_b32_e32 v1, 8, v1
	v_and_b32_e32 v31, 7, v42
	v_and_b32_e32 v12, 0xfc00, v12
	v_cndmask_b32_e64 v26, v26, v31, s[0:1]
	v_and_or_b32 v1, v1, s41, v12
	v_lshl_or_b32 v42, v26, 7, v1
.LBB259_420:                            ;   in Loop: Header=BB259_403 Depth=1
	s_or_b64 exec, exec, s[22:23]
.LBB259_421:                            ;   in Loop: Header=BB259_403 Depth=1
	s_or_b64 exec, exec, s[20:21]
.LBB259_422:                            ;   in Loop: Header=BB259_403 Depth=1
	s_or_b64 exec, exec, s[2:3]
	v_cmp_lt_u32_e64 s[0:1], s13, v9
	s_and_saveexec_b64 s[2:3], s[0:1]
	s_cbranch_execz .LBB259_428
; %bb.423:                              ;   in Loop: Header=BB259_403 Depth=1
	v_lshrrev_b32_e32 v1, 24, v9
	v_cmp_ne_u32_e64 s[0:1], s39, v1
	v_bfrev_b32_e32 v41, 1
	s_and_saveexec_b64 s[20:21], s[0:1]
	s_cbranch_execz .LBB259_427
; %bb.424:                              ;   in Loop: Header=BB259_403 Depth=1
	v_and_b32_e32 v12, 0x7f, v1
	v_cmp_ne_u32_e64 s[0:1], s40, v12
	v_mov_b32_e32 v41, 0x7c010000
	s_and_saveexec_b64 s[22:23], s[0:1]
	s_cbranch_execz .LBB259_426
; %bb.425:                              ;   in Loop: Header=BB259_403 Depth=1
	v_and_b32_e32 v26, 7, v1
	v_ffbh_u32_e32 v41, v26
	v_min_u32_e32 v41, 32, v41
	v_lshrrev_b32_e32 v31, 3, v12
	v_subrev_u32_e32 v43, 28, v41
	v_sub_u32_e32 v41, 29, v41
	v_cmp_gt_u32_e64 s[0:1], 8, v12
	v_lshlrev_b64 v[43:44], v43, v[1:2]
	v_cndmask_b32_e64 v12, v31, v41, s[0:1]
	v_lshlrev_b32_e32 v1, 8, v1
	v_lshl_add_u32 v12, v12, 10, v30
	v_and_b32_e32 v31, 7, v43
	v_and_or_b32 v1, v1, s41, v12
	v_cndmask_b32_e64 v26, v26, v31, s[0:1]
	v_lshlrev_b32_e32 v1, 16, v1
	v_lshl_or_b32 v41, v26, 23, v1
.LBB259_426:                            ;   in Loop: Header=BB259_403 Depth=1
	s_or_b64 exec, exec, s[22:23]
.LBB259_427:                            ;   in Loop: Header=BB259_403 Depth=1
	s_or_b64 exec, exec, s[20:21]
.LBB259_428:                            ;   in Loop: Header=BB259_403 Depth=1
	s_or_b64 exec, exec, s[2:3]
	v_mov_b32_e32 v1, v10
	v_cmp_ne_u16_sdwa s[0:1], v10, v2 src0_sel:BYTE_0 src1_sel:DWORD
	v_mov_b32_e32 v26, 0
	v_mov_b32_e32 v43, 0
	s_and_saveexec_b64 s[2:3], s[0:1]
	s_cbranch_execz .LBB259_434
; %bb.429:                              ;   in Loop: Header=BB259_403 Depth=1
	v_cmp_ne_u16_sdwa s[0:1], v10, s39 src0_sel:BYTE_0 src1_sel:DWORD
	v_mov_b32_e32 v43, 0x8000
	s_and_saveexec_b64 s[20:21], s[0:1]
	s_cbranch_execz .LBB259_433
; %bb.430:                              ;   in Loop: Header=BB259_403 Depth=1
	v_and_b32_e32 v12, 0x7f, v10
	v_cmp_ne_u32_e64 s[0:1], s40, v12
	v_mov_b32_e32 v43, 0x7c01
	s_and_saveexec_b64 s[22:23], s[0:1]
	s_cbranch_execz .LBB259_432
; %bb.431:                              ;   in Loop: Header=BB259_403 Depth=1
	v_and_b32_e32 v31, 7, v10
	v_ffbh_u32_e32 v43, v31
	v_min_u32_e32 v46, 32, v43
	v_subrev_u32_e32 v43, 28, v46
	v_lshlrev_b64 v[43:44], v43, v[1:2]
	v_lshrrev_b32_e32 v45, 3, v12
	v_sub_u32_e32 v44, 29, v46
	v_cmp_gt_u32_e64 s[0:1], 8, v12
	v_cndmask_b32_e64 v12, v45, v44, s[0:1]
	v_lshl_add_u32 v12, v12, 10, v30
	v_lshlrev_b32_e32 v44, 8, v10
	v_and_b32_e32 v43, 7, v43
	v_and_b32_e32 v12, 0xfc00, v12
	v_cndmask_b32_e64 v31, v31, v43, s[0:1]
	v_and_or_b32 v12, v44, s41, v12
	v_lshl_or_b32 v43, v31, 7, v12
.LBB259_432:                            ;   in Loop: Header=BB259_403 Depth=1
	s_or_b64 exec, exec, s[22:23]
.LBB259_433:                            ;   in Loop: Header=BB259_403 Depth=1
	s_or_b64 exec, exec, s[20:21]
.LBB259_434:                            ;   in Loop: Header=BB259_403 Depth=1
	s_or_b64 exec, exec, s[2:3]
	v_lshrrev_b16_e32 v1, 8, v1
	v_cmp_ne_u16_e64 s[0:1], 0, v1
	v_mov_b32_e32 v44, 0
	s_and_saveexec_b64 s[2:3], s[0:1]
	s_cbranch_execz .LBB259_440
; %bb.435:                              ;   in Loop: Header=BB259_403 Depth=1
	v_cmp_ne_u16_e64 s[0:1], s39, v1
	v_bfrev_b32_e32 v44, 1
	s_and_saveexec_b64 s[20:21], s[0:1]
	s_cbranch_execz .LBB259_439
; %bb.436:                              ;   in Loop: Header=BB259_403 Depth=1
	v_and_b32_e32 v12, 0x7f, v1
	v_cmp_ne_u32_e64 s[0:1], s40, v12
	v_mov_b32_e32 v44, 0x7c010000
	s_and_saveexec_b64 s[22:23], s[0:1]
	s_cbranch_execz .LBB259_438
; %bb.437:                              ;   in Loop: Header=BB259_403 Depth=1
	v_and_b32_e32 v31, 7, v1
	v_ffbh_u32_e32 v44, v31
	v_min_u32_e32 v48, 32, v44
	v_subrev_u32_e32 v44, 28, v48
	v_lshlrev_b64 v[44:45], v44, v[1:2]
	v_lshrrev_b32_e32 v46, 3, v12
	v_sub_u32_e32 v45, 29, v48
	v_cmp_gt_u32_e64 s[0:1], 8, v12
	v_cndmask_b32_e64 v12, v46, v45, s[0:1]
	v_lshlrev_b32_e32 v1, 8, v1
	v_lshl_add_u32 v12, v12, 10, v30
	v_and_b32_e32 v44, 7, v44
	v_and_or_b32 v1, v1, s41, v12
	v_cndmask_b32_e64 v31, v31, v44, s[0:1]
	v_lshlrev_b32_e32 v1, 16, v1
	v_lshl_or_b32 v44, v31, 23, v1
.LBB259_438:                            ;   in Loop: Header=BB259_403 Depth=1
	s_or_b64 exec, exec, s[22:23]
.LBB259_439:                            ;   in Loop: Header=BB259_403 Depth=1
	s_or_b64 exec, exec, s[20:21]
.LBB259_440:                            ;   in Loop: Header=BB259_403 Depth=1
	s_or_b64 exec, exec, s[2:3]
	v_lshrrev_b32_e32 v1, 16, v10
	v_cmp_ne_u16_sdwa s[0:1], v1, v2 src0_sel:BYTE_0 src1_sel:DWORD
	s_and_saveexec_b64 s[2:3], s[0:1]
	s_cbranch_execz .LBB259_446
; %bb.441:                              ;   in Loop: Header=BB259_403 Depth=1
	v_cmp_ne_u16_sdwa s[0:1], v1, s39 src0_sel:BYTE_0 src1_sel:DWORD
	v_mov_b32_e32 v26, 0x8000
	s_and_saveexec_b64 s[20:21], s[0:1]
	s_cbranch_execz .LBB259_445
; %bb.442:                              ;   in Loop: Header=BB259_403 Depth=1
	v_bfe_u32 v12, v10, 16, 7
	v_cmp_ne_u32_e64 s[0:1], s40, v12
	v_mov_b32_e32 v26, 0x7c01
	s_and_saveexec_b64 s[22:23], s[0:1]
	s_cbranch_execz .LBB259_444
; %bb.443:                              ;   in Loop: Header=BB259_403 Depth=1
	v_and_b32_e32 v26, 7, v1
	v_ffbh_u32_e32 v45, v26
	v_min_u32_e32 v48, 32, v45
	v_subrev_u32_e32 v45, 28, v48
	v_lshlrev_b64 v[45:46], v45, v[1:2]
	v_lshrrev_b32_e32 v31, 3, v12
	v_sub_u32_e32 v46, 29, v48
	v_cmp_gt_u32_e64 s[0:1], 8, v12
	v_cndmask_b32_e64 v12, v31, v46, s[0:1]
	v_lshl_add_u32 v12, v12, 10, v30
	v_lshlrev_b32_e32 v1, 8, v1
	v_and_b32_e32 v31, 7, v45
	v_and_b32_e32 v12, 0xfc00, v12
	v_cndmask_b32_e64 v26, v26, v31, s[0:1]
	v_and_or_b32 v1, v1, s41, v12
	v_lshl_or_b32 v26, v26, 7, v1
.LBB259_444:                            ;   in Loop: Header=BB259_403 Depth=1
	s_or_b64 exec, exec, s[22:23]
.LBB259_445:                            ;   in Loop: Header=BB259_403 Depth=1
	s_or_b64 exec, exec, s[20:21]
.LBB259_446:                            ;   in Loop: Header=BB259_403 Depth=1
	s_or_b64 exec, exec, s[2:3]
	v_cmp_lt_u64_e64 s[0:1], s[12:13], v[9:10]
	v_mov_b32_e32 v12, 0
	s_and_saveexec_b64 s[2:3], s[0:1]
	s_cbranch_execz .LBB259_452
; %bb.447:                              ;   in Loop: Header=BB259_403 Depth=1
	v_lshrrev_b32_e32 v1, 24, v10
	v_cmp_ne_u32_e64 s[0:1], s39, v1
	v_bfrev_b32_e32 v12, 1
	s_and_saveexec_b64 s[20:21], s[0:1]
	s_cbranch_execz .LBB259_451
; %bb.448:                              ;   in Loop: Header=BB259_403 Depth=1
	v_and_b32_e32 v9, 0x7f, v1
	v_cmp_ne_u32_e64 s[0:1], s40, v9
	v_mov_b32_e32 v12, 0x7c010000
	s_and_saveexec_b64 s[22:23], s[0:1]
	s_cbranch_execz .LBB259_450
; %bb.449:                              ;   in Loop: Header=BB259_403 Depth=1
	v_and_b32_e32 v10, 7, v1
	v_ffbh_u32_e32 v31, v10
	v_min_u32_e32 v31, 32, v31
	v_lshrrev_b32_e32 v12, 3, v9
	v_subrev_u32_e32 v45, 28, v31
	v_sub_u32_e32 v31, 29, v31
	v_cmp_gt_u32_e64 s[0:1], 8, v9
	v_lshlrev_b64 v[45:46], v45, v[1:2]
	v_cndmask_b32_e64 v9, v12, v31, s[0:1]
	v_lshlrev_b32_e32 v1, 8, v1
	v_lshl_add_u32 v9, v9, 10, v30
	v_and_b32_e32 v12, 7, v45
	v_and_or_b32 v1, v1, s41, v9
	v_cndmask_b32_e64 v10, v10, v12, s[0:1]
	v_lshlrev_b32_e32 v1, 16, v1
	v_lshl_or_b32 v12, v10, 23, v1
.LBB259_450:                            ;   in Loop: Header=BB259_403 Depth=1
	s_or_b64 exec, exec, s[22:23]
.LBB259_451:                            ;   in Loop: Header=BB259_403 Depth=1
	s_or_b64 exec, exec, s[20:21]
.LBB259_452:                            ;   in Loop: Header=BB259_403 Depth=1
	s_or_b64 exec, exec, s[2:3]
	v_fma_mixlo_f16 v9, v36, v41, 0 op_sel:[0,1,0] op_sel_hi:[0,1,0]
	v_fma_mixlo_f16 v10, v36, v37, 0 op_sel:[0,1,0] op_sel_hi:[0,1,0]
	v_or_b32_e32 v1, v41, v42
	v_lshlrev_b32_e32 v41, 16, v9
	v_or_b32_e32 v9, v37, v40
	v_lshlrev_b32_e32 v45, 16, v10
	v_or_b32_e32 v10, v44, v43
	v_or_b32_e32 v26, v12, v26
	v_fma_mixlo_f16 v1, v36, v1, 0 op_sel_hi:[0,1,0]
	v_fma_mixlo_f16 v9, v36, v9, 0 op_sel_hi:[0,1,0]
	v_fma_mixlo_f16 v37, v36, v44, 0 op_sel:[0,1,0] op_sel_hi:[0,1,0]
	v_fma_mixlo_f16 v10, v36, v10, 0 op_sel_hi:[0,1,0]
	v_fma_mixlo_f16 v26, v36, v26, 0 op_sel_hi:[0,1,0]
	v_fma_mixlo_f16 v12, v36, v12, 0 op_sel:[0,1,0] op_sel_hi:[0,1,0]
	v_and_b32_e32 v42, 0xffff, v1
	v_and_b32_e32 v46, 0xffff, v9
	v_lshlrev_b32_e32 v37, 16, v37
	v_and_b32_e32 v40, 0xffff, v10
	v_lshlrev_b32_e32 v12, 16, v12
	v_and_b32_e32 v26, 0xffff, v26
	v_add_u32_e32 v31, v24, v58
	v_cmp_eq_u32_e64 s[0:1], s38, v57
	v_or_b32_e32 v1, v41, v42
	v_or_b32_e32 v9, v45, v46
	;; [unrolled: 1-line block ×4, first 2 shown]
	s_and_saveexec_b64 s[20:21], s[0:1]
	s_cbranch_execz .LBB259_454
; %bb.453:                              ;   in Loop: Header=BB259_403 Depth=1
	v_cmp_gt_i32_e64 s[2:3], s33, v31
	v_add_u32_e32 v9, 1, v31
	v_cndmask_b32_e64 v1, 0, v46, s[2:3]
	v_cmp_gt_i32_e64 s[2:3], s33, v9
	v_cndmask_b32_e64 v9, 0, v45, s[2:3]
	v_or_b32_e32 v9, v9, v1
	v_add_u32_e32 v1, 2, v31
	v_cmp_gt_i32_e64 s[2:3], s33, v1
	v_add_u32_e32 v10, 3, v31
	v_cndmask_b32_e64 v1, 0, v42, s[2:3]
	v_cmp_gt_i32_e64 s[2:3], s33, v10
	v_cndmask_b32_e64 v10, 0, v41, s[2:3]
	v_or_b32_e32 v1, v10, v1
	v_add_u32_e32 v10, 4, v31
	;; [unrolled: 7-line block ×3, first 2 shown]
	v_cmp_gt_i32_e64 s[2:3], s33, v36
	v_add_u32_e32 v36, 7, v31
	v_cndmask_b32_e64 v26, 0, v26, s[2:3]
	v_cmp_gt_i32_e64 s[2:3], s33, v36
	v_cndmask_b32_e64 v12, 0, v12, s[2:3]
	v_or_b32_e32 v43, v12, v26
.LBB259_454:                            ;   in Loop: Header=BB259_403 Depth=1
	s_or_b64 exec, exec, s[20:21]
	v_and_b32_e32 v0, 0xffff, v0
	v_lshl_or_b32 v37, v11, 16, v0
	v_and_b32_e32 v0, 0xffff, v32
	v_lshl_or_b32 v36, v33, 16, v0
	;; [unrolled: 2-line block ×4, first 2 shown]
	;;#ASMSTART
	v_pk_mul_f16 v0, v37, v9;

	;;#ASMEND
	;;#ASMSTART
	v_pk_mul_f16 v1, v36, v1;

	;;#ASMEND
	;; [unrolled: 4-line block ×4, first 2 shown]
	;;#ASMSTART
	v_pk_add_f16 v0, v0, v1;

	;;#ASMEND
	;;#ASMSTART
	v_pk_add_f16 v0, v0, v9;

	;;#ASMEND
	;; [unrolled: 4-line block ×3, first 2 shown]
	v_lshrrev_b32_e32 v1, 16, v0
	v_and_b32_e32 v0, 0xffff, v0
	;;#ASMSTART
	v_cvt_f32_f16 v32, v0;
	;;#ASMEND
	;;#ASMSTART
	v_cvt_f32_f16 v33, v1;
	;;#ASMEND
	global_load_dwordx2 v[9:10], v[7:8], off offset:512
	v_mov_b32_e32 v11, 0
	global_load_dword v0, v11, s[14:15]
	v_mov_b32_e32 v38, 0
	s_waitcnt vmcnt(1)
	v_cmp_ne_u16_sdwa s[2:3], v9, v2 src0_sel:BYTE_0 src1_sel:DWORD
	s_and_saveexec_b64 s[20:21], s[2:3]
	s_cbranch_execz .LBB259_460
; %bb.455:                              ;   in Loop: Header=BB259_403 Depth=1
	v_cmp_ne_u16_sdwa s[2:3], v9, s39 src0_sel:BYTE_0 src1_sel:DWORD
	v_mov_b32_e32 v38, 0x8000
	s_and_saveexec_b64 s[22:23], s[2:3]
	s_cbranch_execz .LBB259_459
; %bb.456:                              ;   in Loop: Header=BB259_403 Depth=1
	v_and_b32_e32 v1, 0x7f, v9
	v_cmp_ne_u32_e64 s[2:3], s40, v1
	v_mov_b32_e32 v38, 0x7c01
	s_and_saveexec_b64 s[28:29], s[2:3]
	s_cbranch_execz .LBB259_458
; %bb.457:                              ;   in Loop: Header=BB259_403 Depth=1
	v_and_b32_e32 v12, 7, v9
	v_ffbh_u32_e32 v38, v12
	v_min_u32_e32 v40, 32, v38
	v_subrev_u32_e32 v38, 28, v40
	v_lshlrev_b64 v[38:39], v38, v[9:10]
	v_lshrrev_b32_e32 v26, 3, v1
	v_sub_u32_e32 v39, 29, v40
	v_cmp_gt_u32_e64 s[2:3], 8, v1
	v_cndmask_b32_e64 v1, v26, v39, s[2:3]
	v_lshl_add_u32 v1, v1, 10, v30
	v_lshlrev_b32_e32 v26, 8, v9
	v_and_b32_e32 v38, 7, v38
	v_and_b32_e32 v1, 0xfc00, v1
	v_cndmask_b32_e64 v12, v12, v38, s[2:3]
	v_and_or_b32 v1, v26, s41, v1
	v_lshl_or_b32 v38, v12, 7, v1
.LBB259_458:                            ;   in Loop: Header=BB259_403 Depth=1
	s_or_b64 exec, exec, s[28:29]
.LBB259_459:                            ;   in Loop: Header=BB259_403 Depth=1
	s_or_b64 exec, exec, s[22:23]
.LBB259_460:                            ;   in Loop: Header=BB259_403 Depth=1
	s_or_b64 exec, exec, s[20:21]
	v_lshrrev_b16_e32 v1, 8, v9
	v_cmp_ne_u16_e64 s[2:3], 0, v1
	s_and_saveexec_b64 s[20:21], s[2:3]
	s_cbranch_execz .LBB259_466
; %bb.461:                              ;   in Loop: Header=BB259_403 Depth=1
	v_cmp_ne_u16_e64 s[2:3], s39, v1
	v_bfrev_b32_e32 v11, 1
	s_and_saveexec_b64 s[22:23], s[2:3]
	s_cbranch_execz .LBB259_465
; %bb.462:                              ;   in Loop: Header=BB259_403 Depth=1
	v_and_b32_e32 v12, 0x7f, v1
	v_cmp_ne_u32_e64 s[2:3], s40, v12
	v_mov_b32_e32 v11, 0x7c010000
	s_and_saveexec_b64 s[28:29], s[2:3]
	s_cbranch_execz .LBB259_464
; %bb.463:                              ;   in Loop: Header=BB259_403 Depth=1
	v_and_b32_e32 v11, 7, v1
	v_ffbh_u32_e32 v39, v11
	v_min_u32_e32 v41, 32, v39
	v_subrev_u32_e32 v39, 28, v41
	v_lshlrev_b64 v[39:40], v39, v[1:2]
	v_lshrrev_b32_e32 v26, 3, v12
	v_sub_u32_e32 v40, 29, v41
	v_cmp_gt_u32_e64 s[2:3], 8, v12
	v_cndmask_b32_e64 v12, v26, v40, s[2:3]
	v_lshlrev_b32_e32 v1, 8, v1
	v_lshl_add_u32 v12, v12, 10, v30
	v_and_b32_e32 v26, 7, v39
	v_and_or_b32 v1, v1, s41, v12
	v_cndmask_b32_e64 v11, v11, v26, s[2:3]
	v_lshlrev_b32_e32 v1, 16, v1
	v_lshl_or_b32 v11, v11, 23, v1
.LBB259_464:                            ;   in Loop: Header=BB259_403 Depth=1
	s_or_b64 exec, exec, s[28:29]
.LBB259_465:                            ;   in Loop: Header=BB259_403 Depth=1
	s_or_b64 exec, exec, s[22:23]
.LBB259_466:                            ;   in Loop: Header=BB259_403 Depth=1
	s_or_b64 exec, exec, s[20:21]
	v_lshrrev_b32_e32 v1, 16, v9
	v_cmp_ne_u16_sdwa s[2:3], v1, v2 src0_sel:BYTE_0 src1_sel:DWORD
	v_mov_b32_e32 v39, 0
	v_mov_b32_e32 v40, 0
	s_and_saveexec_b64 s[20:21], s[2:3]
	s_cbranch_execz .LBB259_472
; %bb.467:                              ;   in Loop: Header=BB259_403 Depth=1
	v_cmp_ne_u16_sdwa s[2:3], v1, s39 src0_sel:BYTE_0 src1_sel:DWORD
	v_mov_b32_e32 v40, 0x8000
	s_and_saveexec_b64 s[22:23], s[2:3]
	s_cbranch_execz .LBB259_471
; %bb.468:                              ;   in Loop: Header=BB259_403 Depth=1
	v_bfe_u32 v12, v9, 16, 7
	v_cmp_ne_u32_e64 s[2:3], s40, v12
	v_mov_b32_e32 v40, 0x7c01
	s_and_saveexec_b64 s[28:29], s[2:3]
	s_cbranch_execz .LBB259_470
; %bb.469:                              ;   in Loop: Header=BB259_403 Depth=1
	v_and_b32_e32 v26, 7, v1
	v_ffbh_u32_e32 v40, v26
	v_min_u32_e32 v43, 32, v40
	v_subrev_u32_e32 v40, 28, v43
	v_lshlrev_b64 v[40:41], v40, v[1:2]
	v_lshrrev_b32_e32 v42, 3, v12
	v_sub_u32_e32 v41, 29, v43
	v_cmp_gt_u32_e64 s[2:3], 8, v12
	v_cndmask_b32_e64 v12, v42, v41, s[2:3]
	v_lshl_add_u32 v12, v12, 10, v30
	v_lshlrev_b32_e32 v1, 8, v1
	v_and_b32_e32 v40, 7, v40
	v_and_b32_e32 v12, 0xfc00, v12
	v_cndmask_b32_e64 v26, v26, v40, s[2:3]
	v_and_or_b32 v1, v1, s41, v12
	v_lshl_or_b32 v40, v26, 7, v1
.LBB259_470:                            ;   in Loop: Header=BB259_403 Depth=1
	s_or_b64 exec, exec, s[28:29]
.LBB259_471:                            ;   in Loop: Header=BB259_403 Depth=1
	s_or_b64 exec, exec, s[22:23]
.LBB259_472:                            ;   in Loop: Header=BB259_403 Depth=1
	s_or_b64 exec, exec, s[20:21]
	v_cmp_lt_u32_e64 s[2:3], s13, v9
	s_and_saveexec_b64 s[20:21], s[2:3]
	s_cbranch_execz .LBB259_478
; %bb.473:                              ;   in Loop: Header=BB259_403 Depth=1
	v_lshrrev_b32_e32 v1, 24, v9
	v_cmp_ne_u32_e64 s[2:3], s39, v1
	v_bfrev_b32_e32 v39, 1
	s_and_saveexec_b64 s[22:23], s[2:3]
	s_cbranch_execz .LBB259_477
; %bb.474:                              ;   in Loop: Header=BB259_403 Depth=1
	v_and_b32_e32 v12, 0x7f, v1
	v_cmp_ne_u32_e64 s[2:3], s40, v12
	v_mov_b32_e32 v39, 0x7c010000
	s_and_saveexec_b64 s[28:29], s[2:3]
	s_cbranch_execz .LBB259_476
; %bb.475:                              ;   in Loop: Header=BB259_403 Depth=1
	v_and_b32_e32 v26, 7, v1
	v_ffbh_u32_e32 v41, v26
	v_min_u32_e32 v43, 32, v41
	v_subrev_u32_e32 v41, 28, v43
	v_lshlrev_b64 v[41:42], v41, v[1:2]
	v_lshrrev_b32_e32 v39, 3, v12
	v_sub_u32_e32 v42, 29, v43
	v_cmp_gt_u32_e64 s[2:3], 8, v12
	v_cndmask_b32_e64 v12, v39, v42, s[2:3]
	v_lshlrev_b32_e32 v1, 8, v1
	v_lshl_add_u32 v12, v12, 10, v30
	v_and_b32_e32 v39, 7, v41
	v_and_or_b32 v1, v1, s41, v12
	v_cndmask_b32_e64 v26, v26, v39, s[2:3]
	v_lshlrev_b32_e32 v1, 16, v1
	v_lshl_or_b32 v39, v26, 23, v1
.LBB259_476:                            ;   in Loop: Header=BB259_403 Depth=1
	s_or_b64 exec, exec, s[28:29]
.LBB259_477:                            ;   in Loop: Header=BB259_403 Depth=1
	s_or_b64 exec, exec, s[22:23]
.LBB259_478:                            ;   in Loop: Header=BB259_403 Depth=1
	s_or_b64 exec, exec, s[20:21]
	v_mov_b32_e32 v1, v10
	v_cmp_ne_u16_sdwa s[2:3], v10, v2 src0_sel:BYTE_0 src1_sel:DWORD
	v_mov_b32_e32 v26, 0
	v_mov_b32_e32 v41, 0
	s_and_saveexec_b64 s[20:21], s[2:3]
	s_cbranch_execz .LBB259_484
; %bb.479:                              ;   in Loop: Header=BB259_403 Depth=1
	v_cmp_ne_u16_sdwa s[2:3], v10, s39 src0_sel:BYTE_0 src1_sel:DWORD
	v_mov_b32_e32 v41, 0x8000
	s_and_saveexec_b64 s[22:23], s[2:3]
	s_cbranch_execz .LBB259_483
; %bb.480:                              ;   in Loop: Header=BB259_403 Depth=1
	v_and_b32_e32 v12, 0x7f, v10
	v_cmp_ne_u32_e64 s[2:3], s40, v12
	v_mov_b32_e32 v41, 0x7c01
	s_and_saveexec_b64 s[28:29], s[2:3]
	s_cbranch_execz .LBB259_482
; %bb.481:                              ;   in Loop: Header=BB259_403 Depth=1
	v_and_b32_e32 v43, 7, v10
	v_ffbh_u32_e32 v41, v43
	v_min_u32_e32 v45, 32, v41
	v_subrev_u32_e32 v41, 28, v45
	v_lshlrev_b64 v[41:42], v41, v[1:2]
	v_lshrrev_b32_e32 v44, 3, v12
	v_sub_u32_e32 v42, 29, v45
	v_cmp_gt_u32_e64 s[2:3], 8, v12
	v_cndmask_b32_e64 v12, v44, v42, s[2:3]
	v_lshl_add_u32 v12, v12, 10, v30
	v_lshlrev_b32_e32 v42, 8, v10
	v_and_b32_e32 v41, 7, v41
	v_and_b32_e32 v12, 0xfc00, v12
	v_cndmask_b32_e64 v41, v43, v41, s[2:3]
	v_and_or_b32 v12, v42, s41, v12
	v_lshl_or_b32 v41, v41, 7, v12
.LBB259_482:                            ;   in Loop: Header=BB259_403 Depth=1
	s_or_b64 exec, exec, s[28:29]
.LBB259_483:                            ;   in Loop: Header=BB259_403 Depth=1
	s_or_b64 exec, exec, s[22:23]
.LBB259_484:                            ;   in Loop: Header=BB259_403 Depth=1
	s_or_b64 exec, exec, s[20:21]
	v_lshrrev_b16_e32 v1, 8, v1
	v_cmp_ne_u16_e64 s[2:3], 0, v1
	v_mov_b32_e32 v42, 0
	s_and_saveexec_b64 s[20:21], s[2:3]
	s_cbranch_execz .LBB259_490
; %bb.485:                              ;   in Loop: Header=BB259_403 Depth=1
	v_cmp_ne_u16_e64 s[2:3], s39, v1
	v_bfrev_b32_e32 v42, 1
	s_and_saveexec_b64 s[22:23], s[2:3]
	s_cbranch_execz .LBB259_489
; %bb.486:                              ;   in Loop: Header=BB259_403 Depth=1
	v_and_b32_e32 v12, 0x7f, v1
	v_cmp_ne_u32_e64 s[2:3], s40, v12
	v_mov_b32_e32 v42, 0x7c010000
	s_and_saveexec_b64 s[28:29], s[2:3]
	s_cbranch_execz .LBB259_488
; %bb.487:                              ;   in Loop: Header=BB259_403 Depth=1
	v_and_b32_e32 v44, 7, v1
	v_ffbh_u32_e32 v42, v44
	v_min_u32_e32 v46, 32, v42
	v_subrev_u32_e32 v42, 28, v46
	v_lshlrev_b64 v[42:43], v42, v[1:2]
	v_lshrrev_b32_e32 v45, 3, v12
	v_sub_u32_e32 v43, 29, v46
	v_cmp_gt_u32_e64 s[2:3], 8, v12
	v_cndmask_b32_e64 v12, v45, v43, s[2:3]
	v_lshlrev_b32_e32 v1, 8, v1
	v_lshl_add_u32 v12, v12, 10, v30
	v_and_b32_e32 v42, 7, v42
	v_and_or_b32 v1, v1, s41, v12
	v_cndmask_b32_e64 v42, v44, v42, s[2:3]
	v_lshlrev_b32_e32 v1, 16, v1
	v_lshl_or_b32 v42, v42, 23, v1
.LBB259_488:                            ;   in Loop: Header=BB259_403 Depth=1
	s_or_b64 exec, exec, s[28:29]
.LBB259_489:                            ;   in Loop: Header=BB259_403 Depth=1
	s_or_b64 exec, exec, s[22:23]
.LBB259_490:                            ;   in Loop: Header=BB259_403 Depth=1
	s_or_b64 exec, exec, s[20:21]
	v_lshrrev_b32_e32 v1, 16, v10
	v_cmp_ne_u16_sdwa s[2:3], v1, v2 src0_sel:BYTE_0 src1_sel:DWORD
	s_and_saveexec_b64 s[20:21], s[2:3]
	s_cbranch_execz .LBB259_496
; %bb.491:                              ;   in Loop: Header=BB259_403 Depth=1
	v_cmp_ne_u16_sdwa s[2:3], v1, s39 src0_sel:BYTE_0 src1_sel:DWORD
	v_mov_b32_e32 v26, 0x8000
	s_and_saveexec_b64 s[22:23], s[2:3]
	s_cbranch_execz .LBB259_495
; %bb.492:                              ;   in Loop: Header=BB259_403 Depth=1
	v_bfe_u32 v12, v10, 16, 7
	v_cmp_ne_u32_e64 s[2:3], s40, v12
	v_mov_b32_e32 v26, 0x7c01
	s_and_saveexec_b64 s[28:29], s[2:3]
	s_cbranch_execz .LBB259_494
; %bb.493:                              ;   in Loop: Header=BB259_403 Depth=1
	v_and_b32_e32 v26, 7, v1
	v_ffbh_u32_e32 v43, v26
	v_min_u32_e32 v46, 32, v43
	v_subrev_u32_e32 v43, 28, v46
	v_lshlrev_b64 v[43:44], v43, v[1:2]
	v_lshrrev_b32_e32 v45, 3, v12
	v_sub_u32_e32 v44, 29, v46
	v_cmp_gt_u32_e64 s[2:3], 8, v12
	v_cndmask_b32_e64 v12, v45, v44, s[2:3]
	v_lshl_add_u32 v12, v12, 10, v30
	v_lshlrev_b32_e32 v1, 8, v1
	v_and_b32_e32 v43, 7, v43
	v_and_b32_e32 v12, 0xfc00, v12
	v_cndmask_b32_e64 v26, v26, v43, s[2:3]
	v_and_or_b32 v1, v1, s41, v12
	v_lshl_or_b32 v26, v26, 7, v1
.LBB259_494:                            ;   in Loop: Header=BB259_403 Depth=1
	s_or_b64 exec, exec, s[28:29]
.LBB259_495:                            ;   in Loop: Header=BB259_403 Depth=1
	s_or_b64 exec, exec, s[22:23]
.LBB259_496:                            ;   in Loop: Header=BB259_403 Depth=1
	s_or_b64 exec, exec, s[20:21]
	v_cmp_lt_u64_e64 s[2:3], s[12:13], v[9:10]
	v_mov_b32_e32 v12, 0
	s_and_saveexec_b64 s[20:21], s[2:3]
	s_cbranch_execz .LBB259_502
; %bb.497:                              ;   in Loop: Header=BB259_403 Depth=1
	v_lshrrev_b32_e32 v1, 24, v10
	v_cmp_ne_u32_e64 s[2:3], s39, v1
	v_bfrev_b32_e32 v12, 1
	s_and_saveexec_b64 s[22:23], s[2:3]
	s_cbranch_execz .LBB259_501
; %bb.498:                              ;   in Loop: Header=BB259_403 Depth=1
	v_and_b32_e32 v9, 0x7f, v1
	v_cmp_ne_u32_e64 s[2:3], s40, v9
	v_mov_b32_e32 v12, 0x7c010000
	s_and_saveexec_b64 s[28:29], s[2:3]
	s_cbranch_execz .LBB259_500
; %bb.499:                              ;   in Loop: Header=BB259_403 Depth=1
	v_and_b32_e32 v10, 7, v1
	v_ffbh_u32_e32 v43, v10
	v_min_u32_e32 v45, 32, v43
	v_subrev_u32_e32 v43, 28, v45
	v_lshlrev_b64 v[43:44], v43, v[1:2]
	v_lshrrev_b32_e32 v12, 3, v9
	v_sub_u32_e32 v44, 29, v45
	v_cmp_gt_u32_e64 s[2:3], 8, v9
	v_cndmask_b32_e64 v9, v12, v44, s[2:3]
	v_lshlrev_b32_e32 v1, 8, v1
	v_lshl_add_u32 v9, v9, 10, v30
	v_and_b32_e32 v12, 7, v43
	v_and_or_b32 v1, v1, s41, v9
	v_cndmask_b32_e64 v10, v10, v12, s[2:3]
	v_lshlrev_b32_e32 v1, 16, v1
	v_lshl_or_b32 v12, v10, 23, v1
.LBB259_500:                            ;   in Loop: Header=BB259_403 Depth=1
	s_or_b64 exec, exec, s[28:29]
.LBB259_501:                            ;   in Loop: Header=BB259_403 Depth=1
	s_or_b64 exec, exec, s[22:23]
.LBB259_502:                            ;   in Loop: Header=BB259_403 Depth=1
	s_or_b64 exec, exec, s[20:21]
	s_waitcnt vmcnt(0)
	v_fma_mixlo_f16 v9, v0, v39, 0 op_sel:[0,1,0] op_sel_hi:[0,1,0]
	v_lshlrev_b32_e32 v10, 16, v9
	v_or_b32_e32 v9, v11, v38
	v_fma_mixlo_f16 v11, v0, v11, 0 op_sel:[0,1,0] op_sel_hi:[0,1,0]
	v_or_b32_e32 v1, v39, v40
	v_lshlrev_b32_e32 v43, 16, v11
	v_or_b32_e32 v11, v42, v41
	v_or_b32_e32 v26, v12, v26
	v_fma_mixlo_f16 v1, v0, v1, 0 op_sel_hi:[0,1,0]
	v_fma_mixlo_f16 v9, v0, v9, 0 op_sel_hi:[0,1,0]
	v_fma_mixlo_f16 v38, v0, v42, 0 op_sel:[0,1,0] op_sel_hi:[0,1,0]
	v_fma_mixlo_f16 v11, v0, v11, 0 op_sel_hi:[0,1,0]
	v_fma_mixlo_f16 v26, v0, v26, 0 op_sel_hi:[0,1,0]
	v_fma_mixlo_f16 v0, v0, v12, 0 op_sel:[0,1,0] op_sel_hi:[0,1,0]
	v_and_b32_e32 v39, 0xffff, v1
	v_and_b32_e32 v44, 0xffff, v9
	v_lshlrev_b32_e32 v38, 16, v38
	v_and_b32_e32 v40, 0xffff, v11
	v_lshlrev_b32_e32 v0, 16, v0
	v_and_b32_e32 v12, 0xffff, v26
	v_or_b32_e32 v1, v10, v39
	v_or_b32_e32 v9, v43, v44
	;; [unrolled: 1-line block ×4, first 2 shown]
	s_and_saveexec_b64 s[20:21], s[0:1]
	s_cbranch_execz .LBB259_504
; %bb.503:                              ;   in Loop: Header=BB259_403 Depth=1
	v_cmp_gt_i32_e64 s[2:3], s33, v31
	v_add_u32_e32 v9, 1, v31
	v_cndmask_b32_e64 v1, 0, v44, s[2:3]
	v_cmp_gt_i32_e64 s[2:3], s33, v9
	v_cndmask_b32_e64 v9, 0, v43, s[2:3]
	v_or_b32_e32 v9, v9, v1
	v_add_u32_e32 v1, 2, v31
	v_cmp_gt_i32_e64 s[2:3], s33, v1
	v_add_u32_e32 v11, 3, v31
	v_cndmask_b32_e64 v1, 0, v39, s[2:3]
	v_cmp_gt_i32_e64 s[2:3], s33, v11
	v_cndmask_b32_e64 v10, 0, v10, s[2:3]
	v_or_b32_e32 v1, v10, v1
	v_add_u32_e32 v10, 4, v31
	;; [unrolled: 7-line block ×3, first 2 shown]
	v_cmp_gt_i32_e64 s[2:3], s33, v10
	v_cndmask_b32_e64 v10, 0, v12, s[2:3]
	v_add_u32_e32 v12, 7, v31
	v_cmp_gt_i32_e64 s[2:3], s33, v12
	v_cndmask_b32_e64 v0, 0, v0, s[2:3]
	v_or_b32_e32 v26, v0, v10
.LBB259_504:                            ;   in Loop: Header=BB259_403 Depth=1
	s_or_b64 exec, exec, s[20:21]
	;;#ASMSTART
	v_pk_mul_f16 v0, v37, v9;

	;;#ASMEND
	;;#ASMSTART
	v_pk_mul_f16 v1, v36, v1;

	;;#ASMEND
	;; [unrolled: 4-line block ×4, first 2 shown]
	;;#ASMSTART
	v_pk_add_f16 v0, v0, v1;

	;;#ASMEND
	;;#ASMSTART
	v_pk_add_f16 v0, v0, v9;

	;;#ASMEND
	;; [unrolled: 4-line block ×3, first 2 shown]
	v_lshrrev_b32_e32 v1, 16, v0
	v_and_b32_e32 v0, 0xffff, v0
	;;#ASMSTART
	v_cvt_f32_f16 v38, v0;
	;;#ASMEND
	;;#ASMSTART
	v_cvt_f32_f16 v39, v1;
	;;#ASMEND
	global_load_dwordx2 v[9:10], v[7:8], off offset:1024
	v_mov_b32_e32 v11, 0
	global_load_dword v0, v11, s[14:15]
	v_mov_b32_e32 v40, 0
	s_waitcnt vmcnt(1)
	v_cmp_ne_u16_sdwa s[2:3], v9, v2 src0_sel:BYTE_0 src1_sel:DWORD
	s_and_saveexec_b64 s[20:21], s[2:3]
	s_cbranch_execz .LBB259_510
; %bb.505:                              ;   in Loop: Header=BB259_403 Depth=1
	v_cmp_ne_u16_sdwa s[2:3], v9, s39 src0_sel:BYTE_0 src1_sel:DWORD
	v_mov_b32_e32 v40, 0x8000
	s_and_saveexec_b64 s[22:23], s[2:3]
	s_cbranch_execz .LBB259_509
; %bb.506:                              ;   in Loop: Header=BB259_403 Depth=1
	v_and_b32_e32 v1, 0x7f, v9
	v_cmp_ne_u32_e64 s[2:3], s40, v1
	v_mov_b32_e32 v40, 0x7c01
	s_and_saveexec_b64 s[28:29], s[2:3]
	s_cbranch_execz .LBB259_508
; %bb.507:                              ;   in Loop: Header=BB259_403 Depth=1
	v_and_b32_e32 v12, 7, v9
	v_ffbh_u32_e32 v40, v12
	v_min_u32_e32 v42, 32, v40
	v_subrev_u32_e32 v40, 28, v42
	v_lshlrev_b64 v[40:41], v40, v[9:10]
	v_lshrrev_b32_e32 v26, 3, v1
	v_sub_u32_e32 v41, 29, v42
	v_cmp_gt_u32_e64 s[2:3], 8, v1
	v_cndmask_b32_e64 v1, v26, v41, s[2:3]
	v_lshl_add_u32 v1, v1, 10, v30
	v_lshlrev_b32_e32 v26, 8, v9
	v_and_b32_e32 v40, 7, v40
	v_and_b32_e32 v1, 0xfc00, v1
	v_cndmask_b32_e64 v12, v12, v40, s[2:3]
	v_and_or_b32 v1, v26, s41, v1
	v_lshl_or_b32 v40, v12, 7, v1
.LBB259_508:                            ;   in Loop: Header=BB259_403 Depth=1
	s_or_b64 exec, exec, s[28:29]
.LBB259_509:                            ;   in Loop: Header=BB259_403 Depth=1
	s_or_b64 exec, exec, s[22:23]
.LBB259_510:                            ;   in Loop: Header=BB259_403 Depth=1
	s_or_b64 exec, exec, s[20:21]
	v_lshrrev_b16_e32 v1, 8, v9
	v_cmp_ne_u16_e64 s[2:3], 0, v1
	s_and_saveexec_b64 s[20:21], s[2:3]
	s_cbranch_execz .LBB259_516
; %bb.511:                              ;   in Loop: Header=BB259_403 Depth=1
	v_cmp_ne_u16_e64 s[2:3], s39, v1
	v_bfrev_b32_e32 v11, 1
	s_and_saveexec_b64 s[22:23], s[2:3]
	s_cbranch_execz .LBB259_515
; %bb.512:                              ;   in Loop: Header=BB259_403 Depth=1
	v_and_b32_e32 v12, 0x7f, v1
	v_cmp_ne_u32_e64 s[2:3], s40, v12
	v_mov_b32_e32 v11, 0x7c010000
	s_and_saveexec_b64 s[28:29], s[2:3]
	s_cbranch_execz .LBB259_514
; %bb.513:                              ;   in Loop: Header=BB259_403 Depth=1
	v_and_b32_e32 v11, 7, v1
	v_ffbh_u32_e32 v41, v11
	v_min_u32_e32 v43, 32, v41
	v_subrev_u32_e32 v41, 28, v43
	v_lshlrev_b64 v[41:42], v41, v[1:2]
	v_lshrrev_b32_e32 v26, 3, v12
	v_sub_u32_e32 v42, 29, v43
	v_cmp_gt_u32_e64 s[2:3], 8, v12
	v_cndmask_b32_e64 v12, v26, v42, s[2:3]
	v_lshlrev_b32_e32 v1, 8, v1
	v_lshl_add_u32 v12, v12, 10, v30
	v_and_b32_e32 v26, 7, v41
	v_and_or_b32 v1, v1, s41, v12
	v_cndmask_b32_e64 v11, v11, v26, s[2:3]
	v_lshlrev_b32_e32 v1, 16, v1
	v_lshl_or_b32 v11, v11, 23, v1
.LBB259_514:                            ;   in Loop: Header=BB259_403 Depth=1
	s_or_b64 exec, exec, s[28:29]
.LBB259_515:                            ;   in Loop: Header=BB259_403 Depth=1
	s_or_b64 exec, exec, s[22:23]
.LBB259_516:                            ;   in Loop: Header=BB259_403 Depth=1
	s_or_b64 exec, exec, s[20:21]
	v_lshrrev_b32_e32 v1, 16, v9
	v_cmp_ne_u16_sdwa s[2:3], v1, v2 src0_sel:BYTE_0 src1_sel:DWORD
	v_mov_b32_e32 v41, 0
	v_mov_b32_e32 v42, 0
	s_and_saveexec_b64 s[20:21], s[2:3]
	s_cbranch_execz .LBB259_522
; %bb.517:                              ;   in Loop: Header=BB259_403 Depth=1
	v_cmp_ne_u16_sdwa s[2:3], v1, s39 src0_sel:BYTE_0 src1_sel:DWORD
	v_mov_b32_e32 v42, 0x8000
	s_and_saveexec_b64 s[22:23], s[2:3]
	s_cbranch_execz .LBB259_521
; %bb.518:                              ;   in Loop: Header=BB259_403 Depth=1
	v_bfe_u32 v12, v9, 16, 7
	v_cmp_ne_u32_e64 s[2:3], s40, v12
	v_mov_b32_e32 v42, 0x7c01
	s_and_saveexec_b64 s[28:29], s[2:3]
	s_cbranch_execz .LBB259_520
; %bb.519:                              ;   in Loop: Header=BB259_403 Depth=1
	v_and_b32_e32 v26, 7, v1
	v_ffbh_u32_e32 v42, v26
	v_min_u32_e32 v45, 32, v42
	v_subrev_u32_e32 v42, 28, v45
	v_lshlrev_b64 v[42:43], v42, v[1:2]
	v_lshrrev_b32_e32 v44, 3, v12
	v_sub_u32_e32 v43, 29, v45
	v_cmp_gt_u32_e64 s[2:3], 8, v12
	v_cndmask_b32_e64 v12, v44, v43, s[2:3]
	v_lshl_add_u32 v12, v12, 10, v30
	v_lshlrev_b32_e32 v1, 8, v1
	v_and_b32_e32 v42, 7, v42
	v_and_b32_e32 v12, 0xfc00, v12
	v_cndmask_b32_e64 v26, v26, v42, s[2:3]
	v_and_or_b32 v1, v1, s41, v12
	v_lshl_or_b32 v42, v26, 7, v1
.LBB259_520:                            ;   in Loop: Header=BB259_403 Depth=1
	s_or_b64 exec, exec, s[28:29]
.LBB259_521:                            ;   in Loop: Header=BB259_403 Depth=1
	s_or_b64 exec, exec, s[22:23]
.LBB259_522:                            ;   in Loop: Header=BB259_403 Depth=1
	s_or_b64 exec, exec, s[20:21]
	v_cmp_lt_u32_e64 s[2:3], s13, v9
	s_and_saveexec_b64 s[20:21], s[2:3]
	s_cbranch_execz .LBB259_528
; %bb.523:                              ;   in Loop: Header=BB259_403 Depth=1
	v_lshrrev_b32_e32 v1, 24, v9
	v_cmp_ne_u32_e64 s[2:3], s39, v1
	v_bfrev_b32_e32 v41, 1
	s_and_saveexec_b64 s[22:23], s[2:3]
	s_cbranch_execz .LBB259_527
; %bb.524:                              ;   in Loop: Header=BB259_403 Depth=1
	v_and_b32_e32 v12, 0x7f, v1
	v_cmp_ne_u32_e64 s[2:3], s40, v12
	v_mov_b32_e32 v41, 0x7c010000
	s_and_saveexec_b64 s[28:29], s[2:3]
	s_cbranch_execz .LBB259_526
; %bb.525:                              ;   in Loop: Header=BB259_403 Depth=1
	v_and_b32_e32 v26, 7, v1
	v_ffbh_u32_e32 v43, v26
	v_min_u32_e32 v45, 32, v43
	v_subrev_u32_e32 v43, 28, v45
	v_lshlrev_b64 v[43:44], v43, v[1:2]
	v_lshrrev_b32_e32 v41, 3, v12
	v_sub_u32_e32 v44, 29, v45
	v_cmp_gt_u32_e64 s[2:3], 8, v12
	v_cndmask_b32_e64 v12, v41, v44, s[2:3]
	v_lshlrev_b32_e32 v1, 8, v1
	v_lshl_add_u32 v12, v12, 10, v30
	v_and_b32_e32 v41, 7, v43
	v_and_or_b32 v1, v1, s41, v12
	v_cndmask_b32_e64 v26, v26, v41, s[2:3]
	v_lshlrev_b32_e32 v1, 16, v1
	v_lshl_or_b32 v41, v26, 23, v1
.LBB259_526:                            ;   in Loop: Header=BB259_403 Depth=1
	s_or_b64 exec, exec, s[28:29]
.LBB259_527:                            ;   in Loop: Header=BB259_403 Depth=1
	s_or_b64 exec, exec, s[22:23]
.LBB259_528:                            ;   in Loop: Header=BB259_403 Depth=1
	s_or_b64 exec, exec, s[20:21]
	v_mov_b32_e32 v1, v10
	v_cmp_ne_u16_sdwa s[2:3], v10, v2 src0_sel:BYTE_0 src1_sel:DWORD
	v_mov_b32_e32 v26, 0
	v_mov_b32_e32 v43, 0
	s_and_saveexec_b64 s[20:21], s[2:3]
	s_cbranch_execz .LBB259_534
; %bb.529:                              ;   in Loop: Header=BB259_403 Depth=1
	v_cmp_ne_u16_sdwa s[2:3], v10, s39 src0_sel:BYTE_0 src1_sel:DWORD
	v_mov_b32_e32 v43, 0x8000
	s_and_saveexec_b64 s[22:23], s[2:3]
	s_cbranch_execz .LBB259_533
; %bb.530:                              ;   in Loop: Header=BB259_403 Depth=1
	v_and_b32_e32 v12, 0x7f, v10
	v_cmp_ne_u32_e64 s[2:3], s40, v12
	v_mov_b32_e32 v43, 0x7c01
	s_and_saveexec_b64 s[28:29], s[2:3]
	s_cbranch_execz .LBB259_532
; %bb.531:                              ;   in Loop: Header=BB259_403 Depth=1
	v_and_b32_e32 v45, 7, v10
	v_ffbh_u32_e32 v43, v45
	v_min_u32_e32 v48, 32, v43
	v_subrev_u32_e32 v43, 28, v48
	v_lshlrev_b64 v[43:44], v43, v[1:2]
	v_lshrrev_b32_e32 v46, 3, v12
	v_sub_u32_e32 v44, 29, v48
	v_cmp_gt_u32_e64 s[2:3], 8, v12
	v_cndmask_b32_e64 v12, v46, v44, s[2:3]
	v_lshl_add_u32 v12, v12, 10, v30
	v_lshlrev_b32_e32 v44, 8, v10
	v_and_b32_e32 v43, 7, v43
	v_and_b32_e32 v12, 0xfc00, v12
	v_cndmask_b32_e64 v43, v45, v43, s[2:3]
	v_and_or_b32 v12, v44, s41, v12
	v_lshl_or_b32 v43, v43, 7, v12
.LBB259_532:                            ;   in Loop: Header=BB259_403 Depth=1
	s_or_b64 exec, exec, s[28:29]
.LBB259_533:                            ;   in Loop: Header=BB259_403 Depth=1
	s_or_b64 exec, exec, s[22:23]
.LBB259_534:                            ;   in Loop: Header=BB259_403 Depth=1
	s_or_b64 exec, exec, s[20:21]
	v_lshrrev_b16_e32 v1, 8, v1
	v_cmp_ne_u16_e64 s[2:3], 0, v1
	v_mov_b32_e32 v44, 0
	s_and_saveexec_b64 s[20:21], s[2:3]
	s_cbranch_execz .LBB259_540
; %bb.535:                              ;   in Loop: Header=BB259_403 Depth=1
	v_cmp_ne_u16_e64 s[2:3], s39, v1
	v_bfrev_b32_e32 v44, 1
	s_and_saveexec_b64 s[22:23], s[2:3]
	s_cbranch_execz .LBB259_539
; %bb.536:                              ;   in Loop: Header=BB259_403 Depth=1
	v_and_b32_e32 v12, 0x7f, v1
	v_cmp_ne_u32_e64 s[2:3], s40, v12
	v_mov_b32_e32 v44, 0x7c010000
	s_and_saveexec_b64 s[28:29], s[2:3]
	s_cbranch_execz .LBB259_538
; %bb.537:                              ;   in Loop: Header=BB259_403 Depth=1
	v_and_b32_e32 v46, 7, v1
	v_ffbh_u32_e32 v44, v46
	v_min_u32_e32 v49, 32, v44
	v_subrev_u32_e32 v44, 28, v49
	v_lshlrev_b64 v[44:45], v44, v[1:2]
	v_lshrrev_b32_e32 v48, 3, v12
	v_sub_u32_e32 v45, 29, v49
	v_cmp_gt_u32_e64 s[2:3], 8, v12
	v_cndmask_b32_e64 v12, v48, v45, s[2:3]
	v_lshlrev_b32_e32 v1, 8, v1
	v_lshl_add_u32 v12, v12, 10, v30
	v_and_b32_e32 v44, 7, v44
	v_and_or_b32 v1, v1, s41, v12
	v_cndmask_b32_e64 v44, v46, v44, s[2:3]
	v_lshlrev_b32_e32 v1, 16, v1
	v_lshl_or_b32 v44, v44, 23, v1
.LBB259_538:                            ;   in Loop: Header=BB259_403 Depth=1
	s_or_b64 exec, exec, s[28:29]
.LBB259_539:                            ;   in Loop: Header=BB259_403 Depth=1
	s_or_b64 exec, exec, s[22:23]
.LBB259_540:                            ;   in Loop: Header=BB259_403 Depth=1
	s_or_b64 exec, exec, s[20:21]
	v_lshrrev_b32_e32 v1, 16, v10
	v_cmp_ne_u16_sdwa s[2:3], v1, v2 src0_sel:BYTE_0 src1_sel:DWORD
	s_and_saveexec_b64 s[20:21], s[2:3]
	s_cbranch_execz .LBB259_546
; %bb.541:                              ;   in Loop: Header=BB259_403 Depth=1
	v_cmp_ne_u16_sdwa s[2:3], v1, s39 src0_sel:BYTE_0 src1_sel:DWORD
	v_mov_b32_e32 v26, 0x8000
	s_and_saveexec_b64 s[22:23], s[2:3]
	s_cbranch_execz .LBB259_545
; %bb.542:                              ;   in Loop: Header=BB259_403 Depth=1
	v_bfe_u32 v12, v10, 16, 7
	v_cmp_ne_u32_e64 s[2:3], s40, v12
	v_mov_b32_e32 v26, 0x7c01
	s_and_saveexec_b64 s[28:29], s[2:3]
	s_cbranch_execz .LBB259_544
; %bb.543:                              ;   in Loop: Header=BB259_403 Depth=1
	v_and_b32_e32 v26, 7, v1
	v_ffbh_u32_e32 v45, v26
	v_min_u32_e32 v49, 32, v45
	v_subrev_u32_e32 v45, 28, v49
	v_lshlrev_b64 v[45:46], v45, v[1:2]
	v_lshrrev_b32_e32 v48, 3, v12
	v_sub_u32_e32 v46, 29, v49
	v_cmp_gt_u32_e64 s[2:3], 8, v12
	v_cndmask_b32_e64 v12, v48, v46, s[2:3]
	v_lshl_add_u32 v12, v12, 10, v30
	v_lshlrev_b32_e32 v1, 8, v1
	v_and_b32_e32 v45, 7, v45
	v_and_b32_e32 v12, 0xfc00, v12
	v_cndmask_b32_e64 v26, v26, v45, s[2:3]
	v_and_or_b32 v1, v1, s41, v12
	v_lshl_or_b32 v26, v26, 7, v1
.LBB259_544:                            ;   in Loop: Header=BB259_403 Depth=1
	s_or_b64 exec, exec, s[28:29]
.LBB259_545:                            ;   in Loop: Header=BB259_403 Depth=1
	s_or_b64 exec, exec, s[22:23]
.LBB259_546:                            ;   in Loop: Header=BB259_403 Depth=1
	s_or_b64 exec, exec, s[20:21]
	v_cmp_lt_u64_e64 s[2:3], s[12:13], v[9:10]
	v_mov_b32_e32 v12, 0
	s_and_saveexec_b64 s[20:21], s[2:3]
	s_cbranch_execz .LBB259_552
; %bb.547:                              ;   in Loop: Header=BB259_403 Depth=1
	v_lshrrev_b32_e32 v1, 24, v10
	v_cmp_ne_u32_e64 s[2:3], s39, v1
	v_bfrev_b32_e32 v12, 1
	s_and_saveexec_b64 s[22:23], s[2:3]
	s_cbranch_execz .LBB259_551
; %bb.548:                              ;   in Loop: Header=BB259_403 Depth=1
	v_and_b32_e32 v9, 0x7f, v1
	v_cmp_ne_u32_e64 s[2:3], s40, v9
	v_mov_b32_e32 v12, 0x7c010000
	s_and_saveexec_b64 s[28:29], s[2:3]
	s_cbranch_execz .LBB259_550
; %bb.549:                              ;   in Loop: Header=BB259_403 Depth=1
	v_and_b32_e32 v10, 7, v1
	v_ffbh_u32_e32 v45, v10
	v_min_u32_e32 v48, 32, v45
	v_subrev_u32_e32 v45, 28, v48
	v_lshlrev_b64 v[45:46], v45, v[1:2]
	v_lshrrev_b32_e32 v12, 3, v9
	v_sub_u32_e32 v46, 29, v48
	v_cmp_gt_u32_e64 s[2:3], 8, v9
	v_cndmask_b32_e64 v9, v12, v46, s[2:3]
	v_lshlrev_b32_e32 v1, 8, v1
	v_lshl_add_u32 v9, v9, 10, v30
	v_and_b32_e32 v12, 7, v45
	v_and_or_b32 v1, v1, s41, v9
	v_cndmask_b32_e64 v10, v10, v12, s[2:3]
	v_lshlrev_b32_e32 v1, 16, v1
	v_lshl_or_b32 v12, v10, 23, v1
.LBB259_550:                            ;   in Loop: Header=BB259_403 Depth=1
	s_or_b64 exec, exec, s[28:29]
.LBB259_551:                            ;   in Loop: Header=BB259_403 Depth=1
	s_or_b64 exec, exec, s[22:23]
.LBB259_552:                            ;   in Loop: Header=BB259_403 Depth=1
	s_or_b64 exec, exec, s[20:21]
	s_waitcnt vmcnt(0)
	v_fma_mixlo_f16 v9, v0, v41, 0 op_sel:[0,1,0] op_sel_hi:[0,1,0]
	v_lshlrev_b32_e32 v10, 16, v9
	v_or_b32_e32 v9, v11, v40
	v_fma_mixlo_f16 v11, v0, v11, 0 op_sel:[0,1,0] op_sel_hi:[0,1,0]
	v_or_b32_e32 v1, v41, v42
	v_lshlrev_b32_e32 v45, 16, v11
	v_or_b32_e32 v11, v44, v43
	v_or_b32_e32 v26, v12, v26
	v_fma_mixlo_f16 v1, v0, v1, 0 op_sel_hi:[0,1,0]
	v_fma_mixlo_f16 v9, v0, v9, 0 op_sel_hi:[0,1,0]
	v_fma_mixlo_f16 v40, v0, v44, 0 op_sel:[0,1,0] op_sel_hi:[0,1,0]
	v_fma_mixlo_f16 v11, v0, v11, 0 op_sel_hi:[0,1,0]
	v_fma_mixlo_f16 v26, v0, v26, 0 op_sel_hi:[0,1,0]
	v_fma_mixlo_f16 v0, v0, v12, 0 op_sel:[0,1,0] op_sel_hi:[0,1,0]
	v_and_b32_e32 v41, 0xffff, v1
	v_and_b32_e32 v46, 0xffff, v9
	v_lshlrev_b32_e32 v40, 16, v40
	v_and_b32_e32 v42, 0xffff, v11
	v_lshlrev_b32_e32 v0, 16, v0
	v_and_b32_e32 v12, 0xffff, v26
	v_or_b32_e32 v1, v10, v41
	v_or_b32_e32 v9, v45, v46
	;; [unrolled: 1-line block ×4, first 2 shown]
	s_and_saveexec_b64 s[20:21], s[0:1]
	s_cbranch_execz .LBB259_554
; %bb.553:                              ;   in Loop: Header=BB259_403 Depth=1
	v_cmp_gt_i32_e64 s[2:3], s33, v31
	v_add_u32_e32 v9, 1, v31
	v_cndmask_b32_e64 v1, 0, v46, s[2:3]
	v_cmp_gt_i32_e64 s[2:3], s33, v9
	v_cndmask_b32_e64 v9, 0, v45, s[2:3]
	v_or_b32_e32 v9, v9, v1
	v_add_u32_e32 v1, 2, v31
	v_cmp_gt_i32_e64 s[2:3], s33, v1
	v_add_u32_e32 v11, 3, v31
	v_cndmask_b32_e64 v1, 0, v41, s[2:3]
	v_cmp_gt_i32_e64 s[2:3], s33, v11
	v_cndmask_b32_e64 v10, 0, v10, s[2:3]
	v_or_b32_e32 v1, v10, v1
	v_add_u32_e32 v10, 4, v31
	;; [unrolled: 7-line block ×3, first 2 shown]
	v_cmp_gt_i32_e64 s[2:3], s33, v10
	v_cndmask_b32_e64 v10, 0, v12, s[2:3]
	v_add_u32_e32 v12, 7, v31
	v_cmp_gt_i32_e64 s[2:3], s33, v12
	v_cndmask_b32_e64 v0, 0, v0, s[2:3]
	v_or_b32_e32 v26, v0, v10
.LBB259_554:                            ;   in Loop: Header=BB259_403 Depth=1
	s_or_b64 exec, exec, s[20:21]
	;;#ASMSTART
	v_pk_mul_f16 v0, v37, v9;

	;;#ASMEND
	;;#ASMSTART
	v_pk_mul_f16 v1, v36, v1;

	;;#ASMEND
	;;#ASMSTART
	v_pk_mul_f16 v9, v35, v11;

	;;#ASMEND
	;;#ASMSTART
	v_pk_mul_f16 v10, v34, v26;

	;;#ASMEND
	;;#ASMSTART
	v_pk_add_f16 v0, v0, v1;

	;;#ASMEND
	;;#ASMSTART
	v_pk_add_f16 v0, v0, v9;

	;;#ASMEND
	;; [unrolled: 4-line block ×3, first 2 shown]
	v_lshrrev_b32_e32 v1, 16, v0
	v_and_b32_e32 v0, 0xffff, v0
	;;#ASMSTART
	v_cvt_f32_f16 v40, v0;
	;;#ASMEND
	;;#ASMSTART
	v_cvt_f32_f16 v41, v1;
	;;#ASMEND
	global_load_dwordx2 v[9:10], v[7:8], off offset:1536
	v_mov_b32_e32 v11, 0
	global_load_dword v0, v11, s[14:15]
	v_mov_b32_e32 v42, 0
	s_waitcnt vmcnt(1)
	v_cmp_ne_u16_sdwa s[2:3], v9, v2 src0_sel:BYTE_0 src1_sel:DWORD
	s_and_saveexec_b64 s[20:21], s[2:3]
	s_cbranch_execz .LBB259_560
; %bb.555:                              ;   in Loop: Header=BB259_403 Depth=1
	v_cmp_ne_u16_sdwa s[2:3], v9, s39 src0_sel:BYTE_0 src1_sel:DWORD
	v_mov_b32_e32 v42, 0x8000
	s_and_saveexec_b64 s[22:23], s[2:3]
	s_cbranch_execz .LBB259_559
; %bb.556:                              ;   in Loop: Header=BB259_403 Depth=1
	v_and_b32_e32 v1, 0x7f, v9
	v_cmp_ne_u32_e64 s[2:3], s40, v1
	v_mov_b32_e32 v42, 0x7c01
	s_and_saveexec_b64 s[28:29], s[2:3]
	s_cbranch_execz .LBB259_558
; %bb.557:                              ;   in Loop: Header=BB259_403 Depth=1
	v_and_b32_e32 v12, 7, v9
	v_ffbh_u32_e32 v42, v12
	v_min_u32_e32 v44, 32, v42
	v_subrev_u32_e32 v42, 28, v44
	v_lshlrev_b64 v[42:43], v42, v[9:10]
	v_lshrrev_b32_e32 v26, 3, v1
	v_sub_u32_e32 v43, 29, v44
	v_cmp_gt_u32_e64 s[2:3], 8, v1
	v_cndmask_b32_e64 v1, v26, v43, s[2:3]
	v_lshl_add_u32 v1, v1, 10, v30
	v_lshlrev_b32_e32 v26, 8, v9
	v_and_b32_e32 v42, 7, v42
	v_and_b32_e32 v1, 0xfc00, v1
	v_cndmask_b32_e64 v12, v12, v42, s[2:3]
	v_and_or_b32 v1, v26, s41, v1
	v_lshl_or_b32 v42, v12, 7, v1
.LBB259_558:                            ;   in Loop: Header=BB259_403 Depth=1
	s_or_b64 exec, exec, s[28:29]
.LBB259_559:                            ;   in Loop: Header=BB259_403 Depth=1
	s_or_b64 exec, exec, s[22:23]
.LBB259_560:                            ;   in Loop: Header=BB259_403 Depth=1
	s_or_b64 exec, exec, s[20:21]
	v_lshrrev_b16_e32 v1, 8, v9
	v_cmp_ne_u16_e64 s[2:3], 0, v1
	s_and_saveexec_b64 s[20:21], s[2:3]
	s_cbranch_execz .LBB259_566
; %bb.561:                              ;   in Loop: Header=BB259_403 Depth=1
	v_cmp_ne_u16_e64 s[2:3], s39, v1
	v_bfrev_b32_e32 v11, 1
	s_and_saveexec_b64 s[22:23], s[2:3]
	s_cbranch_execz .LBB259_565
; %bb.562:                              ;   in Loop: Header=BB259_403 Depth=1
	v_and_b32_e32 v12, 0x7f, v1
	v_cmp_ne_u32_e64 s[2:3], s40, v12
	v_mov_b32_e32 v11, 0x7c010000
	s_and_saveexec_b64 s[28:29], s[2:3]
	s_cbranch_execz .LBB259_564
; %bb.563:                              ;   in Loop: Header=BB259_403 Depth=1
	v_and_b32_e32 v11, 7, v1
	v_ffbh_u32_e32 v43, v11
	v_min_u32_e32 v45, 32, v43
	v_subrev_u32_e32 v43, 28, v45
	v_lshlrev_b64 v[43:44], v43, v[1:2]
	v_lshrrev_b32_e32 v26, 3, v12
	v_sub_u32_e32 v44, 29, v45
	v_cmp_gt_u32_e64 s[2:3], 8, v12
	v_cndmask_b32_e64 v12, v26, v44, s[2:3]
	v_lshlrev_b32_e32 v1, 8, v1
	v_lshl_add_u32 v12, v12, 10, v30
	v_and_b32_e32 v26, 7, v43
	v_and_or_b32 v1, v1, s41, v12
	v_cndmask_b32_e64 v11, v11, v26, s[2:3]
	v_lshlrev_b32_e32 v1, 16, v1
	v_lshl_or_b32 v11, v11, 23, v1
.LBB259_564:                            ;   in Loop: Header=BB259_403 Depth=1
	s_or_b64 exec, exec, s[28:29]
.LBB259_565:                            ;   in Loop: Header=BB259_403 Depth=1
	s_or_b64 exec, exec, s[22:23]
.LBB259_566:                            ;   in Loop: Header=BB259_403 Depth=1
	s_or_b64 exec, exec, s[20:21]
	v_lshrrev_b32_e32 v1, 16, v9
	v_cmp_ne_u16_sdwa s[2:3], v1, v2 src0_sel:BYTE_0 src1_sel:DWORD
	v_mov_b32_e32 v43, 0
	v_mov_b32_e32 v44, 0
	s_and_saveexec_b64 s[20:21], s[2:3]
	s_cbranch_execz .LBB259_572
; %bb.567:                              ;   in Loop: Header=BB259_403 Depth=1
	v_cmp_ne_u16_sdwa s[2:3], v1, s39 src0_sel:BYTE_0 src1_sel:DWORD
	v_mov_b32_e32 v44, 0x8000
	s_and_saveexec_b64 s[22:23], s[2:3]
	s_cbranch_execz .LBB259_571
; %bb.568:                              ;   in Loop: Header=BB259_403 Depth=1
	v_bfe_u32 v12, v9, 16, 7
	v_cmp_ne_u32_e64 s[2:3], s40, v12
	v_mov_b32_e32 v44, 0x7c01
	s_and_saveexec_b64 s[28:29], s[2:3]
	s_cbranch_execz .LBB259_570
; %bb.569:                              ;   in Loop: Header=BB259_403 Depth=1
	v_and_b32_e32 v26, 7, v1
	v_ffbh_u32_e32 v44, v26
	v_min_u32_e32 v48, 32, v44
	v_subrev_u32_e32 v44, 28, v48
	v_lshlrev_b64 v[44:45], v44, v[1:2]
	v_lshrrev_b32_e32 v46, 3, v12
	v_sub_u32_e32 v45, 29, v48
	v_cmp_gt_u32_e64 s[2:3], 8, v12
	v_cndmask_b32_e64 v12, v46, v45, s[2:3]
	v_lshl_add_u32 v12, v12, 10, v30
	v_lshlrev_b32_e32 v1, 8, v1
	v_and_b32_e32 v44, 7, v44
	v_and_b32_e32 v12, 0xfc00, v12
	v_cndmask_b32_e64 v26, v26, v44, s[2:3]
	v_and_or_b32 v1, v1, s41, v12
	v_lshl_or_b32 v44, v26, 7, v1
.LBB259_570:                            ;   in Loop: Header=BB259_403 Depth=1
	s_or_b64 exec, exec, s[28:29]
.LBB259_571:                            ;   in Loop: Header=BB259_403 Depth=1
	s_or_b64 exec, exec, s[22:23]
.LBB259_572:                            ;   in Loop: Header=BB259_403 Depth=1
	s_or_b64 exec, exec, s[20:21]
	v_cmp_lt_u32_e64 s[2:3], s13, v9
	s_and_saveexec_b64 s[20:21], s[2:3]
	s_cbranch_execz .LBB259_578
; %bb.573:                              ;   in Loop: Header=BB259_403 Depth=1
	v_lshrrev_b32_e32 v1, 24, v9
	v_cmp_ne_u32_e64 s[2:3], s39, v1
	v_bfrev_b32_e32 v43, 1
	s_and_saveexec_b64 s[22:23], s[2:3]
	s_cbranch_execz .LBB259_577
; %bb.574:                              ;   in Loop: Header=BB259_403 Depth=1
	v_and_b32_e32 v12, 0x7f, v1
	v_cmp_ne_u32_e64 s[2:3], s40, v12
	v_mov_b32_e32 v43, 0x7c010000
	s_and_saveexec_b64 s[28:29], s[2:3]
	s_cbranch_execz .LBB259_576
; %bb.575:                              ;   in Loop: Header=BB259_403 Depth=1
	v_and_b32_e32 v26, 7, v1
	v_ffbh_u32_e32 v45, v26
	v_min_u32_e32 v48, 32, v45
	v_subrev_u32_e32 v45, 28, v48
	v_lshlrev_b64 v[45:46], v45, v[1:2]
	v_lshrrev_b32_e32 v43, 3, v12
	v_sub_u32_e32 v46, 29, v48
	v_cmp_gt_u32_e64 s[2:3], 8, v12
	v_cndmask_b32_e64 v12, v43, v46, s[2:3]
	v_lshlrev_b32_e32 v1, 8, v1
	v_lshl_add_u32 v12, v12, 10, v30
	v_and_b32_e32 v43, 7, v45
	v_and_or_b32 v1, v1, s41, v12
	v_cndmask_b32_e64 v26, v26, v43, s[2:3]
	v_lshlrev_b32_e32 v1, 16, v1
	v_lshl_or_b32 v43, v26, 23, v1
.LBB259_576:                            ;   in Loop: Header=BB259_403 Depth=1
	s_or_b64 exec, exec, s[28:29]
.LBB259_577:                            ;   in Loop: Header=BB259_403 Depth=1
	s_or_b64 exec, exec, s[22:23]
.LBB259_578:                            ;   in Loop: Header=BB259_403 Depth=1
	s_or_b64 exec, exec, s[20:21]
	v_mov_b32_e32 v1, v10
	v_cmp_ne_u16_sdwa s[2:3], v10, v2 src0_sel:BYTE_0 src1_sel:DWORD
	v_mov_b32_e32 v26, 0
	v_mov_b32_e32 v45, 0
	s_and_saveexec_b64 s[20:21], s[2:3]
	s_cbranch_execz .LBB259_584
; %bb.579:                              ;   in Loop: Header=BB259_403 Depth=1
	v_cmp_ne_u16_sdwa s[2:3], v10, s39 src0_sel:BYTE_0 src1_sel:DWORD
	v_mov_b32_e32 v45, 0x8000
	s_and_saveexec_b64 s[22:23], s[2:3]
	s_cbranch_execz .LBB259_583
; %bb.580:                              ;   in Loop: Header=BB259_403 Depth=1
	v_and_b32_e32 v12, 0x7f, v10
	v_cmp_ne_u32_e64 s[2:3], s40, v12
	v_mov_b32_e32 v45, 0x7c01
	s_and_saveexec_b64 s[28:29], s[2:3]
	s_cbranch_execz .LBB259_582
; %bb.581:                              ;   in Loop: Header=BB259_403 Depth=1
	v_and_b32_e32 v48, 7, v10
	v_ffbh_u32_e32 v45, v48
	v_min_u32_e32 v50, 32, v45
	v_subrev_u32_e32 v45, 28, v50
	v_lshlrev_b64 v[45:46], v45, v[1:2]
	v_lshrrev_b32_e32 v49, 3, v12
	v_sub_u32_e32 v46, 29, v50
	v_cmp_gt_u32_e64 s[2:3], 8, v12
	v_cndmask_b32_e64 v12, v49, v46, s[2:3]
	v_lshl_add_u32 v12, v12, 10, v30
	v_lshlrev_b32_e32 v46, 8, v10
	v_and_b32_e32 v45, 7, v45
	v_and_b32_e32 v12, 0xfc00, v12
	v_cndmask_b32_e64 v45, v48, v45, s[2:3]
	v_and_or_b32 v12, v46, s41, v12
	v_lshl_or_b32 v45, v45, 7, v12
.LBB259_582:                            ;   in Loop: Header=BB259_403 Depth=1
	s_or_b64 exec, exec, s[28:29]
.LBB259_583:                            ;   in Loop: Header=BB259_403 Depth=1
	s_or_b64 exec, exec, s[22:23]
.LBB259_584:                            ;   in Loop: Header=BB259_403 Depth=1
	s_or_b64 exec, exec, s[20:21]
	v_lshrrev_b16_e32 v1, 8, v1
	v_cmp_ne_u16_e64 s[2:3], 0, v1
	v_mov_b32_e32 v46, 0
	s_and_saveexec_b64 s[20:21], s[2:3]
	s_cbranch_execz .LBB259_590
; %bb.585:                              ;   in Loop: Header=BB259_403 Depth=1
	v_cmp_ne_u16_e64 s[2:3], s39, v1
	v_bfrev_b32_e32 v46, 1
	s_and_saveexec_b64 s[22:23], s[2:3]
	s_cbranch_execz .LBB259_589
; %bb.586:                              ;   in Loop: Header=BB259_403 Depth=1
	v_and_b32_e32 v12, 0x7f, v1
	v_cmp_ne_u32_e64 s[2:3], s40, v12
	v_mov_b32_e32 v46, 0x7c010000
	s_and_saveexec_b64 s[28:29], s[2:3]
	s_cbranch_execz .LBB259_588
; %bb.587:                              ;   in Loop: Header=BB259_403 Depth=1
	v_and_b32_e32 v46, 7, v1
	v_ffbh_u32_e32 v48, v46
	v_min_u32_e32 v51, 32, v48
	v_subrev_u32_e32 v48, 28, v51
	v_lshlrev_b64 v[48:49], v48, v[1:2]
	v_lshrrev_b32_e32 v50, 3, v12
	v_sub_u32_e32 v49, 29, v51
	v_cmp_gt_u32_e64 s[2:3], 8, v12
	v_cndmask_b32_e64 v12, v50, v49, s[2:3]
	v_lshlrev_b32_e32 v1, 8, v1
	v_lshl_add_u32 v12, v12, 10, v30
	v_and_b32_e32 v48, 7, v48
	v_and_or_b32 v1, v1, s41, v12
	v_cndmask_b32_e64 v46, v46, v48, s[2:3]
	v_lshlrev_b32_e32 v1, 16, v1
	v_lshl_or_b32 v46, v46, 23, v1
.LBB259_588:                            ;   in Loop: Header=BB259_403 Depth=1
	s_or_b64 exec, exec, s[28:29]
.LBB259_589:                            ;   in Loop: Header=BB259_403 Depth=1
	s_or_b64 exec, exec, s[22:23]
.LBB259_590:                            ;   in Loop: Header=BB259_403 Depth=1
	s_or_b64 exec, exec, s[20:21]
	v_lshrrev_b32_e32 v1, 16, v10
	v_cmp_ne_u16_sdwa s[2:3], v1, v2 src0_sel:BYTE_0 src1_sel:DWORD
	s_and_saveexec_b64 s[20:21], s[2:3]
	s_cbranch_execz .LBB259_596
; %bb.591:                              ;   in Loop: Header=BB259_403 Depth=1
	v_cmp_ne_u16_sdwa s[2:3], v1, s39 src0_sel:BYTE_0 src1_sel:DWORD
	v_mov_b32_e32 v26, 0x8000
	s_and_saveexec_b64 s[22:23], s[2:3]
	s_cbranch_execz .LBB259_595
; %bb.592:                              ;   in Loop: Header=BB259_403 Depth=1
	v_bfe_u32 v12, v10, 16, 7
	v_cmp_ne_u32_e64 s[2:3], s40, v12
	v_mov_b32_e32 v26, 0x7c01
	s_and_saveexec_b64 s[28:29], s[2:3]
	s_cbranch_execz .LBB259_594
; %bb.593:                              ;   in Loop: Header=BB259_403 Depth=1
	v_and_b32_e32 v26, 7, v1
	v_ffbh_u32_e32 v48, v26
	v_min_u32_e32 v51, 32, v48
	v_subrev_u32_e32 v48, 28, v51
	v_lshlrev_b64 v[48:49], v48, v[1:2]
	v_lshrrev_b32_e32 v50, 3, v12
	v_sub_u32_e32 v49, 29, v51
	v_cmp_gt_u32_e64 s[2:3], 8, v12
	v_cndmask_b32_e64 v12, v50, v49, s[2:3]
	v_lshl_add_u32 v12, v12, 10, v30
	v_lshlrev_b32_e32 v1, 8, v1
	v_and_b32_e32 v48, 7, v48
	v_and_b32_e32 v12, 0xfc00, v12
	v_cndmask_b32_e64 v26, v26, v48, s[2:3]
	v_and_or_b32 v1, v1, s41, v12
	v_lshl_or_b32 v26, v26, 7, v1
.LBB259_594:                            ;   in Loop: Header=BB259_403 Depth=1
	s_or_b64 exec, exec, s[28:29]
.LBB259_595:                            ;   in Loop: Header=BB259_403 Depth=1
	s_or_b64 exec, exec, s[22:23]
.LBB259_596:                            ;   in Loop: Header=BB259_403 Depth=1
	s_or_b64 exec, exec, s[20:21]
	v_cmp_lt_u64_e64 s[2:3], s[12:13], v[9:10]
	v_mov_b32_e32 v12, 0
	s_and_saveexec_b64 s[20:21], s[2:3]
	s_cbranch_execz .LBB259_602
; %bb.597:                              ;   in Loop: Header=BB259_403 Depth=1
	v_lshrrev_b32_e32 v1, 24, v10
	v_cmp_ne_u32_e64 s[2:3], s39, v1
	v_bfrev_b32_e32 v12, 1
	s_and_saveexec_b64 s[22:23], s[2:3]
	s_cbranch_execz .LBB259_601
; %bb.598:                              ;   in Loop: Header=BB259_403 Depth=1
	v_and_b32_e32 v9, 0x7f, v1
	v_cmp_ne_u32_e64 s[2:3], s40, v9
	v_mov_b32_e32 v12, 0x7c010000
	s_and_saveexec_b64 s[28:29], s[2:3]
	s_cbranch_execz .LBB259_600
; %bb.599:                              ;   in Loop: Header=BB259_403 Depth=1
	v_and_b32_e32 v10, 7, v1
	v_ffbh_u32_e32 v48, v10
	v_min_u32_e32 v50, 32, v48
	v_subrev_u32_e32 v48, 28, v50
	v_lshlrev_b64 v[48:49], v48, v[1:2]
	v_lshrrev_b32_e32 v12, 3, v9
	v_sub_u32_e32 v49, 29, v50
	v_cmp_gt_u32_e64 s[2:3], 8, v9
	v_cndmask_b32_e64 v9, v12, v49, s[2:3]
	v_lshlrev_b32_e32 v1, 8, v1
	v_lshl_add_u32 v9, v9, 10, v30
	v_and_b32_e32 v12, 7, v48
	v_and_or_b32 v1, v1, s41, v9
	v_cndmask_b32_e64 v10, v10, v12, s[2:3]
	v_lshlrev_b32_e32 v1, 16, v1
	v_lshl_or_b32 v12, v10, 23, v1
.LBB259_600:                            ;   in Loop: Header=BB259_403 Depth=1
	s_or_b64 exec, exec, s[28:29]
.LBB259_601:                            ;   in Loop: Header=BB259_403 Depth=1
	s_or_b64 exec, exec, s[22:23]
.LBB259_602:                            ;   in Loop: Header=BB259_403 Depth=1
	s_or_b64 exec, exec, s[20:21]
	s_waitcnt vmcnt(0)
	v_fma_mixlo_f16 v9, v0, v43, 0 op_sel:[0,1,0] op_sel_hi:[0,1,0]
	v_lshlrev_b32_e32 v10, 16, v9
	v_or_b32_e32 v9, v11, v42
	v_fma_mixlo_f16 v11, v0, v11, 0 op_sel:[0,1,0] op_sel_hi:[0,1,0]
	v_or_b32_e32 v1, v43, v44
	v_lshlrev_b32_e32 v48, 16, v11
	v_or_b32_e32 v11, v46, v45
	v_or_b32_e32 v26, v12, v26
	v_fma_mixlo_f16 v1, v0, v1, 0 op_sel_hi:[0,1,0]
	v_fma_mixlo_f16 v9, v0, v9, 0 op_sel_hi:[0,1,0]
	v_fma_mixlo_f16 v42, v0, v46, 0 op_sel:[0,1,0] op_sel_hi:[0,1,0]
	v_fma_mixlo_f16 v11, v0, v11, 0 op_sel_hi:[0,1,0]
	v_fma_mixlo_f16 v26, v0, v26, 0 op_sel_hi:[0,1,0]
	v_fma_mixlo_f16 v0, v0, v12, 0 op_sel:[0,1,0] op_sel_hi:[0,1,0]
	v_and_b32_e32 v43, 0xffff, v1
	v_and_b32_e32 v49, 0xffff, v9
	v_lshlrev_b32_e32 v42, 16, v42
	v_and_b32_e32 v44, 0xffff, v11
	v_lshlrev_b32_e32 v0, 16, v0
	v_and_b32_e32 v12, 0xffff, v26
	v_or_b32_e32 v1, v10, v43
	v_or_b32_e32 v9, v48, v49
	;; [unrolled: 1-line block ×4, first 2 shown]
	s_and_saveexec_b64 s[20:21], s[0:1]
	s_cbranch_execz .LBB259_604
; %bb.603:                              ;   in Loop: Header=BB259_403 Depth=1
	v_cmp_gt_i32_e64 s[2:3], s33, v31
	v_add_u32_e32 v9, 1, v31
	v_cndmask_b32_e64 v1, 0, v49, s[2:3]
	v_cmp_gt_i32_e64 s[2:3], s33, v9
	v_cndmask_b32_e64 v9, 0, v48, s[2:3]
	v_or_b32_e32 v9, v9, v1
	v_add_u32_e32 v1, 2, v31
	v_cmp_gt_i32_e64 s[2:3], s33, v1
	v_add_u32_e32 v11, 3, v31
	v_cndmask_b32_e64 v1, 0, v43, s[2:3]
	v_cmp_gt_i32_e64 s[2:3], s33, v11
	v_cndmask_b32_e64 v10, 0, v10, s[2:3]
	v_or_b32_e32 v1, v10, v1
	v_add_u32_e32 v10, 4, v31
	;; [unrolled: 7-line block ×3, first 2 shown]
	v_cmp_gt_i32_e64 s[2:3], s33, v10
	v_cndmask_b32_e64 v10, 0, v12, s[2:3]
	v_add_u32_e32 v12, 7, v31
	v_cmp_gt_i32_e64 s[2:3], s33, v12
	v_cndmask_b32_e64 v0, 0, v0, s[2:3]
	v_or_b32_e32 v26, v0, v10
.LBB259_604:                            ;   in Loop: Header=BB259_403 Depth=1
	s_or_b64 exec, exec, s[20:21]
	;;#ASMSTART
	v_pk_mul_f16 v0, v37, v9;

	;;#ASMEND
	;;#ASMSTART
	v_pk_mul_f16 v1, v36, v1;

	;;#ASMEND
	;;#ASMSTART
	v_pk_mul_f16 v9, v35, v11;

	;;#ASMEND
	;;#ASMSTART
	v_pk_mul_f16 v10, v34, v26;

	;;#ASMEND
	;;#ASMSTART
	v_pk_add_f16 v0, v0, v1;

	;;#ASMEND
	;;#ASMSTART
	v_pk_add_f16 v0, v0, v9;

	;;#ASMEND
	;; [unrolled: 4-line block ×3, first 2 shown]
	v_lshrrev_b32_e32 v1, 16, v0
	v_and_b32_e32 v0, 0xffff, v0
	;;#ASMSTART
	v_cvt_f32_f16 v42, v0;
	;;#ASMEND
	;;#ASMSTART
	v_cvt_f32_f16 v43, v1;
	;;#ASMEND
	global_load_dwordx2 v[9:10], v[7:8], off offset:2048
	v_mov_b32_e32 v11, 0
	global_load_dword v0, v11, s[14:15]
	v_mov_b32_e32 v44, 0
	s_waitcnt vmcnt(1)
	v_cmp_ne_u16_sdwa s[2:3], v9, v2 src0_sel:BYTE_0 src1_sel:DWORD
	s_and_saveexec_b64 s[20:21], s[2:3]
	s_cbranch_execz .LBB259_610
; %bb.605:                              ;   in Loop: Header=BB259_403 Depth=1
	v_cmp_ne_u16_sdwa s[2:3], v9, s39 src0_sel:BYTE_0 src1_sel:DWORD
	v_mov_b32_e32 v44, 0x8000
	s_and_saveexec_b64 s[22:23], s[2:3]
	s_cbranch_execz .LBB259_609
; %bb.606:                              ;   in Loop: Header=BB259_403 Depth=1
	v_and_b32_e32 v1, 0x7f, v9
	v_cmp_ne_u32_e64 s[2:3], s40, v1
	v_mov_b32_e32 v44, 0x7c01
	s_and_saveexec_b64 s[28:29], s[2:3]
	s_cbranch_execz .LBB259_608
; %bb.607:                              ;   in Loop: Header=BB259_403 Depth=1
	v_and_b32_e32 v12, 7, v9
	v_ffbh_u32_e32 v44, v12
	v_min_u32_e32 v46, 32, v44
	v_subrev_u32_e32 v44, 28, v46
	v_lshlrev_b64 v[44:45], v44, v[9:10]
	v_lshrrev_b32_e32 v26, 3, v1
	v_sub_u32_e32 v45, 29, v46
	v_cmp_gt_u32_e64 s[2:3], 8, v1
	v_cndmask_b32_e64 v1, v26, v45, s[2:3]
	v_lshl_add_u32 v1, v1, 10, v30
	v_lshlrev_b32_e32 v26, 8, v9
	v_and_b32_e32 v44, 7, v44
	v_and_b32_e32 v1, 0xfc00, v1
	v_cndmask_b32_e64 v12, v12, v44, s[2:3]
	v_and_or_b32 v1, v26, s41, v1
	v_lshl_or_b32 v44, v12, 7, v1
.LBB259_608:                            ;   in Loop: Header=BB259_403 Depth=1
	s_or_b64 exec, exec, s[28:29]
.LBB259_609:                            ;   in Loop: Header=BB259_403 Depth=1
	s_or_b64 exec, exec, s[22:23]
.LBB259_610:                            ;   in Loop: Header=BB259_403 Depth=1
	s_or_b64 exec, exec, s[20:21]
	v_lshrrev_b16_e32 v1, 8, v9
	v_cmp_ne_u16_e64 s[2:3], 0, v1
	s_and_saveexec_b64 s[20:21], s[2:3]
	s_cbranch_execz .LBB259_616
; %bb.611:                              ;   in Loop: Header=BB259_403 Depth=1
	v_cmp_ne_u16_e64 s[2:3], s39, v1
	v_bfrev_b32_e32 v11, 1
	s_and_saveexec_b64 s[22:23], s[2:3]
	s_cbranch_execz .LBB259_615
; %bb.612:                              ;   in Loop: Header=BB259_403 Depth=1
	v_and_b32_e32 v12, 0x7f, v1
	v_cmp_ne_u32_e64 s[2:3], s40, v12
	v_mov_b32_e32 v11, 0x7c010000
	s_and_saveexec_b64 s[28:29], s[2:3]
	s_cbranch_execz .LBB259_614
; %bb.613:                              ;   in Loop: Header=BB259_403 Depth=1
	v_and_b32_e32 v11, 7, v1
	v_ffbh_u32_e32 v45, v11
	v_min_u32_e32 v48, 32, v45
	v_subrev_u32_e32 v45, 28, v48
	v_lshlrev_b64 v[45:46], v45, v[1:2]
	v_lshrrev_b32_e32 v26, 3, v12
	v_sub_u32_e32 v46, 29, v48
	v_cmp_gt_u32_e64 s[2:3], 8, v12
	v_cndmask_b32_e64 v12, v26, v46, s[2:3]
	v_lshlrev_b32_e32 v1, 8, v1
	v_lshl_add_u32 v12, v12, 10, v30
	v_and_b32_e32 v26, 7, v45
	v_and_or_b32 v1, v1, s41, v12
	v_cndmask_b32_e64 v11, v11, v26, s[2:3]
	v_lshlrev_b32_e32 v1, 16, v1
	v_lshl_or_b32 v11, v11, 23, v1
.LBB259_614:                            ;   in Loop: Header=BB259_403 Depth=1
	s_or_b64 exec, exec, s[28:29]
.LBB259_615:                            ;   in Loop: Header=BB259_403 Depth=1
	s_or_b64 exec, exec, s[22:23]
.LBB259_616:                            ;   in Loop: Header=BB259_403 Depth=1
	s_or_b64 exec, exec, s[20:21]
	v_lshrrev_b32_e32 v1, 16, v9
	v_cmp_ne_u16_sdwa s[2:3], v1, v2 src0_sel:BYTE_0 src1_sel:DWORD
	v_mov_b32_e32 v45, 0
	v_mov_b32_e32 v46, 0
	s_and_saveexec_b64 s[20:21], s[2:3]
	s_cbranch_execz .LBB259_622
; %bb.617:                              ;   in Loop: Header=BB259_403 Depth=1
	v_cmp_ne_u16_sdwa s[2:3], v1, s39 src0_sel:BYTE_0 src1_sel:DWORD
	v_mov_b32_e32 v46, 0x8000
	s_and_saveexec_b64 s[22:23], s[2:3]
	s_cbranch_execz .LBB259_621
; %bb.618:                              ;   in Loop: Header=BB259_403 Depth=1
	v_bfe_u32 v12, v9, 16, 7
	v_cmp_ne_u32_e64 s[2:3], s40, v12
	v_mov_b32_e32 v46, 0x7c01
	s_and_saveexec_b64 s[28:29], s[2:3]
	s_cbranch_execz .LBB259_620
; %bb.619:                              ;   in Loop: Header=BB259_403 Depth=1
	v_and_b32_e32 v26, 7, v1
	v_ffbh_u32_e32 v48, v26
	v_min_u32_e32 v50, 32, v48
	v_subrev_u32_e32 v48, 28, v50
	v_lshlrev_b64 v[48:49], v48, v[1:2]
	v_lshrrev_b32_e32 v46, 3, v12
	v_sub_u32_e32 v49, 29, v50
	v_cmp_gt_u32_e64 s[2:3], 8, v12
	v_cndmask_b32_e64 v12, v46, v49, s[2:3]
	v_lshl_add_u32 v12, v12, 10, v30
	v_lshlrev_b32_e32 v1, 8, v1
	v_and_b32_e32 v46, 7, v48
	v_and_b32_e32 v12, 0xfc00, v12
	v_cndmask_b32_e64 v26, v26, v46, s[2:3]
	v_and_or_b32 v1, v1, s41, v12
	v_lshl_or_b32 v46, v26, 7, v1
.LBB259_620:                            ;   in Loop: Header=BB259_403 Depth=1
	s_or_b64 exec, exec, s[28:29]
.LBB259_621:                            ;   in Loop: Header=BB259_403 Depth=1
	s_or_b64 exec, exec, s[22:23]
.LBB259_622:                            ;   in Loop: Header=BB259_403 Depth=1
	s_or_b64 exec, exec, s[20:21]
	v_cmp_lt_u32_e64 s[2:3], s13, v9
	s_and_saveexec_b64 s[20:21], s[2:3]
	s_cbranch_execz .LBB259_628
; %bb.623:                              ;   in Loop: Header=BB259_403 Depth=1
	v_lshrrev_b32_e32 v1, 24, v9
	v_cmp_ne_u32_e64 s[2:3], s39, v1
	v_bfrev_b32_e32 v45, 1
	s_and_saveexec_b64 s[22:23], s[2:3]
	s_cbranch_execz .LBB259_627
; %bb.624:                              ;   in Loop: Header=BB259_403 Depth=1
	v_and_b32_e32 v12, 0x7f, v1
	v_cmp_ne_u32_e64 s[2:3], s40, v12
	v_mov_b32_e32 v45, 0x7c010000
	s_and_saveexec_b64 s[28:29], s[2:3]
	s_cbranch_execz .LBB259_626
; %bb.625:                              ;   in Loop: Header=BB259_403 Depth=1
	v_and_b32_e32 v26, 7, v1
	v_ffbh_u32_e32 v48, v26
	v_min_u32_e32 v50, 32, v48
	v_subrev_u32_e32 v48, 28, v50
	v_lshlrev_b64 v[48:49], v48, v[1:2]
	v_lshrrev_b32_e32 v45, 3, v12
	v_sub_u32_e32 v49, 29, v50
	v_cmp_gt_u32_e64 s[2:3], 8, v12
	v_cndmask_b32_e64 v12, v45, v49, s[2:3]
	v_lshlrev_b32_e32 v1, 8, v1
	v_lshl_add_u32 v12, v12, 10, v30
	v_and_b32_e32 v45, 7, v48
	v_and_or_b32 v1, v1, s41, v12
	v_cndmask_b32_e64 v26, v26, v45, s[2:3]
	v_lshlrev_b32_e32 v1, 16, v1
	v_lshl_or_b32 v45, v26, 23, v1
.LBB259_626:                            ;   in Loop: Header=BB259_403 Depth=1
	s_or_b64 exec, exec, s[28:29]
.LBB259_627:                            ;   in Loop: Header=BB259_403 Depth=1
	s_or_b64 exec, exec, s[22:23]
.LBB259_628:                            ;   in Loop: Header=BB259_403 Depth=1
	s_or_b64 exec, exec, s[20:21]
	v_mov_b32_e32 v1, v10
	v_cmp_ne_u16_sdwa s[2:3], v10, v2 src0_sel:BYTE_0 src1_sel:DWORD
	v_mov_b32_e32 v26, 0
	v_mov_b32_e32 v48, 0
	s_and_saveexec_b64 s[20:21], s[2:3]
	s_cbranch_execz .LBB259_634
; %bb.629:                              ;   in Loop: Header=BB259_403 Depth=1
	v_cmp_ne_u16_sdwa s[2:3], v10, s39 src0_sel:BYTE_0 src1_sel:DWORD
	v_mov_b32_e32 v48, 0x8000
	s_and_saveexec_b64 s[22:23], s[2:3]
	s_cbranch_execz .LBB259_633
; %bb.630:                              ;   in Loop: Header=BB259_403 Depth=1
	v_and_b32_e32 v12, 0x7f, v10
	v_cmp_ne_u32_e64 s[2:3], s40, v12
	v_mov_b32_e32 v48, 0x7c01
	s_and_saveexec_b64 s[28:29], s[2:3]
	s_cbranch_execz .LBB259_632
; %bb.631:                              ;   in Loop: Header=BB259_403 Depth=1
	v_and_b32_e32 v50, 7, v10
	v_ffbh_u32_e32 v48, v50
	v_min_u32_e32 v52, 32, v48
	v_subrev_u32_e32 v48, 28, v52
	v_lshlrev_b64 v[48:49], v48, v[1:2]
	v_lshrrev_b32_e32 v51, 3, v12
	v_sub_u32_e32 v49, 29, v52
	v_cmp_gt_u32_e64 s[2:3], 8, v12
	v_cndmask_b32_e64 v12, v51, v49, s[2:3]
	v_lshl_add_u32 v12, v12, 10, v30
	v_lshlrev_b32_e32 v49, 8, v10
	v_and_b32_e32 v48, 7, v48
	v_and_b32_e32 v12, 0xfc00, v12
	v_cndmask_b32_e64 v48, v50, v48, s[2:3]
	v_and_or_b32 v12, v49, s41, v12
	v_lshl_or_b32 v48, v48, 7, v12
.LBB259_632:                            ;   in Loop: Header=BB259_403 Depth=1
	s_or_b64 exec, exec, s[28:29]
.LBB259_633:                            ;   in Loop: Header=BB259_403 Depth=1
	s_or_b64 exec, exec, s[22:23]
.LBB259_634:                            ;   in Loop: Header=BB259_403 Depth=1
	s_or_b64 exec, exec, s[20:21]
	v_lshrrev_b16_e32 v1, 8, v1
	v_cmp_ne_u16_e64 s[2:3], 0, v1
	v_mov_b32_e32 v49, 0
	s_and_saveexec_b64 s[20:21], s[2:3]
	s_cbranch_execz .LBB259_640
; %bb.635:                              ;   in Loop: Header=BB259_403 Depth=1
	v_cmp_ne_u16_e64 s[2:3], s39, v1
	v_bfrev_b32_e32 v49, 1
	s_and_saveexec_b64 s[22:23], s[2:3]
	s_cbranch_execz .LBB259_639
; %bb.636:                              ;   in Loop: Header=BB259_403 Depth=1
	v_and_b32_e32 v12, 0x7f, v1
	v_cmp_ne_u32_e64 s[2:3], s40, v12
	v_mov_b32_e32 v49, 0x7c010000
	s_and_saveexec_b64 s[28:29], s[2:3]
	s_cbranch_execz .LBB259_638
; %bb.637:                              ;   in Loop: Header=BB259_403 Depth=1
	v_and_b32_e32 v51, 7, v1
	v_ffbh_u32_e32 v49, v51
	v_min_u32_e32 v53, 32, v49
	v_subrev_u32_e32 v49, 28, v53
	v_lshlrev_b64 v[49:50], v49, v[1:2]
	v_lshrrev_b32_e32 v52, 3, v12
	v_sub_u32_e32 v50, 29, v53
	v_cmp_gt_u32_e64 s[2:3], 8, v12
	v_cndmask_b32_e64 v12, v52, v50, s[2:3]
	v_lshlrev_b32_e32 v1, 8, v1
	v_lshl_add_u32 v12, v12, 10, v30
	v_and_b32_e32 v49, 7, v49
	v_and_or_b32 v1, v1, s41, v12
	v_cndmask_b32_e64 v49, v51, v49, s[2:3]
	v_lshlrev_b32_e32 v1, 16, v1
	v_lshl_or_b32 v49, v49, 23, v1
.LBB259_638:                            ;   in Loop: Header=BB259_403 Depth=1
	s_or_b64 exec, exec, s[28:29]
.LBB259_639:                            ;   in Loop: Header=BB259_403 Depth=1
	s_or_b64 exec, exec, s[22:23]
.LBB259_640:                            ;   in Loop: Header=BB259_403 Depth=1
	s_or_b64 exec, exec, s[20:21]
	v_lshrrev_b32_e32 v1, 16, v10
	v_cmp_ne_u16_sdwa s[2:3], v1, v2 src0_sel:BYTE_0 src1_sel:DWORD
	s_and_saveexec_b64 s[20:21], s[2:3]
	s_cbranch_execz .LBB259_646
; %bb.641:                              ;   in Loop: Header=BB259_403 Depth=1
	v_cmp_ne_u16_sdwa s[2:3], v1, s39 src0_sel:BYTE_0 src1_sel:DWORD
	v_mov_b32_e32 v26, 0x8000
	s_and_saveexec_b64 s[22:23], s[2:3]
	s_cbranch_execz .LBB259_645
; %bb.642:                              ;   in Loop: Header=BB259_403 Depth=1
	v_bfe_u32 v12, v10, 16, 7
	v_cmp_ne_u32_e64 s[2:3], s40, v12
	v_mov_b32_e32 v26, 0x7c01
	s_and_saveexec_b64 s[28:29], s[2:3]
	s_cbranch_execz .LBB259_644
; %bb.643:                              ;   in Loop: Header=BB259_403 Depth=1
	v_and_b32_e32 v26, 7, v1
	v_ffbh_u32_e32 v50, v26
	v_min_u32_e32 v53, 32, v50
	v_subrev_u32_e32 v50, 28, v53
	v_lshlrev_b64 v[50:51], v50, v[1:2]
	v_lshrrev_b32_e32 v52, 3, v12
	v_sub_u32_e32 v51, 29, v53
	v_cmp_gt_u32_e64 s[2:3], 8, v12
	v_cndmask_b32_e64 v12, v52, v51, s[2:3]
	v_lshl_add_u32 v12, v12, 10, v30
	v_lshlrev_b32_e32 v1, 8, v1
	v_and_b32_e32 v50, 7, v50
	v_and_b32_e32 v12, 0xfc00, v12
	v_cndmask_b32_e64 v26, v26, v50, s[2:3]
	v_and_or_b32 v1, v1, s41, v12
	v_lshl_or_b32 v26, v26, 7, v1
.LBB259_644:                            ;   in Loop: Header=BB259_403 Depth=1
	s_or_b64 exec, exec, s[28:29]
.LBB259_645:                            ;   in Loop: Header=BB259_403 Depth=1
	s_or_b64 exec, exec, s[22:23]
.LBB259_646:                            ;   in Loop: Header=BB259_403 Depth=1
	s_or_b64 exec, exec, s[20:21]
	v_cmp_lt_u64_e64 s[2:3], s[12:13], v[9:10]
	v_mov_b32_e32 v12, 0
	s_and_saveexec_b64 s[20:21], s[2:3]
	s_cbranch_execz .LBB259_652
; %bb.647:                              ;   in Loop: Header=BB259_403 Depth=1
	v_lshrrev_b32_e32 v1, 24, v10
	v_cmp_ne_u32_e64 s[2:3], s39, v1
	v_bfrev_b32_e32 v12, 1
	s_and_saveexec_b64 s[22:23], s[2:3]
	s_cbranch_execz .LBB259_651
; %bb.648:                              ;   in Loop: Header=BB259_403 Depth=1
	v_and_b32_e32 v9, 0x7f, v1
	v_cmp_ne_u32_e64 s[2:3], s40, v9
	v_mov_b32_e32 v12, 0x7c010000
	s_and_saveexec_b64 s[28:29], s[2:3]
	s_cbranch_execz .LBB259_650
; %bb.649:                              ;   in Loop: Header=BB259_403 Depth=1
	v_and_b32_e32 v10, 7, v1
	v_ffbh_u32_e32 v50, v10
	v_min_u32_e32 v52, 32, v50
	v_subrev_u32_e32 v50, 28, v52
	v_lshlrev_b64 v[50:51], v50, v[1:2]
	v_lshrrev_b32_e32 v12, 3, v9
	v_sub_u32_e32 v51, 29, v52
	v_cmp_gt_u32_e64 s[2:3], 8, v9
	v_cndmask_b32_e64 v9, v12, v51, s[2:3]
	v_lshlrev_b32_e32 v1, 8, v1
	v_lshl_add_u32 v9, v9, 10, v30
	v_and_b32_e32 v12, 7, v50
	v_and_or_b32 v1, v1, s41, v9
	v_cndmask_b32_e64 v10, v10, v12, s[2:3]
	v_lshlrev_b32_e32 v1, 16, v1
	v_lshl_or_b32 v12, v10, 23, v1
.LBB259_650:                            ;   in Loop: Header=BB259_403 Depth=1
	s_or_b64 exec, exec, s[28:29]
.LBB259_651:                            ;   in Loop: Header=BB259_403 Depth=1
	s_or_b64 exec, exec, s[22:23]
.LBB259_652:                            ;   in Loop: Header=BB259_403 Depth=1
	s_or_b64 exec, exec, s[20:21]
	s_waitcnt vmcnt(0)
	v_fma_mixlo_f16 v9, v0, v45, 0 op_sel:[0,1,0] op_sel_hi:[0,1,0]
	v_lshlrev_b32_e32 v10, 16, v9
	v_or_b32_e32 v9, v11, v44
	v_fma_mixlo_f16 v11, v0, v11, 0 op_sel:[0,1,0] op_sel_hi:[0,1,0]
	v_or_b32_e32 v1, v45, v46
	v_lshlrev_b32_e32 v50, 16, v11
	v_or_b32_e32 v11, v49, v48
	v_or_b32_e32 v26, v12, v26
	v_fma_mixlo_f16 v1, v0, v1, 0 op_sel_hi:[0,1,0]
	v_fma_mixlo_f16 v9, v0, v9, 0 op_sel_hi:[0,1,0]
	v_fma_mixlo_f16 v44, v0, v49, 0 op_sel:[0,1,0] op_sel_hi:[0,1,0]
	v_fma_mixlo_f16 v11, v0, v11, 0 op_sel_hi:[0,1,0]
	v_fma_mixlo_f16 v26, v0, v26, 0 op_sel_hi:[0,1,0]
	v_fma_mixlo_f16 v0, v0, v12, 0 op_sel:[0,1,0] op_sel_hi:[0,1,0]
	v_and_b32_e32 v45, 0xffff, v1
	v_and_b32_e32 v51, 0xffff, v9
	v_lshlrev_b32_e32 v44, 16, v44
	v_and_b32_e32 v46, 0xffff, v11
	v_lshlrev_b32_e32 v0, 16, v0
	v_and_b32_e32 v12, 0xffff, v26
	v_or_b32_e32 v1, v10, v45
	v_or_b32_e32 v9, v50, v51
	;; [unrolled: 1-line block ×4, first 2 shown]
	s_and_saveexec_b64 s[20:21], s[0:1]
	s_cbranch_execz .LBB259_654
; %bb.653:                              ;   in Loop: Header=BB259_403 Depth=1
	v_cmp_gt_i32_e64 s[2:3], s33, v31
	v_add_u32_e32 v9, 1, v31
	v_cndmask_b32_e64 v1, 0, v51, s[2:3]
	v_cmp_gt_i32_e64 s[2:3], s33, v9
	v_cndmask_b32_e64 v9, 0, v50, s[2:3]
	v_or_b32_e32 v9, v9, v1
	v_add_u32_e32 v1, 2, v31
	v_cmp_gt_i32_e64 s[2:3], s33, v1
	v_add_u32_e32 v11, 3, v31
	v_cndmask_b32_e64 v1, 0, v45, s[2:3]
	v_cmp_gt_i32_e64 s[2:3], s33, v11
	v_cndmask_b32_e64 v10, 0, v10, s[2:3]
	v_or_b32_e32 v1, v10, v1
	v_add_u32_e32 v10, 4, v31
	;; [unrolled: 7-line block ×3, first 2 shown]
	v_cmp_gt_i32_e64 s[2:3], s33, v10
	v_cndmask_b32_e64 v10, 0, v12, s[2:3]
	v_add_u32_e32 v12, 7, v31
	v_cmp_gt_i32_e64 s[2:3], s33, v12
	v_cndmask_b32_e64 v0, 0, v0, s[2:3]
	v_or_b32_e32 v26, v0, v10
.LBB259_654:                            ;   in Loop: Header=BB259_403 Depth=1
	s_or_b64 exec, exec, s[20:21]
	;;#ASMSTART
	v_pk_mul_f16 v0, v37, v9;

	;;#ASMEND
	;;#ASMSTART
	v_pk_mul_f16 v1, v36, v1;

	;;#ASMEND
	;; [unrolled: 4-line block ×4, first 2 shown]
	;;#ASMSTART
	v_pk_add_f16 v0, v0, v1;

	;;#ASMEND
	;;#ASMSTART
	v_pk_add_f16 v0, v0, v9;

	;;#ASMEND
	;;#ASMSTART
	v_pk_add_f16 v0, v0, v10;

	;;#ASMEND
	v_lshrrev_b32_e32 v1, 16, v0
	v_and_b32_e32 v0, 0xffff, v0
	;;#ASMSTART
	v_cvt_f32_f16 v44, v0;
	;;#ASMEND
	;;#ASMSTART
	v_cvt_f32_f16 v45, v1;
	;;#ASMEND
	global_load_dwordx2 v[9:10], v[7:8], off offset:2560
	v_mov_b32_e32 v11, 0
	global_load_dword v0, v11, s[14:15]
	v_mov_b32_e32 v46, 0
	s_waitcnt vmcnt(1)
	v_cmp_ne_u16_sdwa s[2:3], v9, v2 src0_sel:BYTE_0 src1_sel:DWORD
	s_and_saveexec_b64 s[20:21], s[2:3]
	s_cbranch_execz .LBB259_660
; %bb.655:                              ;   in Loop: Header=BB259_403 Depth=1
	v_cmp_ne_u16_sdwa s[2:3], v9, s39 src0_sel:BYTE_0 src1_sel:DWORD
	v_mov_b32_e32 v46, 0x8000
	s_and_saveexec_b64 s[22:23], s[2:3]
	s_cbranch_execz .LBB259_659
; %bb.656:                              ;   in Loop: Header=BB259_403 Depth=1
	v_and_b32_e32 v1, 0x7f, v9
	v_cmp_ne_u32_e64 s[2:3], s40, v1
	v_mov_b32_e32 v46, 0x7c01
	s_and_saveexec_b64 s[28:29], s[2:3]
	s_cbranch_execz .LBB259_658
; %bb.657:                              ;   in Loop: Header=BB259_403 Depth=1
	v_and_b32_e32 v12, 7, v9
	v_ffbh_u32_e32 v46, v12
	v_min_u32_e32 v46, 32, v46
	v_lshrrev_b32_e32 v26, 3, v1
	v_subrev_u32_e32 v48, 28, v46
	v_sub_u32_e32 v46, 29, v46
	v_cmp_gt_u32_e64 s[2:3], 8, v1
	v_lshlrev_b64 v[48:49], v48, v[9:10]
	v_cndmask_b32_e64 v1, v26, v46, s[2:3]
	v_lshl_add_u32 v1, v1, 10, v30
	v_lshlrev_b32_e32 v26, 8, v9
	v_and_b32_e32 v46, 7, v48
	v_and_b32_e32 v1, 0xfc00, v1
	v_cndmask_b32_e64 v12, v12, v46, s[2:3]
	v_and_or_b32 v1, v26, s41, v1
	v_lshl_or_b32 v46, v12, 7, v1
.LBB259_658:                            ;   in Loop: Header=BB259_403 Depth=1
	s_or_b64 exec, exec, s[28:29]
.LBB259_659:                            ;   in Loop: Header=BB259_403 Depth=1
	s_or_b64 exec, exec, s[22:23]
.LBB259_660:                            ;   in Loop: Header=BB259_403 Depth=1
	s_or_b64 exec, exec, s[20:21]
	v_lshrrev_b16_e32 v1, 8, v9
	v_cmp_ne_u16_e64 s[2:3], 0, v1
	s_and_saveexec_b64 s[20:21], s[2:3]
	s_cbranch_execz .LBB259_666
; %bb.661:                              ;   in Loop: Header=BB259_403 Depth=1
	v_cmp_ne_u16_e64 s[2:3], s39, v1
	v_bfrev_b32_e32 v11, 1
	s_and_saveexec_b64 s[22:23], s[2:3]
	s_cbranch_execz .LBB259_665
; %bb.662:                              ;   in Loop: Header=BB259_403 Depth=1
	v_and_b32_e32 v12, 0x7f, v1
	v_cmp_ne_u32_e64 s[2:3], s40, v12
	v_mov_b32_e32 v11, 0x7c010000
	s_and_saveexec_b64 s[28:29], s[2:3]
	s_cbranch_execz .LBB259_664
; %bb.663:                              ;   in Loop: Header=BB259_403 Depth=1
	v_and_b32_e32 v11, 7, v1
	v_ffbh_u32_e32 v48, v11
	v_min_u32_e32 v50, 32, v48
	v_subrev_u32_e32 v48, 28, v50
	v_lshlrev_b64 v[48:49], v48, v[1:2]
	v_lshrrev_b32_e32 v26, 3, v12
	v_sub_u32_e32 v49, 29, v50
	v_cmp_gt_u32_e64 s[2:3], 8, v12
	v_cndmask_b32_e64 v12, v26, v49, s[2:3]
	v_lshlrev_b32_e32 v1, 8, v1
	v_lshl_add_u32 v12, v12, 10, v30
	v_and_b32_e32 v26, 7, v48
	v_and_or_b32 v1, v1, s41, v12
	v_cndmask_b32_e64 v11, v11, v26, s[2:3]
	v_lshlrev_b32_e32 v1, 16, v1
	v_lshl_or_b32 v11, v11, 23, v1
.LBB259_664:                            ;   in Loop: Header=BB259_403 Depth=1
	s_or_b64 exec, exec, s[28:29]
.LBB259_665:                            ;   in Loop: Header=BB259_403 Depth=1
	s_or_b64 exec, exec, s[22:23]
.LBB259_666:                            ;   in Loop: Header=BB259_403 Depth=1
	s_or_b64 exec, exec, s[20:21]
	v_lshrrev_b32_e32 v1, 16, v9
	v_cmp_ne_u16_sdwa s[2:3], v1, v2 src0_sel:BYTE_0 src1_sel:DWORD
	v_mov_b32_e32 v48, 0
	v_mov_b32_e32 v49, 0
	s_and_saveexec_b64 s[20:21], s[2:3]
	s_cbranch_execz .LBB259_672
; %bb.667:                              ;   in Loop: Header=BB259_403 Depth=1
	v_cmp_ne_u16_sdwa s[2:3], v1, s39 src0_sel:BYTE_0 src1_sel:DWORD
	v_mov_b32_e32 v49, 0x8000
	s_and_saveexec_b64 s[22:23], s[2:3]
	s_cbranch_execz .LBB259_671
; %bb.668:                              ;   in Loop: Header=BB259_403 Depth=1
	v_bfe_u32 v12, v9, 16, 7
	v_cmp_ne_u32_e64 s[2:3], s40, v12
	v_mov_b32_e32 v49, 0x7c01
	s_and_saveexec_b64 s[28:29], s[2:3]
	s_cbranch_execz .LBB259_670
; %bb.669:                              ;   in Loop: Header=BB259_403 Depth=1
	v_and_b32_e32 v26, 7, v1
	v_ffbh_u32_e32 v49, v26
	v_min_u32_e32 v52, 32, v49
	v_subrev_u32_e32 v49, 28, v52
	v_lshlrev_b64 v[49:50], v49, v[1:2]
	v_lshrrev_b32_e32 v51, 3, v12
	v_sub_u32_e32 v50, 29, v52
	v_cmp_gt_u32_e64 s[2:3], 8, v12
	v_cndmask_b32_e64 v12, v51, v50, s[2:3]
	v_lshl_add_u32 v12, v12, 10, v30
	v_lshlrev_b32_e32 v1, 8, v1
	v_and_b32_e32 v49, 7, v49
	v_and_b32_e32 v12, 0xfc00, v12
	v_cndmask_b32_e64 v26, v26, v49, s[2:3]
	v_and_or_b32 v1, v1, s41, v12
	v_lshl_or_b32 v49, v26, 7, v1
.LBB259_670:                            ;   in Loop: Header=BB259_403 Depth=1
	s_or_b64 exec, exec, s[28:29]
.LBB259_671:                            ;   in Loop: Header=BB259_403 Depth=1
	s_or_b64 exec, exec, s[22:23]
.LBB259_672:                            ;   in Loop: Header=BB259_403 Depth=1
	s_or_b64 exec, exec, s[20:21]
	v_cmp_lt_u32_e64 s[2:3], s13, v9
	s_and_saveexec_b64 s[20:21], s[2:3]
	s_cbranch_execz .LBB259_678
; %bb.673:                              ;   in Loop: Header=BB259_403 Depth=1
	v_lshrrev_b32_e32 v1, 24, v9
	v_cmp_ne_u32_e64 s[2:3], s39, v1
	v_bfrev_b32_e32 v48, 1
	s_and_saveexec_b64 s[22:23], s[2:3]
	s_cbranch_execz .LBB259_677
; %bb.674:                              ;   in Loop: Header=BB259_403 Depth=1
	v_and_b32_e32 v12, 0x7f, v1
	v_cmp_ne_u32_e64 s[2:3], s40, v12
	v_mov_b32_e32 v48, 0x7c010000
	s_and_saveexec_b64 s[28:29], s[2:3]
	s_cbranch_execz .LBB259_676
; %bb.675:                              ;   in Loop: Header=BB259_403 Depth=1
	v_and_b32_e32 v26, 7, v1
	v_ffbh_u32_e32 v50, v26
	v_min_u32_e32 v52, 32, v50
	v_subrev_u32_e32 v50, 28, v52
	v_lshlrev_b64 v[50:51], v50, v[1:2]
	v_lshrrev_b32_e32 v48, 3, v12
	v_sub_u32_e32 v51, 29, v52
	v_cmp_gt_u32_e64 s[2:3], 8, v12
	v_cndmask_b32_e64 v12, v48, v51, s[2:3]
	v_lshlrev_b32_e32 v1, 8, v1
	v_lshl_add_u32 v12, v12, 10, v30
	v_and_b32_e32 v48, 7, v50
	v_and_or_b32 v1, v1, s41, v12
	v_cndmask_b32_e64 v26, v26, v48, s[2:3]
	v_lshlrev_b32_e32 v1, 16, v1
	v_lshl_or_b32 v48, v26, 23, v1
.LBB259_676:                            ;   in Loop: Header=BB259_403 Depth=1
	s_or_b64 exec, exec, s[28:29]
.LBB259_677:                            ;   in Loop: Header=BB259_403 Depth=1
	s_or_b64 exec, exec, s[22:23]
.LBB259_678:                            ;   in Loop: Header=BB259_403 Depth=1
	s_or_b64 exec, exec, s[20:21]
	v_mov_b32_e32 v1, v10
	v_cmp_ne_u16_sdwa s[2:3], v10, v2 src0_sel:BYTE_0 src1_sel:DWORD
	v_mov_b32_e32 v26, 0
	v_mov_b32_e32 v50, 0
	s_and_saveexec_b64 s[20:21], s[2:3]
	s_cbranch_execz .LBB259_684
; %bb.679:                              ;   in Loop: Header=BB259_403 Depth=1
	v_cmp_ne_u16_sdwa s[2:3], v10, s39 src0_sel:BYTE_0 src1_sel:DWORD
	v_mov_b32_e32 v50, 0x8000
	s_and_saveexec_b64 s[22:23], s[2:3]
	s_cbranch_execz .LBB259_683
; %bb.680:                              ;   in Loop: Header=BB259_403 Depth=1
	v_and_b32_e32 v12, 0x7f, v10
	v_cmp_ne_u32_e64 s[2:3], s40, v12
	v_mov_b32_e32 v50, 0x7c01
	s_and_saveexec_b64 s[28:29], s[2:3]
	s_cbranch_execz .LBB259_682
; %bb.681:                              ;   in Loop: Header=BB259_403 Depth=1
	v_and_b32_e32 v52, 7, v10
	v_ffbh_u32_e32 v50, v52
	v_min_u32_e32 v54, 32, v50
	v_subrev_u32_e32 v50, 28, v54
	v_lshlrev_b64 v[50:51], v50, v[1:2]
	v_lshrrev_b32_e32 v53, 3, v12
	v_sub_u32_e32 v51, 29, v54
	v_cmp_gt_u32_e64 s[2:3], 8, v12
	v_cndmask_b32_e64 v12, v53, v51, s[2:3]
	v_lshl_add_u32 v12, v12, 10, v30
	v_lshlrev_b32_e32 v51, 8, v10
	v_and_b32_e32 v50, 7, v50
	v_and_b32_e32 v12, 0xfc00, v12
	v_cndmask_b32_e64 v50, v52, v50, s[2:3]
	v_and_or_b32 v12, v51, s41, v12
	v_lshl_or_b32 v50, v50, 7, v12
.LBB259_682:                            ;   in Loop: Header=BB259_403 Depth=1
	s_or_b64 exec, exec, s[28:29]
.LBB259_683:                            ;   in Loop: Header=BB259_403 Depth=1
	s_or_b64 exec, exec, s[22:23]
.LBB259_684:                            ;   in Loop: Header=BB259_403 Depth=1
	s_or_b64 exec, exec, s[20:21]
	v_lshrrev_b16_e32 v1, 8, v1
	v_cmp_ne_u16_e64 s[2:3], 0, v1
	v_mov_b32_e32 v51, 0
	s_and_saveexec_b64 s[20:21], s[2:3]
	s_cbranch_execz .LBB259_690
; %bb.685:                              ;   in Loop: Header=BB259_403 Depth=1
	v_cmp_ne_u16_e64 s[2:3], s39, v1
	v_bfrev_b32_e32 v51, 1
	s_and_saveexec_b64 s[22:23], s[2:3]
	s_cbranch_execz .LBB259_689
; %bb.686:                              ;   in Loop: Header=BB259_403 Depth=1
	v_and_b32_e32 v12, 0x7f, v1
	v_cmp_ne_u32_e64 s[2:3], s40, v12
	v_mov_b32_e32 v51, 0x7c010000
	s_and_saveexec_b64 s[28:29], s[2:3]
	s_cbranch_execz .LBB259_688
; %bb.687:                              ;   in Loop: Header=BB259_403 Depth=1
	v_and_b32_e32 v53, 7, v1
	v_ffbh_u32_e32 v51, v53
	v_min_u32_e32 v55, 32, v51
	v_subrev_u32_e32 v51, 28, v55
	v_lshlrev_b64 v[51:52], v51, v[1:2]
	v_lshrrev_b32_e32 v54, 3, v12
	v_sub_u32_e32 v52, 29, v55
	v_cmp_gt_u32_e64 s[2:3], 8, v12
	v_cndmask_b32_e64 v12, v54, v52, s[2:3]
	v_lshlrev_b32_e32 v1, 8, v1
	v_lshl_add_u32 v12, v12, 10, v30
	v_and_b32_e32 v51, 7, v51
	v_and_or_b32 v1, v1, s41, v12
	v_cndmask_b32_e64 v51, v53, v51, s[2:3]
	v_lshlrev_b32_e32 v1, 16, v1
	v_lshl_or_b32 v51, v51, 23, v1
.LBB259_688:                            ;   in Loop: Header=BB259_403 Depth=1
	s_or_b64 exec, exec, s[28:29]
.LBB259_689:                            ;   in Loop: Header=BB259_403 Depth=1
	s_or_b64 exec, exec, s[22:23]
.LBB259_690:                            ;   in Loop: Header=BB259_403 Depth=1
	s_or_b64 exec, exec, s[20:21]
	v_lshrrev_b32_e32 v1, 16, v10
	v_cmp_ne_u16_sdwa s[2:3], v1, v2 src0_sel:BYTE_0 src1_sel:DWORD
	s_and_saveexec_b64 s[20:21], s[2:3]
	s_cbranch_execz .LBB259_696
; %bb.691:                              ;   in Loop: Header=BB259_403 Depth=1
	v_cmp_ne_u16_sdwa s[2:3], v1, s39 src0_sel:BYTE_0 src1_sel:DWORD
	v_mov_b32_e32 v26, 0x8000
	s_and_saveexec_b64 s[22:23], s[2:3]
	s_cbranch_execz .LBB259_695
; %bb.692:                              ;   in Loop: Header=BB259_403 Depth=1
	v_bfe_u32 v12, v10, 16, 7
	v_cmp_ne_u32_e64 s[2:3], s40, v12
	v_mov_b32_e32 v26, 0x7c01
	s_and_saveexec_b64 s[28:29], s[2:3]
	s_cbranch_execz .LBB259_694
; %bb.693:                              ;   in Loop: Header=BB259_403 Depth=1
	v_and_b32_e32 v26, 7, v1
	v_ffbh_u32_e32 v52, v26
	v_min_u32_e32 v55, 32, v52
	v_subrev_u32_e32 v52, 28, v55
	v_lshlrev_b64 v[52:53], v52, v[1:2]
	v_lshrrev_b32_e32 v54, 3, v12
	v_sub_u32_e32 v53, 29, v55
	v_cmp_gt_u32_e64 s[2:3], 8, v12
	v_cndmask_b32_e64 v12, v54, v53, s[2:3]
	v_lshl_add_u32 v12, v12, 10, v30
	v_lshlrev_b32_e32 v1, 8, v1
	v_and_b32_e32 v52, 7, v52
	v_and_b32_e32 v12, 0xfc00, v12
	v_cndmask_b32_e64 v26, v26, v52, s[2:3]
	v_and_or_b32 v1, v1, s41, v12
	v_lshl_or_b32 v26, v26, 7, v1
.LBB259_694:                            ;   in Loop: Header=BB259_403 Depth=1
	s_or_b64 exec, exec, s[28:29]
.LBB259_695:                            ;   in Loop: Header=BB259_403 Depth=1
	s_or_b64 exec, exec, s[22:23]
.LBB259_696:                            ;   in Loop: Header=BB259_403 Depth=1
	s_or_b64 exec, exec, s[20:21]
	v_cmp_lt_u64_e64 s[2:3], s[12:13], v[9:10]
	v_mov_b32_e32 v12, 0
	s_and_saveexec_b64 s[20:21], s[2:3]
	s_cbranch_execz .LBB259_702
; %bb.697:                              ;   in Loop: Header=BB259_403 Depth=1
	v_lshrrev_b32_e32 v1, 24, v10
	v_cmp_ne_u32_e64 s[2:3], s39, v1
	v_bfrev_b32_e32 v12, 1
	s_and_saveexec_b64 s[22:23], s[2:3]
	s_cbranch_execz .LBB259_701
; %bb.698:                              ;   in Loop: Header=BB259_403 Depth=1
	v_and_b32_e32 v9, 0x7f, v1
	v_cmp_ne_u32_e64 s[2:3], s40, v9
	v_mov_b32_e32 v12, 0x7c010000
	s_and_saveexec_b64 s[28:29], s[2:3]
	s_cbranch_execz .LBB259_700
; %bb.699:                              ;   in Loop: Header=BB259_403 Depth=1
	v_and_b32_e32 v10, 7, v1
	v_ffbh_u32_e32 v52, v10
	v_min_u32_e32 v54, 32, v52
	v_subrev_u32_e32 v52, 28, v54
	v_lshlrev_b64 v[52:53], v52, v[1:2]
	v_lshrrev_b32_e32 v12, 3, v9
	v_sub_u32_e32 v53, 29, v54
	v_cmp_gt_u32_e64 s[2:3], 8, v9
	v_cndmask_b32_e64 v9, v12, v53, s[2:3]
	v_lshlrev_b32_e32 v1, 8, v1
	v_lshl_add_u32 v9, v9, 10, v30
	v_and_b32_e32 v12, 7, v52
	v_and_or_b32 v1, v1, s41, v9
	v_cndmask_b32_e64 v10, v10, v12, s[2:3]
	v_lshlrev_b32_e32 v1, 16, v1
	v_lshl_or_b32 v12, v10, 23, v1
.LBB259_700:                            ;   in Loop: Header=BB259_403 Depth=1
	s_or_b64 exec, exec, s[28:29]
.LBB259_701:                            ;   in Loop: Header=BB259_403 Depth=1
	s_or_b64 exec, exec, s[22:23]
.LBB259_702:                            ;   in Loop: Header=BB259_403 Depth=1
	s_or_b64 exec, exec, s[20:21]
	s_waitcnt vmcnt(0)
	v_fma_mixlo_f16 v9, v0, v48, 0 op_sel:[0,1,0] op_sel_hi:[0,1,0]
	v_lshlrev_b32_e32 v10, 16, v9
	v_or_b32_e32 v9, v11, v46
	v_fma_mixlo_f16 v11, v0, v11, 0 op_sel:[0,1,0] op_sel_hi:[0,1,0]
	v_or_b32_e32 v1, v48, v49
	v_lshlrev_b32_e32 v52, 16, v11
	v_or_b32_e32 v11, v51, v50
	v_or_b32_e32 v26, v12, v26
	v_fma_mixlo_f16 v1, v0, v1, 0 op_sel_hi:[0,1,0]
	v_fma_mixlo_f16 v9, v0, v9, 0 op_sel_hi:[0,1,0]
	v_fma_mixlo_f16 v46, v0, v51, 0 op_sel:[0,1,0] op_sel_hi:[0,1,0]
	v_fma_mixlo_f16 v11, v0, v11, 0 op_sel_hi:[0,1,0]
	v_fma_mixlo_f16 v26, v0, v26, 0 op_sel_hi:[0,1,0]
	v_fma_mixlo_f16 v0, v0, v12, 0 op_sel:[0,1,0] op_sel_hi:[0,1,0]
	v_and_b32_e32 v48, 0xffff, v1
	v_and_b32_e32 v53, 0xffff, v9
	v_lshlrev_b32_e32 v46, 16, v46
	v_and_b32_e32 v49, 0xffff, v11
	v_lshlrev_b32_e32 v0, 16, v0
	v_and_b32_e32 v12, 0xffff, v26
	v_or_b32_e32 v1, v10, v48
	v_or_b32_e32 v9, v52, v53
	;; [unrolled: 1-line block ×4, first 2 shown]
	s_and_saveexec_b64 s[20:21], s[0:1]
	s_cbranch_execz .LBB259_704
; %bb.703:                              ;   in Loop: Header=BB259_403 Depth=1
	v_cmp_gt_i32_e64 s[2:3], s33, v31
	v_add_u32_e32 v9, 1, v31
	v_cndmask_b32_e64 v1, 0, v53, s[2:3]
	v_cmp_gt_i32_e64 s[2:3], s33, v9
	v_cndmask_b32_e64 v9, 0, v52, s[2:3]
	v_or_b32_e32 v9, v9, v1
	v_add_u32_e32 v1, 2, v31
	v_cmp_gt_i32_e64 s[2:3], s33, v1
	v_add_u32_e32 v11, 3, v31
	v_cndmask_b32_e64 v1, 0, v48, s[2:3]
	v_cmp_gt_i32_e64 s[2:3], s33, v11
	v_cndmask_b32_e64 v10, 0, v10, s[2:3]
	v_or_b32_e32 v1, v10, v1
	v_add_u32_e32 v10, 4, v31
	;; [unrolled: 7-line block ×3, first 2 shown]
	v_cmp_gt_i32_e64 s[2:3], s33, v10
	v_cndmask_b32_e64 v10, 0, v12, s[2:3]
	v_add_u32_e32 v12, 7, v31
	v_cmp_gt_i32_e64 s[2:3], s33, v12
	v_cndmask_b32_e64 v0, 0, v0, s[2:3]
	v_or_b32_e32 v26, v0, v10
.LBB259_704:                            ;   in Loop: Header=BB259_403 Depth=1
	s_or_b64 exec, exec, s[20:21]
	;;#ASMSTART
	v_pk_mul_f16 v0, v37, v9;

	;;#ASMEND
	;;#ASMSTART
	v_pk_mul_f16 v1, v36, v1;

	;;#ASMEND
	;; [unrolled: 4-line block ×4, first 2 shown]
	;;#ASMSTART
	v_pk_add_f16 v0, v0, v1;

	;;#ASMEND
	;;#ASMSTART
	v_pk_add_f16 v0, v0, v9;

	;;#ASMEND
	;; [unrolled: 4-line block ×3, first 2 shown]
	v_lshrrev_b32_e32 v1, 16, v0
	v_and_b32_e32 v0, 0xffff, v0
	;;#ASMSTART
	v_cvt_f32_f16 v0, v0;
	;;#ASMEND
	;;#ASMSTART
	v_cvt_f32_f16 v9, v1;
	;;#ASMEND
	global_load_dwordx2 v[7:8], v[7:8], off offset:3072
	v_mov_b32_e32 v11, 0
	global_load_dword v10, v11, s[14:15]
	v_mov_b32_e32 v46, 0
	s_waitcnt vmcnt(1)
	v_cmp_ne_u16_sdwa s[2:3], v7, v2 src0_sel:BYTE_0 src1_sel:DWORD
	s_and_saveexec_b64 s[20:21], s[2:3]
	s_cbranch_execz .LBB259_710
; %bb.705:                              ;   in Loop: Header=BB259_403 Depth=1
	v_cmp_ne_u16_sdwa s[2:3], v7, s39 src0_sel:BYTE_0 src1_sel:DWORD
	v_mov_b32_e32 v46, 0x8000
	s_and_saveexec_b64 s[22:23], s[2:3]
	s_cbranch_execz .LBB259_709
; %bb.706:                              ;   in Loop: Header=BB259_403 Depth=1
	v_and_b32_e32 v1, 0x7f, v7
	v_cmp_ne_u32_e64 s[2:3], s40, v1
	v_mov_b32_e32 v46, 0x7c01
	s_and_saveexec_b64 s[28:29], s[2:3]
	s_cbranch_execz .LBB259_708
; %bb.707:                              ;   in Loop: Header=BB259_403 Depth=1
	v_and_b32_e32 v12, 7, v7
	v_ffbh_u32_e32 v46, v12
	v_min_u32_e32 v46, 32, v46
	v_lshrrev_b32_e32 v26, 3, v1
	v_subrev_u32_e32 v48, 28, v46
	v_sub_u32_e32 v46, 29, v46
	v_cmp_gt_u32_e64 s[2:3], 8, v1
	v_lshlrev_b64 v[48:49], v48, v[7:8]
	v_cndmask_b32_e64 v1, v26, v46, s[2:3]
	v_lshl_add_u32 v1, v1, 10, v30
	v_lshlrev_b32_e32 v26, 8, v7
	v_and_b32_e32 v46, 7, v48
	v_and_b32_e32 v1, 0xfc00, v1
	v_cndmask_b32_e64 v12, v12, v46, s[2:3]
	v_and_or_b32 v1, v26, s41, v1
	v_lshl_or_b32 v46, v12, 7, v1
.LBB259_708:                            ;   in Loop: Header=BB259_403 Depth=1
	s_or_b64 exec, exec, s[28:29]
.LBB259_709:                            ;   in Loop: Header=BB259_403 Depth=1
	s_or_b64 exec, exec, s[22:23]
.LBB259_710:                            ;   in Loop: Header=BB259_403 Depth=1
	s_or_b64 exec, exec, s[20:21]
	v_lshrrev_b16_e32 v1, 8, v7
	v_cmp_ne_u16_e64 s[2:3], 0, v1
	s_and_saveexec_b64 s[20:21], s[2:3]
	s_cbranch_execz .LBB259_716
; %bb.711:                              ;   in Loop: Header=BB259_403 Depth=1
	v_cmp_ne_u16_e64 s[2:3], s39, v1
	v_bfrev_b32_e32 v11, 1
	s_and_saveexec_b64 s[22:23], s[2:3]
	s_cbranch_execz .LBB259_715
; %bb.712:                              ;   in Loop: Header=BB259_403 Depth=1
	v_and_b32_e32 v12, 0x7f, v1
	v_cmp_ne_u32_e64 s[2:3], s40, v12
	v_mov_b32_e32 v11, 0x7c010000
	s_and_saveexec_b64 s[28:29], s[2:3]
	s_cbranch_execz .LBB259_714
; %bb.713:                              ;   in Loop: Header=BB259_403 Depth=1
	v_and_b32_e32 v11, 7, v1
	v_ffbh_u32_e32 v48, v11
	v_min_u32_e32 v50, 32, v48
	v_subrev_u32_e32 v48, 28, v50
	v_lshlrev_b64 v[48:49], v48, v[1:2]
	v_lshrrev_b32_e32 v26, 3, v12
	v_sub_u32_e32 v49, 29, v50
	v_cmp_gt_u32_e64 s[2:3], 8, v12
	v_cndmask_b32_e64 v12, v26, v49, s[2:3]
	v_lshlrev_b32_e32 v1, 8, v1
	v_lshl_add_u32 v12, v12, 10, v30
	v_and_b32_e32 v26, 7, v48
	v_and_or_b32 v1, v1, s41, v12
	v_cndmask_b32_e64 v11, v11, v26, s[2:3]
	v_lshlrev_b32_e32 v1, 16, v1
	v_lshl_or_b32 v11, v11, 23, v1
.LBB259_714:                            ;   in Loop: Header=BB259_403 Depth=1
	s_or_b64 exec, exec, s[28:29]
.LBB259_715:                            ;   in Loop: Header=BB259_403 Depth=1
	s_or_b64 exec, exec, s[22:23]
.LBB259_716:                            ;   in Loop: Header=BB259_403 Depth=1
	s_or_b64 exec, exec, s[20:21]
	v_lshrrev_b32_e32 v1, 16, v7
	v_cmp_ne_u16_sdwa s[2:3], v1, v2 src0_sel:BYTE_0 src1_sel:DWORD
	v_mov_b32_e32 v48, 0
	v_mov_b32_e32 v49, 0
	s_and_saveexec_b64 s[20:21], s[2:3]
	s_cbranch_execz .LBB259_722
; %bb.717:                              ;   in Loop: Header=BB259_403 Depth=1
	v_cmp_ne_u16_sdwa s[2:3], v1, s39 src0_sel:BYTE_0 src1_sel:DWORD
	v_mov_b32_e32 v49, 0x8000
	s_and_saveexec_b64 s[22:23], s[2:3]
	s_cbranch_execz .LBB259_721
; %bb.718:                              ;   in Loop: Header=BB259_403 Depth=1
	v_bfe_u32 v12, v7, 16, 7
	v_cmp_ne_u32_e64 s[2:3], s40, v12
	v_mov_b32_e32 v49, 0x7c01
	s_and_saveexec_b64 s[28:29], s[2:3]
	s_cbranch_execz .LBB259_720
; %bb.719:                              ;   in Loop: Header=BB259_403 Depth=1
	v_and_b32_e32 v26, 7, v1
	v_ffbh_u32_e32 v49, v26
	v_min_u32_e32 v52, 32, v49
	v_subrev_u32_e32 v49, 28, v52
	v_lshlrev_b64 v[49:50], v49, v[1:2]
	v_lshrrev_b32_e32 v51, 3, v12
	v_sub_u32_e32 v50, 29, v52
	v_cmp_gt_u32_e64 s[2:3], 8, v12
	v_cndmask_b32_e64 v12, v51, v50, s[2:3]
	v_lshl_add_u32 v12, v12, 10, v30
	v_lshlrev_b32_e32 v1, 8, v1
	v_and_b32_e32 v49, 7, v49
	v_and_b32_e32 v12, 0xfc00, v12
	v_cndmask_b32_e64 v26, v26, v49, s[2:3]
	v_and_or_b32 v1, v1, s41, v12
	v_lshl_or_b32 v49, v26, 7, v1
.LBB259_720:                            ;   in Loop: Header=BB259_403 Depth=1
	s_or_b64 exec, exec, s[28:29]
.LBB259_721:                            ;   in Loop: Header=BB259_403 Depth=1
	s_or_b64 exec, exec, s[22:23]
.LBB259_722:                            ;   in Loop: Header=BB259_403 Depth=1
	s_or_b64 exec, exec, s[20:21]
	v_cmp_lt_u32_e64 s[2:3], s13, v7
	s_and_saveexec_b64 s[20:21], s[2:3]
	s_cbranch_execz .LBB259_728
; %bb.723:                              ;   in Loop: Header=BB259_403 Depth=1
	v_lshrrev_b32_e32 v1, 24, v7
	v_cmp_ne_u32_e64 s[2:3], s39, v1
	v_bfrev_b32_e32 v48, 1
	s_and_saveexec_b64 s[22:23], s[2:3]
	s_cbranch_execz .LBB259_727
; %bb.724:                              ;   in Loop: Header=BB259_403 Depth=1
	v_and_b32_e32 v12, 0x7f, v1
	v_cmp_ne_u32_e64 s[2:3], s40, v12
	v_mov_b32_e32 v48, 0x7c010000
	s_and_saveexec_b64 s[28:29], s[2:3]
	s_cbranch_execz .LBB259_726
; %bb.725:                              ;   in Loop: Header=BB259_403 Depth=1
	v_and_b32_e32 v26, 7, v1
	v_ffbh_u32_e32 v50, v26
	v_min_u32_e32 v52, 32, v50
	v_subrev_u32_e32 v50, 28, v52
	v_lshlrev_b64 v[50:51], v50, v[1:2]
	v_lshrrev_b32_e32 v48, 3, v12
	v_sub_u32_e32 v51, 29, v52
	v_cmp_gt_u32_e64 s[2:3], 8, v12
	v_cndmask_b32_e64 v12, v48, v51, s[2:3]
	v_lshlrev_b32_e32 v1, 8, v1
	v_lshl_add_u32 v12, v12, 10, v30
	v_and_b32_e32 v48, 7, v50
	v_and_or_b32 v1, v1, s41, v12
	v_cndmask_b32_e64 v26, v26, v48, s[2:3]
	v_lshlrev_b32_e32 v1, 16, v1
	v_lshl_or_b32 v48, v26, 23, v1
.LBB259_726:                            ;   in Loop: Header=BB259_403 Depth=1
	s_or_b64 exec, exec, s[28:29]
.LBB259_727:                            ;   in Loop: Header=BB259_403 Depth=1
	s_or_b64 exec, exec, s[22:23]
.LBB259_728:                            ;   in Loop: Header=BB259_403 Depth=1
	s_or_b64 exec, exec, s[20:21]
	v_mov_b32_e32 v1, v8
	v_cmp_ne_u16_sdwa s[2:3], v8, v2 src0_sel:BYTE_0 src1_sel:DWORD
	v_mov_b32_e32 v26, 0
	v_mov_b32_e32 v50, 0
	s_and_saveexec_b64 s[20:21], s[2:3]
	s_cbranch_execz .LBB259_734
; %bb.729:                              ;   in Loop: Header=BB259_403 Depth=1
	v_cmp_ne_u16_sdwa s[2:3], v8, s39 src0_sel:BYTE_0 src1_sel:DWORD
	v_mov_b32_e32 v50, 0x8000
	s_and_saveexec_b64 s[22:23], s[2:3]
	s_cbranch_execz .LBB259_733
; %bb.730:                              ;   in Loop: Header=BB259_403 Depth=1
	v_and_b32_e32 v12, 0x7f, v8
	v_cmp_ne_u32_e64 s[2:3], s40, v12
	v_mov_b32_e32 v50, 0x7c01
	s_and_saveexec_b64 s[28:29], s[2:3]
	s_cbranch_execz .LBB259_732
; %bb.731:                              ;   in Loop: Header=BB259_403 Depth=1
	v_and_b32_e32 v52, 7, v8
	v_ffbh_u32_e32 v50, v52
	v_min_u32_e32 v54, 32, v50
	v_subrev_u32_e32 v50, 28, v54
	v_lshlrev_b64 v[50:51], v50, v[1:2]
	v_lshrrev_b32_e32 v53, 3, v12
	v_sub_u32_e32 v51, 29, v54
	v_cmp_gt_u32_e64 s[2:3], 8, v12
	v_cndmask_b32_e64 v12, v53, v51, s[2:3]
	v_lshl_add_u32 v12, v12, 10, v30
	v_lshlrev_b32_e32 v51, 8, v8
	v_and_b32_e32 v50, 7, v50
	v_and_b32_e32 v12, 0xfc00, v12
	v_cndmask_b32_e64 v50, v52, v50, s[2:3]
	v_and_or_b32 v12, v51, s41, v12
	v_lshl_or_b32 v50, v50, 7, v12
.LBB259_732:                            ;   in Loop: Header=BB259_403 Depth=1
	s_or_b64 exec, exec, s[28:29]
.LBB259_733:                            ;   in Loop: Header=BB259_403 Depth=1
	s_or_b64 exec, exec, s[22:23]
.LBB259_734:                            ;   in Loop: Header=BB259_403 Depth=1
	s_or_b64 exec, exec, s[20:21]
	v_lshrrev_b16_e32 v1, 8, v1
	v_cmp_ne_u16_e64 s[2:3], 0, v1
	v_mov_b32_e32 v51, 0
	s_and_saveexec_b64 s[20:21], s[2:3]
	s_cbranch_execz .LBB259_740
; %bb.735:                              ;   in Loop: Header=BB259_403 Depth=1
	v_cmp_ne_u16_e64 s[2:3], s39, v1
	v_bfrev_b32_e32 v51, 1
	s_and_saveexec_b64 s[22:23], s[2:3]
	s_cbranch_execz .LBB259_739
; %bb.736:                              ;   in Loop: Header=BB259_403 Depth=1
	v_and_b32_e32 v12, 0x7f, v1
	v_cmp_ne_u32_e64 s[2:3], s40, v12
	v_mov_b32_e32 v51, 0x7c010000
	s_and_saveexec_b64 s[28:29], s[2:3]
	s_cbranch_execz .LBB259_738
; %bb.737:                              ;   in Loop: Header=BB259_403 Depth=1
	v_and_b32_e32 v53, 7, v1
	v_ffbh_u32_e32 v51, v53
	v_min_u32_e32 v55, 32, v51
	v_subrev_u32_e32 v51, 28, v55
	v_lshlrev_b64 v[51:52], v51, v[1:2]
	v_lshrrev_b32_e32 v54, 3, v12
	v_sub_u32_e32 v52, 29, v55
	v_cmp_gt_u32_e64 s[2:3], 8, v12
	v_cndmask_b32_e64 v12, v54, v52, s[2:3]
	v_lshlrev_b32_e32 v1, 8, v1
	v_lshl_add_u32 v12, v12, 10, v30
	v_and_b32_e32 v51, 7, v51
	v_and_or_b32 v1, v1, s41, v12
	v_cndmask_b32_e64 v51, v53, v51, s[2:3]
	v_lshlrev_b32_e32 v1, 16, v1
	v_lshl_or_b32 v51, v51, 23, v1
.LBB259_738:                            ;   in Loop: Header=BB259_403 Depth=1
	s_or_b64 exec, exec, s[28:29]
.LBB259_739:                            ;   in Loop: Header=BB259_403 Depth=1
	s_or_b64 exec, exec, s[22:23]
.LBB259_740:                            ;   in Loop: Header=BB259_403 Depth=1
	s_or_b64 exec, exec, s[20:21]
	v_lshrrev_b32_e32 v1, 16, v8
	v_cmp_ne_u16_sdwa s[2:3], v1, v2 src0_sel:BYTE_0 src1_sel:DWORD
	s_and_saveexec_b64 s[20:21], s[2:3]
	s_cbranch_execz .LBB259_746
; %bb.741:                              ;   in Loop: Header=BB259_403 Depth=1
	v_cmp_ne_u16_sdwa s[2:3], v1, s39 src0_sel:BYTE_0 src1_sel:DWORD
	v_mov_b32_e32 v26, 0x8000
	s_and_saveexec_b64 s[22:23], s[2:3]
	s_cbranch_execz .LBB259_745
; %bb.742:                              ;   in Loop: Header=BB259_403 Depth=1
	v_bfe_u32 v12, v8, 16, 7
	v_cmp_ne_u32_e64 s[2:3], s40, v12
	v_mov_b32_e32 v26, 0x7c01
	s_and_saveexec_b64 s[28:29], s[2:3]
	s_cbranch_execz .LBB259_744
; %bb.743:                              ;   in Loop: Header=BB259_403 Depth=1
	v_and_b32_e32 v26, 7, v1
	v_ffbh_u32_e32 v52, v26
	v_min_u32_e32 v55, 32, v52
	v_subrev_u32_e32 v52, 28, v55
	v_lshlrev_b64 v[52:53], v52, v[1:2]
	v_lshrrev_b32_e32 v54, 3, v12
	v_sub_u32_e32 v53, 29, v55
	v_cmp_gt_u32_e64 s[2:3], 8, v12
	v_cndmask_b32_e64 v12, v54, v53, s[2:3]
	v_lshl_add_u32 v12, v12, 10, v30
	v_lshlrev_b32_e32 v1, 8, v1
	v_and_b32_e32 v52, 7, v52
	v_and_b32_e32 v12, 0xfc00, v12
	v_cndmask_b32_e64 v26, v26, v52, s[2:3]
	v_and_or_b32 v1, v1, s41, v12
	v_lshl_or_b32 v26, v26, 7, v1
.LBB259_744:                            ;   in Loop: Header=BB259_403 Depth=1
	s_or_b64 exec, exec, s[28:29]
.LBB259_745:                            ;   in Loop: Header=BB259_403 Depth=1
	s_or_b64 exec, exec, s[22:23]
.LBB259_746:                            ;   in Loop: Header=BB259_403 Depth=1
	s_or_b64 exec, exec, s[20:21]
	v_cmp_lt_u64_e64 s[2:3], s[12:13], v[7:8]
	v_mov_b32_e32 v12, 0
	s_and_saveexec_b64 s[20:21], s[2:3]
	s_cbranch_execz .LBB259_752
; %bb.747:                              ;   in Loop: Header=BB259_403 Depth=1
	v_lshrrev_b32_e32 v1, 24, v8
	v_cmp_ne_u32_e64 s[2:3], s39, v1
	v_bfrev_b32_e32 v12, 1
	s_and_saveexec_b64 s[22:23], s[2:3]
	s_cbranch_execz .LBB259_751
; %bb.748:                              ;   in Loop: Header=BB259_403 Depth=1
	v_and_b32_e32 v7, 0x7f, v1
	v_cmp_ne_u32_e64 s[2:3], s40, v7
	v_mov_b32_e32 v12, 0x7c010000
	s_and_saveexec_b64 s[28:29], s[2:3]
	s_cbranch_execz .LBB259_750
; %bb.749:                              ;   in Loop: Header=BB259_403 Depth=1
	v_and_b32_e32 v8, 7, v1
	v_ffbh_u32_e32 v52, v8
	v_min_u32_e32 v54, 32, v52
	v_subrev_u32_e32 v52, 28, v54
	v_lshlrev_b64 v[52:53], v52, v[1:2]
	v_lshrrev_b32_e32 v12, 3, v7
	v_sub_u32_e32 v53, 29, v54
	v_cmp_gt_u32_e64 s[2:3], 8, v7
	v_cndmask_b32_e64 v7, v12, v53, s[2:3]
	v_lshlrev_b32_e32 v1, 8, v1
	v_lshl_add_u32 v7, v7, 10, v30
	v_and_b32_e32 v12, 7, v52
	v_and_or_b32 v1, v1, s41, v7
	v_cndmask_b32_e64 v8, v8, v12, s[2:3]
	v_lshlrev_b32_e32 v1, 16, v1
	v_lshl_or_b32 v12, v8, 23, v1
.LBB259_750:                            ;   in Loop: Header=BB259_403 Depth=1
	s_or_b64 exec, exec, s[28:29]
.LBB259_751:                            ;   in Loop: Header=BB259_403 Depth=1
	s_or_b64 exec, exec, s[22:23]
.LBB259_752:                            ;   in Loop: Header=BB259_403 Depth=1
	s_or_b64 exec, exec, s[20:21]
	s_waitcnt vmcnt(0)
	v_fma_mixlo_f16 v7, v10, v48, 0 op_sel:[0,1,0] op_sel_hi:[0,1,0]
	v_lshlrev_b32_e32 v8, 16, v7
	v_or_b32_e32 v7, v11, v46
	v_fma_mixlo_f16 v11, v10, v11, 0 op_sel:[0,1,0] op_sel_hi:[0,1,0]
	v_or_b32_e32 v1, v48, v49
	v_lshlrev_b32_e32 v52, 16, v11
	v_or_b32_e32 v11, v51, v50
	v_or_b32_e32 v26, v12, v26
	v_fma_mixlo_f16 v1, v10, v1, 0 op_sel_hi:[0,1,0]
	v_fma_mixlo_f16 v7, v10, v7, 0 op_sel_hi:[0,1,0]
	v_fma_mixlo_f16 v46, v10, v51, 0 op_sel:[0,1,0] op_sel_hi:[0,1,0]
	v_fma_mixlo_f16 v11, v10, v11, 0 op_sel_hi:[0,1,0]
	v_fma_mixlo_f16 v26, v10, v26, 0 op_sel_hi:[0,1,0]
	v_fma_mixlo_f16 v10, v10, v12, 0 op_sel:[0,1,0] op_sel_hi:[0,1,0]
	v_and_b32_e32 v48, 0xffff, v1
	v_and_b32_e32 v53, 0xffff, v7
	v_lshlrev_b32_e32 v46, 16, v46
	v_and_b32_e32 v49, 0xffff, v11
	v_lshlrev_b32_e32 v10, 16, v10
	v_and_b32_e32 v12, 0xffff, v26
	v_or_b32_e32 v1, v8, v48
	v_or_b32_e32 v7, v52, v53
	;; [unrolled: 1-line block ×4, first 2 shown]
	s_and_saveexec_b64 s[20:21], s[0:1]
	s_cbranch_execz .LBB259_754
; %bb.753:                              ;   in Loop: Header=BB259_403 Depth=1
	v_cmp_gt_i32_e64 s[2:3], s33, v31
	v_add_u32_e32 v7, 1, v31
	v_cndmask_b32_e64 v1, 0, v53, s[2:3]
	v_cmp_gt_i32_e64 s[2:3], s33, v7
	v_cndmask_b32_e64 v7, 0, v52, s[2:3]
	v_or_b32_e32 v7, v7, v1
	v_add_u32_e32 v1, 2, v31
	v_cmp_gt_i32_e64 s[2:3], s33, v1
	v_add_u32_e32 v11, 3, v31
	v_cndmask_b32_e64 v1, 0, v48, s[2:3]
	v_cmp_gt_i32_e64 s[2:3], s33, v11
	v_cndmask_b32_e64 v8, 0, v8, s[2:3]
	v_or_b32_e32 v1, v8, v1
	v_add_u32_e32 v8, 4, v31
	;; [unrolled: 7-line block ×3, first 2 shown]
	v_cmp_gt_i32_e64 s[2:3], s33, v8
	v_cndmask_b32_e64 v8, 0, v12, s[2:3]
	v_add_u32_e32 v12, 7, v31
	v_cmp_gt_i32_e64 s[2:3], s33, v12
	v_cndmask_b32_e64 v10, 0, v10, s[2:3]
	v_or_b32_e32 v26, v10, v8
.LBB259_754:                            ;   in Loop: Header=BB259_403 Depth=1
	s_or_b64 exec, exec, s[20:21]
	;;#ASMSTART
	v_pk_mul_f16 v7, v37, v7;

	;;#ASMEND
	;;#ASMSTART
	v_pk_mul_f16 v1, v36, v1;

	;;#ASMEND
	;;#ASMSTART
	v_pk_mul_f16 v8, v35, v11;

	;;#ASMEND
	;;#ASMSTART
	v_pk_mul_f16 v10, v34, v26;

	;;#ASMEND
	;;#ASMSTART
	v_pk_add_f16 v1, v7, v1;

	;;#ASMEND
	;;#ASMSTART
	v_pk_add_f16 v1, v1, v8;

	;;#ASMEND
	;; [unrolled: 4-line block ×3, first 2 shown]
	v_lshrrev_b32_e32 v8, 16, v1
	v_and_b32_e32 v1, 0xffff, v1
	;;#ASMSTART
	v_cvt_f32_f16 v7, v1;
	;;#ASMEND
	;;#ASMSTART
	v_cvt_f32_f16 v8, v8;
	;;#ASMEND
	s_and_saveexec_b64 s[20:21], vcc
	s_cbranch_execz .LBB259_401
; %bb.755:                              ;   in Loop: Header=BB259_403 Depth=1
	v_add_co_u32_e64 v5, s[2:3], v5, v27
	v_addc_co_u32_e64 v6, s[2:3], 0, v6, s[2:3]
	global_load_dwordx2 v[5:6], v[5:6], off
	v_mov_b32_e32 v11, 0
	global_load_dword v10, v11, s[14:15]
	v_mov_b32_e32 v46, 0
	s_waitcnt vmcnt(1)
	v_cmp_ne_u16_sdwa s[2:3], v5, v2 src0_sel:BYTE_0 src1_sel:DWORD
	s_and_saveexec_b64 s[22:23], s[2:3]
	s_cbranch_execz .LBB259_761
; %bb.756:                              ;   in Loop: Header=BB259_403 Depth=1
	v_cmp_ne_u16_sdwa s[2:3], v5, s39 src0_sel:BYTE_0 src1_sel:DWORD
	v_mov_b32_e32 v46, 0x8000
	s_and_saveexec_b64 s[28:29], s[2:3]
	s_cbranch_execz .LBB259_760
; %bb.757:                              ;   in Loop: Header=BB259_403 Depth=1
	v_and_b32_e32 v1, 0x7f, v5
	v_cmp_ne_u32_e64 s[2:3], s40, v1
	v_mov_b32_e32 v46, 0x7c01
	s_and_saveexec_b64 s[30:31], s[2:3]
	s_cbranch_execz .LBB259_759
; %bb.758:                              ;   in Loop: Header=BB259_403 Depth=1
	v_and_b32_e32 v12, 7, v5
	v_ffbh_u32_e32 v46, v12
	v_min_u32_e32 v46, 32, v46
	v_lshrrev_b32_e32 v26, 3, v1
	v_subrev_u32_e32 v48, 28, v46
	v_sub_u32_e32 v46, 29, v46
	v_cmp_gt_u32_e64 s[2:3], 8, v1
	v_lshlrev_b64 v[48:49], v48, v[5:6]
	v_cndmask_b32_e64 v1, v26, v46, s[2:3]
	v_lshl_add_u32 v1, v1, 10, v30
	v_lshlrev_b32_e32 v26, 8, v5
	v_and_b32_e32 v46, 7, v48
	v_and_b32_e32 v1, 0xfc00, v1
	v_cndmask_b32_e64 v12, v12, v46, s[2:3]
	v_and_or_b32 v1, v26, s41, v1
	v_lshl_or_b32 v46, v12, 7, v1
.LBB259_759:                            ;   in Loop: Header=BB259_403 Depth=1
	s_or_b64 exec, exec, s[30:31]
.LBB259_760:                            ;   in Loop: Header=BB259_403 Depth=1
	s_or_b64 exec, exec, s[28:29]
.LBB259_761:                            ;   in Loop: Header=BB259_403 Depth=1
	s_or_b64 exec, exec, s[22:23]
	v_lshrrev_b16_e32 v1, 8, v5
	v_cmp_ne_u16_e64 s[2:3], 0, v1
	s_and_saveexec_b64 s[22:23], s[2:3]
	s_cbranch_execz .LBB259_767
; %bb.762:                              ;   in Loop: Header=BB259_403 Depth=1
	v_cmp_ne_u16_e64 s[2:3], s39, v1
	v_bfrev_b32_e32 v11, 1
	s_and_saveexec_b64 s[28:29], s[2:3]
	s_cbranch_execz .LBB259_766
; %bb.763:                              ;   in Loop: Header=BB259_403 Depth=1
	v_and_b32_e32 v12, 0x7f, v1
	v_cmp_ne_u32_e64 s[2:3], s40, v12
	v_mov_b32_e32 v11, 0x7c010000
	s_and_saveexec_b64 s[30:31], s[2:3]
	s_cbranch_execz .LBB259_765
; %bb.764:                              ;   in Loop: Header=BB259_403 Depth=1
	v_and_b32_e32 v11, 7, v1
	v_ffbh_u32_e32 v48, v11
	v_min_u32_e32 v50, 32, v48
	v_subrev_u32_e32 v48, 28, v50
	v_lshlrev_b64 v[48:49], v48, v[1:2]
	v_lshrrev_b32_e32 v26, 3, v12
	v_sub_u32_e32 v49, 29, v50
	v_cmp_gt_u32_e64 s[2:3], 8, v12
	v_cndmask_b32_e64 v12, v26, v49, s[2:3]
	v_lshlrev_b32_e32 v1, 8, v1
	v_lshl_add_u32 v12, v12, 10, v30
	v_and_b32_e32 v26, 7, v48
	v_and_or_b32 v1, v1, s41, v12
	v_cndmask_b32_e64 v11, v11, v26, s[2:3]
	v_lshlrev_b32_e32 v1, 16, v1
	v_lshl_or_b32 v11, v11, 23, v1
.LBB259_765:                            ;   in Loop: Header=BB259_403 Depth=1
	s_or_b64 exec, exec, s[30:31]
.LBB259_766:                            ;   in Loop: Header=BB259_403 Depth=1
	s_or_b64 exec, exec, s[28:29]
.LBB259_767:                            ;   in Loop: Header=BB259_403 Depth=1
	s_or_b64 exec, exec, s[22:23]
	v_lshrrev_b32_e32 v1, 16, v5
	v_cmp_ne_u16_sdwa s[2:3], v1, v2 src0_sel:BYTE_0 src1_sel:DWORD
	v_mov_b32_e32 v48, 0
	v_mov_b32_e32 v49, 0
	s_and_saveexec_b64 s[22:23], s[2:3]
	s_cbranch_execz .LBB259_773
; %bb.768:                              ;   in Loop: Header=BB259_403 Depth=1
	v_cmp_ne_u16_sdwa s[2:3], v1, s39 src0_sel:BYTE_0 src1_sel:DWORD
	v_mov_b32_e32 v49, 0x8000
	s_and_saveexec_b64 s[28:29], s[2:3]
	s_cbranch_execz .LBB259_772
; %bb.769:                              ;   in Loop: Header=BB259_403 Depth=1
	v_bfe_u32 v12, v5, 16, 7
	v_cmp_ne_u32_e64 s[2:3], s40, v12
	v_mov_b32_e32 v49, 0x7c01
	s_and_saveexec_b64 s[30:31], s[2:3]
	s_cbranch_execz .LBB259_771
; %bb.770:                              ;   in Loop: Header=BB259_403 Depth=1
	v_and_b32_e32 v26, 7, v1
	v_ffbh_u32_e32 v49, v26
	v_min_u32_e32 v52, 32, v49
	v_subrev_u32_e32 v49, 28, v52
	v_lshlrev_b64 v[49:50], v49, v[1:2]
	v_lshrrev_b32_e32 v51, 3, v12
	v_sub_u32_e32 v50, 29, v52
	v_cmp_gt_u32_e64 s[2:3], 8, v12
	v_cndmask_b32_e64 v12, v51, v50, s[2:3]
	v_lshl_add_u32 v12, v12, 10, v30
	v_lshlrev_b32_e32 v1, 8, v1
	v_and_b32_e32 v49, 7, v49
	v_and_b32_e32 v12, 0xfc00, v12
	v_cndmask_b32_e64 v26, v26, v49, s[2:3]
	v_and_or_b32 v1, v1, s41, v12
	v_lshl_or_b32 v49, v26, 7, v1
.LBB259_771:                            ;   in Loop: Header=BB259_403 Depth=1
	s_or_b64 exec, exec, s[30:31]
.LBB259_772:                            ;   in Loop: Header=BB259_403 Depth=1
	s_or_b64 exec, exec, s[28:29]
.LBB259_773:                            ;   in Loop: Header=BB259_403 Depth=1
	s_or_b64 exec, exec, s[22:23]
	v_cmp_lt_u32_e64 s[2:3], s13, v5
	s_and_saveexec_b64 s[22:23], s[2:3]
	s_cbranch_execz .LBB259_779
; %bb.774:                              ;   in Loop: Header=BB259_403 Depth=1
	v_lshrrev_b32_e32 v1, 24, v5
	v_cmp_ne_u32_e64 s[2:3], s39, v1
	v_bfrev_b32_e32 v48, 1
	s_and_saveexec_b64 s[28:29], s[2:3]
	s_cbranch_execz .LBB259_778
; %bb.775:                              ;   in Loop: Header=BB259_403 Depth=1
	v_and_b32_e32 v12, 0x7f, v1
	v_cmp_ne_u32_e64 s[2:3], s40, v12
	v_mov_b32_e32 v48, 0x7c010000
	s_and_saveexec_b64 s[30:31], s[2:3]
	s_cbranch_execz .LBB259_777
; %bb.776:                              ;   in Loop: Header=BB259_403 Depth=1
	v_and_b32_e32 v26, 7, v1
	v_ffbh_u32_e32 v50, v26
	v_min_u32_e32 v52, 32, v50
	v_subrev_u32_e32 v50, 28, v52
	v_lshlrev_b64 v[50:51], v50, v[1:2]
	v_lshrrev_b32_e32 v48, 3, v12
	v_sub_u32_e32 v51, 29, v52
	v_cmp_gt_u32_e64 s[2:3], 8, v12
	v_cndmask_b32_e64 v12, v48, v51, s[2:3]
	v_lshlrev_b32_e32 v1, 8, v1
	v_lshl_add_u32 v12, v12, 10, v30
	v_and_b32_e32 v48, 7, v50
	v_and_or_b32 v1, v1, s41, v12
	v_cndmask_b32_e64 v26, v26, v48, s[2:3]
	v_lshlrev_b32_e32 v1, 16, v1
	v_lshl_or_b32 v48, v26, 23, v1
.LBB259_777:                            ;   in Loop: Header=BB259_403 Depth=1
	s_or_b64 exec, exec, s[30:31]
.LBB259_778:                            ;   in Loop: Header=BB259_403 Depth=1
	s_or_b64 exec, exec, s[28:29]
.LBB259_779:                            ;   in Loop: Header=BB259_403 Depth=1
	s_or_b64 exec, exec, s[22:23]
	v_mov_b32_e32 v1, v6
	v_cmp_ne_u16_sdwa s[2:3], v6, v2 src0_sel:BYTE_0 src1_sel:DWORD
	v_mov_b32_e32 v26, 0
	v_mov_b32_e32 v50, 0
	s_and_saveexec_b64 s[22:23], s[2:3]
	s_cbranch_execz .LBB259_785
; %bb.780:                              ;   in Loop: Header=BB259_403 Depth=1
	v_cmp_ne_u16_sdwa s[2:3], v6, s39 src0_sel:BYTE_0 src1_sel:DWORD
	v_mov_b32_e32 v50, 0x8000
	s_and_saveexec_b64 s[28:29], s[2:3]
	s_cbranch_execz .LBB259_784
; %bb.781:                              ;   in Loop: Header=BB259_403 Depth=1
	v_and_b32_e32 v12, 0x7f, v6
	v_cmp_ne_u32_e64 s[2:3], s40, v12
	v_mov_b32_e32 v50, 0x7c01
	s_and_saveexec_b64 s[30:31], s[2:3]
	s_cbranch_execz .LBB259_783
; %bb.782:                              ;   in Loop: Header=BB259_403 Depth=1
	v_and_b32_e32 v52, 7, v6
	v_ffbh_u32_e32 v50, v52
	v_min_u32_e32 v54, 32, v50
	v_subrev_u32_e32 v50, 28, v54
	v_lshlrev_b64 v[50:51], v50, v[1:2]
	v_lshrrev_b32_e32 v53, 3, v12
	v_sub_u32_e32 v51, 29, v54
	v_cmp_gt_u32_e64 s[2:3], 8, v12
	v_cndmask_b32_e64 v12, v53, v51, s[2:3]
	v_lshl_add_u32 v12, v12, 10, v30
	v_lshlrev_b32_e32 v51, 8, v6
	v_and_b32_e32 v50, 7, v50
	v_and_b32_e32 v12, 0xfc00, v12
	v_cndmask_b32_e64 v50, v52, v50, s[2:3]
	v_and_or_b32 v12, v51, s41, v12
	v_lshl_or_b32 v50, v50, 7, v12
.LBB259_783:                            ;   in Loop: Header=BB259_403 Depth=1
	s_or_b64 exec, exec, s[30:31]
.LBB259_784:                            ;   in Loop: Header=BB259_403 Depth=1
	s_or_b64 exec, exec, s[28:29]
.LBB259_785:                            ;   in Loop: Header=BB259_403 Depth=1
	s_or_b64 exec, exec, s[22:23]
	v_lshrrev_b16_e32 v1, 8, v1
	v_cmp_ne_u16_e64 s[2:3], 0, v1
	v_mov_b32_e32 v51, 0
	s_and_saveexec_b64 s[22:23], s[2:3]
	s_cbranch_execz .LBB259_791
; %bb.786:                              ;   in Loop: Header=BB259_403 Depth=1
	v_cmp_ne_u16_e64 s[2:3], s39, v1
	v_bfrev_b32_e32 v51, 1
	s_and_saveexec_b64 s[28:29], s[2:3]
	s_cbranch_execz .LBB259_790
; %bb.787:                              ;   in Loop: Header=BB259_403 Depth=1
	v_and_b32_e32 v12, 0x7f, v1
	v_cmp_ne_u32_e64 s[2:3], s40, v12
	v_mov_b32_e32 v51, 0x7c010000
	s_and_saveexec_b64 s[30:31], s[2:3]
	s_cbranch_execz .LBB259_789
; %bb.788:                              ;   in Loop: Header=BB259_403 Depth=1
	v_and_b32_e32 v53, 7, v1
	v_ffbh_u32_e32 v51, v53
	v_min_u32_e32 v55, 32, v51
	v_subrev_u32_e32 v51, 28, v55
	v_lshlrev_b64 v[51:52], v51, v[1:2]
	v_lshrrev_b32_e32 v54, 3, v12
	v_sub_u32_e32 v52, 29, v55
	v_cmp_gt_u32_e64 s[2:3], 8, v12
	v_cndmask_b32_e64 v12, v54, v52, s[2:3]
	v_lshlrev_b32_e32 v1, 8, v1
	v_lshl_add_u32 v12, v12, 10, v30
	v_and_b32_e32 v51, 7, v51
	v_and_or_b32 v1, v1, s41, v12
	v_cndmask_b32_e64 v51, v53, v51, s[2:3]
	v_lshlrev_b32_e32 v1, 16, v1
	v_lshl_or_b32 v51, v51, 23, v1
.LBB259_789:                            ;   in Loop: Header=BB259_403 Depth=1
	s_or_b64 exec, exec, s[30:31]
.LBB259_790:                            ;   in Loop: Header=BB259_403 Depth=1
	s_or_b64 exec, exec, s[28:29]
.LBB259_791:                            ;   in Loop: Header=BB259_403 Depth=1
	s_or_b64 exec, exec, s[22:23]
	v_lshrrev_b32_e32 v1, 16, v6
	v_cmp_ne_u16_sdwa s[2:3], v1, v2 src0_sel:BYTE_0 src1_sel:DWORD
	s_and_saveexec_b64 s[22:23], s[2:3]
	s_cbranch_execz .LBB259_797
; %bb.792:                              ;   in Loop: Header=BB259_403 Depth=1
	v_cmp_ne_u16_sdwa s[2:3], v1, s39 src0_sel:BYTE_0 src1_sel:DWORD
	v_mov_b32_e32 v26, 0x8000
	s_and_saveexec_b64 s[28:29], s[2:3]
	s_cbranch_execz .LBB259_796
; %bb.793:                              ;   in Loop: Header=BB259_403 Depth=1
	v_bfe_u32 v12, v6, 16, 7
	v_cmp_ne_u32_e64 s[2:3], s40, v12
	v_mov_b32_e32 v26, 0x7c01
	s_and_saveexec_b64 s[30:31], s[2:3]
	s_cbranch_execz .LBB259_795
; %bb.794:                              ;   in Loop: Header=BB259_403 Depth=1
	v_and_b32_e32 v26, 7, v1
	v_ffbh_u32_e32 v52, v26
	v_min_u32_e32 v55, 32, v52
	v_subrev_u32_e32 v52, 28, v55
	v_lshlrev_b64 v[52:53], v52, v[1:2]
	v_lshrrev_b32_e32 v54, 3, v12
	v_sub_u32_e32 v53, 29, v55
	v_cmp_gt_u32_e64 s[2:3], 8, v12
	v_cndmask_b32_e64 v12, v54, v53, s[2:3]
	v_lshl_add_u32 v12, v12, 10, v30
	v_lshlrev_b32_e32 v1, 8, v1
	v_and_b32_e32 v52, 7, v52
	v_and_b32_e32 v12, 0xfc00, v12
	v_cndmask_b32_e64 v26, v26, v52, s[2:3]
	v_and_or_b32 v1, v1, s41, v12
	v_lshl_or_b32 v26, v26, 7, v1
.LBB259_795:                            ;   in Loop: Header=BB259_403 Depth=1
	s_or_b64 exec, exec, s[30:31]
.LBB259_796:                            ;   in Loop: Header=BB259_403 Depth=1
	s_or_b64 exec, exec, s[28:29]
.LBB259_797:                            ;   in Loop: Header=BB259_403 Depth=1
	s_or_b64 exec, exec, s[22:23]
	v_cmp_lt_u64_e64 s[2:3], s[12:13], v[5:6]
	v_mov_b32_e32 v12, 0
	s_and_saveexec_b64 s[22:23], s[2:3]
	s_cbranch_execz .LBB259_803
; %bb.798:                              ;   in Loop: Header=BB259_403 Depth=1
	v_lshrrev_b32_e32 v1, 24, v6
	v_cmp_ne_u32_e64 s[2:3], s39, v1
	v_bfrev_b32_e32 v12, 1
	s_and_saveexec_b64 s[28:29], s[2:3]
	s_cbranch_execz .LBB259_802
; %bb.799:                              ;   in Loop: Header=BB259_403 Depth=1
	v_and_b32_e32 v5, 0x7f, v1
	v_cmp_ne_u32_e64 s[2:3], s40, v5
	v_mov_b32_e32 v12, 0x7c010000
	s_and_saveexec_b64 s[30:31], s[2:3]
	s_cbranch_execz .LBB259_801
; %bb.800:                              ;   in Loop: Header=BB259_403 Depth=1
	v_and_b32_e32 v6, 7, v1
	v_ffbh_u32_e32 v52, v6
	v_min_u32_e32 v54, 32, v52
	v_subrev_u32_e32 v52, 28, v54
	v_lshlrev_b64 v[52:53], v52, v[1:2]
	v_lshrrev_b32_e32 v12, 3, v5
	v_sub_u32_e32 v53, 29, v54
	v_cmp_gt_u32_e64 s[2:3], 8, v5
	v_cndmask_b32_e64 v5, v12, v53, s[2:3]
	v_lshlrev_b32_e32 v1, 8, v1
	v_lshl_add_u32 v5, v5, 10, v30
	v_and_b32_e32 v12, 7, v52
	v_and_or_b32 v1, v1, s41, v5
	v_cndmask_b32_e64 v6, v6, v12, s[2:3]
	v_lshlrev_b32_e32 v1, 16, v1
	v_lshl_or_b32 v12, v6, 23, v1
.LBB259_801:                            ;   in Loop: Header=BB259_403 Depth=1
	s_or_b64 exec, exec, s[30:31]
.LBB259_802:                            ;   in Loop: Header=BB259_403 Depth=1
	s_or_b64 exec, exec, s[28:29]
.LBB259_803:                            ;   in Loop: Header=BB259_403 Depth=1
	s_or_b64 exec, exec, s[22:23]
	s_waitcnt vmcnt(0)
	v_fma_mixlo_f16 v5, v10, v48, 0 op_sel:[0,1,0] op_sel_hi:[0,1,0]
	v_lshlrev_b32_e32 v6, 16, v5
	v_or_b32_e32 v5, v11, v46
	v_fma_mixlo_f16 v11, v10, v11, 0 op_sel:[0,1,0] op_sel_hi:[0,1,0]
	v_or_b32_e32 v1, v48, v49
	v_lshlrev_b32_e32 v52, 16, v11
	v_or_b32_e32 v11, v51, v50
	v_or_b32_e32 v26, v12, v26
	v_fma_mixlo_f16 v1, v10, v1, 0 op_sel_hi:[0,1,0]
	v_fma_mixlo_f16 v5, v10, v5, 0 op_sel_hi:[0,1,0]
	v_fma_mixlo_f16 v46, v10, v51, 0 op_sel:[0,1,0] op_sel_hi:[0,1,0]
	v_fma_mixlo_f16 v11, v10, v11, 0 op_sel_hi:[0,1,0]
	v_fma_mixlo_f16 v26, v10, v26, 0 op_sel_hi:[0,1,0]
	v_fma_mixlo_f16 v10, v10, v12, 0 op_sel:[0,1,0] op_sel_hi:[0,1,0]
	v_and_b32_e32 v48, 0xffff, v1
	v_and_b32_e32 v53, 0xffff, v5
	v_lshlrev_b32_e32 v46, 16, v46
	v_and_b32_e32 v49, 0xffff, v11
	v_lshlrev_b32_e32 v10, 16, v10
	v_and_b32_e32 v12, 0xffff, v26
	v_or_b32_e32 v1, v6, v48
	v_or_b32_e32 v5, v52, v53
	;; [unrolled: 1-line block ×4, first 2 shown]
	s_and_saveexec_b64 s[2:3], s[0:1]
	s_cbranch_execz .LBB259_400
; %bb.804:                              ;   in Loop: Header=BB259_403 Depth=1
	v_cmp_gt_i32_e64 s[0:1], s33, v31
	v_add_u32_e32 v5, 1, v31
	v_cndmask_b32_e64 v1, 0, v53, s[0:1]
	v_cmp_gt_i32_e64 s[0:1], s33, v5
	v_cndmask_b32_e64 v5, 0, v52, s[0:1]
	v_or_b32_e32 v5, v5, v1
	v_add_u32_e32 v1, 2, v31
	v_cmp_gt_i32_e64 s[0:1], s33, v1
	v_add_u32_e32 v11, 3, v31
	v_cndmask_b32_e64 v1, 0, v48, s[0:1]
	v_cmp_gt_i32_e64 s[0:1], s33, v11
	v_cndmask_b32_e64 v6, 0, v6, s[0:1]
	v_or_b32_e32 v1, v6, v1
	v_add_u32_e32 v6, 4, v31
	;; [unrolled: 7-line block ×3, first 2 shown]
	v_cmp_gt_i32_e64 s[0:1], s33, v6
	v_cndmask_b32_e64 v6, 0, v12, s[0:1]
	v_add_u32_e32 v12, 7, v31
	v_cmp_gt_i32_e64 s[0:1], s33, v12
	v_cndmask_b32_e64 v10, 0, v10, s[0:1]
	v_or_b32_e32 v26, v10, v6
	s_branch .LBB259_400
.LBB259_805:
	s_or_b64 exec, exec, s[16:17]
.LBB259_806:
	s_or_b64 exec, exec, s[4:5]
	ds_bpermute_b32 v0, v14, v25
	ds_bpermute_b32 v1, v14, v28
	;; [unrolled: 1-line block ×5, first 2 shown]
	s_waitcnt lgkmcnt(4)
	v_add_f32_e32 v0, v25, v0
	s_waitcnt lgkmcnt(3)
	v_add_f32_e32 v1, v28, v1
	ds_bpermute_b32 v3, v15, v0
	s_waitcnt lgkmcnt(3)
	v_add_f32_e32 v2, v23, v2
	ds_bpermute_b32 v4, v15, v1
	ds_bpermute_b32 v5, v15, v2
	s_waitcnt lgkmcnt(3)
	v_add_f32_e32 v9, v19, v9
	s_waitcnt lgkmcnt(2)
	v_add_f32_e32 v8, v0, v3
	ds_bpermute_b32 v0, v14, v21
	s_waitcnt lgkmcnt(2)
	v_add_f32_e32 v6, v1, v4
	s_waitcnt lgkmcnt(1)
	v_add_f32_e32 v4, v2, v5
	ds_bpermute_b32 v3, v14, v20
	ds_bpermute_b32 v5, v14, v18
	s_waitcnt lgkmcnt(2)
	v_add_f32_e32 v0, v21, v0
	v_add_f32_e32 v1, v22, v7
	ds_bpermute_b32 v7, v15, v0
	s_waitcnt lgkmcnt(2)
	v_add_f32_e32 v10, v20, v3
	s_waitcnt lgkmcnt(1)
	v_add_f32_e32 v12, v18, v5
	ds_bpermute_b32 v2, v15, v1
	ds_bpermute_b32 v11, v15, v10
	;; [unrolled: 1-line block ×4, first 2 shown]
	s_waitcnt lgkmcnt(4)
	v_add_f32_e32 v3, v0, v7
	v_and_b32_e32 v7, 0x3c0, v56
	s_waitcnt lgkmcnt(3)
	v_add_f32_e32 v5, v1, v2
	s_waitcnt lgkmcnt(2)
	v_add_f32_e32 v2, v10, v11
	;; [unrolled: 2-line block ×4, first 2 shown]
	v_cmp_eq_u32_e64 s[0:1], 64, v7
	v_cmp_eq_u32_e32 vcc, 0, v17
	s_barrier
	s_and_saveexec_b64 s[2:3], s[0:1]
	s_cbranch_execz .LBB259_811
; %bb.807:
	s_and_saveexec_b64 s[0:1], vcc
	s_cbranch_execz .LBB259_809
; %bb.808:
	v_mov_b32_e32 v7, 0x100
	v_lshl_add_u32 v7, v16, 2, v7
	ds_write2_b32 v7, v8, v6 offset1:16
	ds_write2_b32 v7, v4, v5 offset0:32 offset1:48
	ds_write2_b32 v7, v3, v2 offset0:64 offset1:80
	ds_write_b32 v7, v1 offset:384
.LBB259_809:
	s_or_b64 exec, exec, s[0:1]
	v_or_b32_e32 v7, 0x70, v16
	s_movk_i32 s0, 0x78
	v_cmp_gt_u32_e64 s[0:1], s0, v7
	s_and_b64 s[0:1], vcc, s[0:1]
	s_and_b64 exec, exec, s[0:1]
; %bb.810:
	v_mov_b32_e32 v7, 0x100
	v_lshl_add_u32 v7, v16, 2, v7
	ds_write_b32 v7, v0 offset:448
.LBB259_811:
	s_or_b64 exec, exec, s[2:3]
	v_cmp_gt_u32_e64 s[0:1], 64, v56
	v_lshrrev_b32_e32 v7, 2, v56
	s_waitcnt lgkmcnt(0)
	s_barrier
	s_and_saveexec_b64 s[4:5], s[0:1]
	s_cbranch_execz .LBB259_829
; %bb.812:
	s_and_saveexec_b64 s[2:3], vcc
	s_cbranch_execz .LBB259_814
; %bb.813:
	v_mov_b32_e32 v9, 0x100
	v_lshl_add_u32 v9, v7, 2, v9
	ds_read_b32 v9, v9
	s_waitcnt lgkmcnt(0)
	v_add_f32_e32 v8, v8, v9
.LBB259_814:
	s_or_b64 exec, exec, s[2:3]
	v_or_b32_e32 v9, 16, v7
	s_movk_i32 s6, 0x78
	v_cmp_gt_u32_e64 s[2:3], s6, v9
	s_and_b64 s[12:13], vcc, s[2:3]
	s_and_saveexec_b64 s[2:3], s[12:13]
	s_cbranch_execz .LBB259_816
; %bb.815:
	v_mov_b32_e32 v9, 0x100
	v_lshl_add_u32 v9, v7, 2, v9
	ds_read_b32 v9, v9 offset:64
	s_waitcnt lgkmcnt(0)
	v_add_f32_e32 v6, v6, v9
.LBB259_816:
	s_or_b64 exec, exec, s[2:3]
	v_or_b32_e32 v9, 32, v7
	v_cmp_gt_u32_e64 s[2:3], s6, v9
	s_and_b64 s[6:7], vcc, s[2:3]
	s_and_saveexec_b64 s[2:3], s[6:7]
	s_cbranch_execz .LBB259_818
; %bb.817:
	v_mov_b32_e32 v9, 0x100
	v_lshl_add_u32 v9, v7, 2, v9
	ds_read_b32 v9, v9 offset:128
	s_waitcnt lgkmcnt(0)
	v_add_f32_e32 v4, v4, v9
.LBB259_818:
	s_or_b64 exec, exec, s[2:3]
	v_or_b32_e32 v9, 48, v7
	s_movk_i32 s6, 0x78
	v_cmp_gt_u32_e64 s[2:3], s6, v9
	s_and_b64 s[12:13], vcc, s[2:3]
	s_and_saveexec_b64 s[2:3], s[12:13]
	s_cbranch_execz .LBB259_820
; %bb.819:
	v_mov_b32_e32 v9, 0x100
	v_lshl_add_u32 v9, v7, 2, v9
	ds_read_b32 v9, v9 offset:192
	s_waitcnt lgkmcnt(0)
	v_add_f32_e32 v5, v5, v9
.LBB259_820:
	s_or_b64 exec, exec, s[2:3]
	v_or_b32_e32 v9, 64, v7
	v_cmp_gt_u32_e64 s[2:3], s6, v9
	s_and_b64 s[6:7], vcc, s[2:3]
	s_and_saveexec_b64 s[2:3], s[6:7]
	s_cbranch_execz .LBB259_822
; %bb.821:
	v_mov_b32_e32 v9, 0x100
	v_lshl_add_u32 v9, v7, 2, v9
	ds_read_b32 v9, v9 offset:256
	s_waitcnt lgkmcnt(0)
	v_add_f32_e32 v3, v3, v9
.LBB259_822:
	s_or_b64 exec, exec, s[2:3]
	v_or_b32_e32 v9, 0x50, v7
	s_movk_i32 s6, 0x78
	v_cmp_gt_u32_e64 s[2:3], s6, v9
	s_and_b64 s[12:13], vcc, s[2:3]
	s_and_saveexec_b64 s[2:3], s[12:13]
	s_cbranch_execz .LBB259_824
; %bb.823:
	v_mov_b32_e32 v9, 0x100
	v_lshl_add_u32 v9, v7, 2, v9
	ds_read_b32 v9, v9 offset:320
	s_waitcnt lgkmcnt(0)
	v_add_f32_e32 v2, v2, v9
.LBB259_824:
	s_or_b64 exec, exec, s[2:3]
	v_or_b32_e32 v9, 0x60, v7
	v_cmp_gt_u32_e64 s[2:3], s6, v9
	s_and_b64 s[6:7], vcc, s[2:3]
	s_and_saveexec_b64 s[2:3], s[6:7]
	s_cbranch_execz .LBB259_826
; %bb.825:
	v_mov_b32_e32 v9, 0x100
	v_lshl_add_u32 v9, v7, 2, v9
	ds_read_b32 v9, v9 offset:384
	s_waitcnt lgkmcnt(0)
	v_add_f32_e32 v1, v1, v9
.LBB259_826:
	s_or_b64 exec, exec, s[2:3]
	v_or_b32_e32 v9, 0x70, v7
	s_movk_i32 s2, 0x78
	v_cmp_gt_u32_e64 s[2:3], s2, v9
	s_and_b64 s[6:7], vcc, s[2:3]
	s_and_saveexec_b64 s[2:3], s[6:7]
	s_cbranch_execz .LBB259_828
; %bb.827:
	v_mov_b32_e32 v9, 0x100
	v_lshl_add_u32 v9, v7, 2, v9
	ds_read_b32 v9, v9 offset:448
	s_waitcnt lgkmcnt(0)
	v_add_f32_e32 v0, v0, v9
.LBB259_828:
	s_or_b64 exec, exec, s[2:3]
.LBB259_829:
	s_or_b64 exec, exec, s[4:5]
	s_barrier
	s_and_saveexec_b64 s[2:3], s[0:1]
	s_cbranch_execz .LBB259_846
; %bb.830:
	s_mul_i32 s0, s10, s11
	s_mul_i32 s0, s0, s9
	s_mulk_i32 s0, 0x78
	s_ashr_i32 s1, s0, 31
	s_lshl_b64 s[0:1], s[0:1], 1
	s_add_u32 s2, s26, s0
	s_mul_i32 s0, s11, s24
	s_addc_u32 s3, s27, s1
	s_ashr_i32 s1, s0, 31
	s_lshl_b64 s[0:1], s[0:1], 1
	s_add_u32 s2, s2, s0
	s_mul_i32 s0, s8, 0x78
	s_addc_u32 s3, s3, s1
	s_ashr_i32 s1, s0, 31
	s_lshl_b64 s[0:1], s[0:1], 1
	s_add_u32 s2, s2, s0
	s_movk_i32 s4, 0x78
	s_addc_u32 s3, s3, s1
	v_lshlrev_b32_e32 v9, 1, v7
	s_and_saveexec_b64 s[0:1], vcc
	s_cbranch_execz .LBB259_832
; %bb.831:
	;;#ASMSTART
	v_cvt_f16_f32 v8, v8;

	;;#ASMEND
	global_store_short v9, v8, s[2:3]
.LBB259_832:
	s_or_b64 exec, exec, s[0:1]
	v_or_b32_e32 v8, 16, v7
	v_cmp_gt_u32_e64 s[0:1], s4, v8
	s_and_b64 s[4:5], vcc, s[0:1]
	s_and_saveexec_b64 s[0:1], s[4:5]
	s_cbranch_execz .LBB259_834
; %bb.833:
	;;#ASMSTART
	v_cvt_f16_f32 v6, v6;

	;;#ASMEND
	global_store_short v9, v6, s[2:3] offset:32
.LBB259_834:
	s_or_b64 exec, exec, s[0:1]
	v_or_b32_e32 v6, 32, v7
	s_movk_i32 s4, 0x78
	v_cmp_gt_u32_e64 s[0:1], s4, v6
	s_and_b64 s[6:7], vcc, s[0:1]
	s_and_saveexec_b64 s[0:1], s[6:7]
	s_cbranch_execz .LBB259_836
; %bb.835:
	;;#ASMSTART
	v_cvt_f16_f32 v4, v4;

	;;#ASMEND
	global_store_short v9, v4, s[2:3] offset:64
.LBB259_836:
	s_or_b64 exec, exec, s[0:1]
	v_or_b32_e32 v4, 48, v7
	v_cmp_gt_u32_e64 s[0:1], s4, v4
	s_and_b64 s[4:5], vcc, s[0:1]
	s_and_saveexec_b64 s[0:1], s[4:5]
	s_cbranch_execz .LBB259_838
; %bb.837:
	;;#ASMSTART
	v_cvt_f16_f32 v4, v5;

	;;#ASMEND
	global_store_short v9, v4, s[2:3] offset:96
.LBB259_838:
	s_or_b64 exec, exec, s[0:1]
	v_or_b32_e32 v4, 64, v7
	s_movk_i32 s4, 0x78
	v_cmp_gt_u32_e64 s[0:1], s4, v4
	s_and_b64 s[6:7], vcc, s[0:1]
	s_and_saveexec_b64 s[0:1], s[6:7]
	s_cbranch_execz .LBB259_840
; %bb.839:
	;;#ASMSTART
	v_cvt_f16_f32 v3, v3;

	;;#ASMEND
	global_store_short v9, v3, s[2:3] offset:128
.LBB259_840:
	;; [unrolled: 27-line block ×3, first 2 shown]
	s_or_b64 exec, exec, s[0:1]
	v_or_b32_e32 v1, 0x70, v7
	v_cmp_gt_u32_e64 s[0:1], s4, v1
	s_and_b64 s[0:1], vcc, s[0:1]
	s_and_b64 exec, exec, s[0:1]
	s_cbranch_execz .LBB259_846
; %bb.845:
	;;#ASMSTART
	v_cvt_f16_f32 v0, v0;

	;;#ASMEND
	global_store_short v9, v0, s[2:3] offset:224
.LBB259_846:
	s_endpgm
	.section	.rodata,"a",@progbits
	.p2align	6, 0x0
	.amdhsa_kernel _ZN4vllm25paged_attention_v1_kernelIthLi120ELi32ELi128ELNS_18Fp8KVCacheDataTypeE1ELb1EEEvPT_PKS2_PKT0_S8_ifPKiSA_iPKfiiiSC_SC_iiiii
		.amdhsa_group_segment_fixed_size 256
		.amdhsa_private_segment_fixed_size 136
		.amdhsa_kernarg_size 384
		.amdhsa_user_sgpr_count 6
		.amdhsa_user_sgpr_private_segment_buffer 1
		.amdhsa_user_sgpr_dispatch_ptr 0
		.amdhsa_user_sgpr_queue_ptr 0
		.amdhsa_user_sgpr_kernarg_segment_ptr 1
		.amdhsa_user_sgpr_dispatch_id 0
		.amdhsa_user_sgpr_flat_scratch_init 0
		.amdhsa_user_sgpr_private_segment_size 0
		.amdhsa_uses_dynamic_stack 0
		.amdhsa_system_sgpr_private_segment_wavefront_offset 1
		.amdhsa_system_sgpr_workgroup_id_x 1
		.amdhsa_system_sgpr_workgroup_id_y 1
		.amdhsa_system_sgpr_workgroup_id_z 1
		.amdhsa_system_sgpr_workgroup_info 0
		.amdhsa_system_vgpr_workitem_id 0
		.amdhsa_next_free_vgpr 64
		.amdhsa_next_free_sgpr 60
		.amdhsa_reserve_vcc 1
		.amdhsa_reserve_flat_scratch 0
		.amdhsa_float_round_mode_32 0
		.amdhsa_float_round_mode_16_64 0
		.amdhsa_float_denorm_mode_32 3
		.amdhsa_float_denorm_mode_16_64 3
		.amdhsa_dx10_clamp 1
		.amdhsa_ieee_mode 1
		.amdhsa_fp16_overflow 0
		.amdhsa_exception_fp_ieee_invalid_op 0
		.amdhsa_exception_fp_denorm_src 0
		.amdhsa_exception_fp_ieee_div_zero 0
		.amdhsa_exception_fp_ieee_overflow 0
		.amdhsa_exception_fp_ieee_underflow 0
		.amdhsa_exception_fp_ieee_inexact 0
		.amdhsa_exception_int_div_zero 0
	.end_amdhsa_kernel
	.section	.text._ZN4vllm25paged_attention_v1_kernelIthLi120ELi32ELi128ELNS_18Fp8KVCacheDataTypeE1ELb1EEEvPT_PKS2_PKT0_S8_ifPKiSA_iPKfiiiSC_SC_iiiii,"axG",@progbits,_ZN4vllm25paged_attention_v1_kernelIthLi120ELi32ELi128ELNS_18Fp8KVCacheDataTypeE1ELb1EEEvPT_PKS2_PKT0_S8_ifPKiSA_iPKfiiiSC_SC_iiiii,comdat
.Lfunc_end259:
	.size	_ZN4vllm25paged_attention_v1_kernelIthLi120ELi32ELi128ELNS_18Fp8KVCacheDataTypeE1ELb1EEEvPT_PKS2_PKT0_S8_ifPKiSA_iPKfiiiSC_SC_iiiii, .Lfunc_end259-_ZN4vllm25paged_attention_v1_kernelIthLi120ELi32ELi128ELNS_18Fp8KVCacheDataTypeE1ELb1EEEvPT_PKS2_PKT0_S8_ifPKiSA_iPKfiiiSC_SC_iiiii
                                        ; -- End function
	.set _ZN4vllm25paged_attention_v1_kernelIthLi120ELi32ELi128ELNS_18Fp8KVCacheDataTypeE1ELb1EEEvPT_PKS2_PKT0_S8_ifPKiSA_iPKfiiiSC_SC_iiiii.num_vgpr, 64
	.set _ZN4vllm25paged_attention_v1_kernelIthLi120ELi32ELi128ELNS_18Fp8KVCacheDataTypeE1ELb1EEEvPT_PKS2_PKT0_S8_ifPKiSA_iPKfiiiSC_SC_iiiii.num_agpr, 0
	.set _ZN4vllm25paged_attention_v1_kernelIthLi120ELi32ELi128ELNS_18Fp8KVCacheDataTypeE1ELb1EEEvPT_PKS2_PKT0_S8_ifPKiSA_iPKfiiiSC_SC_iiiii.numbered_sgpr, 60
	.set _ZN4vllm25paged_attention_v1_kernelIthLi120ELi32ELi128ELNS_18Fp8KVCacheDataTypeE1ELb1EEEvPT_PKS2_PKT0_S8_ifPKiSA_iPKfiiiSC_SC_iiiii.num_named_barrier, 0
	.set _ZN4vllm25paged_attention_v1_kernelIthLi120ELi32ELi128ELNS_18Fp8KVCacheDataTypeE1ELb1EEEvPT_PKS2_PKT0_S8_ifPKiSA_iPKfiiiSC_SC_iiiii.private_seg_size, 136
	.set _ZN4vllm25paged_attention_v1_kernelIthLi120ELi32ELi128ELNS_18Fp8KVCacheDataTypeE1ELb1EEEvPT_PKS2_PKT0_S8_ifPKiSA_iPKfiiiSC_SC_iiiii.uses_vcc, 1
	.set _ZN4vllm25paged_attention_v1_kernelIthLi120ELi32ELi128ELNS_18Fp8KVCacheDataTypeE1ELb1EEEvPT_PKS2_PKT0_S8_ifPKiSA_iPKfiiiSC_SC_iiiii.uses_flat_scratch, 0
	.set _ZN4vllm25paged_attention_v1_kernelIthLi120ELi32ELi128ELNS_18Fp8KVCacheDataTypeE1ELb1EEEvPT_PKS2_PKT0_S8_ifPKiSA_iPKfiiiSC_SC_iiiii.has_dyn_sized_stack, 0
	.set _ZN4vllm25paged_attention_v1_kernelIthLi120ELi32ELi128ELNS_18Fp8KVCacheDataTypeE1ELb1EEEvPT_PKS2_PKT0_S8_ifPKiSA_iPKfiiiSC_SC_iiiii.has_recursion, 0
	.set _ZN4vllm25paged_attention_v1_kernelIthLi120ELi32ELi128ELNS_18Fp8KVCacheDataTypeE1ELb1EEEvPT_PKS2_PKT0_S8_ifPKiSA_iPKfiiiSC_SC_iiiii.has_indirect_call, 0
	.section	.AMDGPU.csdata,"",@progbits
; Kernel info:
; codeLenInByte = 35392
; TotalNumSgprs: 64
; NumVgprs: 64
; ScratchSize: 136
; MemoryBound: 0
; FloatMode: 240
; IeeeMode: 1
; LDSByteSize: 256 bytes/workgroup (compile time only)
; SGPRBlocks: 7
; VGPRBlocks: 15
; NumSGPRsForWavesPerEU: 64
; NumVGPRsForWavesPerEU: 64
; Occupancy: 4
; WaveLimiterHint : 1
; COMPUTE_PGM_RSRC2:SCRATCH_EN: 1
; COMPUTE_PGM_RSRC2:USER_SGPR: 6
; COMPUTE_PGM_RSRC2:TRAP_HANDLER: 0
; COMPUTE_PGM_RSRC2:TGID_X_EN: 1
; COMPUTE_PGM_RSRC2:TGID_Y_EN: 1
; COMPUTE_PGM_RSRC2:TGID_Z_EN: 1
; COMPUTE_PGM_RSRC2:TIDIG_COMP_CNT: 0
	.section	.text._ZN4vllm25paged_attention_v1_kernelIthLi128ELi32ELi128ELNS_18Fp8KVCacheDataTypeE1ELb1EEEvPT_PKS2_PKT0_S8_ifPKiSA_iPKfiiiSC_SC_iiiii,"axG",@progbits,_ZN4vllm25paged_attention_v1_kernelIthLi128ELi32ELi128ELNS_18Fp8KVCacheDataTypeE1ELb1EEEvPT_PKS2_PKT0_S8_ifPKiSA_iPKfiiiSC_SC_iiiii,comdat
	.protected	_ZN4vllm25paged_attention_v1_kernelIthLi128ELi32ELi128ELNS_18Fp8KVCacheDataTypeE1ELb1EEEvPT_PKS2_PKT0_S8_ifPKiSA_iPKfiiiSC_SC_iiiii ; -- Begin function _ZN4vllm25paged_attention_v1_kernelIthLi128ELi32ELi128ELNS_18Fp8KVCacheDataTypeE1ELb1EEEvPT_PKS2_PKT0_S8_ifPKiSA_iPKfiiiSC_SC_iiiii
	.globl	_ZN4vllm25paged_attention_v1_kernelIthLi128ELi32ELi128ELNS_18Fp8KVCacheDataTypeE1ELb1EEEvPT_PKS2_PKT0_S8_ifPKiSA_iPKfiiiSC_SC_iiiii
	.p2align	8
	.type	_ZN4vllm25paged_attention_v1_kernelIthLi128ELi32ELi128ELNS_18Fp8KVCacheDataTypeE1ELb1EEEvPT_PKS2_PKT0_S8_ifPKiSA_iPKfiiiSC_SC_iiiii,@function
_ZN4vllm25paged_attention_v1_kernelIthLi128ELi32ELi128ELNS_18Fp8KVCacheDataTypeE1ELb1EEEvPT_PKS2_PKT0_S8_ifPKiSA_iPKfiiiSC_SC_iiiii: ; @_ZN4vllm25paged_attention_v1_kernelIthLi128ELi32ELi128ELNS_18Fp8KVCacheDataTypeE1ELb1EEEvPT_PKS2_PKT0_S8_ifPKiSA_iPKfiiiSC_SC_iiiii
; %bb.0:
	s_mov_b64 s[58:59], s[2:3]
	s_mov_b64 s[56:57], s[0:1]
	s_add_u32 s56, s56, s9
	s_load_dword s9, s[4:5], 0x80
	s_load_dwordx2 s[0:1], s[4:5], 0x30
	s_load_dwordx2 s[36:37], s[4:5], 0x20
	s_addc_u32 s57, s57, 0
	s_mov_b32 s10, s7
	s_ashr_i32 s11, s7, 31
	s_lshl_b64 s[2:3], s[10:11], 2
	s_waitcnt lgkmcnt(0)
	s_add_u32 s0, s0, s2
	s_addc_u32 s1, s1, s3
	s_abs_i32 s2, s36
	v_mov_b32_e32 v24, v0
	v_cvt_f32_u32_e32 v0, s2
	s_sub_i32 s11, 0, s2
	s_abs_i32 s7, s9
	s_xor_b32 s3, s9, s36
	v_rcp_iflag_f32_e32 v0, v0
	s_ashr_i32 s3, s3, 31
	s_mov_b32 s48, 0
	v_mul_f32_e32 v0, 0x4f7ffffe, v0
	v_cvt_u32_f32_e32 v0, v0
	v_readfirstlane_b32 s12, v0
	s_mul_i32 s11, s11, s12
	s_mul_hi_u32 s11, s12, s11
	s_add_i32 s12, s12, s11
	s_mul_hi_u32 s11, s7, s12
	s_mul_i32 s12, s11, s2
	s_sub_i32 s7, s7, s12
	s_add_i32 s12, s11, 1
	s_sub_i32 s13, s7, s2
	s_cmp_ge_u32 s7, s2
	s_cselect_b32 s11, s12, s11
	s_cselect_b32 s7, s13, s7
	s_add_i32 s12, s11, 1
	s_cmp_ge_u32 s7, s2
	s_cselect_b32 s2, s12, s11
	s_xor_b32 s2, s2, s3
	s_sub_i32 s14, s2, s3
	s_abs_i32 s11, s14
	v_cvt_f32_u32_e32 v0, s11
	s_load_dwordx2 s[2:3], s[4:5], 0x40
	s_sub_i32 s7, 0, s11
	s_abs_i32 s12, s6
	v_rcp_iflag_f32_e32 v0, v0
	v_mul_f32_e32 v0, 0x4f7ffffe, v0
	v_cvt_u32_f32_e32 v0, v0
	v_readfirstlane_b32 s13, v0
	s_mul_i32 s7, s7, s13
	s_mul_hi_u32 s7, s13, s7
	s_add_i32 s13, s13, s7
	s_waitcnt lgkmcnt(0)
	s_cmp_eq_u64 s[2:3], 0
	s_mul_hi_u32 s13, s12, s13
	s_cbranch_scc1 .LBB260_2
; %bb.1:
	s_ashr_i32 s7, s6, 31
	s_lshl_b64 s[16:17], s[6:7], 2
	s_add_u32 s2, s2, s16
	s_addc_u32 s3, s3, s17
	s_load_dword s48, s[2:3], 0x0
.LBB260_2:
	s_load_dword s33, s[0:1], 0x0
	s_load_dwordx4 s[16:19], s[4:5], 0x48
	s_ashr_i32 s2, s6, 31
	s_ashr_i32 s7, s14, 31
	v_and_b32_e32 v0, 1, v24
	s_lshl_b32 s24, s6, 7
	v_cmp_gt_u32_e32 vcc, 32, v24
	v_lshlrev_b32_e32 v1, 3, v24
	buffer_store_dword v1, off, s[56:59], 0 offset:192 ; 4-byte Folded Spill
	s_and_saveexec_b64 s[0:1], vcc
	s_cbranch_execz .LBB260_4
; %bb.3:
	s_load_dwordx2 s[14:15], s[4:5], 0x8
	s_waitcnt lgkmcnt(0)
	s_mul_i32 s20, s16, s10
	s_ashr_i32 s21, s20, 31
	s_lshl_b64 s[20:21], s[20:21], 1
	v_lshlrev_b32_e32 v1, 3, v24
	s_add_u32 s3, s14, s20
	s_addc_u32 s16, s15, s21
	s_ashr_i32 s25, s24, 31
	s_lshl_b64 s[14:15], s[24:25], 1
	s_add_u32 s14, s3, s14
	s_addc_u32 s15, s16, s15
	global_load_dwordx2 v[1:2], v1, s[14:15]
	v_lshlrev_b32_e32 v3, 2, v24
	v_and_b32_e32 v3, 0xff8, v3
	v_lshl_add_u32 v3, v0, 7, v3
	s_waitcnt vmcnt(0)
	ds_write_b64 v3, v[1:2]
.LBB260_4:
	s_or_b64 exec, exec, s[0:1]
	s_mul_i32 s1, s13, s11
	s_sub_i32 s1, s12, s1
	s_xor_b32 s0, s2, s7
	s_add_i32 s2, s13, 1
	s_sub_i32 s7, s1, s11
	s_load_dwordx4 s[20:23], s[4:5], 0x68
	s_load_dword s3, s[4:5], 0x78
	s_cmp_ge_u32 s1, s11
	s_cselect_b32 s2, s2, s13
	s_cselect_b32 s1, s7, s1
	s_add_i32 s7, s2, 1
	s_cmp_ge_u32 s1, s11
	s_cselect_b32 s1, s7, s2
	s_waitcnt lgkmcnt(0)
	s_abs_i32 s25, s23
	v_cvt_f32_u32_e32 v1, s25
	s_xor_b32 s1, s1, s0
	s_sub_i32 s2, s1, s0
	s_sub_i32 s0, 0, s25
	v_rcp_iflag_f32_e32 v1, v1
	s_add_i32 s11, s33, -1
	s_abs_i32 s7, s11
	v_mul_f32_e32 v1, 0x4f7ffffe, v1
	v_cvt_u32_f32_e32 v1, v1
	s_waitcnt vmcnt(0)
	s_barrier
	v_readfirstlane_b32 s46, v1
	s_mul_i32 s0, s0, s46
	s_mul_hi_u32 s0, s46, s0
	s_add_i32 s46, s46, s0
	s_cmp_lt_i32 s3, 0
	s_mul_hi_u32 s16, s7, s46
	s_cbranch_scc0 .LBB260_6
; %bb.5:
	s_mul_i32 s0, s20, s36
	s_add_i32 s0, s2, s0
	s_mul_i32 s0, s0, s3
	s_sub_i32 s36, 1, s0
	s_mov_b64 s[0:1], 0
	s_branch .LBB260_7
.LBB260_6:
	s_mov_b64 s[0:1], -1
                                        ; implicit-def: $sgpr36
.LBB260_7:
	s_load_dwordx2 s[28:29], s[4:5], 0x28
	s_ashr_i32 s19, s11, 31
	s_andn2_b64 vcc, exec, s[0:1]
	s_ashr_i32 s23, s23, 31
	s_cbranch_vccnz .LBB260_9
; %bb.8:
	s_mul_i32 s0, s9, s20
	s_add_i32 s0, s0, s6
	s_mul_i32 s0, s0, s3
	s_add_i32 s36, s0, 1
.LBB260_9:
	s_load_dword s0, s[4:5], 0x38
	s_load_dwordx2 s[26:27], s[4:5], 0x0
	s_load_dwordx2 s[34:35], s[4:5], 0x18
	s_load_dword s11, s[4:5], 0x88
	s_load_dwordx4 s[12:15], s[4:5], 0x58
	s_mul_i32 s1, s16, s25
	s_waitcnt lgkmcnt(0)
	s_mul_i32 s30, s0, s10
	s_sub_i32 s1, s7, s1
	s_ashr_i32 s31, s30, 31
	s_xor_b32 s0, s19, s23
	s_add_i32 s3, s16, 1
	s_sub_i32 s6, s1, s25
	s_cmp_ge_u32 s1, s25
	s_cselect_b32 s3, s3, s16
	s_cselect_b32 s1, s6, s1
	s_add_i32 s6, s3, 1
	s_cmp_ge_u32 s1, s25
	s_cselect_b32 s1, s6, s3
	s_xor_b32 s1, s1, s0
	s_sub_i32 s16, s1, s0
	s_add_i32 s0, s33, 31
	s_ashr_i32 s1, s0, 31
	s_lshr_b32 s1, s1, 27
	s_add_i32 s0, s0, s1
	s_ashr_i32 s47, s0, 5
	v_lshrrev_b32_e32 v1, 6, v24
	v_lshrrev_b32_e32 v2, 4, v24
	v_cmp_gt_i32_e64 s[0:1], s47, v1
	v_mov_b32_e32 v3, 0xff7fffff
	s_mul_i32 s20, s2, s18
	buffer_store_dword v2, off, s[56:59], 0 offset:184 ; 4-byte Folded Spill
	buffer_store_dword v1, off, s[56:59], 0 ; 4-byte Folded Spill
	v_lshlrev_b32_e32 v1, 5, v1
	v_mbcnt_lo_u32_b32 v2, -1, 0
	buffer_store_dword v1, off, s[56:59], 0 offset:188 ; 4-byte Folded Spill
	s_mov_b64 s[18:19], exec
	s_and_b64 s[2:3], s[18:19], s[0:1]
	buffer_store_dword v24, off, s[56:59], 0 offset:180 ; 4-byte Folded Spill
	s_mov_b64 exec, s[2:3]
	s_cbranch_execz .LBB260_405
; %bb.10:
	s_load_dwordx2 s[2:3], s[4:5], 0x10
	s_sub_i32 s49, s16, s21
	s_ashr_i32 s4, s20, 31
	v_cmp_eq_u32_e32 vcc, 0, v0
	v_lshlrev_b32_e32 v3, 2, v0
	s_waitcnt lgkmcnt(0)
	s_add_u32 s5, s2, s20
	s_addc_u32 s4, s3, s4
	s_abs_i32 s50, s22
	v_cvt_f32_u32_e32 v1, s50
	s_sub_i32 s2, 0, s50
	v_lshlrev_b32_e32 v16, 7, v0
	v_bfe_u32 v8, v24, 1, 5
	v_rcp_iflag_f32_e32 v1, v1
	v_lshlrev_b32_e32 v4, 4, v8
	v_mov_b32_e32 v5, s4
	v_add_co_u32_e64 v4, s[4:5], s5, v4
	v_mul_f32_e32 v1, 0x4f7ffffe, v1
	v_cvt_u32_f32_e32 v1, v1
	v_addc_co_u32_e64 v5, s[4:5], 0, v5, s[4:5]
	v_mov_b32_e32 v7, v2
	v_mul_lo_u32 v0, s2, v1
	s_mov_b32 s51, s17
	v_mov_b32_e32 v2, 0
	v_cmp_neq_f32_e64 s[2:3], s48, 0
	v_mul_hi_u32 v0, v1, v0
	s_mov_b64 s[38:39], 0
	s_movk_i32 s52, 0x80
	s_movk_i32 s53, 0x7f
	v_add_u32_e32 v0, v1, v0
	buffer_store_dword v0, off, s[56:59], 0 offset:64 ; 4-byte Folded Spill
	v_add_co_u32_e64 v0, s[4:5], v4, v3
	v_addc_co_u32_e64 v1, s[4:5], 0, v5, s[4:5]
	buffer_store_dword v0, off, s[56:59], 0 offset:160 ; 4-byte Folded Spill
	s_nop 0
	buffer_store_dword v1, off, s[56:59], 0 offset:164 ; 4-byte Folded Spill
	buffer_load_dword v0, off, s[56:59], 0 offset:184 ; 4-byte Folded Reload
	s_lshl_b64 s[4:5], s[30:31], 2
	buffer_load_dword v24, off, s[56:59], 0 ; 4-byte Folded Reload
	s_add_u32 s4, s28, s4
	s_addc_u32 s5, s29, s5
	v_mov_b32_e32 v1, s5
	s_mov_b32 s54, 0x8000
	s_mov_b32 s55, 0xffffff
	s_waitcnt vmcnt(1)
	v_and_b32_e32 v0, 60, v0
	v_add_co_u32_e64 v5, s[4:5], s4, v0
	v_subrev_u32_e32 v0, s33, v8
	v_add_u32_e32 v0, 1, v0
	buffer_store_dword v0, off, s[56:59], 0 offset:176 ; 4-byte Folded Spill
	buffer_store_dword v8, off, s[56:59], 0 offset:172 ; 4-byte Folded Spill
	v_lshlrev_b32_e32 v0, 2, v8
	s_waitcnt vmcnt(2)
	v_lshl_or_b32 v0, v24, 7, v0
	v_add_u32_e32 v21, 0x110, v0
	v_mbcnt_hi_u32_b32 v0, -1, v7
	v_addc_co_u32_e64 v6, s[4:5], 0, v1, s[4:5]
	v_lshlrev_b32_e32 v19, 5, v24
	buffer_store_dword v0, off, s[56:59], 0 offset:168 ; 4-byte Folded Spill
	v_mov_b32_e32 v0, 0xff7fffff
	buffer_store_dword v0, off, s[56:59], 0 offset:156 ; 4-byte Folded Spill
	s_branch .LBB260_13
.LBB260_11:                             ;   in Loop: Header=BB260_13 Depth=1
	s_or_b64 exec, exec, s[40:41]
.LBB260_12:                             ;   in Loop: Header=BB260_13 Depth=1
	s_or_b64 exec, exec, s[6:7]
	v_add_co_u32_e64 v5, s[4:5], 8, v5
	v_add_u32_e32 v24, 2, v24
	v_addc_co_u32_e64 v6, s[4:5], 0, v6, s[4:5]
	v_cmp_le_i32_e64 s[4:5], s47, v24
	v_add_u32_e32 v19, 64, v19
	s_or_b64 s[38:39], s[4:5], s[38:39]
	v_add_u32_e32 v21, 0x100, v21
	s_andn2_b64 exec, exec, s[38:39]
	s_cbranch_execz .LBB260_404
.LBB260_13:                             ; =>This Inner Loop Header: Depth=1
	buffer_load_dword v4, off, s[56:59], 0 offset:64 ; 4-byte Folded Reload
	v_mul_hi_u32 v0, v19, s46
	s_waitcnt lgkmcnt(0)
	v_mul_lo_u32 v1, v0, s25
	v_add_u32_e32 v3, 1, v0
	v_sub_u32_e32 v1, v19, v1
	v_cmp_le_u32_e64 s[4:5], s25, v1
	v_cndmask_b32_e64 v0, v0, v3, s[4:5]
	v_subrev_u32_e32 v3, s25, v1
	v_cndmask_b32_e64 v1, v1, v3, s[4:5]
	v_add_u32_e32 v3, 1, v0
	v_cmp_le_u32_e64 s[4:5], s25, v1
	v_cndmask_b32_e64 v0, v0, v3, s[4:5]
	v_xor_b32_e32 v0, s23, v0
	v_subrev_u32_e32 v0, s23, v0
	v_add_u32_e32 v1, s36, v0
	v_sub_u32_e32 v3, 0, v1
	v_max_i32_e32 v3, v1, v3
	v_ashrrev_i32_e32 v1, 31, v1
	v_cmp_ge_i32_e64 s[6:7], s49, v0
	s_waitcnt vmcnt(0)
	v_mul_hi_u32 v4, v3, v4
	v_mul_lo_u32 v4, v4, s50
	v_sub_u32_e32 v3, v3, v4
	v_subrev_u32_e32 v4, s50, v3
	v_cmp_le_u32_e64 s[4:5], s50, v3
	v_cndmask_b32_e64 v3, v3, v4, s[4:5]
	v_subrev_u32_e32 v4, s50, v3
	v_cmp_le_u32_e64 s[4:5], s50, v3
	v_cndmask_b32_e64 v3, v3, v4, s[4:5]
	v_xor_b32_e32 v3, v3, v1
	v_sub_u32_e32 v1, v3, v1
	v_cmp_ne_u32_e64 s[4:5], 0, v1
	s_and_b64 s[4:5], s[4:5], s[6:7]
	s_and_saveexec_b64 s[6:7], s[4:5]
	s_xor_b64 s[4:5], exec, s[6:7]
	s_cbranch_execz .LBB260_17
; %bb.14:                               ;   in Loop: Header=BB260_13 Depth=1
	s_and_saveexec_b64 s[6:7], vcc
; %bb.15:                               ;   in Loop: Header=BB260_13 Depth=1
	v_mov_b32_e32 v0, 0xff7fffff
	ds_write_b32 v21, v0
; %bb.16:                               ;   in Loop: Header=BB260_13 Depth=1
	s_or_b64 exec, exec, s[6:7]
.LBB260_17:                             ;   in Loop: Header=BB260_13 Depth=1
	s_andn2_saveexec_b64 s[6:7], s[4:5]
	s_cbranch_execz .LBB260_12
; %bb.18:                               ;   in Loop: Header=BB260_13 Depth=1
	global_load_dword v0, v[5:6], off
	buffer_load_dword v3, off, s[56:59], 0 offset:160 ; 4-byte Folded Reload
	buffer_load_dword v4, off, s[56:59], 0 offset:164 ; 4-byte Folded Reload
	v_mov_b32_e32 v1, 0
	global_load_dword v25, v1, s[12:13]
	v_mov_b32_e32 v63, 0
	s_waitcnt vmcnt(1)
	v_mad_i64_i32 v[7:8], s[4:5], v0, s51, v[3:4]
	v_mov_b32_e32 v0, 0
	buffer_store_dword v0, off, s[56:59], 0 offset:4 ; 4-byte Folded Spill
	global_load_dword v9, v[7:8], off
	s_waitcnt vmcnt(0)
	v_cmp_ne_u16_sdwa s[4:5], v9, v2 src0_sel:BYTE_0 src1_sel:DWORD
	s_and_saveexec_b64 s[40:41], s[4:5]
	s_cbranch_execz .LBB260_24
; %bb.19:                               ;   in Loop: Header=BB260_13 Depth=1
	v_cmp_ne_u16_sdwa s[4:5], v9, s52 src0_sel:BYTE_0 src1_sel:DWORD
	v_mov_b32_e32 v63, 0x8000
	s_and_saveexec_b64 s[42:43], s[4:5]
	s_cbranch_execz .LBB260_23
; %bb.20:                               ;   in Loop: Header=BB260_13 Depth=1
	v_and_b32_e32 v0, 0x7f, v9
	v_cmp_ne_u32_e64 s[4:5], s53, v0
	v_mov_b32_e32 v63, 0x7c01
	s_and_saveexec_b64 s[44:45], s[4:5]
	s_cbranch_execz .LBB260_22
; %bb.21:                               ;   in Loop: Header=BB260_13 Depth=1
	v_and_b32_e32 v1, 7, v9
	v_ffbh_u32_e32 v3, v1
	v_min_u32_e32 v11, 32, v3
	v_lshrrev_b32_e32 v10, 3, v0
	v_subrev_u32_e32 v3, 28, v11
	v_lshlrev_b64 v[3:4], v3, v[9:10]
	v_sub_u32_e32 v4, 29, v11
	v_cmp_gt_u32_e64 s[4:5], 8, v0
	v_cndmask_b32_e64 v0, v10, v4, s[4:5]
	v_mov_b32_e32 v10, 0x2000
	v_lshl_add_u32 v0, v0, 10, v10
	v_lshlrev_b32_e32 v4, 8, v9
	v_and_b32_e32 v3, 7, v3
	v_and_b32_e32 v0, 0xfc00, v0
	v_cndmask_b32_e64 v1, v1, v3, s[4:5]
	v_and_or_b32 v0, v4, s54, v0
	v_lshl_or_b32 v63, v1, 7, v0
.LBB260_22:                             ;   in Loop: Header=BB260_13 Depth=1
	s_or_b64 exec, exec, s[44:45]
.LBB260_23:                             ;   in Loop: Header=BB260_13 Depth=1
	s_or_b64 exec, exec, s[42:43]
.LBB260_24:                             ;   in Loop: Header=BB260_13 Depth=1
	s_or_b64 exec, exec, s[40:41]
	v_lshrrev_b16_e32 v1, 8, v9
	v_cmp_ne_u16_e64 s[4:5], 0, v1
	s_and_saveexec_b64 s[40:41], s[4:5]
	s_cbranch_execz .LBB260_30
; %bb.25:                               ;   in Loop: Header=BB260_13 Depth=1
	v_cmp_ne_u16_e64 s[4:5], s52, v1
	v_bfrev_b32_e32 v0, 1
	buffer_store_dword v0, off, s[56:59], 0 offset:4 ; 4-byte Folded Spill
	s_and_saveexec_b64 s[42:43], s[4:5]
	s_cbranch_execz .LBB260_29
; %bb.26:                               ;   in Loop: Header=BB260_13 Depth=1
	v_and_b32_e32 v0, 0x7f, v1
	v_cmp_ne_u32_e64 s[4:5], s53, v0
	v_mov_b32_e32 v3, 0x7c010000
	buffer_store_dword v3, off, s[56:59], 0 offset:4 ; 4-byte Folded Spill
	s_and_saveexec_b64 s[44:45], s[4:5]
	s_cbranch_execz .LBB260_28
; %bb.27:                               ;   in Loop: Header=BB260_13 Depth=1
	v_and_b32_e32 v10, 7, v1
	v_ffbh_u32_e32 v3, v10
	v_min_u32_e32 v13, 32, v3
	v_subrev_u32_e32 v3, 28, v13
	v_lshlrev_b64 v[3:4], v3, v[1:2]
	v_lshrrev_b32_e32 v11, 3, v0
	v_sub_u32_e32 v4, 29, v13
	v_cmp_gt_u32_e64 s[4:5], 8, v0
	v_cndmask_b32_e64 v0, v11, v4, s[4:5]
	v_mov_b32_e32 v4, 0x2000
	v_lshlrev_b32_e32 v1, 8, v1
	v_lshl_add_u32 v0, v0, 10, v4
	v_and_b32_e32 v3, 7, v3
	v_and_or_b32 v0, v1, s54, v0
	v_cndmask_b32_e64 v3, v10, v3, s[4:5]
	v_lshlrev_b32_e32 v0, 16, v0
	v_lshl_or_b32 v0, v3, 23, v0
	buffer_store_dword v0, off, s[56:59], 0 offset:4 ; 4-byte Folded Spill
.LBB260_28:                             ;   in Loop: Header=BB260_13 Depth=1
	s_or_b64 exec, exec, s[44:45]
.LBB260_29:                             ;   in Loop: Header=BB260_13 Depth=1
	s_or_b64 exec, exec, s[42:43]
.LBB260_30:                             ;   in Loop: Header=BB260_13 Depth=1
	s_or_b64 exec, exec, s[40:41]
	v_lshrrev_b32_e32 v1, 16, v9
	v_cmp_ne_u16_sdwa s[4:5], v1, v2 src0_sel:BYTE_0 src1_sel:DWORD
	v_mov_b32_e32 v35, 0
	v_mov_b32_e32 v0, 0
	buffer_store_dword v0, off, s[56:59], 0 offset:8 ; 4-byte Folded Spill
	s_and_saveexec_b64 s[40:41], s[4:5]
	s_cbranch_execz .LBB260_36
; %bb.31:                               ;   in Loop: Header=BB260_13 Depth=1
	v_cmp_ne_u16_sdwa s[4:5], v1, s52 src0_sel:BYTE_0 src1_sel:DWORD
	v_mov_b32_e32 v0, 0x8000
	buffer_store_dword v0, off, s[56:59], 0 offset:8 ; 4-byte Folded Spill
	s_and_saveexec_b64 s[42:43], s[4:5]
	s_cbranch_execz .LBB260_35
; %bb.32:                               ;   in Loop: Header=BB260_13 Depth=1
	v_bfe_u32 v0, v9, 16, 7
	v_cmp_ne_u32_e64 s[4:5], s53, v0
	v_mov_b32_e32 v3, 0x7c01
	buffer_store_dword v3, off, s[56:59], 0 offset:8 ; 4-byte Folded Spill
	s_and_saveexec_b64 s[44:45], s[4:5]
	s_cbranch_execz .LBB260_34
; %bb.33:                               ;   in Loop: Header=BB260_13 Depth=1
	v_and_b32_e32 v10, 7, v1
	v_ffbh_u32_e32 v3, v10
	v_min_u32_e32 v13, 32, v3
	v_subrev_u32_e32 v3, 28, v13
	v_lshlrev_b64 v[3:4], v3, v[1:2]
	v_lshrrev_b32_e32 v11, 3, v0
	v_sub_u32_e32 v4, 29, v13
	v_cmp_gt_u32_e64 s[4:5], 8, v0
	v_cndmask_b32_e64 v0, v11, v4, s[4:5]
	v_mov_b32_e32 v4, 0x2000
	v_lshl_add_u32 v0, v0, 10, v4
	v_lshlrev_b32_e32 v1, 8, v1
	v_and_b32_e32 v3, 7, v3
	v_and_b32_e32 v0, 0xfc00, v0
	v_cndmask_b32_e64 v3, v10, v3, s[4:5]
	v_and_or_b32 v0, v1, s54, v0
	v_lshl_or_b32 v0, v3, 7, v0
	buffer_store_dword v0, off, s[56:59], 0 offset:8 ; 4-byte Folded Spill
.LBB260_34:                             ;   in Loop: Header=BB260_13 Depth=1
	s_or_b64 exec, exec, s[44:45]
.LBB260_35:                             ;   in Loop: Header=BB260_13 Depth=1
	s_or_b64 exec, exec, s[42:43]
.LBB260_36:                             ;   in Loop: Header=BB260_13 Depth=1
	s_or_b64 exec, exec, s[40:41]
	v_cmp_lt_u32_e64 s[4:5], s55, v9
	s_and_saveexec_b64 s[40:41], s[4:5]
	s_cbranch_execz .LBB260_42
; %bb.37:                               ;   in Loop: Header=BB260_13 Depth=1
	v_lshrrev_b32_e32 v1, 24, v9
	v_cmp_ne_u32_e64 s[4:5], s52, v1
	v_bfrev_b32_e32 v35, 1
	s_and_saveexec_b64 s[42:43], s[4:5]
	s_cbranch_execz .LBB260_41
; %bb.38:                               ;   in Loop: Header=BB260_13 Depth=1
	v_and_b32_e32 v0, 0x7f, v1
	v_cmp_ne_u32_e64 s[4:5], s53, v0
	v_mov_b32_e32 v35, 0x7c010000
	s_and_saveexec_b64 s[44:45], s[4:5]
	s_cbranch_execz .LBB260_40
; %bb.39:                               ;   in Loop: Header=BB260_13 Depth=1
	v_and_b32_e32 v9, 7, v1
	v_ffbh_u32_e32 v3, v9
	v_min_u32_e32 v11, 32, v3
	v_subrev_u32_e32 v3, 28, v11
	v_lshlrev_b64 v[3:4], v3, v[1:2]
	v_lshrrev_b32_e32 v10, 3, v0
	v_sub_u32_e32 v4, 29, v11
	v_cmp_gt_u32_e64 s[4:5], 8, v0
	v_cndmask_b32_e64 v0, v10, v4, s[4:5]
	v_mov_b32_e32 v4, 0x2000
	v_lshlrev_b32_e32 v1, 8, v1
	v_lshl_add_u32 v0, v0, 10, v4
	v_and_b32_e32 v3, 7, v3
	v_and_or_b32 v0, v1, s54, v0
	v_cndmask_b32_e64 v3, v9, v3, s[4:5]
	v_lshlrev_b32_e32 v0, 16, v0
	v_lshl_or_b32 v35, v3, 23, v0
.LBB260_40:                             ;   in Loop: Header=BB260_13 Depth=1
	s_or_b64 exec, exec, s[44:45]
.LBB260_41:                             ;   in Loop: Header=BB260_13 Depth=1
	s_or_b64 exec, exec, s[42:43]
.LBB260_42:                             ;   in Loop: Header=BB260_13 Depth=1
	s_or_b64 exec, exec, s[40:41]
	global_load_dword v9, v[7:8], off offset:8
	v_mov_b32_e32 v34, 0
	v_mov_b32_e32 v49, 0
	s_waitcnt vmcnt(0)
	v_cmp_ne_u16_sdwa s[4:5], v9, v2 src0_sel:BYTE_0 src1_sel:DWORD
	s_and_saveexec_b64 s[40:41], s[4:5]
	s_cbranch_execz .LBB260_48
; %bb.43:                               ;   in Loop: Header=BB260_13 Depth=1
	v_cmp_ne_u16_sdwa s[4:5], v9, s52 src0_sel:BYTE_0 src1_sel:DWORD
	v_mov_b32_e32 v49, 0x8000
	s_and_saveexec_b64 s[42:43], s[4:5]
	s_cbranch_execz .LBB260_47
; %bb.44:                               ;   in Loop: Header=BB260_13 Depth=1
	v_and_b32_e32 v0, 0x7f, v9
	v_cmp_ne_u32_e64 s[4:5], s53, v0
	v_mov_b32_e32 v49, 0x7c01
	s_and_saveexec_b64 s[44:45], s[4:5]
	s_cbranch_execz .LBB260_46
; %bb.45:                               ;   in Loop: Header=BB260_13 Depth=1
	v_and_b32_e32 v1, 7, v9
	v_ffbh_u32_e32 v3, v1
	v_min_u32_e32 v11, 32, v3
	v_lshrrev_b32_e32 v10, 3, v0
	v_subrev_u32_e32 v3, 28, v11
	v_lshlrev_b64 v[3:4], v3, v[9:10]
	v_sub_u32_e32 v4, 29, v11
	v_cmp_gt_u32_e64 s[4:5], 8, v0
	v_cndmask_b32_e64 v0, v10, v4, s[4:5]
	v_mov_b32_e32 v10, 0x2000
	v_lshl_add_u32 v0, v0, 10, v10
	v_lshlrev_b32_e32 v4, 8, v9
	v_and_b32_e32 v3, 7, v3
	v_and_b32_e32 v0, 0xfc00, v0
	v_cndmask_b32_e64 v1, v1, v3, s[4:5]
	v_and_or_b32 v0, v4, s54, v0
	v_lshl_or_b32 v49, v1, 7, v0
.LBB260_46:                             ;   in Loop: Header=BB260_13 Depth=1
	s_or_b64 exec, exec, s[44:45]
.LBB260_47:                             ;   in Loop: Header=BB260_13 Depth=1
	s_or_b64 exec, exec, s[42:43]
.LBB260_48:                             ;   in Loop: Header=BB260_13 Depth=1
	s_or_b64 exec, exec, s[40:41]
	v_lshrrev_b16_e32 v1, 8, v9
	v_cmp_ne_u16_e64 s[4:5], 0, v1
	s_and_saveexec_b64 s[40:41], s[4:5]
	s_cbranch_execz .LBB260_54
; %bb.49:                               ;   in Loop: Header=BB260_13 Depth=1
	v_cmp_ne_u16_e64 s[4:5], s52, v1
	v_bfrev_b32_e32 v34, 1
	s_and_saveexec_b64 s[42:43], s[4:5]
	s_cbranch_execz .LBB260_53
; %bb.50:                               ;   in Loop: Header=BB260_13 Depth=1
	v_and_b32_e32 v0, 0x7f, v1
	v_cmp_ne_u32_e64 s[4:5], s53, v0
	v_mov_b32_e32 v34, 0x7c010000
	s_and_saveexec_b64 s[44:45], s[4:5]
	s_cbranch_execz .LBB260_52
; %bb.51:                               ;   in Loop: Header=BB260_13 Depth=1
	v_and_b32_e32 v10, 7, v1
	v_ffbh_u32_e32 v3, v10
	v_min_u32_e32 v13, 32, v3
	v_subrev_u32_e32 v3, 28, v13
	v_lshlrev_b64 v[3:4], v3, v[1:2]
	v_lshrrev_b32_e32 v11, 3, v0
	v_sub_u32_e32 v4, 29, v13
	v_cmp_gt_u32_e64 s[4:5], 8, v0
	v_cndmask_b32_e64 v0, v11, v4, s[4:5]
	v_mov_b32_e32 v4, 0x2000
	v_lshlrev_b32_e32 v1, 8, v1
	v_lshl_add_u32 v0, v0, 10, v4
	v_and_b32_e32 v3, 7, v3
	v_and_or_b32 v0, v1, s54, v0
	v_cndmask_b32_e64 v3, v10, v3, s[4:5]
	v_lshlrev_b32_e32 v0, 16, v0
	v_lshl_or_b32 v34, v3, 23, v0
.LBB260_52:                             ;   in Loop: Header=BB260_13 Depth=1
	s_or_b64 exec, exec, s[44:45]
.LBB260_53:                             ;   in Loop: Header=BB260_13 Depth=1
	s_or_b64 exec, exec, s[42:43]
.LBB260_54:                             ;   in Loop: Header=BB260_13 Depth=1
	s_or_b64 exec, exec, s[40:41]
	v_lshrrev_b32_e32 v1, 16, v9
	v_cmp_ne_u16_sdwa s[4:5], v1, v2 src0_sel:BYTE_0 src1_sel:DWORD
	v_mov_b32_e32 v51, 0
	v_mov_b32_e32 v53, 0
	s_and_saveexec_b64 s[40:41], s[4:5]
	s_cbranch_execz .LBB260_60
; %bb.55:                               ;   in Loop: Header=BB260_13 Depth=1
	v_cmp_ne_u16_sdwa s[4:5], v1, s52 src0_sel:BYTE_0 src1_sel:DWORD
	v_mov_b32_e32 v53, 0x8000
	s_and_saveexec_b64 s[42:43], s[4:5]
	s_cbranch_execz .LBB260_59
; %bb.56:                               ;   in Loop: Header=BB260_13 Depth=1
	v_bfe_u32 v0, v9, 16, 7
	v_cmp_ne_u32_e64 s[4:5], s53, v0
	v_mov_b32_e32 v53, 0x7c01
	s_and_saveexec_b64 s[44:45], s[4:5]
	s_cbranch_execz .LBB260_58
; %bb.57:                               ;   in Loop: Header=BB260_13 Depth=1
	v_and_b32_e32 v10, 7, v1
	v_ffbh_u32_e32 v3, v10
	v_min_u32_e32 v13, 32, v3
	v_subrev_u32_e32 v3, 28, v13
	v_lshlrev_b64 v[3:4], v3, v[1:2]
	v_lshrrev_b32_e32 v11, 3, v0
	v_sub_u32_e32 v4, 29, v13
	v_cmp_gt_u32_e64 s[4:5], 8, v0
	v_cndmask_b32_e64 v0, v11, v4, s[4:5]
	v_mov_b32_e32 v4, 0x2000
	v_lshl_add_u32 v0, v0, 10, v4
	v_lshlrev_b32_e32 v1, 8, v1
	v_and_b32_e32 v3, 7, v3
	v_and_b32_e32 v0, 0xfc00, v0
	v_cndmask_b32_e64 v3, v10, v3, s[4:5]
	v_and_or_b32 v0, v1, s54, v0
	v_lshl_or_b32 v53, v3, 7, v0
.LBB260_58:                             ;   in Loop: Header=BB260_13 Depth=1
	s_or_b64 exec, exec, s[44:45]
.LBB260_59:                             ;   in Loop: Header=BB260_13 Depth=1
	s_or_b64 exec, exec, s[42:43]
.LBB260_60:                             ;   in Loop: Header=BB260_13 Depth=1
	s_or_b64 exec, exec, s[40:41]
	v_cmp_lt_u32_e64 s[4:5], s55, v9
	s_and_saveexec_b64 s[40:41], s[4:5]
	s_cbranch_execz .LBB260_66
; %bb.61:                               ;   in Loop: Header=BB260_13 Depth=1
	v_lshrrev_b32_e32 v1, 24, v9
	v_cmp_ne_u32_e64 s[4:5], s52, v1
	v_bfrev_b32_e32 v51, 1
	s_and_saveexec_b64 s[42:43], s[4:5]
	s_cbranch_execz .LBB260_65
; %bb.62:                               ;   in Loop: Header=BB260_13 Depth=1
	v_and_b32_e32 v0, 0x7f, v1
	v_cmp_ne_u32_e64 s[4:5], s53, v0
	v_mov_b32_e32 v51, 0x7c010000
	s_and_saveexec_b64 s[44:45], s[4:5]
	s_cbranch_execz .LBB260_64
; %bb.63:                               ;   in Loop: Header=BB260_13 Depth=1
	v_and_b32_e32 v9, 7, v1
	v_ffbh_u32_e32 v3, v9
	v_min_u32_e32 v11, 32, v3
	v_subrev_u32_e32 v3, 28, v11
	v_lshlrev_b64 v[3:4], v3, v[1:2]
	v_lshrrev_b32_e32 v10, 3, v0
	v_sub_u32_e32 v4, 29, v11
	v_cmp_gt_u32_e64 s[4:5], 8, v0
	v_cndmask_b32_e64 v0, v10, v4, s[4:5]
	v_mov_b32_e32 v4, 0x2000
	v_lshlrev_b32_e32 v1, 8, v1
	v_lshl_add_u32 v0, v0, 10, v4
	v_and_b32_e32 v3, 7, v3
	v_and_or_b32 v0, v1, s54, v0
	v_cndmask_b32_e64 v3, v9, v3, s[4:5]
	v_lshlrev_b32_e32 v0, 16, v0
	v_lshl_or_b32 v51, v3, 23, v0
.LBB260_64:                             ;   in Loop: Header=BB260_13 Depth=1
	s_or_b64 exec, exec, s[44:45]
.LBB260_65:                             ;   in Loop: Header=BB260_13 Depth=1
	s_or_b64 exec, exec, s[42:43]
.LBB260_66:                             ;   in Loop: Header=BB260_13 Depth=1
	s_or_b64 exec, exec, s[40:41]
	global_load_dword v9, v[7:8], off offset:512
	v_mov_b32_e32 v30, 0
	v_mov_b32_e32 v36, 0
	s_waitcnt vmcnt(0)
	v_cmp_ne_u16_sdwa s[4:5], v9, v2 src0_sel:BYTE_0 src1_sel:DWORD
	s_and_saveexec_b64 s[40:41], s[4:5]
	s_cbranch_execz .LBB260_72
; %bb.67:                               ;   in Loop: Header=BB260_13 Depth=1
	v_cmp_ne_u16_sdwa s[4:5], v9, s52 src0_sel:BYTE_0 src1_sel:DWORD
	v_mov_b32_e32 v36, 0x8000
	s_and_saveexec_b64 s[42:43], s[4:5]
	s_cbranch_execz .LBB260_71
; %bb.68:                               ;   in Loop: Header=BB260_13 Depth=1
	v_and_b32_e32 v0, 0x7f, v9
	v_cmp_ne_u32_e64 s[4:5], s53, v0
	v_mov_b32_e32 v36, 0x7c01
	s_and_saveexec_b64 s[44:45], s[4:5]
	s_cbranch_execz .LBB260_70
; %bb.69:                               ;   in Loop: Header=BB260_13 Depth=1
	v_and_b32_e32 v1, 7, v9
	v_ffbh_u32_e32 v3, v1
	v_min_u32_e32 v11, 32, v3
	v_lshrrev_b32_e32 v10, 3, v0
	v_subrev_u32_e32 v3, 28, v11
	v_lshlrev_b64 v[3:4], v3, v[9:10]
	v_sub_u32_e32 v4, 29, v11
	v_cmp_gt_u32_e64 s[4:5], 8, v0
	v_cndmask_b32_e64 v0, v10, v4, s[4:5]
	v_mov_b32_e32 v10, 0x2000
	v_lshl_add_u32 v0, v0, 10, v10
	v_lshlrev_b32_e32 v4, 8, v9
	v_and_b32_e32 v3, 7, v3
	v_and_b32_e32 v0, 0xfc00, v0
	v_cndmask_b32_e64 v1, v1, v3, s[4:5]
	v_and_or_b32 v0, v4, s54, v0
	v_lshl_or_b32 v36, v1, 7, v0
.LBB260_70:                             ;   in Loop: Header=BB260_13 Depth=1
	s_or_b64 exec, exec, s[44:45]
.LBB260_71:                             ;   in Loop: Header=BB260_13 Depth=1
	s_or_b64 exec, exec, s[42:43]
.LBB260_72:                             ;   in Loop: Header=BB260_13 Depth=1
	s_or_b64 exec, exec, s[40:41]
	v_lshrrev_b16_e32 v1, 8, v9
	v_cmp_ne_u16_e64 s[4:5], 0, v1
	s_and_saveexec_b64 s[40:41], s[4:5]
	s_cbranch_execz .LBB260_78
; %bb.73:                               ;   in Loop: Header=BB260_13 Depth=1
	v_cmp_ne_u16_e64 s[4:5], s52, v1
	v_bfrev_b32_e32 v30, 1
	s_and_saveexec_b64 s[42:43], s[4:5]
	s_cbranch_execz .LBB260_77
; %bb.74:                               ;   in Loop: Header=BB260_13 Depth=1
	v_and_b32_e32 v0, 0x7f, v1
	v_cmp_ne_u32_e64 s[4:5], s53, v0
	v_mov_b32_e32 v30, 0x7c010000
	s_and_saveexec_b64 s[44:45], s[4:5]
	s_cbranch_execz .LBB260_76
; %bb.75:                               ;   in Loop: Header=BB260_13 Depth=1
	v_and_b32_e32 v10, 7, v1
	v_ffbh_u32_e32 v3, v10
	v_min_u32_e32 v13, 32, v3
	v_subrev_u32_e32 v3, 28, v13
	v_lshlrev_b64 v[3:4], v3, v[1:2]
	v_lshrrev_b32_e32 v11, 3, v0
	v_sub_u32_e32 v4, 29, v13
	v_cmp_gt_u32_e64 s[4:5], 8, v0
	v_cndmask_b32_e64 v0, v11, v4, s[4:5]
	v_mov_b32_e32 v4, 0x2000
	v_lshlrev_b32_e32 v1, 8, v1
	v_lshl_add_u32 v0, v0, 10, v4
	v_and_b32_e32 v3, 7, v3
	v_and_or_b32 v0, v1, s54, v0
	v_cndmask_b32_e64 v3, v10, v3, s[4:5]
	v_lshlrev_b32_e32 v0, 16, v0
	v_lshl_or_b32 v30, v3, 23, v0
.LBB260_76:                             ;   in Loop: Header=BB260_13 Depth=1
	s_or_b64 exec, exec, s[44:45]
.LBB260_77:                             ;   in Loop: Header=BB260_13 Depth=1
	s_or_b64 exec, exec, s[42:43]
.LBB260_78:                             ;   in Loop: Header=BB260_13 Depth=1
	s_or_b64 exec, exec, s[40:41]
	v_lshrrev_b32_e32 v1, 16, v9
	v_cmp_ne_u16_sdwa s[4:5], v1, v2 src0_sel:BYTE_0 src1_sel:DWORD
	v_mov_b32_e32 v55, 0
	v_mov_b32_e32 v42, 0
	s_and_saveexec_b64 s[40:41], s[4:5]
	s_cbranch_execz .LBB260_84
; %bb.79:                               ;   in Loop: Header=BB260_13 Depth=1
	v_cmp_ne_u16_sdwa s[4:5], v1, s52 src0_sel:BYTE_0 src1_sel:DWORD
	v_mov_b32_e32 v42, 0x8000
	s_and_saveexec_b64 s[42:43], s[4:5]
	s_cbranch_execz .LBB260_83
; %bb.80:                               ;   in Loop: Header=BB260_13 Depth=1
	v_bfe_u32 v0, v9, 16, 7
	v_cmp_ne_u32_e64 s[4:5], s53, v0
	v_mov_b32_e32 v42, 0x7c01
	s_and_saveexec_b64 s[44:45], s[4:5]
	s_cbranch_execz .LBB260_82
; %bb.81:                               ;   in Loop: Header=BB260_13 Depth=1
	v_and_b32_e32 v10, 7, v1
	v_ffbh_u32_e32 v3, v10
	v_min_u32_e32 v13, 32, v3
	v_subrev_u32_e32 v3, 28, v13
	v_lshlrev_b64 v[3:4], v3, v[1:2]
	v_lshrrev_b32_e32 v11, 3, v0
	v_sub_u32_e32 v4, 29, v13
	v_cmp_gt_u32_e64 s[4:5], 8, v0
	v_cndmask_b32_e64 v0, v11, v4, s[4:5]
	v_mov_b32_e32 v4, 0x2000
	v_lshl_add_u32 v0, v0, 10, v4
	v_lshlrev_b32_e32 v1, 8, v1
	v_and_b32_e32 v3, 7, v3
	v_and_b32_e32 v0, 0xfc00, v0
	v_cndmask_b32_e64 v3, v10, v3, s[4:5]
	v_and_or_b32 v0, v1, s54, v0
	v_lshl_or_b32 v42, v3, 7, v0
.LBB260_82:                             ;   in Loop: Header=BB260_13 Depth=1
	s_or_b64 exec, exec, s[44:45]
.LBB260_83:                             ;   in Loop: Header=BB260_13 Depth=1
	s_or_b64 exec, exec, s[42:43]
.LBB260_84:                             ;   in Loop: Header=BB260_13 Depth=1
	s_or_b64 exec, exec, s[40:41]
	v_cmp_lt_u32_e64 s[4:5], s55, v9
	s_and_saveexec_b64 s[40:41], s[4:5]
	s_cbranch_execz .LBB260_90
; %bb.85:                               ;   in Loop: Header=BB260_13 Depth=1
	v_lshrrev_b32_e32 v1, 24, v9
	v_cmp_ne_u32_e64 s[4:5], s52, v1
	v_bfrev_b32_e32 v55, 1
	s_and_saveexec_b64 s[42:43], s[4:5]
	s_cbranch_execz .LBB260_89
; %bb.86:                               ;   in Loop: Header=BB260_13 Depth=1
	v_and_b32_e32 v0, 0x7f, v1
	v_cmp_ne_u32_e64 s[4:5], s53, v0
	v_mov_b32_e32 v55, 0x7c010000
	s_and_saveexec_b64 s[44:45], s[4:5]
	s_cbranch_execz .LBB260_88
; %bb.87:                               ;   in Loop: Header=BB260_13 Depth=1
	v_and_b32_e32 v9, 7, v1
	v_ffbh_u32_e32 v3, v9
	v_min_u32_e32 v11, 32, v3
	v_subrev_u32_e32 v3, 28, v11
	v_lshlrev_b64 v[3:4], v3, v[1:2]
	v_lshrrev_b32_e32 v10, 3, v0
	v_sub_u32_e32 v4, 29, v11
	v_cmp_gt_u32_e64 s[4:5], 8, v0
	v_cndmask_b32_e64 v0, v10, v4, s[4:5]
	v_mov_b32_e32 v4, 0x2000
	v_lshlrev_b32_e32 v1, 8, v1
	v_lshl_add_u32 v0, v0, 10, v4
	v_and_b32_e32 v3, 7, v3
	v_and_or_b32 v0, v1, s54, v0
	v_cndmask_b32_e64 v3, v9, v3, s[4:5]
	v_lshlrev_b32_e32 v0, 16, v0
	v_lshl_or_b32 v55, v3, 23, v0
.LBB260_88:                             ;   in Loop: Header=BB260_13 Depth=1
	s_or_b64 exec, exec, s[44:45]
.LBB260_89:                             ;   in Loop: Header=BB260_13 Depth=1
	s_or_b64 exec, exec, s[42:43]
.LBB260_90:                             ;   in Loop: Header=BB260_13 Depth=1
	s_or_b64 exec, exec, s[40:41]
	global_load_dword v9, v[7:8], off offset:520
	v_mov_b32_e32 v57, 0
	v_mov_b32_e32 v44, 0
	s_waitcnt vmcnt(0)
	v_cmp_ne_u16_sdwa s[4:5], v9, v2 src0_sel:BYTE_0 src1_sel:DWORD
	s_and_saveexec_b64 s[40:41], s[4:5]
	s_cbranch_execz .LBB260_96
; %bb.91:                               ;   in Loop: Header=BB260_13 Depth=1
	v_cmp_ne_u16_sdwa s[4:5], v9, s52 src0_sel:BYTE_0 src1_sel:DWORD
	v_mov_b32_e32 v44, 0x8000
	s_and_saveexec_b64 s[42:43], s[4:5]
	s_cbranch_execz .LBB260_95
; %bb.92:                               ;   in Loop: Header=BB260_13 Depth=1
	v_and_b32_e32 v0, 0x7f, v9
	v_cmp_ne_u32_e64 s[4:5], s53, v0
	v_mov_b32_e32 v44, 0x7c01
	s_and_saveexec_b64 s[44:45], s[4:5]
	s_cbranch_execz .LBB260_94
; %bb.93:                               ;   in Loop: Header=BB260_13 Depth=1
	v_and_b32_e32 v1, 7, v9
	v_ffbh_u32_e32 v3, v1
	v_min_u32_e32 v11, 32, v3
	v_lshrrev_b32_e32 v10, 3, v0
	v_subrev_u32_e32 v3, 28, v11
	v_lshlrev_b64 v[3:4], v3, v[9:10]
	v_sub_u32_e32 v4, 29, v11
	v_cmp_gt_u32_e64 s[4:5], 8, v0
	v_cndmask_b32_e64 v0, v10, v4, s[4:5]
	v_mov_b32_e32 v10, 0x2000
	v_lshl_add_u32 v0, v0, 10, v10
	v_lshlrev_b32_e32 v4, 8, v9
	v_and_b32_e32 v3, 7, v3
	v_and_b32_e32 v0, 0xfc00, v0
	v_cndmask_b32_e64 v1, v1, v3, s[4:5]
	v_and_or_b32 v0, v4, s54, v0
	v_lshl_or_b32 v44, v1, 7, v0
.LBB260_94:                             ;   in Loop: Header=BB260_13 Depth=1
	s_or_b64 exec, exec, s[44:45]
.LBB260_95:                             ;   in Loop: Header=BB260_13 Depth=1
	s_or_b64 exec, exec, s[42:43]
.LBB260_96:                             ;   in Loop: Header=BB260_13 Depth=1
	s_or_b64 exec, exec, s[40:41]
	v_lshrrev_b16_e32 v1, 8, v9
	v_cmp_ne_u16_e64 s[4:5], 0, v1
	s_and_saveexec_b64 s[40:41], s[4:5]
	s_cbranch_execz .LBB260_102
; %bb.97:                               ;   in Loop: Header=BB260_13 Depth=1
	v_cmp_ne_u16_e64 s[4:5], s52, v1
	v_bfrev_b32_e32 v57, 1
	s_and_saveexec_b64 s[42:43], s[4:5]
	s_cbranch_execz .LBB260_101
; %bb.98:                               ;   in Loop: Header=BB260_13 Depth=1
	v_and_b32_e32 v0, 0x7f, v1
	v_cmp_ne_u32_e64 s[4:5], s53, v0
	v_mov_b32_e32 v57, 0x7c010000
	s_and_saveexec_b64 s[44:45], s[4:5]
	s_cbranch_execz .LBB260_100
; %bb.99:                               ;   in Loop: Header=BB260_13 Depth=1
	v_and_b32_e32 v10, 7, v1
	v_ffbh_u32_e32 v3, v10
	v_min_u32_e32 v13, 32, v3
	v_subrev_u32_e32 v3, 28, v13
	v_lshlrev_b64 v[3:4], v3, v[1:2]
	v_lshrrev_b32_e32 v11, 3, v0
	v_sub_u32_e32 v4, 29, v13
	v_cmp_gt_u32_e64 s[4:5], 8, v0
	v_cndmask_b32_e64 v0, v11, v4, s[4:5]
	v_mov_b32_e32 v4, 0x2000
	v_lshlrev_b32_e32 v1, 8, v1
	v_lshl_add_u32 v0, v0, 10, v4
	v_and_b32_e32 v3, 7, v3
	v_and_or_b32 v0, v1, s54, v0
	v_cndmask_b32_e64 v3, v10, v3, s[4:5]
	v_lshlrev_b32_e32 v0, 16, v0
	v_lshl_or_b32 v57, v3, 23, v0
.LBB260_100:                            ;   in Loop: Header=BB260_13 Depth=1
	s_or_b64 exec, exec, s[44:45]
.LBB260_101:                            ;   in Loop: Header=BB260_13 Depth=1
	s_or_b64 exec, exec, s[42:43]
.LBB260_102:                            ;   in Loop: Header=BB260_13 Depth=1
	s_or_b64 exec, exec, s[40:41]
	v_lshrrev_b32_e32 v1, 16, v9
	v_cmp_ne_u16_sdwa s[4:5], v1, v2 src0_sel:BYTE_0 src1_sel:DWORD
	v_mov_b32_e32 v46, 0
	v_mov_b32_e32 v27, 0
	s_and_saveexec_b64 s[40:41], s[4:5]
	s_cbranch_execz .LBB260_108
; %bb.103:                              ;   in Loop: Header=BB260_13 Depth=1
	v_cmp_ne_u16_sdwa s[4:5], v1, s52 src0_sel:BYTE_0 src1_sel:DWORD
	v_mov_b32_e32 v27, 0x8000
	s_and_saveexec_b64 s[42:43], s[4:5]
	s_cbranch_execz .LBB260_107
; %bb.104:                              ;   in Loop: Header=BB260_13 Depth=1
	v_bfe_u32 v0, v9, 16, 7
	v_cmp_ne_u32_e64 s[4:5], s53, v0
	v_mov_b32_e32 v27, 0x7c01
	s_and_saveexec_b64 s[44:45], s[4:5]
	s_cbranch_execz .LBB260_106
; %bb.105:                              ;   in Loop: Header=BB260_13 Depth=1
	v_and_b32_e32 v10, 7, v1
	v_ffbh_u32_e32 v3, v10
	v_min_u32_e32 v13, 32, v3
	v_subrev_u32_e32 v3, 28, v13
	v_lshlrev_b64 v[3:4], v3, v[1:2]
	v_lshrrev_b32_e32 v11, 3, v0
	v_sub_u32_e32 v4, 29, v13
	v_cmp_gt_u32_e64 s[4:5], 8, v0
	v_cndmask_b32_e64 v0, v11, v4, s[4:5]
	v_mov_b32_e32 v4, 0x2000
	v_lshl_add_u32 v0, v0, 10, v4
	v_lshlrev_b32_e32 v1, 8, v1
	v_and_b32_e32 v3, 7, v3
	v_and_b32_e32 v0, 0xfc00, v0
	v_cndmask_b32_e64 v3, v10, v3, s[4:5]
	v_and_or_b32 v0, v1, s54, v0
	v_lshl_or_b32 v27, v3, 7, v0
.LBB260_106:                            ;   in Loop: Header=BB260_13 Depth=1
	s_or_b64 exec, exec, s[44:45]
.LBB260_107:                            ;   in Loop: Header=BB260_13 Depth=1
	s_or_b64 exec, exec, s[42:43]
.LBB260_108:                            ;   in Loop: Header=BB260_13 Depth=1
	s_or_b64 exec, exec, s[40:41]
	v_cmp_lt_u32_e64 s[4:5], s55, v9
	s_and_saveexec_b64 s[40:41], s[4:5]
	s_cbranch_execz .LBB260_114
; %bb.109:                              ;   in Loop: Header=BB260_13 Depth=1
	v_lshrrev_b32_e32 v1, 24, v9
	v_cmp_ne_u32_e64 s[4:5], s52, v1
	v_bfrev_b32_e32 v46, 1
	s_and_saveexec_b64 s[42:43], s[4:5]
	s_cbranch_execz .LBB260_113
; %bb.110:                              ;   in Loop: Header=BB260_13 Depth=1
	v_and_b32_e32 v0, 0x7f, v1
	v_cmp_ne_u32_e64 s[4:5], s53, v0
	v_mov_b32_e32 v46, 0x7c010000
	s_and_saveexec_b64 s[44:45], s[4:5]
	s_cbranch_execz .LBB260_112
; %bb.111:                              ;   in Loop: Header=BB260_13 Depth=1
	v_and_b32_e32 v9, 7, v1
	v_ffbh_u32_e32 v3, v9
	v_min_u32_e32 v11, 32, v3
	v_subrev_u32_e32 v3, 28, v11
	v_lshlrev_b64 v[3:4], v3, v[1:2]
	v_lshrrev_b32_e32 v10, 3, v0
	v_sub_u32_e32 v4, 29, v11
	v_cmp_gt_u32_e64 s[4:5], 8, v0
	v_cndmask_b32_e64 v0, v10, v4, s[4:5]
	v_mov_b32_e32 v4, 0x2000
	v_lshlrev_b32_e32 v1, 8, v1
	v_lshl_add_u32 v0, v0, 10, v4
	v_and_b32_e32 v3, 7, v3
	v_and_or_b32 v0, v1, s54, v0
	v_cndmask_b32_e64 v3, v9, v3, s[4:5]
	v_lshlrev_b32_e32 v0, 16, v0
	v_lshl_or_b32 v46, v3, 23, v0
.LBB260_112:                            ;   in Loop: Header=BB260_13 Depth=1
	s_or_b64 exec, exec, s[44:45]
.LBB260_113:                            ;   in Loop: Header=BB260_13 Depth=1
	s_or_b64 exec, exec, s[42:43]
.LBB260_114:                            ;   in Loop: Header=BB260_13 Depth=1
	s_or_b64 exec, exec, s[40:41]
	global_load_dword v9, v[7:8], off offset:1024
	v_mov_b32_e32 v48, 0
	v_mov_b32_e32 v61, 0
	s_waitcnt vmcnt(0)
	v_cmp_ne_u16_sdwa s[4:5], v9, v2 src0_sel:BYTE_0 src1_sel:DWORD
	s_and_saveexec_b64 s[40:41], s[4:5]
	s_cbranch_execz .LBB260_120
; %bb.115:                              ;   in Loop: Header=BB260_13 Depth=1
	v_cmp_ne_u16_sdwa s[4:5], v9, s52 src0_sel:BYTE_0 src1_sel:DWORD
	v_mov_b32_e32 v61, 0x8000
	s_and_saveexec_b64 s[42:43], s[4:5]
	s_cbranch_execz .LBB260_119
; %bb.116:                              ;   in Loop: Header=BB260_13 Depth=1
	v_and_b32_e32 v0, 0x7f, v9
	v_cmp_ne_u32_e64 s[4:5], s53, v0
	v_mov_b32_e32 v61, 0x7c01
	s_and_saveexec_b64 s[44:45], s[4:5]
	s_cbranch_execz .LBB260_118
; %bb.117:                              ;   in Loop: Header=BB260_13 Depth=1
	v_and_b32_e32 v1, 7, v9
	v_ffbh_u32_e32 v3, v1
	v_min_u32_e32 v11, 32, v3
	v_lshrrev_b32_e32 v10, 3, v0
	v_subrev_u32_e32 v3, 28, v11
	v_lshlrev_b64 v[3:4], v3, v[9:10]
	v_sub_u32_e32 v4, 29, v11
	v_cmp_gt_u32_e64 s[4:5], 8, v0
	v_cndmask_b32_e64 v0, v10, v4, s[4:5]
	v_mov_b32_e32 v10, 0x2000
	v_lshl_add_u32 v0, v0, 10, v10
	v_lshlrev_b32_e32 v4, 8, v9
	v_and_b32_e32 v3, 7, v3
	v_and_b32_e32 v0, 0xfc00, v0
	v_cndmask_b32_e64 v1, v1, v3, s[4:5]
	v_and_or_b32 v0, v4, s54, v0
	v_lshl_or_b32 v61, v1, 7, v0
.LBB260_118:                            ;   in Loop: Header=BB260_13 Depth=1
	s_or_b64 exec, exec, s[44:45]
.LBB260_119:                            ;   in Loop: Header=BB260_13 Depth=1
	s_or_b64 exec, exec, s[42:43]
.LBB260_120:                            ;   in Loop: Header=BB260_13 Depth=1
	s_or_b64 exec, exec, s[40:41]
	v_lshrrev_b16_e32 v1, 8, v9
	v_cmp_ne_u16_e64 s[4:5], 0, v1
	s_and_saveexec_b64 s[40:41], s[4:5]
	s_cbranch_execz .LBB260_126
; %bb.121:                              ;   in Loop: Header=BB260_13 Depth=1
	v_cmp_ne_u16_e64 s[4:5], s52, v1
	v_bfrev_b32_e32 v48, 1
	s_and_saveexec_b64 s[42:43], s[4:5]
	s_cbranch_execz .LBB260_125
; %bb.122:                              ;   in Loop: Header=BB260_13 Depth=1
	v_and_b32_e32 v0, 0x7f, v1
	v_cmp_ne_u32_e64 s[4:5], s53, v0
	v_mov_b32_e32 v48, 0x7c010000
	s_and_saveexec_b64 s[44:45], s[4:5]
	s_cbranch_execz .LBB260_124
; %bb.123:                              ;   in Loop: Header=BB260_13 Depth=1
	v_and_b32_e32 v10, 7, v1
	v_ffbh_u32_e32 v3, v10
	v_min_u32_e32 v13, 32, v3
	v_subrev_u32_e32 v3, 28, v13
	v_lshlrev_b64 v[3:4], v3, v[1:2]
	v_lshrrev_b32_e32 v11, 3, v0
	v_sub_u32_e32 v4, 29, v13
	v_cmp_gt_u32_e64 s[4:5], 8, v0
	v_cndmask_b32_e64 v0, v11, v4, s[4:5]
	v_mov_b32_e32 v4, 0x2000
	v_lshlrev_b32_e32 v1, 8, v1
	v_lshl_add_u32 v0, v0, 10, v4
	v_and_b32_e32 v3, 7, v3
	v_and_or_b32 v0, v1, s54, v0
	v_cndmask_b32_e64 v3, v10, v3, s[4:5]
	v_lshlrev_b32_e32 v0, 16, v0
	v_lshl_or_b32 v48, v3, 23, v0
.LBB260_124:                            ;   in Loop: Header=BB260_13 Depth=1
	s_or_b64 exec, exec, s[44:45]
.LBB260_125:                            ;   in Loop: Header=BB260_13 Depth=1
	s_or_b64 exec, exec, s[42:43]
.LBB260_126:                            ;   in Loop: Header=BB260_13 Depth=1
	s_or_b64 exec, exec, s[40:41]
	v_lshrrev_b32_e32 v1, 16, v9
	v_cmp_ne_u16_sdwa s[4:5], v1, v2 src0_sel:BYTE_0 src1_sel:DWORD
	v_mov_b32_e32 v50, 0
	v_mov_b32_e32 v52, 0
	s_and_saveexec_b64 s[40:41], s[4:5]
	s_cbranch_execz .LBB260_132
; %bb.127:                              ;   in Loop: Header=BB260_13 Depth=1
	v_cmp_ne_u16_sdwa s[4:5], v1, s52 src0_sel:BYTE_0 src1_sel:DWORD
	v_mov_b32_e32 v52, 0x8000
	s_and_saveexec_b64 s[42:43], s[4:5]
	s_cbranch_execz .LBB260_131
; %bb.128:                              ;   in Loop: Header=BB260_13 Depth=1
	v_bfe_u32 v0, v9, 16, 7
	v_cmp_ne_u32_e64 s[4:5], s53, v0
	v_mov_b32_e32 v52, 0x7c01
	s_and_saveexec_b64 s[44:45], s[4:5]
	s_cbranch_execz .LBB260_130
; %bb.129:                              ;   in Loop: Header=BB260_13 Depth=1
	v_and_b32_e32 v10, 7, v1
	v_ffbh_u32_e32 v3, v10
	v_min_u32_e32 v13, 32, v3
	v_subrev_u32_e32 v3, 28, v13
	v_lshlrev_b64 v[3:4], v3, v[1:2]
	v_lshrrev_b32_e32 v11, 3, v0
	v_sub_u32_e32 v4, 29, v13
	v_cmp_gt_u32_e64 s[4:5], 8, v0
	v_cndmask_b32_e64 v0, v11, v4, s[4:5]
	v_mov_b32_e32 v4, 0x2000
	v_lshl_add_u32 v0, v0, 10, v4
	v_lshlrev_b32_e32 v1, 8, v1
	v_and_b32_e32 v3, 7, v3
	v_and_b32_e32 v0, 0xfc00, v0
	v_cndmask_b32_e64 v3, v10, v3, s[4:5]
	v_and_or_b32 v0, v1, s54, v0
	v_lshl_or_b32 v52, v3, 7, v0
.LBB260_130:                            ;   in Loop: Header=BB260_13 Depth=1
	s_or_b64 exec, exec, s[44:45]
.LBB260_131:                            ;   in Loop: Header=BB260_13 Depth=1
	s_or_b64 exec, exec, s[42:43]
.LBB260_132:                            ;   in Loop: Header=BB260_13 Depth=1
	s_or_b64 exec, exec, s[40:41]
	v_cmp_lt_u32_e64 s[4:5], s55, v9
	s_and_saveexec_b64 s[40:41], s[4:5]
	s_cbranch_execz .LBB260_138
; %bb.133:                              ;   in Loop: Header=BB260_13 Depth=1
	v_lshrrev_b32_e32 v1, 24, v9
	v_cmp_ne_u32_e64 s[4:5], s52, v1
	v_bfrev_b32_e32 v50, 1
	s_and_saveexec_b64 s[42:43], s[4:5]
	s_cbranch_execz .LBB260_137
; %bb.134:                              ;   in Loop: Header=BB260_13 Depth=1
	v_and_b32_e32 v0, 0x7f, v1
	v_cmp_ne_u32_e64 s[4:5], s53, v0
	v_mov_b32_e32 v50, 0x7c010000
	s_and_saveexec_b64 s[44:45], s[4:5]
	s_cbranch_execz .LBB260_136
; %bb.135:                              ;   in Loop: Header=BB260_13 Depth=1
	v_and_b32_e32 v9, 7, v1
	v_ffbh_u32_e32 v3, v9
	v_min_u32_e32 v11, 32, v3
	v_subrev_u32_e32 v3, 28, v11
	v_lshlrev_b64 v[3:4], v3, v[1:2]
	v_lshrrev_b32_e32 v10, 3, v0
	v_sub_u32_e32 v4, 29, v11
	v_cmp_gt_u32_e64 s[4:5], 8, v0
	v_cndmask_b32_e64 v0, v10, v4, s[4:5]
	v_mov_b32_e32 v4, 0x2000
	v_lshlrev_b32_e32 v1, 8, v1
	v_lshl_add_u32 v0, v0, 10, v4
	v_and_b32_e32 v3, 7, v3
	v_and_or_b32 v0, v1, s54, v0
	v_cndmask_b32_e64 v3, v9, v3, s[4:5]
	v_lshlrev_b32_e32 v0, 16, v0
	v_lshl_or_b32 v50, v3, 23, v0
.LBB260_136:                            ;   in Loop: Header=BB260_13 Depth=1
	s_or_b64 exec, exec, s[44:45]
.LBB260_137:                            ;   in Loop: Header=BB260_13 Depth=1
	s_or_b64 exec, exec, s[42:43]
.LBB260_138:                            ;   in Loop: Header=BB260_13 Depth=1
	s_or_b64 exec, exec, s[40:41]
	global_load_dword v9, v[7:8], off offset:1032
	v_mov_b32_e32 v0, 0
	buffer_store_dword v0, off, s[56:59], 0 offset:12 ; 4-byte Folded Spill
	v_mov_b32_e32 v0, 0
	buffer_store_dword v0, off, s[56:59], 0 offset:16 ; 4-byte Folded Spill
	s_waitcnt vmcnt(2)
	v_cmp_ne_u16_sdwa s[4:5], v9, v2 src0_sel:BYTE_0 src1_sel:DWORD
	s_and_saveexec_b64 s[40:41], s[4:5]
	s_cbranch_execz .LBB260_144
; %bb.139:                              ;   in Loop: Header=BB260_13 Depth=1
	v_cmp_ne_u16_sdwa s[4:5], v9, s52 src0_sel:BYTE_0 src1_sel:DWORD
	v_mov_b32_e32 v0, 0x8000
	buffer_store_dword v0, off, s[56:59], 0 offset:16 ; 4-byte Folded Spill
	s_and_saveexec_b64 s[42:43], s[4:5]
	s_cbranch_execz .LBB260_143
; %bb.140:                              ;   in Loop: Header=BB260_13 Depth=1
	v_and_b32_e32 v0, 0x7f, v9
	v_cmp_ne_u32_e64 s[4:5], s53, v0
	v_mov_b32_e32 v1, 0x7c01
	buffer_store_dword v1, off, s[56:59], 0 offset:16 ; 4-byte Folded Spill
	s_and_saveexec_b64 s[44:45], s[4:5]
	s_cbranch_execz .LBB260_142
; %bb.141:                              ;   in Loop: Header=BB260_13 Depth=1
	v_and_b32_e32 v1, 7, v9
	v_ffbh_u32_e32 v3, v1
	v_min_u32_e32 v11, 32, v3
	v_lshrrev_b32_e32 v10, 3, v0
	v_subrev_u32_e32 v3, 28, v11
	v_lshlrev_b64 v[3:4], v3, v[9:10]
	v_sub_u32_e32 v4, 29, v11
	v_cmp_gt_u32_e64 s[4:5], 8, v0
	v_cndmask_b32_e64 v0, v10, v4, s[4:5]
	v_mov_b32_e32 v10, 0x2000
	v_lshl_add_u32 v0, v0, 10, v10
	v_lshlrev_b32_e32 v4, 8, v9
	v_and_b32_e32 v3, 7, v3
	v_and_b32_e32 v0, 0xfc00, v0
	v_cndmask_b32_e64 v1, v1, v3, s[4:5]
	v_and_or_b32 v0, v4, s54, v0
	v_lshl_or_b32 v0, v1, 7, v0
	buffer_store_dword v0, off, s[56:59], 0 offset:16 ; 4-byte Folded Spill
.LBB260_142:                            ;   in Loop: Header=BB260_13 Depth=1
	s_or_b64 exec, exec, s[44:45]
.LBB260_143:                            ;   in Loop: Header=BB260_13 Depth=1
	s_or_b64 exec, exec, s[42:43]
.LBB260_144:                            ;   in Loop: Header=BB260_13 Depth=1
	s_or_b64 exec, exec, s[40:41]
	v_lshrrev_b16_e32 v1, 8, v9
	v_cmp_ne_u16_e64 s[4:5], 0, v1
	s_and_saveexec_b64 s[40:41], s[4:5]
	s_cbranch_execz .LBB260_150
; %bb.145:                              ;   in Loop: Header=BB260_13 Depth=1
	v_cmp_ne_u16_e64 s[4:5], s52, v1
	v_bfrev_b32_e32 v0, 1
	buffer_store_dword v0, off, s[56:59], 0 offset:12 ; 4-byte Folded Spill
	s_and_saveexec_b64 s[42:43], s[4:5]
	s_cbranch_execz .LBB260_149
; %bb.146:                              ;   in Loop: Header=BB260_13 Depth=1
	v_and_b32_e32 v0, 0x7f, v1
	v_cmp_ne_u32_e64 s[4:5], s53, v0
	v_mov_b32_e32 v3, 0x7c010000
	buffer_store_dword v3, off, s[56:59], 0 offset:12 ; 4-byte Folded Spill
	s_and_saveexec_b64 s[44:45], s[4:5]
	s_cbranch_execz .LBB260_148
; %bb.147:                              ;   in Loop: Header=BB260_13 Depth=1
	v_and_b32_e32 v10, 7, v1
	v_ffbh_u32_e32 v3, v10
	v_min_u32_e32 v13, 32, v3
	v_subrev_u32_e32 v3, 28, v13
	v_lshlrev_b64 v[3:4], v3, v[1:2]
	v_lshrrev_b32_e32 v11, 3, v0
	v_sub_u32_e32 v4, 29, v13
	v_cmp_gt_u32_e64 s[4:5], 8, v0
	v_cndmask_b32_e64 v0, v11, v4, s[4:5]
	v_mov_b32_e32 v4, 0x2000
	v_lshlrev_b32_e32 v1, 8, v1
	v_lshl_add_u32 v0, v0, 10, v4
	v_and_b32_e32 v3, 7, v3
	v_and_or_b32 v0, v1, s54, v0
	v_cndmask_b32_e64 v3, v10, v3, s[4:5]
	v_lshlrev_b32_e32 v0, 16, v0
	v_lshl_or_b32 v0, v3, 23, v0
	buffer_store_dword v0, off, s[56:59], 0 offset:12 ; 4-byte Folded Spill
.LBB260_148:                            ;   in Loop: Header=BB260_13 Depth=1
	s_or_b64 exec, exec, s[44:45]
.LBB260_149:                            ;   in Loop: Header=BB260_13 Depth=1
	s_or_b64 exec, exec, s[42:43]
.LBB260_150:                            ;   in Loop: Header=BB260_13 Depth=1
	s_or_b64 exec, exec, s[40:41]
	v_lshrrev_b32_e32 v1, 16, v9
	v_mov_b32_e32 v0, 0
	v_cmp_ne_u16_sdwa s[4:5], v1, v2 src0_sel:BYTE_0 src1_sel:DWORD
	buffer_store_dword v0, off, s[56:59], 0 offset:20 ; 4-byte Folded Spill
	v_mov_b32_e32 v0, 0
	buffer_store_dword v0, off, s[56:59], 0 offset:24 ; 4-byte Folded Spill
	s_and_saveexec_b64 s[40:41], s[4:5]
	s_cbranch_execz .LBB260_156
; %bb.151:                              ;   in Loop: Header=BB260_13 Depth=1
	v_cmp_ne_u16_sdwa s[4:5], v1, s52 src0_sel:BYTE_0 src1_sel:DWORD
	v_mov_b32_e32 v0, 0x8000
	buffer_store_dword v0, off, s[56:59], 0 offset:24 ; 4-byte Folded Spill
	s_and_saveexec_b64 s[42:43], s[4:5]
	s_cbranch_execz .LBB260_155
; %bb.152:                              ;   in Loop: Header=BB260_13 Depth=1
	v_bfe_u32 v0, v9, 16, 7
	v_cmp_ne_u32_e64 s[4:5], s53, v0
	v_mov_b32_e32 v3, 0x7c01
	buffer_store_dword v3, off, s[56:59], 0 offset:24 ; 4-byte Folded Spill
	s_and_saveexec_b64 s[44:45], s[4:5]
	s_cbranch_execz .LBB260_154
; %bb.153:                              ;   in Loop: Header=BB260_13 Depth=1
	v_and_b32_e32 v10, 7, v1
	v_ffbh_u32_e32 v3, v10
	v_min_u32_e32 v13, 32, v3
	v_subrev_u32_e32 v3, 28, v13
	v_lshlrev_b64 v[3:4], v3, v[1:2]
	v_lshrrev_b32_e32 v11, 3, v0
	v_sub_u32_e32 v4, 29, v13
	v_cmp_gt_u32_e64 s[4:5], 8, v0
	v_cndmask_b32_e64 v0, v11, v4, s[4:5]
	v_mov_b32_e32 v4, 0x2000
	v_lshl_add_u32 v0, v0, 10, v4
	v_lshlrev_b32_e32 v1, 8, v1
	v_and_b32_e32 v3, 7, v3
	v_and_b32_e32 v0, 0xfc00, v0
	v_cndmask_b32_e64 v3, v10, v3, s[4:5]
	v_and_or_b32 v0, v1, s54, v0
	v_lshl_or_b32 v0, v3, 7, v0
	buffer_store_dword v0, off, s[56:59], 0 offset:24 ; 4-byte Folded Spill
.LBB260_154:                            ;   in Loop: Header=BB260_13 Depth=1
	s_or_b64 exec, exec, s[44:45]
.LBB260_155:                            ;   in Loop: Header=BB260_13 Depth=1
	s_or_b64 exec, exec, s[42:43]
.LBB260_156:                            ;   in Loop: Header=BB260_13 Depth=1
	s_or_b64 exec, exec, s[40:41]
	v_cmp_lt_u32_e64 s[4:5], s55, v9
	s_and_saveexec_b64 s[40:41], s[4:5]
	s_cbranch_execz .LBB260_162
; %bb.157:                              ;   in Loop: Header=BB260_13 Depth=1
	v_lshrrev_b32_e32 v1, 24, v9
	v_cmp_ne_u32_e64 s[4:5], s52, v1
	v_bfrev_b32_e32 v0, 1
	buffer_store_dword v0, off, s[56:59], 0 offset:20 ; 4-byte Folded Spill
	s_and_saveexec_b64 s[42:43], s[4:5]
	s_cbranch_execz .LBB260_161
; %bb.158:                              ;   in Loop: Header=BB260_13 Depth=1
	v_and_b32_e32 v0, 0x7f, v1
	v_cmp_ne_u32_e64 s[4:5], s53, v0
	v_mov_b32_e32 v3, 0x7c010000
	buffer_store_dword v3, off, s[56:59], 0 offset:20 ; 4-byte Folded Spill
	s_and_saveexec_b64 s[44:45], s[4:5]
	s_cbranch_execz .LBB260_160
; %bb.159:                              ;   in Loop: Header=BB260_13 Depth=1
	v_and_b32_e32 v9, 7, v1
	v_ffbh_u32_e32 v3, v9
	v_min_u32_e32 v11, 32, v3
	v_subrev_u32_e32 v3, 28, v11
	v_lshlrev_b64 v[3:4], v3, v[1:2]
	v_lshrrev_b32_e32 v10, 3, v0
	v_sub_u32_e32 v4, 29, v11
	v_cmp_gt_u32_e64 s[4:5], 8, v0
	v_cndmask_b32_e64 v0, v10, v4, s[4:5]
	v_mov_b32_e32 v4, 0x2000
	v_lshlrev_b32_e32 v1, 8, v1
	v_lshl_add_u32 v0, v0, 10, v4
	v_and_b32_e32 v3, 7, v3
	v_and_or_b32 v0, v1, s54, v0
	v_cndmask_b32_e64 v3, v9, v3, s[4:5]
	v_lshlrev_b32_e32 v0, 16, v0
	v_lshl_or_b32 v0, v3, 23, v0
	buffer_store_dword v0, off, s[56:59], 0 offset:20 ; 4-byte Folded Spill
.LBB260_160:                            ;   in Loop: Header=BB260_13 Depth=1
	s_or_b64 exec, exec, s[44:45]
.LBB260_161:                            ;   in Loop: Header=BB260_13 Depth=1
	s_or_b64 exec, exec, s[42:43]
.LBB260_162:                            ;   in Loop: Header=BB260_13 Depth=1
	s_or_b64 exec, exec, s[40:41]
	global_load_dword v9, v[7:8], off offset:1536
	v_mov_b32_e32 v0, 0
	buffer_store_dword v0, off, s[56:59], 0 offset:28 ; 4-byte Folded Spill
	v_mov_b32_e32 v0, 0
	buffer_store_dword v0, off, s[56:59], 0 offset:32 ; 4-byte Folded Spill
	s_waitcnt vmcnt(2)
	v_cmp_ne_u16_sdwa s[4:5], v9, v2 src0_sel:BYTE_0 src1_sel:DWORD
	s_and_saveexec_b64 s[40:41], s[4:5]
	s_cbranch_execz .LBB260_168
; %bb.163:                              ;   in Loop: Header=BB260_13 Depth=1
	v_cmp_ne_u16_sdwa s[4:5], v9, s52 src0_sel:BYTE_0 src1_sel:DWORD
	v_mov_b32_e32 v0, 0x8000
	buffer_store_dword v0, off, s[56:59], 0 offset:32 ; 4-byte Folded Spill
	s_and_saveexec_b64 s[42:43], s[4:5]
	s_cbranch_execz .LBB260_167
; %bb.164:                              ;   in Loop: Header=BB260_13 Depth=1
	v_and_b32_e32 v0, 0x7f, v9
	v_cmp_ne_u32_e64 s[4:5], s53, v0
	v_mov_b32_e32 v1, 0x7c01
	buffer_store_dword v1, off, s[56:59], 0 offset:32 ; 4-byte Folded Spill
	s_and_saveexec_b64 s[44:45], s[4:5]
	s_cbranch_execz .LBB260_166
; %bb.165:                              ;   in Loop: Header=BB260_13 Depth=1
	v_and_b32_e32 v1, 7, v9
	v_ffbh_u32_e32 v3, v1
	v_min_u32_e32 v11, 32, v3
	v_lshrrev_b32_e32 v10, 3, v0
	v_subrev_u32_e32 v3, 28, v11
	v_lshlrev_b64 v[3:4], v3, v[9:10]
	v_sub_u32_e32 v4, 29, v11
	v_cmp_gt_u32_e64 s[4:5], 8, v0
	v_cndmask_b32_e64 v0, v10, v4, s[4:5]
	v_mov_b32_e32 v10, 0x2000
	v_lshl_add_u32 v0, v0, 10, v10
	v_lshlrev_b32_e32 v4, 8, v9
	v_and_b32_e32 v3, 7, v3
	v_and_b32_e32 v0, 0xfc00, v0
	v_cndmask_b32_e64 v1, v1, v3, s[4:5]
	v_and_or_b32 v0, v4, s54, v0
	v_lshl_or_b32 v0, v1, 7, v0
	buffer_store_dword v0, off, s[56:59], 0 offset:32 ; 4-byte Folded Spill
.LBB260_166:                            ;   in Loop: Header=BB260_13 Depth=1
	s_or_b64 exec, exec, s[44:45]
.LBB260_167:                            ;   in Loop: Header=BB260_13 Depth=1
	s_or_b64 exec, exec, s[42:43]
.LBB260_168:                            ;   in Loop: Header=BB260_13 Depth=1
	s_or_b64 exec, exec, s[40:41]
	v_lshrrev_b16_e32 v1, 8, v9
	v_cmp_ne_u16_e64 s[4:5], 0, v1
	s_and_saveexec_b64 s[40:41], s[4:5]
	s_cbranch_execz .LBB260_174
; %bb.169:                              ;   in Loop: Header=BB260_13 Depth=1
	v_cmp_ne_u16_e64 s[4:5], s52, v1
	v_bfrev_b32_e32 v0, 1
	buffer_store_dword v0, off, s[56:59], 0 offset:28 ; 4-byte Folded Spill
	s_and_saveexec_b64 s[42:43], s[4:5]
	s_cbranch_execz .LBB260_173
; %bb.170:                              ;   in Loop: Header=BB260_13 Depth=1
	v_and_b32_e32 v0, 0x7f, v1
	v_cmp_ne_u32_e64 s[4:5], s53, v0
	v_mov_b32_e32 v3, 0x7c010000
	buffer_store_dword v3, off, s[56:59], 0 offset:28 ; 4-byte Folded Spill
	s_and_saveexec_b64 s[44:45], s[4:5]
	s_cbranch_execz .LBB260_172
; %bb.171:                              ;   in Loop: Header=BB260_13 Depth=1
	v_and_b32_e32 v10, 7, v1
	v_ffbh_u32_e32 v3, v10
	v_min_u32_e32 v13, 32, v3
	v_subrev_u32_e32 v3, 28, v13
	v_lshlrev_b64 v[3:4], v3, v[1:2]
	v_lshrrev_b32_e32 v11, 3, v0
	v_sub_u32_e32 v4, 29, v13
	v_cmp_gt_u32_e64 s[4:5], 8, v0
	v_cndmask_b32_e64 v0, v11, v4, s[4:5]
	v_mov_b32_e32 v4, 0x2000
	v_lshlrev_b32_e32 v1, 8, v1
	v_lshl_add_u32 v0, v0, 10, v4
	v_and_b32_e32 v3, 7, v3
	v_and_or_b32 v0, v1, s54, v0
	v_cndmask_b32_e64 v3, v10, v3, s[4:5]
	v_lshlrev_b32_e32 v0, 16, v0
	v_lshl_or_b32 v0, v3, 23, v0
	buffer_store_dword v0, off, s[56:59], 0 offset:28 ; 4-byte Folded Spill
.LBB260_172:                            ;   in Loop: Header=BB260_13 Depth=1
	s_or_b64 exec, exec, s[44:45]
.LBB260_173:                            ;   in Loop: Header=BB260_13 Depth=1
	s_or_b64 exec, exec, s[42:43]
.LBB260_174:                            ;   in Loop: Header=BB260_13 Depth=1
	s_or_b64 exec, exec, s[40:41]
	v_lshrrev_b32_e32 v1, 16, v9
	v_mov_b32_e32 v0, 0
	v_cmp_ne_u16_sdwa s[4:5], v1, v2 src0_sel:BYTE_0 src1_sel:DWORD
	buffer_store_dword v0, off, s[56:59], 0 offset:36 ; 4-byte Folded Spill
	v_mov_b32_e32 v0, 0
	buffer_store_dword v0, off, s[56:59], 0 offset:40 ; 4-byte Folded Spill
	s_and_saveexec_b64 s[40:41], s[4:5]
	s_cbranch_execz .LBB260_180
; %bb.175:                              ;   in Loop: Header=BB260_13 Depth=1
	v_cmp_ne_u16_sdwa s[4:5], v1, s52 src0_sel:BYTE_0 src1_sel:DWORD
	v_mov_b32_e32 v0, 0x8000
	buffer_store_dword v0, off, s[56:59], 0 offset:40 ; 4-byte Folded Spill
	s_and_saveexec_b64 s[42:43], s[4:5]
	s_cbranch_execz .LBB260_179
; %bb.176:                              ;   in Loop: Header=BB260_13 Depth=1
	v_bfe_u32 v0, v9, 16, 7
	v_cmp_ne_u32_e64 s[4:5], s53, v0
	v_mov_b32_e32 v3, 0x7c01
	buffer_store_dword v3, off, s[56:59], 0 offset:40 ; 4-byte Folded Spill
	s_and_saveexec_b64 s[44:45], s[4:5]
	s_cbranch_execz .LBB260_178
; %bb.177:                              ;   in Loop: Header=BB260_13 Depth=1
	v_and_b32_e32 v10, 7, v1
	v_ffbh_u32_e32 v3, v10
	v_min_u32_e32 v13, 32, v3
	v_subrev_u32_e32 v3, 28, v13
	v_lshlrev_b64 v[3:4], v3, v[1:2]
	v_lshrrev_b32_e32 v11, 3, v0
	v_sub_u32_e32 v4, 29, v13
	v_cmp_gt_u32_e64 s[4:5], 8, v0
	v_cndmask_b32_e64 v0, v11, v4, s[4:5]
	v_mov_b32_e32 v4, 0x2000
	v_lshl_add_u32 v0, v0, 10, v4
	v_lshlrev_b32_e32 v1, 8, v1
	v_and_b32_e32 v3, 7, v3
	v_and_b32_e32 v0, 0xfc00, v0
	v_cndmask_b32_e64 v3, v10, v3, s[4:5]
	v_and_or_b32 v0, v1, s54, v0
	v_lshl_or_b32 v0, v3, 7, v0
	buffer_store_dword v0, off, s[56:59], 0 offset:40 ; 4-byte Folded Spill
.LBB260_178:                            ;   in Loop: Header=BB260_13 Depth=1
	s_or_b64 exec, exec, s[44:45]
.LBB260_179:                            ;   in Loop: Header=BB260_13 Depth=1
	s_or_b64 exec, exec, s[42:43]
.LBB260_180:                            ;   in Loop: Header=BB260_13 Depth=1
	s_or_b64 exec, exec, s[40:41]
	v_cmp_lt_u32_e64 s[4:5], s55, v9
	s_and_saveexec_b64 s[40:41], s[4:5]
	s_cbranch_execz .LBB260_186
; %bb.181:                              ;   in Loop: Header=BB260_13 Depth=1
	v_lshrrev_b32_e32 v1, 24, v9
	v_cmp_ne_u32_e64 s[4:5], s52, v1
	v_bfrev_b32_e32 v0, 1
	buffer_store_dword v0, off, s[56:59], 0 offset:36 ; 4-byte Folded Spill
	s_and_saveexec_b64 s[42:43], s[4:5]
	s_cbranch_execz .LBB260_185
; %bb.182:                              ;   in Loop: Header=BB260_13 Depth=1
	v_and_b32_e32 v0, 0x7f, v1
	v_cmp_ne_u32_e64 s[4:5], s53, v0
	v_mov_b32_e32 v3, 0x7c010000
	buffer_store_dword v3, off, s[56:59], 0 offset:36 ; 4-byte Folded Spill
	s_and_saveexec_b64 s[44:45], s[4:5]
	s_cbranch_execz .LBB260_184
; %bb.183:                              ;   in Loop: Header=BB260_13 Depth=1
	v_and_b32_e32 v9, 7, v1
	v_ffbh_u32_e32 v3, v9
	v_min_u32_e32 v11, 32, v3
	v_subrev_u32_e32 v3, 28, v11
	v_lshlrev_b64 v[3:4], v3, v[1:2]
	v_lshrrev_b32_e32 v10, 3, v0
	v_sub_u32_e32 v4, 29, v11
	v_cmp_gt_u32_e64 s[4:5], 8, v0
	v_cndmask_b32_e64 v0, v10, v4, s[4:5]
	v_mov_b32_e32 v4, 0x2000
	v_lshlrev_b32_e32 v1, 8, v1
	v_lshl_add_u32 v0, v0, 10, v4
	v_and_b32_e32 v3, 7, v3
	v_and_or_b32 v0, v1, s54, v0
	v_cndmask_b32_e64 v3, v9, v3, s[4:5]
	v_lshlrev_b32_e32 v0, 16, v0
	v_lshl_or_b32 v0, v3, 23, v0
	buffer_store_dword v0, off, s[56:59], 0 offset:36 ; 4-byte Folded Spill
.LBB260_184:                            ;   in Loop: Header=BB260_13 Depth=1
	s_or_b64 exec, exec, s[44:45]
.LBB260_185:                            ;   in Loop: Header=BB260_13 Depth=1
	s_or_b64 exec, exec, s[42:43]
.LBB260_186:                            ;   in Loop: Header=BB260_13 Depth=1
	s_or_b64 exec, exec, s[40:41]
	global_load_dword v9, v[7:8], off offset:1544
	v_mov_b32_e32 v54, 0
	v_mov_b32_e32 v10, 0
	s_waitcnt vmcnt(0)
	v_cmp_ne_u16_sdwa s[4:5], v9, v2 src0_sel:BYTE_0 src1_sel:DWORD
	s_and_saveexec_b64 s[40:41], s[4:5]
	s_cbranch_execz .LBB260_192
; %bb.187:                              ;   in Loop: Header=BB260_13 Depth=1
	v_cmp_ne_u16_sdwa s[4:5], v9, s52 src0_sel:BYTE_0 src1_sel:DWORD
	v_mov_b32_e32 v10, 0x8000
	s_and_saveexec_b64 s[42:43], s[4:5]
	s_cbranch_execz .LBB260_191
; %bb.188:                              ;   in Loop: Header=BB260_13 Depth=1
	v_and_b32_e32 v0, 0x7f, v9
	v_cmp_ne_u32_e64 s[4:5], s53, v0
	v_mov_b32_e32 v10, 0x7c01
	s_and_saveexec_b64 s[44:45], s[4:5]
	s_cbranch_execz .LBB260_190
; %bb.189:                              ;   in Loop: Header=BB260_13 Depth=1
	v_and_b32_e32 v1, 7, v9
	v_ffbh_u32_e32 v3, v1
	v_min_u32_e32 v11, 32, v3
	v_lshrrev_b32_e32 v10, 3, v0
	v_subrev_u32_e32 v3, 28, v11
	v_lshlrev_b64 v[3:4], v3, v[9:10]
	v_sub_u32_e32 v4, 29, v11
	v_cmp_gt_u32_e64 s[4:5], 8, v0
	v_cndmask_b32_e64 v0, v10, v4, s[4:5]
	v_mov_b32_e32 v10, 0x2000
	v_lshl_add_u32 v0, v0, 10, v10
	v_lshlrev_b32_e32 v4, 8, v9
	v_and_b32_e32 v3, 7, v3
	v_and_b32_e32 v0, 0xfc00, v0
	v_cndmask_b32_e64 v1, v1, v3, s[4:5]
	v_and_or_b32 v0, v4, s54, v0
	v_lshl_or_b32 v10, v1, 7, v0
.LBB260_190:                            ;   in Loop: Header=BB260_13 Depth=1
	s_or_b64 exec, exec, s[44:45]
.LBB260_191:                            ;   in Loop: Header=BB260_13 Depth=1
	s_or_b64 exec, exec, s[42:43]
.LBB260_192:                            ;   in Loop: Header=BB260_13 Depth=1
	s_or_b64 exec, exec, s[40:41]
	v_lshrrev_b16_e32 v1, 8, v9
	v_cmp_ne_u16_e64 s[4:5], 0, v1
	s_mov_b64 s[40:41], exec
	s_and_b64 s[4:5], s[40:41], s[4:5]
	buffer_store_dword v10, off, s[56:59], 0 offset:60 ; 4-byte Folded Spill
	s_mov_b64 exec, s[4:5]
	s_cbranch_execz .LBB260_198
; %bb.193:                              ;   in Loop: Header=BB260_13 Depth=1
	v_cmp_ne_u16_e64 s[4:5], s52, v1
	v_bfrev_b32_e32 v54, 1
	s_and_saveexec_b64 s[42:43], s[4:5]
	s_cbranch_execz .LBB260_197
; %bb.194:                              ;   in Loop: Header=BB260_13 Depth=1
	v_and_b32_e32 v0, 0x7f, v1
	v_cmp_ne_u32_e64 s[4:5], s53, v0
	v_mov_b32_e32 v54, 0x7c010000
	s_and_saveexec_b64 s[44:45], s[4:5]
	s_cbranch_execz .LBB260_196
; %bb.195:                              ;   in Loop: Header=BB260_13 Depth=1
	v_and_b32_e32 v10, 7, v1
	v_ffbh_u32_e32 v3, v10
	v_min_u32_e32 v13, 32, v3
	v_subrev_u32_e32 v3, 28, v13
	v_lshlrev_b64 v[3:4], v3, v[1:2]
	v_cmp_gt_u32_e64 s[4:5], 8, v0
	v_and_b32_e32 v3, 7, v3
	v_cndmask_b32_e64 v3, v10, v3, s[4:5]
	buffer_load_dword v10, off, s[56:59], 0 offset:60 ; 4-byte Folded Reload
	v_lshrrev_b32_e32 v11, 3, v0
	v_sub_u32_e32 v4, 29, v13
	v_cndmask_b32_e64 v0, v11, v4, s[4:5]
	v_mov_b32_e32 v4, 0x2000
	v_lshlrev_b32_e32 v1, 8, v1
	v_lshl_add_u32 v0, v0, 10, v4
	v_and_or_b32 v0, v1, s54, v0
	v_lshlrev_b32_e32 v0, 16, v0
	v_lshl_or_b32 v54, v3, 23, v0
.LBB260_196:                            ;   in Loop: Header=BB260_13 Depth=1
	s_or_b64 exec, exec, s[44:45]
.LBB260_197:                            ;   in Loop: Header=BB260_13 Depth=1
	s_or_b64 exec, exec, s[42:43]
.LBB260_198:                            ;   in Loop: Header=BB260_13 Depth=1
	s_or_b64 exec, exec, s[40:41]
	v_lshrrev_b32_e32 v1, 16, v9
	v_cmp_ne_u16_sdwa s[4:5], v1, v2 src0_sel:BYTE_0 src1_sel:DWORD
	v_mov_b32_e32 v56, 0
	v_mov_b32_e32 v0, 0
	buffer_store_dword v0, off, s[56:59], 0 offset:44 ; 4-byte Folded Spill
	s_and_saveexec_b64 s[40:41], s[4:5]
	s_cbranch_execz .LBB260_204
; %bb.199:                              ;   in Loop: Header=BB260_13 Depth=1
	v_cmp_ne_u16_sdwa s[4:5], v1, s52 src0_sel:BYTE_0 src1_sel:DWORD
	v_mov_b32_e32 v0, 0x8000
	buffer_store_dword v0, off, s[56:59], 0 offset:44 ; 4-byte Folded Spill
	s_and_saveexec_b64 s[42:43], s[4:5]
	s_cbranch_execz .LBB260_203
; %bb.200:                              ;   in Loop: Header=BB260_13 Depth=1
	v_bfe_u32 v0, v9, 16, 7
	v_cmp_ne_u32_e64 s[4:5], s53, v0
	v_mov_b32_e32 v3, 0x7c01
	buffer_store_dword v3, off, s[56:59], 0 offset:44 ; 4-byte Folded Spill
	s_and_saveexec_b64 s[44:45], s[4:5]
	s_cbranch_execz .LBB260_202
; %bb.201:                              ;   in Loop: Header=BB260_13 Depth=1
	s_waitcnt vmcnt(3)
	v_and_b32_e32 v10, 7, v1
	v_lshrrev_b32_e32 v11, 3, v0
	v_cmp_gt_u32_e64 s[4:5], 8, v0
	v_ffbh_u32_e32 v0, v10
	v_min_u32_e32 v0, 32, v0
	v_subrev_u32_e32 v3, 28, v0
	v_lshlrev_b64 v[3:4], v3, v[1:2]
	v_sub_u32_e32 v0, 29, v0
	v_and_b32_e32 v3, 7, v3
	v_cndmask_b32_e64 v3, v10, v3, s[4:5]
	buffer_load_dword v10, off, s[56:59], 0 offset:60 ; 4-byte Folded Reload
	v_cndmask_b32_e64 v0, v11, v0, s[4:5]
	v_mov_b32_e32 v4, 0x2000
	v_lshl_add_u32 v0, v0, 10, v4
	v_lshlrev_b32_e32 v1, 8, v1
	v_and_b32_e32 v0, 0xfc00, v0
	v_and_or_b32 v0, v1, s54, v0
	v_lshl_or_b32 v0, v3, 7, v0
	buffer_store_dword v0, off, s[56:59], 0 offset:44 ; 4-byte Folded Spill
.LBB260_202:                            ;   in Loop: Header=BB260_13 Depth=1
	s_or_b64 exec, exec, s[44:45]
.LBB260_203:                            ;   in Loop: Header=BB260_13 Depth=1
	s_or_b64 exec, exec, s[42:43]
.LBB260_204:                            ;   in Loop: Header=BB260_13 Depth=1
	s_or_b64 exec, exec, s[40:41]
	v_cmp_lt_u32_e64 s[4:5], s55, v9
	s_and_saveexec_b64 s[40:41], s[4:5]
	s_cbranch_execz .LBB260_210
; %bb.205:                              ;   in Loop: Header=BB260_13 Depth=1
	v_lshrrev_b32_e32 v1, 24, v9
	v_cmp_ne_u32_e64 s[4:5], s52, v1
	v_bfrev_b32_e32 v56, 1
	s_and_saveexec_b64 s[42:43], s[4:5]
	s_cbranch_execz .LBB260_209
; %bb.206:                              ;   in Loop: Header=BB260_13 Depth=1
	v_and_b32_e32 v0, 0x7f, v1
	v_cmp_ne_u32_e64 s[4:5], s53, v0
	v_mov_b32_e32 v56, 0x7c010000
	s_and_saveexec_b64 s[44:45], s[4:5]
	s_cbranch_execz .LBB260_208
; %bb.207:                              ;   in Loop: Header=BB260_13 Depth=1
	v_and_b32_e32 v9, 7, v1
	v_ffbh_u32_e32 v3, v9
	v_min_u32_e32 v11, 32, v3
	v_subrev_u32_e32 v3, 28, v11
	v_lshlrev_b64 v[3:4], v3, v[1:2]
	s_waitcnt vmcnt(1)
	v_lshrrev_b32_e32 v10, 3, v0
	v_sub_u32_e32 v4, 29, v11
	v_cmp_gt_u32_e64 s[4:5], 8, v0
	v_cndmask_b32_e64 v0, v10, v4, s[4:5]
	buffer_load_dword v10, off, s[56:59], 0 offset:60 ; 4-byte Folded Reload
	v_mov_b32_e32 v4, 0x2000
	v_lshlrev_b32_e32 v1, 8, v1
	v_lshl_add_u32 v0, v0, 10, v4
	v_and_b32_e32 v3, 7, v3
	v_and_or_b32 v0, v1, s54, v0
	v_cndmask_b32_e64 v3, v9, v3, s[4:5]
	v_lshlrev_b32_e32 v0, 16, v0
	v_lshl_or_b32 v56, v3, 23, v0
.LBB260_208:                            ;   in Loop: Header=BB260_13 Depth=1
	s_or_b64 exec, exec, s[44:45]
.LBB260_209:                            ;   in Loop: Header=BB260_13 Depth=1
	s_or_b64 exec, exec, s[42:43]
.LBB260_210:                            ;   in Loop: Header=BB260_13 Depth=1
	s_or_b64 exec, exec, s[40:41]
	global_load_dword v9, v[7:8], off offset:2048
	v_mov_b32_e32 v58, 0
	v_mov_b32_e32 v0, 0
	buffer_store_dword v0, off, s[56:59], 0 offset:48 ; 4-byte Folded Spill
	s_waitcnt vmcnt(1)
	v_cmp_ne_u16_sdwa s[4:5], v9, v2 src0_sel:BYTE_0 src1_sel:DWORD
	s_and_saveexec_b64 s[40:41], s[4:5]
	s_cbranch_execz .LBB260_216
; %bb.211:                              ;   in Loop: Header=BB260_13 Depth=1
	v_cmp_ne_u16_sdwa s[4:5], v9, s52 src0_sel:BYTE_0 src1_sel:DWORD
	v_mov_b32_e32 v0, 0x8000
	buffer_store_dword v0, off, s[56:59], 0 offset:48 ; 4-byte Folded Spill
	s_and_saveexec_b64 s[42:43], s[4:5]
	s_cbranch_execz .LBB260_215
; %bb.212:                              ;   in Loop: Header=BB260_13 Depth=1
	v_and_b32_e32 v0, 0x7f, v9
	v_cmp_ne_u32_e64 s[4:5], s53, v0
	v_mov_b32_e32 v1, 0x7c01
	buffer_store_dword v1, off, s[56:59], 0 offset:48 ; 4-byte Folded Spill
	s_and_saveexec_b64 s[44:45], s[4:5]
	s_cbranch_execz .LBB260_214
; %bb.213:                              ;   in Loop: Header=BB260_13 Depth=1
	v_and_b32_e32 v3, 7, v9
	v_lshrrev_b32_e32 v4, 3, v0
	v_cmp_gt_u32_e64 s[4:5], 8, v0
	v_ffbh_u32_e32 v0, v3
	v_min_u32_e32 v10, 32, v0
	v_subrev_u32_e32 v0, 28, v10
	v_lshlrev_b64 v[0:1], v0, v[9:10]
	v_sub_u32_e32 v1, 29, v10
	v_cndmask_b32_e64 v1, v4, v1, s[4:5]
	v_mov_b32_e32 v10, 0x2000
	v_lshl_add_u32 v1, v1, 10, v10
	buffer_load_dword v10, off, s[56:59], 0 offset:60 ; 4-byte Folded Reload
	v_lshlrev_b32_e32 v4, 8, v9
	v_and_b32_e32 v0, 7, v0
	v_and_b32_e32 v1, 0xfc00, v1
	v_cndmask_b32_e64 v0, v3, v0, s[4:5]
	v_and_or_b32 v1, v4, s54, v1
	v_lshl_or_b32 v0, v0, 7, v1
	buffer_store_dword v0, off, s[56:59], 0 offset:48 ; 4-byte Folded Spill
.LBB260_214:                            ;   in Loop: Header=BB260_13 Depth=1
	s_or_b64 exec, exec, s[44:45]
.LBB260_215:                            ;   in Loop: Header=BB260_13 Depth=1
	s_or_b64 exec, exec, s[42:43]
.LBB260_216:                            ;   in Loop: Header=BB260_13 Depth=1
	s_or_b64 exec, exec, s[40:41]
	v_lshrrev_b16_e32 v1, 8, v9
	v_cmp_ne_u16_e64 s[4:5], 0, v1
	s_and_saveexec_b64 s[40:41], s[4:5]
	s_cbranch_execz .LBB260_222
; %bb.217:                              ;   in Loop: Header=BB260_13 Depth=1
	v_cmp_ne_u16_e64 s[4:5], s52, v1
	v_bfrev_b32_e32 v58, 1
	s_and_saveexec_b64 s[42:43], s[4:5]
	s_cbranch_execz .LBB260_221
; %bb.218:                              ;   in Loop: Header=BB260_13 Depth=1
	v_and_b32_e32 v0, 0x7f, v1
	v_cmp_ne_u32_e64 s[4:5], s53, v0
	v_mov_b32_e32 v58, 0x7c010000
	s_and_saveexec_b64 s[44:45], s[4:5]
	s_cbranch_execz .LBB260_220
; %bb.219:                              ;   in Loop: Header=BB260_13 Depth=1
	s_waitcnt vmcnt(1)
	v_and_b32_e32 v10, 7, v1
	v_lshrrev_b32_e32 v11, 3, v0
	v_cmp_gt_u32_e64 s[4:5], 8, v0
	v_ffbh_u32_e32 v0, v10
	v_min_u32_e32 v0, 32, v0
	v_subrev_u32_e32 v3, 28, v0
	v_lshlrev_b64 v[3:4], v3, v[1:2]
	v_sub_u32_e32 v0, 29, v0
	v_and_b32_e32 v3, 7, v3
	v_cndmask_b32_e64 v3, v10, v3, s[4:5]
	buffer_load_dword v10, off, s[56:59], 0 offset:60 ; 4-byte Folded Reload
	v_cndmask_b32_e64 v0, v11, v0, s[4:5]
	v_mov_b32_e32 v4, 0x2000
	v_lshlrev_b32_e32 v1, 8, v1
	v_lshl_add_u32 v0, v0, 10, v4
	v_and_or_b32 v0, v1, s54, v0
	v_lshlrev_b32_e32 v0, 16, v0
	v_lshl_or_b32 v58, v3, 23, v0
.LBB260_220:                            ;   in Loop: Header=BB260_13 Depth=1
	s_or_b64 exec, exec, s[44:45]
.LBB260_221:                            ;   in Loop: Header=BB260_13 Depth=1
	s_or_b64 exec, exec, s[42:43]
.LBB260_222:                            ;   in Loop: Header=BB260_13 Depth=1
	s_or_b64 exec, exec, s[40:41]
	v_lshrrev_b32_e32 v1, 16, v9
	v_cmp_ne_u16_sdwa s[4:5], v1, v2 src0_sel:BYTE_0 src1_sel:DWORD
	v_mov_b32_e32 v60, 0
	v_mov_b32_e32 v0, 0
	buffer_store_dword v0, off, s[56:59], 0 offset:52 ; 4-byte Folded Spill
	s_and_saveexec_b64 s[40:41], s[4:5]
	s_cbranch_execz .LBB260_228
; %bb.223:                              ;   in Loop: Header=BB260_13 Depth=1
	v_cmp_ne_u16_sdwa s[4:5], v1, s52 src0_sel:BYTE_0 src1_sel:DWORD
	v_mov_b32_e32 v0, 0x8000
	buffer_store_dword v0, off, s[56:59], 0 offset:52 ; 4-byte Folded Spill
	s_and_saveexec_b64 s[42:43], s[4:5]
	s_cbranch_execz .LBB260_227
; %bb.224:                              ;   in Loop: Header=BB260_13 Depth=1
	v_bfe_u32 v0, v9, 16, 7
	v_cmp_ne_u32_e64 s[4:5], s53, v0
	v_mov_b32_e32 v3, 0x7c01
	buffer_store_dword v3, off, s[56:59], 0 offset:52 ; 4-byte Folded Spill
	s_and_saveexec_b64 s[44:45], s[4:5]
	s_cbranch_execz .LBB260_226
; %bb.225:                              ;   in Loop: Header=BB260_13 Depth=1
	s_waitcnt vmcnt(3)
	v_and_b32_e32 v10, 7, v1
	v_lshrrev_b32_e32 v11, 3, v0
	v_cmp_gt_u32_e64 s[4:5], 8, v0
	v_ffbh_u32_e32 v0, v10
	v_min_u32_e32 v0, 32, v0
	v_subrev_u32_e32 v3, 28, v0
	v_lshlrev_b64 v[3:4], v3, v[1:2]
	v_sub_u32_e32 v0, 29, v0
	v_and_b32_e32 v3, 7, v3
	v_cndmask_b32_e64 v3, v10, v3, s[4:5]
	buffer_load_dword v10, off, s[56:59], 0 offset:60 ; 4-byte Folded Reload
	v_cndmask_b32_e64 v0, v11, v0, s[4:5]
	v_mov_b32_e32 v4, 0x2000
	v_lshl_add_u32 v0, v0, 10, v4
	v_lshlrev_b32_e32 v1, 8, v1
	v_and_b32_e32 v0, 0xfc00, v0
	v_and_or_b32 v0, v1, s54, v0
	v_lshl_or_b32 v0, v3, 7, v0
	buffer_store_dword v0, off, s[56:59], 0 offset:52 ; 4-byte Folded Spill
.LBB260_226:                            ;   in Loop: Header=BB260_13 Depth=1
	s_or_b64 exec, exec, s[44:45]
.LBB260_227:                            ;   in Loop: Header=BB260_13 Depth=1
	s_or_b64 exec, exec, s[42:43]
.LBB260_228:                            ;   in Loop: Header=BB260_13 Depth=1
	s_or_b64 exec, exec, s[40:41]
	v_cmp_lt_u32_e64 s[4:5], s55, v9
	s_and_saveexec_b64 s[40:41], s[4:5]
	s_cbranch_execz .LBB260_234
; %bb.229:                              ;   in Loop: Header=BB260_13 Depth=1
	v_lshrrev_b32_e32 v1, 24, v9
	v_cmp_ne_u32_e64 s[4:5], s52, v1
	v_bfrev_b32_e32 v60, 1
	s_and_saveexec_b64 s[42:43], s[4:5]
	s_cbranch_execz .LBB260_233
; %bb.230:                              ;   in Loop: Header=BB260_13 Depth=1
	v_and_b32_e32 v0, 0x7f, v1
	v_cmp_ne_u32_e64 s[4:5], s53, v0
	v_mov_b32_e32 v60, 0x7c010000
	s_and_saveexec_b64 s[44:45], s[4:5]
	s_cbranch_execz .LBB260_232
; %bb.231:                              ;   in Loop: Header=BB260_13 Depth=1
	v_and_b32_e32 v9, 7, v1
	s_waitcnt vmcnt(1)
	v_lshrrev_b32_e32 v10, 3, v0
	v_cmp_gt_u32_e64 s[4:5], 8, v0
	v_ffbh_u32_e32 v0, v9
	v_min_u32_e32 v0, 32, v0
	v_subrev_u32_e32 v3, 28, v0
	v_sub_u32_e32 v0, 29, v0
	v_cndmask_b32_e64 v0, v10, v0, s[4:5]
	buffer_load_dword v10, off, s[56:59], 0 offset:60 ; 4-byte Folded Reload
	v_lshlrev_b64 v[3:4], v3, v[1:2]
	v_mov_b32_e32 v4, 0x2000
	v_lshlrev_b32_e32 v1, 8, v1
	v_lshl_add_u32 v0, v0, 10, v4
	v_and_b32_e32 v3, 7, v3
	v_and_or_b32 v0, v1, s54, v0
	v_cndmask_b32_e64 v3, v9, v3, s[4:5]
	v_lshlrev_b32_e32 v0, 16, v0
	v_lshl_or_b32 v60, v3, 23, v0
.LBB260_232:                            ;   in Loop: Header=BB260_13 Depth=1
	s_or_b64 exec, exec, s[44:45]
.LBB260_233:                            ;   in Loop: Header=BB260_13 Depth=1
	s_or_b64 exec, exec, s[42:43]
.LBB260_234:                            ;   in Loop: Header=BB260_13 Depth=1
	s_or_b64 exec, exec, s[40:41]
	global_load_dword v9, v[7:8], off offset:2056
	v_mov_b32_e32 v13, 0
	v_mov_b32_e32 v0, 0
	buffer_store_dword v0, off, s[56:59], 0 offset:56 ; 4-byte Folded Spill
	s_waitcnt vmcnt(1)
	v_cmp_ne_u16_sdwa s[4:5], v9, v2 src0_sel:BYTE_0 src1_sel:DWORD
	s_and_saveexec_b64 s[40:41], s[4:5]
	s_cbranch_execz .LBB260_240
; %bb.235:                              ;   in Loop: Header=BB260_13 Depth=1
	v_cmp_ne_u16_sdwa s[4:5], v9, s52 src0_sel:BYTE_0 src1_sel:DWORD
	v_mov_b32_e32 v0, 0x8000
	buffer_store_dword v0, off, s[56:59], 0 offset:56 ; 4-byte Folded Spill
	s_and_saveexec_b64 s[42:43], s[4:5]
	s_cbranch_execz .LBB260_239
; %bb.236:                              ;   in Loop: Header=BB260_13 Depth=1
	v_and_b32_e32 v0, 0x7f, v9
	v_cmp_ne_u32_e64 s[4:5], s53, v0
	v_mov_b32_e32 v1, 0x7c01
	buffer_store_dword v1, off, s[56:59], 0 offset:56 ; 4-byte Folded Spill
	s_and_saveexec_b64 s[44:45], s[4:5]
	s_cbranch_execz .LBB260_238
; %bb.237:                              ;   in Loop: Header=BB260_13 Depth=1
	v_and_b32_e32 v3, 7, v9
	v_lshrrev_b32_e32 v4, 3, v0
	v_cmp_gt_u32_e64 s[4:5], 8, v0
	v_ffbh_u32_e32 v0, v3
	v_min_u32_e32 v10, 32, v0
	v_subrev_u32_e32 v0, 28, v10
	v_lshlrev_b64 v[0:1], v0, v[9:10]
	v_sub_u32_e32 v1, 29, v10
	v_cndmask_b32_e64 v1, v4, v1, s[4:5]
	v_mov_b32_e32 v10, 0x2000
	v_lshl_add_u32 v1, v1, 10, v10
	buffer_load_dword v10, off, s[56:59], 0 offset:60 ; 4-byte Folded Reload
	v_lshlrev_b32_e32 v4, 8, v9
	v_and_b32_e32 v0, 7, v0
	v_and_b32_e32 v1, 0xfc00, v1
	v_cndmask_b32_e64 v0, v3, v0, s[4:5]
	v_and_or_b32 v1, v4, s54, v1
	v_lshl_or_b32 v0, v0, 7, v1
	buffer_store_dword v0, off, s[56:59], 0 offset:56 ; 4-byte Folded Spill
.LBB260_238:                            ;   in Loop: Header=BB260_13 Depth=1
	s_or_b64 exec, exec, s[44:45]
.LBB260_239:                            ;   in Loop: Header=BB260_13 Depth=1
	s_or_b64 exec, exec, s[42:43]
.LBB260_240:                            ;   in Loop: Header=BB260_13 Depth=1
	s_or_b64 exec, exec, s[40:41]
	v_lshrrev_b16_e32 v1, 8, v9
	v_cmp_ne_u16_e64 s[4:5], 0, v1
	s_and_saveexec_b64 s[40:41], s[4:5]
	s_cbranch_execz .LBB260_246
; %bb.241:                              ;   in Loop: Header=BB260_13 Depth=1
	v_cmp_ne_u16_e64 s[4:5], s52, v1
	v_bfrev_b32_e32 v13, 1
	s_and_saveexec_b64 s[42:43], s[4:5]
	s_cbranch_execz .LBB260_245
; %bb.242:                              ;   in Loop: Header=BB260_13 Depth=1
	v_and_b32_e32 v0, 0x7f, v1
	v_cmp_ne_u32_e64 s[4:5], s53, v0
	v_mov_b32_e32 v13, 0x7c010000
	s_and_saveexec_b64 s[44:45], s[4:5]
	s_cbranch_execz .LBB260_244
; %bb.243:                              ;   in Loop: Header=BB260_13 Depth=1
	v_and_b32_e32 v11, 7, v1
	v_lshrrev_b32_e32 v13, 3, v0
	v_cmp_gt_u32_e64 s[4:5], 8, v0
	v_ffbh_u32_e32 v0, v11
	v_min_u32_e32 v0, 32, v0
	v_subrev_u32_e32 v3, 28, v0
	v_lshlrev_b64 v[3:4], v3, v[1:2]
	v_sub_u32_e32 v0, 29, v0
	v_cndmask_b32_e64 v0, v13, v0, s[4:5]
	v_mov_b32_e32 v4, 0x2000
	v_lshlrev_b32_e32 v1, 8, v1
	v_lshl_add_u32 v0, v0, 10, v4
	v_and_b32_e32 v3, 7, v3
	v_and_or_b32 v0, v1, s54, v0
	v_cndmask_b32_e64 v3, v11, v3, s[4:5]
	v_lshlrev_b32_e32 v0, 16, v0
	v_lshl_or_b32 v13, v3, 23, v0
.LBB260_244:                            ;   in Loop: Header=BB260_13 Depth=1
	s_or_b64 exec, exec, s[44:45]
.LBB260_245:                            ;   in Loop: Header=BB260_13 Depth=1
	s_or_b64 exec, exec, s[42:43]
.LBB260_246:                            ;   in Loop: Header=BB260_13 Depth=1
	s_or_b64 exec, exec, s[40:41]
	v_lshrrev_b32_e32 v1, 16, v9
	v_cmp_ne_u16_sdwa s[4:5], v1, v2 src0_sel:BYTE_0 src1_sel:DWORD
	v_mov_b32_e32 v17, 0
	v_mov_b32_e32 v22, 0
	s_and_saveexec_b64 s[40:41], s[4:5]
	s_cbranch_execz .LBB260_252
; %bb.247:                              ;   in Loop: Header=BB260_13 Depth=1
	v_cmp_ne_u16_sdwa s[4:5], v1, s52 src0_sel:BYTE_0 src1_sel:DWORD
	v_mov_b32_e32 v22, 0x8000
	s_and_saveexec_b64 s[42:43], s[4:5]
	s_cbranch_execz .LBB260_251
; %bb.248:                              ;   in Loop: Header=BB260_13 Depth=1
	v_bfe_u32 v0, v9, 16, 7
	v_cmp_ne_u32_e64 s[4:5], s53, v0
	v_mov_b32_e32 v22, 0x7c01
	s_and_saveexec_b64 s[44:45], s[4:5]
	s_cbranch_execz .LBB260_250
; %bb.249:                              ;   in Loop: Header=BB260_13 Depth=1
	v_and_b32_e32 v11, 7, v1
	v_lshrrev_b32_e32 v14, 3, v0
	v_cmp_gt_u32_e64 s[4:5], 8, v0
	v_ffbh_u32_e32 v0, v11
	v_min_u32_e32 v0, 32, v0
	v_subrev_u32_e32 v3, 28, v0
	v_lshlrev_b64 v[3:4], v3, v[1:2]
	v_sub_u32_e32 v0, 29, v0
	v_cndmask_b32_e64 v0, v14, v0, s[4:5]
	v_mov_b32_e32 v4, 0x2000
	v_lshl_add_u32 v0, v0, 10, v4
	v_lshlrev_b32_e32 v1, 8, v1
	v_and_b32_e32 v3, 7, v3
	v_and_b32_e32 v0, 0xfc00, v0
	v_cndmask_b32_e64 v3, v11, v3, s[4:5]
	v_and_or_b32 v0, v1, s54, v0
	v_lshl_or_b32 v22, v3, 7, v0
.LBB260_250:                            ;   in Loop: Header=BB260_13 Depth=1
	s_or_b64 exec, exec, s[44:45]
.LBB260_251:                            ;   in Loop: Header=BB260_13 Depth=1
	s_or_b64 exec, exec, s[42:43]
.LBB260_252:                            ;   in Loop: Header=BB260_13 Depth=1
	s_or_b64 exec, exec, s[40:41]
	v_cmp_lt_u32_e64 s[4:5], s55, v9
	s_and_saveexec_b64 s[40:41], s[4:5]
	s_cbranch_execz .LBB260_258
; %bb.253:                              ;   in Loop: Header=BB260_13 Depth=1
	v_lshrrev_b32_e32 v1, 24, v9
	v_cmp_ne_u32_e64 s[4:5], s52, v1
	v_bfrev_b32_e32 v17, 1
	s_and_saveexec_b64 s[42:43], s[4:5]
	s_cbranch_execz .LBB260_257
; %bb.254:                              ;   in Loop: Header=BB260_13 Depth=1
	v_and_b32_e32 v0, 0x7f, v1
	v_cmp_ne_u32_e64 s[4:5], s53, v0
	v_mov_b32_e32 v17, 0x7c010000
	s_and_saveexec_b64 s[44:45], s[4:5]
	s_cbranch_execz .LBB260_256
; %bb.255:                              ;   in Loop: Header=BB260_13 Depth=1
	v_and_b32_e32 v9, 7, v1
	v_lshrrev_b32_e32 v11, 3, v0
	v_cmp_gt_u32_e64 s[4:5], 8, v0
	v_ffbh_u32_e32 v0, v9
	v_min_u32_e32 v0, 32, v0
	v_subrev_u32_e32 v3, 28, v0
	v_lshlrev_b64 v[3:4], v3, v[1:2]
	v_sub_u32_e32 v0, 29, v0
	v_cndmask_b32_e64 v0, v11, v0, s[4:5]
	v_mov_b32_e32 v4, 0x2000
	v_lshlrev_b32_e32 v1, 8, v1
	v_lshl_add_u32 v0, v0, 10, v4
	v_and_b32_e32 v3, 7, v3
	v_and_or_b32 v0, v1, s54, v0
	v_cndmask_b32_e64 v3, v9, v3, s[4:5]
	v_lshlrev_b32_e32 v0, 16, v0
	v_lshl_or_b32 v17, v3, 23, v0
.LBB260_256:                            ;   in Loop: Header=BB260_13 Depth=1
	s_or_b64 exec, exec, s[44:45]
.LBB260_257:                            ;   in Loop: Header=BB260_13 Depth=1
	s_or_b64 exec, exec, s[42:43]
.LBB260_258:                            ;   in Loop: Header=BB260_13 Depth=1
	s_or_b64 exec, exec, s[40:41]
	global_load_dword v9, v[7:8], off offset:2560
	v_mov_b32_e32 v37, 0
	v_mov_b32_e32 v39, 0
	s_waitcnt vmcnt(0)
	v_cmp_ne_u16_sdwa s[4:5], v9, v2 src0_sel:BYTE_0 src1_sel:DWORD
	s_and_saveexec_b64 s[40:41], s[4:5]
	s_cbranch_execz .LBB260_264
; %bb.259:                              ;   in Loop: Header=BB260_13 Depth=1
	v_cmp_ne_u16_sdwa s[4:5], v9, s52 src0_sel:BYTE_0 src1_sel:DWORD
	v_mov_b32_e32 v39, 0x8000
	s_and_saveexec_b64 s[42:43], s[4:5]
	s_cbranch_execz .LBB260_263
; %bb.260:                              ;   in Loop: Header=BB260_13 Depth=1
	v_and_b32_e32 v0, 0x7f, v9
	v_cmp_ne_u32_e64 s[4:5], s53, v0
	v_mov_b32_e32 v39, 0x7c01
	s_and_saveexec_b64 s[44:45], s[4:5]
	s_cbranch_execz .LBB260_262
; %bb.261:                              ;   in Loop: Header=BB260_13 Depth=1
	v_and_b32_e32 v3, 7, v9
	v_lshrrev_b32_e32 v4, 3, v0
	v_cmp_gt_u32_e64 s[4:5], 8, v0
	v_ffbh_u32_e32 v0, v3
	v_min_u32_e32 v11, 32, v0
	v_subrev_u32_e32 v0, 28, v11
	v_lshlrev_b64 v[0:1], v0, v[9:10]
	v_sub_u32_e32 v1, 29, v11
	v_cndmask_b32_e64 v1, v4, v1, s[4:5]
	v_mov_b32_e32 v11, 0x2000
	v_lshl_add_u32 v1, v1, 10, v11
	v_lshlrev_b32_e32 v4, 8, v9
	v_and_b32_e32 v0, 7, v0
	v_and_b32_e32 v1, 0xfc00, v1
	v_cndmask_b32_e64 v0, v3, v0, s[4:5]
	v_and_or_b32 v1, v4, s54, v1
	v_lshl_or_b32 v39, v0, 7, v1
.LBB260_262:                            ;   in Loop: Header=BB260_13 Depth=1
	s_or_b64 exec, exec, s[44:45]
.LBB260_263:                            ;   in Loop: Header=BB260_13 Depth=1
	s_or_b64 exec, exec, s[42:43]
.LBB260_264:                            ;   in Loop: Header=BB260_13 Depth=1
	s_or_b64 exec, exec, s[40:41]
	v_lshrrev_b16_e32 v1, 8, v9
	v_cmp_ne_u16_e64 s[4:5], 0, v1
	s_and_saveexec_b64 s[40:41], s[4:5]
	s_cbranch_execz .LBB260_270
; %bb.265:                              ;   in Loop: Header=BB260_13 Depth=1
	v_cmp_ne_u16_e64 s[4:5], s52, v1
	v_bfrev_b32_e32 v37, 1
	s_and_saveexec_b64 s[42:43], s[4:5]
	s_cbranch_execz .LBB260_269
; %bb.266:                              ;   in Loop: Header=BB260_13 Depth=1
	v_and_b32_e32 v0, 0x7f, v1
	v_cmp_ne_u32_e64 s[4:5], s53, v0
	v_mov_b32_e32 v37, 0x7c010000
	s_and_saveexec_b64 s[44:45], s[4:5]
	s_cbranch_execz .LBB260_268
; %bb.267:                              ;   in Loop: Header=BB260_13 Depth=1
	v_and_b32_e32 v11, 7, v1
	v_lshrrev_b32_e32 v14, 3, v0
	v_cmp_gt_u32_e64 s[4:5], 8, v0
	v_ffbh_u32_e32 v0, v11
	v_min_u32_e32 v0, 32, v0
	v_subrev_u32_e32 v3, 28, v0
	v_lshlrev_b64 v[3:4], v3, v[1:2]
	v_sub_u32_e32 v0, 29, v0
	v_cndmask_b32_e64 v0, v14, v0, s[4:5]
	v_mov_b32_e32 v4, 0x2000
	v_lshlrev_b32_e32 v1, 8, v1
	v_lshl_add_u32 v0, v0, 10, v4
	v_and_b32_e32 v3, 7, v3
	v_and_or_b32 v0, v1, s54, v0
	v_cndmask_b32_e64 v3, v11, v3, s[4:5]
	v_lshlrev_b32_e32 v0, 16, v0
	v_lshl_or_b32 v37, v3, 23, v0
.LBB260_268:                            ;   in Loop: Header=BB260_13 Depth=1
	s_or_b64 exec, exec, s[44:45]
.LBB260_269:                            ;   in Loop: Header=BB260_13 Depth=1
	s_or_b64 exec, exec, s[42:43]
.LBB260_270:                            ;   in Loop: Header=BB260_13 Depth=1
	s_or_b64 exec, exec, s[40:41]
	v_lshrrev_b32_e32 v1, 16, v9
	v_cmp_ne_u16_sdwa s[4:5], v1, v2 src0_sel:BYTE_0 src1_sel:DWORD
	v_mov_b32_e32 v45, 0
	v_mov_b32_e32 v47, 0
	s_and_saveexec_b64 s[40:41], s[4:5]
	s_cbranch_execz .LBB260_276
; %bb.271:                              ;   in Loop: Header=BB260_13 Depth=1
	v_cmp_ne_u16_sdwa s[4:5], v1, s52 src0_sel:BYTE_0 src1_sel:DWORD
	v_mov_b32_e32 v47, 0x8000
	s_and_saveexec_b64 s[42:43], s[4:5]
	s_cbranch_execz .LBB260_275
; %bb.272:                              ;   in Loop: Header=BB260_13 Depth=1
	v_bfe_u32 v0, v9, 16, 7
	v_cmp_ne_u32_e64 s[4:5], s53, v0
	v_mov_b32_e32 v47, 0x7c01
	s_and_saveexec_b64 s[44:45], s[4:5]
	s_cbranch_execz .LBB260_274
; %bb.273:                              ;   in Loop: Header=BB260_13 Depth=1
	v_and_b32_e32 v11, 7, v1
	v_lshrrev_b32_e32 v14, 3, v0
	v_cmp_gt_u32_e64 s[4:5], 8, v0
	v_ffbh_u32_e32 v0, v11
	v_min_u32_e32 v0, 32, v0
	v_subrev_u32_e32 v3, 28, v0
	v_lshlrev_b64 v[3:4], v3, v[1:2]
	v_sub_u32_e32 v0, 29, v0
	v_cndmask_b32_e64 v0, v14, v0, s[4:5]
	v_mov_b32_e32 v4, 0x2000
	v_lshl_add_u32 v0, v0, 10, v4
	v_lshlrev_b32_e32 v1, 8, v1
	v_and_b32_e32 v3, 7, v3
	v_and_b32_e32 v0, 0xfc00, v0
	v_cndmask_b32_e64 v3, v11, v3, s[4:5]
	v_and_or_b32 v0, v1, s54, v0
	v_lshl_or_b32 v47, v3, 7, v0
.LBB260_274:                            ;   in Loop: Header=BB260_13 Depth=1
	s_or_b64 exec, exec, s[44:45]
.LBB260_275:                            ;   in Loop: Header=BB260_13 Depth=1
	s_or_b64 exec, exec, s[42:43]
.LBB260_276:                            ;   in Loop: Header=BB260_13 Depth=1
	s_or_b64 exec, exec, s[40:41]
	v_cmp_lt_u32_e64 s[4:5], s55, v9
	s_and_saveexec_b64 s[40:41], s[4:5]
	s_cbranch_execz .LBB260_282
; %bb.277:                              ;   in Loop: Header=BB260_13 Depth=1
	v_lshrrev_b32_e32 v1, 24, v9
	v_cmp_ne_u32_e64 s[4:5], s52, v1
	v_bfrev_b32_e32 v45, 1
	s_and_saveexec_b64 s[42:43], s[4:5]
	s_cbranch_execz .LBB260_281
; %bb.278:                              ;   in Loop: Header=BB260_13 Depth=1
	v_and_b32_e32 v0, 0x7f, v1
	v_cmp_ne_u32_e64 s[4:5], s53, v0
	v_mov_b32_e32 v45, 0x7c010000
	s_and_saveexec_b64 s[44:45], s[4:5]
	s_cbranch_execz .LBB260_280
; %bb.279:                              ;   in Loop: Header=BB260_13 Depth=1
	v_and_b32_e32 v9, 7, v1
	v_lshrrev_b32_e32 v11, 3, v0
	v_cmp_gt_u32_e64 s[4:5], 8, v0
	v_ffbh_u32_e32 v0, v9
	v_min_u32_e32 v0, 32, v0
	v_subrev_u32_e32 v3, 28, v0
	v_lshlrev_b64 v[3:4], v3, v[1:2]
	v_sub_u32_e32 v0, 29, v0
	v_cndmask_b32_e64 v0, v11, v0, s[4:5]
	v_mov_b32_e32 v4, 0x2000
	v_lshlrev_b32_e32 v1, 8, v1
	v_lshl_add_u32 v0, v0, 10, v4
	v_and_b32_e32 v3, 7, v3
	v_and_or_b32 v0, v1, s54, v0
	v_cndmask_b32_e64 v3, v9, v3, s[4:5]
	v_lshlrev_b32_e32 v0, 16, v0
	v_lshl_or_b32 v45, v3, 23, v0
.LBB260_280:                            ;   in Loop: Header=BB260_13 Depth=1
	s_or_b64 exec, exec, s[44:45]
.LBB260_281:                            ;   in Loop: Header=BB260_13 Depth=1
	s_or_b64 exec, exec, s[42:43]
.LBB260_282:                            ;   in Loop: Header=BB260_13 Depth=1
	s_or_b64 exec, exec, s[40:41]
	global_load_dword v9, v[7:8], off offset:2568
	v_mov_b32_e32 v29, 0
	v_mov_b32_e32 v31, 0
	s_waitcnt vmcnt(0)
	v_cmp_ne_u16_sdwa s[4:5], v9, v2 src0_sel:BYTE_0 src1_sel:DWORD
	s_and_saveexec_b64 s[40:41], s[4:5]
	s_cbranch_execz .LBB260_288
; %bb.283:                              ;   in Loop: Header=BB260_13 Depth=1
	v_cmp_ne_u16_sdwa s[4:5], v9, s52 src0_sel:BYTE_0 src1_sel:DWORD
	v_mov_b32_e32 v31, 0x8000
	s_and_saveexec_b64 s[42:43], s[4:5]
	s_cbranch_execz .LBB260_287
; %bb.284:                              ;   in Loop: Header=BB260_13 Depth=1
	v_and_b32_e32 v0, 0x7f, v9
	v_cmp_ne_u32_e64 s[4:5], s53, v0
	v_mov_b32_e32 v31, 0x7c01
	s_and_saveexec_b64 s[44:45], s[4:5]
	s_cbranch_execz .LBB260_286
; %bb.285:                              ;   in Loop: Header=BB260_13 Depth=1
	v_and_b32_e32 v3, 7, v9
	v_lshrrev_b32_e32 v4, 3, v0
	v_cmp_gt_u32_e64 s[4:5], 8, v0
	v_ffbh_u32_e32 v0, v3
	v_min_u32_e32 v11, 32, v0
	v_subrev_u32_e32 v0, 28, v11
	v_lshlrev_b64 v[0:1], v0, v[9:10]
	v_sub_u32_e32 v1, 29, v11
	v_cndmask_b32_e64 v1, v4, v1, s[4:5]
	v_mov_b32_e32 v11, 0x2000
	v_lshl_add_u32 v1, v1, 10, v11
	v_lshlrev_b32_e32 v4, 8, v9
	v_and_b32_e32 v0, 7, v0
	v_and_b32_e32 v1, 0xfc00, v1
	v_cndmask_b32_e64 v0, v3, v0, s[4:5]
	v_and_or_b32 v1, v4, s54, v1
	v_lshl_or_b32 v31, v0, 7, v1
.LBB260_286:                            ;   in Loop: Header=BB260_13 Depth=1
	s_or_b64 exec, exec, s[44:45]
.LBB260_287:                            ;   in Loop: Header=BB260_13 Depth=1
	s_or_b64 exec, exec, s[42:43]
.LBB260_288:                            ;   in Loop: Header=BB260_13 Depth=1
	s_or_b64 exec, exec, s[40:41]
	v_lshrrev_b16_e32 v1, 8, v9
	v_cmp_ne_u16_e64 s[4:5], 0, v1
	s_and_saveexec_b64 s[40:41], s[4:5]
	s_cbranch_execz .LBB260_294
; %bb.289:                              ;   in Loop: Header=BB260_13 Depth=1
	v_cmp_ne_u16_e64 s[4:5], s52, v1
	v_bfrev_b32_e32 v29, 1
	s_and_saveexec_b64 s[42:43], s[4:5]
	s_cbranch_execz .LBB260_293
; %bb.290:                              ;   in Loop: Header=BB260_13 Depth=1
	v_and_b32_e32 v0, 0x7f, v1
	v_cmp_ne_u32_e64 s[4:5], s53, v0
	v_mov_b32_e32 v29, 0x7c010000
	s_and_saveexec_b64 s[44:45], s[4:5]
	s_cbranch_execz .LBB260_292
; %bb.291:                              ;   in Loop: Header=BB260_13 Depth=1
	v_and_b32_e32 v11, 7, v1
	v_lshrrev_b32_e32 v14, 3, v0
	v_cmp_gt_u32_e64 s[4:5], 8, v0
	v_ffbh_u32_e32 v0, v11
	v_min_u32_e32 v0, 32, v0
	v_subrev_u32_e32 v3, 28, v0
	v_lshlrev_b64 v[3:4], v3, v[1:2]
	v_sub_u32_e32 v0, 29, v0
	v_cndmask_b32_e64 v0, v14, v0, s[4:5]
	v_mov_b32_e32 v4, 0x2000
	v_lshlrev_b32_e32 v1, 8, v1
	v_lshl_add_u32 v0, v0, 10, v4
	v_and_b32_e32 v3, 7, v3
	v_and_or_b32 v0, v1, s54, v0
	v_cndmask_b32_e64 v3, v11, v3, s[4:5]
	v_lshlrev_b32_e32 v0, 16, v0
	v_lshl_or_b32 v29, v3, 23, v0
.LBB260_292:                            ;   in Loop: Header=BB260_13 Depth=1
	s_or_b64 exec, exec, s[44:45]
.LBB260_293:                            ;   in Loop: Header=BB260_13 Depth=1
	s_or_b64 exec, exec, s[42:43]
.LBB260_294:                            ;   in Loop: Header=BB260_13 Depth=1
	s_or_b64 exec, exec, s[40:41]
	v_lshrrev_b32_e32 v1, 16, v9
	v_cmp_ne_u16_sdwa s[4:5], v1, v2 src0_sel:BYTE_0 src1_sel:DWORD
	v_mov_b32_e32 v41, 0
	v_mov_b32_e32 v43, 0
	s_and_saveexec_b64 s[40:41], s[4:5]
	s_cbranch_execz .LBB260_300
; %bb.295:                              ;   in Loop: Header=BB260_13 Depth=1
	v_cmp_ne_u16_sdwa s[4:5], v1, s52 src0_sel:BYTE_0 src1_sel:DWORD
	v_mov_b32_e32 v43, 0x8000
	s_and_saveexec_b64 s[42:43], s[4:5]
	s_cbranch_execz .LBB260_299
; %bb.296:                              ;   in Loop: Header=BB260_13 Depth=1
	v_bfe_u32 v0, v9, 16, 7
	v_cmp_ne_u32_e64 s[4:5], s53, v0
	v_mov_b32_e32 v43, 0x7c01
	s_and_saveexec_b64 s[44:45], s[4:5]
	s_cbranch_execz .LBB260_298
; %bb.297:                              ;   in Loop: Header=BB260_13 Depth=1
	v_and_b32_e32 v11, 7, v1
	v_lshrrev_b32_e32 v14, 3, v0
	v_cmp_gt_u32_e64 s[4:5], 8, v0
	v_ffbh_u32_e32 v0, v11
	v_min_u32_e32 v0, 32, v0
	v_subrev_u32_e32 v3, 28, v0
	v_lshlrev_b64 v[3:4], v3, v[1:2]
	v_sub_u32_e32 v0, 29, v0
	v_cndmask_b32_e64 v0, v14, v0, s[4:5]
	v_mov_b32_e32 v4, 0x2000
	v_lshl_add_u32 v0, v0, 10, v4
	v_lshlrev_b32_e32 v1, 8, v1
	v_and_b32_e32 v3, 7, v3
	v_and_b32_e32 v0, 0xfc00, v0
	v_cndmask_b32_e64 v3, v11, v3, s[4:5]
	v_and_or_b32 v0, v1, s54, v0
	v_lshl_or_b32 v43, v3, 7, v0
.LBB260_298:                            ;   in Loop: Header=BB260_13 Depth=1
	s_or_b64 exec, exec, s[44:45]
.LBB260_299:                            ;   in Loop: Header=BB260_13 Depth=1
	s_or_b64 exec, exec, s[42:43]
.LBB260_300:                            ;   in Loop: Header=BB260_13 Depth=1
	s_or_b64 exec, exec, s[40:41]
	v_cmp_lt_u32_e64 s[4:5], s55, v9
	s_and_saveexec_b64 s[40:41], s[4:5]
	s_cbranch_execz .LBB260_306
; %bb.301:                              ;   in Loop: Header=BB260_13 Depth=1
	v_lshrrev_b32_e32 v1, 24, v9
	v_cmp_ne_u32_e64 s[4:5], s52, v1
	v_bfrev_b32_e32 v41, 1
	s_and_saveexec_b64 s[42:43], s[4:5]
	s_cbranch_execz .LBB260_305
; %bb.302:                              ;   in Loop: Header=BB260_13 Depth=1
	v_and_b32_e32 v0, 0x7f, v1
	v_cmp_ne_u32_e64 s[4:5], s53, v0
	v_mov_b32_e32 v41, 0x7c010000
	s_and_saveexec_b64 s[44:45], s[4:5]
	s_cbranch_execz .LBB260_304
; %bb.303:                              ;   in Loop: Header=BB260_13 Depth=1
	v_and_b32_e32 v9, 7, v1
	v_lshrrev_b32_e32 v11, 3, v0
	v_cmp_gt_u32_e64 s[4:5], 8, v0
	v_ffbh_u32_e32 v0, v9
	v_min_u32_e32 v0, 32, v0
	v_subrev_u32_e32 v3, 28, v0
	v_lshlrev_b64 v[3:4], v3, v[1:2]
	v_sub_u32_e32 v0, 29, v0
	v_cndmask_b32_e64 v0, v11, v0, s[4:5]
	v_mov_b32_e32 v4, 0x2000
	v_lshlrev_b32_e32 v1, 8, v1
	v_lshl_add_u32 v0, v0, 10, v4
	v_and_b32_e32 v3, 7, v3
	v_and_or_b32 v0, v1, s54, v0
	v_cndmask_b32_e64 v3, v9, v3, s[4:5]
	v_lshlrev_b32_e32 v0, 16, v0
	v_lshl_or_b32 v41, v3, 23, v0
.LBB260_304:                            ;   in Loop: Header=BB260_13 Depth=1
	s_or_b64 exec, exec, s[44:45]
.LBB260_305:                            ;   in Loop: Header=BB260_13 Depth=1
	s_or_b64 exec, exec, s[42:43]
.LBB260_306:                            ;   in Loop: Header=BB260_13 Depth=1
	s_or_b64 exec, exec, s[40:41]
	global_load_dword v9, v[7:8], off offset:3072
	v_mov_b32_e32 v0, 0
	v_mov_b32_e32 v4, 0
	s_waitcnt vmcnt(0)
	v_cmp_ne_u16_sdwa s[4:5], v9, v2 src0_sel:BYTE_0 src1_sel:DWORD
	s_and_saveexec_b64 s[40:41], s[4:5]
	s_cbranch_execz .LBB260_312
; %bb.307:                              ;   in Loop: Header=BB260_13 Depth=1
	v_cmp_ne_u16_sdwa s[4:5], v9, s52 src0_sel:BYTE_0 src1_sel:DWORD
	v_mov_b32_e32 v4, 0x8000
	s_and_saveexec_b64 s[42:43], s[4:5]
	s_cbranch_execz .LBB260_311
; %bb.308:                              ;   in Loop: Header=BB260_13 Depth=1
	v_and_b32_e32 v1, 0x7f, v9
	v_cmp_ne_u32_e64 s[4:5], s53, v1
	v_mov_b32_e32 v4, 0x7c01
	s_and_saveexec_b64 s[44:45], s[4:5]
	s_cbranch_execz .LBB260_310
; %bb.309:                              ;   in Loop: Header=BB260_13 Depth=1
	v_and_b32_e32 v11, 7, v9
	v_lshrrev_b32_e32 v14, 3, v1
	v_cmp_gt_u32_e64 s[4:5], 8, v1
	v_ffbh_u32_e32 v1, v11
	v_min_u32_e32 v1, 32, v1
	v_subrev_u32_e32 v3, 28, v1
	v_sub_u32_e32 v1, 29, v1
	v_lshlrev_b64 v[3:4], v3, v[9:10]
	v_cndmask_b32_e64 v1, v14, v1, s[4:5]
	v_mov_b32_e32 v12, 0x2000
	v_lshl_add_u32 v1, v1, 10, v12
	v_lshlrev_b32_e32 v4, 8, v9
	v_and_b32_e32 v3, 7, v3
	v_and_b32_e32 v1, 0xfc00, v1
	v_cndmask_b32_e64 v3, v11, v3, s[4:5]
	v_and_or_b32 v1, v4, s54, v1
	v_lshl_or_b32 v4, v3, 7, v1
.LBB260_310:                            ;   in Loop: Header=BB260_13 Depth=1
	s_or_b64 exec, exec, s[44:45]
.LBB260_311:                            ;   in Loop: Header=BB260_13 Depth=1
	s_or_b64 exec, exec, s[42:43]
.LBB260_312:                            ;   in Loop: Header=BB260_13 Depth=1
	s_or_b64 exec, exec, s[40:41]
	v_lshrrev_b16_e32 v1, 8, v9
	v_cmp_ne_u16_e64 s[4:5], 0, v1
	s_and_saveexec_b64 s[40:41], s[4:5]
	s_cbranch_execz .LBB260_318
; %bb.313:                              ;   in Loop: Header=BB260_13 Depth=1
	v_cmp_ne_u16_e64 s[4:5], s52, v1
	v_bfrev_b32_e32 v0, 1
	s_and_saveexec_b64 s[42:43], s[4:5]
	s_cbranch_execz .LBB260_317
; %bb.314:                              ;   in Loop: Header=BB260_13 Depth=1
	v_and_b32_e32 v3, 0x7f, v1
	v_cmp_ne_u32_e64 s[4:5], s53, v3
	v_mov_b32_e32 v0, 0x7c010000
	s_and_saveexec_b64 s[44:45], s[4:5]
	s_cbranch_execz .LBB260_316
; %bb.315:                              ;   in Loop: Header=BB260_13 Depth=1
	v_and_b32_e32 v0, 7, v1
	v_lshrrev_b32_e32 v11, 3, v3
	v_cmp_gt_u32_e64 s[4:5], 8, v3
	v_ffbh_u32_e32 v3, v0
	v_min_u32_e32 v3, 32, v3
	v_subrev_u32_e32 v14, 28, v3
	v_sub_u32_e32 v3, 29, v3
	v_lshlrev_b64 v[14:15], v14, v[1:2]
	v_cndmask_b32_e64 v3, v11, v3, s[4:5]
	v_mov_b32_e32 v11, 0x2000
	v_lshlrev_b32_e32 v1, 8, v1
	v_lshl_add_u32 v3, v3, 10, v11
	v_and_b32_e32 v11, 7, v14
	v_and_or_b32 v1, v1, s54, v3
	v_cndmask_b32_e64 v0, v0, v11, s[4:5]
	v_lshlrev_b32_e32 v1, 16, v1
	v_lshl_or_b32 v0, v0, 23, v1
.LBB260_316:                            ;   in Loop: Header=BB260_13 Depth=1
	s_or_b64 exec, exec, s[44:45]
.LBB260_317:                            ;   in Loop: Header=BB260_13 Depth=1
	s_or_b64 exec, exec, s[42:43]
.LBB260_318:                            ;   in Loop: Header=BB260_13 Depth=1
	s_or_b64 exec, exec, s[40:41]
	v_lshrrev_b32_e32 v1, 16, v9
	v_cmp_ne_u16_sdwa s[4:5], v1, v2 src0_sel:BYTE_0 src1_sel:DWORD
	v_mov_b32_e32 v28, 0
	v_mov_b32_e32 v23, 0
	s_and_saveexec_b64 s[40:41], s[4:5]
	s_cbranch_execz .LBB260_324
; %bb.319:                              ;   in Loop: Header=BB260_13 Depth=1
	v_cmp_ne_u16_sdwa s[4:5], v1, s52 src0_sel:BYTE_0 src1_sel:DWORD
	v_mov_b32_e32 v23, 0x8000
	s_and_saveexec_b64 s[42:43], s[4:5]
	s_cbranch_execz .LBB260_323
; %bb.320:                              ;   in Loop: Header=BB260_13 Depth=1
	v_bfe_u32 v3, v9, 16, 7
	v_cmp_ne_u32_e64 s[4:5], s53, v3
	v_mov_b32_e32 v23, 0x7c01
	s_and_saveexec_b64 s[44:45], s[4:5]
	s_cbranch_execz .LBB260_322
; %bb.321:                              ;   in Loop: Header=BB260_13 Depth=1
	v_and_b32_e32 v11, 7, v1
	v_lshrrev_b32_e32 v20, 3, v3
	v_cmp_gt_u32_e64 s[4:5], 8, v3
	v_ffbh_u32_e32 v3, v11
	v_min_u32_e32 v3, 32, v3
	v_subrev_u32_e32 v14, 28, v3
	v_sub_u32_e32 v3, 29, v3
	v_lshlrev_b64 v[14:15], v14, v[1:2]
	v_cndmask_b32_e64 v3, v20, v3, s[4:5]
	v_mov_b32_e32 v12, 0x2000
	v_lshl_add_u32 v3, v3, 10, v12
	v_lshlrev_b32_e32 v1, 8, v1
	v_and_b32_e32 v14, 7, v14
	v_and_b32_e32 v3, 0xfc00, v3
	v_cndmask_b32_e64 v11, v11, v14, s[4:5]
	v_and_or_b32 v1, v1, s54, v3
	v_lshl_or_b32 v23, v11, 7, v1
.LBB260_322:                            ;   in Loop: Header=BB260_13 Depth=1
	s_or_b64 exec, exec, s[44:45]
.LBB260_323:                            ;   in Loop: Header=BB260_13 Depth=1
	s_or_b64 exec, exec, s[42:43]
.LBB260_324:                            ;   in Loop: Header=BB260_13 Depth=1
	s_or_b64 exec, exec, s[40:41]
	v_cmp_lt_u32_e64 s[4:5], s55, v9
	s_and_saveexec_b64 s[40:41], s[4:5]
	s_cbranch_execz .LBB260_330
; %bb.325:                              ;   in Loop: Header=BB260_13 Depth=1
	v_lshrrev_b32_e32 v1, 24, v9
	v_cmp_ne_u32_e64 s[4:5], s52, v1
	v_bfrev_b32_e32 v28, 1
	s_and_saveexec_b64 s[42:43], s[4:5]
	s_cbranch_execz .LBB260_329
; %bb.326:                              ;   in Loop: Header=BB260_13 Depth=1
	v_and_b32_e32 v3, 0x7f, v1
	v_cmp_ne_u32_e64 s[4:5], s53, v3
	v_mov_b32_e32 v28, 0x7c010000
	s_and_saveexec_b64 s[44:45], s[4:5]
	s_cbranch_execz .LBB260_328
; %bb.327:                              ;   in Loop: Header=BB260_13 Depth=1
	v_and_b32_e32 v9, 7, v1
	v_lshrrev_b32_e32 v11, 3, v3
	v_cmp_gt_u32_e64 s[4:5], 8, v3
	v_ffbh_u32_e32 v3, v9
	v_min_u32_e32 v3, 32, v3
	v_subrev_u32_e32 v14, 28, v3
	v_sub_u32_e32 v3, 29, v3
	v_lshlrev_b64 v[14:15], v14, v[1:2]
	v_cndmask_b32_e64 v3, v11, v3, s[4:5]
	v_mov_b32_e32 v11, 0x2000
	v_lshlrev_b32_e32 v1, 8, v1
	v_lshl_add_u32 v3, v3, 10, v11
	v_and_b32_e32 v11, 7, v14
	v_and_or_b32 v1, v1, s54, v3
	v_cndmask_b32_e64 v9, v9, v11, s[4:5]
	v_lshlrev_b32_e32 v1, 16, v1
	v_lshl_or_b32 v28, v9, 23, v1
.LBB260_328:                            ;   in Loop: Header=BB260_13 Depth=1
	s_or_b64 exec, exec, s[44:45]
.LBB260_329:                            ;   in Loop: Header=BB260_13 Depth=1
	s_or_b64 exec, exec, s[42:43]
.LBB260_330:                            ;   in Loop: Header=BB260_13 Depth=1
	s_or_b64 exec, exec, s[40:41]
	global_load_dword v9, v[7:8], off offset:3080
	v_mov_b32_e32 v3, 0
	v_mov_b32_e32 v14, 0
	s_waitcnt vmcnt(0)
	v_cmp_ne_u16_sdwa s[4:5], v9, v2 src0_sel:BYTE_0 src1_sel:DWORD
	s_and_saveexec_b64 s[40:41], s[4:5]
	s_cbranch_execz .LBB260_336
; %bb.331:                              ;   in Loop: Header=BB260_13 Depth=1
	v_cmp_ne_u16_sdwa s[4:5], v9, s52 src0_sel:BYTE_0 src1_sel:DWORD
	v_mov_b32_e32 v14, 0x8000
	s_and_saveexec_b64 s[42:43], s[4:5]
	s_cbranch_execz .LBB260_335
; %bb.332:                              ;   in Loop: Header=BB260_13 Depth=1
	v_and_b32_e32 v1, 0x7f, v9
	v_cmp_ne_u32_e64 s[4:5], s53, v1
	v_mov_b32_e32 v14, 0x7c01
	s_and_saveexec_b64 s[44:45], s[4:5]
	s_cbranch_execz .LBB260_334
; %bb.333:                              ;   in Loop: Header=BB260_13 Depth=1
	v_and_b32_e32 v11, 7, v9
	v_lshrrev_b32_e32 v20, 3, v1
	v_cmp_gt_u32_e64 s[4:5], 8, v1
	v_ffbh_u32_e32 v1, v11
	v_min_u32_e32 v1, 32, v1
	v_subrev_u32_e32 v14, 28, v1
	v_sub_u32_e32 v1, 29, v1
	v_lshlrev_b64 v[14:15], v14, v[9:10]
	v_cndmask_b32_e64 v1, v20, v1, s[4:5]
	v_mov_b32_e32 v12, 0x2000
	v_lshl_add_u32 v1, v1, 10, v12
	v_lshlrev_b32_e32 v15, 8, v9
	v_and_b32_e32 v14, 7, v14
	v_and_b32_e32 v1, 0xfc00, v1
	v_cndmask_b32_e64 v11, v11, v14, s[4:5]
	v_and_or_b32 v1, v15, s54, v1
	v_lshl_or_b32 v14, v11, 7, v1
.LBB260_334:                            ;   in Loop: Header=BB260_13 Depth=1
	s_or_b64 exec, exec, s[44:45]
.LBB260_335:                            ;   in Loop: Header=BB260_13 Depth=1
	s_or_b64 exec, exec, s[42:43]
.LBB260_336:                            ;   in Loop: Header=BB260_13 Depth=1
	s_or_b64 exec, exec, s[40:41]
	v_lshrrev_b16_e32 v1, 8, v9
	v_cmp_ne_u16_e64 s[4:5], 0, v1
	s_and_saveexec_b64 s[40:41], s[4:5]
	s_cbranch_execz .LBB260_342
; %bb.337:                              ;   in Loop: Header=BB260_13 Depth=1
	v_cmp_ne_u16_e64 s[4:5], s52, v1
	v_bfrev_b32_e32 v3, 1
	s_and_saveexec_b64 s[42:43], s[4:5]
	s_cbranch_execz .LBB260_341
; %bb.338:                              ;   in Loop: Header=BB260_13 Depth=1
	v_and_b32_e32 v11, 0x7f, v1
	v_cmp_ne_u32_e64 s[4:5], s53, v11
	v_mov_b32_e32 v3, 0x7c010000
	s_and_saveexec_b64 s[44:45], s[4:5]
	s_cbranch_execz .LBB260_340
; %bb.339:                              ;   in Loop: Header=BB260_13 Depth=1
	v_and_b32_e32 v3, 7, v1
	v_lshrrev_b32_e32 v15, 3, v11
	v_cmp_gt_u32_e64 s[4:5], 8, v11
	v_ffbh_u32_e32 v11, v3
	v_min_u32_e32 v11, 32, v11
	v_subrev_u32_e32 v20, 28, v11
	v_sub_u32_e32 v11, 29, v11
	v_lshlrev_b64 v[32:33], v20, v[1:2]
	v_cndmask_b32_e64 v11, v15, v11, s[4:5]
	v_mov_b32_e32 v12, 0x2000
	v_lshlrev_b32_e32 v1, 8, v1
	v_lshl_add_u32 v11, v11, 10, v12
	v_and_b32_e32 v15, 7, v32
	v_and_or_b32 v1, v1, s54, v11
	v_cndmask_b32_e64 v3, v3, v15, s[4:5]
	v_lshlrev_b32_e32 v1, 16, v1
	v_lshl_or_b32 v3, v3, 23, v1
.LBB260_340:                            ;   in Loop: Header=BB260_13 Depth=1
	s_or_b64 exec, exec, s[44:45]
.LBB260_341:                            ;   in Loop: Header=BB260_13 Depth=1
	s_or_b64 exec, exec, s[42:43]
.LBB260_342:                            ;   in Loop: Header=BB260_13 Depth=1
	s_or_b64 exec, exec, s[40:41]
	v_lshrrev_b32_e32 v1, 16, v9
	v_cmp_ne_u16_sdwa s[4:5], v1, v2 src0_sel:BYTE_0 src1_sel:DWORD
	v_mov_b32_e32 v11, 0
	v_mov_b32_e32 v15, 0
	s_and_saveexec_b64 s[40:41], s[4:5]
	s_cbranch_execz .LBB260_348
; %bb.343:                              ;   in Loop: Header=BB260_13 Depth=1
	v_cmp_ne_u16_sdwa s[4:5], v1, s52 src0_sel:BYTE_0 src1_sel:DWORD
	v_mov_b32_e32 v15, 0x8000
	s_and_saveexec_b64 s[42:43], s[4:5]
	s_cbranch_execz .LBB260_347
; %bb.344:                              ;   in Loop: Header=BB260_13 Depth=1
	v_bfe_u32 v20, v9, 16, 7
	v_cmp_ne_u32_e64 s[4:5], s53, v20
	v_mov_b32_e32 v15, 0x7c01
	s_and_saveexec_b64 s[44:45], s[4:5]
	s_cbranch_execz .LBB260_346
; %bb.345:                              ;   in Loop: Header=BB260_13 Depth=1
	v_and_b32_e32 v15, 7, v1
	v_lshrrev_b32_e32 v26, 3, v20
	v_cmp_gt_u32_e64 s[4:5], 8, v20
	v_ffbh_u32_e32 v20, v15
	v_min_u32_e32 v20, 32, v20
	v_subrev_u32_e32 v32, 28, v20
	v_sub_u32_e32 v20, 29, v20
	v_lshlrev_b64 v[32:33], v32, v[1:2]
	v_cndmask_b32_e64 v20, v26, v20, s[4:5]
	v_mov_b32_e32 v12, 0x2000
	v_lshl_add_u32 v20, v20, 10, v12
	v_lshlrev_b32_e32 v1, 8, v1
	v_and_b32_e32 v26, 7, v32
	v_and_b32_e32 v20, 0xfc00, v20
	v_cndmask_b32_e64 v15, v15, v26, s[4:5]
	v_and_or_b32 v1, v1, s54, v20
	v_lshl_or_b32 v15, v15, 7, v1
.LBB260_346:                            ;   in Loop: Header=BB260_13 Depth=1
	s_or_b64 exec, exec, s[44:45]
.LBB260_347:                            ;   in Loop: Header=BB260_13 Depth=1
	s_or_b64 exec, exec, s[42:43]
.LBB260_348:                            ;   in Loop: Header=BB260_13 Depth=1
	s_or_b64 exec, exec, s[40:41]
	v_cmp_lt_u32_e64 s[4:5], s55, v9
	s_and_saveexec_b64 s[40:41], s[4:5]
	s_cbranch_execz .LBB260_354
; %bb.349:                              ;   in Loop: Header=BB260_13 Depth=1
	v_lshrrev_b32_e32 v1, 24, v9
	v_cmp_ne_u32_e64 s[4:5], s52, v1
	v_bfrev_b32_e32 v11, 1
	s_and_saveexec_b64 s[42:43], s[4:5]
	s_cbranch_execz .LBB260_353
; %bb.350:                              ;   in Loop: Header=BB260_13 Depth=1
	v_and_b32_e32 v9, 0x7f, v1
	v_cmp_ne_u32_e64 s[4:5], s53, v9
	v_mov_b32_e32 v11, 0x7c010000
	s_and_saveexec_b64 s[44:45], s[4:5]
	s_cbranch_execz .LBB260_352
; %bb.351:                              ;   in Loop: Header=BB260_13 Depth=1
	v_and_b32_e32 v11, 7, v1
	v_lshrrev_b32_e32 v20, 3, v9
	v_cmp_gt_u32_e64 s[4:5], 8, v9
	v_ffbh_u32_e32 v9, v11
	v_min_u32_e32 v9, 32, v9
	v_subrev_u32_e32 v26, 28, v9
	v_sub_u32_e32 v9, 29, v9
	v_lshlrev_b64 v[32:33], v26, v[1:2]
	v_cndmask_b32_e64 v9, v20, v9, s[4:5]
	v_mov_b32_e32 v12, 0x2000
	v_lshlrev_b32_e32 v1, 8, v1
	v_lshl_add_u32 v9, v9, 10, v12
	v_and_b32_e32 v20, 7, v32
	v_and_or_b32 v1, v1, s54, v9
	v_cndmask_b32_e64 v11, v11, v20, s[4:5]
	v_lshlrev_b32_e32 v1, 16, v1
	v_lshl_or_b32 v11, v11, 23, v1
.LBB260_352:                            ;   in Loop: Header=BB260_13 Depth=1
	s_or_b64 exec, exec, s[44:45]
.LBB260_353:                            ;   in Loop: Header=BB260_13 Depth=1
	s_or_b64 exec, exec, s[42:43]
.LBB260_354:                            ;   in Loop: Header=BB260_13 Depth=1
	s_or_b64 exec, exec, s[40:41]
	global_load_dword v9, v[7:8], off offset:3584
	v_mov_b32_e32 v20, 0
	v_mov_b32_e32 v32, 0
	s_waitcnt vmcnt(0)
	v_cmp_ne_u16_sdwa s[4:5], v9, v2 src0_sel:BYTE_0 src1_sel:DWORD
	s_and_saveexec_b64 s[40:41], s[4:5]
	s_cbranch_execz .LBB260_360
; %bb.355:                              ;   in Loop: Header=BB260_13 Depth=1
	v_cmp_ne_u16_sdwa s[4:5], v9, s52 src0_sel:BYTE_0 src1_sel:DWORD
	v_mov_b32_e32 v32, 0x8000
	s_and_saveexec_b64 s[42:43], s[4:5]
	s_cbranch_execz .LBB260_359
; %bb.356:                              ;   in Loop: Header=BB260_13 Depth=1
	v_and_b32_e32 v1, 0x7f, v9
	v_cmp_ne_u32_e64 s[4:5], s53, v1
	v_mov_b32_e32 v32, 0x7c01
	s_and_saveexec_b64 s[44:45], s[4:5]
	s_cbranch_execz .LBB260_358
; %bb.357:                              ;   in Loop: Header=BB260_13 Depth=1
	v_and_b32_e32 v26, 7, v9
	v_mov_b32_e32 v12, v34
	v_lshrrev_b32_e32 v34, 3, v1
	v_cmp_gt_u32_e64 s[4:5], 8, v1
	v_ffbh_u32_e32 v1, v26
	v_min_u32_e32 v1, 32, v1
	v_subrev_u32_e32 v32, 28, v1
	v_sub_u32_e32 v1, 29, v1
	v_lshlrev_b64 v[32:33], v32, v[9:10]
	v_cndmask_b32_e64 v1, v34, v1, s[4:5]
	v_mov_b32_e32 v34, v12
	v_mov_b32_e32 v12, 0x2000
	v_lshl_add_u32 v1, v1, 10, v12
	v_lshlrev_b32_e32 v33, 8, v9
	v_and_b32_e32 v32, 7, v32
	v_and_b32_e32 v1, 0xfc00, v1
	v_cndmask_b32_e64 v26, v26, v32, s[4:5]
	v_and_or_b32 v1, v33, s54, v1
	v_lshl_or_b32 v32, v26, 7, v1
.LBB260_358:                            ;   in Loop: Header=BB260_13 Depth=1
	s_or_b64 exec, exec, s[44:45]
.LBB260_359:                            ;   in Loop: Header=BB260_13 Depth=1
	s_or_b64 exec, exec, s[42:43]
.LBB260_360:                            ;   in Loop: Header=BB260_13 Depth=1
	s_or_b64 exec, exec, s[40:41]
	v_lshrrev_b16_e32 v1, 8, v9
	v_cmp_ne_u16_e64 s[4:5], 0, v1
	s_and_saveexec_b64 s[40:41], s[4:5]
	s_cbranch_execz .LBB260_366
; %bb.361:                              ;   in Loop: Header=BB260_13 Depth=1
	v_cmp_ne_u16_e64 s[4:5], s52, v1
	v_bfrev_b32_e32 v20, 1
	s_and_saveexec_b64 s[42:43], s[4:5]
	s_cbranch_execz .LBB260_365
; %bb.362:                              ;   in Loop: Header=BB260_13 Depth=1
	v_and_b32_e32 v26, 0x7f, v1
	v_cmp_ne_u32_e64 s[4:5], s53, v26
	v_mov_b32_e32 v20, 0x7c010000
	s_and_saveexec_b64 s[44:45], s[4:5]
	s_cbranch_execz .LBB260_364
; %bb.363:                              ;   in Loop: Header=BB260_13 Depth=1
	v_and_b32_e32 v20, 7, v1
	v_lshrrev_b32_e32 v38, 3, v26
	v_cmp_gt_u32_e64 s[4:5], 8, v26
	v_ffbh_u32_e32 v26, v20
	v_min_u32_e32 v26, 32, v26
	v_subrev_u32_e32 v33, 28, v26
	v_mov_b32_e32 v12, v34
	v_lshlrev_b64 v[33:34], v33, v[1:2]
	v_sub_u32_e32 v26, 29, v26
	v_mov_b32_e32 v34, v12
	v_cndmask_b32_e64 v26, v38, v26, s[4:5]
	v_mov_b32_e32 v12, 0x2000
	v_lshlrev_b32_e32 v1, 8, v1
	v_lshl_add_u32 v26, v26, 10, v12
	v_and_b32_e32 v33, 7, v33
	v_and_or_b32 v1, v1, s54, v26
	v_cndmask_b32_e64 v20, v20, v33, s[4:5]
	v_lshlrev_b32_e32 v1, 16, v1
	v_lshl_or_b32 v20, v20, 23, v1
.LBB260_364:                            ;   in Loop: Header=BB260_13 Depth=1
	s_or_b64 exec, exec, s[44:45]
.LBB260_365:                            ;   in Loop: Header=BB260_13 Depth=1
	s_or_b64 exec, exec, s[42:43]
.LBB260_366:                            ;   in Loop: Header=BB260_13 Depth=1
	s_or_b64 exec, exec, s[40:41]
	v_lshrrev_b32_e32 v1, 16, v9
	v_cmp_ne_u16_sdwa s[4:5], v1, v2 src0_sel:BYTE_0 src1_sel:DWORD
	v_mov_b32_e32 v26, 0
	v_mov_b32_e32 v33, 0
	s_and_saveexec_b64 s[40:41], s[4:5]
	s_cbranch_execz .LBB260_372
; %bb.367:                              ;   in Loop: Header=BB260_13 Depth=1
	v_cmp_ne_u16_sdwa s[4:5], v1, s52 src0_sel:BYTE_0 src1_sel:DWORD
	v_mov_b32_e32 v33, 0x8000
	s_and_saveexec_b64 s[42:43], s[4:5]
	s_cbranch_execz .LBB260_371
; %bb.368:                              ;   in Loop: Header=BB260_13 Depth=1
	v_bfe_u32 v38, v9, 16, 7
	v_cmp_ne_u32_e64 s[4:5], s53, v38
	v_mov_b32_e32 v33, 0x7c01
	s_and_saveexec_b64 s[44:45], s[4:5]
	s_cbranch_execz .LBB260_370
; %bb.369:                              ;   in Loop: Header=BB260_13 Depth=1
	v_and_b32_e32 v40, 7, v1
	v_ffbh_u32_e32 v33, v40
	v_lshrrev_b32_e32 v59, 3, v38
	v_cmp_gt_u32_e64 s[4:5], 8, v38
	v_min_u32_e32 v38, 32, v33
	v_subrev_u32_e32 v33, 28, v38
	v_mov_b32_e32 v18, v34
	v_lshlrev_b64 v[33:34], v33, v[1:2]
	v_sub_u32_e32 v34, 29, v38
	v_cndmask_b32_e64 v34, v59, v34, s[4:5]
	v_mov_b32_e32 v12, 0x2000
	v_lshl_add_u32 v34, v34, 10, v12
	v_lshlrev_b32_e32 v1, 8, v1
	v_and_b32_e32 v33, 7, v33
	v_and_b32_e32 v34, 0xfc00, v34
	v_cndmask_b32_e64 v33, v40, v33, s[4:5]
	v_and_or_b32 v1, v1, s54, v34
	v_mov_b32_e32 v34, v18
	v_lshl_or_b32 v33, v33, 7, v1
.LBB260_370:                            ;   in Loop: Header=BB260_13 Depth=1
	s_or_b64 exec, exec, s[44:45]
.LBB260_371:                            ;   in Loop: Header=BB260_13 Depth=1
	s_or_b64 exec, exec, s[42:43]
.LBB260_372:                            ;   in Loop: Header=BB260_13 Depth=1
	s_or_b64 exec, exec, s[40:41]
	v_cmp_lt_u32_e64 s[4:5], s55, v9
	s_mov_b64 s[40:41], exec
	s_and_b64 s[4:5], s[40:41], s[4:5]
	v_mov_b32_e32 v18, v63
	s_mov_b64 exec, s[4:5]
	s_cbranch_execz .LBB260_378
; %bb.373:                              ;   in Loop: Header=BB260_13 Depth=1
	v_lshrrev_b32_e32 v1, 24, v9
	v_cmp_ne_u32_e64 s[4:5], s52, v1
	v_bfrev_b32_e32 v26, 1
	s_and_saveexec_b64 s[42:43], s[4:5]
	s_cbranch_execz .LBB260_377
; %bb.374:                              ;   in Loop: Header=BB260_13 Depth=1
	v_and_b32_e32 v9, 0x7f, v1
	v_cmp_ne_u32_e64 s[4:5], s53, v9
	v_mov_b32_e32 v26, 0x7c010000
	s_and_saveexec_b64 s[44:45], s[4:5]
	s_cbranch_execz .LBB260_376
; %bb.375:                              ;   in Loop: Header=BB260_13 Depth=1
	v_and_b32_e32 v26, 7, v1
	v_mov_b32_e32 v40, v34
	v_lshrrev_b32_e32 v34, 3, v9
	v_cmp_gt_u32_e64 s[4:5], 8, v9
	v_ffbh_u32_e32 v9, v26
	v_min_u32_e32 v9, 32, v9
	v_subrev_u32_e32 v38, 28, v9
	v_sub_u32_e32 v9, 29, v9
	v_lshlrev_b64 v[62:63], v38, v[1:2]
	v_cndmask_b32_e64 v9, v34, v9, s[4:5]
	v_mov_b32_e32 v12, 0x2000
	v_lshlrev_b32_e32 v1, 8, v1
	v_lshl_add_u32 v9, v9, 10, v12
	v_and_b32_e32 v34, 7, v62
	v_and_or_b32 v1, v1, s54, v9
	v_cndmask_b32_e64 v26, v26, v34, s[4:5]
	v_lshlrev_b32_e32 v1, 16, v1
	v_mov_b32_e32 v34, v40
	v_lshl_or_b32 v26, v26, 23, v1
.LBB260_376:                            ;   in Loop: Header=BB260_13 Depth=1
	s_or_b64 exec, exec, s[44:45]
.LBB260_377:                            ;   in Loop: Header=BB260_13 Depth=1
	s_or_b64 exec, exec, s[42:43]
.LBB260_378:                            ;   in Loop: Header=BB260_13 Depth=1
	s_or_b64 exec, exec, s[40:41]
	global_load_dword v7, v[7:8], off offset:3592
	v_mov_b32_e32 v9, 0
	v_mov_b32_e32 v38, 0
	s_waitcnt vmcnt(0)
	v_cmp_ne_u16_sdwa s[4:5], v7, v2 src0_sel:BYTE_0 src1_sel:DWORD
	s_and_saveexec_b64 s[40:41], s[4:5]
	s_cbranch_execz .LBB260_384
; %bb.379:                              ;   in Loop: Header=BB260_13 Depth=1
	v_cmp_ne_u16_sdwa s[4:5], v7, s52 src0_sel:BYTE_0 src1_sel:DWORD
	v_mov_b32_e32 v38, 0x8000
	s_and_saveexec_b64 s[42:43], s[4:5]
	s_cbranch_execz .LBB260_383
; %bb.380:                              ;   in Loop: Header=BB260_13 Depth=1
	v_and_b32_e32 v1, 0x7f, v7
	v_cmp_ne_u32_e64 s[4:5], s53, v1
	v_mov_b32_e32 v38, 0x7c01
	s_and_saveexec_b64 s[44:45], s[4:5]
	s_cbranch_execz .LBB260_382
; %bb.381:                              ;   in Loop: Header=BB260_13 Depth=1
	v_and_b32_e32 v8, 7, v7
	v_mov_b32_e32 v40, v34
	v_lshrrev_b32_e32 v34, 3, v1
	v_cmp_gt_u32_e64 s[4:5], 8, v1
	v_ffbh_u32_e32 v1, v8
	v_min_u32_e32 v1, 32, v1
	v_subrev_u32_e32 v38, 28, v1
	v_sub_u32_e32 v1, 29, v1
	v_lshlrev_b64 v[62:63], v38, v[7:8]
	v_cndmask_b32_e64 v1, v34, v1, s[4:5]
	v_mov_b32_e32 v12, 0x2000
	v_lshl_add_u32 v1, v1, 10, v12
	v_lshlrev_b32_e32 v34, 8, v7
	v_and_b32_e32 v38, 7, v62
	v_and_b32_e32 v1, 0xfc00, v1
	v_cndmask_b32_e64 v8, v8, v38, s[4:5]
	v_and_or_b32 v1, v34, s54, v1
	v_mov_b32_e32 v34, v40
	v_lshl_or_b32 v38, v8, 7, v1
.LBB260_382:                            ;   in Loop: Header=BB260_13 Depth=1
	s_or_b64 exec, exec, s[44:45]
.LBB260_383:                            ;   in Loop: Header=BB260_13 Depth=1
	s_or_b64 exec, exec, s[42:43]
.LBB260_384:                            ;   in Loop: Header=BB260_13 Depth=1
	s_or_b64 exec, exec, s[40:41]
	v_lshrrev_b16_e32 v1, 8, v7
	v_cmp_ne_u16_e64 s[4:5], 0, v1
	s_and_saveexec_b64 s[40:41], s[4:5]
	s_cbranch_execz .LBB260_390
; %bb.385:                              ;   in Loop: Header=BB260_13 Depth=1
	v_cmp_ne_u16_e64 s[4:5], s52, v1
	v_bfrev_b32_e32 v9, 1
	s_and_saveexec_b64 s[42:43], s[4:5]
	s_cbranch_execz .LBB260_389
; %bb.386:                              ;   in Loop: Header=BB260_13 Depth=1
	v_and_b32_e32 v8, 0x7f, v1
	v_cmp_ne_u32_e64 s[4:5], s53, v8
	v_mov_b32_e32 v9, 0x7c010000
	s_and_saveexec_b64 s[44:45], s[4:5]
	s_cbranch_execz .LBB260_388
; %bb.387:                              ;   in Loop: Header=BB260_13 Depth=1
	v_mov_b32_e32 v10, v52
	v_mov_b32_e32 v52, v50
	;; [unrolled: 1-line block ×16, first 2 shown]
	v_and_b32_e32 v34, 7, v1
	v_lshrrev_b32_e32 v40, 3, v8
	v_cmp_gt_u32_e64 s[4:5], 8, v8
	v_ffbh_u32_e32 v8, v34
	v_min_u32_e32 v59, 32, v8
	v_subrev_u32_e32 v8, 28, v59
	v_lshlrev_b64 v[8:9], v8, v[1:2]
	v_sub_u32_e32 v9, 29, v59
	v_and_b32_e32 v8, 7, v8
	v_cndmask_b32_e64 v8, v34, v8, s[4:5]
	v_mov_b32_e32 v34, v49
	v_mov_b32_e32 v49, v51
	;; [unrolled: 1-line block ×16, first 2 shown]
	buffer_load_dword v10, off, s[56:59], 0 offset:60 ; 4-byte Folded Reload
	v_cndmask_b32_e64 v9, v40, v9, s[4:5]
	v_mov_b32_e32 v12, 0x2000
	v_lshlrev_b32_e32 v1, 8, v1
	v_lshl_add_u32 v9, v9, 10, v12
	v_and_or_b32 v1, v1, s54, v9
	v_lshlrev_b32_e32 v1, 16, v1
	v_lshl_or_b32 v9, v8, 23, v1
.LBB260_388:                            ;   in Loop: Header=BB260_13 Depth=1
	s_or_b64 exec, exec, s[44:45]
.LBB260_389:                            ;   in Loop: Header=BB260_13 Depth=1
	s_or_b64 exec, exec, s[42:43]
.LBB260_390:                            ;   in Loop: Header=BB260_13 Depth=1
	s_or_b64 exec, exec, s[40:41]
	v_lshrrev_b32_e32 v1, 16, v7
	v_cmp_ne_u16_sdwa s[4:5], v1, v2 src0_sel:BYTE_0 src1_sel:DWORD
	v_mov_b32_e32 v40, 0
	v_mov_b32_e32 v59, 0
	s_and_saveexec_b64 s[40:41], s[4:5]
	s_cbranch_execz .LBB260_396
; %bb.391:                              ;   in Loop: Header=BB260_13 Depth=1
	v_cmp_ne_u16_sdwa s[4:5], v1, s52 src0_sel:BYTE_0 src1_sel:DWORD
	v_mov_b32_e32 v59, 0x8000
	s_and_saveexec_b64 s[42:43], s[4:5]
	s_cbranch_execz .LBB260_395
; %bb.392:                              ;   in Loop: Header=BB260_13 Depth=1
	v_bfe_u32 v8, v7, 16, 7
	v_cmp_ne_u32_e64 s[4:5], s53, v8
	v_mov_b32_e32 v59, 0x7c01
	s_and_saveexec_b64 s[44:45], s[4:5]
	s_cbranch_execz .LBB260_394
; %bb.393:                              ;   in Loop: Header=BB260_13 Depth=1
	s_waitcnt vmcnt(0)
	v_mov_b32_e32 v10, v52
	v_mov_b32_e32 v52, v50
	;; [unrolled: 1-line block ×16, first 2 shown]
	v_and_b32_e32 v34, 7, v1
	v_lshrrev_b32_e32 v59, 3, v8
	v_cmp_gt_u32_e64 s[4:5], 8, v8
	v_ffbh_u32_e32 v8, v34
	v_min_u32_e32 v8, 32, v8
	v_subrev_u32_e32 v62, 28, v8
	v_sub_u32_e32 v8, 29, v8
	v_lshlrev_b64 v[62:63], v62, v[1:2]
	v_cndmask_b32_e64 v8, v59, v8, s[4:5]
	v_mov_b32_e32 v12, 0x2000
	v_lshl_add_u32 v8, v8, 10, v12
	v_lshlrev_b32_e32 v1, 8, v1
	v_and_b32_e32 v59, 7, v62
	v_and_b32_e32 v8, 0xfc00, v8
	v_cndmask_b32_e64 v34, v34, v59, s[4:5]
	v_and_or_b32 v1, v1, s54, v8
	v_lshl_or_b32 v59, v34, 7, v1
	v_mov_b32_e32 v34, v49
	v_mov_b32_e32 v49, v51
	;; [unrolled: 1-line block ×16, first 2 shown]
	buffer_load_dword v10, off, s[56:59], 0 offset:60 ; 4-byte Folded Reload
.LBB260_394:                            ;   in Loop: Header=BB260_13 Depth=1
	s_or_b64 exec, exec, s[44:45]
.LBB260_395:                            ;   in Loop: Header=BB260_13 Depth=1
	s_or_b64 exec, exec, s[42:43]
.LBB260_396:                            ;   in Loop: Header=BB260_13 Depth=1
	s_or_b64 exec, exec, s[40:41]
	v_cmp_lt_u32_e64 s[4:5], s55, v7
	s_and_saveexec_b64 s[40:41], s[4:5]
	s_cbranch_execz .LBB260_402
; %bb.397:                              ;   in Loop: Header=BB260_13 Depth=1
	v_lshrrev_b32_e32 v1, 24, v7
	v_cmp_ne_u32_e64 s[4:5], s52, v1
	v_bfrev_b32_e32 v40, 1
	s_and_saveexec_b64 s[42:43], s[4:5]
	s_cbranch_execz .LBB260_401
; %bb.398:                              ;   in Loop: Header=BB260_13 Depth=1
	v_and_b32_e32 v7, 0x7f, v1
	v_cmp_ne_u32_e64 s[4:5], s53, v7
	v_mov_b32_e32 v40, 0x7c010000
	s_and_saveexec_b64 s[44:45], s[4:5]
	s_cbranch_execz .LBB260_400
; %bb.399:                              ;   in Loop: Header=BB260_13 Depth=1
	v_mov_b32_e32 v63, v34
	v_and_b32_e32 v34, 7, v1
	v_lshrrev_b32_e32 v40, 3, v7
	v_cmp_gt_u32_e64 s[4:5], 8, v7
	v_ffbh_u32_e32 v7, v34
	v_min_u32_e32 v62, 32, v7
	v_subrev_u32_e32 v7, 28, v62
	v_lshlrev_b64 v[7:8], v7, v[1:2]
	v_sub_u32_e32 v8, 29, v62
	v_cndmask_b32_e64 v8, v40, v8, s[4:5]
	v_mov_b32_e32 v12, 0x2000
	v_lshlrev_b32_e32 v1, 8, v1
	v_lshl_add_u32 v8, v8, 10, v12
	v_and_b32_e32 v7, 7, v7
	v_and_or_b32 v1, v1, s54, v8
	v_cndmask_b32_e64 v7, v34, v7, s[4:5]
	v_lshlrev_b32_e32 v1, 16, v1
	v_mov_b32_e32 v34, v63
	v_lshl_or_b32 v40, v7, 23, v1
.LBB260_400:                            ;   in Loop: Header=BB260_13 Depth=1
	s_or_b64 exec, exec, s[44:45]
.LBB260_401:                            ;   in Loop: Header=BB260_13 Depth=1
	s_or_b64 exec, exec, s[42:43]
.LBB260_402:                            ;   in Loop: Header=BB260_13 Depth=1
	s_or_b64 exec, exec, s[40:41]
	v_or_b32_e32 v1, v20, v32
	v_fma_mixlo_f16 v1, v25, v1, 0 op_sel_hi:[0,1,0]
	buffer_store_dword v1, off, s[56:59], 0 offset:76 ; 4-byte Folded Spill
	v_or_b32_e32 v1, v26, v33
	v_fma_mixlo_f16 v1, v25, v1, 0 op_sel_hi:[0,1,0]
	buffer_store_dword v1, off, s[56:59], 0 offset:68 ; 4-byte Folded Spill
	v_fma_mixlo_f16 v1, v25, v26, 0 op_sel:[0,1,0] op_sel_hi:[0,1,0]
	buffer_store_dword v1, off, s[56:59], 0 offset:60 ; 4-byte Folded Spill
	v_or_b32_e32 v1, v3, v14
	v_fma_mixlo_f16 v1, v25, v1, 0 op_sel_hi:[0,1,0]
	buffer_store_dword v1, off, s[56:59], 0 offset:92 ; 4-byte Folded Spill
	v_or_b32_e32 v1, v11, v15
	v_fma_mixlo_f16 v1, v25, v1, 0 op_sel_hi:[0,1,0]
	buffer_store_dword v1, off, s[56:59], 0 offset:84 ; 4-byte Folded Spill
	v_fma_mixlo_f16 v1, v25, v11, 0 op_sel:[0,1,0] op_sel_hi:[0,1,0]
	buffer_store_dword v1, off, s[56:59], 0 offset:80 ; 4-byte Folded Spill
	v_or_b32_e32 v1, v0, v4
	v_fma_mixlo_f16 v0, v25, v0, 0 op_sel:[0,1,0] op_sel_hi:[0,1,0]
	buffer_store_dword v0, off, s[56:59], 0 offset:104 ; 4-byte Folded Spill
	v_fma_mixlo_f16 v0, v25, v1, 0 op_sel_hi:[0,1,0]
	buffer_store_dword v0, off, s[56:59], 0 offset:108 ; 4-byte Folded Spill
	v_or_b32_e32 v0, v28, v23
	v_fma_mixlo_f16 v0, v25, v0, 0 op_sel_hi:[0,1,0]
	buffer_store_dword v0, off, s[56:59], 0 offset:100 ; 4-byte Folded Spill
	v_fma_mixlo_f16 v0, v25, v28, 0 op_sel:[0,1,0] op_sel_hi:[0,1,0]
	buffer_store_dword v0, off, s[56:59], 0 offset:96 ; 4-byte Folded Spill
	v_or_b32_e32 v0, v29, v31
	v_fma_mixlo_f16 v0, v25, v0, 0 op_sel_hi:[0,1,0]
	buffer_store_dword v0, off, s[56:59], 0 offset:124 ; 4-byte Folded Spill
	v_or_b32_e32 v0, v41, v43
	v_fma_mixlo_f16 v0, v25, v0, 0 op_sel_hi:[0,1,0]
	buffer_store_dword v0, off, s[56:59], 0 offset:116 ; 4-byte Folded Spill
	v_fma_mixlo_f16 v0, v25, v41, 0 op_sel:[0,1,0] op_sel_hi:[0,1,0]
	buffer_store_dword v0, off, s[56:59], 0 offset:112 ; 4-byte Folded Spill
	v_or_b32_e32 v0, v37, v39
	v_fma_mixlo_f16 v0, v25, v0, 0 op_sel_hi:[0,1,0]
	buffer_store_dword v0, off, s[56:59], 0 offset:140 ; 4-byte Folded Spill
	v_or_b32_e32 v0, v45, v47
	v_fma_mixlo_f16 v0, v25, v0, 0 op_sel_hi:[0,1,0]
	buffer_store_dword v0, off, s[56:59], 0 offset:132 ; 4-byte Folded Spill
	v_fma_mixlo_f16 v0, v25, v45, 0 op_sel:[0,1,0] op_sel_hi:[0,1,0]
	buffer_store_dword v0, off, s[56:59], 0 offset:128 ; 4-byte Folded Spill
	buffer_load_dword v0, off, s[56:59], 0 offset:56 ; 4-byte Folded Reload
	v_fma_mixlo_f16 v1, v25, v29, 0 op_sel:[0,1,0] op_sel_hi:[0,1,0]
	buffer_store_dword v1, off, s[56:59], 0 offset:120 ; 4-byte Folded Spill
	v_fma_mixlo_f16 v1, v25, v37, 0 op_sel:[0,1,0] op_sel_hi:[0,1,0]
	v_fma_mixlo_f16 v7, v25, v20, 0 op_sel:[0,1,0] op_sel_hi:[0,1,0]
	;; [unrolled: 1-line block ×3, first 2 shown]
	buffer_store_dword v1, off, s[56:59], 0 offset:136 ; 4-byte Folded Spill
	v_fma_mixlo_f16 v1, v25, v13, 0 op_sel:[0,1,0] op_sel_hi:[0,1,0]
	buffer_store_dword v7, off, s[56:59], 0 offset:72 ; 4-byte Folded Spill
	buffer_store_dword v3, off, s[56:59], 0 offset:88 ; 4-byte Folded Spill
	;; [unrolled: 1-line block ×3, first 2 shown]
	v_fma_mixlo_f16 v47, v25, v60, 0 op_sel:[0,1,0] op_sel_hi:[0,1,0]
	v_fma_mixlo_f16 v4, v25, v48, 0 op_sel:[0,1,0] op_sel_hi:[0,1,0]
	;; [unrolled: 1-line block ×6, first 2 shown]
	v_and_b32_e32 v7, 0xffff, v7
	s_waitcnt vmcnt(5)
	v_or_b32_e32 v0, v13, v0
	v_fma_mixlo_f16 v0, v25, v0, 0 op_sel_hi:[0,1,0]
	buffer_store_dword v0, off, s[56:59], 0 offset:152 ; 4-byte Folded Spill
	v_or_b32_e32 v0, v17, v22
	v_fma_mixlo_f16 v0, v25, v0, 0 op_sel_hi:[0,1,0]
	buffer_store_dword v0, off, s[56:59], 0 offset:144 ; 4-byte Folded Spill
	v_fma_mixlo_f16 v0, v25, v17, 0 op_sel:[0,1,0] op_sel_hi:[0,1,0]
	buffer_store_dword v0, off, s[56:59], 0 offset:56 ; 4-byte Folded Spill
	buffer_load_dword v0, off, s[56:59], 0 offset:48 ; 4-byte Folded Reload
	v_fma_mixlo_f16 v13, v25, v50, 0 op_sel:[0,1,0] op_sel_hi:[0,1,0]
	s_waitcnt vmcnt(0)
	v_or_b32_e32 v0, v58, v0
	v_fma_mixlo_f16 v43, v25, v0, 0 op_sel_hi:[0,1,0]
	buffer_load_dword v0, off, s[56:59], 0 offset:52 ; 4-byte Folded Reload
	v_fma_mixlo_f16 v58, v25, v58, 0 op_sel:[0,1,0] op_sel_hi:[0,1,0]
	s_waitcnt vmcnt(0)
	v_or_b32_e32 v0, v60, v0
	v_fma_mixlo_f16 v45, v25, v0, 0 op_sel_hi:[0,1,0]
	v_or_b32_e32 v0, v54, v10
	v_fma_mixlo_f16 v39, v25, v0, 0 op_sel_hi:[0,1,0]
	buffer_load_dword v0, off, s[56:59], 0 offset:44 ; 4-byte Folded Reload
	v_fma_mixlo_f16 v60, v25, v54, 0 op_sel:[0,1,0] op_sel_hi:[0,1,0]
	v_fma_mixlo_f16 v54, v25, v56, 0 op_sel:[0,1,0] op_sel_hi:[0,1,0]
	s_waitcnt vmcnt(0)
	v_or_b32_e32 v0, v56, v0
	v_fma_mixlo_f16 v41, v25, v0, 0 op_sel_hi:[0,1,0]
	buffer_load_dword v1, off, s[56:59], 0 offset:28 ; 4-byte Folded Reload
	buffer_load_dword v0, off, s[56:59], 0 offset:32 ; 4-byte Folded Reload
	s_waitcnt vmcnt(1)
	v_fma_mixlo_f16 v56, v25, v1, 0 op_sel:[0,1,0] op_sel_hi:[0,1,0]
	s_waitcnt vmcnt(0)
	v_or_b32_e32 v0, v1, v0
	v_fma_mixlo_f16 v29, v25, v0, 0 op_sel_hi:[0,1,0]
	buffer_load_dword v1, off, s[56:59], 0 offset:36 ; 4-byte Folded Reload
	buffer_load_dword v0, off, s[56:59], 0 offset:40 ; 4-byte Folded Reload
	s_waitcnt vmcnt(1)
	;; [unrolled: 7-line block ×4, first 2 shown]
	v_fma_mixlo_f16 v23, v25, v1, 0 op_sel:[0,1,0] op_sel_hi:[0,1,0]
	s_waitcnt vmcnt(0)
	v_or_b32_e32 v0, v1, v0
	buffer_load_dword v1, off, s[56:59], 0 offset:4 ; 4-byte Folded Reload
	v_fma_mixlo_f16 v22, v25, v0, 0 op_sel_hi:[0,1,0]
	v_or_b32_e32 v0, v48, v61
	v_fma_mixlo_f16 v28, v25, v0, 0 op_sel_hi:[0,1,0]
	v_or_b32_e32 v0, v50, v52
	;; [unrolled: 2-line block ×8, first 2 shown]
	v_fma_mixlo_f16 v36, v25, v0, 0 op_sel_hi:[0,1,0]
	v_fma_mixlo_f16 v44, v25, v46, 0 op_sel:[0,1,0] op_sel_hi:[0,1,0]
	v_fma_mixlo_f16 v30, v25, v34, 0 op_sel:[0,1,0] op_sel_hi:[0,1,0]
	;; [unrolled: 1-line block ×4, first 2 shown]
	s_waitcnt vmcnt(0)
	v_or_b32_e32 v0, v1, v18
	v_fma_mixlo_f16 v33, v25, v0, 0 op_sel_hi:[0,1,0]
	buffer_load_dword v0, off, s[56:59], 0 offset:8 ; 4-byte Folded Reload
	v_fma_mixlo_f16 v26, v25, v1, 0 op_sel:[0,1,0] op_sel_hi:[0,1,0]
	s_waitcnt vmcnt(0)
	v_or_b32_e32 v0, v35, v0
	v_fma_mixlo_f16 v18, v25, v0, 0 op_sel_hi:[0,1,0]
	v_or_b32_e32 v0, v9, v38
	v_fma_mixlo_f16 v38, v25, v0, 0 op_sel_hi:[0,1,0]
	;; [unrolled: 2-line block ×3, first 2 shown]
	ds_read_b64 v[0:1], v16
	v_fma_mixlo_f16 v25, v25, v40, 0 op_sel:[0,1,0] op_sel_hi:[0,1,0]
	s_waitcnt lgkmcnt(0)
	v_lshrrev_b32_e32 v3, 16, v0
	v_and_b32_e32 v0, 0xffff, v0
	;;#ASMSTART
	v_cvt_f32_f16 v40, v0;
	;;#ASMEND
	v_and_b32_e32 v0, 0xffff, v33
	;;#ASMSTART
	v_cvt_f32_f16 v9, v3;
	;;#ASMEND
	;;#ASMSTART
	v_cvt_f32_f16 v33, v0;
	;;#ASMEND
	v_and_b32_e32 v0, 0xffff, v26
	;;#ASMSTART
	v_cvt_f32_f16 v26, v0;
	;;#ASMEND
	v_lshrrev_b32_e32 v0, 16, v1
	v_and_b32_e32 v1, 0xffff, v1
	;;#ASMSTART
	v_cvt_f32_f16 v59, v1;
	;;#ASMEND
	;;#ASMSTART
	v_cvt_f32_f16 v3, v0;
	;;#ASMEND
	v_and_b32_e32 v0, 0xffff, v18
	;;#ASMSTART
	v_cvt_f32_f16 v18, v0;
	;;#ASMEND
	v_and_b32_e32 v0, 0xffff, v20
	;;#ASMSTART
	v_cvt_f32_f16 v20, v0;
	;;#ASMEND
	ds_read_b64 v[0:1], v16 offset:8
	s_waitcnt lgkmcnt(0)
	v_lshrrev_b32_e32 v12, 16, v0
	v_and_b32_e32 v0, 0xffff, v0
	;;#ASMSTART
	v_cvt_f32_f16 v0, v0;
	;;#ASMEND
	;;#ASMSTART
	v_cvt_f32_f16 v35, v12;
	;;#ASMEND
	v_and_b32_e32 v12, 0xffff, v32
	;;#ASMSTART
	v_cvt_f32_f16 v32, v12;
	;;#ASMEND
	v_and_b32_e32 v12, 0xffff, v30
	;;#ASMSTART
	v_cvt_f32_f16 v12, v12;
	;;#ASMEND
	v_mul_f32_e32 v30, v0, v32
	v_mul_f32_e32 v32, v35, v12
	v_fmac_f32_e32 v32, v9, v26
	v_lshrrev_b32_e32 v9, 16, v1
	v_and_b32_e32 v0, 0xffff, v1
	;;#ASMSTART
	v_cvt_f32_f16 v0, v0;
	;;#ASMEND
	;;#ASMSTART
	v_cvt_f32_f16 v1, v9;
	;;#ASMEND
	v_and_b32_e32 v9, 0xffff, v36
	v_and_b32_e32 v12, 0xffff, v34
	;;#ASMSTART
	v_cvt_f32_f16 v9, v9;
	;;#ASMEND
	;;#ASMSTART
	v_cvt_f32_f16 v12, v12;
	;;#ASMEND
	v_mul_f32_e32 v34, v0, v9
	v_mul_f32_e32 v36, v1, v12
	ds_read_b64 v[0:1], v16 offset:16
	v_fmac_f32_e32 v36, v3, v20
	v_fmac_f32_e32 v30, v40, v33
	v_and_b32_e32 v9, 0xffff, v15
	v_and_b32_e32 v12, 0xffff, v63
	s_waitcnt lgkmcnt(0)
	v_lshrrev_b32_e32 v3, 16, v0
	v_and_b32_e32 v0, 0xffff, v0
	;;#ASMSTART
	v_cvt_f32_f16 v0, v0;
	;;#ASMEND
	;;#ASMSTART
	v_cvt_f32_f16 v3, v3;
	;;#ASMEND
	;;#ASMSTART
	v_cvt_f32_f16 v9, v9;
	;;#ASMEND
	;;#ASMSTART
	v_cvt_f32_f16 v12, v12;
	;;#ASMEND
	v_fmac_f32_e32 v30, v0, v9
	v_fmac_f32_e32 v32, v3, v12
	v_lshrrev_b32_e32 v3, 16, v1
	v_and_b32_e32 v0, 0xffff, v1
	;;#ASMSTART
	v_cvt_f32_f16 v0, v0;
	;;#ASMEND
	;;#ASMSTART
	v_cvt_f32_f16 v1, v3;
	;;#ASMEND
	v_and_b32_e32 v3, 0xffff, v8
	;;#ASMSTART
	v_cvt_f32_f16 v3, v3;
	;;#ASMEND
	;;#ASMSTART
	v_cvt_f32_f16 v7, v7;
	;;#ASMEND
	v_fmac_f32_e32 v36, v1, v7
	ds_read_b64 v[7:8], v16 offset:24
	v_fmac_f32_e32 v34, v59, v18
	v_fmac_f32_e32 v34, v0, v3
	v_and_b32_e32 v3, 0xffff, v11
	s_waitcnt lgkmcnt(0)
	v_lshrrev_b32_e32 v1, 16, v7
	v_and_b32_e32 v0, 0xffff, v7
	;;#ASMSTART
	v_cvt_f32_f16 v0, v0;
	;;#ASMEND
	;;#ASMSTART
	v_cvt_f32_f16 v7, v1;
	;;#ASMEND
	v_and_b32_e32 v1, 0xffff, v62
	;;#ASMSTART
	v_cvt_f32_f16 v1, v1;
	;;#ASMEND
	v_fmac_f32_e32 v30, v0, v1
	v_lshrrev_b32_e32 v1, 16, v8
	v_and_b32_e32 v0, 0xffff, v8
	;;#ASMSTART
	v_cvt_f32_f16 v9, v3;
	;;#ASMEND
	v_fmac_f32_e32 v32, v7, v9
	;;#ASMSTART
	v_cvt_f32_f16 v0, v0;
	;;#ASMEND
	;;#ASMSTART
	v_cvt_f32_f16 v1, v1;
	;;#ASMEND
	v_and_b32_e32 v3, 0xffff, v10
	v_and_b32_e32 v7, 0xffff, v44
	;;#ASMSTART
	v_cvt_f32_f16 v3, v3;
	;;#ASMEND
	;;#ASMSTART
	v_cvt_f32_f16 v7, v7;
	;;#ASMEND
	v_fmac_f32_e32 v34, v0, v3
	v_fmac_f32_e32 v36, v1, v7
	ds_read_b64 v[0:1], v16 offset:32
	v_and_b32_e32 v7, 0xffff, v28
	v_and_b32_e32 v8, 0xffff, v4
	;; [unrolled: 1-line block ×3, first 2 shown]
	s_waitcnt lgkmcnt(0)
	v_lshrrev_b32_e32 v3, 16, v0
	v_and_b32_e32 v0, 0xffff, v0
	;;#ASMSTART
	v_cvt_f32_f16 v0, v0;
	;;#ASMEND
	;;#ASMSTART
	v_cvt_f32_f16 v3, v3;
	;;#ASMEND
	;;#ASMSTART
	v_cvt_f32_f16 v7, v7;
	;;#ASMEND
	;;#ASMSTART
	v_cvt_f32_f16 v8, v8;
	;;#ASMEND
	v_fmac_f32_e32 v30, v0, v7
	v_fmac_f32_e32 v32, v3, v8
	v_lshrrev_b32_e32 v3, 16, v1
	v_and_b32_e32 v0, 0xffff, v1
	;;#ASMSTART
	v_cvt_f32_f16 v0, v0;
	;;#ASMEND
	;;#ASMSTART
	v_cvt_f32_f16 v1, v3;
	;;#ASMEND
	v_and_b32_e32 v3, 0xffff, v48
	v_and_b32_e32 v7, 0xffff, v13
	;;#ASMSTART
	v_cvt_f32_f16 v3, v3;
	;;#ASMEND
	;;#ASMSTART
	v_cvt_f32_f16 v7, v7;
	;;#ASMEND
	v_fmac_f32_e32 v34, v0, v3
	v_fmac_f32_e32 v36, v1, v7
	ds_read_b64 v[0:1], v16 offset:40
	v_and_b32_e32 v7, 0xffff, v14
	v_and_b32_e32 v8, 0xffff, v17
	s_waitcnt lgkmcnt(0)
	v_lshrrev_b32_e32 v3, 16, v0
	v_and_b32_e32 v0, 0xffff, v0
	;;#ASMSTART
	v_cvt_f32_f16 v0, v0;
	;;#ASMEND
	;;#ASMSTART
	v_cvt_f32_f16 v3, v3;
	;;#ASMEND
	;;#ASMSTART
	v_cvt_f32_f16 v7, v7;
	;;#ASMEND
	;;#ASMSTART
	v_cvt_f32_f16 v8, v8;
	;;#ASMEND
	v_fmac_f32_e32 v30, v0, v7
	v_fmac_f32_e32 v32, v3, v8
	v_lshrrev_b32_e32 v3, 16, v1
	v_and_b32_e32 v0, 0xffff, v1
	;;#ASMSTART
	v_cvt_f32_f16 v0, v0;
	;;#ASMEND
	;;#ASMSTART
	v_cvt_f32_f16 v1, v3;
	;;#ASMEND
	v_and_b32_e32 v3, 0xffff, v22
	v_and_b32_e32 v7, 0xffff, v23
	;;#ASMSTART
	v_cvt_f32_f16 v3, v3;
	;;#ASMEND
	;;#ASMSTART
	v_cvt_f32_f16 v7, v7;
	;;#ASMEND
	v_fmac_f32_e32 v34, v0, v3
	v_fmac_f32_e32 v36, v1, v7
	ds_read_b64 v[0:1], v16 offset:48
	v_and_b32_e32 v7, 0xffff, v29
	v_and_b32_e32 v8, 0xffff, v56
	;; [unrolled: 38-line block ×3, first 2 shown]
	s_waitcnt lgkmcnt(0)
	v_lshrrev_b32_e32 v3, 16, v0
	v_and_b32_e32 v0, 0xffff, v0
	;;#ASMSTART
	v_cvt_f32_f16 v0, v0;
	;;#ASMEND
	;;#ASMSTART
	v_cvt_f32_f16 v3, v3;
	;;#ASMEND
	;; [unrolled: 3-line block ×4, first 2 shown]
	v_fmac_f32_e32 v30, v0, v7
	v_fmac_f32_e32 v32, v3, v8
	v_lshrrev_b32_e32 v3, 16, v1
	v_and_b32_e32 v0, 0xffff, v1
	;;#ASMSTART
	v_cvt_f32_f16 v0, v0;
	;;#ASMEND
	;;#ASMSTART
	v_cvt_f32_f16 v1, v3;
	;;#ASMEND
	v_and_b32_e32 v3, 0xffff, v41
	v_and_b32_e32 v7, 0xffff, v54
	;;#ASMSTART
	v_cvt_f32_f16 v3, v3;
	;;#ASMEND
	;;#ASMSTART
	v_cvt_f32_f16 v7, v7;
	;;#ASMEND
	v_fmac_f32_e32 v34, v0, v3
	v_fmac_f32_e32 v36, v1, v7
	ds_read_b64 v[0:1], v16 offset:64
	v_and_b32_e32 v7, 0xffff, v58
	s_waitcnt lgkmcnt(0)
	v_lshrrev_b32_e32 v3, 16, v0
	v_and_b32_e32 v0, 0xffff, v0
	;;#ASMSTART
	v_cvt_f32_f16 v0, v0;
	;;#ASMEND
	;;#ASMSTART
	v_cvt_f32_f16 v3, v3;
	;;#ASMEND
	;; [unrolled: 3-line block ×4, first 2 shown]
	v_fmac_f32_e32 v30, v0, v4
	v_fmac_f32_e32 v32, v3, v7
	v_lshrrev_b32_e32 v3, 16, v1
	v_and_b32_e32 v0, 0xffff, v1
	;;#ASMSTART
	v_cvt_f32_f16 v0, v0;
	;;#ASMEND
	;;#ASMSTART
	v_cvt_f32_f16 v1, v3;
	;;#ASMEND
	v_and_b32_e32 v3, 0xffff, v45
	v_and_b32_e32 v4, 0xffff, v47
	;;#ASMSTART
	v_cvt_f32_f16 v3, v3;
	;;#ASMEND
	;;#ASMSTART
	v_cvt_f32_f16 v4, v4;
	;;#ASMEND
	v_fmac_f32_e32 v34, v0, v3
	v_fmac_f32_e32 v36, v1, v4
	ds_read_b64 v[0:1], v16 offset:72
	s_waitcnt lgkmcnt(0)
	v_lshrrev_b32_e32 v3, 16, v0
	v_and_b32_e32 v0, 0xffff, v0
	;;#ASMSTART
	v_cvt_f32_f16 v0, v0;
	;;#ASMEND
	;;#ASMSTART
	v_cvt_f32_f16 v3, v3;
	;;#ASMEND
	buffer_load_dword v4, off, s[56:59], 0 offset:152 ; 4-byte Folded Reload
	s_waitcnt vmcnt(0)
	v_and_b32_e32 v4, 0xffff, v4
	;;#ASMSTART
	v_cvt_f32_f16 v4, v4;
	;;#ASMEND
	buffer_load_dword v7, off, s[56:59], 0 offset:148 ; 4-byte Folded Reload
	v_fmac_f32_e32 v30, v0, v4
	v_and_b32_e32 v0, 0xffff, v1
	s_waitcnt vmcnt(0)
	v_and_b32_e32 v7, 0xffff, v7
	;;#ASMSTART
	v_cvt_f32_f16 v7, v7;
	;;#ASMEND
	v_fmac_f32_e32 v32, v3, v7
	v_lshrrev_b32_e32 v3, 16, v1
	;;#ASMSTART
	v_cvt_f32_f16 v0, v0;
	;;#ASMEND
	;;#ASMSTART
	v_cvt_f32_f16 v1, v3;
	;;#ASMEND
	buffer_load_dword v3, off, s[56:59], 0 offset:144 ; 4-byte Folded Reload
	s_waitcnt vmcnt(0)
	v_and_b32_e32 v3, 0xffff, v3
	;;#ASMSTART
	v_cvt_f32_f16 v3, v3;
	;;#ASMEND
	buffer_load_dword v4, off, s[56:59], 0 offset:56 ; 4-byte Folded Reload
	v_fmac_f32_e32 v34, v0, v3
	s_waitcnt vmcnt(0)
	v_and_b32_e32 v4, 0xffff, v4
	;;#ASMSTART
	v_cvt_f32_f16 v4, v4;
	;;#ASMEND
	v_fmac_f32_e32 v36, v1, v4
	ds_read_b64 v[0:1], v16 offset:80
	s_waitcnt lgkmcnt(0)
	v_lshrrev_b32_e32 v3, 16, v0
	v_and_b32_e32 v0, 0xffff, v0
	;;#ASMSTART
	v_cvt_f32_f16 v0, v0;
	;;#ASMEND
	;;#ASMSTART
	v_cvt_f32_f16 v3, v3;
	;;#ASMEND
	buffer_load_dword v4, off, s[56:59], 0 offset:140 ; 4-byte Folded Reload
	s_waitcnt vmcnt(0)
	v_and_b32_e32 v4, 0xffff, v4
	;;#ASMSTART
	v_cvt_f32_f16 v4, v4;
	;;#ASMEND
	buffer_load_dword v7, off, s[56:59], 0 offset:136 ; 4-byte Folded Reload
	v_fmac_f32_e32 v30, v0, v4
	v_and_b32_e32 v0, 0xffff, v1
	s_waitcnt vmcnt(0)
	v_and_b32_e32 v7, 0xffff, v7
	;;#ASMSTART
	v_cvt_f32_f16 v7, v7;
	;;#ASMEND
	v_fmac_f32_e32 v32, v3, v7
	v_lshrrev_b32_e32 v3, 16, v1
	;;#ASMSTART
	v_cvt_f32_f16 v0, v0;
	;;#ASMEND
	;;#ASMSTART
	v_cvt_f32_f16 v1, v3;
	;;#ASMEND
	buffer_load_dword v3, off, s[56:59], 0 offset:132 ; 4-byte Folded Reload
	s_waitcnt vmcnt(0)
	v_and_b32_e32 v3, 0xffff, v3
	;;#ASMSTART
	v_cvt_f32_f16 v3, v3;
	;;#ASMEND
	buffer_load_dword v4, off, s[56:59], 0 offset:128 ; 4-byte Folded Reload
	v_fmac_f32_e32 v34, v0, v3
	s_waitcnt vmcnt(0)
	v_and_b32_e32 v4, 0xffff, v4
	;;#ASMSTART
	v_cvt_f32_f16 v4, v4;
	;;#ASMEND
	;; [unrolled: 46-line block ×5, first 2 shown]
	v_fmac_f32_e32 v36, v1, v4
	ds_read_b64 v[0:1], v16 offset:112
	s_waitcnt lgkmcnt(0)
	v_lshrrev_b32_e32 v3, 16, v0
	v_and_b32_e32 v0, 0xffff, v0
	;;#ASMSTART
	v_cvt_f32_f16 v0, v0;
	;;#ASMEND
	;;#ASMSTART
	v_cvt_f32_f16 v3, v3;
	;;#ASMEND
	buffer_load_dword v4, off, s[56:59], 0 offset:76 ; 4-byte Folded Reload
	s_waitcnt vmcnt(0)
	v_and_b32_e32 v4, 0xffff, v4
	;;#ASMSTART
	v_cvt_f32_f16 v4, v4;
	;;#ASMEND
	buffer_load_dword v7, off, s[56:59], 0 offset:72 ; 4-byte Folded Reload
	v_fmac_f32_e32 v30, v0, v4
	v_and_b32_e32 v0, 0xffff, v1
	s_waitcnt vmcnt(0)
	v_and_b32_e32 v7, 0xffff, v7
	;;#ASMSTART
	v_cvt_f32_f16 v7, v7;
	;;#ASMEND
	v_fmac_f32_e32 v32, v3, v7
	v_lshrrev_b32_e32 v3, 16, v1
	;;#ASMSTART
	v_cvt_f32_f16 v0, v0;
	;;#ASMEND
	;;#ASMSTART
	v_cvt_f32_f16 v1, v3;
	;;#ASMEND
	buffer_load_dword v3, off, s[56:59], 0 offset:68 ; 4-byte Folded Reload
	v_and_b32_e32 v7, 0xffff, v42
	s_waitcnt vmcnt(0)
	v_and_b32_e32 v3, 0xffff, v3
	;;#ASMSTART
	v_cvt_f32_f16 v3, v3;
	;;#ASMEND
	buffer_load_dword v4, off, s[56:59], 0 offset:60 ; 4-byte Folded Reload
	v_fmac_f32_e32 v34, v0, v3
	s_waitcnt vmcnt(0)
	v_and_b32_e32 v4, 0xffff, v4
	;;#ASMSTART
	v_cvt_f32_f16 v4, v4;
	;;#ASMEND
	v_fmac_f32_e32 v36, v1, v4
	ds_read_b64 v[0:1], v16 offset:120
	v_and_b32_e32 v4, 0xffff, v38
	s_waitcnt lgkmcnt(0)
	v_lshrrev_b32_e32 v3, 16, v0
	v_and_b32_e32 v0, 0xffff, v0
	;;#ASMSTART
	v_cvt_f32_f16 v0, v0;
	;;#ASMEND
	;;#ASMSTART
	v_cvt_f32_f16 v3, v3;
	;;#ASMEND
	;; [unrolled: 3-line block ×4, first 2 shown]
	v_fmac_f32_e32 v30, v0, v4
	v_fmac_f32_e32 v32, v3, v7
	v_lshrrev_b32_e32 v3, 16, v1
	v_and_b32_e32 v0, 0xffff, v1
	;;#ASMSTART
	v_cvt_f32_f16 v0, v0;
	;;#ASMEND
	;;#ASMSTART
	v_cvt_f32_f16 v1, v3;
	;;#ASMEND
	v_and_b32_e32 v3, 0xffff, v27
	v_and_b32_e32 v4, 0xffff, v25
	;;#ASMSTART
	v_cvt_f32_f16 v3, v3;
	;;#ASMEND
	;;#ASMSTART
	v_cvt_f32_f16 v4, v4;
	;;#ASMEND
	v_fmac_f32_e32 v36, v1, v4
	buffer_load_dword v4, off, s[56:59], 0 offset:168 ; 4-byte Folded Reload
	v_fmac_f32_e32 v34, v0, v3
	v_add_f32_e32 v0, v30, v32
	v_add_f32_e32 v0, v0, v34
	;; [unrolled: 1-line block ×3, first 2 shown]
	s_waitcnt vmcnt(0)
	v_and_b32_e32 v3, 64, v4
	v_xor_b32_e32 v1, 1, v4
	v_add_u32_e32 v3, 64, v3
	v_cmp_lt_i32_e64 s[4:5], v1, v3
	v_cndmask_b32_e64 v1, v4, v1, s[4:5]
	v_lshlrev_b32_e32 v1, 2, v1
	ds_bpermute_b32 v1, v1, v0
	s_and_saveexec_b64 s[40:41], vcc
	s_cbranch_execz .LBB260_11
; %bb.403:                              ;   in Loop: Header=BB260_13 Depth=1
	buffer_load_dword v3, off, s[56:59], 0 offset:176 ; 4-byte Folded Reload
	buffer_load_dword v4, off, s[56:59], 0 offset:172 ; 4-byte Folded Reload
	s_waitcnt lgkmcnt(0)
	v_add_f32_e32 v0, v0, v1
	s_waitcnt vmcnt(1)
	v_add_u32_e32 v3, v3, v19
	v_cvt_f32_i32_e32 v3, v3
	v_mul_f32_e32 v1, s48, v3
	buffer_load_dword v3, off, s[56:59], 0 offset:156 ; 4-byte Folded Reload
	s_waitcnt vmcnt(1)
	v_add_u32_e32 v4, v4, v19
	v_cndmask_b32_e64 v1, 0, v1, s[2:3]
	v_fmac_f32_e32 v1, s37, v0
	v_cmp_gt_i32_e64 s[4:5], s33, v4
	v_cndmask_b32_e64 v0, 0, v1, s[4:5]
	ds_write_b32 v21, v0
	s_waitcnt vmcnt(0)
	v_max_f32_e32 v0, v3, v3
	v_max_f32_e32 v0, v0, v1
	v_cndmask_b32_e64 v3, v3, v0, s[4:5]
	buffer_store_dword v3, off, s[56:59], 0 offset:156 ; 4-byte Folded Spill
	s_branch .LBB260_11
.LBB260_404:
	s_or_b64 exec, exec, s[38:39]
	buffer_load_dword v24, off, s[56:59], 0 offset:180 ; 4-byte Folded Reload
	buffer_load_dword v3, off, s[56:59], 0 offset:156 ; 4-byte Folded Reload
	v_mbcnt_lo_u32_b32 v2, -1, 0
.LBB260_405:
	s_or_b64 exec, exec, s[18:19]
	v_mbcnt_hi_u32_b32 v0, -1, v2
	v_and_b32_e32 v7, 64, v0
	v_add_u32_e32 v8, 64, v7
	s_waitcnt lgkmcnt(0)
	v_xor_b32_e32 v1, 32, v0
	v_cmp_lt_i32_e32 vcc, v1, v8
	v_cndmask_b32_e32 v1, v0, v1, vcc
	v_lshlrev_b32_e32 v1, 2, v1
	s_waitcnt vmcnt(0)
	ds_bpermute_b32 v2, v1, v3
	v_xor_b32_e32 v4, 16, v0
	v_max_f32_e32 v3, v3, v3
	v_cmp_lt_i32_e32 vcc, v4, v8
	v_xor_b32_e32 v5, 8, v0
	s_waitcnt lgkmcnt(0)
	v_max_f32_e32 v2, v2, v2
	v_max_f32_e32 v3, v3, v2
	v_cndmask_b32_e32 v2, v0, v4, vcc
	v_lshlrev_b32_e32 v2, 2, v2
	ds_bpermute_b32 v4, v2, v3
	v_cmp_lt_i32_e32 vcc, v5, v8
	v_xor_b32_e32 v6, 4, v0
	v_xor_b32_e32 v9, 2, v0
	v_and_b32_e32 v14, 63, v24
	s_waitcnt lgkmcnt(0)
	v_max_f32_e32 v4, v4, v4
	v_max_f32_e32 v4, v3, v4
	v_cndmask_b32_e32 v3, v0, v5, vcc
	v_lshlrev_b32_e32 v3, 2, v3
	ds_bpermute_b32 v5, v3, v4
	v_cmp_lt_i32_e32 vcc, v6, v8
	s_waitcnt lgkmcnt(0)
	v_max_f32_e32 v5, v5, v5
	v_max_f32_e32 v5, v4, v5
	v_cndmask_b32_e32 v4, v0, v6, vcc
	v_lshlrev_b32_e32 v4, 2, v4
	ds_bpermute_b32 v6, v4, v5
	v_cmp_lt_i32_e32 vcc, v9, v8
	s_waitcnt lgkmcnt(0)
	v_max_f32_e32 v6, v6, v6
	v_max_f32_e32 v6, v5, v6
	v_cndmask_b32_e32 v5, v0, v9, vcc
	v_lshlrev_b32_e32 v11, 2, v5
	buffer_load_dword v5, off, s[56:59], 0  ; 4-byte Folded Reload
	ds_bpermute_b32 v9, v11, v6
	v_cmp_eq_u32_e32 vcc, 0, v14
	s_waitcnt vmcnt(0)
	v_lshlrev_b32_e32 v5, 2, v5
	s_and_saveexec_b64 s[2:3], vcc
	s_cbranch_execz .LBB260_407
; %bb.406:
	s_waitcnt lgkmcnt(0)
	v_max_f32_e32 v9, v9, v9
	v_max_f32_e32 v6, v6, v6
	;; [unrolled: 1-line block ×3, first 2 shown]
	ds_write_b32 v5, v6 offset:256
.LBB260_407:
	s_or_b64 exec, exec, s[2:3]
	v_cmp_gt_u32_e64 s[2:3], 2, v14
	s_waitcnt lgkmcnt(0)
	v_mov_b32_e32 v9, 0xff7fffff
	v_lshlrev_b32_e32 v6, 2, v14
	s_barrier
	s_and_saveexec_b64 s[4:5], s[2:3]
; %bb.408:
	ds_read_b32 v9, v6 offset:256
; %bb.409:
	s_or_b64 exec, exec, s[4:5]
	v_xor_b32_e32 v10, 1, v0
	v_cmp_lt_i32_e64 s[4:5], v10, v8
	v_cndmask_b32_e64 v8, v0, v10, s[4:5]
	v_lshlrev_b32_e32 v16, 2, v8
	s_waitcnt lgkmcnt(0)
	ds_bpermute_b32 v8, v16, v9
	v_max_f32_e32 v9, v9, v9
	v_lshlrev_b32_e32 v7, 2, v7
	s_lshl_b32 s4, s47, 5
	s_min_i32 s37, s4, s33
	s_waitcnt lgkmcnt(0)
	v_max_f32_e32 v8, v8, v8
	v_max_f32_e32 v8, v9, v8
	ds_bpermute_b32 v8, v7, v8
	v_cmp_gt_i32_e64 s[4:5], s37, v24
	v_mov_b32_e32 v7, 0
	s_and_saveexec_b64 s[12:13], s[4:5]
	s_cbranch_execz .LBB260_413
; %bb.410:
	v_mov_b32_e32 v7, 0x110
	v_lshl_add_u32 v9, v24, 2, v7
	v_mov_b32_e32 v7, 0
	s_mov_b64 s[18:19], 0
	v_mov_b32_e32 v10, v24
.LBB260_411:                            ; =>This Inner Loop Header: Depth=1
	ds_read_b32 v12, v9
	v_add_u32_e32 v10, 0x80, v10
	v_cmp_le_i32_e64 s[6:7], s37, v10
	s_or_b64 s[18:19], s[6:7], s[18:19]
	s_waitcnt lgkmcnt(0)
	v_sub_f32_e32 v12, v12, v8
	v_mul_f32_e32 v12, 0x3fb8aa3b, v12
	v_exp_f32_e32 v12, v12
	ds_write_b32 v9, v12
	v_add_f32_e32 v7, v7, v12
	v_add_u32_e32 v9, 0x200, v9
	s_andn2_b64 exec, exec, s[18:19]
	s_cbranch_execnz .LBB260_411
; %bb.412:
	s_or_b64 exec, exec, s[18:19]
.LBB260_413:
	s_or_b64 exec, exec, s[12:13]
	ds_bpermute_b32 v1, v1, v7
	s_waitcnt lgkmcnt(0)
	v_add_f32_e32 v1, v7, v1
	ds_bpermute_b32 v2, v2, v1
	s_waitcnt lgkmcnt(0)
	v_add_f32_e32 v1, v1, v2
	;; [unrolled: 3-line block ×6, first 2 shown]
	s_and_saveexec_b64 s[6:7], vcc
; %bb.414:
	ds_write_b32 v5, v1 offset:264
; %bb.415:
	s_or_b64 exec, exec, s[6:7]
	s_waitcnt lgkmcnt(0)
	s_barrier
	s_and_saveexec_b64 s[6:7], s[2:3]
; %bb.416:
	ds_read_b32 v1, v6 offset:264
; %bb.417:
	s_or_b64 exec, exec, s[6:7]
	s_waitcnt lgkmcnt(0)
	ds_bpermute_b32 v2, v16, v1
	v_lshlrev_b32_e32 v0, 2, v0
	v_and_b32_e32 v0, 0x100, v0
	s_waitcnt lgkmcnt(0)
	v_add_f32_e32 v1, v1, v2
	ds_bpermute_b32 v0, v0, v1
	s_and_saveexec_b64 s[2:3], s[4:5]
	s_cbranch_execz .LBB260_420
; %bb.418:
	s_waitcnt lgkmcnt(0)
	v_add_f32_e32 v1, 0x358637bd, v0
	v_div_scale_f32 v0, s[4:5], v1, v1, 1.0
	v_div_scale_f32 v2, vcc, 1.0, v1, 1.0
	s_mov_b64 s[4:5], 0
	v_rcp_f32_e32 v3, v0
	v_fma_f32 v4, -v0, v3, 1.0
	v_fmac_f32_e32 v3, v4, v3
	v_mul_f32_e32 v4, v2, v3
	v_fma_f32 v5, -v0, v4, v2
	v_fmac_f32_e32 v4, v5, v3
	v_fma_f32 v0, -v0, v4, v2
	v_div_fmas_f32 v2, v0, v3, v4
	v_mov_b32_e32 v0, 0x110
	v_lshl_add_u32 v0, v24, 2, v0
	v_div_fixup_f32 v1, v2, v1, 1.0
	v_mov_b32_e32 v2, v24
.LBB260_419:                            ; =>This Inner Loop Header: Depth=1
	ds_read_b32 v3, v0
	v_add_u32_e32 v2, 0x80, v2
	v_cmp_le_i32_e32 vcc, s37, v2
	s_or_b64 s[4:5], vcc, s[4:5]
	s_waitcnt lgkmcnt(0)
	v_mul_f32_e32 v3, v1, v3
	ds_write_b32 v0, v3
	v_add_u32_e32 v0, 0x200, v0
	s_andn2_b64 exec, exec, s[4:5]
	s_cbranch_execnz .LBB260_419
.LBB260_420:
	s_or_b64 exec, exec, s[2:3]
	v_mov_b32_e32 v25, 0
	v_and_b32_e32 v17, 3, v24
	v_mov_b32_e32 v18, 0
	v_mov_b32_e32 v23, 0
	;; [unrolled: 1-line block ×7, first 2 shown]
	s_waitcnt lgkmcnt(0)
	s_barrier
	s_and_saveexec_b64 s[2:3], s[0:1]
	s_cbranch_execz .LBB260_826
; %bb.421:
	buffer_load_dword v1, off, s[56:59], 0 offset:192 ; 4-byte Folded Reload
	buffer_load_dword v4, off, s[56:59], 0 offset:184 ; 4-byte Folded Reload
	;; [unrolled: 1-line block ×3, first 2 shown]
	s_sub_i32 s37, s16, s21
	s_ashr_i32 s0, s20, 31
	s_add_u32 s1, s34, s20
	s_addc_u32 s0, s35, s0
	s_abs_i32 s22, s22
	v_cvt_f32_u32_e32 v0, s22
	s_sub_i32 s6, 0, s22
	s_add_i32 s35, s47, -1
	s_mov_b32 s4, -1
	v_rcp_iflag_f32_e32 v0, v0
	s_mov_b32 s34, s17
	s_mov_b32 s5, 0xffffff
	v_mov_b32_e32 v2, 0
	v_mul_f32_e32 v0, 0x4f7ffffe, v0
	v_cvt_u32_f32_e32 v0, v0
	v_mov_b32_e32 v28, 0x2000
	v_mov_b32_e32 v20, 0
	v_mov_b32_e32 v19, 0
	v_mul_lo_u32 v3, s6, v0
	s_mov_b64 s[6:7], 0
	v_mov_b32_e32 v15, 0
	v_mov_b32_e32 v21, 0
	v_mul_hi_u32 v6, v0, v3
	v_mov_b32_e32 v22, 0
	v_mov_b32_e32 v23, 0
	;; [unrolled: 1-line block ×3, first 2 shown]
	v_add_u32_e32 v13, v0, v6
	v_mov_b32_e32 v25, 0
	s_waitcnt vmcnt(2)
	v_and_b32_e32 v24, 24, v1
	v_and_b32_e32 v1, 0x1f8, v1
	v_add_co_u32_e32 v3, vcc, s1, v1
	buffer_load_dword v1, off, s[56:59], 0  ; 4-byte Folded Reload
	s_waitcnt vmcnt(2)
	v_and_b32_e32 v5, 60, v4
	v_mov_b32_e32 v4, s0
	s_lshl_b64 s[0:1], s[30:31], 2
	s_add_u32 s0, s28, s0
	v_addc_co_u32_e32 v4, vcc, 0, v4, vcc
	s_addc_u32 s1, s29, s1
	v_mov_b32_e32 v0, s1
	v_add_co_u32_e32 v5, vcc, s0, v5
	v_addc_co_u32_e32 v6, vcc, 0, v0, vcc
	v_lshlrev_b32_e32 v0, 5, v17
	s_movk_i32 s28, 0x80
	s_movk_i32 s29, 0x7f
	s_mov_b32 s30, 0x8000
	s_waitcnt vmcnt(0)
	v_lshl_or_b32 v0, v1, 7, v0
	v_add_u32_e32 v27, 0x110, v0
	s_branch .LBB260_424
.LBB260_422:                            ;   in Loop: Header=BB260_424 Depth=1
	s_or_b64 exec, exec, s[0:1]
	v_add_f32_e32 v0, v0, v49
	v_add_f32_e32 v21, v21, v0
	;; [unrolled: 1-line block ×10, first 2 shown]
	;;#ASMSTART
	v_pk_mul_f16 v0, v40, v7;

	;;#ASMEND
	;;#ASMSTART
	v_pk_mul_f16 v1, v39, v1;

	;;#ASMEND
	;; [unrolled: 4-line block ×4, first 2 shown]
	;;#ASMSTART
	v_pk_add_f16 v0, v0, v1;

	;;#ASMEND
	;;#ASMSTART
	v_pk_add_f16 v0, v0, v7;

	;;#ASMEND
	;; [unrolled: 4-line block ×3, first 2 shown]
	v_lshrrev_b32_e32 v1, 16, v0
	v_and_b32_e32 v0, 0xffff, v0
	v_add_f32_e32 v9, v9, v10
	;;#ASMSTART
	v_cvt_f32_f16 v0, v0;
	;;#ASMEND
	v_add_f32_e32 v19, v19, v9
	v_add_f32_e32 v9, v50, v51
	;;#ASMSTART
	v_cvt_f32_f16 v1, v1;
	;;#ASMEND
	v_add_f32_e32 v0, v0, v1
	v_add_f32_e32 v15, v15, v9
	;; [unrolled: 1-line block ×3, first 2 shown]
.LBB260_423:                            ;   in Loop: Header=BB260_424 Depth=1
	s_or_b64 exec, exec, s[12:13]
	buffer_load_dword v0, off, s[56:59], 0  ; 4-byte Folded Reload
	v_add_co_u32_e32 v5, vcc, 8, v5
	v_addc_co_u32_e32 v6, vcc, 0, v6, vcc
	v_mov_b32_e32 v8, v63
	v_add_u32_e32 v8, 64, v8
	v_add_u32_e32 v27, 0x100, v27
	s_waitcnt vmcnt(0)
	v_add_u32_e32 v0, 2, v0
	v_cmp_le_i32_e32 vcc, s47, v0
	s_or_b64 s[6:7], vcc, s[6:7]
	buffer_store_dword v0, off, s[56:59], 0 ; 4-byte Folded Spill
	s_andn2_b64 exec, exec, s[6:7]
	s_cbranch_execz .LBB260_825
.LBB260_424:                            ; =>This Inner Loop Header: Depth=1
	v_mul_hi_u32 v0, v8, s46
	v_mov_b32_e32 v63, v8
	v_mul_lo_u32 v1, v0, s25
	v_add_u32_e32 v7, 1, v0
	v_sub_u32_e32 v1, v8, v1
	v_cmp_le_u32_e32 vcc, s25, v1
	v_cndmask_b32_e32 v0, v0, v7, vcc
	v_subrev_u32_e32 v7, s25, v1
	v_cndmask_b32_e32 v1, v1, v7, vcc
	v_add_u32_e32 v7, 1, v0
	v_cmp_le_u32_e32 vcc, s25, v1
	v_cndmask_b32_e32 v0, v0, v7, vcc
	v_xor_b32_e32 v0, s23, v0
	v_subrev_u32_e32 v0, s23, v0
	v_add_u32_e32 v1, s36, v0
	v_sub_u32_e32 v7, 0, v1
	v_max_i32_e32 v7, v1, v7
	v_mul_hi_u32 v8, v7, v13
	v_ashrrev_i32_e32 v1, 31, v1
	v_cmp_lt_i32_e64 s[0:1], s37, v0
	v_mul_lo_u32 v8, v8, s22
	v_sub_u32_e32 v7, v7, v8
	v_subrev_u32_e32 v8, s22, v7
	v_cmp_le_u32_e32 vcc, s22, v7
	v_cndmask_b32_e32 v7, v7, v8, vcc
	v_subrev_u32_e32 v8, s22, v7
	v_cmp_le_u32_e32 vcc, s22, v7
	v_cndmask_b32_e32 v7, v7, v8, vcc
	v_xor_b32_e32 v7, v7, v1
	v_sub_u32_e32 v1, v7, v1
	v_cmp_eq_u32_e32 vcc, 0, v1
	s_or_b64 s[0:1], vcc, s[0:1]
	s_and_saveexec_b64 s[12:13], s[0:1]
	s_cbranch_execz .LBB260_423
; %bb.425:                              ;   in Loop: Header=BB260_424 Depth=1
	global_load_dword v1, v[5:6], off
	ds_read2_b64 v[7:10], v27 offset1:1
	ds_read2_b64 v[29:32], v27 offset0:2 offset1:3
	s_waitcnt lgkmcnt(1)
	;;#ASMSTART
	v_cvt_f16_f32 v0, v7;

	;;#ASMEND
	;;#ASMSTART
	v_cvt_f16_f32 v37, v8;

	;;#ASMEND
	;; [unrolled: 4-line block ×4, first 2 shown]
	s_waitcnt lgkmcnt(0)
	;;#ASMSTART
	v_cvt_f16_f32 v41, v29;

	;;#ASMEND
	;;#ASMSTART
	v_cvt_f16_f32 v42, v30;

	;;#ASMEND
	;;#ASMSTART
	v_cvt_f16_f32 v43, v31;

	;;#ASMEND
	;;#ASMSTART
	v_cvt_f16_f32 v44, v32;

	;;#ASMEND
	v_mov_b32_e32 v31, 0
	global_load_dword v30, v31, s[14:15]
	v_mov_b32_e32 v32, 0
	s_waitcnt vmcnt(1)
	v_mad_i64_i32 v[7:8], s[0:1], v1, s34, v[3:4]
	global_load_dwordx2 v[9:10], v[7:8], off
	s_waitcnt vmcnt(0)
	v_cmp_ne_u16_sdwa s[16:17], v9, v2 src0_sel:BYTE_0 src1_sel:DWORD
	s_and_saveexec_b64 s[0:1], s[16:17]
	s_cbranch_execz .LBB260_431
; %bb.426:                              ;   in Loop: Header=BB260_424 Depth=1
	v_cmp_ne_u16_sdwa s[18:19], v9, s28 src0_sel:BYTE_0 src1_sel:DWORD
	v_mov_b32_e32 v32, 0x8000
	s_and_saveexec_b64 s[16:17], s[18:19]
	s_cbranch_execz .LBB260_430
; %bb.427:                              ;   in Loop: Header=BB260_424 Depth=1
	v_and_b32_e32 v1, 0x7f, v9
	v_cmp_ne_u32_e32 vcc, s29, v1
	v_mov_b32_e32 v32, 0x7c01
	s_and_saveexec_b64 s[18:19], vcc
	s_cbranch_execz .LBB260_429
; %bb.428:                              ;   in Loop: Header=BB260_424 Depth=1
	v_and_b32_e32 v12, 7, v9
	v_ffbh_u32_e32 v29, v12
	v_min_u32_e32 v29, 32, v29
	v_lshrrev_b32_e32 v26, 3, v1
	v_subrev_u32_e32 v32, 28, v29
	v_sub_u32_e32 v29, 29, v29
	v_cmp_gt_u32_e32 vcc, 8, v1
	v_lshlrev_b64 v[32:33], v32, v[9:10]
	v_cndmask_b32_e32 v1, v26, v29, vcc
	v_lshl_add_u32 v1, v1, 10, v28
	v_lshlrev_b32_e32 v26, 8, v9
	v_and_b32_e32 v29, 7, v32
	v_and_b32_e32 v1, 0xfc00, v1
	v_cndmask_b32_e32 v12, v12, v29, vcc
	v_and_or_b32 v1, v26, s30, v1
	v_lshl_or_b32 v32, v12, 7, v1
.LBB260_429:                            ;   in Loop: Header=BB260_424 Depth=1
	s_or_b64 exec, exec, s[18:19]
.LBB260_430:                            ;   in Loop: Header=BB260_424 Depth=1
	s_or_b64 exec, exec, s[16:17]
.LBB260_431:                            ;   in Loop: Header=BB260_424 Depth=1
	s_or_b64 exec, exec, s[0:1]
	v_lshrrev_b16_e32 v1, 8, v9
	v_cmp_ne_u16_e32 vcc, 0, v1
	s_and_saveexec_b64 s[0:1], vcc
	s_cbranch_execz .LBB260_437
; %bb.432:                              ;   in Loop: Header=BB260_424 Depth=1
	v_cmp_ne_u16_e32 vcc, s28, v1
	v_bfrev_b32_e32 v31, 1
	s_and_saveexec_b64 s[16:17], vcc
	s_cbranch_execz .LBB260_436
; %bb.433:                              ;   in Loop: Header=BB260_424 Depth=1
	v_and_b32_e32 v26, 0x7f, v1
	v_cmp_ne_u32_e32 vcc, s29, v26
	v_mov_b32_e32 v31, 0x7c010000
	s_and_saveexec_b64 s[18:19], vcc
	s_cbranch_execz .LBB260_435
; %bb.434:                              ;   in Loop: Header=BB260_424 Depth=1
	v_and_b32_e32 v12, 7, v1
	v_ffbh_u32_e32 v31, v12
	v_min_u32_e32 v31, 32, v31
	v_lshrrev_b32_e32 v29, 3, v26
	v_subrev_u32_e32 v33, 28, v31
	v_sub_u32_e32 v31, 29, v31
	v_cmp_gt_u32_e32 vcc, 8, v26
	v_lshlrev_b64 v[33:34], v33, v[1:2]
	v_cndmask_b32_e32 v26, v29, v31, vcc
	v_lshlrev_b32_e32 v1, 8, v1
	v_lshl_add_u32 v26, v26, 10, v28
	v_and_b32_e32 v29, 7, v33
	v_and_or_b32 v1, v1, s30, v26
	v_cndmask_b32_e32 v12, v12, v29, vcc
	v_lshlrev_b32_e32 v1, 16, v1
	v_lshl_or_b32 v31, v12, 23, v1
.LBB260_435:                            ;   in Loop: Header=BB260_424 Depth=1
	s_or_b64 exec, exec, s[18:19]
.LBB260_436:                            ;   in Loop: Header=BB260_424 Depth=1
	s_or_b64 exec, exec, s[16:17]
.LBB260_437:                            ;   in Loop: Header=BB260_424 Depth=1
	s_or_b64 exec, exec, s[0:1]
	v_lshrrev_b32_e32 v1, 16, v9
	v_cmp_ne_u16_sdwa s[16:17], v1, v2 src0_sel:BYTE_0 src1_sel:DWORD
	v_mov_b32_e32 v26, 0
	v_mov_b32_e32 v33, 0
	s_and_saveexec_b64 s[0:1], s[16:17]
	s_cbranch_execz .LBB260_443
; %bb.438:                              ;   in Loop: Header=BB260_424 Depth=1
	v_cmp_ne_u16_sdwa s[18:19], v1, s28 src0_sel:BYTE_0 src1_sel:DWORD
	v_mov_b32_e32 v33, 0x8000
	s_and_saveexec_b64 s[16:17], s[18:19]
	s_cbranch_execz .LBB260_442
; %bb.439:                              ;   in Loop: Header=BB260_424 Depth=1
	v_bfe_u32 v29, v9, 16, 7
	v_cmp_ne_u32_e32 vcc, s29, v29
	v_mov_b32_e32 v33, 0x7c01
	s_and_saveexec_b64 s[18:19], vcc
	s_cbranch_execz .LBB260_441
; %bb.440:                              ;   in Loop: Header=BB260_424 Depth=1
	v_and_b32_e32 v12, 7, v1
	v_ffbh_u32_e32 v33, v12
	v_min_u32_e32 v36, 32, v33
	v_subrev_u32_e32 v33, 28, v36
	v_lshlrev_b64 v[33:34], v33, v[1:2]
	v_lshrrev_b32_e32 v35, 3, v29
	v_sub_u32_e32 v34, 29, v36
	v_cmp_gt_u32_e32 vcc, 8, v29
	v_cndmask_b32_e32 v29, v35, v34, vcc
	v_lshl_add_u32 v29, v29, 10, v28
	v_lshlrev_b32_e32 v1, 8, v1
	v_and_b32_e32 v33, 7, v33
	v_and_b32_e32 v29, 0xfc00, v29
	v_cndmask_b32_e32 v12, v12, v33, vcc
	v_and_or_b32 v1, v1, s30, v29
	v_lshl_or_b32 v33, v12, 7, v1
.LBB260_441:                            ;   in Loop: Header=BB260_424 Depth=1
	s_or_b64 exec, exec, s[18:19]
.LBB260_442:                            ;   in Loop: Header=BB260_424 Depth=1
	s_or_b64 exec, exec, s[16:17]
.LBB260_443:                            ;   in Loop: Header=BB260_424 Depth=1
	s_or_b64 exec, exec, s[0:1]
	v_cmp_lt_u32_e32 vcc, s5, v9
	s_and_saveexec_b64 s[0:1], vcc
	s_cbranch_execz .LBB260_449
; %bb.444:                              ;   in Loop: Header=BB260_424 Depth=1
	v_lshrrev_b32_e32 v1, 24, v9
	v_cmp_ne_u32_e32 vcc, s28, v1
	v_bfrev_b32_e32 v26, 1
	s_and_saveexec_b64 s[16:17], vcc
	s_cbranch_execz .LBB260_448
; %bb.445:                              ;   in Loop: Header=BB260_424 Depth=1
	v_and_b32_e32 v29, 0x7f, v1
	v_cmp_ne_u32_e32 vcc, s29, v29
	v_mov_b32_e32 v26, 0x7c010000
	s_and_saveexec_b64 s[18:19], vcc
	s_cbranch_execz .LBB260_447
; %bb.446:                              ;   in Loop: Header=BB260_424 Depth=1
	v_and_b32_e32 v12, 7, v1
	v_ffbh_u32_e32 v34, v12
	v_min_u32_e32 v34, 32, v34
	v_lshrrev_b32_e32 v26, 3, v29
	v_subrev_u32_e32 v35, 28, v34
	v_sub_u32_e32 v34, 29, v34
	v_cmp_gt_u32_e32 vcc, 8, v29
	v_lshlrev_b64 v[45:46], v35, v[1:2]
	v_cndmask_b32_e32 v26, v26, v34, vcc
	v_lshlrev_b32_e32 v1, 8, v1
	v_lshl_add_u32 v26, v26, 10, v28
	v_and_b32_e32 v29, 7, v45
	v_and_or_b32 v1, v1, s30, v26
	v_cndmask_b32_e32 v12, v12, v29, vcc
	v_lshlrev_b32_e32 v1, 16, v1
	v_lshl_or_b32 v26, v12, 23, v1
.LBB260_447:                            ;   in Loop: Header=BB260_424 Depth=1
	s_or_b64 exec, exec, s[18:19]
.LBB260_448:                            ;   in Loop: Header=BB260_424 Depth=1
	s_or_b64 exec, exec, s[16:17]
.LBB260_449:                            ;   in Loop: Header=BB260_424 Depth=1
	s_or_b64 exec, exec, s[0:1]
	v_mov_b32_e32 v1, v10
	v_cmp_ne_u16_sdwa s[16:17], v10, v2 src0_sel:BYTE_0 src1_sel:DWORD
	v_mov_b32_e32 v34, 0
	v_mov_b32_e32 v36, 0
	s_and_saveexec_b64 s[0:1], s[16:17]
	s_cbranch_execz .LBB260_455
; %bb.450:                              ;   in Loop: Header=BB260_424 Depth=1
	v_cmp_ne_u16_sdwa s[18:19], v10, s28 src0_sel:BYTE_0 src1_sel:DWORD
	v_mov_b32_e32 v36, 0x8000
	s_and_saveexec_b64 s[16:17], s[18:19]
	s_cbranch_execz .LBB260_454
; %bb.451:                              ;   in Loop: Header=BB260_424 Depth=1
	v_and_b32_e32 v29, 0x7f, v10
	v_cmp_ne_u32_e32 vcc, s29, v29
	v_mov_b32_e32 v36, 0x7c01
	s_and_saveexec_b64 s[18:19], vcc
	s_cbranch_execz .LBB260_453
; %bb.452:                              ;   in Loop: Header=BB260_424 Depth=1
	v_and_b32_e32 v12, 7, v10
	v_ffbh_u32_e32 v36, v12
	v_min_u32_e32 v36, 32, v36
	v_lshrrev_b32_e32 v35, 3, v29
	v_subrev_u32_e32 v40, 28, v36
	v_sub_u32_e32 v36, 29, v36
	v_cmp_gt_u32_e32 vcc, 8, v29
	v_lshlrev_b64 v[45:46], v40, v[1:2]
	v_cndmask_b32_e32 v29, v35, v36, vcc
	v_lshl_add_u32 v29, v29, 10, v28
	v_lshlrev_b32_e32 v35, 8, v10
	v_and_b32_e32 v36, 7, v45
	v_and_b32_e32 v29, 0xfc00, v29
	v_cndmask_b32_e32 v12, v12, v36, vcc
	v_and_or_b32 v29, v35, s30, v29
	v_lshl_or_b32 v36, v12, 7, v29
.LBB260_453:                            ;   in Loop: Header=BB260_424 Depth=1
	s_or_b64 exec, exec, s[18:19]
.LBB260_454:                            ;   in Loop: Header=BB260_424 Depth=1
	s_or_b64 exec, exec, s[16:17]
.LBB260_455:                            ;   in Loop: Header=BB260_424 Depth=1
	s_or_b64 exec, exec, s[0:1]
	v_lshrrev_b16_e32 v1, 8, v1
	v_cmp_ne_u16_e32 vcc, 0, v1
	v_mov_b32_e32 v40, 0
	s_and_saveexec_b64 s[0:1], vcc
	s_cbranch_execz .LBB260_461
; %bb.456:                              ;   in Loop: Header=BB260_424 Depth=1
	v_cmp_ne_u16_e32 vcc, s28, v1
	v_bfrev_b32_e32 v40, 1
	s_and_saveexec_b64 s[16:17], vcc
	s_cbranch_execz .LBB260_460
; %bb.457:                              ;   in Loop: Header=BB260_424 Depth=1
	v_and_b32_e32 v29, 0x7f, v1
	v_cmp_ne_u32_e32 vcc, s29, v29
	v_mov_b32_e32 v40, 0x7c010000
	s_and_saveexec_b64 s[18:19], vcc
	s_cbranch_execz .LBB260_459
; %bb.458:                              ;   in Loop: Header=BB260_424 Depth=1
	v_and_b32_e32 v12, 7, v1
	v_ffbh_u32_e32 v40, v12
	v_min_u32_e32 v40, 32, v40
	v_lshrrev_b32_e32 v35, 3, v29
	v_subrev_u32_e32 v45, 28, v40
	v_sub_u32_e32 v40, 29, v40
	v_cmp_gt_u32_e32 vcc, 8, v29
	v_lshlrev_b64 v[45:46], v45, v[1:2]
	v_cndmask_b32_e32 v29, v35, v40, vcc
	v_lshlrev_b32_e32 v1, 8, v1
	v_lshl_add_u32 v29, v29, 10, v28
	v_and_b32_e32 v35, 7, v45
	v_and_or_b32 v1, v1, s30, v29
	v_cndmask_b32_e32 v12, v12, v35, vcc
	v_lshlrev_b32_e32 v1, 16, v1
	v_lshl_or_b32 v40, v12, 23, v1
.LBB260_459:                            ;   in Loop: Header=BB260_424 Depth=1
	s_or_b64 exec, exec, s[18:19]
.LBB260_460:                            ;   in Loop: Header=BB260_424 Depth=1
	s_or_b64 exec, exec, s[16:17]
.LBB260_461:                            ;   in Loop: Header=BB260_424 Depth=1
	s_or_b64 exec, exec, s[0:1]
	v_lshrrev_b32_e32 v1, 16, v10
	v_cmp_ne_u16_sdwa s[16:17], v1, v2 src0_sel:BYTE_0 src1_sel:DWORD
	s_and_saveexec_b64 s[0:1], s[16:17]
	s_cbranch_execz .LBB260_467
; %bb.462:                              ;   in Loop: Header=BB260_424 Depth=1
	v_cmp_ne_u16_sdwa s[18:19], v1, s28 src0_sel:BYTE_0 src1_sel:DWORD
	v_mov_b32_e32 v34, 0x8000
	s_and_saveexec_b64 s[16:17], s[18:19]
	s_cbranch_execz .LBB260_466
; %bb.463:                              ;   in Loop: Header=BB260_424 Depth=1
	v_bfe_u32 v29, v10, 16, 7
	v_cmp_ne_u32_e32 vcc, s29, v29
	v_mov_b32_e32 v34, 0x7c01
	s_and_saveexec_b64 s[18:19], vcc
	s_cbranch_execz .LBB260_465
; %bb.464:                              ;   in Loop: Header=BB260_424 Depth=1
	v_and_b32_e32 v12, 7, v1
	v_ffbh_u32_e32 v35, v12
	v_min_u32_e32 v35, 32, v35
	v_lshrrev_b32_e32 v34, 3, v29
	v_subrev_u32_e32 v45, 28, v35
	v_sub_u32_e32 v35, 29, v35
	v_cmp_gt_u32_e32 vcc, 8, v29
	v_lshlrev_b64 v[45:46], v45, v[1:2]
	v_cndmask_b32_e32 v29, v34, v35, vcc
	v_lshl_add_u32 v29, v29, 10, v28
	v_lshlrev_b32_e32 v1, 8, v1
	v_and_b32_e32 v34, 7, v45
	v_and_b32_e32 v29, 0xfc00, v29
	v_cndmask_b32_e32 v12, v12, v34, vcc
	v_and_or_b32 v1, v1, s30, v29
	v_lshl_or_b32 v34, v12, 7, v1
.LBB260_465:                            ;   in Loop: Header=BB260_424 Depth=1
	s_or_b64 exec, exec, s[18:19]
.LBB260_466:                            ;   in Loop: Header=BB260_424 Depth=1
	s_or_b64 exec, exec, s[16:17]
.LBB260_467:                            ;   in Loop: Header=BB260_424 Depth=1
	s_or_b64 exec, exec, s[0:1]
	v_cmp_lt_u64_e32 vcc, s[4:5], v[9:10]
	v_mov_b32_e32 v45, 0
	s_and_saveexec_b64 s[0:1], vcc
	s_cbranch_execz .LBB260_473
; %bb.468:                              ;   in Loop: Header=BB260_424 Depth=1
	v_lshrrev_b32_e32 v1, 24, v10
	v_cmp_ne_u32_e32 vcc, s28, v1
	v_bfrev_b32_e32 v45, 1
	s_and_saveexec_b64 s[16:17], vcc
	s_cbranch_execz .LBB260_472
; %bb.469:                              ;   in Loop: Header=BB260_424 Depth=1
	v_and_b32_e32 v9, 0x7f, v1
	v_cmp_ne_u32_e32 vcc, s29, v9
	v_mov_b32_e32 v45, 0x7c010000
	s_and_saveexec_b64 s[18:19], vcc
	s_cbranch_execz .LBB260_471
; %bb.470:                              ;   in Loop: Header=BB260_424 Depth=1
	v_and_b32_e32 v10, 7, v1
	v_ffbh_u32_e32 v29, v10
	v_min_u32_e32 v29, 32, v29
	v_lshrrev_b32_e32 v12, 3, v9
	v_subrev_u32_e32 v35, 28, v29
	v_sub_u32_e32 v29, 29, v29
	v_cmp_gt_u32_e32 vcc, 8, v9
	v_lshlrev_b64 v[45:46], v35, v[1:2]
	v_cndmask_b32_e32 v9, v12, v29, vcc
	v_lshlrev_b32_e32 v1, 8, v1
	v_lshl_add_u32 v9, v9, 10, v28
	v_and_b32_e32 v12, 7, v45
	v_and_or_b32 v1, v1, s30, v9
	v_cndmask_b32_e32 v10, v10, v12, vcc
	v_lshlrev_b32_e32 v1, 16, v1
	v_lshl_or_b32 v45, v10, 23, v1
.LBB260_471:                            ;   in Loop: Header=BB260_424 Depth=1
	s_or_b64 exec, exec, s[18:19]
.LBB260_472:                            ;   in Loop: Header=BB260_424 Depth=1
	s_or_b64 exec, exec, s[16:17]
.LBB260_473:                            ;   in Loop: Header=BB260_424 Depth=1
	s_or_b64 exec, exec, s[0:1]
	buffer_load_dword v1, off, s[56:59], 0  ; 4-byte Folded Reload
	v_fma_mixlo_f16 v9, v30, v26, 0 op_sel:[0,1,0] op_sel_hi:[0,1,0]
	v_fma_mixlo_f16 v10, v30, v31, 0 op_sel:[0,1,0] op_sel_hi:[0,1,0]
	;; [unrolled: 1-line block ×3, first 2 shown]
	v_lshlrev_b32_e32 v46, 16, v9
	v_or_b32_e32 v9, v31, v32
	v_lshlrev_b32_e32 v49, 16, v10
	v_or_b32_e32 v10, v40, v36
	;; [unrolled: 2-line block ×3, first 2 shown]
	v_fma_mixlo_f16 v9, v30, v9, 0 op_sel_hi:[0,1,0]
	v_fma_mixlo_f16 v10, v30, v10, 0 op_sel_hi:[0,1,0]
	;; [unrolled: 1-line block ×3, first 2 shown]
	v_add_u32_e32 v29, v24, v63
	v_and_b32_e32 v52, 0xffff, v9
	v_and_b32_e32 v50, 0xffff, v10
	;; [unrolled: 1-line block ×3, first 2 shown]
	v_or_b32_e32 v9, v49, v52
	v_or_b32_e32 v10, v40, v50
	v_add_u32_e32 v36, 1, v29
	v_add_u32_e32 v34, 3, v29
	;; [unrolled: 1-line block ×4, first 2 shown]
	s_waitcnt vmcnt(0)
	v_cmp_eq_u32_e32 vcc, s35, v1
	v_or_b32_e32 v1, v26, v33
	v_fma_mixlo_f16 v1, v30, v1, 0 op_sel_hi:[0,1,0]
	v_fma_mixlo_f16 v26, v30, v45, 0 op_sel:[0,1,0] op_sel_hi:[0,1,0]
	v_and_b32_e32 v47, 0xffff, v1
	v_lshlrev_b32_e32 v48, 16, v26
	v_or_b32_e32 v1, v46, v47
	v_or_b32_e32 v45, v48, v51
	v_add_u32_e32 v33, 2, v29
	v_add_u32_e32 v26, 4, v29
	;; [unrolled: 1-line block ×3, first 2 shown]
	s_and_saveexec_b64 s[16:17], vcc
	s_cbranch_execz .LBB260_475
; %bb.474:                              ;   in Loop: Header=BB260_424 Depth=1
	v_cmp_gt_i32_e64 s[0:1], s33, v29
	v_cndmask_b32_e64 v1, 0, v52, s[0:1]
	v_cmp_gt_i32_e64 s[0:1], s33, v36
	v_cndmask_b32_e64 v9, 0, v49, s[0:1]
	v_cmp_gt_i32_e64 s[0:1], s33, v33
	v_or_b32_e32 v9, v9, v1
	v_cndmask_b32_e64 v1, 0, v47, s[0:1]
	v_cmp_gt_i32_e64 s[0:1], s33, v34
	v_cndmask_b32_e64 v10, 0, v46, s[0:1]
	v_cmp_gt_i32_e64 s[0:1], s33, v26
	v_or_b32_e32 v1, v10, v1
	;; [unrolled: 5-line block ×3, first 2 shown]
	v_cndmask_b32_e64 v12, 0, v51, s[0:1]
	v_cmp_gt_i32_e64 s[0:1], s33, v30
	v_cndmask_b32_e64 v35, 0, v48, s[0:1]
	v_or_b32_e32 v45, v35, v12
.LBB260_475:                            ;   in Loop: Header=BB260_424 Depth=1
	s_or_b64 exec, exec, s[16:17]
	v_and_b32_e32 v0, 0xffff, v0
	v_lshl_or_b32 v40, v37, 16, v0
	v_and_b32_e32 v0, 0xffff, v38
	v_lshl_or_b32 v39, v39, 16, v0
	;; [unrolled: 2-line block ×4, first 2 shown]
	;;#ASMSTART
	v_pk_mul_f16 v0, v40, v9;

	;;#ASMEND
	;;#ASMSTART
	v_pk_mul_f16 v1, v39, v1;

	;;#ASMEND
	;; [unrolled: 4-line block ×4, first 2 shown]
	;;#ASMSTART
	v_pk_add_f16 v0, v0, v1;

	;;#ASMEND
	;;#ASMSTART
	v_pk_add_f16 v0, v0, v9;

	;;#ASMEND
	;;#ASMSTART
	v_pk_add_f16 v0, v0, v10;

	;;#ASMEND
	v_lshrrev_b32_e32 v1, 16, v0
	v_and_b32_e32 v0, 0xffff, v0
	;;#ASMSTART
	v_cvt_f32_f16 v41, v0;
	;;#ASMEND
	;;#ASMSTART
	v_cvt_f32_f16 v42, v1;
	;;#ASMEND
	global_load_dwordx2 v[9:10], v[7:8], off offset:512
	v_mov_b32_e32 v43, 0
	global_load_dword v0, v43, s[14:15]
	v_mov_b32_e32 v44, 0
	s_waitcnt vmcnt(1)
	v_cmp_ne_u16_sdwa s[0:1], v9, v2 src0_sel:BYTE_0 src1_sel:DWORD
	s_and_saveexec_b64 s[16:17], s[0:1]
	s_cbranch_execz .LBB260_481
; %bb.476:                              ;   in Loop: Header=BB260_424 Depth=1
	v_cmp_ne_u16_sdwa s[0:1], v9, s28 src0_sel:BYTE_0 src1_sel:DWORD
	v_mov_b32_e32 v44, 0x8000
	s_and_saveexec_b64 s[18:19], s[0:1]
	s_cbranch_execz .LBB260_480
; %bb.477:                              ;   in Loop: Header=BB260_424 Depth=1
	v_and_b32_e32 v1, 0x7f, v9
	v_cmp_ne_u32_e64 s[0:1], s29, v1
	v_mov_b32_e32 v44, 0x7c01
	s_and_saveexec_b64 s[20:21], s[0:1]
	s_cbranch_execz .LBB260_479
; %bb.478:                              ;   in Loop: Header=BB260_424 Depth=1
	v_and_b32_e32 v12, 7, v9
	v_ffbh_u32_e32 v44, v12
	v_min_u32_e32 v46, 32, v44
	v_subrev_u32_e32 v44, 28, v46
	v_lshlrev_b64 v[44:45], v44, v[9:10]
	v_lshrrev_b32_e32 v35, 3, v1
	v_sub_u32_e32 v45, 29, v46
	v_cmp_gt_u32_e64 s[0:1], 8, v1
	v_cndmask_b32_e64 v1, v35, v45, s[0:1]
	v_lshl_add_u32 v1, v1, 10, v28
	v_lshlrev_b32_e32 v35, 8, v9
	v_and_b32_e32 v44, 7, v44
	v_and_b32_e32 v1, 0xfc00, v1
	v_cndmask_b32_e64 v12, v12, v44, s[0:1]
	v_and_or_b32 v1, v35, s30, v1
	v_lshl_or_b32 v44, v12, 7, v1
.LBB260_479:                            ;   in Loop: Header=BB260_424 Depth=1
	s_or_b64 exec, exec, s[20:21]
.LBB260_480:                            ;   in Loop: Header=BB260_424 Depth=1
	s_or_b64 exec, exec, s[18:19]
.LBB260_481:                            ;   in Loop: Header=BB260_424 Depth=1
	s_or_b64 exec, exec, s[16:17]
	v_lshrrev_b16_e32 v1, 8, v9
	v_cmp_ne_u16_e64 s[0:1], 0, v1
	s_and_saveexec_b64 s[16:17], s[0:1]
	s_cbranch_execz .LBB260_487
; %bb.482:                              ;   in Loop: Header=BB260_424 Depth=1
	v_cmp_ne_u16_e64 s[0:1], s28, v1
	v_bfrev_b32_e32 v43, 1
	s_and_saveexec_b64 s[18:19], s[0:1]
	s_cbranch_execz .LBB260_486
; %bb.483:                              ;   in Loop: Header=BB260_424 Depth=1
	v_and_b32_e32 v45, 0x7f, v1
	v_cmp_ne_u32_e64 s[0:1], s29, v45
	v_mov_b32_e32 v43, 0x7c010000
	s_and_saveexec_b64 s[20:21], s[0:1]
	s_cbranch_execz .LBB260_485
; %bb.484:                              ;   in Loop: Header=BB260_424 Depth=1
	v_and_b32_e32 v12, 7, v1
	v_ffbh_u32_e32 v43, v12
	v_min_u32_e32 v43, 32, v43
	v_lshrrev_b32_e32 v35, 3, v45
	v_subrev_u32_e32 v46, 28, v43
	v_sub_u32_e32 v43, 29, v43
	v_cmp_gt_u32_e64 s[0:1], 8, v45
	v_lshlrev_b64 v[46:47], v46, v[1:2]
	v_cndmask_b32_e64 v35, v35, v43, s[0:1]
	v_lshlrev_b32_e32 v1, 8, v1
	v_lshl_add_u32 v35, v35, 10, v28
	v_and_b32_e32 v43, 7, v46
	v_and_or_b32 v1, v1, s30, v35
	v_cndmask_b32_e64 v12, v12, v43, s[0:1]
	v_lshlrev_b32_e32 v1, 16, v1
	v_lshl_or_b32 v43, v12, 23, v1
.LBB260_485:                            ;   in Loop: Header=BB260_424 Depth=1
	s_or_b64 exec, exec, s[20:21]
.LBB260_486:                            ;   in Loop: Header=BB260_424 Depth=1
	s_or_b64 exec, exec, s[18:19]
.LBB260_487:                            ;   in Loop: Header=BB260_424 Depth=1
	s_or_b64 exec, exec, s[16:17]
	v_lshrrev_b32_e32 v1, 16, v9
	v_cmp_ne_u16_sdwa s[0:1], v1, v2 src0_sel:BYTE_0 src1_sel:DWORD
	v_mov_b32_e32 v45, 0
	v_mov_b32_e32 v46, 0
	s_and_saveexec_b64 s[16:17], s[0:1]
	s_cbranch_execz .LBB260_493
; %bb.488:                              ;   in Loop: Header=BB260_424 Depth=1
	v_cmp_ne_u16_sdwa s[0:1], v1, s28 src0_sel:BYTE_0 src1_sel:DWORD
	v_mov_b32_e32 v46, 0x8000
	s_and_saveexec_b64 s[18:19], s[0:1]
	s_cbranch_execz .LBB260_492
; %bb.489:                              ;   in Loop: Header=BB260_424 Depth=1
	v_bfe_u32 v47, v9, 16, 7
	v_cmp_ne_u32_e64 s[0:1], s29, v47
	v_mov_b32_e32 v46, 0x7c01
	s_and_saveexec_b64 s[20:21], s[0:1]
	s_cbranch_execz .LBB260_491
; %bb.490:                              ;   in Loop: Header=BB260_424 Depth=1
	v_and_b32_e32 v12, 7, v1
	v_ffbh_u32_e32 v46, v12
	v_min_u32_e32 v46, 32, v46
	v_lshrrev_b32_e32 v35, 3, v47
	v_subrev_u32_e32 v48, 28, v46
	v_sub_u32_e32 v46, 29, v46
	v_cmp_gt_u32_e64 s[0:1], 8, v47
	v_lshlrev_b64 v[48:49], v48, v[1:2]
	v_cndmask_b32_e64 v35, v35, v46, s[0:1]
	v_lshl_add_u32 v35, v35, 10, v28
	v_lshlrev_b32_e32 v1, 8, v1
	v_and_b32_e32 v46, 7, v48
	v_and_b32_e32 v35, 0xfc00, v35
	v_cndmask_b32_e64 v12, v12, v46, s[0:1]
	v_and_or_b32 v1, v1, s30, v35
	v_lshl_or_b32 v46, v12, 7, v1
.LBB260_491:                            ;   in Loop: Header=BB260_424 Depth=1
	s_or_b64 exec, exec, s[20:21]
.LBB260_492:                            ;   in Loop: Header=BB260_424 Depth=1
	s_or_b64 exec, exec, s[18:19]
.LBB260_493:                            ;   in Loop: Header=BB260_424 Depth=1
	s_or_b64 exec, exec, s[16:17]
	v_cmp_lt_u32_e64 s[0:1], s5, v9
	s_and_saveexec_b64 s[16:17], s[0:1]
	s_cbranch_execz .LBB260_499
; %bb.494:                              ;   in Loop: Header=BB260_424 Depth=1
	v_lshrrev_b32_e32 v1, 24, v9
	v_cmp_ne_u32_e64 s[0:1], s28, v1
	v_bfrev_b32_e32 v45, 1
	s_and_saveexec_b64 s[18:19], s[0:1]
	s_cbranch_execz .LBB260_498
; %bb.495:                              ;   in Loop: Header=BB260_424 Depth=1
	v_and_b32_e32 v47, 0x7f, v1
	v_cmp_ne_u32_e64 s[0:1], s29, v47
	v_mov_b32_e32 v45, 0x7c010000
	s_and_saveexec_b64 s[20:21], s[0:1]
	s_cbranch_execz .LBB260_497
; %bb.496:                              ;   in Loop: Header=BB260_424 Depth=1
	v_and_b32_e32 v12, 7, v1
	v_ffbh_u32_e32 v45, v12
	v_min_u32_e32 v45, 32, v45
	v_lshrrev_b32_e32 v35, 3, v47
	v_subrev_u32_e32 v48, 28, v45
	v_sub_u32_e32 v45, 29, v45
	v_cmp_gt_u32_e64 s[0:1], 8, v47
	v_lshlrev_b64 v[48:49], v48, v[1:2]
	v_cndmask_b32_e64 v35, v35, v45, s[0:1]
	v_lshlrev_b32_e32 v1, 8, v1
	v_lshl_add_u32 v35, v35, 10, v28
	v_and_b32_e32 v45, 7, v48
	v_and_or_b32 v1, v1, s30, v35
	v_cndmask_b32_e64 v12, v12, v45, s[0:1]
	v_lshlrev_b32_e32 v1, 16, v1
	v_lshl_or_b32 v45, v12, 23, v1
.LBB260_497:                            ;   in Loop: Header=BB260_424 Depth=1
	s_or_b64 exec, exec, s[20:21]
.LBB260_498:                            ;   in Loop: Header=BB260_424 Depth=1
	s_or_b64 exec, exec, s[18:19]
.LBB260_499:                            ;   in Loop: Header=BB260_424 Depth=1
	s_or_b64 exec, exec, s[16:17]
	v_mov_b32_e32 v1, v10
	v_cmp_ne_u16_sdwa s[0:1], v10, v2 src0_sel:BYTE_0 src1_sel:DWORD
	v_mov_b32_e32 v47, 0
	v_mov_b32_e32 v48, 0
	s_and_saveexec_b64 s[16:17], s[0:1]
	s_cbranch_execz .LBB260_505
; %bb.500:                              ;   in Loop: Header=BB260_424 Depth=1
	v_cmp_ne_u16_sdwa s[0:1], v10, s28 src0_sel:BYTE_0 src1_sel:DWORD
	v_mov_b32_e32 v48, 0x8000
	s_and_saveexec_b64 s[18:19], s[0:1]
	s_cbranch_execz .LBB260_504
; %bb.501:                              ;   in Loop: Header=BB260_424 Depth=1
	v_and_b32_e32 v49, 0x7f, v10
	v_cmp_ne_u32_e64 s[0:1], s29, v49
	v_mov_b32_e32 v48, 0x7c01
	s_and_saveexec_b64 s[20:21], s[0:1]
	s_cbranch_execz .LBB260_503
; %bb.502:                              ;   in Loop: Header=BB260_424 Depth=1
	v_and_b32_e32 v12, 7, v10
	v_ffbh_u32_e32 v48, v12
	v_min_u32_e32 v48, 32, v48
	v_lshrrev_b32_e32 v35, 3, v49
	v_subrev_u32_e32 v50, 28, v48
	v_sub_u32_e32 v48, 29, v48
	v_cmp_gt_u32_e64 s[0:1], 8, v49
	v_lshlrev_b64 v[50:51], v50, v[1:2]
	v_cndmask_b32_e64 v35, v35, v48, s[0:1]
	v_lshl_add_u32 v35, v35, 10, v28
	v_lshlrev_b32_e32 v48, 8, v10
	v_and_b32_e32 v49, 7, v50
	v_and_b32_e32 v35, 0xfc00, v35
	v_cndmask_b32_e64 v12, v12, v49, s[0:1]
	v_and_or_b32 v35, v48, s30, v35
	v_lshl_or_b32 v48, v12, 7, v35
.LBB260_503:                            ;   in Loop: Header=BB260_424 Depth=1
	s_or_b64 exec, exec, s[20:21]
.LBB260_504:                            ;   in Loop: Header=BB260_424 Depth=1
	s_or_b64 exec, exec, s[18:19]
.LBB260_505:                            ;   in Loop: Header=BB260_424 Depth=1
	s_or_b64 exec, exec, s[16:17]
	v_lshrrev_b16_e32 v1, 8, v1
	v_cmp_ne_u16_e64 s[0:1], 0, v1
	v_mov_b32_e32 v49, 0
	s_and_saveexec_b64 s[16:17], s[0:1]
	s_cbranch_execz .LBB260_511
; %bb.506:                              ;   in Loop: Header=BB260_424 Depth=1
	v_cmp_ne_u16_e64 s[0:1], s28, v1
	v_bfrev_b32_e32 v49, 1
	s_and_saveexec_b64 s[18:19], s[0:1]
	s_cbranch_execz .LBB260_510
; %bb.507:                              ;   in Loop: Header=BB260_424 Depth=1
	v_and_b32_e32 v50, 0x7f, v1
	v_cmp_ne_u32_e64 s[0:1], s29, v50
	v_mov_b32_e32 v49, 0x7c010000
	s_and_saveexec_b64 s[20:21], s[0:1]
	s_cbranch_execz .LBB260_509
; %bb.508:                              ;   in Loop: Header=BB260_424 Depth=1
	v_and_b32_e32 v12, 7, v1
	v_ffbh_u32_e32 v49, v12
	v_min_u32_e32 v49, 32, v49
	v_lshrrev_b32_e32 v35, 3, v50
	v_subrev_u32_e32 v51, 28, v49
	v_sub_u32_e32 v49, 29, v49
	v_cmp_gt_u32_e64 s[0:1], 8, v50
	v_lshlrev_b64 v[51:52], v51, v[1:2]
	v_cndmask_b32_e64 v35, v35, v49, s[0:1]
	v_lshlrev_b32_e32 v1, 8, v1
	v_lshl_add_u32 v35, v35, 10, v28
	v_and_b32_e32 v49, 7, v51
	v_and_or_b32 v1, v1, s30, v35
	v_cndmask_b32_e64 v12, v12, v49, s[0:1]
	v_lshlrev_b32_e32 v1, 16, v1
	v_lshl_or_b32 v49, v12, 23, v1
.LBB260_509:                            ;   in Loop: Header=BB260_424 Depth=1
	s_or_b64 exec, exec, s[20:21]
.LBB260_510:                            ;   in Loop: Header=BB260_424 Depth=1
	s_or_b64 exec, exec, s[18:19]
.LBB260_511:                            ;   in Loop: Header=BB260_424 Depth=1
	s_or_b64 exec, exec, s[16:17]
	v_lshrrev_b32_e32 v1, 16, v10
	v_cmp_ne_u16_sdwa s[0:1], v1, v2 src0_sel:BYTE_0 src1_sel:DWORD
	s_and_saveexec_b64 s[16:17], s[0:1]
	s_cbranch_execz .LBB260_517
; %bb.512:                              ;   in Loop: Header=BB260_424 Depth=1
	v_cmp_ne_u16_sdwa s[0:1], v1, s28 src0_sel:BYTE_0 src1_sel:DWORD
	v_mov_b32_e32 v47, 0x8000
	s_and_saveexec_b64 s[18:19], s[0:1]
	s_cbranch_execz .LBB260_516
; %bb.513:                              ;   in Loop: Header=BB260_424 Depth=1
	v_bfe_u32 v50, v10, 16, 7
	v_cmp_ne_u32_e64 s[0:1], s29, v50
	v_mov_b32_e32 v47, 0x7c01
	s_and_saveexec_b64 s[20:21], s[0:1]
	s_cbranch_execz .LBB260_515
; %bb.514:                              ;   in Loop: Header=BB260_424 Depth=1
	v_and_b32_e32 v12, 7, v1
	v_ffbh_u32_e32 v47, v12
	v_min_u32_e32 v47, 32, v47
	v_lshrrev_b32_e32 v35, 3, v50
	v_subrev_u32_e32 v51, 28, v47
	v_sub_u32_e32 v47, 29, v47
	v_cmp_gt_u32_e64 s[0:1], 8, v50
	v_lshlrev_b64 v[51:52], v51, v[1:2]
	v_cndmask_b32_e64 v35, v35, v47, s[0:1]
	v_lshl_add_u32 v35, v35, 10, v28
	v_lshlrev_b32_e32 v1, 8, v1
	v_and_b32_e32 v47, 7, v51
	v_and_b32_e32 v35, 0xfc00, v35
	v_cndmask_b32_e64 v12, v12, v47, s[0:1]
	v_and_or_b32 v1, v1, s30, v35
	v_lshl_or_b32 v47, v12, 7, v1
.LBB260_515:                            ;   in Loop: Header=BB260_424 Depth=1
	s_or_b64 exec, exec, s[20:21]
.LBB260_516:                            ;   in Loop: Header=BB260_424 Depth=1
	s_or_b64 exec, exec, s[18:19]
.LBB260_517:                            ;   in Loop: Header=BB260_424 Depth=1
	s_or_b64 exec, exec, s[16:17]
	v_cmp_lt_u64_e64 s[0:1], s[4:5], v[9:10]
	v_mov_b32_e32 v9, 0
	s_and_saveexec_b64 s[16:17], s[0:1]
	s_cbranch_execz .LBB260_523
; %bb.518:                              ;   in Loop: Header=BB260_424 Depth=1
	v_lshrrev_b32_e32 v1, 24, v10
	v_cmp_ne_u32_e64 s[0:1], s28, v1
	v_bfrev_b32_e32 v9, 1
	s_and_saveexec_b64 s[18:19], s[0:1]
	s_cbranch_execz .LBB260_522
; %bb.519:                              ;   in Loop: Header=BB260_424 Depth=1
	v_and_b32_e32 v10, 0x7f, v1
	v_cmp_ne_u32_e64 s[0:1], s29, v10
	v_mov_b32_e32 v9, 0x7c010000
	s_and_saveexec_b64 s[20:21], s[0:1]
	s_cbranch_execz .LBB260_521
; %bb.520:                              ;   in Loop: Header=BB260_424 Depth=1
	v_and_b32_e32 v9, 7, v1
	v_ffbh_u32_e32 v35, v9
	v_min_u32_e32 v35, 32, v35
	v_lshrrev_b32_e32 v12, 3, v10
	v_subrev_u32_e32 v50, 28, v35
	v_sub_u32_e32 v35, 29, v35
	v_cmp_gt_u32_e64 s[0:1], 8, v10
	v_lshlrev_b64 v[50:51], v50, v[1:2]
	v_cndmask_b32_e64 v10, v12, v35, s[0:1]
	v_lshlrev_b32_e32 v1, 8, v1
	v_lshl_add_u32 v10, v10, 10, v28
	v_and_b32_e32 v12, 7, v50
	v_and_or_b32 v1, v1, s30, v10
	v_cndmask_b32_e64 v9, v9, v12, s[0:1]
	v_lshlrev_b32_e32 v1, 16, v1
	v_lshl_or_b32 v9, v9, 23, v1
.LBB260_521:                            ;   in Loop: Header=BB260_424 Depth=1
	s_or_b64 exec, exec, s[20:21]
.LBB260_522:                            ;   in Loop: Header=BB260_424 Depth=1
	s_or_b64 exec, exec, s[18:19]
.LBB260_523:                            ;   in Loop: Header=BB260_424 Depth=1
	s_or_b64 exec, exec, s[16:17]
	s_waitcnt vmcnt(0)
	v_fma_mixlo_f16 v12, v0, v43, 0 op_sel:[0,1,0] op_sel_hi:[0,1,0]
	v_lshlrev_b32_e32 v50, 16, v12
	v_or_b32_e32 v12, v49, v48
	v_fma_mixlo_f16 v10, v0, v45, 0 op_sel:[0,1,0] op_sel_hi:[0,1,0]
	v_fma_mixlo_f16 v12, v0, v12, 0 op_sel_hi:[0,1,0]
	v_or_b32_e32 v1, v45, v46
	v_lshlrev_b32_e32 v45, 16, v10
	v_or_b32_e32 v10, v43, v44
	v_and_b32_e32 v48, 0xffff, v12
	v_or_b32_e32 v12, v9, v47
	v_fma_mixlo_f16 v1, v0, v1, 0 op_sel_hi:[0,1,0]
	v_fma_mixlo_f16 v10, v0, v10, 0 op_sel_hi:[0,1,0]
	v_fma_mixlo_f16 v35, v0, v49, 0 op_sel:[0,1,0] op_sel_hi:[0,1,0]
	v_fma_mixlo_f16 v12, v0, v12, 0 op_sel_hi:[0,1,0]
	v_fma_mixlo_f16 v0, v0, v9, 0 op_sel:[0,1,0] op_sel_hi:[0,1,0]
	v_and_b32_e32 v46, 0xffff, v1
	v_and_b32_e32 v51, 0xffff, v10
	v_lshlrev_b32_e32 v44, 16, v35
	v_lshlrev_b32_e32 v0, 16, v0
	v_and_b32_e32 v9, 0xffff, v12
	v_or_b32_e32 v1, v45, v46
	v_or_b32_e32 v10, v50, v51
	;; [unrolled: 1-line block ×4, first 2 shown]
	s_and_saveexec_b64 s[16:17], vcc
	s_cbranch_execz .LBB260_525
; %bb.524:                              ;   in Loop: Header=BB260_424 Depth=1
	v_cmp_gt_i32_e64 s[0:1], s33, v29
	v_cndmask_b32_e64 v1, 0, v51, s[0:1]
	v_cmp_gt_i32_e64 s[0:1], s33, v36
	v_cndmask_b32_e64 v10, 0, v50, s[0:1]
	v_cmp_gt_i32_e64 s[0:1], s33, v33
	v_or_b32_e32 v10, v10, v1
	v_cndmask_b32_e64 v1, 0, v46, s[0:1]
	v_cmp_gt_i32_e64 s[0:1], s33, v34
	v_cndmask_b32_e64 v12, 0, v45, s[0:1]
	v_cmp_gt_i32_e64 s[0:1], s33, v26
	v_or_b32_e32 v1, v12, v1
	v_cndmask_b32_e64 v12, 0, v48, s[0:1]
	v_cmp_gt_i32_e64 s[0:1], s33, v32
	v_cndmask_b32_e64 v35, 0, v44, s[0:1]
	v_cmp_gt_i32_e64 s[0:1], s33, v31
	;; [unrolled: 2-line block ×3, first 2 shown]
	v_cndmask_b32_e64 v0, 0, v0, s[0:1]
	v_or_b32_e32 v43, v35, v12
	v_or_b32_e32 v47, v0, v9
.LBB260_525:                            ;   in Loop: Header=BB260_424 Depth=1
	s_or_b64 exec, exec, s[16:17]
	;;#ASMSTART
	v_pk_mul_f16 v0, v40, v10;

	;;#ASMEND
	;;#ASMSTART
	v_pk_mul_f16 v1, v39, v1;

	;;#ASMEND
	;; [unrolled: 4-line block ×4, first 2 shown]
	;;#ASMSTART
	v_pk_add_f16 v0, v0, v1;

	;;#ASMEND
	;;#ASMSTART
	v_pk_add_f16 v0, v0, v9;

	;;#ASMEND
	;; [unrolled: 4-line block ×3, first 2 shown]
	v_lshrrev_b32_e32 v1, 16, v0
	v_and_b32_e32 v0, 0xffff, v0
	;;#ASMSTART
	v_cvt_f32_f16 v43, v0;
	;;#ASMEND
	;;#ASMSTART
	v_cvt_f32_f16 v44, v1;
	;;#ASMEND
	global_load_dwordx2 v[9:10], v[7:8], off offset:1024
	v_mov_b32_e32 v45, 0
	global_load_dword v0, v45, s[14:15]
	v_mov_b32_e32 v46, 0
	s_waitcnt vmcnt(1)
	v_cmp_ne_u16_sdwa s[0:1], v9, v2 src0_sel:BYTE_0 src1_sel:DWORD
	s_and_saveexec_b64 s[16:17], s[0:1]
	s_cbranch_execz .LBB260_531
; %bb.526:                              ;   in Loop: Header=BB260_424 Depth=1
	v_cmp_ne_u16_sdwa s[0:1], v9, s28 src0_sel:BYTE_0 src1_sel:DWORD
	v_mov_b32_e32 v46, 0x8000
	s_and_saveexec_b64 s[18:19], s[0:1]
	s_cbranch_execz .LBB260_530
; %bb.527:                              ;   in Loop: Header=BB260_424 Depth=1
	v_and_b32_e32 v1, 0x7f, v9
	v_cmp_ne_u32_e64 s[0:1], s29, v1
	v_mov_b32_e32 v46, 0x7c01
	s_and_saveexec_b64 s[20:21], s[0:1]
	s_cbranch_execz .LBB260_529
; %bb.528:                              ;   in Loop: Header=BB260_424 Depth=1
	v_and_b32_e32 v12, 7, v9
	v_ffbh_u32_e32 v46, v12
	v_min_u32_e32 v48, 32, v46
	v_subrev_u32_e32 v46, 28, v48
	v_lshlrev_b64 v[46:47], v46, v[9:10]
	v_lshrrev_b32_e32 v35, 3, v1
	v_sub_u32_e32 v47, 29, v48
	v_cmp_gt_u32_e64 s[0:1], 8, v1
	v_cndmask_b32_e64 v1, v35, v47, s[0:1]
	v_lshl_add_u32 v1, v1, 10, v28
	v_lshlrev_b32_e32 v35, 8, v9
	v_and_b32_e32 v46, 7, v46
	v_and_b32_e32 v1, 0xfc00, v1
	v_cndmask_b32_e64 v12, v12, v46, s[0:1]
	v_and_or_b32 v1, v35, s30, v1
	v_lshl_or_b32 v46, v12, 7, v1
.LBB260_529:                            ;   in Loop: Header=BB260_424 Depth=1
	s_or_b64 exec, exec, s[20:21]
.LBB260_530:                            ;   in Loop: Header=BB260_424 Depth=1
	s_or_b64 exec, exec, s[18:19]
.LBB260_531:                            ;   in Loop: Header=BB260_424 Depth=1
	s_or_b64 exec, exec, s[16:17]
	v_lshrrev_b16_e32 v1, 8, v9
	v_cmp_ne_u16_e64 s[0:1], 0, v1
	s_and_saveexec_b64 s[16:17], s[0:1]
	s_cbranch_execz .LBB260_537
; %bb.532:                              ;   in Loop: Header=BB260_424 Depth=1
	v_cmp_ne_u16_e64 s[0:1], s28, v1
	v_bfrev_b32_e32 v45, 1
	s_and_saveexec_b64 s[18:19], s[0:1]
	s_cbranch_execz .LBB260_536
; %bb.533:                              ;   in Loop: Header=BB260_424 Depth=1
	v_and_b32_e32 v47, 0x7f, v1
	v_cmp_ne_u32_e64 s[0:1], s29, v47
	v_mov_b32_e32 v45, 0x7c010000
	s_and_saveexec_b64 s[20:21], s[0:1]
	s_cbranch_execz .LBB260_535
; %bb.534:                              ;   in Loop: Header=BB260_424 Depth=1
	v_and_b32_e32 v12, 7, v1
	v_ffbh_u32_e32 v45, v12
	v_min_u32_e32 v45, 32, v45
	v_lshrrev_b32_e32 v35, 3, v47
	v_subrev_u32_e32 v48, 28, v45
	v_sub_u32_e32 v45, 29, v45
	v_cmp_gt_u32_e64 s[0:1], 8, v47
	v_lshlrev_b64 v[48:49], v48, v[1:2]
	v_cndmask_b32_e64 v35, v35, v45, s[0:1]
	v_lshlrev_b32_e32 v1, 8, v1
	v_lshl_add_u32 v35, v35, 10, v28
	v_and_b32_e32 v45, 7, v48
	v_and_or_b32 v1, v1, s30, v35
	v_cndmask_b32_e64 v12, v12, v45, s[0:1]
	v_lshlrev_b32_e32 v1, 16, v1
	v_lshl_or_b32 v45, v12, 23, v1
.LBB260_535:                            ;   in Loop: Header=BB260_424 Depth=1
	s_or_b64 exec, exec, s[20:21]
.LBB260_536:                            ;   in Loop: Header=BB260_424 Depth=1
	s_or_b64 exec, exec, s[18:19]
.LBB260_537:                            ;   in Loop: Header=BB260_424 Depth=1
	s_or_b64 exec, exec, s[16:17]
	v_lshrrev_b32_e32 v1, 16, v9
	v_cmp_ne_u16_sdwa s[0:1], v1, v2 src0_sel:BYTE_0 src1_sel:DWORD
	v_mov_b32_e32 v47, 0
	v_mov_b32_e32 v48, 0
	s_and_saveexec_b64 s[16:17], s[0:1]
	s_cbranch_execz .LBB260_543
; %bb.538:                              ;   in Loop: Header=BB260_424 Depth=1
	v_cmp_ne_u16_sdwa s[0:1], v1, s28 src0_sel:BYTE_0 src1_sel:DWORD
	v_mov_b32_e32 v48, 0x8000
	s_and_saveexec_b64 s[18:19], s[0:1]
	s_cbranch_execz .LBB260_542
; %bb.539:                              ;   in Loop: Header=BB260_424 Depth=1
	v_bfe_u32 v49, v9, 16, 7
	v_cmp_ne_u32_e64 s[0:1], s29, v49
	v_mov_b32_e32 v48, 0x7c01
	s_and_saveexec_b64 s[20:21], s[0:1]
	s_cbranch_execz .LBB260_541
; %bb.540:                              ;   in Loop: Header=BB260_424 Depth=1
	v_and_b32_e32 v12, 7, v1
	v_ffbh_u32_e32 v48, v12
	v_min_u32_e32 v48, 32, v48
	v_lshrrev_b32_e32 v35, 3, v49
	v_subrev_u32_e32 v50, 28, v48
	v_sub_u32_e32 v48, 29, v48
	v_cmp_gt_u32_e64 s[0:1], 8, v49
	v_lshlrev_b64 v[50:51], v50, v[1:2]
	v_cndmask_b32_e64 v35, v35, v48, s[0:1]
	v_lshl_add_u32 v35, v35, 10, v28
	v_lshlrev_b32_e32 v1, 8, v1
	v_and_b32_e32 v48, 7, v50
	v_and_b32_e32 v35, 0xfc00, v35
	v_cndmask_b32_e64 v12, v12, v48, s[0:1]
	v_and_or_b32 v1, v1, s30, v35
	v_lshl_or_b32 v48, v12, 7, v1
.LBB260_541:                            ;   in Loop: Header=BB260_424 Depth=1
	s_or_b64 exec, exec, s[20:21]
.LBB260_542:                            ;   in Loop: Header=BB260_424 Depth=1
	s_or_b64 exec, exec, s[18:19]
.LBB260_543:                            ;   in Loop: Header=BB260_424 Depth=1
	s_or_b64 exec, exec, s[16:17]
	v_cmp_lt_u32_e64 s[0:1], s5, v9
	s_and_saveexec_b64 s[16:17], s[0:1]
	s_cbranch_execz .LBB260_549
; %bb.544:                              ;   in Loop: Header=BB260_424 Depth=1
	v_lshrrev_b32_e32 v1, 24, v9
	v_cmp_ne_u32_e64 s[0:1], s28, v1
	v_bfrev_b32_e32 v47, 1
	s_and_saveexec_b64 s[18:19], s[0:1]
	s_cbranch_execz .LBB260_548
; %bb.545:                              ;   in Loop: Header=BB260_424 Depth=1
	v_and_b32_e32 v49, 0x7f, v1
	v_cmp_ne_u32_e64 s[0:1], s29, v49
	v_mov_b32_e32 v47, 0x7c010000
	s_and_saveexec_b64 s[20:21], s[0:1]
	s_cbranch_execz .LBB260_547
; %bb.546:                              ;   in Loop: Header=BB260_424 Depth=1
	v_and_b32_e32 v12, 7, v1
	v_ffbh_u32_e32 v47, v12
	v_min_u32_e32 v47, 32, v47
	v_lshrrev_b32_e32 v35, 3, v49
	v_subrev_u32_e32 v50, 28, v47
	v_sub_u32_e32 v47, 29, v47
	v_cmp_gt_u32_e64 s[0:1], 8, v49
	v_lshlrev_b64 v[50:51], v50, v[1:2]
	v_cndmask_b32_e64 v35, v35, v47, s[0:1]
	v_lshlrev_b32_e32 v1, 8, v1
	v_lshl_add_u32 v35, v35, 10, v28
	v_and_b32_e32 v47, 7, v50
	v_and_or_b32 v1, v1, s30, v35
	v_cndmask_b32_e64 v12, v12, v47, s[0:1]
	v_lshlrev_b32_e32 v1, 16, v1
	v_lshl_or_b32 v47, v12, 23, v1
.LBB260_547:                            ;   in Loop: Header=BB260_424 Depth=1
	s_or_b64 exec, exec, s[20:21]
.LBB260_548:                            ;   in Loop: Header=BB260_424 Depth=1
	s_or_b64 exec, exec, s[18:19]
.LBB260_549:                            ;   in Loop: Header=BB260_424 Depth=1
	s_or_b64 exec, exec, s[16:17]
	v_mov_b32_e32 v1, v10
	v_cmp_ne_u16_sdwa s[0:1], v10, v2 src0_sel:BYTE_0 src1_sel:DWORD
	v_mov_b32_e32 v49, 0
	v_mov_b32_e32 v50, 0
	s_and_saveexec_b64 s[16:17], s[0:1]
	s_cbranch_execz .LBB260_555
; %bb.550:                              ;   in Loop: Header=BB260_424 Depth=1
	v_cmp_ne_u16_sdwa s[0:1], v10, s28 src0_sel:BYTE_0 src1_sel:DWORD
	v_mov_b32_e32 v50, 0x8000
	s_and_saveexec_b64 s[18:19], s[0:1]
	s_cbranch_execz .LBB260_554
; %bb.551:                              ;   in Loop: Header=BB260_424 Depth=1
	v_and_b32_e32 v51, 0x7f, v10
	v_cmp_ne_u32_e64 s[0:1], s29, v51
	v_mov_b32_e32 v50, 0x7c01
	s_and_saveexec_b64 s[20:21], s[0:1]
	s_cbranch_execz .LBB260_553
; %bb.552:                              ;   in Loop: Header=BB260_424 Depth=1
	v_and_b32_e32 v12, 7, v10
	v_ffbh_u32_e32 v50, v12
	v_min_u32_e32 v50, 32, v50
	v_lshrrev_b32_e32 v35, 3, v51
	v_subrev_u32_e32 v52, 28, v50
	v_sub_u32_e32 v50, 29, v50
	v_cmp_gt_u32_e64 s[0:1], 8, v51
	v_lshlrev_b64 v[52:53], v52, v[1:2]
	v_cndmask_b32_e64 v35, v35, v50, s[0:1]
	v_lshl_add_u32 v35, v35, 10, v28
	v_lshlrev_b32_e32 v50, 8, v10
	v_and_b32_e32 v51, 7, v52
	v_and_b32_e32 v35, 0xfc00, v35
	v_cndmask_b32_e64 v12, v12, v51, s[0:1]
	v_and_or_b32 v35, v50, s30, v35
	v_lshl_or_b32 v50, v12, 7, v35
.LBB260_553:                            ;   in Loop: Header=BB260_424 Depth=1
	s_or_b64 exec, exec, s[20:21]
.LBB260_554:                            ;   in Loop: Header=BB260_424 Depth=1
	s_or_b64 exec, exec, s[18:19]
.LBB260_555:                            ;   in Loop: Header=BB260_424 Depth=1
	s_or_b64 exec, exec, s[16:17]
	v_lshrrev_b16_e32 v1, 8, v1
	v_cmp_ne_u16_e64 s[0:1], 0, v1
	v_mov_b32_e32 v51, 0
	s_and_saveexec_b64 s[16:17], s[0:1]
	s_cbranch_execz .LBB260_561
; %bb.556:                              ;   in Loop: Header=BB260_424 Depth=1
	v_cmp_ne_u16_e64 s[0:1], s28, v1
	v_bfrev_b32_e32 v51, 1
	s_and_saveexec_b64 s[18:19], s[0:1]
	s_cbranch_execz .LBB260_560
; %bb.557:                              ;   in Loop: Header=BB260_424 Depth=1
	v_and_b32_e32 v52, 0x7f, v1
	v_cmp_ne_u32_e64 s[0:1], s29, v52
	v_mov_b32_e32 v51, 0x7c010000
	s_and_saveexec_b64 s[20:21], s[0:1]
	s_cbranch_execz .LBB260_559
; %bb.558:                              ;   in Loop: Header=BB260_424 Depth=1
	v_and_b32_e32 v12, 7, v1
	v_ffbh_u32_e32 v51, v12
	v_min_u32_e32 v51, 32, v51
	v_lshrrev_b32_e32 v35, 3, v52
	v_subrev_u32_e32 v53, 28, v51
	v_sub_u32_e32 v51, 29, v51
	v_cmp_gt_u32_e64 s[0:1], 8, v52
	v_lshlrev_b64 v[53:54], v53, v[1:2]
	v_cndmask_b32_e64 v35, v35, v51, s[0:1]
	v_lshlrev_b32_e32 v1, 8, v1
	v_lshl_add_u32 v35, v35, 10, v28
	v_and_b32_e32 v51, 7, v53
	v_and_or_b32 v1, v1, s30, v35
	v_cndmask_b32_e64 v12, v12, v51, s[0:1]
	v_lshlrev_b32_e32 v1, 16, v1
	v_lshl_or_b32 v51, v12, 23, v1
.LBB260_559:                            ;   in Loop: Header=BB260_424 Depth=1
	s_or_b64 exec, exec, s[20:21]
.LBB260_560:                            ;   in Loop: Header=BB260_424 Depth=1
	s_or_b64 exec, exec, s[18:19]
.LBB260_561:                            ;   in Loop: Header=BB260_424 Depth=1
	s_or_b64 exec, exec, s[16:17]
	v_lshrrev_b32_e32 v1, 16, v10
	v_cmp_ne_u16_sdwa s[0:1], v1, v2 src0_sel:BYTE_0 src1_sel:DWORD
	s_and_saveexec_b64 s[16:17], s[0:1]
	s_cbranch_execz .LBB260_567
; %bb.562:                              ;   in Loop: Header=BB260_424 Depth=1
	v_cmp_ne_u16_sdwa s[0:1], v1, s28 src0_sel:BYTE_0 src1_sel:DWORD
	v_mov_b32_e32 v49, 0x8000
	s_and_saveexec_b64 s[18:19], s[0:1]
	s_cbranch_execz .LBB260_566
; %bb.563:                              ;   in Loop: Header=BB260_424 Depth=1
	v_bfe_u32 v52, v10, 16, 7
	v_cmp_ne_u32_e64 s[0:1], s29, v52
	v_mov_b32_e32 v49, 0x7c01
	s_and_saveexec_b64 s[20:21], s[0:1]
	s_cbranch_execz .LBB260_565
; %bb.564:                              ;   in Loop: Header=BB260_424 Depth=1
	v_and_b32_e32 v12, 7, v1
	v_ffbh_u32_e32 v49, v12
	v_min_u32_e32 v49, 32, v49
	v_lshrrev_b32_e32 v35, 3, v52
	v_subrev_u32_e32 v53, 28, v49
	v_sub_u32_e32 v49, 29, v49
	v_cmp_gt_u32_e64 s[0:1], 8, v52
	v_lshlrev_b64 v[53:54], v53, v[1:2]
	v_cndmask_b32_e64 v35, v35, v49, s[0:1]
	v_lshl_add_u32 v35, v35, 10, v28
	v_lshlrev_b32_e32 v1, 8, v1
	v_and_b32_e32 v49, 7, v53
	v_and_b32_e32 v35, 0xfc00, v35
	v_cndmask_b32_e64 v12, v12, v49, s[0:1]
	v_and_or_b32 v1, v1, s30, v35
	v_lshl_or_b32 v49, v12, 7, v1
.LBB260_565:                            ;   in Loop: Header=BB260_424 Depth=1
	s_or_b64 exec, exec, s[20:21]
.LBB260_566:                            ;   in Loop: Header=BB260_424 Depth=1
	s_or_b64 exec, exec, s[18:19]
.LBB260_567:                            ;   in Loop: Header=BB260_424 Depth=1
	s_or_b64 exec, exec, s[16:17]
	v_cmp_lt_u64_e64 s[0:1], s[4:5], v[9:10]
	v_mov_b32_e32 v9, 0
	s_and_saveexec_b64 s[16:17], s[0:1]
	s_cbranch_execz .LBB260_573
; %bb.568:                              ;   in Loop: Header=BB260_424 Depth=1
	v_lshrrev_b32_e32 v1, 24, v10
	v_cmp_ne_u32_e64 s[0:1], s28, v1
	v_bfrev_b32_e32 v9, 1
	s_and_saveexec_b64 s[18:19], s[0:1]
	s_cbranch_execz .LBB260_572
; %bb.569:                              ;   in Loop: Header=BB260_424 Depth=1
	v_and_b32_e32 v10, 0x7f, v1
	v_cmp_ne_u32_e64 s[0:1], s29, v10
	v_mov_b32_e32 v9, 0x7c010000
	s_and_saveexec_b64 s[20:21], s[0:1]
	s_cbranch_execz .LBB260_571
; %bb.570:                              ;   in Loop: Header=BB260_424 Depth=1
	v_and_b32_e32 v9, 7, v1
	v_ffbh_u32_e32 v35, v9
	v_min_u32_e32 v35, 32, v35
	v_lshrrev_b32_e32 v12, 3, v10
	v_subrev_u32_e32 v52, 28, v35
	v_sub_u32_e32 v35, 29, v35
	v_cmp_gt_u32_e64 s[0:1], 8, v10
	v_lshlrev_b64 v[52:53], v52, v[1:2]
	v_cndmask_b32_e64 v10, v12, v35, s[0:1]
	v_lshlrev_b32_e32 v1, 8, v1
	v_lshl_add_u32 v10, v10, 10, v28
	v_and_b32_e32 v12, 7, v52
	v_and_or_b32 v1, v1, s30, v10
	v_cndmask_b32_e64 v9, v9, v12, s[0:1]
	v_lshlrev_b32_e32 v1, 16, v1
	v_lshl_or_b32 v9, v9, 23, v1
.LBB260_571:                            ;   in Loop: Header=BB260_424 Depth=1
	s_or_b64 exec, exec, s[20:21]
.LBB260_572:                            ;   in Loop: Header=BB260_424 Depth=1
	s_or_b64 exec, exec, s[18:19]
.LBB260_573:                            ;   in Loop: Header=BB260_424 Depth=1
	s_or_b64 exec, exec, s[16:17]
	s_waitcnt vmcnt(0)
	v_fma_mixlo_f16 v12, v0, v45, 0 op_sel:[0,1,0] op_sel_hi:[0,1,0]
	v_lshlrev_b32_e32 v52, 16, v12
	v_or_b32_e32 v12, v51, v50
	v_fma_mixlo_f16 v10, v0, v47, 0 op_sel:[0,1,0] op_sel_hi:[0,1,0]
	v_fma_mixlo_f16 v12, v0, v12, 0 op_sel_hi:[0,1,0]
	v_or_b32_e32 v1, v47, v48
	v_lshlrev_b32_e32 v47, 16, v10
	v_or_b32_e32 v10, v45, v46
	v_and_b32_e32 v50, 0xffff, v12
	v_or_b32_e32 v12, v9, v49
	v_fma_mixlo_f16 v1, v0, v1, 0 op_sel_hi:[0,1,0]
	v_fma_mixlo_f16 v10, v0, v10, 0 op_sel_hi:[0,1,0]
	v_fma_mixlo_f16 v35, v0, v51, 0 op_sel:[0,1,0] op_sel_hi:[0,1,0]
	v_fma_mixlo_f16 v12, v0, v12, 0 op_sel_hi:[0,1,0]
	v_fma_mixlo_f16 v0, v0, v9, 0 op_sel:[0,1,0] op_sel_hi:[0,1,0]
	v_and_b32_e32 v48, 0xffff, v1
	v_and_b32_e32 v53, 0xffff, v10
	v_lshlrev_b32_e32 v46, 16, v35
	v_lshlrev_b32_e32 v0, 16, v0
	v_and_b32_e32 v9, 0xffff, v12
	v_or_b32_e32 v1, v47, v48
	v_or_b32_e32 v10, v52, v53
	v_or_b32_e32 v45, v46, v50
	v_or_b32_e32 v49, v0, v9
	s_and_saveexec_b64 s[16:17], vcc
	s_cbranch_execz .LBB260_575
; %bb.574:                              ;   in Loop: Header=BB260_424 Depth=1
	v_cmp_gt_i32_e64 s[0:1], s33, v29
	v_cndmask_b32_e64 v1, 0, v53, s[0:1]
	v_cmp_gt_i32_e64 s[0:1], s33, v36
	v_cndmask_b32_e64 v10, 0, v52, s[0:1]
	v_cmp_gt_i32_e64 s[0:1], s33, v33
	v_or_b32_e32 v10, v10, v1
	v_cndmask_b32_e64 v1, 0, v48, s[0:1]
	v_cmp_gt_i32_e64 s[0:1], s33, v34
	v_cndmask_b32_e64 v12, 0, v47, s[0:1]
	v_cmp_gt_i32_e64 s[0:1], s33, v26
	v_or_b32_e32 v1, v12, v1
	v_cndmask_b32_e64 v12, 0, v50, s[0:1]
	v_cmp_gt_i32_e64 s[0:1], s33, v32
	v_cndmask_b32_e64 v35, 0, v46, s[0:1]
	v_cmp_gt_i32_e64 s[0:1], s33, v31
	;; [unrolled: 2-line block ×3, first 2 shown]
	v_cndmask_b32_e64 v0, 0, v0, s[0:1]
	v_or_b32_e32 v45, v35, v12
	v_or_b32_e32 v49, v0, v9
.LBB260_575:                            ;   in Loop: Header=BB260_424 Depth=1
	s_or_b64 exec, exec, s[16:17]
	;;#ASMSTART
	v_pk_mul_f16 v0, v40, v10;

	;;#ASMEND
	;;#ASMSTART
	v_pk_mul_f16 v1, v39, v1;

	;;#ASMEND
	;; [unrolled: 4-line block ×4, first 2 shown]
	;;#ASMSTART
	v_pk_add_f16 v0, v0, v1;

	;;#ASMEND
	;;#ASMSTART
	v_pk_add_f16 v0, v0, v9;

	;;#ASMEND
	;; [unrolled: 4-line block ×3, first 2 shown]
	v_lshrrev_b32_e32 v1, 16, v0
	v_and_b32_e32 v0, 0xffff, v0
	;;#ASMSTART
	v_cvt_f32_f16 v45, v0;
	;;#ASMEND
	;;#ASMSTART
	v_cvt_f32_f16 v46, v1;
	;;#ASMEND
	global_load_dwordx2 v[9:10], v[7:8], off offset:1536
	v_mov_b32_e32 v47, 0
	global_load_dword v0, v47, s[14:15]
	v_mov_b32_e32 v48, 0
	s_waitcnt vmcnt(1)
	v_cmp_ne_u16_sdwa s[0:1], v9, v2 src0_sel:BYTE_0 src1_sel:DWORD
	s_and_saveexec_b64 s[16:17], s[0:1]
	s_cbranch_execz .LBB260_581
; %bb.576:                              ;   in Loop: Header=BB260_424 Depth=1
	v_cmp_ne_u16_sdwa s[0:1], v9, s28 src0_sel:BYTE_0 src1_sel:DWORD
	v_mov_b32_e32 v48, 0x8000
	s_and_saveexec_b64 s[18:19], s[0:1]
	s_cbranch_execz .LBB260_580
; %bb.577:                              ;   in Loop: Header=BB260_424 Depth=1
	v_and_b32_e32 v1, 0x7f, v9
	v_cmp_ne_u32_e64 s[0:1], s29, v1
	v_mov_b32_e32 v48, 0x7c01
	s_and_saveexec_b64 s[20:21], s[0:1]
	s_cbranch_execz .LBB260_579
; %bb.578:                              ;   in Loop: Header=BB260_424 Depth=1
	v_and_b32_e32 v12, 7, v9
	v_ffbh_u32_e32 v48, v12
	v_min_u32_e32 v50, 32, v48
	v_subrev_u32_e32 v48, 28, v50
	v_lshlrev_b64 v[48:49], v48, v[9:10]
	v_lshrrev_b32_e32 v35, 3, v1
	v_sub_u32_e32 v49, 29, v50
	v_cmp_gt_u32_e64 s[0:1], 8, v1
	v_cndmask_b32_e64 v1, v35, v49, s[0:1]
	v_lshl_add_u32 v1, v1, 10, v28
	v_lshlrev_b32_e32 v35, 8, v9
	v_and_b32_e32 v48, 7, v48
	v_and_b32_e32 v1, 0xfc00, v1
	v_cndmask_b32_e64 v12, v12, v48, s[0:1]
	v_and_or_b32 v1, v35, s30, v1
	v_lshl_or_b32 v48, v12, 7, v1
.LBB260_579:                            ;   in Loop: Header=BB260_424 Depth=1
	s_or_b64 exec, exec, s[20:21]
.LBB260_580:                            ;   in Loop: Header=BB260_424 Depth=1
	s_or_b64 exec, exec, s[18:19]
.LBB260_581:                            ;   in Loop: Header=BB260_424 Depth=1
	s_or_b64 exec, exec, s[16:17]
	v_lshrrev_b16_e32 v1, 8, v9
	v_cmp_ne_u16_e64 s[0:1], 0, v1
	s_and_saveexec_b64 s[16:17], s[0:1]
	s_cbranch_execz .LBB260_587
; %bb.582:                              ;   in Loop: Header=BB260_424 Depth=1
	v_cmp_ne_u16_e64 s[0:1], s28, v1
	v_bfrev_b32_e32 v47, 1
	s_and_saveexec_b64 s[18:19], s[0:1]
	s_cbranch_execz .LBB260_586
; %bb.583:                              ;   in Loop: Header=BB260_424 Depth=1
	v_and_b32_e32 v49, 0x7f, v1
	v_cmp_ne_u32_e64 s[0:1], s29, v49
	v_mov_b32_e32 v47, 0x7c010000
	s_and_saveexec_b64 s[20:21], s[0:1]
	s_cbranch_execz .LBB260_585
; %bb.584:                              ;   in Loop: Header=BB260_424 Depth=1
	v_and_b32_e32 v12, 7, v1
	v_ffbh_u32_e32 v47, v12
	v_min_u32_e32 v47, 32, v47
	v_lshrrev_b32_e32 v35, 3, v49
	v_subrev_u32_e32 v50, 28, v47
	v_sub_u32_e32 v47, 29, v47
	v_cmp_gt_u32_e64 s[0:1], 8, v49
	v_lshlrev_b64 v[50:51], v50, v[1:2]
	v_cndmask_b32_e64 v35, v35, v47, s[0:1]
	v_lshlrev_b32_e32 v1, 8, v1
	v_lshl_add_u32 v35, v35, 10, v28
	v_and_b32_e32 v47, 7, v50
	v_and_or_b32 v1, v1, s30, v35
	v_cndmask_b32_e64 v12, v12, v47, s[0:1]
	v_lshlrev_b32_e32 v1, 16, v1
	v_lshl_or_b32 v47, v12, 23, v1
.LBB260_585:                            ;   in Loop: Header=BB260_424 Depth=1
	s_or_b64 exec, exec, s[20:21]
.LBB260_586:                            ;   in Loop: Header=BB260_424 Depth=1
	s_or_b64 exec, exec, s[18:19]
.LBB260_587:                            ;   in Loop: Header=BB260_424 Depth=1
	s_or_b64 exec, exec, s[16:17]
	v_lshrrev_b32_e32 v1, 16, v9
	v_cmp_ne_u16_sdwa s[0:1], v1, v2 src0_sel:BYTE_0 src1_sel:DWORD
	v_mov_b32_e32 v49, 0
	v_mov_b32_e32 v50, 0
	s_and_saveexec_b64 s[16:17], s[0:1]
	s_cbranch_execz .LBB260_593
; %bb.588:                              ;   in Loop: Header=BB260_424 Depth=1
	v_cmp_ne_u16_sdwa s[0:1], v1, s28 src0_sel:BYTE_0 src1_sel:DWORD
	v_mov_b32_e32 v50, 0x8000
	s_and_saveexec_b64 s[18:19], s[0:1]
	s_cbranch_execz .LBB260_592
; %bb.589:                              ;   in Loop: Header=BB260_424 Depth=1
	v_bfe_u32 v51, v9, 16, 7
	v_cmp_ne_u32_e64 s[0:1], s29, v51
	v_mov_b32_e32 v50, 0x7c01
	s_and_saveexec_b64 s[20:21], s[0:1]
	s_cbranch_execz .LBB260_591
; %bb.590:                              ;   in Loop: Header=BB260_424 Depth=1
	v_and_b32_e32 v12, 7, v1
	v_ffbh_u32_e32 v50, v12
	v_min_u32_e32 v50, 32, v50
	v_lshrrev_b32_e32 v35, 3, v51
	v_subrev_u32_e32 v52, 28, v50
	v_sub_u32_e32 v50, 29, v50
	v_cmp_gt_u32_e64 s[0:1], 8, v51
	v_lshlrev_b64 v[52:53], v52, v[1:2]
	v_cndmask_b32_e64 v35, v35, v50, s[0:1]
	v_lshl_add_u32 v35, v35, 10, v28
	v_lshlrev_b32_e32 v1, 8, v1
	v_and_b32_e32 v50, 7, v52
	v_and_b32_e32 v35, 0xfc00, v35
	v_cndmask_b32_e64 v12, v12, v50, s[0:1]
	v_and_or_b32 v1, v1, s30, v35
	v_lshl_or_b32 v50, v12, 7, v1
.LBB260_591:                            ;   in Loop: Header=BB260_424 Depth=1
	s_or_b64 exec, exec, s[20:21]
.LBB260_592:                            ;   in Loop: Header=BB260_424 Depth=1
	s_or_b64 exec, exec, s[18:19]
.LBB260_593:                            ;   in Loop: Header=BB260_424 Depth=1
	s_or_b64 exec, exec, s[16:17]
	v_cmp_lt_u32_e64 s[0:1], s5, v9
	s_and_saveexec_b64 s[16:17], s[0:1]
	s_cbranch_execz .LBB260_599
; %bb.594:                              ;   in Loop: Header=BB260_424 Depth=1
	v_lshrrev_b32_e32 v1, 24, v9
	v_cmp_ne_u32_e64 s[0:1], s28, v1
	v_bfrev_b32_e32 v49, 1
	s_and_saveexec_b64 s[18:19], s[0:1]
	s_cbranch_execz .LBB260_598
; %bb.595:                              ;   in Loop: Header=BB260_424 Depth=1
	v_and_b32_e32 v51, 0x7f, v1
	v_cmp_ne_u32_e64 s[0:1], s29, v51
	v_mov_b32_e32 v49, 0x7c010000
	s_and_saveexec_b64 s[20:21], s[0:1]
	s_cbranch_execz .LBB260_597
; %bb.596:                              ;   in Loop: Header=BB260_424 Depth=1
	v_and_b32_e32 v12, 7, v1
	v_ffbh_u32_e32 v49, v12
	v_min_u32_e32 v49, 32, v49
	v_lshrrev_b32_e32 v35, 3, v51
	v_subrev_u32_e32 v52, 28, v49
	v_sub_u32_e32 v49, 29, v49
	v_cmp_gt_u32_e64 s[0:1], 8, v51
	v_lshlrev_b64 v[52:53], v52, v[1:2]
	v_cndmask_b32_e64 v35, v35, v49, s[0:1]
	v_lshlrev_b32_e32 v1, 8, v1
	v_lshl_add_u32 v35, v35, 10, v28
	v_and_b32_e32 v49, 7, v52
	v_and_or_b32 v1, v1, s30, v35
	v_cndmask_b32_e64 v12, v12, v49, s[0:1]
	v_lshlrev_b32_e32 v1, 16, v1
	v_lshl_or_b32 v49, v12, 23, v1
.LBB260_597:                            ;   in Loop: Header=BB260_424 Depth=1
	s_or_b64 exec, exec, s[20:21]
.LBB260_598:                            ;   in Loop: Header=BB260_424 Depth=1
	s_or_b64 exec, exec, s[18:19]
.LBB260_599:                            ;   in Loop: Header=BB260_424 Depth=1
	s_or_b64 exec, exec, s[16:17]
	v_mov_b32_e32 v1, v10
	v_cmp_ne_u16_sdwa s[0:1], v10, v2 src0_sel:BYTE_0 src1_sel:DWORD
	v_mov_b32_e32 v51, 0
	v_mov_b32_e32 v52, 0
	s_and_saveexec_b64 s[16:17], s[0:1]
	s_cbranch_execz .LBB260_605
; %bb.600:                              ;   in Loop: Header=BB260_424 Depth=1
	v_cmp_ne_u16_sdwa s[0:1], v10, s28 src0_sel:BYTE_0 src1_sel:DWORD
	v_mov_b32_e32 v52, 0x8000
	s_and_saveexec_b64 s[18:19], s[0:1]
	s_cbranch_execz .LBB260_604
; %bb.601:                              ;   in Loop: Header=BB260_424 Depth=1
	v_and_b32_e32 v53, 0x7f, v10
	v_cmp_ne_u32_e64 s[0:1], s29, v53
	v_mov_b32_e32 v52, 0x7c01
	s_and_saveexec_b64 s[20:21], s[0:1]
	s_cbranch_execz .LBB260_603
; %bb.602:                              ;   in Loop: Header=BB260_424 Depth=1
	v_and_b32_e32 v12, 7, v10
	v_ffbh_u32_e32 v52, v12
	v_min_u32_e32 v52, 32, v52
	v_lshrrev_b32_e32 v35, 3, v53
	v_subrev_u32_e32 v54, 28, v52
	v_sub_u32_e32 v52, 29, v52
	v_cmp_gt_u32_e64 s[0:1], 8, v53
	v_lshlrev_b64 v[54:55], v54, v[1:2]
	v_cndmask_b32_e64 v35, v35, v52, s[0:1]
	v_lshl_add_u32 v35, v35, 10, v28
	v_lshlrev_b32_e32 v52, 8, v10
	v_and_b32_e32 v53, 7, v54
	v_and_b32_e32 v35, 0xfc00, v35
	v_cndmask_b32_e64 v12, v12, v53, s[0:1]
	v_and_or_b32 v35, v52, s30, v35
	v_lshl_or_b32 v52, v12, 7, v35
.LBB260_603:                            ;   in Loop: Header=BB260_424 Depth=1
	s_or_b64 exec, exec, s[20:21]
.LBB260_604:                            ;   in Loop: Header=BB260_424 Depth=1
	s_or_b64 exec, exec, s[18:19]
.LBB260_605:                            ;   in Loop: Header=BB260_424 Depth=1
	s_or_b64 exec, exec, s[16:17]
	v_lshrrev_b16_e32 v1, 8, v1
	v_cmp_ne_u16_e64 s[0:1], 0, v1
	v_mov_b32_e32 v53, 0
	s_and_saveexec_b64 s[16:17], s[0:1]
	s_cbranch_execz .LBB260_611
; %bb.606:                              ;   in Loop: Header=BB260_424 Depth=1
	v_cmp_ne_u16_e64 s[0:1], s28, v1
	v_bfrev_b32_e32 v53, 1
	s_and_saveexec_b64 s[18:19], s[0:1]
	s_cbranch_execz .LBB260_610
; %bb.607:                              ;   in Loop: Header=BB260_424 Depth=1
	v_and_b32_e32 v54, 0x7f, v1
	v_cmp_ne_u32_e64 s[0:1], s29, v54
	v_mov_b32_e32 v53, 0x7c010000
	s_and_saveexec_b64 s[20:21], s[0:1]
	s_cbranch_execz .LBB260_609
; %bb.608:                              ;   in Loop: Header=BB260_424 Depth=1
	v_and_b32_e32 v12, 7, v1
	v_ffbh_u32_e32 v53, v12
	v_min_u32_e32 v53, 32, v53
	v_lshrrev_b32_e32 v35, 3, v54
	v_subrev_u32_e32 v55, 28, v53
	v_sub_u32_e32 v53, 29, v53
	v_cmp_gt_u32_e64 s[0:1], 8, v54
	v_lshlrev_b64 v[55:56], v55, v[1:2]
	v_cndmask_b32_e64 v35, v35, v53, s[0:1]
	v_lshlrev_b32_e32 v1, 8, v1
	v_lshl_add_u32 v35, v35, 10, v28
	v_and_b32_e32 v53, 7, v55
	v_and_or_b32 v1, v1, s30, v35
	v_cndmask_b32_e64 v12, v12, v53, s[0:1]
	v_lshlrev_b32_e32 v1, 16, v1
	v_lshl_or_b32 v53, v12, 23, v1
.LBB260_609:                            ;   in Loop: Header=BB260_424 Depth=1
	s_or_b64 exec, exec, s[20:21]
.LBB260_610:                            ;   in Loop: Header=BB260_424 Depth=1
	s_or_b64 exec, exec, s[18:19]
.LBB260_611:                            ;   in Loop: Header=BB260_424 Depth=1
	s_or_b64 exec, exec, s[16:17]
	v_lshrrev_b32_e32 v1, 16, v10
	v_cmp_ne_u16_sdwa s[0:1], v1, v2 src0_sel:BYTE_0 src1_sel:DWORD
	s_and_saveexec_b64 s[16:17], s[0:1]
	s_cbranch_execz .LBB260_617
; %bb.612:                              ;   in Loop: Header=BB260_424 Depth=1
	v_cmp_ne_u16_sdwa s[0:1], v1, s28 src0_sel:BYTE_0 src1_sel:DWORD
	v_mov_b32_e32 v51, 0x8000
	s_and_saveexec_b64 s[18:19], s[0:1]
	s_cbranch_execz .LBB260_616
; %bb.613:                              ;   in Loop: Header=BB260_424 Depth=1
	v_bfe_u32 v54, v10, 16, 7
	v_cmp_ne_u32_e64 s[0:1], s29, v54
	v_mov_b32_e32 v51, 0x7c01
	s_and_saveexec_b64 s[20:21], s[0:1]
	s_cbranch_execz .LBB260_615
; %bb.614:                              ;   in Loop: Header=BB260_424 Depth=1
	v_and_b32_e32 v12, 7, v1
	v_ffbh_u32_e32 v51, v12
	v_min_u32_e32 v51, 32, v51
	v_lshrrev_b32_e32 v35, 3, v54
	v_subrev_u32_e32 v55, 28, v51
	v_sub_u32_e32 v51, 29, v51
	v_cmp_gt_u32_e64 s[0:1], 8, v54
	v_lshlrev_b64 v[55:56], v55, v[1:2]
	v_cndmask_b32_e64 v35, v35, v51, s[0:1]
	v_lshl_add_u32 v35, v35, 10, v28
	v_lshlrev_b32_e32 v1, 8, v1
	v_and_b32_e32 v51, 7, v55
	v_and_b32_e32 v35, 0xfc00, v35
	v_cndmask_b32_e64 v12, v12, v51, s[0:1]
	v_and_or_b32 v1, v1, s30, v35
	v_lshl_or_b32 v51, v12, 7, v1
.LBB260_615:                            ;   in Loop: Header=BB260_424 Depth=1
	s_or_b64 exec, exec, s[20:21]
.LBB260_616:                            ;   in Loop: Header=BB260_424 Depth=1
	s_or_b64 exec, exec, s[18:19]
.LBB260_617:                            ;   in Loop: Header=BB260_424 Depth=1
	s_or_b64 exec, exec, s[16:17]
	v_cmp_lt_u64_e64 s[0:1], s[4:5], v[9:10]
	v_mov_b32_e32 v9, 0
	s_and_saveexec_b64 s[16:17], s[0:1]
	s_cbranch_execz .LBB260_623
; %bb.618:                              ;   in Loop: Header=BB260_424 Depth=1
	v_lshrrev_b32_e32 v1, 24, v10
	v_cmp_ne_u32_e64 s[0:1], s28, v1
	v_bfrev_b32_e32 v9, 1
	s_and_saveexec_b64 s[18:19], s[0:1]
	s_cbranch_execz .LBB260_622
; %bb.619:                              ;   in Loop: Header=BB260_424 Depth=1
	v_and_b32_e32 v10, 0x7f, v1
	v_cmp_ne_u32_e64 s[0:1], s29, v10
	v_mov_b32_e32 v9, 0x7c010000
	s_and_saveexec_b64 s[20:21], s[0:1]
	s_cbranch_execz .LBB260_621
; %bb.620:                              ;   in Loop: Header=BB260_424 Depth=1
	v_and_b32_e32 v9, 7, v1
	v_ffbh_u32_e32 v35, v9
	v_min_u32_e32 v35, 32, v35
	v_lshrrev_b32_e32 v12, 3, v10
	v_subrev_u32_e32 v54, 28, v35
	v_sub_u32_e32 v35, 29, v35
	v_cmp_gt_u32_e64 s[0:1], 8, v10
	v_lshlrev_b64 v[54:55], v54, v[1:2]
	v_cndmask_b32_e64 v10, v12, v35, s[0:1]
	v_lshlrev_b32_e32 v1, 8, v1
	v_lshl_add_u32 v10, v10, 10, v28
	v_and_b32_e32 v12, 7, v54
	v_and_or_b32 v1, v1, s30, v10
	v_cndmask_b32_e64 v9, v9, v12, s[0:1]
	v_lshlrev_b32_e32 v1, 16, v1
	v_lshl_or_b32 v9, v9, 23, v1
.LBB260_621:                            ;   in Loop: Header=BB260_424 Depth=1
	s_or_b64 exec, exec, s[20:21]
.LBB260_622:                            ;   in Loop: Header=BB260_424 Depth=1
	s_or_b64 exec, exec, s[18:19]
.LBB260_623:                            ;   in Loop: Header=BB260_424 Depth=1
	s_or_b64 exec, exec, s[16:17]
	s_waitcnt vmcnt(0)
	v_fma_mixlo_f16 v12, v0, v47, 0 op_sel:[0,1,0] op_sel_hi:[0,1,0]
	v_lshlrev_b32_e32 v54, 16, v12
	v_or_b32_e32 v12, v53, v52
	v_fma_mixlo_f16 v10, v0, v49, 0 op_sel:[0,1,0] op_sel_hi:[0,1,0]
	v_fma_mixlo_f16 v12, v0, v12, 0 op_sel_hi:[0,1,0]
	v_or_b32_e32 v1, v49, v50
	v_lshlrev_b32_e32 v49, 16, v10
	v_or_b32_e32 v10, v47, v48
	v_and_b32_e32 v52, 0xffff, v12
	v_or_b32_e32 v12, v9, v51
	v_fma_mixlo_f16 v1, v0, v1, 0 op_sel_hi:[0,1,0]
	v_fma_mixlo_f16 v10, v0, v10, 0 op_sel_hi:[0,1,0]
	v_fma_mixlo_f16 v35, v0, v53, 0 op_sel:[0,1,0] op_sel_hi:[0,1,0]
	v_fma_mixlo_f16 v12, v0, v12, 0 op_sel_hi:[0,1,0]
	v_fma_mixlo_f16 v0, v0, v9, 0 op_sel:[0,1,0] op_sel_hi:[0,1,0]
	v_and_b32_e32 v50, 0xffff, v1
	v_and_b32_e32 v55, 0xffff, v10
	v_lshlrev_b32_e32 v48, 16, v35
	v_lshlrev_b32_e32 v0, 16, v0
	v_and_b32_e32 v9, 0xffff, v12
	v_or_b32_e32 v1, v49, v50
	v_or_b32_e32 v10, v54, v55
	;; [unrolled: 1-line block ×4, first 2 shown]
	s_and_saveexec_b64 s[16:17], vcc
	s_cbranch_execz .LBB260_625
; %bb.624:                              ;   in Loop: Header=BB260_424 Depth=1
	v_cmp_gt_i32_e64 s[0:1], s33, v29
	v_cndmask_b32_e64 v1, 0, v55, s[0:1]
	v_cmp_gt_i32_e64 s[0:1], s33, v36
	v_cndmask_b32_e64 v10, 0, v54, s[0:1]
	v_cmp_gt_i32_e64 s[0:1], s33, v33
	v_or_b32_e32 v10, v10, v1
	v_cndmask_b32_e64 v1, 0, v50, s[0:1]
	v_cmp_gt_i32_e64 s[0:1], s33, v34
	v_cndmask_b32_e64 v12, 0, v49, s[0:1]
	v_cmp_gt_i32_e64 s[0:1], s33, v26
	v_or_b32_e32 v1, v12, v1
	v_cndmask_b32_e64 v12, 0, v52, s[0:1]
	v_cmp_gt_i32_e64 s[0:1], s33, v32
	v_cndmask_b32_e64 v35, 0, v48, s[0:1]
	v_cmp_gt_i32_e64 s[0:1], s33, v31
	;; [unrolled: 2-line block ×3, first 2 shown]
	v_cndmask_b32_e64 v0, 0, v0, s[0:1]
	v_or_b32_e32 v47, v35, v12
	v_or_b32_e32 v51, v0, v9
.LBB260_625:                            ;   in Loop: Header=BB260_424 Depth=1
	s_or_b64 exec, exec, s[16:17]
	;;#ASMSTART
	v_pk_mul_f16 v0, v40, v10;

	;;#ASMEND
	;;#ASMSTART
	v_pk_mul_f16 v1, v39, v1;

	;;#ASMEND
	;; [unrolled: 4-line block ×4, first 2 shown]
	;;#ASMSTART
	v_pk_add_f16 v0, v0, v1;

	;;#ASMEND
	;;#ASMSTART
	v_pk_add_f16 v0, v0, v9;

	;;#ASMEND
	;; [unrolled: 4-line block ×3, first 2 shown]
	v_lshrrev_b32_e32 v1, 16, v0
	v_and_b32_e32 v0, 0xffff, v0
	;;#ASMSTART
	v_cvt_f32_f16 v47, v0;
	;;#ASMEND
	;;#ASMSTART
	v_cvt_f32_f16 v48, v1;
	;;#ASMEND
	global_load_dwordx2 v[9:10], v[7:8], off offset:2048
	v_mov_b32_e32 v49, 0
	global_load_dword v0, v49, s[14:15]
	v_mov_b32_e32 v50, 0
	s_waitcnt vmcnt(1)
	v_cmp_ne_u16_sdwa s[0:1], v9, v2 src0_sel:BYTE_0 src1_sel:DWORD
	s_and_saveexec_b64 s[16:17], s[0:1]
	s_cbranch_execz .LBB260_631
; %bb.626:                              ;   in Loop: Header=BB260_424 Depth=1
	v_cmp_ne_u16_sdwa s[0:1], v9, s28 src0_sel:BYTE_0 src1_sel:DWORD
	v_mov_b32_e32 v50, 0x8000
	s_and_saveexec_b64 s[18:19], s[0:1]
	s_cbranch_execz .LBB260_630
; %bb.627:                              ;   in Loop: Header=BB260_424 Depth=1
	v_and_b32_e32 v1, 0x7f, v9
	v_cmp_ne_u32_e64 s[0:1], s29, v1
	v_mov_b32_e32 v50, 0x7c01
	s_and_saveexec_b64 s[20:21], s[0:1]
	s_cbranch_execz .LBB260_629
; %bb.628:                              ;   in Loop: Header=BB260_424 Depth=1
	v_and_b32_e32 v12, 7, v9
	v_ffbh_u32_e32 v50, v12
	v_min_u32_e32 v52, 32, v50
	v_subrev_u32_e32 v50, 28, v52
	v_lshlrev_b64 v[50:51], v50, v[9:10]
	v_lshrrev_b32_e32 v35, 3, v1
	v_sub_u32_e32 v51, 29, v52
	v_cmp_gt_u32_e64 s[0:1], 8, v1
	v_cndmask_b32_e64 v1, v35, v51, s[0:1]
	v_lshl_add_u32 v1, v1, 10, v28
	v_lshlrev_b32_e32 v35, 8, v9
	v_and_b32_e32 v50, 7, v50
	v_and_b32_e32 v1, 0xfc00, v1
	v_cndmask_b32_e64 v12, v12, v50, s[0:1]
	v_and_or_b32 v1, v35, s30, v1
	v_lshl_or_b32 v50, v12, 7, v1
.LBB260_629:                            ;   in Loop: Header=BB260_424 Depth=1
	s_or_b64 exec, exec, s[20:21]
.LBB260_630:                            ;   in Loop: Header=BB260_424 Depth=1
	s_or_b64 exec, exec, s[18:19]
.LBB260_631:                            ;   in Loop: Header=BB260_424 Depth=1
	s_or_b64 exec, exec, s[16:17]
	v_lshrrev_b16_e32 v1, 8, v9
	v_cmp_ne_u16_e64 s[0:1], 0, v1
	s_and_saveexec_b64 s[16:17], s[0:1]
	s_cbranch_execz .LBB260_637
; %bb.632:                              ;   in Loop: Header=BB260_424 Depth=1
	v_cmp_ne_u16_e64 s[0:1], s28, v1
	v_bfrev_b32_e32 v49, 1
	s_and_saveexec_b64 s[18:19], s[0:1]
	s_cbranch_execz .LBB260_636
; %bb.633:                              ;   in Loop: Header=BB260_424 Depth=1
	v_and_b32_e32 v51, 0x7f, v1
	v_cmp_ne_u32_e64 s[0:1], s29, v51
	v_mov_b32_e32 v49, 0x7c010000
	s_and_saveexec_b64 s[20:21], s[0:1]
	s_cbranch_execz .LBB260_635
; %bb.634:                              ;   in Loop: Header=BB260_424 Depth=1
	v_and_b32_e32 v12, 7, v1
	v_ffbh_u32_e32 v49, v12
	v_min_u32_e32 v49, 32, v49
	v_lshrrev_b32_e32 v35, 3, v51
	v_subrev_u32_e32 v52, 28, v49
	v_sub_u32_e32 v49, 29, v49
	v_cmp_gt_u32_e64 s[0:1], 8, v51
	v_lshlrev_b64 v[52:53], v52, v[1:2]
	v_cndmask_b32_e64 v35, v35, v49, s[0:1]
	v_lshlrev_b32_e32 v1, 8, v1
	v_lshl_add_u32 v35, v35, 10, v28
	v_and_b32_e32 v49, 7, v52
	v_and_or_b32 v1, v1, s30, v35
	v_cndmask_b32_e64 v12, v12, v49, s[0:1]
	v_lshlrev_b32_e32 v1, 16, v1
	v_lshl_or_b32 v49, v12, 23, v1
.LBB260_635:                            ;   in Loop: Header=BB260_424 Depth=1
	s_or_b64 exec, exec, s[20:21]
.LBB260_636:                            ;   in Loop: Header=BB260_424 Depth=1
	s_or_b64 exec, exec, s[18:19]
.LBB260_637:                            ;   in Loop: Header=BB260_424 Depth=1
	s_or_b64 exec, exec, s[16:17]
	v_lshrrev_b32_e32 v1, 16, v9
	v_cmp_ne_u16_sdwa s[0:1], v1, v2 src0_sel:BYTE_0 src1_sel:DWORD
	v_mov_b32_e32 v51, 0
	v_mov_b32_e32 v52, 0
	s_and_saveexec_b64 s[16:17], s[0:1]
	s_cbranch_execz .LBB260_643
; %bb.638:                              ;   in Loop: Header=BB260_424 Depth=1
	v_cmp_ne_u16_sdwa s[0:1], v1, s28 src0_sel:BYTE_0 src1_sel:DWORD
	v_mov_b32_e32 v52, 0x8000
	s_and_saveexec_b64 s[18:19], s[0:1]
	s_cbranch_execz .LBB260_642
; %bb.639:                              ;   in Loop: Header=BB260_424 Depth=1
	v_bfe_u32 v53, v9, 16, 7
	v_cmp_ne_u32_e64 s[0:1], s29, v53
	v_mov_b32_e32 v52, 0x7c01
	s_and_saveexec_b64 s[20:21], s[0:1]
	s_cbranch_execz .LBB260_641
; %bb.640:                              ;   in Loop: Header=BB260_424 Depth=1
	v_and_b32_e32 v12, 7, v1
	v_ffbh_u32_e32 v52, v12
	v_min_u32_e32 v52, 32, v52
	v_lshrrev_b32_e32 v35, 3, v53
	v_subrev_u32_e32 v54, 28, v52
	v_sub_u32_e32 v52, 29, v52
	v_cmp_gt_u32_e64 s[0:1], 8, v53
	v_lshlrev_b64 v[54:55], v54, v[1:2]
	v_cndmask_b32_e64 v35, v35, v52, s[0:1]
	v_lshl_add_u32 v35, v35, 10, v28
	v_lshlrev_b32_e32 v1, 8, v1
	v_and_b32_e32 v52, 7, v54
	v_and_b32_e32 v35, 0xfc00, v35
	v_cndmask_b32_e64 v12, v12, v52, s[0:1]
	v_and_or_b32 v1, v1, s30, v35
	v_lshl_or_b32 v52, v12, 7, v1
.LBB260_641:                            ;   in Loop: Header=BB260_424 Depth=1
	s_or_b64 exec, exec, s[20:21]
.LBB260_642:                            ;   in Loop: Header=BB260_424 Depth=1
	s_or_b64 exec, exec, s[18:19]
.LBB260_643:                            ;   in Loop: Header=BB260_424 Depth=1
	s_or_b64 exec, exec, s[16:17]
	v_cmp_lt_u32_e64 s[0:1], s5, v9
	s_and_saveexec_b64 s[16:17], s[0:1]
	s_cbranch_execz .LBB260_649
; %bb.644:                              ;   in Loop: Header=BB260_424 Depth=1
	v_lshrrev_b32_e32 v1, 24, v9
	v_cmp_ne_u32_e64 s[0:1], s28, v1
	v_bfrev_b32_e32 v51, 1
	s_and_saveexec_b64 s[18:19], s[0:1]
	s_cbranch_execz .LBB260_648
; %bb.645:                              ;   in Loop: Header=BB260_424 Depth=1
	v_and_b32_e32 v53, 0x7f, v1
	v_cmp_ne_u32_e64 s[0:1], s29, v53
	v_mov_b32_e32 v51, 0x7c010000
	s_and_saveexec_b64 s[20:21], s[0:1]
	s_cbranch_execz .LBB260_647
; %bb.646:                              ;   in Loop: Header=BB260_424 Depth=1
	v_and_b32_e32 v12, 7, v1
	v_ffbh_u32_e32 v51, v12
	v_min_u32_e32 v51, 32, v51
	v_lshrrev_b32_e32 v35, 3, v53
	v_subrev_u32_e32 v54, 28, v51
	v_sub_u32_e32 v51, 29, v51
	v_cmp_gt_u32_e64 s[0:1], 8, v53
	v_lshlrev_b64 v[54:55], v54, v[1:2]
	v_cndmask_b32_e64 v35, v35, v51, s[0:1]
	v_lshlrev_b32_e32 v1, 8, v1
	v_lshl_add_u32 v35, v35, 10, v28
	v_and_b32_e32 v51, 7, v54
	v_and_or_b32 v1, v1, s30, v35
	v_cndmask_b32_e64 v12, v12, v51, s[0:1]
	v_lshlrev_b32_e32 v1, 16, v1
	v_lshl_or_b32 v51, v12, 23, v1
.LBB260_647:                            ;   in Loop: Header=BB260_424 Depth=1
	s_or_b64 exec, exec, s[20:21]
.LBB260_648:                            ;   in Loop: Header=BB260_424 Depth=1
	s_or_b64 exec, exec, s[18:19]
.LBB260_649:                            ;   in Loop: Header=BB260_424 Depth=1
	s_or_b64 exec, exec, s[16:17]
	v_mov_b32_e32 v1, v10
	v_cmp_ne_u16_sdwa s[0:1], v10, v2 src0_sel:BYTE_0 src1_sel:DWORD
	v_mov_b32_e32 v53, 0
	v_mov_b32_e32 v54, 0
	s_and_saveexec_b64 s[16:17], s[0:1]
	s_cbranch_execz .LBB260_655
; %bb.650:                              ;   in Loop: Header=BB260_424 Depth=1
	v_cmp_ne_u16_sdwa s[0:1], v10, s28 src0_sel:BYTE_0 src1_sel:DWORD
	v_mov_b32_e32 v54, 0x8000
	s_and_saveexec_b64 s[18:19], s[0:1]
	s_cbranch_execz .LBB260_654
; %bb.651:                              ;   in Loop: Header=BB260_424 Depth=1
	v_and_b32_e32 v55, 0x7f, v10
	v_cmp_ne_u32_e64 s[0:1], s29, v55
	v_mov_b32_e32 v54, 0x7c01
	s_and_saveexec_b64 s[20:21], s[0:1]
	s_cbranch_execz .LBB260_653
; %bb.652:                              ;   in Loop: Header=BB260_424 Depth=1
	v_and_b32_e32 v12, 7, v10
	v_ffbh_u32_e32 v54, v12
	v_min_u32_e32 v54, 32, v54
	v_lshrrev_b32_e32 v35, 3, v55
	v_subrev_u32_e32 v56, 28, v54
	v_sub_u32_e32 v54, 29, v54
	v_cmp_gt_u32_e64 s[0:1], 8, v55
	v_lshlrev_b64 v[56:57], v56, v[1:2]
	v_cndmask_b32_e64 v35, v35, v54, s[0:1]
	v_lshl_add_u32 v35, v35, 10, v28
	v_lshlrev_b32_e32 v54, 8, v10
	v_and_b32_e32 v55, 7, v56
	v_and_b32_e32 v35, 0xfc00, v35
	v_cndmask_b32_e64 v12, v12, v55, s[0:1]
	v_and_or_b32 v35, v54, s30, v35
	v_lshl_or_b32 v54, v12, 7, v35
.LBB260_653:                            ;   in Loop: Header=BB260_424 Depth=1
	s_or_b64 exec, exec, s[20:21]
.LBB260_654:                            ;   in Loop: Header=BB260_424 Depth=1
	s_or_b64 exec, exec, s[18:19]
.LBB260_655:                            ;   in Loop: Header=BB260_424 Depth=1
	s_or_b64 exec, exec, s[16:17]
	v_lshrrev_b16_e32 v1, 8, v1
	v_cmp_ne_u16_e64 s[0:1], 0, v1
	v_mov_b32_e32 v55, 0
	s_and_saveexec_b64 s[16:17], s[0:1]
	s_cbranch_execz .LBB260_661
; %bb.656:                              ;   in Loop: Header=BB260_424 Depth=1
	v_cmp_ne_u16_e64 s[0:1], s28, v1
	v_bfrev_b32_e32 v55, 1
	s_and_saveexec_b64 s[18:19], s[0:1]
	s_cbranch_execz .LBB260_660
; %bb.657:                              ;   in Loop: Header=BB260_424 Depth=1
	v_and_b32_e32 v56, 0x7f, v1
	v_cmp_ne_u32_e64 s[0:1], s29, v56
	v_mov_b32_e32 v55, 0x7c010000
	s_and_saveexec_b64 s[20:21], s[0:1]
	s_cbranch_execz .LBB260_659
; %bb.658:                              ;   in Loop: Header=BB260_424 Depth=1
	v_and_b32_e32 v12, 7, v1
	v_ffbh_u32_e32 v55, v12
	v_min_u32_e32 v55, 32, v55
	v_lshrrev_b32_e32 v35, 3, v56
	v_subrev_u32_e32 v57, 28, v55
	v_sub_u32_e32 v55, 29, v55
	v_cmp_gt_u32_e64 s[0:1], 8, v56
	v_lshlrev_b64 v[57:58], v57, v[1:2]
	v_cndmask_b32_e64 v35, v35, v55, s[0:1]
	v_lshlrev_b32_e32 v1, 8, v1
	v_lshl_add_u32 v35, v35, 10, v28
	v_and_b32_e32 v55, 7, v57
	v_and_or_b32 v1, v1, s30, v35
	v_cndmask_b32_e64 v12, v12, v55, s[0:1]
	v_lshlrev_b32_e32 v1, 16, v1
	v_lshl_or_b32 v55, v12, 23, v1
.LBB260_659:                            ;   in Loop: Header=BB260_424 Depth=1
	s_or_b64 exec, exec, s[20:21]
.LBB260_660:                            ;   in Loop: Header=BB260_424 Depth=1
	s_or_b64 exec, exec, s[18:19]
.LBB260_661:                            ;   in Loop: Header=BB260_424 Depth=1
	s_or_b64 exec, exec, s[16:17]
	v_lshrrev_b32_e32 v1, 16, v10
	v_cmp_ne_u16_sdwa s[0:1], v1, v2 src0_sel:BYTE_0 src1_sel:DWORD
	s_and_saveexec_b64 s[16:17], s[0:1]
	s_cbranch_execz .LBB260_667
; %bb.662:                              ;   in Loop: Header=BB260_424 Depth=1
	v_cmp_ne_u16_sdwa s[0:1], v1, s28 src0_sel:BYTE_0 src1_sel:DWORD
	v_mov_b32_e32 v53, 0x8000
	s_and_saveexec_b64 s[18:19], s[0:1]
	s_cbranch_execz .LBB260_666
; %bb.663:                              ;   in Loop: Header=BB260_424 Depth=1
	v_bfe_u32 v56, v10, 16, 7
	v_cmp_ne_u32_e64 s[0:1], s29, v56
	v_mov_b32_e32 v53, 0x7c01
	s_and_saveexec_b64 s[20:21], s[0:1]
	s_cbranch_execz .LBB260_665
; %bb.664:                              ;   in Loop: Header=BB260_424 Depth=1
	v_and_b32_e32 v12, 7, v1
	v_ffbh_u32_e32 v53, v12
	v_min_u32_e32 v53, 32, v53
	v_lshrrev_b32_e32 v35, 3, v56
	v_subrev_u32_e32 v57, 28, v53
	v_sub_u32_e32 v53, 29, v53
	v_cmp_gt_u32_e64 s[0:1], 8, v56
	v_lshlrev_b64 v[57:58], v57, v[1:2]
	v_cndmask_b32_e64 v35, v35, v53, s[0:1]
	v_lshl_add_u32 v35, v35, 10, v28
	v_lshlrev_b32_e32 v1, 8, v1
	v_and_b32_e32 v53, 7, v57
	v_and_b32_e32 v35, 0xfc00, v35
	v_cndmask_b32_e64 v12, v12, v53, s[0:1]
	v_and_or_b32 v1, v1, s30, v35
	v_lshl_or_b32 v53, v12, 7, v1
.LBB260_665:                            ;   in Loop: Header=BB260_424 Depth=1
	s_or_b64 exec, exec, s[20:21]
.LBB260_666:                            ;   in Loop: Header=BB260_424 Depth=1
	s_or_b64 exec, exec, s[18:19]
.LBB260_667:                            ;   in Loop: Header=BB260_424 Depth=1
	s_or_b64 exec, exec, s[16:17]
	v_cmp_lt_u64_e64 s[0:1], s[4:5], v[9:10]
	v_mov_b32_e32 v9, 0
	s_and_saveexec_b64 s[16:17], s[0:1]
	s_cbranch_execz .LBB260_673
; %bb.668:                              ;   in Loop: Header=BB260_424 Depth=1
	v_lshrrev_b32_e32 v1, 24, v10
	v_cmp_ne_u32_e64 s[0:1], s28, v1
	v_bfrev_b32_e32 v9, 1
	s_and_saveexec_b64 s[18:19], s[0:1]
	s_cbranch_execz .LBB260_672
; %bb.669:                              ;   in Loop: Header=BB260_424 Depth=1
	v_and_b32_e32 v10, 0x7f, v1
	v_cmp_ne_u32_e64 s[0:1], s29, v10
	v_mov_b32_e32 v9, 0x7c010000
	s_and_saveexec_b64 s[20:21], s[0:1]
	s_cbranch_execz .LBB260_671
; %bb.670:                              ;   in Loop: Header=BB260_424 Depth=1
	v_and_b32_e32 v9, 7, v1
	v_ffbh_u32_e32 v35, v9
	v_min_u32_e32 v35, 32, v35
	v_lshrrev_b32_e32 v12, 3, v10
	v_subrev_u32_e32 v56, 28, v35
	v_sub_u32_e32 v35, 29, v35
	v_cmp_gt_u32_e64 s[0:1], 8, v10
	v_lshlrev_b64 v[56:57], v56, v[1:2]
	v_cndmask_b32_e64 v10, v12, v35, s[0:1]
	v_lshlrev_b32_e32 v1, 8, v1
	v_lshl_add_u32 v10, v10, 10, v28
	v_and_b32_e32 v12, 7, v56
	v_and_or_b32 v1, v1, s30, v10
	v_cndmask_b32_e64 v9, v9, v12, s[0:1]
	v_lshlrev_b32_e32 v1, 16, v1
	v_lshl_or_b32 v9, v9, 23, v1
.LBB260_671:                            ;   in Loop: Header=BB260_424 Depth=1
	s_or_b64 exec, exec, s[20:21]
.LBB260_672:                            ;   in Loop: Header=BB260_424 Depth=1
	s_or_b64 exec, exec, s[18:19]
.LBB260_673:                            ;   in Loop: Header=BB260_424 Depth=1
	s_or_b64 exec, exec, s[16:17]
	s_waitcnt vmcnt(0)
	v_fma_mixlo_f16 v12, v0, v49, 0 op_sel:[0,1,0] op_sel_hi:[0,1,0]
	v_lshlrev_b32_e32 v56, 16, v12
	v_or_b32_e32 v12, v55, v54
	v_fma_mixlo_f16 v10, v0, v51, 0 op_sel:[0,1,0] op_sel_hi:[0,1,0]
	v_fma_mixlo_f16 v12, v0, v12, 0 op_sel_hi:[0,1,0]
	v_or_b32_e32 v1, v51, v52
	v_lshlrev_b32_e32 v51, 16, v10
	v_or_b32_e32 v10, v49, v50
	v_and_b32_e32 v54, 0xffff, v12
	v_or_b32_e32 v12, v9, v53
	v_fma_mixlo_f16 v1, v0, v1, 0 op_sel_hi:[0,1,0]
	v_fma_mixlo_f16 v10, v0, v10, 0 op_sel_hi:[0,1,0]
	v_fma_mixlo_f16 v35, v0, v55, 0 op_sel:[0,1,0] op_sel_hi:[0,1,0]
	v_fma_mixlo_f16 v12, v0, v12, 0 op_sel_hi:[0,1,0]
	v_fma_mixlo_f16 v0, v0, v9, 0 op_sel:[0,1,0] op_sel_hi:[0,1,0]
	v_and_b32_e32 v52, 0xffff, v1
	v_and_b32_e32 v57, 0xffff, v10
	v_lshlrev_b32_e32 v50, 16, v35
	v_lshlrev_b32_e32 v0, 16, v0
	v_and_b32_e32 v9, 0xffff, v12
	v_or_b32_e32 v1, v51, v52
	v_or_b32_e32 v10, v56, v57
	;; [unrolled: 1-line block ×4, first 2 shown]
	s_and_saveexec_b64 s[16:17], vcc
	s_cbranch_execz .LBB260_675
; %bb.674:                              ;   in Loop: Header=BB260_424 Depth=1
	v_cmp_gt_i32_e64 s[0:1], s33, v29
	v_cndmask_b32_e64 v1, 0, v57, s[0:1]
	v_cmp_gt_i32_e64 s[0:1], s33, v36
	v_cndmask_b32_e64 v10, 0, v56, s[0:1]
	v_cmp_gt_i32_e64 s[0:1], s33, v33
	v_or_b32_e32 v10, v10, v1
	v_cndmask_b32_e64 v1, 0, v52, s[0:1]
	v_cmp_gt_i32_e64 s[0:1], s33, v34
	v_cndmask_b32_e64 v12, 0, v51, s[0:1]
	v_cmp_gt_i32_e64 s[0:1], s33, v26
	v_or_b32_e32 v1, v12, v1
	v_cndmask_b32_e64 v12, 0, v54, s[0:1]
	v_cmp_gt_i32_e64 s[0:1], s33, v32
	v_cndmask_b32_e64 v35, 0, v50, s[0:1]
	v_cmp_gt_i32_e64 s[0:1], s33, v31
	;; [unrolled: 2-line block ×3, first 2 shown]
	v_cndmask_b32_e64 v0, 0, v0, s[0:1]
	v_or_b32_e32 v49, v35, v12
	v_or_b32_e32 v53, v0, v9
.LBB260_675:                            ;   in Loop: Header=BB260_424 Depth=1
	s_or_b64 exec, exec, s[16:17]
	;;#ASMSTART
	v_pk_mul_f16 v0, v40, v10;

	;;#ASMEND
	;;#ASMSTART
	v_pk_mul_f16 v1, v39, v1;

	;;#ASMEND
	;; [unrolled: 4-line block ×4, first 2 shown]
	;;#ASMSTART
	v_pk_add_f16 v0, v0, v1;

	;;#ASMEND
	;;#ASMSTART
	v_pk_add_f16 v0, v0, v9;

	;;#ASMEND
	;; [unrolled: 4-line block ×3, first 2 shown]
	v_lshrrev_b32_e32 v1, 16, v0
	v_and_b32_e32 v0, 0xffff, v0
	;;#ASMSTART
	v_cvt_f32_f16 v0, v0;
	;;#ASMEND
	;;#ASMSTART
	v_cvt_f32_f16 v49, v1;
	;;#ASMEND
	global_load_dwordx2 v[9:10], v[7:8], off offset:2560
	v_mov_b32_e32 v51, 0
	global_load_dword v50, v51, s[14:15]
	v_mov_b32_e32 v52, 0
	s_waitcnt vmcnt(1)
	v_cmp_ne_u16_sdwa s[0:1], v9, v2 src0_sel:BYTE_0 src1_sel:DWORD
	s_and_saveexec_b64 s[16:17], s[0:1]
	s_cbranch_execz .LBB260_681
; %bb.676:                              ;   in Loop: Header=BB260_424 Depth=1
	v_cmp_ne_u16_sdwa s[0:1], v9, s28 src0_sel:BYTE_0 src1_sel:DWORD
	v_mov_b32_e32 v52, 0x8000
	s_and_saveexec_b64 s[18:19], s[0:1]
	s_cbranch_execz .LBB260_680
; %bb.677:                              ;   in Loop: Header=BB260_424 Depth=1
	v_and_b32_e32 v1, 0x7f, v9
	v_cmp_ne_u32_e64 s[0:1], s29, v1
	v_mov_b32_e32 v52, 0x7c01
	s_and_saveexec_b64 s[20:21], s[0:1]
	s_cbranch_execz .LBB260_679
; %bb.678:                              ;   in Loop: Header=BB260_424 Depth=1
	v_and_b32_e32 v12, 7, v9
	v_ffbh_u32_e32 v52, v12
	v_min_u32_e32 v54, 32, v52
	v_subrev_u32_e32 v52, 28, v54
	v_lshlrev_b64 v[52:53], v52, v[9:10]
	v_lshrrev_b32_e32 v35, 3, v1
	v_sub_u32_e32 v53, 29, v54
	v_cmp_gt_u32_e64 s[0:1], 8, v1
	v_cndmask_b32_e64 v1, v35, v53, s[0:1]
	v_lshl_add_u32 v1, v1, 10, v28
	v_lshlrev_b32_e32 v35, 8, v9
	v_and_b32_e32 v52, 7, v52
	v_and_b32_e32 v1, 0xfc00, v1
	v_cndmask_b32_e64 v12, v12, v52, s[0:1]
	v_and_or_b32 v1, v35, s30, v1
	v_lshl_or_b32 v52, v12, 7, v1
.LBB260_679:                            ;   in Loop: Header=BB260_424 Depth=1
	s_or_b64 exec, exec, s[20:21]
.LBB260_680:                            ;   in Loop: Header=BB260_424 Depth=1
	s_or_b64 exec, exec, s[18:19]
.LBB260_681:                            ;   in Loop: Header=BB260_424 Depth=1
	s_or_b64 exec, exec, s[16:17]
	v_lshrrev_b16_e32 v1, 8, v9
	v_cmp_ne_u16_e64 s[0:1], 0, v1
	s_and_saveexec_b64 s[16:17], s[0:1]
	s_cbranch_execz .LBB260_687
; %bb.682:                              ;   in Loop: Header=BB260_424 Depth=1
	v_cmp_ne_u16_e64 s[0:1], s28, v1
	v_bfrev_b32_e32 v51, 1
	s_and_saveexec_b64 s[18:19], s[0:1]
	s_cbranch_execz .LBB260_686
; %bb.683:                              ;   in Loop: Header=BB260_424 Depth=1
	v_and_b32_e32 v53, 0x7f, v1
	v_cmp_ne_u32_e64 s[0:1], s29, v53
	v_mov_b32_e32 v51, 0x7c010000
	s_and_saveexec_b64 s[20:21], s[0:1]
	s_cbranch_execz .LBB260_685
; %bb.684:                              ;   in Loop: Header=BB260_424 Depth=1
	v_and_b32_e32 v12, 7, v1
	v_ffbh_u32_e32 v51, v12
	v_min_u32_e32 v51, 32, v51
	v_lshrrev_b32_e32 v35, 3, v53
	v_subrev_u32_e32 v54, 28, v51
	v_sub_u32_e32 v51, 29, v51
	v_cmp_gt_u32_e64 s[0:1], 8, v53
	v_lshlrev_b64 v[54:55], v54, v[1:2]
	v_cndmask_b32_e64 v35, v35, v51, s[0:1]
	v_lshlrev_b32_e32 v1, 8, v1
	v_lshl_add_u32 v35, v35, 10, v28
	v_and_b32_e32 v51, 7, v54
	v_and_or_b32 v1, v1, s30, v35
	v_cndmask_b32_e64 v12, v12, v51, s[0:1]
	v_lshlrev_b32_e32 v1, 16, v1
	v_lshl_or_b32 v51, v12, 23, v1
.LBB260_685:                            ;   in Loop: Header=BB260_424 Depth=1
	s_or_b64 exec, exec, s[20:21]
.LBB260_686:                            ;   in Loop: Header=BB260_424 Depth=1
	s_or_b64 exec, exec, s[18:19]
.LBB260_687:                            ;   in Loop: Header=BB260_424 Depth=1
	s_or_b64 exec, exec, s[16:17]
	v_lshrrev_b32_e32 v1, 16, v9
	v_cmp_ne_u16_sdwa s[0:1], v1, v2 src0_sel:BYTE_0 src1_sel:DWORD
	v_mov_b32_e32 v53, 0
	v_mov_b32_e32 v54, 0
	s_and_saveexec_b64 s[16:17], s[0:1]
	s_cbranch_execz .LBB260_693
; %bb.688:                              ;   in Loop: Header=BB260_424 Depth=1
	v_cmp_ne_u16_sdwa s[0:1], v1, s28 src0_sel:BYTE_0 src1_sel:DWORD
	v_mov_b32_e32 v54, 0x8000
	s_and_saveexec_b64 s[18:19], s[0:1]
	s_cbranch_execz .LBB260_692
; %bb.689:                              ;   in Loop: Header=BB260_424 Depth=1
	v_bfe_u32 v55, v9, 16, 7
	v_cmp_ne_u32_e64 s[0:1], s29, v55
	v_mov_b32_e32 v54, 0x7c01
	s_and_saveexec_b64 s[20:21], s[0:1]
	s_cbranch_execz .LBB260_691
; %bb.690:                              ;   in Loop: Header=BB260_424 Depth=1
	v_and_b32_e32 v12, 7, v1
	v_ffbh_u32_e32 v54, v12
	v_min_u32_e32 v54, 32, v54
	v_lshrrev_b32_e32 v35, 3, v55
	v_subrev_u32_e32 v56, 28, v54
	v_sub_u32_e32 v54, 29, v54
	v_cmp_gt_u32_e64 s[0:1], 8, v55
	v_lshlrev_b64 v[56:57], v56, v[1:2]
	v_cndmask_b32_e64 v35, v35, v54, s[0:1]
	v_lshl_add_u32 v35, v35, 10, v28
	v_lshlrev_b32_e32 v1, 8, v1
	v_and_b32_e32 v54, 7, v56
	v_and_b32_e32 v35, 0xfc00, v35
	v_cndmask_b32_e64 v12, v12, v54, s[0:1]
	v_and_or_b32 v1, v1, s30, v35
	v_lshl_or_b32 v54, v12, 7, v1
.LBB260_691:                            ;   in Loop: Header=BB260_424 Depth=1
	s_or_b64 exec, exec, s[20:21]
.LBB260_692:                            ;   in Loop: Header=BB260_424 Depth=1
	s_or_b64 exec, exec, s[18:19]
.LBB260_693:                            ;   in Loop: Header=BB260_424 Depth=1
	s_or_b64 exec, exec, s[16:17]
	v_cmp_lt_u32_e64 s[0:1], s5, v9
	s_and_saveexec_b64 s[16:17], s[0:1]
	s_cbranch_execz .LBB260_699
; %bb.694:                              ;   in Loop: Header=BB260_424 Depth=1
	v_lshrrev_b32_e32 v1, 24, v9
	v_cmp_ne_u32_e64 s[0:1], s28, v1
	v_bfrev_b32_e32 v53, 1
	s_and_saveexec_b64 s[18:19], s[0:1]
	s_cbranch_execz .LBB260_698
; %bb.695:                              ;   in Loop: Header=BB260_424 Depth=1
	v_and_b32_e32 v55, 0x7f, v1
	v_cmp_ne_u32_e64 s[0:1], s29, v55
	v_mov_b32_e32 v53, 0x7c010000
	s_and_saveexec_b64 s[20:21], s[0:1]
	s_cbranch_execz .LBB260_697
; %bb.696:                              ;   in Loop: Header=BB260_424 Depth=1
	v_and_b32_e32 v12, 7, v1
	v_ffbh_u32_e32 v53, v12
	v_min_u32_e32 v53, 32, v53
	v_lshrrev_b32_e32 v35, 3, v55
	v_subrev_u32_e32 v56, 28, v53
	v_sub_u32_e32 v53, 29, v53
	v_cmp_gt_u32_e64 s[0:1], 8, v55
	v_lshlrev_b64 v[56:57], v56, v[1:2]
	v_cndmask_b32_e64 v35, v35, v53, s[0:1]
	v_lshlrev_b32_e32 v1, 8, v1
	v_lshl_add_u32 v35, v35, 10, v28
	v_and_b32_e32 v53, 7, v56
	v_and_or_b32 v1, v1, s30, v35
	v_cndmask_b32_e64 v12, v12, v53, s[0:1]
	v_lshlrev_b32_e32 v1, 16, v1
	v_lshl_or_b32 v53, v12, 23, v1
.LBB260_697:                            ;   in Loop: Header=BB260_424 Depth=1
	s_or_b64 exec, exec, s[20:21]
.LBB260_698:                            ;   in Loop: Header=BB260_424 Depth=1
	s_or_b64 exec, exec, s[18:19]
.LBB260_699:                            ;   in Loop: Header=BB260_424 Depth=1
	s_or_b64 exec, exec, s[16:17]
	v_mov_b32_e32 v1, v10
	v_cmp_ne_u16_sdwa s[0:1], v10, v2 src0_sel:BYTE_0 src1_sel:DWORD
	v_mov_b32_e32 v55, 0
	v_mov_b32_e32 v56, 0
	s_and_saveexec_b64 s[16:17], s[0:1]
	s_cbranch_execz .LBB260_705
; %bb.700:                              ;   in Loop: Header=BB260_424 Depth=1
	v_cmp_ne_u16_sdwa s[0:1], v10, s28 src0_sel:BYTE_0 src1_sel:DWORD
	v_mov_b32_e32 v56, 0x8000
	s_and_saveexec_b64 s[18:19], s[0:1]
	s_cbranch_execz .LBB260_704
; %bb.701:                              ;   in Loop: Header=BB260_424 Depth=1
	v_and_b32_e32 v57, 0x7f, v10
	v_cmp_ne_u32_e64 s[0:1], s29, v57
	v_mov_b32_e32 v56, 0x7c01
	s_and_saveexec_b64 s[20:21], s[0:1]
	s_cbranch_execz .LBB260_703
; %bb.702:                              ;   in Loop: Header=BB260_424 Depth=1
	v_and_b32_e32 v12, 7, v10
	v_ffbh_u32_e32 v56, v12
	v_min_u32_e32 v56, 32, v56
	v_lshrrev_b32_e32 v35, 3, v57
	v_subrev_u32_e32 v58, 28, v56
	v_sub_u32_e32 v56, 29, v56
	v_cmp_gt_u32_e64 s[0:1], 8, v57
	v_lshlrev_b64 v[58:59], v58, v[1:2]
	v_cndmask_b32_e64 v35, v35, v56, s[0:1]
	v_lshl_add_u32 v35, v35, 10, v28
	v_lshlrev_b32_e32 v56, 8, v10
	v_and_b32_e32 v57, 7, v58
	v_and_b32_e32 v35, 0xfc00, v35
	v_cndmask_b32_e64 v12, v12, v57, s[0:1]
	v_and_or_b32 v35, v56, s30, v35
	v_lshl_or_b32 v56, v12, 7, v35
.LBB260_703:                            ;   in Loop: Header=BB260_424 Depth=1
	s_or_b64 exec, exec, s[20:21]
.LBB260_704:                            ;   in Loop: Header=BB260_424 Depth=1
	s_or_b64 exec, exec, s[18:19]
.LBB260_705:                            ;   in Loop: Header=BB260_424 Depth=1
	s_or_b64 exec, exec, s[16:17]
	v_lshrrev_b16_e32 v1, 8, v1
	v_cmp_ne_u16_e64 s[0:1], 0, v1
	v_mov_b32_e32 v57, 0
	s_and_saveexec_b64 s[16:17], s[0:1]
	s_cbranch_execz .LBB260_711
; %bb.706:                              ;   in Loop: Header=BB260_424 Depth=1
	v_cmp_ne_u16_e64 s[0:1], s28, v1
	v_bfrev_b32_e32 v57, 1
	s_and_saveexec_b64 s[18:19], s[0:1]
	s_cbranch_execz .LBB260_710
; %bb.707:                              ;   in Loop: Header=BB260_424 Depth=1
	v_and_b32_e32 v58, 0x7f, v1
	v_cmp_ne_u32_e64 s[0:1], s29, v58
	v_mov_b32_e32 v57, 0x7c010000
	s_and_saveexec_b64 s[20:21], s[0:1]
	s_cbranch_execz .LBB260_709
; %bb.708:                              ;   in Loop: Header=BB260_424 Depth=1
	v_and_b32_e32 v12, 7, v1
	v_ffbh_u32_e32 v57, v12
	v_min_u32_e32 v59, 32, v57
	v_subrev_u32_e32 v57, 28, v59
	v_lshrrev_b32_e32 v35, 3, v58
	v_cmp_gt_u32_e64 s[0:1], 8, v58
	v_lshlrev_b64 v[57:58], v57, v[1:2]
	v_sub_u32_e32 v58, 29, v59
	v_cndmask_b32_e64 v35, v35, v58, s[0:1]
	v_lshlrev_b32_e32 v1, 8, v1
	v_lshl_add_u32 v35, v35, 10, v28
	v_and_b32_e32 v57, 7, v57
	v_and_or_b32 v1, v1, s30, v35
	v_cndmask_b32_e64 v12, v12, v57, s[0:1]
	v_lshlrev_b32_e32 v1, 16, v1
	v_lshl_or_b32 v57, v12, 23, v1
.LBB260_709:                            ;   in Loop: Header=BB260_424 Depth=1
	s_or_b64 exec, exec, s[20:21]
.LBB260_710:                            ;   in Loop: Header=BB260_424 Depth=1
	s_or_b64 exec, exec, s[18:19]
.LBB260_711:                            ;   in Loop: Header=BB260_424 Depth=1
	s_or_b64 exec, exec, s[16:17]
	v_lshrrev_b32_e32 v1, 16, v10
	v_cmp_ne_u16_sdwa s[0:1], v1, v2 src0_sel:BYTE_0 src1_sel:DWORD
	s_and_saveexec_b64 s[16:17], s[0:1]
	s_cbranch_execz .LBB260_717
; %bb.712:                              ;   in Loop: Header=BB260_424 Depth=1
	v_cmp_ne_u16_sdwa s[0:1], v1, s28 src0_sel:BYTE_0 src1_sel:DWORD
	v_mov_b32_e32 v55, 0x8000
	s_and_saveexec_b64 s[18:19], s[0:1]
	s_cbranch_execz .LBB260_716
; %bb.713:                              ;   in Loop: Header=BB260_424 Depth=1
	v_bfe_u32 v58, v10, 16, 7
	v_cmp_ne_u32_e64 s[0:1], s29, v58
	v_mov_b32_e32 v55, 0x7c01
	s_and_saveexec_b64 s[20:21], s[0:1]
	s_cbranch_execz .LBB260_715
; %bb.714:                              ;   in Loop: Header=BB260_424 Depth=1
	v_and_b32_e32 v12, 7, v1
	v_ffbh_u32_e32 v55, v12
	v_min_u32_e32 v55, 32, v55
	v_lshrrev_b32_e32 v35, 3, v58
	v_cmp_gt_u32_e64 s[0:1], 8, v58
	v_subrev_u32_e32 v58, 28, v55
	v_sub_u32_e32 v55, 29, v55
	v_lshlrev_b64 v[58:59], v58, v[1:2]
	v_cndmask_b32_e64 v35, v35, v55, s[0:1]
	v_lshl_add_u32 v35, v35, 10, v28
	v_lshlrev_b32_e32 v1, 8, v1
	v_and_b32_e32 v55, 7, v58
	v_and_b32_e32 v35, 0xfc00, v35
	v_cndmask_b32_e64 v12, v12, v55, s[0:1]
	v_and_or_b32 v1, v1, s30, v35
	v_lshl_or_b32 v55, v12, 7, v1
.LBB260_715:                            ;   in Loop: Header=BB260_424 Depth=1
	s_or_b64 exec, exec, s[20:21]
.LBB260_716:                            ;   in Loop: Header=BB260_424 Depth=1
	s_or_b64 exec, exec, s[18:19]
.LBB260_717:                            ;   in Loop: Header=BB260_424 Depth=1
	s_or_b64 exec, exec, s[16:17]
	v_cmp_lt_u64_e64 s[0:1], s[4:5], v[9:10]
	v_mov_b32_e32 v9, 0
	s_and_saveexec_b64 s[16:17], s[0:1]
	s_cbranch_execz .LBB260_723
; %bb.718:                              ;   in Loop: Header=BB260_424 Depth=1
	v_lshrrev_b32_e32 v1, 24, v10
	v_cmp_ne_u32_e64 s[0:1], s28, v1
	v_bfrev_b32_e32 v9, 1
	s_and_saveexec_b64 s[18:19], s[0:1]
	s_cbranch_execz .LBB260_722
; %bb.719:                              ;   in Loop: Header=BB260_424 Depth=1
	v_and_b32_e32 v10, 0x7f, v1
	v_cmp_ne_u32_e64 s[0:1], s29, v10
	v_mov_b32_e32 v9, 0x7c010000
	s_and_saveexec_b64 s[20:21], s[0:1]
	s_cbranch_execz .LBB260_721
; %bb.720:                              ;   in Loop: Header=BB260_424 Depth=1
	v_and_b32_e32 v9, 7, v1
	v_ffbh_u32_e32 v35, v9
	v_min_u32_e32 v35, 32, v35
	v_lshrrev_b32_e32 v12, 3, v10
	v_subrev_u32_e32 v58, 28, v35
	v_sub_u32_e32 v35, 29, v35
	v_cmp_gt_u32_e64 s[0:1], 8, v10
	v_lshlrev_b64 v[58:59], v58, v[1:2]
	v_cndmask_b32_e64 v10, v12, v35, s[0:1]
	v_lshlrev_b32_e32 v1, 8, v1
	v_lshl_add_u32 v10, v10, 10, v28
	v_and_b32_e32 v12, 7, v58
	v_and_or_b32 v1, v1, s30, v10
	v_cndmask_b32_e64 v9, v9, v12, s[0:1]
	v_lshlrev_b32_e32 v1, 16, v1
	v_lshl_or_b32 v9, v9, 23, v1
.LBB260_721:                            ;   in Loop: Header=BB260_424 Depth=1
	s_or_b64 exec, exec, s[20:21]
.LBB260_722:                            ;   in Loop: Header=BB260_424 Depth=1
	s_or_b64 exec, exec, s[18:19]
.LBB260_723:                            ;   in Loop: Header=BB260_424 Depth=1
	s_or_b64 exec, exec, s[16:17]
	s_waitcnt vmcnt(0)
	v_fma_mixlo_f16 v12, v50, v51, 0 op_sel:[0,1,0] op_sel_hi:[0,1,0]
	v_lshlrev_b32_e32 v58, 16, v12
	v_or_b32_e32 v12, v57, v56
	v_fma_mixlo_f16 v10, v50, v53, 0 op_sel:[0,1,0] op_sel_hi:[0,1,0]
	v_fma_mixlo_f16 v12, v50, v12, 0 op_sel_hi:[0,1,0]
	v_or_b32_e32 v1, v53, v54
	v_lshlrev_b32_e32 v53, 16, v10
	v_or_b32_e32 v10, v51, v52
	v_and_b32_e32 v56, 0xffff, v12
	v_or_b32_e32 v12, v9, v55
	v_fma_mixlo_f16 v1, v50, v1, 0 op_sel_hi:[0,1,0]
	v_fma_mixlo_f16 v10, v50, v10, 0 op_sel_hi:[0,1,0]
	v_fma_mixlo_f16 v35, v50, v57, 0 op_sel:[0,1,0] op_sel_hi:[0,1,0]
	v_fma_mixlo_f16 v12, v50, v12, 0 op_sel_hi:[0,1,0]
	v_fma_mixlo_f16 v9, v50, v9, 0 op_sel:[0,1,0] op_sel_hi:[0,1,0]
	v_and_b32_e32 v54, 0xffff, v1
	v_and_b32_e32 v59, 0xffff, v10
	v_lshlrev_b32_e32 v52, 16, v35
	v_lshlrev_b32_e32 v9, 16, v9
	v_and_b32_e32 v50, 0xffff, v12
	v_or_b32_e32 v1, v53, v54
	v_or_b32_e32 v10, v58, v59
	;; [unrolled: 1-line block ×4, first 2 shown]
	s_and_saveexec_b64 s[16:17], vcc
	s_cbranch_execz .LBB260_725
; %bb.724:                              ;   in Loop: Header=BB260_424 Depth=1
	v_cmp_gt_i32_e64 s[0:1], s33, v29
	v_cndmask_b32_e64 v1, 0, v59, s[0:1]
	v_cmp_gt_i32_e64 s[0:1], s33, v36
	v_cndmask_b32_e64 v10, 0, v58, s[0:1]
	v_cmp_gt_i32_e64 s[0:1], s33, v33
	v_or_b32_e32 v10, v10, v1
	v_cndmask_b32_e64 v1, 0, v54, s[0:1]
	v_cmp_gt_i32_e64 s[0:1], s33, v34
	v_cndmask_b32_e64 v12, 0, v53, s[0:1]
	v_cmp_gt_i32_e64 s[0:1], s33, v26
	v_or_b32_e32 v1, v12, v1
	v_cndmask_b32_e64 v12, 0, v56, s[0:1]
	v_cmp_gt_i32_e64 s[0:1], s33, v32
	v_cndmask_b32_e64 v35, 0, v52, s[0:1]
	v_cmp_gt_i32_e64 s[0:1], s33, v31
	v_or_b32_e32 v51, v35, v12
	v_cndmask_b32_e64 v12, 0, v50, s[0:1]
	v_cmp_gt_i32_e64 s[0:1], s33, v30
	v_cndmask_b32_e64 v9, 0, v9, s[0:1]
	v_or_b32_e32 v55, v9, v12
.LBB260_725:                            ;   in Loop: Header=BB260_424 Depth=1
	s_or_b64 exec, exec, s[16:17]
	;;#ASMSTART
	v_pk_mul_f16 v9, v40, v10;

	;;#ASMEND
	;;#ASMSTART
	v_pk_mul_f16 v1, v39, v1;

	;;#ASMEND
	;;#ASMSTART
	v_pk_mul_f16 v10, v38, v51;

	;;#ASMEND
	;;#ASMSTART
	v_pk_mul_f16 v12, v37, v55;

	;;#ASMEND
	;;#ASMSTART
	v_pk_add_f16 v1, v9, v1;

	;;#ASMEND
	;;#ASMSTART
	v_pk_add_f16 v1, v1, v10;

	;;#ASMEND
	;;#ASMSTART
	v_pk_add_f16 v1, v1, v12;

	;;#ASMEND
	v_lshrrev_b32_e32 v9, 16, v1
	v_and_b32_e32 v1, 0xffff, v1
	;;#ASMSTART
	v_cvt_f32_f16 v50, v1;
	;;#ASMEND
	;;#ASMSTART
	v_cvt_f32_f16 v51, v9;
	;;#ASMEND
	global_load_dwordx2 v[9:10], v[7:8], off offset:3072
	v_mov_b32_e32 v53, 0
	global_load_dword v52, v53, s[14:15]
	v_mov_b32_e32 v54, 0
	s_waitcnt vmcnt(1)
	v_cmp_ne_u16_sdwa s[0:1], v9, v2 src0_sel:BYTE_0 src1_sel:DWORD
	s_and_saveexec_b64 s[16:17], s[0:1]
	s_cbranch_execz .LBB260_731
; %bb.726:                              ;   in Loop: Header=BB260_424 Depth=1
	v_cmp_ne_u16_sdwa s[0:1], v9, s28 src0_sel:BYTE_0 src1_sel:DWORD
	v_mov_b32_e32 v54, 0x8000
	s_and_saveexec_b64 s[18:19], s[0:1]
	s_cbranch_execz .LBB260_730
; %bb.727:                              ;   in Loop: Header=BB260_424 Depth=1
	v_and_b32_e32 v1, 0x7f, v9
	v_cmp_ne_u32_e64 s[0:1], s29, v1
	v_mov_b32_e32 v54, 0x7c01
	s_and_saveexec_b64 s[20:21], s[0:1]
	s_cbranch_execz .LBB260_729
; %bb.728:                              ;   in Loop: Header=BB260_424 Depth=1
	v_and_b32_e32 v12, 7, v9
	v_ffbh_u32_e32 v54, v12
	v_min_u32_e32 v56, 32, v54
	v_subrev_u32_e32 v54, 28, v56
	v_lshlrev_b64 v[54:55], v54, v[9:10]
	v_lshrrev_b32_e32 v35, 3, v1
	v_sub_u32_e32 v55, 29, v56
	v_cmp_gt_u32_e64 s[0:1], 8, v1
	v_cndmask_b32_e64 v1, v35, v55, s[0:1]
	v_lshl_add_u32 v1, v1, 10, v28
	v_lshlrev_b32_e32 v35, 8, v9
	v_and_b32_e32 v54, 7, v54
	v_and_b32_e32 v1, 0xfc00, v1
	v_cndmask_b32_e64 v12, v12, v54, s[0:1]
	v_and_or_b32 v1, v35, s30, v1
	v_lshl_or_b32 v54, v12, 7, v1
.LBB260_729:                            ;   in Loop: Header=BB260_424 Depth=1
	s_or_b64 exec, exec, s[20:21]
.LBB260_730:                            ;   in Loop: Header=BB260_424 Depth=1
	s_or_b64 exec, exec, s[18:19]
.LBB260_731:                            ;   in Loop: Header=BB260_424 Depth=1
	s_or_b64 exec, exec, s[16:17]
	v_lshrrev_b16_e32 v1, 8, v9
	v_cmp_ne_u16_e64 s[0:1], 0, v1
	s_and_saveexec_b64 s[16:17], s[0:1]
	s_cbranch_execz .LBB260_737
; %bb.732:                              ;   in Loop: Header=BB260_424 Depth=1
	v_cmp_ne_u16_e64 s[0:1], s28, v1
	v_bfrev_b32_e32 v53, 1
	s_and_saveexec_b64 s[18:19], s[0:1]
	s_cbranch_execz .LBB260_736
; %bb.733:                              ;   in Loop: Header=BB260_424 Depth=1
	v_and_b32_e32 v55, 0x7f, v1
	v_cmp_ne_u32_e64 s[0:1], s29, v55
	v_mov_b32_e32 v53, 0x7c010000
	s_and_saveexec_b64 s[20:21], s[0:1]
	s_cbranch_execz .LBB260_735
; %bb.734:                              ;   in Loop: Header=BB260_424 Depth=1
	v_and_b32_e32 v12, 7, v1
	v_ffbh_u32_e32 v53, v12
	v_min_u32_e32 v53, 32, v53
	v_lshrrev_b32_e32 v35, 3, v55
	v_subrev_u32_e32 v56, 28, v53
	v_sub_u32_e32 v53, 29, v53
	v_cmp_gt_u32_e64 s[0:1], 8, v55
	v_lshlrev_b64 v[56:57], v56, v[1:2]
	v_cndmask_b32_e64 v35, v35, v53, s[0:1]
	v_lshlrev_b32_e32 v1, 8, v1
	v_lshl_add_u32 v35, v35, 10, v28
	v_and_b32_e32 v53, 7, v56
	v_and_or_b32 v1, v1, s30, v35
	v_cndmask_b32_e64 v12, v12, v53, s[0:1]
	v_lshlrev_b32_e32 v1, 16, v1
	v_lshl_or_b32 v53, v12, 23, v1
.LBB260_735:                            ;   in Loop: Header=BB260_424 Depth=1
	s_or_b64 exec, exec, s[20:21]
.LBB260_736:                            ;   in Loop: Header=BB260_424 Depth=1
	s_or_b64 exec, exec, s[18:19]
.LBB260_737:                            ;   in Loop: Header=BB260_424 Depth=1
	s_or_b64 exec, exec, s[16:17]
	v_lshrrev_b32_e32 v1, 16, v9
	v_cmp_ne_u16_sdwa s[0:1], v1, v2 src0_sel:BYTE_0 src1_sel:DWORD
	v_mov_b32_e32 v55, 0
	v_mov_b32_e32 v56, 0
	s_and_saveexec_b64 s[16:17], s[0:1]
	s_cbranch_execz .LBB260_743
; %bb.738:                              ;   in Loop: Header=BB260_424 Depth=1
	v_cmp_ne_u16_sdwa s[0:1], v1, s28 src0_sel:BYTE_0 src1_sel:DWORD
	v_mov_b32_e32 v56, 0x8000
	s_and_saveexec_b64 s[18:19], s[0:1]
	s_cbranch_execz .LBB260_742
; %bb.739:                              ;   in Loop: Header=BB260_424 Depth=1
	v_bfe_u32 v57, v9, 16, 7
	v_cmp_ne_u32_e64 s[0:1], s29, v57
	v_mov_b32_e32 v56, 0x7c01
	s_and_saveexec_b64 s[20:21], s[0:1]
	s_cbranch_execz .LBB260_741
; %bb.740:                              ;   in Loop: Header=BB260_424 Depth=1
	v_and_b32_e32 v12, 7, v1
	v_ffbh_u32_e32 v56, v12
	v_min_u32_e32 v56, 32, v56
	v_lshrrev_b32_e32 v35, 3, v57
	v_subrev_u32_e32 v58, 28, v56
	v_sub_u32_e32 v56, 29, v56
	v_cmp_gt_u32_e64 s[0:1], 8, v57
	v_lshlrev_b64 v[58:59], v58, v[1:2]
	v_cndmask_b32_e64 v35, v35, v56, s[0:1]
	v_lshl_add_u32 v35, v35, 10, v28
	v_lshlrev_b32_e32 v1, 8, v1
	v_and_b32_e32 v56, 7, v58
	v_and_b32_e32 v35, 0xfc00, v35
	v_cndmask_b32_e64 v12, v12, v56, s[0:1]
	v_and_or_b32 v1, v1, s30, v35
	v_lshl_or_b32 v56, v12, 7, v1
.LBB260_741:                            ;   in Loop: Header=BB260_424 Depth=1
	s_or_b64 exec, exec, s[20:21]
.LBB260_742:                            ;   in Loop: Header=BB260_424 Depth=1
	s_or_b64 exec, exec, s[18:19]
.LBB260_743:                            ;   in Loop: Header=BB260_424 Depth=1
	s_or_b64 exec, exec, s[16:17]
	v_cmp_lt_u32_e64 s[0:1], s5, v9
	s_and_saveexec_b64 s[16:17], s[0:1]
	s_cbranch_execz .LBB260_749
; %bb.744:                              ;   in Loop: Header=BB260_424 Depth=1
	v_lshrrev_b32_e32 v1, 24, v9
	v_cmp_ne_u32_e64 s[0:1], s28, v1
	v_bfrev_b32_e32 v55, 1
	s_and_saveexec_b64 s[18:19], s[0:1]
	s_cbranch_execz .LBB260_748
; %bb.745:                              ;   in Loop: Header=BB260_424 Depth=1
	v_and_b32_e32 v57, 0x7f, v1
	v_cmp_ne_u32_e64 s[0:1], s29, v57
	v_mov_b32_e32 v55, 0x7c010000
	s_and_saveexec_b64 s[20:21], s[0:1]
	s_cbranch_execz .LBB260_747
; %bb.746:                              ;   in Loop: Header=BB260_424 Depth=1
	v_and_b32_e32 v12, 7, v1
	v_ffbh_u32_e32 v55, v12
	v_min_u32_e32 v55, 32, v55
	v_lshrrev_b32_e32 v35, 3, v57
	v_subrev_u32_e32 v58, 28, v55
	v_sub_u32_e32 v55, 29, v55
	v_cmp_gt_u32_e64 s[0:1], 8, v57
	v_lshlrev_b64 v[58:59], v58, v[1:2]
	v_cndmask_b32_e64 v35, v35, v55, s[0:1]
	v_lshlrev_b32_e32 v1, 8, v1
	v_lshl_add_u32 v35, v35, 10, v28
	v_and_b32_e32 v55, 7, v58
	v_and_or_b32 v1, v1, s30, v35
	v_cndmask_b32_e64 v12, v12, v55, s[0:1]
	v_lshlrev_b32_e32 v1, 16, v1
	v_lshl_or_b32 v55, v12, 23, v1
.LBB260_747:                            ;   in Loop: Header=BB260_424 Depth=1
	s_or_b64 exec, exec, s[20:21]
.LBB260_748:                            ;   in Loop: Header=BB260_424 Depth=1
	s_or_b64 exec, exec, s[18:19]
.LBB260_749:                            ;   in Loop: Header=BB260_424 Depth=1
	s_or_b64 exec, exec, s[16:17]
	v_mov_b32_e32 v1, v10
	v_cmp_ne_u16_sdwa s[0:1], v10, v2 src0_sel:BYTE_0 src1_sel:DWORD
	v_mov_b32_e32 v57, 0
	v_mov_b32_e32 v58, 0
	s_and_saveexec_b64 s[16:17], s[0:1]
	s_cbranch_execz .LBB260_755
; %bb.750:                              ;   in Loop: Header=BB260_424 Depth=1
	v_cmp_ne_u16_sdwa s[0:1], v10, s28 src0_sel:BYTE_0 src1_sel:DWORD
	v_mov_b32_e32 v58, 0x8000
	s_and_saveexec_b64 s[18:19], s[0:1]
	s_cbranch_execz .LBB260_754
; %bb.751:                              ;   in Loop: Header=BB260_424 Depth=1
	v_and_b32_e32 v59, 0x7f, v10
	v_cmp_ne_u32_e64 s[0:1], s29, v59
	v_mov_b32_e32 v58, 0x7c01
	s_and_saveexec_b64 s[20:21], s[0:1]
	s_cbranch_execz .LBB260_753
; %bb.752:                              ;   in Loop: Header=BB260_424 Depth=1
	v_and_b32_e32 v12, 7, v10
	v_ffbh_u32_e32 v58, v12
	v_min_u32_e32 v60, 32, v58
	v_subrev_u32_e32 v58, 28, v60
	v_lshrrev_b32_e32 v35, 3, v59
	v_cmp_gt_u32_e64 s[0:1], 8, v59
	v_lshlrev_b64 v[58:59], v58, v[1:2]
	v_sub_u32_e32 v59, 29, v60
	v_cndmask_b32_e64 v35, v35, v59, s[0:1]
	v_lshl_add_u32 v35, v35, 10, v28
	v_lshlrev_b32_e32 v59, 8, v10
	v_and_b32_e32 v58, 7, v58
	v_and_b32_e32 v35, 0xfc00, v35
	v_cndmask_b32_e64 v12, v12, v58, s[0:1]
	v_and_or_b32 v35, v59, s30, v35
	v_lshl_or_b32 v58, v12, 7, v35
.LBB260_753:                            ;   in Loop: Header=BB260_424 Depth=1
	s_or_b64 exec, exec, s[20:21]
.LBB260_754:                            ;   in Loop: Header=BB260_424 Depth=1
	s_or_b64 exec, exec, s[18:19]
.LBB260_755:                            ;   in Loop: Header=BB260_424 Depth=1
	s_or_b64 exec, exec, s[16:17]
	v_lshrrev_b16_e32 v1, 8, v1
	v_cmp_ne_u16_e64 s[0:1], 0, v1
	v_mov_b32_e32 v59, 0
	s_and_saveexec_b64 s[16:17], s[0:1]
	s_cbranch_execz .LBB260_761
; %bb.756:                              ;   in Loop: Header=BB260_424 Depth=1
	v_cmp_ne_u16_e64 s[0:1], s28, v1
	v_bfrev_b32_e32 v59, 1
	s_and_saveexec_b64 s[18:19], s[0:1]
	s_cbranch_execz .LBB260_760
; %bb.757:                              ;   in Loop: Header=BB260_424 Depth=1
	v_and_b32_e32 v60, 0x7f, v1
	v_cmp_ne_u32_e64 s[0:1], s29, v60
	v_mov_b32_e32 v59, 0x7c010000
	s_and_saveexec_b64 s[20:21], s[0:1]
	s_cbranch_execz .LBB260_759
; %bb.758:                              ;   in Loop: Header=BB260_424 Depth=1
	v_and_b32_e32 v12, 7, v1
	v_ffbh_u32_e32 v59, v12
	v_min_u32_e32 v61, 32, v59
	v_subrev_u32_e32 v59, 28, v61
	v_lshrrev_b32_e32 v35, 3, v60
	v_cmp_gt_u32_e64 s[0:1], 8, v60
	v_lshlrev_b64 v[59:60], v59, v[1:2]
	v_sub_u32_e32 v60, 29, v61
	v_cndmask_b32_e64 v35, v35, v60, s[0:1]
	v_lshlrev_b32_e32 v1, 8, v1
	v_lshl_add_u32 v35, v35, 10, v28
	v_and_b32_e32 v59, 7, v59
	v_and_or_b32 v1, v1, s30, v35
	v_cndmask_b32_e64 v12, v12, v59, s[0:1]
	v_lshlrev_b32_e32 v1, 16, v1
	v_lshl_or_b32 v59, v12, 23, v1
.LBB260_759:                            ;   in Loop: Header=BB260_424 Depth=1
	s_or_b64 exec, exec, s[20:21]
.LBB260_760:                            ;   in Loop: Header=BB260_424 Depth=1
	s_or_b64 exec, exec, s[18:19]
.LBB260_761:                            ;   in Loop: Header=BB260_424 Depth=1
	s_or_b64 exec, exec, s[16:17]
	v_lshrrev_b32_e32 v1, 16, v10
	v_cmp_ne_u16_sdwa s[0:1], v1, v2 src0_sel:BYTE_0 src1_sel:DWORD
	s_and_saveexec_b64 s[16:17], s[0:1]
	s_cbranch_execz .LBB260_767
; %bb.762:                              ;   in Loop: Header=BB260_424 Depth=1
	v_cmp_ne_u16_sdwa s[0:1], v1, s28 src0_sel:BYTE_0 src1_sel:DWORD
	v_mov_b32_e32 v57, 0x8000
	s_and_saveexec_b64 s[18:19], s[0:1]
	s_cbranch_execz .LBB260_766
; %bb.763:                              ;   in Loop: Header=BB260_424 Depth=1
	v_bfe_u32 v60, v10, 16, 7
	v_cmp_ne_u32_e64 s[0:1], s29, v60
	v_mov_b32_e32 v57, 0x7c01
	s_and_saveexec_b64 s[20:21], s[0:1]
	s_cbranch_execz .LBB260_765
; %bb.764:                              ;   in Loop: Header=BB260_424 Depth=1
	v_and_b32_e32 v12, 7, v1
	v_ffbh_u32_e32 v57, v12
	v_min_u32_e32 v57, 32, v57
	v_lshrrev_b32_e32 v35, 3, v60
	v_cmp_gt_u32_e64 s[0:1], 8, v60
	v_subrev_u32_e32 v60, 28, v57
	v_sub_u32_e32 v57, 29, v57
	v_lshlrev_b64 v[60:61], v60, v[1:2]
	v_cndmask_b32_e64 v35, v35, v57, s[0:1]
	v_lshl_add_u32 v35, v35, 10, v28
	v_lshlrev_b32_e32 v1, 8, v1
	v_and_b32_e32 v57, 7, v60
	v_and_b32_e32 v35, 0xfc00, v35
	v_cndmask_b32_e64 v12, v12, v57, s[0:1]
	v_and_or_b32 v1, v1, s30, v35
	v_lshl_or_b32 v57, v12, 7, v1
.LBB260_765:                            ;   in Loop: Header=BB260_424 Depth=1
	s_or_b64 exec, exec, s[20:21]
.LBB260_766:                            ;   in Loop: Header=BB260_424 Depth=1
	s_or_b64 exec, exec, s[18:19]
.LBB260_767:                            ;   in Loop: Header=BB260_424 Depth=1
	s_or_b64 exec, exec, s[16:17]
	v_cmp_lt_u64_e64 s[0:1], s[4:5], v[9:10]
	v_mov_b32_e32 v9, 0
	s_and_saveexec_b64 s[16:17], s[0:1]
	s_cbranch_execz .LBB260_773
; %bb.768:                              ;   in Loop: Header=BB260_424 Depth=1
	v_lshrrev_b32_e32 v1, 24, v10
	v_cmp_ne_u32_e64 s[0:1], s28, v1
	v_bfrev_b32_e32 v9, 1
	s_and_saveexec_b64 s[18:19], s[0:1]
	s_cbranch_execz .LBB260_772
; %bb.769:                              ;   in Loop: Header=BB260_424 Depth=1
	v_and_b32_e32 v10, 0x7f, v1
	v_cmp_ne_u32_e64 s[0:1], s29, v10
	v_mov_b32_e32 v9, 0x7c010000
	s_and_saveexec_b64 s[20:21], s[0:1]
	s_cbranch_execz .LBB260_771
; %bb.770:                              ;   in Loop: Header=BB260_424 Depth=1
	v_and_b32_e32 v12, 7, v1
	v_ffbh_u32_e32 v9, v12
	v_min_u32_e32 v60, 32, v9
	v_subrev_u32_e32 v9, 28, v60
	v_lshrrev_b32_e32 v35, 3, v10
	v_cmp_gt_u32_e64 s[0:1], 8, v10
	v_lshlrev_b64 v[9:10], v9, v[1:2]
	v_sub_u32_e32 v10, 29, v60
	v_cndmask_b32_e64 v10, v35, v10, s[0:1]
	v_lshlrev_b32_e32 v1, 8, v1
	v_lshl_add_u32 v10, v10, 10, v28
	v_and_b32_e32 v9, 7, v9
	v_and_or_b32 v1, v1, s30, v10
	v_cndmask_b32_e64 v9, v12, v9, s[0:1]
	v_lshlrev_b32_e32 v1, 16, v1
	v_lshl_or_b32 v9, v9, 23, v1
.LBB260_771:                            ;   in Loop: Header=BB260_424 Depth=1
	s_or_b64 exec, exec, s[20:21]
.LBB260_772:                            ;   in Loop: Header=BB260_424 Depth=1
	s_or_b64 exec, exec, s[18:19]
.LBB260_773:                            ;   in Loop: Header=BB260_424 Depth=1
	s_or_b64 exec, exec, s[16:17]
	s_waitcnt vmcnt(0)
	v_fma_mixlo_f16 v12, v52, v53, 0 op_sel:[0,1,0] op_sel_hi:[0,1,0]
	v_lshlrev_b32_e32 v60, 16, v12
	v_or_b32_e32 v12, v59, v58
	v_fma_mixlo_f16 v10, v52, v55, 0 op_sel:[0,1,0] op_sel_hi:[0,1,0]
	v_fma_mixlo_f16 v12, v52, v12, 0 op_sel_hi:[0,1,0]
	v_or_b32_e32 v1, v55, v56
	v_lshlrev_b32_e32 v55, 16, v10
	v_or_b32_e32 v10, v53, v54
	v_and_b32_e32 v58, 0xffff, v12
	v_or_b32_e32 v12, v9, v57
	v_fma_mixlo_f16 v1, v52, v1, 0 op_sel_hi:[0,1,0]
	v_fma_mixlo_f16 v10, v52, v10, 0 op_sel_hi:[0,1,0]
	v_fma_mixlo_f16 v35, v52, v59, 0 op_sel:[0,1,0] op_sel_hi:[0,1,0]
	v_fma_mixlo_f16 v12, v52, v12, 0 op_sel_hi:[0,1,0]
	v_fma_mixlo_f16 v9, v52, v9, 0 op_sel:[0,1,0] op_sel_hi:[0,1,0]
	v_and_b32_e32 v56, 0xffff, v1
	v_and_b32_e32 v61, 0xffff, v10
	v_lshlrev_b32_e32 v54, 16, v35
	v_lshlrev_b32_e32 v9, 16, v9
	v_and_b32_e32 v52, 0xffff, v12
	v_or_b32_e32 v1, v55, v56
	v_or_b32_e32 v10, v60, v61
	;; [unrolled: 1-line block ×4, first 2 shown]
	s_and_saveexec_b64 s[16:17], vcc
	s_cbranch_execz .LBB260_775
; %bb.774:                              ;   in Loop: Header=BB260_424 Depth=1
	v_cmp_gt_i32_e64 s[0:1], s33, v29
	v_cndmask_b32_e64 v1, 0, v61, s[0:1]
	v_cmp_gt_i32_e64 s[0:1], s33, v36
	v_cndmask_b32_e64 v10, 0, v60, s[0:1]
	v_cmp_gt_i32_e64 s[0:1], s33, v33
	v_or_b32_e32 v10, v10, v1
	v_cndmask_b32_e64 v1, 0, v56, s[0:1]
	v_cmp_gt_i32_e64 s[0:1], s33, v34
	v_cndmask_b32_e64 v12, 0, v55, s[0:1]
	v_cmp_gt_i32_e64 s[0:1], s33, v26
	v_or_b32_e32 v1, v12, v1
	;; [unrolled: 5-line block ×3, first 2 shown]
	v_cndmask_b32_e64 v12, 0, v52, s[0:1]
	v_cmp_gt_i32_e64 s[0:1], s33, v30
	v_cndmask_b32_e64 v9, 0, v9, s[0:1]
	v_or_b32_e32 v57, v9, v12
.LBB260_775:                            ;   in Loop: Header=BB260_424 Depth=1
	s_or_b64 exec, exec, s[16:17]
	;;#ASMSTART
	v_pk_mul_f16 v9, v40, v10;

	;;#ASMEND
	;;#ASMSTART
	v_pk_mul_f16 v1, v39, v1;

	;;#ASMEND
	;; [unrolled: 4-line block ×4, first 2 shown]
	;;#ASMSTART
	v_pk_add_f16 v1, v9, v1;

	;;#ASMEND
	;;#ASMSTART
	v_pk_add_f16 v1, v1, v10;

	;;#ASMEND
	;;#ASMSTART
	v_pk_add_f16 v1, v1, v12;

	;;#ASMEND
	v_lshrrev_b32_e32 v10, 16, v1
	v_and_b32_e32 v1, 0xffff, v1
	;;#ASMSTART
	v_cvt_f32_f16 v9, v1;
	;;#ASMEND
	;;#ASMSTART
	v_cvt_f32_f16 v10, v10;
	;;#ASMEND
	global_load_dwordx2 v[7:8], v[7:8], off offset:3584
	v_mov_b32_e32 v53, 0
	global_load_dword v52, v53, s[14:15]
	v_mov_b32_e32 v54, 0
	s_waitcnt vmcnt(1)
	v_cmp_ne_u16_sdwa s[0:1], v7, v2 src0_sel:BYTE_0 src1_sel:DWORD
	s_and_saveexec_b64 s[16:17], s[0:1]
	s_cbranch_execz .LBB260_781
; %bb.776:                              ;   in Loop: Header=BB260_424 Depth=1
	v_cmp_ne_u16_sdwa s[0:1], v7, s28 src0_sel:BYTE_0 src1_sel:DWORD
	v_mov_b32_e32 v54, 0x8000
	s_and_saveexec_b64 s[18:19], s[0:1]
	s_cbranch_execz .LBB260_780
; %bb.777:                              ;   in Loop: Header=BB260_424 Depth=1
	v_and_b32_e32 v1, 0x7f, v7
	v_cmp_ne_u32_e64 s[0:1], s29, v1
	v_mov_b32_e32 v54, 0x7c01
	s_and_saveexec_b64 s[20:21], s[0:1]
	s_cbranch_execz .LBB260_779
; %bb.778:                              ;   in Loop: Header=BB260_424 Depth=1
	v_and_b32_e32 v12, 7, v7
	v_ffbh_u32_e32 v54, v12
	v_min_u32_e32 v56, 32, v54
	v_subrev_u32_e32 v54, 28, v56
	v_lshlrev_b64 v[54:55], v54, v[7:8]
	v_lshrrev_b32_e32 v35, 3, v1
	v_sub_u32_e32 v55, 29, v56
	v_cmp_gt_u32_e64 s[0:1], 8, v1
	v_cndmask_b32_e64 v1, v35, v55, s[0:1]
	v_lshl_add_u32 v1, v1, 10, v28
	v_lshlrev_b32_e32 v35, 8, v7
	v_and_b32_e32 v54, 7, v54
	v_and_b32_e32 v1, 0xfc00, v1
	v_cndmask_b32_e64 v12, v12, v54, s[0:1]
	v_and_or_b32 v1, v35, s30, v1
	v_lshl_or_b32 v54, v12, 7, v1
.LBB260_779:                            ;   in Loop: Header=BB260_424 Depth=1
	s_or_b64 exec, exec, s[20:21]
.LBB260_780:                            ;   in Loop: Header=BB260_424 Depth=1
	s_or_b64 exec, exec, s[18:19]
.LBB260_781:                            ;   in Loop: Header=BB260_424 Depth=1
	s_or_b64 exec, exec, s[16:17]
	v_lshrrev_b16_e32 v1, 8, v7
	v_cmp_ne_u16_e64 s[0:1], 0, v1
	s_and_saveexec_b64 s[16:17], s[0:1]
	s_cbranch_execz .LBB260_787
; %bb.782:                              ;   in Loop: Header=BB260_424 Depth=1
	v_cmp_ne_u16_e64 s[0:1], s28, v1
	v_bfrev_b32_e32 v53, 1
	s_and_saveexec_b64 s[18:19], s[0:1]
	s_cbranch_execz .LBB260_786
; %bb.783:                              ;   in Loop: Header=BB260_424 Depth=1
	v_and_b32_e32 v55, 0x7f, v1
	v_cmp_ne_u32_e64 s[0:1], s29, v55
	v_mov_b32_e32 v53, 0x7c010000
	s_and_saveexec_b64 s[20:21], s[0:1]
	s_cbranch_execz .LBB260_785
; %bb.784:                              ;   in Loop: Header=BB260_424 Depth=1
	v_and_b32_e32 v12, 7, v1
	v_ffbh_u32_e32 v53, v12
	v_min_u32_e32 v53, 32, v53
	v_lshrrev_b32_e32 v35, 3, v55
	v_subrev_u32_e32 v56, 28, v53
	v_sub_u32_e32 v53, 29, v53
	v_cmp_gt_u32_e64 s[0:1], 8, v55
	v_lshlrev_b64 v[56:57], v56, v[1:2]
	v_cndmask_b32_e64 v35, v35, v53, s[0:1]
	v_lshlrev_b32_e32 v1, 8, v1
	v_lshl_add_u32 v35, v35, 10, v28
	v_and_b32_e32 v53, 7, v56
	v_and_or_b32 v1, v1, s30, v35
	v_cndmask_b32_e64 v12, v12, v53, s[0:1]
	v_lshlrev_b32_e32 v1, 16, v1
	v_lshl_or_b32 v53, v12, 23, v1
.LBB260_785:                            ;   in Loop: Header=BB260_424 Depth=1
	s_or_b64 exec, exec, s[20:21]
.LBB260_786:                            ;   in Loop: Header=BB260_424 Depth=1
	s_or_b64 exec, exec, s[18:19]
.LBB260_787:                            ;   in Loop: Header=BB260_424 Depth=1
	s_or_b64 exec, exec, s[16:17]
	v_lshrrev_b32_e32 v1, 16, v7
	v_cmp_ne_u16_sdwa s[0:1], v1, v2 src0_sel:BYTE_0 src1_sel:DWORD
	v_mov_b32_e32 v55, 0
	v_mov_b32_e32 v56, 0
	s_and_saveexec_b64 s[16:17], s[0:1]
	s_cbranch_execz .LBB260_793
; %bb.788:                              ;   in Loop: Header=BB260_424 Depth=1
	v_cmp_ne_u16_sdwa s[0:1], v1, s28 src0_sel:BYTE_0 src1_sel:DWORD
	v_mov_b32_e32 v56, 0x8000
	s_and_saveexec_b64 s[18:19], s[0:1]
	s_cbranch_execz .LBB260_792
; %bb.789:                              ;   in Loop: Header=BB260_424 Depth=1
	v_bfe_u32 v57, v7, 16, 7
	v_cmp_ne_u32_e64 s[0:1], s29, v57
	v_mov_b32_e32 v56, 0x7c01
	s_and_saveexec_b64 s[20:21], s[0:1]
	s_cbranch_execz .LBB260_791
; %bb.790:                              ;   in Loop: Header=BB260_424 Depth=1
	v_and_b32_e32 v12, 7, v1
	v_ffbh_u32_e32 v56, v12
	v_min_u32_e32 v56, 32, v56
	v_lshrrev_b32_e32 v35, 3, v57
	v_subrev_u32_e32 v58, 28, v56
	v_sub_u32_e32 v56, 29, v56
	v_cmp_gt_u32_e64 s[0:1], 8, v57
	v_lshlrev_b64 v[58:59], v58, v[1:2]
	v_cndmask_b32_e64 v35, v35, v56, s[0:1]
	v_lshl_add_u32 v35, v35, 10, v28
	v_lshlrev_b32_e32 v1, 8, v1
	v_and_b32_e32 v56, 7, v58
	v_and_b32_e32 v35, 0xfc00, v35
	v_cndmask_b32_e64 v12, v12, v56, s[0:1]
	v_and_or_b32 v1, v1, s30, v35
	v_lshl_or_b32 v56, v12, 7, v1
.LBB260_791:                            ;   in Loop: Header=BB260_424 Depth=1
	s_or_b64 exec, exec, s[20:21]
.LBB260_792:                            ;   in Loop: Header=BB260_424 Depth=1
	s_or_b64 exec, exec, s[18:19]
.LBB260_793:                            ;   in Loop: Header=BB260_424 Depth=1
	s_or_b64 exec, exec, s[16:17]
	v_cmp_lt_u32_e64 s[0:1], s5, v7
	s_and_saveexec_b64 s[16:17], s[0:1]
	s_cbranch_execz .LBB260_799
; %bb.794:                              ;   in Loop: Header=BB260_424 Depth=1
	v_lshrrev_b32_e32 v1, 24, v7
	v_cmp_ne_u32_e64 s[0:1], s28, v1
	v_bfrev_b32_e32 v55, 1
	s_and_saveexec_b64 s[18:19], s[0:1]
	s_cbranch_execz .LBB260_798
; %bb.795:                              ;   in Loop: Header=BB260_424 Depth=1
	v_and_b32_e32 v57, 0x7f, v1
	v_cmp_ne_u32_e64 s[0:1], s29, v57
	v_mov_b32_e32 v55, 0x7c010000
	s_and_saveexec_b64 s[20:21], s[0:1]
	s_cbranch_execz .LBB260_797
; %bb.796:                              ;   in Loop: Header=BB260_424 Depth=1
	v_and_b32_e32 v12, 7, v1
	v_ffbh_u32_e32 v55, v12
	v_min_u32_e32 v55, 32, v55
	v_lshrrev_b32_e32 v35, 3, v57
	v_subrev_u32_e32 v58, 28, v55
	v_sub_u32_e32 v55, 29, v55
	v_cmp_gt_u32_e64 s[0:1], 8, v57
	v_lshlrev_b64 v[58:59], v58, v[1:2]
	v_cndmask_b32_e64 v35, v35, v55, s[0:1]
	v_lshlrev_b32_e32 v1, 8, v1
	v_lshl_add_u32 v35, v35, 10, v28
	v_and_b32_e32 v55, 7, v58
	v_and_or_b32 v1, v1, s30, v35
	v_cndmask_b32_e64 v12, v12, v55, s[0:1]
	v_lshlrev_b32_e32 v1, 16, v1
	v_lshl_or_b32 v55, v12, 23, v1
.LBB260_797:                            ;   in Loop: Header=BB260_424 Depth=1
	s_or_b64 exec, exec, s[20:21]
.LBB260_798:                            ;   in Loop: Header=BB260_424 Depth=1
	s_or_b64 exec, exec, s[18:19]
.LBB260_799:                            ;   in Loop: Header=BB260_424 Depth=1
	s_or_b64 exec, exec, s[16:17]
	v_mov_b32_e32 v1, v8
	v_cmp_ne_u16_sdwa s[0:1], v8, v2 src0_sel:BYTE_0 src1_sel:DWORD
	v_mov_b32_e32 v57, 0
	v_mov_b32_e32 v58, 0
	s_and_saveexec_b64 s[16:17], s[0:1]
	s_cbranch_execz .LBB260_805
; %bb.800:                              ;   in Loop: Header=BB260_424 Depth=1
	v_cmp_ne_u16_sdwa s[0:1], v8, s28 src0_sel:BYTE_0 src1_sel:DWORD
	v_mov_b32_e32 v58, 0x8000
	s_and_saveexec_b64 s[18:19], s[0:1]
	s_cbranch_execz .LBB260_804
; %bb.801:                              ;   in Loop: Header=BB260_424 Depth=1
	v_and_b32_e32 v59, 0x7f, v8
	v_cmp_ne_u32_e64 s[0:1], s29, v59
	v_mov_b32_e32 v58, 0x7c01
	s_and_saveexec_b64 s[20:21], s[0:1]
	s_cbranch_execz .LBB260_803
; %bb.802:                              ;   in Loop: Header=BB260_424 Depth=1
	v_and_b32_e32 v12, 7, v8
	v_ffbh_u32_e32 v58, v12
	v_min_u32_e32 v60, 32, v58
	v_subrev_u32_e32 v58, 28, v60
	v_lshrrev_b32_e32 v35, 3, v59
	v_cmp_gt_u32_e64 s[0:1], 8, v59
	v_lshlrev_b64 v[58:59], v58, v[1:2]
	v_sub_u32_e32 v59, 29, v60
	v_cndmask_b32_e64 v35, v35, v59, s[0:1]
	v_lshl_add_u32 v35, v35, 10, v28
	v_lshlrev_b32_e32 v59, 8, v8
	v_and_b32_e32 v58, 7, v58
	v_and_b32_e32 v35, 0xfc00, v35
	v_cndmask_b32_e64 v12, v12, v58, s[0:1]
	v_and_or_b32 v35, v59, s30, v35
	v_lshl_or_b32 v58, v12, 7, v35
.LBB260_803:                            ;   in Loop: Header=BB260_424 Depth=1
	s_or_b64 exec, exec, s[20:21]
.LBB260_804:                            ;   in Loop: Header=BB260_424 Depth=1
	s_or_b64 exec, exec, s[18:19]
.LBB260_805:                            ;   in Loop: Header=BB260_424 Depth=1
	s_or_b64 exec, exec, s[16:17]
	v_lshrrev_b16_e32 v1, 8, v1
	v_cmp_ne_u16_e64 s[0:1], 0, v1
	v_mov_b32_e32 v59, 0
	s_and_saveexec_b64 s[16:17], s[0:1]
	s_cbranch_execz .LBB260_811
; %bb.806:                              ;   in Loop: Header=BB260_424 Depth=1
	v_cmp_ne_u16_e64 s[0:1], s28, v1
	v_bfrev_b32_e32 v59, 1
	s_and_saveexec_b64 s[18:19], s[0:1]
	s_cbranch_execz .LBB260_810
; %bb.807:                              ;   in Loop: Header=BB260_424 Depth=1
	v_and_b32_e32 v60, 0x7f, v1
	v_cmp_ne_u32_e64 s[0:1], s29, v60
	v_mov_b32_e32 v59, 0x7c010000
	s_and_saveexec_b64 s[20:21], s[0:1]
	s_cbranch_execz .LBB260_809
; %bb.808:                              ;   in Loop: Header=BB260_424 Depth=1
	v_and_b32_e32 v12, 7, v1
	v_ffbh_u32_e32 v59, v12
	v_min_u32_e32 v61, 32, v59
	v_subrev_u32_e32 v59, 28, v61
	v_lshrrev_b32_e32 v35, 3, v60
	v_cmp_gt_u32_e64 s[0:1], 8, v60
	v_lshlrev_b64 v[59:60], v59, v[1:2]
	v_sub_u32_e32 v60, 29, v61
	v_cndmask_b32_e64 v35, v35, v60, s[0:1]
	v_lshlrev_b32_e32 v1, 8, v1
	v_lshl_add_u32 v35, v35, 10, v28
	v_and_b32_e32 v59, 7, v59
	v_and_or_b32 v1, v1, s30, v35
	v_cndmask_b32_e64 v12, v12, v59, s[0:1]
	v_lshlrev_b32_e32 v1, 16, v1
	v_lshl_or_b32 v59, v12, 23, v1
.LBB260_809:                            ;   in Loop: Header=BB260_424 Depth=1
	s_or_b64 exec, exec, s[20:21]
.LBB260_810:                            ;   in Loop: Header=BB260_424 Depth=1
	s_or_b64 exec, exec, s[18:19]
.LBB260_811:                            ;   in Loop: Header=BB260_424 Depth=1
	s_or_b64 exec, exec, s[16:17]
	v_lshrrev_b32_e32 v1, 16, v8
	v_cmp_ne_u16_sdwa s[0:1], v1, v2 src0_sel:BYTE_0 src1_sel:DWORD
	s_and_saveexec_b64 s[16:17], s[0:1]
	s_cbranch_execz .LBB260_817
; %bb.812:                              ;   in Loop: Header=BB260_424 Depth=1
	v_cmp_ne_u16_sdwa s[0:1], v1, s28 src0_sel:BYTE_0 src1_sel:DWORD
	v_mov_b32_e32 v57, 0x8000
	s_and_saveexec_b64 s[18:19], s[0:1]
	s_cbranch_execz .LBB260_816
; %bb.813:                              ;   in Loop: Header=BB260_424 Depth=1
	v_bfe_u32 v60, v8, 16, 7
	v_cmp_ne_u32_e64 s[0:1], s29, v60
	v_mov_b32_e32 v57, 0x7c01
	s_and_saveexec_b64 s[20:21], s[0:1]
	s_cbranch_execz .LBB260_815
; %bb.814:                              ;   in Loop: Header=BB260_424 Depth=1
	v_and_b32_e32 v12, 7, v1
	v_ffbh_u32_e32 v57, v12
	v_min_u32_e32 v57, 32, v57
	v_lshrrev_b32_e32 v35, 3, v60
	v_cmp_gt_u32_e64 s[0:1], 8, v60
	v_subrev_u32_e32 v60, 28, v57
	v_sub_u32_e32 v57, 29, v57
	v_lshlrev_b64 v[60:61], v60, v[1:2]
	v_cndmask_b32_e64 v35, v35, v57, s[0:1]
	v_lshl_add_u32 v35, v35, 10, v28
	v_lshlrev_b32_e32 v1, 8, v1
	v_and_b32_e32 v57, 7, v60
	v_and_b32_e32 v35, 0xfc00, v35
	v_cndmask_b32_e64 v12, v12, v57, s[0:1]
	v_and_or_b32 v1, v1, s30, v35
	v_lshl_or_b32 v57, v12, 7, v1
.LBB260_815:                            ;   in Loop: Header=BB260_424 Depth=1
	s_or_b64 exec, exec, s[20:21]
.LBB260_816:                            ;   in Loop: Header=BB260_424 Depth=1
	s_or_b64 exec, exec, s[18:19]
.LBB260_817:                            ;   in Loop: Header=BB260_424 Depth=1
	s_or_b64 exec, exec, s[16:17]
	v_cmp_lt_u64_e64 s[0:1], s[4:5], v[7:8]
	v_mov_b32_e32 v60, 0
	s_and_saveexec_b64 s[16:17], s[0:1]
	s_cbranch_execz .LBB260_823
; %bb.818:                              ;   in Loop: Header=BB260_424 Depth=1
	v_lshrrev_b32_e32 v1, 24, v8
	v_cmp_ne_u32_e64 s[0:1], s28, v1
	v_bfrev_b32_e32 v60, 1
	s_and_saveexec_b64 s[18:19], s[0:1]
	s_cbranch_execz .LBB260_822
; %bb.819:                              ;   in Loop: Header=BB260_424 Depth=1
	v_and_b32_e32 v7, 0x7f, v1
	v_cmp_ne_u32_e64 s[0:1], s29, v7
	v_mov_b32_e32 v60, 0x7c010000
	s_and_saveexec_b64 s[20:21], s[0:1]
	s_cbranch_execz .LBB260_821
; %bb.820:                              ;   in Loop: Header=BB260_424 Depth=1
	v_and_b32_e32 v12, 7, v1
	v_lshrrev_b32_e32 v35, 3, v7
	v_cmp_gt_u32_e64 s[0:1], 8, v7
	v_ffbh_u32_e32 v7, v12
	v_min_u32_e32 v60, 32, v7
	v_subrev_u32_e32 v7, 28, v60
	v_lshlrev_b64 v[7:8], v7, v[1:2]
	v_sub_u32_e32 v8, 29, v60
	v_cndmask_b32_e64 v8, v35, v8, s[0:1]
	v_lshlrev_b32_e32 v1, 8, v1
	v_lshl_add_u32 v8, v8, 10, v28
	v_and_b32_e32 v7, 7, v7
	v_and_or_b32 v1, v1, s30, v8
	v_cndmask_b32_e64 v7, v12, v7, s[0:1]
	v_lshlrev_b32_e32 v1, 16, v1
	v_lshl_or_b32 v60, v7, 23, v1
.LBB260_821:                            ;   in Loop: Header=BB260_424 Depth=1
	s_or_b64 exec, exec, s[20:21]
.LBB260_822:                            ;   in Loop: Header=BB260_424 Depth=1
	s_or_b64 exec, exec, s[18:19]
.LBB260_823:                            ;   in Loop: Header=BB260_424 Depth=1
	s_or_b64 exec, exec, s[16:17]
	s_waitcnt vmcnt(0)
	v_fma_mixlo_f16 v7, v52, v55, 0 op_sel:[0,1,0] op_sel_hi:[0,1,0]
	v_fma_mixlo_f16 v8, v52, v53, 0 op_sel:[0,1,0] op_sel_hi:[0,1,0]
	;; [unrolled: 1-line block ×3, first 2 shown]
	v_or_b32_e32 v1, v55, v56
	v_lshlrev_b32_e32 v55, 16, v7
	v_or_b32_e32 v7, v53, v54
	v_lshlrev_b32_e32 v61, 16, v8
	;; [unrolled: 2-line block ×3, first 2 shown]
	v_or_b32_e32 v12, v60, v57
	v_fma_mixlo_f16 v1, v52, v1, 0 op_sel_hi:[0,1,0]
	v_fma_mixlo_f16 v7, v52, v7, 0 op_sel_hi:[0,1,0]
	;; [unrolled: 1-line block ×4, first 2 shown]
	v_fma_mixlo_f16 v35, v52, v60, 0 op_sel:[0,1,0] op_sel_hi:[0,1,0]
	v_and_b32_e32 v56, 0xffff, v1
	v_and_b32_e32 v62, 0xffff, v7
	;; [unrolled: 1-line block ×3, first 2 shown]
	v_lshlrev_b32_e32 v54, 16, v35
	v_and_b32_e32 v57, 0xffff, v12
	v_or_b32_e32 v1, v55, v56
	v_or_b32_e32 v7, v61, v62
	;; [unrolled: 1-line block ×4, first 2 shown]
	s_and_saveexec_b64 s[0:1], vcc
	s_cbranch_execz .LBB260_422
; %bb.824:                              ;   in Loop: Header=BB260_424 Depth=1
	v_cmp_gt_i32_e32 vcc, s33, v29
	v_cndmask_b32_e32 v1, 0, v62, vcc
	v_cmp_gt_i32_e32 vcc, s33, v36
	v_cndmask_b32_e32 v7, 0, v61, vcc
	v_cmp_gt_i32_e32 vcc, s33, v33
	v_or_b32_e32 v7, v7, v1
	v_cndmask_b32_e32 v1, 0, v56, vcc
	v_cmp_gt_i32_e32 vcc, s33, v34
	v_cndmask_b32_e32 v8, 0, v55, vcc
	v_cmp_gt_i32_e32 vcc, s33, v26
	v_or_b32_e32 v1, v8, v1
	;; [unrolled: 5-line block ×3, first 2 shown]
	v_cndmask_b32_e32 v12, 0, v57, vcc
	v_cmp_gt_i32_e32 vcc, s33, v30
	v_cndmask_b32_e32 v26, 0, v54, vcc
	v_or_b32_e32 v52, v26, v12
	s_branch .LBB260_422
.LBB260_825:
	s_or_b64 exec, exec, s[6:7]
	buffer_load_dword v24, off, s[56:59], 0 offset:180 ; 4-byte Folded Reload
.LBB260_826:
	s_or_b64 exec, exec, s[2:3]
	ds_bpermute_b32 v0, v11, v25
	ds_bpermute_b32 v1, v11, v18
	ds_bpermute_b32 v2, v11, v23
	ds_bpermute_b32 v6, v11, v22
	ds_bpermute_b32 v9, v11, v20
	s_waitcnt lgkmcnt(4)
	v_add_f32_e32 v0, v25, v0
	s_waitcnt lgkmcnt(3)
	v_add_f32_e32 v3, v18, v1
	ds_bpermute_b32 v1, v16, v0
	ds_bpermute_b32 v4, v16, v3
	s_waitcnt lgkmcnt(4)
	v_add_f32_e32 v2, v23, v2
	ds_bpermute_b32 v7, v11, v19
	ds_bpermute_b32 v5, v16, v2
	s_waitcnt lgkmcnt(3)
	v_add_f32_e32 v1, v0, v1
	s_waitcnt lgkmcnt(2)
	v_add_f32_e32 v0, v3, v4
	ds_bpermute_b32 v3, v11, v21
	v_add_f32_e32 v4, v22, v6
	ds_bpermute_b32 v6, v11, v15
	v_add_f32_e32 v9, v20, v9
	s_waitcnt lgkmcnt(3)
	v_add_f32_e32 v12, v19, v7
	s_waitcnt lgkmcnt(1)
	v_add_f32_e32 v3, v21, v3
	ds_bpermute_b32 v8, v16, v3
	s_waitcnt lgkmcnt(1)
	v_add_f32_e32 v10, v15, v6
	ds_bpermute_b32 v15, v16, v9
	v_add_f32_e32 v2, v2, v5
	ds_bpermute_b32 v5, v16, v4
	ds_bpermute_b32 v11, v16, v10
	;; [unrolled: 1-line block ×3, first 2 shown]
	s_waitcnt lgkmcnt(4)
	v_add_f32_e32 v6, v3, v8
	s_waitcnt lgkmcnt(3)
	v_add_f32_e32 v3, v9, v15
	s_waitcnt vmcnt(0)
	v_and_b32_e32 v9, 0x3c3, v24
	s_waitcnt lgkmcnt(2)
	v_add_f32_e32 v7, v4, v5
	s_waitcnt lgkmcnt(1)
	v_add_f32_e32 v5, v10, v11
	;; [unrolled: 2-line block ×3, first 2 shown]
	v_cmp_eq_u32_e32 vcc, 64, v9
	s_barrier
	s_and_saveexec_b64 s[0:1], vcc
	s_cbranch_execz .LBB260_828
; %bb.827:
	v_add_u32_e32 v8, 0x110, v14
	ds_write2_b32 v8, v1, v0 offset1:16
	ds_write2_b32 v8, v2, v7 offset0:32 offset1:48
	ds_write2_b32 v8, v6, v5 offset0:64 offset1:80
	;; [unrolled: 1-line block ×3, first 2 shown]
.LBB260_828:
	s_or_b64 exec, exec, s[0:1]
	v_cmp_gt_u32_e32 vcc, 64, v24
	v_lshrrev_b32_e32 v8, 2, v24
	s_waitcnt lgkmcnt(0)
	s_barrier
	s_and_saveexec_b64 s[0:1], vcc
	s_cbranch_execz .LBB260_839
; %bb.829:
	v_mov_b32_e32 v10, 0x110
	v_cmp_eq_u32_e32 vcc, 0, v17
	v_lshl_add_u32 v10, v8, 2, v10
	s_and_saveexec_b64 s[2:3], vcc
	s_cbranch_execnz .LBB260_842
; %bb.830:
	s_or_b64 exec, exec, s[2:3]
	s_and_saveexec_b64 s[2:3], vcc
	s_cbranch_execnz .LBB260_843
.LBB260_831:
	s_or_b64 exec, exec, s[2:3]
	s_and_saveexec_b64 s[2:3], vcc
	s_cbranch_execnz .LBB260_844
.LBB260_832:
	s_or_b64 exec, exec, s[2:3]
	s_and_saveexec_b64 s[2:3], vcc
	s_cbranch_execnz .LBB260_845
.LBB260_833:
	s_or_b64 exec, exec, s[2:3]
	s_and_saveexec_b64 s[2:3], vcc
	s_cbranch_execnz .LBB260_846
.LBB260_834:
	s_or_b64 exec, exec, s[2:3]
	s_and_saveexec_b64 s[2:3], vcc
	s_cbranch_execnz .LBB260_847
.LBB260_835:
	s_or_b64 exec, exec, s[2:3]
	s_and_saveexec_b64 s[2:3], vcc
	s_cbranch_execnz .LBB260_848
.LBB260_836:
	s_or_b64 exec, exec, s[2:3]
	s_and_saveexec_b64 s[2:3], vcc
	s_cbranch_execz .LBB260_838
.LBB260_837:
	ds_read_b32 v10, v10 offset:448
	s_waitcnt lgkmcnt(0)
	v_add_f32_e32 v3, v3, v10
.LBB260_838:
	s_or_b64 exec, exec, s[2:3]
.LBB260_839:
	s_or_b64 exec, exec, s[0:1]
	v_cmp_eq_u32_e32 vcc, 0, v9
	s_barrier
	s_and_saveexec_b64 s[0:1], vcc
	s_cbranch_execz .LBB260_841
; %bb.840:
	s_mul_i32 s0, s10, s11
	s_mul_i32 s0, s0, s9
	s_lshl_b32 s0, s0, 7
	s_ashr_i32 s1, s0, 31
	s_lshl_b64 s[0:1], s[0:1], 1
	s_add_u32 s2, s26, s0
	s_mul_i32 s0, s11, s24
	s_addc_u32 s3, s27, s1
	s_ashr_i32 s1, s0, 31
	s_lshl_b64 s[0:1], s[0:1], 1
	s_add_u32 s2, s2, s0
	s_addc_u32 s3, s3, s1
	s_lshl_b32 s0, s8, 7
	s_ashr_i32 s1, s0, 31
	s_lshl_b64 s[0:1], s[0:1], 1
	s_add_u32 s0, s2, s0
	s_addc_u32 s1, s3, s1
	v_lshlrev_b32_e32 v8, 1, v8
	;;#ASMSTART
	v_cvt_f16_f32 v1, v1;

	;;#ASMEND
	global_store_short v8, v1, s[0:1]
	;;#ASMSTART
	v_cvt_f16_f32 v0, v0;

	;;#ASMEND
	global_store_short v8, v0, s[0:1] offset:32
	;;#ASMSTART
	v_cvt_f16_f32 v0, v2;

	;;#ASMEND
	global_store_short v8, v0, s[0:1] offset:64
	;; [unrolled: 5-line block ×7, first 2 shown]
.LBB260_841:
	s_endpgm
.LBB260_842:
	ds_read_b32 v11, v10
	s_waitcnt lgkmcnt(0)
	v_add_f32_e32 v1, v1, v11
	s_or_b64 exec, exec, s[2:3]
	s_and_saveexec_b64 s[2:3], vcc
	s_cbranch_execz .LBB260_831
.LBB260_843:
	ds_read_b32 v11, v10 offset:64
	s_waitcnt lgkmcnt(0)
	v_add_f32_e32 v0, v0, v11
	s_or_b64 exec, exec, s[2:3]
	s_and_saveexec_b64 s[2:3], vcc
	s_cbranch_execz .LBB260_832
.LBB260_844:
	ds_read_b32 v11, v10 offset:128
	s_waitcnt lgkmcnt(0)
	v_add_f32_e32 v2, v2, v11
	s_or_b64 exec, exec, s[2:3]
	s_and_saveexec_b64 s[2:3], vcc
	s_cbranch_execz .LBB260_833
.LBB260_845:
	ds_read_b32 v11, v10 offset:192
	s_waitcnt lgkmcnt(0)
	v_add_f32_e32 v7, v7, v11
	s_or_b64 exec, exec, s[2:3]
	s_and_saveexec_b64 s[2:3], vcc
	s_cbranch_execz .LBB260_834
.LBB260_846:
	ds_read_b32 v11, v10 offset:256
	s_waitcnt lgkmcnt(0)
	v_add_f32_e32 v6, v6, v11
	s_or_b64 exec, exec, s[2:3]
	s_and_saveexec_b64 s[2:3], vcc
	s_cbranch_execz .LBB260_835
.LBB260_847:
	ds_read_b32 v11, v10 offset:320
	s_waitcnt lgkmcnt(0)
	v_add_f32_e32 v5, v5, v11
	s_or_b64 exec, exec, s[2:3]
	s_and_saveexec_b64 s[2:3], vcc
	s_cbranch_execz .LBB260_836
.LBB260_848:
	ds_read_b32 v11, v10 offset:384
	s_waitcnt lgkmcnt(0)
	v_add_f32_e32 v4, v4, v11
	s_or_b64 exec, exec, s[2:3]
	s_and_saveexec_b64 s[2:3], vcc
	s_cbranch_execnz .LBB260_837
	s_branch .LBB260_838
	.section	.rodata,"a",@progbits
	.p2align	6, 0x0
	.amdhsa_kernel _ZN4vllm25paged_attention_v1_kernelIthLi128ELi32ELi128ELNS_18Fp8KVCacheDataTypeE1ELb1EEEvPT_PKS2_PKT0_S8_ifPKiSA_iPKfiiiSC_SC_iiiii
		.amdhsa_group_segment_fixed_size 272
		.amdhsa_private_segment_fixed_size 200
		.amdhsa_kernarg_size 384
		.amdhsa_user_sgpr_count 6
		.amdhsa_user_sgpr_private_segment_buffer 1
		.amdhsa_user_sgpr_dispatch_ptr 0
		.amdhsa_user_sgpr_queue_ptr 0
		.amdhsa_user_sgpr_kernarg_segment_ptr 1
		.amdhsa_user_sgpr_dispatch_id 0
		.amdhsa_user_sgpr_flat_scratch_init 0
		.amdhsa_user_sgpr_private_segment_size 0
		.amdhsa_uses_dynamic_stack 0
		.amdhsa_system_sgpr_private_segment_wavefront_offset 1
		.amdhsa_system_sgpr_workgroup_id_x 1
		.amdhsa_system_sgpr_workgroup_id_y 1
		.amdhsa_system_sgpr_workgroup_id_z 1
		.amdhsa_system_sgpr_workgroup_info 0
		.amdhsa_system_vgpr_workitem_id 0
		.amdhsa_next_free_vgpr 64
		.amdhsa_next_free_sgpr 60
		.amdhsa_reserve_vcc 1
		.amdhsa_reserve_flat_scratch 0
		.amdhsa_float_round_mode_32 0
		.amdhsa_float_round_mode_16_64 0
		.amdhsa_float_denorm_mode_32 3
		.amdhsa_float_denorm_mode_16_64 3
		.amdhsa_dx10_clamp 1
		.amdhsa_ieee_mode 1
		.amdhsa_fp16_overflow 0
		.amdhsa_exception_fp_ieee_invalid_op 0
		.amdhsa_exception_fp_denorm_src 0
		.amdhsa_exception_fp_ieee_div_zero 0
		.amdhsa_exception_fp_ieee_overflow 0
		.amdhsa_exception_fp_ieee_underflow 0
		.amdhsa_exception_fp_ieee_inexact 0
		.amdhsa_exception_int_div_zero 0
	.end_amdhsa_kernel
	.section	.text._ZN4vllm25paged_attention_v1_kernelIthLi128ELi32ELi128ELNS_18Fp8KVCacheDataTypeE1ELb1EEEvPT_PKS2_PKT0_S8_ifPKiSA_iPKfiiiSC_SC_iiiii,"axG",@progbits,_ZN4vllm25paged_attention_v1_kernelIthLi128ELi32ELi128ELNS_18Fp8KVCacheDataTypeE1ELb1EEEvPT_PKS2_PKT0_S8_ifPKiSA_iPKfiiiSC_SC_iiiii,comdat
.Lfunc_end260:
	.size	_ZN4vllm25paged_attention_v1_kernelIthLi128ELi32ELi128ELNS_18Fp8KVCacheDataTypeE1ELb1EEEvPT_PKS2_PKT0_S8_ifPKiSA_iPKfiiiSC_SC_iiiii, .Lfunc_end260-_ZN4vllm25paged_attention_v1_kernelIthLi128ELi32ELi128ELNS_18Fp8KVCacheDataTypeE1ELb1EEEvPT_PKS2_PKT0_S8_ifPKiSA_iPKfiiiSC_SC_iiiii
                                        ; -- End function
	.set _ZN4vllm25paged_attention_v1_kernelIthLi128ELi32ELi128ELNS_18Fp8KVCacheDataTypeE1ELb1EEEvPT_PKS2_PKT0_S8_ifPKiSA_iPKfiiiSC_SC_iiiii.num_vgpr, 64
	.set _ZN4vllm25paged_attention_v1_kernelIthLi128ELi32ELi128ELNS_18Fp8KVCacheDataTypeE1ELb1EEEvPT_PKS2_PKT0_S8_ifPKiSA_iPKfiiiSC_SC_iiiii.num_agpr, 0
	.set _ZN4vllm25paged_attention_v1_kernelIthLi128ELi32ELi128ELNS_18Fp8KVCacheDataTypeE1ELb1EEEvPT_PKS2_PKT0_S8_ifPKiSA_iPKfiiiSC_SC_iiiii.numbered_sgpr, 60
	.set _ZN4vllm25paged_attention_v1_kernelIthLi128ELi32ELi128ELNS_18Fp8KVCacheDataTypeE1ELb1EEEvPT_PKS2_PKT0_S8_ifPKiSA_iPKfiiiSC_SC_iiiii.num_named_barrier, 0
	.set _ZN4vllm25paged_attention_v1_kernelIthLi128ELi32ELi128ELNS_18Fp8KVCacheDataTypeE1ELb1EEEvPT_PKS2_PKT0_S8_ifPKiSA_iPKfiiiSC_SC_iiiii.private_seg_size, 200
	.set _ZN4vllm25paged_attention_v1_kernelIthLi128ELi32ELi128ELNS_18Fp8KVCacheDataTypeE1ELb1EEEvPT_PKS2_PKT0_S8_ifPKiSA_iPKfiiiSC_SC_iiiii.uses_vcc, 1
	.set _ZN4vllm25paged_attention_v1_kernelIthLi128ELi32ELi128ELNS_18Fp8KVCacheDataTypeE1ELb1EEEvPT_PKS2_PKT0_S8_ifPKiSA_iPKfiiiSC_SC_iiiii.uses_flat_scratch, 0
	.set _ZN4vllm25paged_attention_v1_kernelIthLi128ELi32ELi128ELNS_18Fp8KVCacheDataTypeE1ELb1EEEvPT_PKS2_PKT0_S8_ifPKiSA_iPKfiiiSC_SC_iiiii.has_dyn_sized_stack, 0
	.set _ZN4vllm25paged_attention_v1_kernelIthLi128ELi32ELi128ELNS_18Fp8KVCacheDataTypeE1ELb1EEEvPT_PKS2_PKT0_S8_ifPKiSA_iPKfiiiSC_SC_iiiii.has_recursion, 0
	.set _ZN4vllm25paged_attention_v1_kernelIthLi128ELi32ELi128ELNS_18Fp8KVCacheDataTypeE1ELb1EEEvPT_PKS2_PKT0_S8_ifPKiSA_iPKfiiiSC_SC_iiiii.has_indirect_call, 0
	.section	.AMDGPU.csdata,"",@progbits
; Kernel info:
; codeLenInByte = 36124
; TotalNumSgprs: 64
; NumVgprs: 64
; ScratchSize: 200
; MemoryBound: 0
; FloatMode: 240
; IeeeMode: 1
; LDSByteSize: 272 bytes/workgroup (compile time only)
; SGPRBlocks: 7
; VGPRBlocks: 15
; NumSGPRsForWavesPerEU: 64
; NumVGPRsForWavesPerEU: 64
; Occupancy: 4
; WaveLimiterHint : 1
; COMPUTE_PGM_RSRC2:SCRATCH_EN: 1
; COMPUTE_PGM_RSRC2:USER_SGPR: 6
; COMPUTE_PGM_RSRC2:TRAP_HANDLER: 0
; COMPUTE_PGM_RSRC2:TGID_X_EN: 1
; COMPUTE_PGM_RSRC2:TGID_Y_EN: 1
; COMPUTE_PGM_RSRC2:TGID_Z_EN: 1
; COMPUTE_PGM_RSRC2:TIDIG_COMP_CNT: 0
	.section	.text._ZN4vllm25paged_attention_v1_kernelIthLi192ELi32ELi128ELNS_18Fp8KVCacheDataTypeE1ELb1EEEvPT_PKS2_PKT0_S8_ifPKiSA_iPKfiiiSC_SC_iiiii,"axG",@progbits,_ZN4vllm25paged_attention_v1_kernelIthLi192ELi32ELi128ELNS_18Fp8KVCacheDataTypeE1ELb1EEEvPT_PKS2_PKT0_S8_ifPKiSA_iPKfiiiSC_SC_iiiii,comdat
	.protected	_ZN4vllm25paged_attention_v1_kernelIthLi192ELi32ELi128ELNS_18Fp8KVCacheDataTypeE1ELb1EEEvPT_PKS2_PKT0_S8_ifPKiSA_iPKfiiiSC_SC_iiiii ; -- Begin function _ZN4vllm25paged_attention_v1_kernelIthLi192ELi32ELi128ELNS_18Fp8KVCacheDataTypeE1ELb1EEEvPT_PKS2_PKT0_S8_ifPKiSA_iPKfiiiSC_SC_iiiii
	.globl	_ZN4vllm25paged_attention_v1_kernelIthLi192ELi32ELi128ELNS_18Fp8KVCacheDataTypeE1ELb1EEEvPT_PKS2_PKT0_S8_ifPKiSA_iPKfiiiSC_SC_iiiii
	.p2align	8
	.type	_ZN4vllm25paged_attention_v1_kernelIthLi192ELi32ELi128ELNS_18Fp8KVCacheDataTypeE1ELb1EEEvPT_PKS2_PKT0_S8_ifPKiSA_iPKfiiiSC_SC_iiiii,@function
_ZN4vllm25paged_attention_v1_kernelIthLi192ELi32ELi128ELNS_18Fp8KVCacheDataTypeE1ELb1EEEvPT_PKS2_PKT0_S8_ifPKiSA_iPKfiiiSC_SC_iiiii: ; @_ZN4vllm25paged_attention_v1_kernelIthLi192ELi32ELi128ELNS_18Fp8KVCacheDataTypeE1ELb1EEEvPT_PKS2_PKT0_S8_ifPKiSA_iPKfiiiSC_SC_iiiii
; %bb.0:
	s_mov_b64 s[58:59], s[2:3]
	s_mov_b64 s[56:57], s[0:1]
	s_add_u32 s56, s56, s9
	s_load_dword s9, s[4:5], 0x80
	s_load_dwordx2 s[0:1], s[4:5], 0x30
	s_load_dwordx2 s[36:37], s[4:5], 0x20
	s_addc_u32 s57, s57, 0
	s_mov_b32 s10, s7
	s_ashr_i32 s11, s7, 31
	s_lshl_b64 s[2:3], s[10:11], 2
	s_waitcnt lgkmcnt(0)
	s_add_u32 s0, s0, s2
	s_addc_u32 s1, s1, s3
	s_abs_i32 s2, s36
	v_mov_b32_e32 v12, v0
	v_cvt_f32_u32_e32 v0, s2
	s_sub_i32 s11, 0, s2
	s_abs_i32 s7, s9
	s_xor_b32 s3, s9, s36
	v_rcp_iflag_f32_e32 v0, v0
	s_ashr_i32 s3, s3, 31
	s_mov_b32 s48, 0
	v_mul_f32_e32 v0, 0x4f7ffffe, v0
	v_cvt_u32_f32_e32 v0, v0
	v_readfirstlane_b32 s12, v0
	s_mul_i32 s11, s11, s12
	s_mul_hi_u32 s11, s12, s11
	s_add_i32 s12, s12, s11
	s_mul_hi_u32 s11, s7, s12
	s_mul_i32 s12, s11, s2
	s_sub_i32 s7, s7, s12
	s_add_i32 s12, s11, 1
	s_sub_i32 s13, s7, s2
	s_cmp_ge_u32 s7, s2
	s_cselect_b32 s11, s12, s11
	s_cselect_b32 s7, s13, s7
	s_add_i32 s12, s11, 1
	s_cmp_ge_u32 s7, s2
	s_cselect_b32 s2, s12, s11
	s_xor_b32 s2, s2, s3
	s_sub_i32 s14, s2, s3
	s_abs_i32 s11, s14
	v_cvt_f32_u32_e32 v0, s11
	s_load_dwordx2 s[2:3], s[4:5], 0x40
	s_sub_i32 s7, 0, s11
	s_abs_i32 s12, s6
	v_rcp_iflag_f32_e32 v0, v0
	v_mul_f32_e32 v0, 0x4f7ffffe, v0
	v_cvt_u32_f32_e32 v0, v0
	v_readfirstlane_b32 s13, v0
	s_mul_i32 s7, s7, s13
	s_mul_hi_u32 s7, s13, s7
	s_add_i32 s13, s13, s7
	s_waitcnt lgkmcnt(0)
	s_cmp_eq_u64 s[2:3], 0
	s_mul_hi_u32 s13, s12, s13
	s_cbranch_scc1 .LBB261_2
; %bb.1:
	s_ashr_i32 s7, s6, 31
	s_lshl_b64 s[16:17], s[6:7], 2
	s_add_u32 s2, s2, s16
	s_addc_u32 s3, s3, s17
	s_load_dword s48, s[2:3], 0x0
.LBB261_2:
	s_load_dword s33, s[0:1], 0x0
	s_load_dwordx4 s[16:19], s[4:5], 0x48
	s_ashr_i32 s2, s6, 31
	s_ashr_i32 s7, s14, 31
	v_and_b32_e32 v0, 1, v12
	s_movk_i32 s3, 0xc0
	s_mul_i32 s24, s6, 0xc0
	v_cmp_gt_u32_e32 vcc, 48, v12
	v_lshlrev_b32_e32 v13, 3, v12
	s_and_saveexec_b64 s[0:1], vcc
	s_cbranch_execz .LBB261_4
; %bb.3:
	s_load_dwordx2 s[14:15], s[4:5], 0x8
	s_waitcnt lgkmcnt(0)
	s_mul_i32 s20, s16, s10
	s_ashr_i32 s21, s20, 31
	s_lshl_b64 s[20:21], s[20:21], 1
	v_lshlrev_b32_e32 v3, 2, v12
	s_add_u32 s16, s14, s20
	s_addc_u32 s19, s15, s21
	s_ashr_i32 s25, s24, 31
	s_lshl_b64 s[14:15], s[24:25], 1
	s_add_u32 s14, s16, s14
	s_addc_u32 s15, s19, s15
	global_load_dwordx2 v[1:2], v13, s[14:15]
	v_and_b32_e32 v3, 0xff8, v3
	v_mad_u32_u24 v3, v0, s3, v3
	s_waitcnt vmcnt(0)
	ds_write_b64 v3, v[1:2]
.LBB261_4:
	s_or_b64 exec, exec, s[0:1]
	s_mul_i32 s1, s13, s11
	s_sub_i32 s1, s12, s1
	s_xor_b32 s0, s2, s7
	s_add_i32 s2, s13, 1
	s_sub_i32 s7, s1, s11
	s_load_dwordx4 s[20:23], s[4:5], 0x68
	s_load_dword s3, s[4:5], 0x78
	s_cmp_ge_u32 s1, s11
	s_cselect_b32 s2, s2, s13
	s_cselect_b32 s1, s7, s1
	s_add_i32 s7, s2, 1
	s_cmp_ge_u32 s1, s11
	s_cselect_b32 s1, s7, s2
	s_waitcnt lgkmcnt(0)
	s_abs_i32 s25, s23
	v_cvt_f32_u32_e32 v1, s25
	s_xor_b32 s1, s1, s0
	s_sub_i32 s2, s1, s0
	s_sub_i32 s0, 0, s25
	v_rcp_iflag_f32_e32 v1, v1
	s_add_i32 s11, s33, -1
	s_abs_i32 s7, s11
	v_mul_f32_e32 v1, 0x4f7ffffe, v1
	v_cvt_u32_f32_e32 v1, v1
	s_barrier
	v_readfirstlane_b32 s46, v1
	s_mul_i32 s0, s0, s46
	s_mul_hi_u32 s0, s46, s0
	s_add_i32 s46, s46, s0
	s_cmp_lt_i32 s3, 0
	s_mul_hi_u32 s16, s7, s46
	s_cbranch_scc0 .LBB261_6
; %bb.5:
	s_mul_i32 s0, s20, s36
	s_add_i32 s0, s2, s0
	s_mul_i32 s0, s0, s3
	s_sub_i32 s36, 1, s0
	s_mov_b64 s[0:1], 0
	s_branch .LBB261_7
.LBB261_6:
	s_mov_b64 s[0:1], -1
                                        ; implicit-def: $sgpr36
.LBB261_7:
	s_load_dwordx2 s[28:29], s[4:5], 0x28
	s_ashr_i32 s19, s11, 31
	s_andn2_b64 vcc, exec, s[0:1]
	s_ashr_i32 s23, s23, 31
	s_cbranch_vccnz .LBB261_9
; %bb.8:
	s_mul_i32 s0, s9, s20
	s_add_i32 s0, s0, s6
	s_mul_i32 s0, s0, s3
	s_add_i32 s36, s0, 1
.LBB261_9:
	s_load_dword s0, s[4:5], 0x38
	s_load_dwordx2 s[26:27], s[4:5], 0x0
	s_load_dwordx2 s[34:35], s[4:5], 0x18
	s_load_dword s11, s[4:5], 0x88
	s_load_dwordx4 s[12:15], s[4:5], 0x58
	s_mul_i32 s1, s16, s25
	s_waitcnt lgkmcnt(0)
	s_mul_i32 s30, s0, s10
	s_sub_i32 s1, s7, s1
	s_ashr_i32 s31, s30, 31
	s_xor_b32 s0, s19, s23
	s_add_i32 s3, s16, 1
	s_sub_i32 s6, s1, s25
	s_cmp_ge_u32 s1, s25
	s_cselect_b32 s3, s3, s16
	s_cselect_b32 s1, s6, s1
	s_add_i32 s6, s3, 1
	s_cmp_ge_u32 s1, s25
	s_cselect_b32 s1, s6, s3
	s_xor_b32 s1, s1, s0
	s_sub_i32 s16, s1, s0
	s_add_i32 s0, s33, 31
	s_ashr_i32 s1, s0, 31
	s_lshr_b32 s1, s1, 27
	s_add_i32 s0, s0, s1
	s_ashr_i32 s47, s0, 5
	v_lshrrev_b32_e32 v1, 6, v12
	v_cmp_gt_i32_e64 s[0:1], s47, v1
	v_mov_b32_e32 v3, 0xff7fffff
	s_mul_i32 s20, s2, s18
	v_lshrrev_b32_e32 v14, 4, v12
	buffer_store_dword v1, off, s[56:59], 0 ; 4-byte Folded Spill
	v_lshlrev_b32_e32 v1, 5, v1
	v_mbcnt_lo_u32_b32 v5, -1, 0
	buffer_store_dword v1, off, s[56:59], 0 offset:396 ; 4-byte Folded Spill
	s_mov_b64 s[18:19], exec
	s_and_b64 s[2:3], s[18:19], s[0:1]
	buffer_store_dword v12, off, s[56:59], 0 offset:392 ; 4-byte Folded Spill
	s_mov_b64 exec, s[2:3]
	s_cbranch_execz .LBB261_597
; %bb.10:
	s_load_dwordx2 s[2:3], s[4:5], 0x10
	s_sub_i32 s49, s16, s21
	s_ashr_i32 s4, s20, 31
	v_bfe_u32 v6, v12, 1, 5
	v_lshlrev_b32_e32 v4, 2, v0
	s_waitcnt lgkmcnt(0)
	s_add_u32 s38, s2, s20
	s_addc_u32 s39, s3, s4
	v_lshlrev_b32_e32 v2, 4, v6
	buffer_store_dword v4, off, s[56:59], 0 offset:4 ; 4-byte Folded Spill
	v_or_b32_e32 v4, 8, v4
	buffer_store_dword v4, off, s[56:59], 0 offset:12 ; 4-byte Folded Spill
	v_mov_b32_e32 v4, s39
	v_add_co_u32_e32 v7, vcc, s38, v2
	v_addc_co_u32_e32 v8, vcc, 0, v4, vcc
	buffer_store_dword v13, off, s[56:59], 0 offset:400 ; 4-byte Folded Spill
	buffer_store_dword v14, off, s[56:59], 0 offset:404 ; 4-byte Folded Spill
	;; [unrolled: 1-line block ×3, first 2 shown]
	s_nop 0
	buffer_store_dword v8, off, s[56:59], 0 offset:376 ; 4-byte Folded Spill
	buffer_load_dword v52, off, s[56:59], 0 ; 4-byte Folded Reload
	s_abs_i32 s50, s22
	v_cvt_f32_u32_e32 v1, s50
	v_cmp_eq_u32_e64 s[2:3], 0, v0
	v_mul_u32_u24_e32 v19, 0xc0, v0
	s_sub_i32 s6, 0, s50
	v_rcp_iflag_f32_e32 v1, v1
	s_mov_b32 s51, s17
	v_cmp_neq_f32_e64 s[4:5], s48, 0
	s_mov_b64 s[38:39], 0
	v_mul_f32_e32 v0, 0x4f7ffffe, v1
	v_cvt_u32_f32_e32 v0, v0
	v_and_b32_e32 v1, 60, v14
	s_movk_i32 s52, 0x80
	s_movk_i32 s53, 0x7f
	v_mul_lo_u32 v3, s6, v0
	s_lshl_b64 s[6:7], s[30:31], 2
	s_add_u32 s6, s28, s6
	s_addc_u32 s7, s29, s7
	v_mul_hi_u32 v3, v0, v3
	s_mov_b32 s54, 0x8000
	s_mov_b32 s55, 0xffffff
	v_add_u32_e32 v0, v0, v3
	buffer_store_dword v0, off, s[56:59], 0 offset:200 ; 4-byte Folded Spill
	v_mov_b32_e32 v0, s7
	v_add_co_u32_e32 v3, vcc, s6, v1
	v_addc_co_u32_e32 v4, vcc, 0, v0, vcc
	v_subrev_u32_e32 v0, s33, v6
	v_add_u32_e32 v0, 1, v0
	buffer_store_dword v0, off, s[56:59], 0 offset:388 ; 4-byte Folded Spill
	buffer_store_dword v6, off, s[56:59], 0 offset:384 ; 4-byte Folded Spill
	v_lshlrev_b32_e32 v0, 2, v6
	v_mov_b32_e32 v6, 0
	s_waitcnt vmcnt(3)
	v_lshl_or_b32 v0, v52, 7, v0
	v_add_u32_e32 v0, 0x190, v0
	buffer_store_dword v0, off, s[56:59], 0 offset:8 ; 4-byte Folded Spill
	v_mbcnt_hi_u32_b32 v0, -1, v5
	v_lshlrev_b32_e32 v23, 5, v52
	buffer_store_dword v0, off, s[56:59], 0 offset:380 ; 4-byte Folded Spill
	v_mov_b32_e32 v0, 0xff7fffff
	buffer_store_dword v0, off, s[56:59], 0 offset:368 ; 4-byte Folded Spill
	s_branch .LBB261_13
.LBB261_11:                             ;   in Loop: Header=BB261_13 Depth=1
	s_or_b64 exec, exec, s[40:41]
.LBB261_12:                             ;   in Loop: Header=BB261_13 Depth=1
	s_or_b64 exec, exec, s[6:7]
	buffer_load_dword v0, off, s[56:59], 0 offset:8 ; 4-byte Folded Reload
	v_add_co_u32_e32 v3, vcc, 8, v3
	v_add_u32_e32 v52, 2, v52
	v_addc_co_u32_e32 v4, vcc, 0, v4, vcc
	v_cmp_le_i32_e32 vcc, s47, v52
	v_add_u32_e32 v23, 64, v23
	s_or_b64 s[38:39], vcc, s[38:39]
	s_waitcnt vmcnt(0)
	v_add_u32_e32 v0, 0x100, v0
	buffer_store_dword v0, off, s[56:59], 0 offset:8 ; 4-byte Folded Spill
	s_andn2_b64 exec, exec, s[38:39]
	s_cbranch_execz .LBB261_596
.LBB261_13:                             ; =>This Inner Loop Header: Depth=1
	buffer_load_dword v5, off, s[56:59], 0 offset:200 ; 4-byte Folded Reload
	v_mul_hi_u32 v0, v23, s46
	s_waitcnt lgkmcnt(0)
	v_mul_lo_u32 v1, v0, s25
	v_add_u32_e32 v2, 1, v0
	v_sub_u32_e32 v1, v23, v1
	v_cmp_le_u32_e32 vcc, s25, v1
	v_cndmask_b32_e32 v0, v0, v2, vcc
	v_subrev_u32_e32 v2, s25, v1
	v_cndmask_b32_e32 v1, v1, v2, vcc
	v_add_u32_e32 v2, 1, v0
	v_cmp_le_u32_e32 vcc, s25, v1
	v_cndmask_b32_e32 v0, v0, v2, vcc
	v_xor_b32_e32 v0, s23, v0
	v_subrev_u32_e32 v0, s23, v0
	v_add_u32_e32 v1, s36, v0
	v_sub_u32_e32 v2, 0, v1
	v_max_i32_e32 v2, v1, v2
	v_ashrrev_i32_e32 v1, 31, v1
	v_cmp_ge_i32_e64 s[6:7], s49, v0
	s_waitcnt vmcnt(0)
	v_mul_hi_u32 v5, v2, v5
	v_mul_lo_u32 v5, v5, s50
	v_sub_u32_e32 v2, v2, v5
	v_subrev_u32_e32 v5, s50, v2
	v_cmp_le_u32_e32 vcc, s50, v2
	v_cndmask_b32_e32 v2, v2, v5, vcc
	v_subrev_u32_e32 v5, s50, v2
	v_cmp_le_u32_e32 vcc, s50, v2
	v_cndmask_b32_e32 v2, v2, v5, vcc
	v_xor_b32_e32 v2, v2, v1
	v_sub_u32_e32 v1, v2, v1
	v_cmp_ne_u32_e32 vcc, 0, v1
	s_and_b64 s[6:7], vcc, s[6:7]
	s_and_saveexec_b64 s[40:41], s[6:7]
	s_xor_b64 s[6:7], exec, s[40:41]
	s_cbranch_execz .LBB261_17
; %bb.14:                               ;   in Loop: Header=BB261_13 Depth=1
	s_and_saveexec_b64 s[40:41], s[2:3]
	s_cbranch_execz .LBB261_16
; %bb.15:                               ;   in Loop: Header=BB261_13 Depth=1
	buffer_load_dword v1, off, s[56:59], 0 offset:8 ; 4-byte Folded Reload
	v_mov_b32_e32 v0, 0xff7fffff
	s_waitcnt vmcnt(0)
	ds_write_b32 v1, v0
.LBB261_16:                             ;   in Loop: Header=BB261_13 Depth=1
	s_or_b64 exec, exec, s[40:41]
.LBB261_17:                             ;   in Loop: Header=BB261_13 Depth=1
	s_andn2_saveexec_b64 s[6:7], s[6:7]
	s_cbranch_execz .LBB261_12
; %bb.18:                               ;   in Loop: Header=BB261_13 Depth=1
	global_load_dword v0, v[3:4], off
	buffer_load_dword v1, off, s[56:59], 0 offset:372 ; 4-byte Folded Reload
	buffer_load_dword v2, off, s[56:59], 0 offset:376 ; 4-byte Folded Reload
	v_mov_b32_e32 v63, 0
	global_load_dword v29, v63, s[12:13]
	s_waitcnt vmcnt(1)
	v_mad_i64_i32 v[7:8], s[40:41], v0, s51, v[1:2]
	buffer_load_dword v0, off, s[56:59], 0 offset:4 ; 4-byte Folded Reload
	s_waitcnt vmcnt(0)
	v_add_co_u32_e32 v9, vcc, v7, v0
	v_addc_co_u32_e32 v10, vcc, 0, v8, vcc
	global_load_dword v11, v[9:10], off
	v_mov_b32_e32 v0, 0
	buffer_store_dword v0, off, s[56:59], 0 offset:16 ; 4-byte Folded Spill
	s_waitcnt vmcnt(1)
	v_cmp_ne_u16_sdwa s[42:43], v11, v6 src0_sel:BYTE_0 src1_sel:DWORD
	s_and_saveexec_b64 s[40:41], s[42:43]
	s_cbranch_execz .LBB261_24
; %bb.19:                               ;   in Loop: Header=BB261_13 Depth=1
	v_cmp_ne_u16_sdwa s[44:45], v11, s52 src0_sel:BYTE_0 src1_sel:DWORD
	v_mov_b32_e32 v0, 0x8000
	buffer_store_dword v0, off, s[56:59], 0 offset:16 ; 4-byte Folded Spill
	s_and_saveexec_b64 s[42:43], s[44:45]
	s_cbranch_execz .LBB261_23
; %bb.20:                               ;   in Loop: Header=BB261_13 Depth=1
	v_and_b32_e32 v0, 0x7f, v11
	v_cmp_ne_u32_e32 vcc, s53, v0
	v_mov_b32_e32 v1, 0x7c01
	buffer_store_dword v1, off, s[56:59], 0 offset:16 ; 4-byte Folded Spill
	s_and_saveexec_b64 s[44:45], vcc
	s_cbranch_execz .LBB261_22
; %bb.21:                               ;   in Loop: Header=BB261_13 Depth=1
	v_and_b32_e32 v5, 7, v11
	v_ffbh_u32_e32 v1, v5
	v_min_u32_e32 v13, 32, v1
	v_lshrrev_b32_e32 v12, 3, v0
	v_subrev_u32_e32 v1, 28, v13
	v_lshlrev_b64 v[1:2], v1, v[11:12]
	v_sub_u32_e32 v2, 29, v13
	v_cmp_gt_u32_e32 vcc, 8, v0
	v_cndmask_b32_e32 v0, v12, v2, vcc
	v_mov_b32_e32 v12, 0x2000
	v_lshl_add_u32 v0, v0, 10, v12
	v_lshlrev_b32_e32 v2, 8, v11
	v_and_b32_e32 v1, 7, v1
	v_and_b32_e32 v0, 0xfc00, v0
	v_cndmask_b32_e32 v1, v5, v1, vcc
	v_and_or_b32 v0, v2, s54, v0
	v_lshl_or_b32 v0, v1, 7, v0
	buffer_store_dword v0, off, s[56:59], 0 offset:16 ; 4-byte Folded Spill
.LBB261_22:                             ;   in Loop: Header=BB261_13 Depth=1
	s_or_b64 exec, exec, s[44:45]
.LBB261_23:                             ;   in Loop: Header=BB261_13 Depth=1
	s_or_b64 exec, exec, s[42:43]
.LBB261_24:                             ;   in Loop: Header=BB261_13 Depth=1
	s_or_b64 exec, exec, s[40:41]
	v_lshrrev_b16_e32 v5, 8, v11
	v_cmp_ne_u16_e32 vcc, 0, v5
	s_and_saveexec_b64 s[40:41], vcc
	s_cbranch_execz .LBB261_30
; %bb.25:                               ;   in Loop: Header=BB261_13 Depth=1
	v_cmp_ne_u16_e32 vcc, s52, v5
	v_bfrev_b32_e32 v63, 1
	s_and_saveexec_b64 s[42:43], vcc
	s_cbranch_execz .LBB261_29
; %bb.26:                               ;   in Loop: Header=BB261_13 Depth=1
	v_and_b32_e32 v0, 0x7f, v5
	v_cmp_ne_u32_e32 vcc, s53, v0
	v_mov_b32_e32 v63, 0x7c010000
	s_and_saveexec_b64 s[44:45], vcc
	s_cbranch_execz .LBB261_28
; %bb.27:                               ;   in Loop: Header=BB261_13 Depth=1
	v_and_b32_e32 v12, 7, v5
	v_ffbh_u32_e32 v1, v12
	v_min_u32_e32 v14, 32, v1
	v_subrev_u32_e32 v1, 28, v14
	v_lshlrev_b64 v[1:2], v1, v[5:6]
	v_lshrrev_b32_e32 v13, 3, v0
	v_sub_u32_e32 v2, 29, v14
	v_cmp_gt_u32_e32 vcc, 8, v0
	v_cndmask_b32_e32 v0, v13, v2, vcc
	v_lshlrev_b32_e32 v2, 8, v5
	v_mov_b32_e32 v5, 0x2000
	v_lshl_add_u32 v0, v0, 10, v5
	v_and_b32_e32 v1, 7, v1
	v_and_or_b32 v0, v2, s54, v0
	v_cndmask_b32_e32 v1, v12, v1, vcc
	v_lshlrev_b32_e32 v0, 16, v0
	v_lshl_or_b32 v63, v1, 23, v0
.LBB261_28:                             ;   in Loop: Header=BB261_13 Depth=1
	s_or_b64 exec, exec, s[44:45]
.LBB261_29:                             ;   in Loop: Header=BB261_13 Depth=1
	s_or_b64 exec, exec, s[42:43]
.LBB261_30:                             ;   in Loop: Header=BB261_13 Depth=1
	s_or_b64 exec, exec, s[40:41]
	v_lshrrev_b32_e32 v5, 16, v11
	v_mov_b32_e32 v0, 0
	v_cmp_ne_u16_sdwa s[42:43], v5, v6 src0_sel:BYTE_0 src1_sel:DWORD
	buffer_store_dword v0, off, s[56:59], 0 offset:20 ; 4-byte Folded Spill
	v_mov_b32_e32 v0, 0
	buffer_store_dword v0, off, s[56:59], 0 offset:24 ; 4-byte Folded Spill
	s_and_saveexec_b64 s[40:41], s[42:43]
	s_cbranch_execz .LBB261_36
; %bb.31:                               ;   in Loop: Header=BB261_13 Depth=1
	v_cmp_ne_u16_sdwa s[44:45], v5, s52 src0_sel:BYTE_0 src1_sel:DWORD
	v_mov_b32_e32 v0, 0x8000
	buffer_store_dword v0, off, s[56:59], 0 offset:24 ; 4-byte Folded Spill
	s_and_saveexec_b64 s[42:43], s[44:45]
	s_cbranch_execz .LBB261_35
; %bb.32:                               ;   in Loop: Header=BB261_13 Depth=1
	v_bfe_u32 v0, v11, 16, 7
	v_cmp_ne_u32_e32 vcc, s53, v0
	v_mov_b32_e32 v1, 0x7c01
	buffer_store_dword v1, off, s[56:59], 0 offset:24 ; 4-byte Folded Spill
	s_and_saveexec_b64 s[44:45], vcc
	s_cbranch_execz .LBB261_34
; %bb.33:                               ;   in Loop: Header=BB261_13 Depth=1
	v_and_b32_e32 v12, 7, v5
	v_ffbh_u32_e32 v1, v12
	v_min_u32_e32 v14, 32, v1
	v_subrev_u32_e32 v1, 28, v14
	v_lshlrev_b64 v[1:2], v1, v[5:6]
	v_lshrrev_b32_e32 v13, 3, v0
	v_sub_u32_e32 v2, 29, v14
	v_cmp_gt_u32_e32 vcc, 8, v0
	v_cndmask_b32_e32 v0, v13, v2, vcc
	v_lshlrev_b32_e32 v2, 8, v5
	v_mov_b32_e32 v5, 0x2000
	v_lshl_add_u32 v0, v0, 10, v5
	v_and_b32_e32 v1, 7, v1
	v_and_b32_e32 v0, 0xfc00, v0
	v_cndmask_b32_e32 v1, v12, v1, vcc
	v_and_or_b32 v0, v2, s54, v0
	v_lshl_or_b32 v0, v1, 7, v0
	buffer_store_dword v0, off, s[56:59], 0 offset:24 ; 4-byte Folded Spill
.LBB261_34:                             ;   in Loop: Header=BB261_13 Depth=1
	s_or_b64 exec, exec, s[44:45]
.LBB261_35:                             ;   in Loop: Header=BB261_13 Depth=1
	s_or_b64 exec, exec, s[42:43]
.LBB261_36:                             ;   in Loop: Header=BB261_13 Depth=1
	s_or_b64 exec, exec, s[40:41]
	v_cmp_lt_u32_e32 vcc, s55, v11
	s_and_saveexec_b64 s[40:41], vcc
	s_cbranch_execz .LBB261_42
; %bb.37:                               ;   in Loop: Header=BB261_13 Depth=1
	v_lshrrev_b32_e32 v5, 24, v11
	v_cmp_ne_u32_e32 vcc, s52, v5
	v_bfrev_b32_e32 v0, 1
	buffer_store_dword v0, off, s[56:59], 0 offset:20 ; 4-byte Folded Spill
	s_and_saveexec_b64 s[42:43], vcc
	s_cbranch_execz .LBB261_41
; %bb.38:                               ;   in Loop: Header=BB261_13 Depth=1
	v_and_b32_e32 v0, 0x7f, v5
	v_cmp_ne_u32_e32 vcc, s53, v0
	v_mov_b32_e32 v1, 0x7c010000
	buffer_store_dword v1, off, s[56:59], 0 offset:20 ; 4-byte Folded Spill
	s_and_saveexec_b64 s[44:45], vcc
	s_cbranch_execz .LBB261_40
; %bb.39:                               ;   in Loop: Header=BB261_13 Depth=1
	v_and_b32_e32 v11, 7, v5
	v_ffbh_u32_e32 v1, v11
	v_min_u32_e32 v13, 32, v1
	v_subrev_u32_e32 v1, 28, v13
	v_lshlrev_b64 v[1:2], v1, v[5:6]
	v_lshrrev_b32_e32 v12, 3, v0
	v_sub_u32_e32 v2, 29, v13
	v_cmp_gt_u32_e32 vcc, 8, v0
	v_cndmask_b32_e32 v0, v12, v2, vcc
	v_lshlrev_b32_e32 v2, 8, v5
	v_mov_b32_e32 v5, 0x2000
	v_lshl_add_u32 v0, v0, 10, v5
	v_and_b32_e32 v1, 7, v1
	v_and_or_b32 v0, v2, s54, v0
	v_cndmask_b32_e32 v1, v11, v1, vcc
	v_lshlrev_b32_e32 v0, 16, v0
	v_lshl_or_b32 v0, v1, 23, v0
	buffer_store_dword v0, off, s[56:59], 0 offset:20 ; 4-byte Folded Spill
.LBB261_40:                             ;   in Loop: Header=BB261_13 Depth=1
	s_or_b64 exec, exec, s[44:45]
.LBB261_41:                             ;   in Loop: Header=BB261_13 Depth=1
	s_or_b64 exec, exec, s[42:43]
.LBB261_42:                             ;   in Loop: Header=BB261_13 Depth=1
	s_or_b64 exec, exec, s[40:41]
	global_load_dword v11, v[9:10], off offset:8
	v_mov_b32_e32 v0, 0
	buffer_store_dword v0, off, s[56:59], 0 offset:32 ; 4-byte Folded Spill
	v_mov_b32_e32 v0, 0
	buffer_store_dword v0, off, s[56:59], 0 offset:36 ; 4-byte Folded Spill
	s_waitcnt vmcnt(2)
	v_cmp_ne_u16_sdwa s[42:43], v11, v6 src0_sel:BYTE_0 src1_sel:DWORD
	s_and_saveexec_b64 s[40:41], s[42:43]
	s_cbranch_execz .LBB261_48
; %bb.43:                               ;   in Loop: Header=BB261_13 Depth=1
	v_cmp_ne_u16_sdwa s[44:45], v11, s52 src0_sel:BYTE_0 src1_sel:DWORD
	v_mov_b32_e32 v0, 0x8000
	buffer_store_dword v0, off, s[56:59], 0 offset:36 ; 4-byte Folded Spill
	s_and_saveexec_b64 s[42:43], s[44:45]
	s_cbranch_execz .LBB261_47
; %bb.44:                               ;   in Loop: Header=BB261_13 Depth=1
	v_and_b32_e32 v0, 0x7f, v11
	v_cmp_ne_u32_e32 vcc, s53, v0
	v_mov_b32_e32 v1, 0x7c01
	buffer_store_dword v1, off, s[56:59], 0 offset:36 ; 4-byte Folded Spill
	s_and_saveexec_b64 s[44:45], vcc
	s_cbranch_execz .LBB261_46
; %bb.45:                               ;   in Loop: Header=BB261_13 Depth=1
	v_and_b32_e32 v5, 7, v11
	v_ffbh_u32_e32 v1, v5
	v_min_u32_e32 v13, 32, v1
	v_lshrrev_b32_e32 v12, 3, v0
	v_subrev_u32_e32 v1, 28, v13
	v_lshlrev_b64 v[1:2], v1, v[11:12]
	v_sub_u32_e32 v2, 29, v13
	v_cmp_gt_u32_e32 vcc, 8, v0
	v_cndmask_b32_e32 v0, v12, v2, vcc
	v_mov_b32_e32 v12, 0x2000
	v_lshl_add_u32 v0, v0, 10, v12
	v_lshlrev_b32_e32 v2, 8, v11
	v_and_b32_e32 v1, 7, v1
	v_and_b32_e32 v0, 0xfc00, v0
	v_cndmask_b32_e32 v1, v5, v1, vcc
	v_and_or_b32 v0, v2, s54, v0
	v_lshl_or_b32 v0, v1, 7, v0
	buffer_store_dword v0, off, s[56:59], 0 offset:36 ; 4-byte Folded Spill
.LBB261_46:                             ;   in Loop: Header=BB261_13 Depth=1
	s_or_b64 exec, exec, s[44:45]
.LBB261_47:                             ;   in Loop: Header=BB261_13 Depth=1
	s_or_b64 exec, exec, s[42:43]
.LBB261_48:                             ;   in Loop: Header=BB261_13 Depth=1
	s_or_b64 exec, exec, s[40:41]
	v_lshrrev_b16_e32 v5, 8, v11
	v_cmp_ne_u16_e32 vcc, 0, v5
	s_and_saveexec_b64 s[40:41], vcc
	s_cbranch_execz .LBB261_54
; %bb.49:                               ;   in Loop: Header=BB261_13 Depth=1
	v_cmp_ne_u16_e32 vcc, s52, v5
	v_bfrev_b32_e32 v0, 1
	buffer_store_dword v0, off, s[56:59], 0 offset:32 ; 4-byte Folded Spill
	s_and_saveexec_b64 s[42:43], vcc
	s_cbranch_execz .LBB261_53
; %bb.50:                               ;   in Loop: Header=BB261_13 Depth=1
	v_and_b32_e32 v0, 0x7f, v5
	v_cmp_ne_u32_e32 vcc, s53, v0
	v_mov_b32_e32 v1, 0x7c010000
	buffer_store_dword v1, off, s[56:59], 0 offset:32 ; 4-byte Folded Spill
	s_and_saveexec_b64 s[44:45], vcc
	s_cbranch_execz .LBB261_52
; %bb.51:                               ;   in Loop: Header=BB261_13 Depth=1
	v_and_b32_e32 v12, 7, v5
	v_ffbh_u32_e32 v1, v12
	v_min_u32_e32 v14, 32, v1
	v_subrev_u32_e32 v1, 28, v14
	v_lshlrev_b64 v[1:2], v1, v[5:6]
	v_lshrrev_b32_e32 v13, 3, v0
	v_sub_u32_e32 v2, 29, v14
	v_cmp_gt_u32_e32 vcc, 8, v0
	v_cndmask_b32_e32 v0, v13, v2, vcc
	v_lshlrev_b32_e32 v2, 8, v5
	v_mov_b32_e32 v5, 0x2000
	v_lshl_add_u32 v0, v0, 10, v5
	v_and_b32_e32 v1, 7, v1
	v_and_or_b32 v0, v2, s54, v0
	v_cndmask_b32_e32 v1, v12, v1, vcc
	v_lshlrev_b32_e32 v0, 16, v0
	v_lshl_or_b32 v0, v1, 23, v0
	buffer_store_dword v0, off, s[56:59], 0 offset:32 ; 4-byte Folded Spill
.LBB261_52:                             ;   in Loop: Header=BB261_13 Depth=1
	s_or_b64 exec, exec, s[44:45]
.LBB261_53:                             ;   in Loop: Header=BB261_13 Depth=1
	s_or_b64 exec, exec, s[42:43]
.LBB261_54:                             ;   in Loop: Header=BB261_13 Depth=1
	s_or_b64 exec, exec, s[40:41]
	v_lshrrev_b32_e32 v5, 16, v11
	v_mov_b32_e32 v0, 0
	v_cmp_ne_u16_sdwa s[42:43], v5, v6 src0_sel:BYTE_0 src1_sel:DWORD
	buffer_store_dword v0, off, s[56:59], 0 offset:40 ; 4-byte Folded Spill
	v_mov_b32_e32 v0, 0
	buffer_store_dword v0, off, s[56:59], 0 offset:44 ; 4-byte Folded Spill
	s_and_saveexec_b64 s[40:41], s[42:43]
	s_cbranch_execz .LBB261_60
; %bb.55:                               ;   in Loop: Header=BB261_13 Depth=1
	v_cmp_ne_u16_sdwa s[44:45], v5, s52 src0_sel:BYTE_0 src1_sel:DWORD
	v_mov_b32_e32 v0, 0x8000
	buffer_store_dword v0, off, s[56:59], 0 offset:44 ; 4-byte Folded Spill
	s_and_saveexec_b64 s[42:43], s[44:45]
	s_cbranch_execz .LBB261_59
; %bb.56:                               ;   in Loop: Header=BB261_13 Depth=1
	v_bfe_u32 v0, v11, 16, 7
	v_cmp_ne_u32_e32 vcc, s53, v0
	v_mov_b32_e32 v1, 0x7c01
	buffer_store_dword v1, off, s[56:59], 0 offset:44 ; 4-byte Folded Spill
	s_and_saveexec_b64 s[44:45], vcc
	s_cbranch_execz .LBB261_58
; %bb.57:                               ;   in Loop: Header=BB261_13 Depth=1
	v_and_b32_e32 v12, 7, v5
	v_ffbh_u32_e32 v1, v12
	v_min_u32_e32 v14, 32, v1
	v_subrev_u32_e32 v1, 28, v14
	v_lshlrev_b64 v[1:2], v1, v[5:6]
	v_lshrrev_b32_e32 v13, 3, v0
	v_sub_u32_e32 v2, 29, v14
	v_cmp_gt_u32_e32 vcc, 8, v0
	v_cndmask_b32_e32 v0, v13, v2, vcc
	v_lshlrev_b32_e32 v2, 8, v5
	v_mov_b32_e32 v5, 0x2000
	v_lshl_add_u32 v0, v0, 10, v5
	v_and_b32_e32 v1, 7, v1
	v_and_b32_e32 v0, 0xfc00, v0
	v_cndmask_b32_e32 v1, v12, v1, vcc
	v_and_or_b32 v0, v2, s54, v0
	v_lshl_or_b32 v0, v1, 7, v0
	buffer_store_dword v0, off, s[56:59], 0 offset:44 ; 4-byte Folded Spill
.LBB261_58:                             ;   in Loop: Header=BB261_13 Depth=1
	s_or_b64 exec, exec, s[44:45]
.LBB261_59:                             ;   in Loop: Header=BB261_13 Depth=1
	s_or_b64 exec, exec, s[42:43]
.LBB261_60:                             ;   in Loop: Header=BB261_13 Depth=1
	s_or_b64 exec, exec, s[40:41]
	v_cmp_lt_u32_e32 vcc, s55, v11
	s_and_saveexec_b64 s[40:41], vcc
	s_cbranch_execz .LBB261_66
; %bb.61:                               ;   in Loop: Header=BB261_13 Depth=1
	v_lshrrev_b32_e32 v5, 24, v11
	v_cmp_ne_u32_e32 vcc, s52, v5
	v_bfrev_b32_e32 v0, 1
	buffer_store_dword v0, off, s[56:59], 0 offset:40 ; 4-byte Folded Spill
	s_and_saveexec_b64 s[42:43], vcc
	s_cbranch_execz .LBB261_65
; %bb.62:                               ;   in Loop: Header=BB261_13 Depth=1
	v_and_b32_e32 v0, 0x7f, v5
	v_cmp_ne_u32_e32 vcc, s53, v0
	v_mov_b32_e32 v1, 0x7c010000
	buffer_store_dword v1, off, s[56:59], 0 offset:40 ; 4-byte Folded Spill
	s_and_saveexec_b64 s[44:45], vcc
	s_cbranch_execz .LBB261_64
; %bb.63:                               ;   in Loop: Header=BB261_13 Depth=1
	v_and_b32_e32 v11, 7, v5
	v_ffbh_u32_e32 v1, v11
	v_min_u32_e32 v13, 32, v1
	v_subrev_u32_e32 v1, 28, v13
	v_lshlrev_b64 v[1:2], v1, v[5:6]
	v_lshrrev_b32_e32 v12, 3, v0
	v_sub_u32_e32 v2, 29, v13
	v_cmp_gt_u32_e32 vcc, 8, v0
	v_cndmask_b32_e32 v0, v12, v2, vcc
	v_lshlrev_b32_e32 v2, 8, v5
	v_mov_b32_e32 v5, 0x2000
	v_lshl_add_u32 v0, v0, 10, v5
	v_and_b32_e32 v1, 7, v1
	v_and_or_b32 v0, v2, s54, v0
	v_cndmask_b32_e32 v1, v11, v1, vcc
	v_lshlrev_b32_e32 v0, 16, v0
	v_lshl_or_b32 v0, v1, 23, v0
	buffer_store_dword v0, off, s[56:59], 0 offset:40 ; 4-byte Folded Spill
.LBB261_64:                             ;   in Loop: Header=BB261_13 Depth=1
	s_or_b64 exec, exec, s[44:45]
.LBB261_65:                             ;   in Loop: Header=BB261_13 Depth=1
	s_or_b64 exec, exec, s[42:43]
.LBB261_66:                             ;   in Loop: Header=BB261_13 Depth=1
	s_or_b64 exec, exec, s[40:41]
	global_load_dword v11, v[9:10], off offset:512
	v_mov_b32_e32 v0, 0
	buffer_store_dword v0, off, s[56:59], 0 offset:48 ; 4-byte Folded Spill
	v_mov_b32_e32 v0, 0
	buffer_store_dword v0, off, s[56:59], 0 offset:52 ; 4-byte Folded Spill
	s_waitcnt vmcnt(2)
	v_cmp_ne_u16_sdwa s[42:43], v11, v6 src0_sel:BYTE_0 src1_sel:DWORD
	s_and_saveexec_b64 s[40:41], s[42:43]
	s_cbranch_execz .LBB261_72
; %bb.67:                               ;   in Loop: Header=BB261_13 Depth=1
	v_cmp_ne_u16_sdwa s[44:45], v11, s52 src0_sel:BYTE_0 src1_sel:DWORD
	v_mov_b32_e32 v0, 0x8000
	buffer_store_dword v0, off, s[56:59], 0 offset:52 ; 4-byte Folded Spill
	s_and_saveexec_b64 s[42:43], s[44:45]
	s_cbranch_execz .LBB261_71
; %bb.68:                               ;   in Loop: Header=BB261_13 Depth=1
	v_and_b32_e32 v0, 0x7f, v11
	v_cmp_ne_u32_e32 vcc, s53, v0
	v_mov_b32_e32 v1, 0x7c01
	buffer_store_dword v1, off, s[56:59], 0 offset:52 ; 4-byte Folded Spill
	s_and_saveexec_b64 s[44:45], vcc
	s_cbranch_execz .LBB261_70
; %bb.69:                               ;   in Loop: Header=BB261_13 Depth=1
	v_and_b32_e32 v5, 7, v11
	v_ffbh_u32_e32 v1, v5
	v_min_u32_e32 v13, 32, v1
	v_lshrrev_b32_e32 v12, 3, v0
	v_subrev_u32_e32 v1, 28, v13
	v_lshlrev_b64 v[1:2], v1, v[11:12]
	v_sub_u32_e32 v2, 29, v13
	v_cmp_gt_u32_e32 vcc, 8, v0
	v_cndmask_b32_e32 v0, v12, v2, vcc
	v_mov_b32_e32 v12, 0x2000
	v_lshl_add_u32 v0, v0, 10, v12
	v_lshlrev_b32_e32 v2, 8, v11
	v_and_b32_e32 v1, 7, v1
	v_and_b32_e32 v0, 0xfc00, v0
	v_cndmask_b32_e32 v1, v5, v1, vcc
	v_and_or_b32 v0, v2, s54, v0
	v_lshl_or_b32 v0, v1, 7, v0
	buffer_store_dword v0, off, s[56:59], 0 offset:52 ; 4-byte Folded Spill
.LBB261_70:                             ;   in Loop: Header=BB261_13 Depth=1
	s_or_b64 exec, exec, s[44:45]
.LBB261_71:                             ;   in Loop: Header=BB261_13 Depth=1
	s_or_b64 exec, exec, s[42:43]
.LBB261_72:                             ;   in Loop: Header=BB261_13 Depth=1
	s_or_b64 exec, exec, s[40:41]
	v_lshrrev_b16_e32 v5, 8, v11
	v_cmp_ne_u16_e32 vcc, 0, v5
	s_and_saveexec_b64 s[40:41], vcc
	s_cbranch_execz .LBB261_78
; %bb.73:                               ;   in Loop: Header=BB261_13 Depth=1
	v_cmp_ne_u16_e32 vcc, s52, v5
	v_bfrev_b32_e32 v0, 1
	buffer_store_dword v0, off, s[56:59], 0 offset:48 ; 4-byte Folded Spill
	s_and_saveexec_b64 s[42:43], vcc
	s_cbranch_execz .LBB261_77
; %bb.74:                               ;   in Loop: Header=BB261_13 Depth=1
	v_and_b32_e32 v0, 0x7f, v5
	v_cmp_ne_u32_e32 vcc, s53, v0
	v_mov_b32_e32 v1, 0x7c010000
	buffer_store_dword v1, off, s[56:59], 0 offset:48 ; 4-byte Folded Spill
	s_and_saveexec_b64 s[44:45], vcc
	s_cbranch_execz .LBB261_76
; %bb.75:                               ;   in Loop: Header=BB261_13 Depth=1
	v_and_b32_e32 v12, 7, v5
	v_ffbh_u32_e32 v1, v12
	v_min_u32_e32 v14, 32, v1
	v_subrev_u32_e32 v1, 28, v14
	v_lshlrev_b64 v[1:2], v1, v[5:6]
	v_lshrrev_b32_e32 v13, 3, v0
	v_sub_u32_e32 v2, 29, v14
	v_cmp_gt_u32_e32 vcc, 8, v0
	v_cndmask_b32_e32 v0, v13, v2, vcc
	v_lshlrev_b32_e32 v2, 8, v5
	v_mov_b32_e32 v5, 0x2000
	v_lshl_add_u32 v0, v0, 10, v5
	v_and_b32_e32 v1, 7, v1
	v_and_or_b32 v0, v2, s54, v0
	v_cndmask_b32_e32 v1, v12, v1, vcc
	v_lshlrev_b32_e32 v0, 16, v0
	v_lshl_or_b32 v0, v1, 23, v0
	buffer_store_dword v0, off, s[56:59], 0 offset:48 ; 4-byte Folded Spill
.LBB261_76:                             ;   in Loop: Header=BB261_13 Depth=1
	s_or_b64 exec, exec, s[44:45]
.LBB261_77:                             ;   in Loop: Header=BB261_13 Depth=1
	s_or_b64 exec, exec, s[42:43]
.LBB261_78:                             ;   in Loop: Header=BB261_13 Depth=1
	s_or_b64 exec, exec, s[40:41]
	v_lshrrev_b32_e32 v5, 16, v11
	v_mov_b32_e32 v0, 0
	v_cmp_ne_u16_sdwa s[42:43], v5, v6 src0_sel:BYTE_0 src1_sel:DWORD
	buffer_store_dword v0, off, s[56:59], 0 offset:56 ; 4-byte Folded Spill
	v_mov_b32_e32 v0, 0
	buffer_store_dword v0, off, s[56:59], 0 offset:60 ; 4-byte Folded Spill
	s_and_saveexec_b64 s[40:41], s[42:43]
	s_cbranch_execz .LBB261_84
; %bb.79:                               ;   in Loop: Header=BB261_13 Depth=1
	v_cmp_ne_u16_sdwa s[44:45], v5, s52 src0_sel:BYTE_0 src1_sel:DWORD
	v_mov_b32_e32 v0, 0x8000
	buffer_store_dword v0, off, s[56:59], 0 offset:60 ; 4-byte Folded Spill
	s_and_saveexec_b64 s[42:43], s[44:45]
	s_cbranch_execz .LBB261_83
; %bb.80:                               ;   in Loop: Header=BB261_13 Depth=1
	v_bfe_u32 v0, v11, 16, 7
	v_cmp_ne_u32_e32 vcc, s53, v0
	v_mov_b32_e32 v1, 0x7c01
	buffer_store_dword v1, off, s[56:59], 0 offset:60 ; 4-byte Folded Spill
	s_and_saveexec_b64 s[44:45], vcc
	s_cbranch_execz .LBB261_82
; %bb.81:                               ;   in Loop: Header=BB261_13 Depth=1
	v_and_b32_e32 v12, 7, v5
	v_ffbh_u32_e32 v1, v12
	v_min_u32_e32 v14, 32, v1
	v_subrev_u32_e32 v1, 28, v14
	v_lshlrev_b64 v[1:2], v1, v[5:6]
	v_lshrrev_b32_e32 v13, 3, v0
	v_sub_u32_e32 v2, 29, v14
	v_cmp_gt_u32_e32 vcc, 8, v0
	v_cndmask_b32_e32 v0, v13, v2, vcc
	v_lshlrev_b32_e32 v2, 8, v5
	v_mov_b32_e32 v5, 0x2000
	v_lshl_add_u32 v0, v0, 10, v5
	v_and_b32_e32 v1, 7, v1
	v_and_b32_e32 v0, 0xfc00, v0
	v_cndmask_b32_e32 v1, v12, v1, vcc
	v_and_or_b32 v0, v2, s54, v0
	v_lshl_or_b32 v0, v1, 7, v0
	buffer_store_dword v0, off, s[56:59], 0 offset:60 ; 4-byte Folded Spill
.LBB261_82:                             ;   in Loop: Header=BB261_13 Depth=1
	s_or_b64 exec, exec, s[44:45]
.LBB261_83:                             ;   in Loop: Header=BB261_13 Depth=1
	s_or_b64 exec, exec, s[42:43]
.LBB261_84:                             ;   in Loop: Header=BB261_13 Depth=1
	s_or_b64 exec, exec, s[40:41]
	v_cmp_lt_u32_e32 vcc, s55, v11
	s_and_saveexec_b64 s[40:41], vcc
	s_cbranch_execz .LBB261_90
; %bb.85:                               ;   in Loop: Header=BB261_13 Depth=1
	v_lshrrev_b32_e32 v5, 24, v11
	v_cmp_ne_u32_e32 vcc, s52, v5
	v_bfrev_b32_e32 v0, 1
	buffer_store_dword v0, off, s[56:59], 0 offset:56 ; 4-byte Folded Spill
	s_and_saveexec_b64 s[42:43], vcc
	s_cbranch_execz .LBB261_89
; %bb.86:                               ;   in Loop: Header=BB261_13 Depth=1
	v_and_b32_e32 v0, 0x7f, v5
	v_cmp_ne_u32_e32 vcc, s53, v0
	v_mov_b32_e32 v1, 0x7c010000
	buffer_store_dword v1, off, s[56:59], 0 offset:56 ; 4-byte Folded Spill
	s_and_saveexec_b64 s[44:45], vcc
	s_cbranch_execz .LBB261_88
; %bb.87:                               ;   in Loop: Header=BB261_13 Depth=1
	v_and_b32_e32 v11, 7, v5
	v_ffbh_u32_e32 v1, v11
	v_min_u32_e32 v13, 32, v1
	v_subrev_u32_e32 v1, 28, v13
	v_lshlrev_b64 v[1:2], v1, v[5:6]
	v_lshrrev_b32_e32 v12, 3, v0
	v_sub_u32_e32 v2, 29, v13
	v_cmp_gt_u32_e32 vcc, 8, v0
	v_cndmask_b32_e32 v0, v12, v2, vcc
	v_lshlrev_b32_e32 v2, 8, v5
	v_mov_b32_e32 v5, 0x2000
	v_lshl_add_u32 v0, v0, 10, v5
	v_and_b32_e32 v1, 7, v1
	v_and_or_b32 v0, v2, s54, v0
	v_cndmask_b32_e32 v1, v11, v1, vcc
	v_lshlrev_b32_e32 v0, 16, v0
	v_lshl_or_b32 v0, v1, 23, v0
	buffer_store_dword v0, off, s[56:59], 0 offset:56 ; 4-byte Folded Spill
.LBB261_88:                             ;   in Loop: Header=BB261_13 Depth=1
	s_or_b64 exec, exec, s[44:45]
.LBB261_89:                             ;   in Loop: Header=BB261_13 Depth=1
	s_or_b64 exec, exec, s[42:43]
.LBB261_90:                             ;   in Loop: Header=BB261_13 Depth=1
	s_or_b64 exec, exec, s[40:41]
	global_load_dword v11, v[9:10], off offset:520
	v_mov_b32_e32 v0, 0
	buffer_store_dword v0, off, s[56:59], 0 offset:64 ; 4-byte Folded Spill
	v_mov_b32_e32 v0, 0
	buffer_store_dword v0, off, s[56:59], 0 offset:68 ; 4-byte Folded Spill
	s_waitcnt vmcnt(2)
	v_cmp_ne_u16_sdwa s[42:43], v11, v6 src0_sel:BYTE_0 src1_sel:DWORD
	s_and_saveexec_b64 s[40:41], s[42:43]
	s_cbranch_execz .LBB261_96
; %bb.91:                               ;   in Loop: Header=BB261_13 Depth=1
	v_cmp_ne_u16_sdwa s[44:45], v11, s52 src0_sel:BYTE_0 src1_sel:DWORD
	v_mov_b32_e32 v0, 0x8000
	buffer_store_dword v0, off, s[56:59], 0 offset:68 ; 4-byte Folded Spill
	s_and_saveexec_b64 s[42:43], s[44:45]
	s_cbranch_execz .LBB261_95
; %bb.92:                               ;   in Loop: Header=BB261_13 Depth=1
	v_and_b32_e32 v0, 0x7f, v11
	v_cmp_ne_u32_e32 vcc, s53, v0
	v_mov_b32_e32 v1, 0x7c01
	buffer_store_dword v1, off, s[56:59], 0 offset:68 ; 4-byte Folded Spill
	s_and_saveexec_b64 s[44:45], vcc
	s_cbranch_execz .LBB261_94
; %bb.93:                               ;   in Loop: Header=BB261_13 Depth=1
	v_and_b32_e32 v5, 7, v11
	v_ffbh_u32_e32 v1, v5
	v_min_u32_e32 v13, 32, v1
	v_lshrrev_b32_e32 v12, 3, v0
	v_subrev_u32_e32 v1, 28, v13
	v_lshlrev_b64 v[1:2], v1, v[11:12]
	v_sub_u32_e32 v2, 29, v13
	v_cmp_gt_u32_e32 vcc, 8, v0
	v_cndmask_b32_e32 v0, v12, v2, vcc
	v_mov_b32_e32 v12, 0x2000
	v_lshl_add_u32 v0, v0, 10, v12
	v_lshlrev_b32_e32 v2, 8, v11
	v_and_b32_e32 v1, 7, v1
	v_and_b32_e32 v0, 0xfc00, v0
	v_cndmask_b32_e32 v1, v5, v1, vcc
	v_and_or_b32 v0, v2, s54, v0
	v_lshl_or_b32 v0, v1, 7, v0
	buffer_store_dword v0, off, s[56:59], 0 offset:68 ; 4-byte Folded Spill
.LBB261_94:                             ;   in Loop: Header=BB261_13 Depth=1
	s_or_b64 exec, exec, s[44:45]
.LBB261_95:                             ;   in Loop: Header=BB261_13 Depth=1
	s_or_b64 exec, exec, s[42:43]
.LBB261_96:                             ;   in Loop: Header=BB261_13 Depth=1
	s_or_b64 exec, exec, s[40:41]
	v_lshrrev_b16_e32 v5, 8, v11
	v_cmp_ne_u16_e32 vcc, 0, v5
	s_and_saveexec_b64 s[40:41], vcc
	s_cbranch_execz .LBB261_102
; %bb.97:                               ;   in Loop: Header=BB261_13 Depth=1
	v_cmp_ne_u16_e32 vcc, s52, v5
	v_bfrev_b32_e32 v0, 1
	buffer_store_dword v0, off, s[56:59], 0 offset:64 ; 4-byte Folded Spill
	s_and_saveexec_b64 s[42:43], vcc
	s_cbranch_execz .LBB261_101
; %bb.98:                               ;   in Loop: Header=BB261_13 Depth=1
	v_and_b32_e32 v0, 0x7f, v5
	v_cmp_ne_u32_e32 vcc, s53, v0
	v_mov_b32_e32 v1, 0x7c010000
	buffer_store_dword v1, off, s[56:59], 0 offset:64 ; 4-byte Folded Spill
	s_and_saveexec_b64 s[44:45], vcc
	s_cbranch_execz .LBB261_100
; %bb.99:                               ;   in Loop: Header=BB261_13 Depth=1
	v_and_b32_e32 v12, 7, v5
	v_ffbh_u32_e32 v1, v12
	v_min_u32_e32 v14, 32, v1
	v_subrev_u32_e32 v1, 28, v14
	v_lshlrev_b64 v[1:2], v1, v[5:6]
	v_lshrrev_b32_e32 v13, 3, v0
	v_sub_u32_e32 v2, 29, v14
	v_cmp_gt_u32_e32 vcc, 8, v0
	v_cndmask_b32_e32 v0, v13, v2, vcc
	v_lshlrev_b32_e32 v2, 8, v5
	v_mov_b32_e32 v5, 0x2000
	v_lshl_add_u32 v0, v0, 10, v5
	v_and_b32_e32 v1, 7, v1
	v_and_or_b32 v0, v2, s54, v0
	v_cndmask_b32_e32 v1, v12, v1, vcc
	v_lshlrev_b32_e32 v0, 16, v0
	v_lshl_or_b32 v0, v1, 23, v0
	buffer_store_dword v0, off, s[56:59], 0 offset:64 ; 4-byte Folded Spill
.LBB261_100:                            ;   in Loop: Header=BB261_13 Depth=1
	s_or_b64 exec, exec, s[44:45]
.LBB261_101:                            ;   in Loop: Header=BB261_13 Depth=1
	s_or_b64 exec, exec, s[42:43]
.LBB261_102:                            ;   in Loop: Header=BB261_13 Depth=1
	s_or_b64 exec, exec, s[40:41]
	v_lshrrev_b32_e32 v5, 16, v11
	v_mov_b32_e32 v0, 0
	v_cmp_ne_u16_sdwa s[42:43], v5, v6 src0_sel:BYTE_0 src1_sel:DWORD
	buffer_store_dword v0, off, s[56:59], 0 offset:72 ; 4-byte Folded Spill
	v_mov_b32_e32 v0, 0
	buffer_store_dword v0, off, s[56:59], 0 offset:76 ; 4-byte Folded Spill
	s_and_saveexec_b64 s[40:41], s[42:43]
	s_cbranch_execz .LBB261_108
; %bb.103:                              ;   in Loop: Header=BB261_13 Depth=1
	v_cmp_ne_u16_sdwa s[44:45], v5, s52 src0_sel:BYTE_0 src1_sel:DWORD
	v_mov_b32_e32 v0, 0x8000
	buffer_store_dword v0, off, s[56:59], 0 offset:76 ; 4-byte Folded Spill
	s_and_saveexec_b64 s[42:43], s[44:45]
	s_cbranch_execz .LBB261_107
; %bb.104:                              ;   in Loop: Header=BB261_13 Depth=1
	v_bfe_u32 v0, v11, 16, 7
	v_cmp_ne_u32_e32 vcc, s53, v0
	v_mov_b32_e32 v1, 0x7c01
	buffer_store_dword v1, off, s[56:59], 0 offset:76 ; 4-byte Folded Spill
	s_and_saveexec_b64 s[44:45], vcc
	s_cbranch_execz .LBB261_106
; %bb.105:                              ;   in Loop: Header=BB261_13 Depth=1
	v_and_b32_e32 v12, 7, v5
	v_ffbh_u32_e32 v1, v12
	v_min_u32_e32 v14, 32, v1
	v_subrev_u32_e32 v1, 28, v14
	v_lshlrev_b64 v[1:2], v1, v[5:6]
	v_lshrrev_b32_e32 v13, 3, v0
	v_sub_u32_e32 v2, 29, v14
	v_cmp_gt_u32_e32 vcc, 8, v0
	v_cndmask_b32_e32 v0, v13, v2, vcc
	v_lshlrev_b32_e32 v2, 8, v5
	v_mov_b32_e32 v5, 0x2000
	v_lshl_add_u32 v0, v0, 10, v5
	v_and_b32_e32 v1, 7, v1
	v_and_b32_e32 v0, 0xfc00, v0
	v_cndmask_b32_e32 v1, v12, v1, vcc
	v_and_or_b32 v0, v2, s54, v0
	v_lshl_or_b32 v0, v1, 7, v0
	buffer_store_dword v0, off, s[56:59], 0 offset:76 ; 4-byte Folded Spill
.LBB261_106:                            ;   in Loop: Header=BB261_13 Depth=1
	s_or_b64 exec, exec, s[44:45]
.LBB261_107:                            ;   in Loop: Header=BB261_13 Depth=1
	s_or_b64 exec, exec, s[42:43]
.LBB261_108:                            ;   in Loop: Header=BB261_13 Depth=1
	s_or_b64 exec, exec, s[40:41]
	v_cmp_lt_u32_e32 vcc, s55, v11
	s_and_saveexec_b64 s[40:41], vcc
	s_cbranch_execz .LBB261_114
; %bb.109:                              ;   in Loop: Header=BB261_13 Depth=1
	v_lshrrev_b32_e32 v5, 24, v11
	v_cmp_ne_u32_e32 vcc, s52, v5
	v_bfrev_b32_e32 v0, 1
	buffer_store_dword v0, off, s[56:59], 0 offset:72 ; 4-byte Folded Spill
	s_and_saveexec_b64 s[42:43], vcc
	s_cbranch_execz .LBB261_113
; %bb.110:                              ;   in Loop: Header=BB261_13 Depth=1
	v_and_b32_e32 v0, 0x7f, v5
	v_cmp_ne_u32_e32 vcc, s53, v0
	v_mov_b32_e32 v1, 0x7c010000
	buffer_store_dword v1, off, s[56:59], 0 offset:72 ; 4-byte Folded Spill
	s_and_saveexec_b64 s[44:45], vcc
	s_cbranch_execz .LBB261_112
; %bb.111:                              ;   in Loop: Header=BB261_13 Depth=1
	v_and_b32_e32 v11, 7, v5
	v_ffbh_u32_e32 v1, v11
	v_min_u32_e32 v13, 32, v1
	v_subrev_u32_e32 v1, 28, v13
	v_lshlrev_b64 v[1:2], v1, v[5:6]
	v_lshrrev_b32_e32 v12, 3, v0
	v_sub_u32_e32 v2, 29, v13
	v_cmp_gt_u32_e32 vcc, 8, v0
	v_cndmask_b32_e32 v0, v12, v2, vcc
	v_lshlrev_b32_e32 v2, 8, v5
	v_mov_b32_e32 v5, 0x2000
	v_lshl_add_u32 v0, v0, 10, v5
	v_and_b32_e32 v1, 7, v1
	v_and_or_b32 v0, v2, s54, v0
	v_cndmask_b32_e32 v1, v11, v1, vcc
	v_lshlrev_b32_e32 v0, 16, v0
	v_lshl_or_b32 v0, v1, 23, v0
	buffer_store_dword v0, off, s[56:59], 0 offset:72 ; 4-byte Folded Spill
.LBB261_112:                            ;   in Loop: Header=BB261_13 Depth=1
	s_or_b64 exec, exec, s[44:45]
.LBB261_113:                            ;   in Loop: Header=BB261_13 Depth=1
	s_or_b64 exec, exec, s[42:43]
.LBB261_114:                            ;   in Loop: Header=BB261_13 Depth=1
	s_or_b64 exec, exec, s[40:41]
	global_load_dword v11, v[9:10], off offset:1024
	v_mov_b32_e32 v0, 0
	buffer_store_dword v0, off, s[56:59], 0 offset:80 ; 4-byte Folded Spill
	v_mov_b32_e32 v0, 0
	buffer_store_dword v0, off, s[56:59], 0 offset:84 ; 4-byte Folded Spill
	s_waitcnt vmcnt(2)
	v_cmp_ne_u16_sdwa s[42:43], v11, v6 src0_sel:BYTE_0 src1_sel:DWORD
	s_and_saveexec_b64 s[40:41], s[42:43]
	s_cbranch_execz .LBB261_120
; %bb.115:                              ;   in Loop: Header=BB261_13 Depth=1
	v_cmp_ne_u16_sdwa s[44:45], v11, s52 src0_sel:BYTE_0 src1_sel:DWORD
	v_mov_b32_e32 v0, 0x8000
	buffer_store_dword v0, off, s[56:59], 0 offset:84 ; 4-byte Folded Spill
	s_and_saveexec_b64 s[42:43], s[44:45]
	s_cbranch_execz .LBB261_119
; %bb.116:                              ;   in Loop: Header=BB261_13 Depth=1
	v_and_b32_e32 v0, 0x7f, v11
	v_cmp_ne_u32_e32 vcc, s53, v0
	v_mov_b32_e32 v1, 0x7c01
	buffer_store_dword v1, off, s[56:59], 0 offset:84 ; 4-byte Folded Spill
	s_and_saveexec_b64 s[44:45], vcc
	s_cbranch_execz .LBB261_118
; %bb.117:                              ;   in Loop: Header=BB261_13 Depth=1
	v_and_b32_e32 v5, 7, v11
	v_ffbh_u32_e32 v1, v5
	v_min_u32_e32 v13, 32, v1
	v_lshrrev_b32_e32 v12, 3, v0
	v_subrev_u32_e32 v1, 28, v13
	v_lshlrev_b64 v[1:2], v1, v[11:12]
	v_sub_u32_e32 v2, 29, v13
	v_cmp_gt_u32_e32 vcc, 8, v0
	v_cndmask_b32_e32 v0, v12, v2, vcc
	v_mov_b32_e32 v12, 0x2000
	v_lshl_add_u32 v0, v0, 10, v12
	v_lshlrev_b32_e32 v2, 8, v11
	v_and_b32_e32 v1, 7, v1
	v_and_b32_e32 v0, 0xfc00, v0
	v_cndmask_b32_e32 v1, v5, v1, vcc
	v_and_or_b32 v0, v2, s54, v0
	v_lshl_or_b32 v0, v1, 7, v0
	buffer_store_dword v0, off, s[56:59], 0 offset:84 ; 4-byte Folded Spill
.LBB261_118:                            ;   in Loop: Header=BB261_13 Depth=1
	s_or_b64 exec, exec, s[44:45]
.LBB261_119:                            ;   in Loop: Header=BB261_13 Depth=1
	s_or_b64 exec, exec, s[42:43]
.LBB261_120:                            ;   in Loop: Header=BB261_13 Depth=1
	s_or_b64 exec, exec, s[40:41]
	v_lshrrev_b16_e32 v5, 8, v11
	v_cmp_ne_u16_e32 vcc, 0, v5
	s_and_saveexec_b64 s[40:41], vcc
	s_cbranch_execz .LBB261_126
; %bb.121:                              ;   in Loop: Header=BB261_13 Depth=1
	v_cmp_ne_u16_e32 vcc, s52, v5
	v_bfrev_b32_e32 v0, 1
	buffer_store_dword v0, off, s[56:59], 0 offset:80 ; 4-byte Folded Spill
	s_and_saveexec_b64 s[42:43], vcc
	s_cbranch_execz .LBB261_125
; %bb.122:                              ;   in Loop: Header=BB261_13 Depth=1
	v_and_b32_e32 v0, 0x7f, v5
	v_cmp_ne_u32_e32 vcc, s53, v0
	v_mov_b32_e32 v1, 0x7c010000
	buffer_store_dword v1, off, s[56:59], 0 offset:80 ; 4-byte Folded Spill
	s_and_saveexec_b64 s[44:45], vcc
	s_cbranch_execz .LBB261_124
; %bb.123:                              ;   in Loop: Header=BB261_13 Depth=1
	v_and_b32_e32 v12, 7, v5
	v_ffbh_u32_e32 v1, v12
	v_min_u32_e32 v14, 32, v1
	v_subrev_u32_e32 v1, 28, v14
	v_lshlrev_b64 v[1:2], v1, v[5:6]
	v_lshrrev_b32_e32 v13, 3, v0
	v_sub_u32_e32 v2, 29, v14
	v_cmp_gt_u32_e32 vcc, 8, v0
	v_cndmask_b32_e32 v0, v13, v2, vcc
	v_lshlrev_b32_e32 v2, 8, v5
	v_mov_b32_e32 v5, 0x2000
	v_lshl_add_u32 v0, v0, 10, v5
	v_and_b32_e32 v1, 7, v1
	v_and_or_b32 v0, v2, s54, v0
	v_cndmask_b32_e32 v1, v12, v1, vcc
	v_lshlrev_b32_e32 v0, 16, v0
	v_lshl_or_b32 v0, v1, 23, v0
	buffer_store_dword v0, off, s[56:59], 0 offset:80 ; 4-byte Folded Spill
.LBB261_124:                            ;   in Loop: Header=BB261_13 Depth=1
	s_or_b64 exec, exec, s[44:45]
.LBB261_125:                            ;   in Loop: Header=BB261_13 Depth=1
	s_or_b64 exec, exec, s[42:43]
.LBB261_126:                            ;   in Loop: Header=BB261_13 Depth=1
	s_or_b64 exec, exec, s[40:41]
	v_lshrrev_b32_e32 v5, 16, v11
	v_mov_b32_e32 v0, 0
	v_cmp_ne_u16_sdwa s[42:43], v5, v6 src0_sel:BYTE_0 src1_sel:DWORD
	buffer_store_dword v0, off, s[56:59], 0 offset:88 ; 4-byte Folded Spill
	v_mov_b32_e32 v0, 0
	buffer_store_dword v0, off, s[56:59], 0 offset:92 ; 4-byte Folded Spill
	s_and_saveexec_b64 s[40:41], s[42:43]
	s_cbranch_execz .LBB261_132
; %bb.127:                              ;   in Loop: Header=BB261_13 Depth=1
	v_cmp_ne_u16_sdwa s[44:45], v5, s52 src0_sel:BYTE_0 src1_sel:DWORD
	v_mov_b32_e32 v0, 0x8000
	buffer_store_dword v0, off, s[56:59], 0 offset:92 ; 4-byte Folded Spill
	s_and_saveexec_b64 s[42:43], s[44:45]
	s_cbranch_execz .LBB261_131
; %bb.128:                              ;   in Loop: Header=BB261_13 Depth=1
	v_bfe_u32 v0, v11, 16, 7
	v_cmp_ne_u32_e32 vcc, s53, v0
	v_mov_b32_e32 v1, 0x7c01
	buffer_store_dword v1, off, s[56:59], 0 offset:92 ; 4-byte Folded Spill
	s_and_saveexec_b64 s[44:45], vcc
	s_cbranch_execz .LBB261_130
; %bb.129:                              ;   in Loop: Header=BB261_13 Depth=1
	v_and_b32_e32 v12, 7, v5
	v_ffbh_u32_e32 v1, v12
	v_min_u32_e32 v14, 32, v1
	v_subrev_u32_e32 v1, 28, v14
	v_lshlrev_b64 v[1:2], v1, v[5:6]
	v_lshrrev_b32_e32 v13, 3, v0
	v_sub_u32_e32 v2, 29, v14
	v_cmp_gt_u32_e32 vcc, 8, v0
	v_cndmask_b32_e32 v0, v13, v2, vcc
	v_lshlrev_b32_e32 v2, 8, v5
	v_mov_b32_e32 v5, 0x2000
	v_lshl_add_u32 v0, v0, 10, v5
	v_and_b32_e32 v1, 7, v1
	v_and_b32_e32 v0, 0xfc00, v0
	v_cndmask_b32_e32 v1, v12, v1, vcc
	v_and_or_b32 v0, v2, s54, v0
	v_lshl_or_b32 v0, v1, 7, v0
	buffer_store_dword v0, off, s[56:59], 0 offset:92 ; 4-byte Folded Spill
.LBB261_130:                            ;   in Loop: Header=BB261_13 Depth=1
	s_or_b64 exec, exec, s[44:45]
.LBB261_131:                            ;   in Loop: Header=BB261_13 Depth=1
	s_or_b64 exec, exec, s[42:43]
.LBB261_132:                            ;   in Loop: Header=BB261_13 Depth=1
	s_or_b64 exec, exec, s[40:41]
	v_cmp_lt_u32_e32 vcc, s55, v11
	s_and_saveexec_b64 s[40:41], vcc
	s_cbranch_execz .LBB261_138
; %bb.133:                              ;   in Loop: Header=BB261_13 Depth=1
	v_lshrrev_b32_e32 v5, 24, v11
	v_cmp_ne_u32_e32 vcc, s52, v5
	v_bfrev_b32_e32 v0, 1
	buffer_store_dword v0, off, s[56:59], 0 offset:88 ; 4-byte Folded Spill
	s_and_saveexec_b64 s[42:43], vcc
	s_cbranch_execz .LBB261_137
; %bb.134:                              ;   in Loop: Header=BB261_13 Depth=1
	v_and_b32_e32 v0, 0x7f, v5
	v_cmp_ne_u32_e32 vcc, s53, v0
	v_mov_b32_e32 v1, 0x7c010000
	buffer_store_dword v1, off, s[56:59], 0 offset:88 ; 4-byte Folded Spill
	s_and_saveexec_b64 s[44:45], vcc
	s_cbranch_execz .LBB261_136
; %bb.135:                              ;   in Loop: Header=BB261_13 Depth=1
	v_and_b32_e32 v11, 7, v5
	v_ffbh_u32_e32 v1, v11
	v_min_u32_e32 v13, 32, v1
	v_subrev_u32_e32 v1, 28, v13
	v_lshlrev_b64 v[1:2], v1, v[5:6]
	v_lshrrev_b32_e32 v12, 3, v0
	v_sub_u32_e32 v2, 29, v13
	v_cmp_gt_u32_e32 vcc, 8, v0
	v_cndmask_b32_e32 v0, v12, v2, vcc
	v_lshlrev_b32_e32 v2, 8, v5
	v_mov_b32_e32 v5, 0x2000
	v_lshl_add_u32 v0, v0, 10, v5
	v_and_b32_e32 v1, 7, v1
	v_and_or_b32 v0, v2, s54, v0
	v_cndmask_b32_e32 v1, v11, v1, vcc
	v_lshlrev_b32_e32 v0, 16, v0
	v_lshl_or_b32 v0, v1, 23, v0
	buffer_store_dword v0, off, s[56:59], 0 offset:88 ; 4-byte Folded Spill
.LBB261_136:                            ;   in Loop: Header=BB261_13 Depth=1
	s_or_b64 exec, exec, s[44:45]
.LBB261_137:                            ;   in Loop: Header=BB261_13 Depth=1
	s_or_b64 exec, exec, s[42:43]
.LBB261_138:                            ;   in Loop: Header=BB261_13 Depth=1
	s_or_b64 exec, exec, s[40:41]
	global_load_dword v11, v[9:10], off offset:1032
	v_mov_b32_e32 v0, 0
	buffer_store_dword v0, off, s[56:59], 0 offset:96 ; 4-byte Folded Spill
	v_mov_b32_e32 v0, 0
	buffer_store_dword v0, off, s[56:59], 0 offset:100 ; 4-byte Folded Spill
	s_waitcnt vmcnt(2)
	v_cmp_ne_u16_sdwa s[42:43], v11, v6 src0_sel:BYTE_0 src1_sel:DWORD
	s_and_saveexec_b64 s[40:41], s[42:43]
	s_cbranch_execz .LBB261_144
; %bb.139:                              ;   in Loop: Header=BB261_13 Depth=1
	v_cmp_ne_u16_sdwa s[44:45], v11, s52 src0_sel:BYTE_0 src1_sel:DWORD
	v_mov_b32_e32 v0, 0x8000
	buffer_store_dword v0, off, s[56:59], 0 offset:100 ; 4-byte Folded Spill
	s_and_saveexec_b64 s[42:43], s[44:45]
	s_cbranch_execz .LBB261_143
; %bb.140:                              ;   in Loop: Header=BB261_13 Depth=1
	v_and_b32_e32 v0, 0x7f, v11
	v_cmp_ne_u32_e32 vcc, s53, v0
	v_mov_b32_e32 v1, 0x7c01
	buffer_store_dword v1, off, s[56:59], 0 offset:100 ; 4-byte Folded Spill
	s_and_saveexec_b64 s[44:45], vcc
	s_cbranch_execz .LBB261_142
; %bb.141:                              ;   in Loop: Header=BB261_13 Depth=1
	v_and_b32_e32 v5, 7, v11
	v_ffbh_u32_e32 v1, v5
	v_min_u32_e32 v13, 32, v1
	v_lshrrev_b32_e32 v12, 3, v0
	v_subrev_u32_e32 v1, 28, v13
	v_lshlrev_b64 v[1:2], v1, v[11:12]
	v_sub_u32_e32 v2, 29, v13
	v_cmp_gt_u32_e32 vcc, 8, v0
	v_cndmask_b32_e32 v0, v12, v2, vcc
	v_mov_b32_e32 v12, 0x2000
	v_lshl_add_u32 v0, v0, 10, v12
	v_lshlrev_b32_e32 v2, 8, v11
	v_and_b32_e32 v1, 7, v1
	v_and_b32_e32 v0, 0xfc00, v0
	v_cndmask_b32_e32 v1, v5, v1, vcc
	v_and_or_b32 v0, v2, s54, v0
	v_lshl_or_b32 v0, v1, 7, v0
	buffer_store_dword v0, off, s[56:59], 0 offset:100 ; 4-byte Folded Spill
.LBB261_142:                            ;   in Loop: Header=BB261_13 Depth=1
	s_or_b64 exec, exec, s[44:45]
.LBB261_143:                            ;   in Loop: Header=BB261_13 Depth=1
	s_or_b64 exec, exec, s[42:43]
.LBB261_144:                            ;   in Loop: Header=BB261_13 Depth=1
	s_or_b64 exec, exec, s[40:41]
	v_lshrrev_b16_e32 v5, 8, v11
	v_cmp_ne_u16_e32 vcc, 0, v5
	s_and_saveexec_b64 s[40:41], vcc
	s_cbranch_execz .LBB261_150
; %bb.145:                              ;   in Loop: Header=BB261_13 Depth=1
	v_cmp_ne_u16_e32 vcc, s52, v5
	v_bfrev_b32_e32 v0, 1
	buffer_store_dword v0, off, s[56:59], 0 offset:96 ; 4-byte Folded Spill
	s_and_saveexec_b64 s[42:43], vcc
	s_cbranch_execz .LBB261_149
; %bb.146:                              ;   in Loop: Header=BB261_13 Depth=1
	v_and_b32_e32 v0, 0x7f, v5
	v_cmp_ne_u32_e32 vcc, s53, v0
	v_mov_b32_e32 v1, 0x7c010000
	buffer_store_dword v1, off, s[56:59], 0 offset:96 ; 4-byte Folded Spill
	s_and_saveexec_b64 s[44:45], vcc
	s_cbranch_execz .LBB261_148
; %bb.147:                              ;   in Loop: Header=BB261_13 Depth=1
	v_and_b32_e32 v12, 7, v5
	v_ffbh_u32_e32 v1, v12
	v_min_u32_e32 v14, 32, v1
	v_subrev_u32_e32 v1, 28, v14
	v_lshlrev_b64 v[1:2], v1, v[5:6]
	v_lshrrev_b32_e32 v13, 3, v0
	v_sub_u32_e32 v2, 29, v14
	v_cmp_gt_u32_e32 vcc, 8, v0
	v_cndmask_b32_e32 v0, v13, v2, vcc
	v_lshlrev_b32_e32 v2, 8, v5
	v_mov_b32_e32 v5, 0x2000
	v_lshl_add_u32 v0, v0, 10, v5
	v_and_b32_e32 v1, 7, v1
	v_and_or_b32 v0, v2, s54, v0
	v_cndmask_b32_e32 v1, v12, v1, vcc
	v_lshlrev_b32_e32 v0, 16, v0
	v_lshl_or_b32 v0, v1, 23, v0
	buffer_store_dword v0, off, s[56:59], 0 offset:96 ; 4-byte Folded Spill
.LBB261_148:                            ;   in Loop: Header=BB261_13 Depth=1
	s_or_b64 exec, exec, s[44:45]
.LBB261_149:                            ;   in Loop: Header=BB261_13 Depth=1
	s_or_b64 exec, exec, s[42:43]
.LBB261_150:                            ;   in Loop: Header=BB261_13 Depth=1
	s_or_b64 exec, exec, s[40:41]
	v_lshrrev_b32_e32 v5, 16, v11
	v_mov_b32_e32 v0, 0
	v_cmp_ne_u16_sdwa s[42:43], v5, v6 src0_sel:BYTE_0 src1_sel:DWORD
	buffer_store_dword v0, off, s[56:59], 0 offset:104 ; 4-byte Folded Spill
	v_mov_b32_e32 v0, 0
	buffer_store_dword v0, off, s[56:59], 0 offset:108 ; 4-byte Folded Spill
	s_and_saveexec_b64 s[40:41], s[42:43]
	s_cbranch_execz .LBB261_156
; %bb.151:                              ;   in Loop: Header=BB261_13 Depth=1
	v_cmp_ne_u16_sdwa s[44:45], v5, s52 src0_sel:BYTE_0 src1_sel:DWORD
	v_mov_b32_e32 v0, 0x8000
	buffer_store_dword v0, off, s[56:59], 0 offset:108 ; 4-byte Folded Spill
	s_and_saveexec_b64 s[42:43], s[44:45]
	s_cbranch_execz .LBB261_155
; %bb.152:                              ;   in Loop: Header=BB261_13 Depth=1
	v_bfe_u32 v0, v11, 16, 7
	v_cmp_ne_u32_e32 vcc, s53, v0
	v_mov_b32_e32 v1, 0x7c01
	buffer_store_dword v1, off, s[56:59], 0 offset:108 ; 4-byte Folded Spill
	s_and_saveexec_b64 s[44:45], vcc
	s_cbranch_execz .LBB261_154
; %bb.153:                              ;   in Loop: Header=BB261_13 Depth=1
	v_and_b32_e32 v12, 7, v5
	v_ffbh_u32_e32 v1, v12
	v_min_u32_e32 v14, 32, v1
	v_subrev_u32_e32 v1, 28, v14
	v_lshlrev_b64 v[1:2], v1, v[5:6]
	v_lshrrev_b32_e32 v13, 3, v0
	v_sub_u32_e32 v2, 29, v14
	v_cmp_gt_u32_e32 vcc, 8, v0
	v_cndmask_b32_e32 v0, v13, v2, vcc
	v_lshlrev_b32_e32 v2, 8, v5
	v_mov_b32_e32 v5, 0x2000
	v_lshl_add_u32 v0, v0, 10, v5
	v_and_b32_e32 v1, 7, v1
	v_and_b32_e32 v0, 0xfc00, v0
	v_cndmask_b32_e32 v1, v12, v1, vcc
	v_and_or_b32 v0, v2, s54, v0
	v_lshl_or_b32 v0, v1, 7, v0
	buffer_store_dword v0, off, s[56:59], 0 offset:108 ; 4-byte Folded Spill
.LBB261_154:                            ;   in Loop: Header=BB261_13 Depth=1
	s_or_b64 exec, exec, s[44:45]
.LBB261_155:                            ;   in Loop: Header=BB261_13 Depth=1
	s_or_b64 exec, exec, s[42:43]
.LBB261_156:                            ;   in Loop: Header=BB261_13 Depth=1
	s_or_b64 exec, exec, s[40:41]
	v_cmp_lt_u32_e32 vcc, s55, v11
	s_and_saveexec_b64 s[40:41], vcc
	s_cbranch_execz .LBB261_162
; %bb.157:                              ;   in Loop: Header=BB261_13 Depth=1
	v_lshrrev_b32_e32 v5, 24, v11
	v_cmp_ne_u32_e32 vcc, s52, v5
	v_bfrev_b32_e32 v0, 1
	buffer_store_dword v0, off, s[56:59], 0 offset:104 ; 4-byte Folded Spill
	s_and_saveexec_b64 s[42:43], vcc
	s_cbranch_execz .LBB261_161
; %bb.158:                              ;   in Loop: Header=BB261_13 Depth=1
	v_and_b32_e32 v0, 0x7f, v5
	v_cmp_ne_u32_e32 vcc, s53, v0
	v_mov_b32_e32 v1, 0x7c010000
	buffer_store_dword v1, off, s[56:59], 0 offset:104 ; 4-byte Folded Spill
	s_and_saveexec_b64 s[44:45], vcc
	s_cbranch_execz .LBB261_160
; %bb.159:                              ;   in Loop: Header=BB261_13 Depth=1
	v_and_b32_e32 v11, 7, v5
	v_ffbh_u32_e32 v1, v11
	v_min_u32_e32 v13, 32, v1
	v_subrev_u32_e32 v1, 28, v13
	v_lshlrev_b64 v[1:2], v1, v[5:6]
	v_lshrrev_b32_e32 v12, 3, v0
	v_sub_u32_e32 v2, 29, v13
	v_cmp_gt_u32_e32 vcc, 8, v0
	v_cndmask_b32_e32 v0, v12, v2, vcc
	v_lshlrev_b32_e32 v2, 8, v5
	v_mov_b32_e32 v5, 0x2000
	v_lshl_add_u32 v0, v0, 10, v5
	v_and_b32_e32 v1, 7, v1
	v_and_or_b32 v0, v2, s54, v0
	v_cndmask_b32_e32 v1, v11, v1, vcc
	v_lshlrev_b32_e32 v0, 16, v0
	v_lshl_or_b32 v0, v1, 23, v0
	buffer_store_dword v0, off, s[56:59], 0 offset:104 ; 4-byte Folded Spill
.LBB261_160:                            ;   in Loop: Header=BB261_13 Depth=1
	s_or_b64 exec, exec, s[44:45]
.LBB261_161:                            ;   in Loop: Header=BB261_13 Depth=1
	s_or_b64 exec, exec, s[42:43]
.LBB261_162:                            ;   in Loop: Header=BB261_13 Depth=1
	s_or_b64 exec, exec, s[40:41]
	global_load_dword v11, v[9:10], off offset:1536
	v_mov_b32_e32 v0, 0
	buffer_store_dword v0, off, s[56:59], 0 offset:112 ; 4-byte Folded Spill
	v_mov_b32_e32 v0, 0
	buffer_store_dword v0, off, s[56:59], 0 offset:116 ; 4-byte Folded Spill
	s_waitcnt vmcnt(2)
	v_cmp_ne_u16_sdwa s[42:43], v11, v6 src0_sel:BYTE_0 src1_sel:DWORD
	s_and_saveexec_b64 s[40:41], s[42:43]
	s_cbranch_execz .LBB261_168
; %bb.163:                              ;   in Loop: Header=BB261_13 Depth=1
	v_cmp_ne_u16_sdwa s[44:45], v11, s52 src0_sel:BYTE_0 src1_sel:DWORD
	v_mov_b32_e32 v0, 0x8000
	buffer_store_dword v0, off, s[56:59], 0 offset:116 ; 4-byte Folded Spill
	s_and_saveexec_b64 s[42:43], s[44:45]
	s_cbranch_execz .LBB261_167
; %bb.164:                              ;   in Loop: Header=BB261_13 Depth=1
	v_and_b32_e32 v0, 0x7f, v11
	v_cmp_ne_u32_e32 vcc, s53, v0
	v_mov_b32_e32 v1, 0x7c01
	buffer_store_dword v1, off, s[56:59], 0 offset:116 ; 4-byte Folded Spill
	s_and_saveexec_b64 s[44:45], vcc
	s_cbranch_execz .LBB261_166
; %bb.165:                              ;   in Loop: Header=BB261_13 Depth=1
	v_and_b32_e32 v5, 7, v11
	v_ffbh_u32_e32 v1, v5
	v_min_u32_e32 v13, 32, v1
	v_lshrrev_b32_e32 v12, 3, v0
	v_subrev_u32_e32 v1, 28, v13
	v_lshlrev_b64 v[1:2], v1, v[11:12]
	v_sub_u32_e32 v2, 29, v13
	v_cmp_gt_u32_e32 vcc, 8, v0
	v_cndmask_b32_e32 v0, v12, v2, vcc
	v_mov_b32_e32 v12, 0x2000
	v_lshl_add_u32 v0, v0, 10, v12
	v_lshlrev_b32_e32 v2, 8, v11
	v_and_b32_e32 v1, 7, v1
	v_and_b32_e32 v0, 0xfc00, v0
	v_cndmask_b32_e32 v1, v5, v1, vcc
	v_and_or_b32 v0, v2, s54, v0
	v_lshl_or_b32 v0, v1, 7, v0
	buffer_store_dword v0, off, s[56:59], 0 offset:116 ; 4-byte Folded Spill
.LBB261_166:                            ;   in Loop: Header=BB261_13 Depth=1
	s_or_b64 exec, exec, s[44:45]
.LBB261_167:                            ;   in Loop: Header=BB261_13 Depth=1
	s_or_b64 exec, exec, s[42:43]
.LBB261_168:                            ;   in Loop: Header=BB261_13 Depth=1
	s_or_b64 exec, exec, s[40:41]
	v_lshrrev_b16_e32 v5, 8, v11
	v_cmp_ne_u16_e32 vcc, 0, v5
	s_and_saveexec_b64 s[40:41], vcc
	s_cbranch_execz .LBB261_174
; %bb.169:                              ;   in Loop: Header=BB261_13 Depth=1
	v_cmp_ne_u16_e32 vcc, s52, v5
	v_bfrev_b32_e32 v0, 1
	buffer_store_dword v0, off, s[56:59], 0 offset:112 ; 4-byte Folded Spill
	s_and_saveexec_b64 s[42:43], vcc
	s_cbranch_execz .LBB261_173
; %bb.170:                              ;   in Loop: Header=BB261_13 Depth=1
	v_and_b32_e32 v0, 0x7f, v5
	v_cmp_ne_u32_e32 vcc, s53, v0
	v_mov_b32_e32 v1, 0x7c010000
	buffer_store_dword v1, off, s[56:59], 0 offset:112 ; 4-byte Folded Spill
	s_and_saveexec_b64 s[44:45], vcc
	s_cbranch_execz .LBB261_172
; %bb.171:                              ;   in Loop: Header=BB261_13 Depth=1
	v_and_b32_e32 v12, 7, v5
	v_ffbh_u32_e32 v1, v12
	v_min_u32_e32 v14, 32, v1
	v_subrev_u32_e32 v1, 28, v14
	v_lshlrev_b64 v[1:2], v1, v[5:6]
	v_lshrrev_b32_e32 v13, 3, v0
	v_sub_u32_e32 v2, 29, v14
	v_cmp_gt_u32_e32 vcc, 8, v0
	v_cndmask_b32_e32 v0, v13, v2, vcc
	v_lshlrev_b32_e32 v2, 8, v5
	v_mov_b32_e32 v5, 0x2000
	v_lshl_add_u32 v0, v0, 10, v5
	v_and_b32_e32 v1, 7, v1
	v_and_or_b32 v0, v2, s54, v0
	v_cndmask_b32_e32 v1, v12, v1, vcc
	v_lshlrev_b32_e32 v0, 16, v0
	v_lshl_or_b32 v0, v1, 23, v0
	buffer_store_dword v0, off, s[56:59], 0 offset:112 ; 4-byte Folded Spill
.LBB261_172:                            ;   in Loop: Header=BB261_13 Depth=1
	s_or_b64 exec, exec, s[44:45]
.LBB261_173:                            ;   in Loop: Header=BB261_13 Depth=1
	s_or_b64 exec, exec, s[42:43]
.LBB261_174:                            ;   in Loop: Header=BB261_13 Depth=1
	s_or_b64 exec, exec, s[40:41]
	v_lshrrev_b32_e32 v5, 16, v11
	v_mov_b32_e32 v0, 0
	v_cmp_ne_u16_sdwa s[42:43], v5, v6 src0_sel:BYTE_0 src1_sel:DWORD
	buffer_store_dword v0, off, s[56:59], 0 offset:120 ; 4-byte Folded Spill
	v_mov_b32_e32 v0, 0
	buffer_store_dword v0, off, s[56:59], 0 offset:124 ; 4-byte Folded Spill
	s_and_saveexec_b64 s[40:41], s[42:43]
	s_cbranch_execz .LBB261_180
; %bb.175:                              ;   in Loop: Header=BB261_13 Depth=1
	v_cmp_ne_u16_sdwa s[44:45], v5, s52 src0_sel:BYTE_0 src1_sel:DWORD
	v_mov_b32_e32 v0, 0x8000
	buffer_store_dword v0, off, s[56:59], 0 offset:124 ; 4-byte Folded Spill
	s_and_saveexec_b64 s[42:43], s[44:45]
	s_cbranch_execz .LBB261_179
; %bb.176:                              ;   in Loop: Header=BB261_13 Depth=1
	v_bfe_u32 v0, v11, 16, 7
	v_cmp_ne_u32_e32 vcc, s53, v0
	v_mov_b32_e32 v1, 0x7c01
	buffer_store_dword v1, off, s[56:59], 0 offset:124 ; 4-byte Folded Spill
	s_and_saveexec_b64 s[44:45], vcc
	s_cbranch_execz .LBB261_178
; %bb.177:                              ;   in Loop: Header=BB261_13 Depth=1
	v_and_b32_e32 v2, 7, v5
	v_lshrrev_b32_e32 v12, 3, v0
	v_cmp_gt_u32_e32 vcc, 8, v0
	v_ffbh_u32_e32 v0, v2
	v_min_u32_e32 v13, 32, v0
	v_subrev_u32_e32 v0, 28, v13
	v_lshlrev_b64 v[0:1], v0, v[5:6]
	v_sub_u32_e32 v1, 29, v13
	v_cndmask_b32_e32 v1, v12, v1, vcc
	v_mov_b32_e32 v12, 0x2000
	v_lshl_add_u32 v1, v1, 10, v12
	v_lshlrev_b32_e32 v5, 8, v5
	v_and_b32_e32 v0, 7, v0
	v_and_b32_e32 v1, 0xfc00, v1
	v_cndmask_b32_e32 v0, v2, v0, vcc
	v_and_or_b32 v1, v5, s54, v1
	v_lshl_or_b32 v0, v0, 7, v1
	buffer_store_dword v0, off, s[56:59], 0 offset:124 ; 4-byte Folded Spill
.LBB261_178:                            ;   in Loop: Header=BB261_13 Depth=1
	s_or_b64 exec, exec, s[44:45]
.LBB261_179:                            ;   in Loop: Header=BB261_13 Depth=1
	s_or_b64 exec, exec, s[42:43]
.LBB261_180:                            ;   in Loop: Header=BB261_13 Depth=1
	s_or_b64 exec, exec, s[40:41]
	v_cmp_lt_u32_e32 vcc, s55, v11
	s_and_saveexec_b64 s[40:41], vcc
	s_cbranch_execz .LBB261_186
; %bb.181:                              ;   in Loop: Header=BB261_13 Depth=1
	v_lshrrev_b32_e32 v5, 24, v11
	v_cmp_ne_u32_e32 vcc, s52, v5
	v_bfrev_b32_e32 v0, 1
	buffer_store_dword v0, off, s[56:59], 0 offset:120 ; 4-byte Folded Spill
	s_and_saveexec_b64 s[42:43], vcc
	s_cbranch_execz .LBB261_185
; %bb.182:                              ;   in Loop: Header=BB261_13 Depth=1
	v_and_b32_e32 v0, 0x7f, v5
	v_cmp_ne_u32_e32 vcc, s53, v0
	v_mov_b32_e32 v1, 0x7c010000
	buffer_store_dword v1, off, s[56:59], 0 offset:120 ; 4-byte Folded Spill
	s_and_saveexec_b64 s[44:45], vcc
	s_cbranch_execz .LBB261_184
; %bb.183:                              ;   in Loop: Header=BB261_13 Depth=1
	v_and_b32_e32 v11, 7, v5
	v_ffbh_u32_e32 v1, v11
	v_min_u32_e32 v13, 32, v1
	v_subrev_u32_e32 v1, 28, v13
	v_lshlrev_b64 v[1:2], v1, v[5:6]
	v_lshrrev_b32_e32 v12, 3, v0
	v_sub_u32_e32 v2, 29, v13
	v_cmp_gt_u32_e32 vcc, 8, v0
	v_cndmask_b32_e32 v0, v12, v2, vcc
	v_lshlrev_b32_e32 v2, 8, v5
	v_mov_b32_e32 v5, 0x2000
	v_lshl_add_u32 v0, v0, 10, v5
	v_and_b32_e32 v1, 7, v1
	v_and_or_b32 v0, v2, s54, v0
	v_cndmask_b32_e32 v1, v11, v1, vcc
	v_lshlrev_b32_e32 v0, 16, v0
	v_lshl_or_b32 v0, v1, 23, v0
	buffer_store_dword v0, off, s[56:59], 0 offset:120 ; 4-byte Folded Spill
.LBB261_184:                            ;   in Loop: Header=BB261_13 Depth=1
	s_or_b64 exec, exec, s[44:45]
.LBB261_185:                            ;   in Loop: Header=BB261_13 Depth=1
	s_or_b64 exec, exec, s[42:43]
.LBB261_186:                            ;   in Loop: Header=BB261_13 Depth=1
	s_or_b64 exec, exec, s[40:41]
	global_load_dword v11, v[9:10], off offset:1544
	v_mov_b32_e32 v0, 0
	buffer_store_dword v0, off, s[56:59], 0 offset:128 ; 4-byte Folded Spill
	v_mov_b32_e32 v0, 0
	buffer_store_dword v0, off, s[56:59], 0 offset:132 ; 4-byte Folded Spill
	s_waitcnt vmcnt(2)
	v_cmp_ne_u16_sdwa s[42:43], v11, v6 src0_sel:BYTE_0 src1_sel:DWORD
	s_and_saveexec_b64 s[40:41], s[42:43]
	s_cbranch_execz .LBB261_192
; %bb.187:                              ;   in Loop: Header=BB261_13 Depth=1
	v_cmp_ne_u16_sdwa s[44:45], v11, s52 src0_sel:BYTE_0 src1_sel:DWORD
	v_mov_b32_e32 v0, 0x8000
	buffer_store_dword v0, off, s[56:59], 0 offset:132 ; 4-byte Folded Spill
	s_and_saveexec_b64 s[42:43], s[44:45]
	s_cbranch_execz .LBB261_191
; %bb.188:                              ;   in Loop: Header=BB261_13 Depth=1
	v_and_b32_e32 v0, 0x7f, v11
	v_cmp_ne_u32_e32 vcc, s53, v0
	v_mov_b32_e32 v1, 0x7c01
	buffer_store_dword v1, off, s[56:59], 0 offset:132 ; 4-byte Folded Spill
	s_and_saveexec_b64 s[44:45], vcc
	s_cbranch_execz .LBB261_190
; %bb.189:                              ;   in Loop: Header=BB261_13 Depth=1
	v_and_b32_e32 v2, 7, v11
	v_lshrrev_b32_e32 v5, 3, v0
	v_cmp_gt_u32_e32 vcc, 8, v0
	v_ffbh_u32_e32 v0, v2
	v_min_u32_e32 v12, 32, v0
	v_subrev_u32_e32 v0, 28, v12
	v_lshlrev_b64 v[0:1], v0, v[11:12]
	v_sub_u32_e32 v1, 29, v12
	v_cndmask_b32_e32 v1, v5, v1, vcc
	v_mov_b32_e32 v12, 0x2000
	v_lshl_add_u32 v1, v1, 10, v12
	v_lshlrev_b32_e32 v5, 8, v11
	v_and_b32_e32 v0, 7, v0
	v_and_b32_e32 v1, 0xfc00, v1
	v_cndmask_b32_e32 v0, v2, v0, vcc
	v_and_or_b32 v1, v5, s54, v1
	v_lshl_or_b32 v0, v0, 7, v1
	buffer_store_dword v0, off, s[56:59], 0 offset:132 ; 4-byte Folded Spill
.LBB261_190:                            ;   in Loop: Header=BB261_13 Depth=1
	s_or_b64 exec, exec, s[44:45]
.LBB261_191:                            ;   in Loop: Header=BB261_13 Depth=1
	s_or_b64 exec, exec, s[42:43]
.LBB261_192:                            ;   in Loop: Header=BB261_13 Depth=1
	s_or_b64 exec, exec, s[40:41]
	v_lshrrev_b16_e32 v5, 8, v11
	v_cmp_ne_u16_e32 vcc, 0, v5
	s_and_saveexec_b64 s[40:41], vcc
	s_cbranch_execz .LBB261_198
; %bb.193:                              ;   in Loop: Header=BB261_13 Depth=1
	v_cmp_ne_u16_e32 vcc, s52, v5
	v_bfrev_b32_e32 v0, 1
	buffer_store_dword v0, off, s[56:59], 0 offset:128 ; 4-byte Folded Spill
	s_and_saveexec_b64 s[42:43], vcc
	s_cbranch_execz .LBB261_197
; %bb.194:                              ;   in Loop: Header=BB261_13 Depth=1
	v_and_b32_e32 v0, 0x7f, v5
	v_cmp_ne_u32_e32 vcc, s53, v0
	v_mov_b32_e32 v1, 0x7c010000
	buffer_store_dword v1, off, s[56:59], 0 offset:128 ; 4-byte Folded Spill
	s_and_saveexec_b64 s[44:45], vcc
	s_cbranch_execz .LBB261_196
; %bb.195:                              ;   in Loop: Header=BB261_13 Depth=1
	v_and_b32_e32 v2, 7, v5
	v_lshrrev_b32_e32 v12, 3, v0
	v_cmp_gt_u32_e32 vcc, 8, v0
	v_ffbh_u32_e32 v0, v2
	v_min_u32_e32 v13, 32, v0
	v_subrev_u32_e32 v0, 28, v13
	v_lshlrev_b64 v[0:1], v0, v[5:6]
	v_sub_u32_e32 v1, 29, v13
	v_cndmask_b32_e32 v1, v12, v1, vcc
	v_mov_b32_e32 v12, 0x2000
	v_lshlrev_b32_e32 v5, 8, v5
	v_lshl_add_u32 v1, v1, 10, v12
	v_and_b32_e32 v0, 7, v0
	v_and_or_b32 v1, v5, s54, v1
	v_cndmask_b32_e32 v0, v2, v0, vcc
	v_lshlrev_b32_e32 v1, 16, v1
	v_lshl_or_b32 v0, v0, 23, v1
	buffer_store_dword v0, off, s[56:59], 0 offset:128 ; 4-byte Folded Spill
.LBB261_196:                            ;   in Loop: Header=BB261_13 Depth=1
	s_or_b64 exec, exec, s[44:45]
.LBB261_197:                            ;   in Loop: Header=BB261_13 Depth=1
	s_or_b64 exec, exec, s[42:43]
.LBB261_198:                            ;   in Loop: Header=BB261_13 Depth=1
	s_or_b64 exec, exec, s[40:41]
	v_lshrrev_b32_e32 v5, 16, v11
	v_mov_b32_e32 v0, 0
	v_cmp_ne_u16_sdwa s[42:43], v5, v6 src0_sel:BYTE_0 src1_sel:DWORD
	buffer_store_dword v0, off, s[56:59], 0 offset:136 ; 4-byte Folded Spill
	v_mov_b32_e32 v0, 0
	buffer_store_dword v0, off, s[56:59], 0 offset:140 ; 4-byte Folded Spill
	s_and_saveexec_b64 s[40:41], s[42:43]
	s_cbranch_execz .LBB261_204
; %bb.199:                              ;   in Loop: Header=BB261_13 Depth=1
	v_cmp_ne_u16_sdwa s[44:45], v5, s52 src0_sel:BYTE_0 src1_sel:DWORD
	v_mov_b32_e32 v0, 0x8000
	buffer_store_dword v0, off, s[56:59], 0 offset:140 ; 4-byte Folded Spill
	s_and_saveexec_b64 s[42:43], s[44:45]
	s_cbranch_execz .LBB261_203
; %bb.200:                              ;   in Loop: Header=BB261_13 Depth=1
	v_bfe_u32 v0, v11, 16, 7
	v_cmp_ne_u32_e32 vcc, s53, v0
	v_mov_b32_e32 v1, 0x7c01
	buffer_store_dword v1, off, s[56:59], 0 offset:140 ; 4-byte Folded Spill
	s_and_saveexec_b64 s[44:45], vcc
	s_cbranch_execz .LBB261_202
; %bb.201:                              ;   in Loop: Header=BB261_13 Depth=1
	v_and_b32_e32 v2, 7, v5
	v_lshrrev_b32_e32 v12, 3, v0
	v_cmp_gt_u32_e32 vcc, 8, v0
	v_ffbh_u32_e32 v0, v2
	v_min_u32_e32 v13, 32, v0
	v_subrev_u32_e32 v0, 28, v13
	v_lshlrev_b64 v[0:1], v0, v[5:6]
	v_sub_u32_e32 v1, 29, v13
	v_cndmask_b32_e32 v1, v12, v1, vcc
	v_mov_b32_e32 v12, 0x2000
	v_lshl_add_u32 v1, v1, 10, v12
	v_lshlrev_b32_e32 v5, 8, v5
	v_and_b32_e32 v0, 7, v0
	v_and_b32_e32 v1, 0xfc00, v1
	v_cndmask_b32_e32 v0, v2, v0, vcc
	v_and_or_b32 v1, v5, s54, v1
	v_lshl_or_b32 v0, v0, 7, v1
	buffer_store_dword v0, off, s[56:59], 0 offset:140 ; 4-byte Folded Spill
.LBB261_202:                            ;   in Loop: Header=BB261_13 Depth=1
	s_or_b64 exec, exec, s[44:45]
.LBB261_203:                            ;   in Loop: Header=BB261_13 Depth=1
	s_or_b64 exec, exec, s[42:43]
.LBB261_204:                            ;   in Loop: Header=BB261_13 Depth=1
	s_or_b64 exec, exec, s[40:41]
	v_cmp_lt_u32_e32 vcc, s55, v11
	s_and_saveexec_b64 s[40:41], vcc
	s_cbranch_execz .LBB261_210
; %bb.205:                              ;   in Loop: Header=BB261_13 Depth=1
	v_lshrrev_b32_e32 v5, 24, v11
	v_cmp_ne_u32_e32 vcc, s52, v5
	v_bfrev_b32_e32 v0, 1
	buffer_store_dword v0, off, s[56:59], 0 offset:136 ; 4-byte Folded Spill
	s_and_saveexec_b64 s[42:43], vcc
	s_cbranch_execz .LBB261_209
; %bb.206:                              ;   in Loop: Header=BB261_13 Depth=1
	v_and_b32_e32 v0, 0x7f, v5
	v_cmp_ne_u32_e32 vcc, s53, v0
	v_mov_b32_e32 v1, 0x7c010000
	buffer_store_dword v1, off, s[56:59], 0 offset:136 ; 4-byte Folded Spill
	s_and_saveexec_b64 s[44:45], vcc
	s_cbranch_execz .LBB261_208
; %bb.207:                              ;   in Loop: Header=BB261_13 Depth=1
	v_and_b32_e32 v2, 7, v5
	v_lshrrev_b32_e32 v11, 3, v0
	v_cmp_gt_u32_e32 vcc, 8, v0
	v_ffbh_u32_e32 v0, v2
	v_min_u32_e32 v12, 32, v0
	v_subrev_u32_e32 v0, 28, v12
	v_lshlrev_b64 v[0:1], v0, v[5:6]
	v_sub_u32_e32 v1, 29, v12
	v_cndmask_b32_e32 v1, v11, v1, vcc
	v_mov_b32_e32 v11, 0x2000
	v_lshlrev_b32_e32 v5, 8, v5
	v_lshl_add_u32 v1, v1, 10, v11
	v_and_b32_e32 v0, 7, v0
	v_and_or_b32 v1, v5, s54, v1
	v_cndmask_b32_e32 v0, v2, v0, vcc
	v_lshlrev_b32_e32 v1, 16, v1
	v_lshl_or_b32 v0, v0, 23, v1
	buffer_store_dword v0, off, s[56:59], 0 offset:136 ; 4-byte Folded Spill
.LBB261_208:                            ;   in Loop: Header=BB261_13 Depth=1
	s_or_b64 exec, exec, s[44:45]
.LBB261_209:                            ;   in Loop: Header=BB261_13 Depth=1
	s_or_b64 exec, exec, s[42:43]
.LBB261_210:                            ;   in Loop: Header=BB261_13 Depth=1
	s_or_b64 exec, exec, s[40:41]
	global_load_dword v11, v[9:10], off offset:2048
	v_mov_b32_e32 v0, 0
	buffer_store_dword v0, off, s[56:59], 0 offset:144 ; 4-byte Folded Spill
	v_mov_b32_e32 v0, 0
	buffer_store_dword v0, off, s[56:59], 0 offset:148 ; 4-byte Folded Spill
	s_waitcnt vmcnt(2)
	v_cmp_ne_u16_sdwa s[42:43], v11, v6 src0_sel:BYTE_0 src1_sel:DWORD
	s_and_saveexec_b64 s[40:41], s[42:43]
	s_cbranch_execz .LBB261_216
; %bb.211:                              ;   in Loop: Header=BB261_13 Depth=1
	v_cmp_ne_u16_sdwa s[44:45], v11, s52 src0_sel:BYTE_0 src1_sel:DWORD
	v_mov_b32_e32 v0, 0x8000
	buffer_store_dword v0, off, s[56:59], 0 offset:148 ; 4-byte Folded Spill
	s_and_saveexec_b64 s[42:43], s[44:45]
	s_cbranch_execz .LBB261_215
; %bb.212:                              ;   in Loop: Header=BB261_13 Depth=1
	v_and_b32_e32 v0, 0x7f, v11
	v_cmp_ne_u32_e32 vcc, s53, v0
	v_mov_b32_e32 v1, 0x7c01
	buffer_store_dword v1, off, s[56:59], 0 offset:148 ; 4-byte Folded Spill
	s_and_saveexec_b64 s[44:45], vcc
	s_cbranch_execz .LBB261_214
; %bb.213:                              ;   in Loop: Header=BB261_13 Depth=1
	v_and_b32_e32 v2, 7, v11
	v_lshrrev_b32_e32 v5, 3, v0
	v_cmp_gt_u32_e32 vcc, 8, v0
	v_ffbh_u32_e32 v0, v2
	v_min_u32_e32 v12, 32, v0
	v_subrev_u32_e32 v0, 28, v12
	v_lshlrev_b64 v[0:1], v0, v[11:12]
	v_sub_u32_e32 v1, 29, v12
	v_cndmask_b32_e32 v1, v5, v1, vcc
	v_mov_b32_e32 v12, 0x2000
	v_lshl_add_u32 v1, v1, 10, v12
	v_lshlrev_b32_e32 v5, 8, v11
	v_and_b32_e32 v0, 7, v0
	v_and_b32_e32 v1, 0xfc00, v1
	v_cndmask_b32_e32 v0, v2, v0, vcc
	v_and_or_b32 v1, v5, s54, v1
	v_lshl_or_b32 v0, v0, 7, v1
	buffer_store_dword v0, off, s[56:59], 0 offset:148 ; 4-byte Folded Spill
.LBB261_214:                            ;   in Loop: Header=BB261_13 Depth=1
	s_or_b64 exec, exec, s[44:45]
.LBB261_215:                            ;   in Loop: Header=BB261_13 Depth=1
	s_or_b64 exec, exec, s[42:43]
.LBB261_216:                            ;   in Loop: Header=BB261_13 Depth=1
	s_or_b64 exec, exec, s[40:41]
	v_lshrrev_b16_e32 v5, 8, v11
	v_cmp_ne_u16_e32 vcc, 0, v5
	s_and_saveexec_b64 s[40:41], vcc
	s_cbranch_execz .LBB261_222
; %bb.217:                              ;   in Loop: Header=BB261_13 Depth=1
	v_cmp_ne_u16_e32 vcc, s52, v5
	v_bfrev_b32_e32 v0, 1
	buffer_store_dword v0, off, s[56:59], 0 offset:144 ; 4-byte Folded Spill
	s_and_saveexec_b64 s[42:43], vcc
	s_cbranch_execz .LBB261_221
; %bb.218:                              ;   in Loop: Header=BB261_13 Depth=1
	v_and_b32_e32 v0, 0x7f, v5
	v_cmp_ne_u32_e32 vcc, s53, v0
	v_mov_b32_e32 v1, 0x7c010000
	buffer_store_dword v1, off, s[56:59], 0 offset:144 ; 4-byte Folded Spill
	s_and_saveexec_b64 s[44:45], vcc
	s_cbranch_execz .LBB261_220
; %bb.219:                              ;   in Loop: Header=BB261_13 Depth=1
	v_and_b32_e32 v2, 7, v5
	v_lshrrev_b32_e32 v12, 3, v0
	v_cmp_gt_u32_e32 vcc, 8, v0
	v_ffbh_u32_e32 v0, v2
	v_min_u32_e32 v13, 32, v0
	v_subrev_u32_e32 v0, 28, v13
	v_lshlrev_b64 v[0:1], v0, v[5:6]
	v_sub_u32_e32 v1, 29, v13
	v_cndmask_b32_e32 v1, v12, v1, vcc
	v_mov_b32_e32 v12, 0x2000
	v_lshlrev_b32_e32 v5, 8, v5
	v_lshl_add_u32 v1, v1, 10, v12
	v_and_b32_e32 v0, 7, v0
	v_and_or_b32 v1, v5, s54, v1
	v_cndmask_b32_e32 v0, v2, v0, vcc
	v_lshlrev_b32_e32 v1, 16, v1
	v_lshl_or_b32 v0, v0, 23, v1
	buffer_store_dword v0, off, s[56:59], 0 offset:144 ; 4-byte Folded Spill
.LBB261_220:                            ;   in Loop: Header=BB261_13 Depth=1
	s_or_b64 exec, exec, s[44:45]
.LBB261_221:                            ;   in Loop: Header=BB261_13 Depth=1
	s_or_b64 exec, exec, s[42:43]
.LBB261_222:                            ;   in Loop: Header=BB261_13 Depth=1
	s_or_b64 exec, exec, s[40:41]
	v_lshrrev_b32_e32 v5, 16, v11
	v_mov_b32_e32 v0, 0
	v_cmp_ne_u16_sdwa s[42:43], v5, v6 src0_sel:BYTE_0 src1_sel:DWORD
	buffer_store_dword v0, off, s[56:59], 0 offset:152 ; 4-byte Folded Spill
	v_mov_b32_e32 v0, 0
	buffer_store_dword v0, off, s[56:59], 0 offset:156 ; 4-byte Folded Spill
	s_and_saveexec_b64 s[40:41], s[42:43]
	s_cbranch_execz .LBB261_228
; %bb.223:                              ;   in Loop: Header=BB261_13 Depth=1
	v_cmp_ne_u16_sdwa s[44:45], v5, s52 src0_sel:BYTE_0 src1_sel:DWORD
	v_mov_b32_e32 v0, 0x8000
	buffer_store_dword v0, off, s[56:59], 0 offset:156 ; 4-byte Folded Spill
	s_and_saveexec_b64 s[42:43], s[44:45]
	s_cbranch_execz .LBB261_227
; %bb.224:                              ;   in Loop: Header=BB261_13 Depth=1
	v_bfe_u32 v0, v11, 16, 7
	v_cmp_ne_u32_e32 vcc, s53, v0
	v_mov_b32_e32 v1, 0x7c01
	buffer_store_dword v1, off, s[56:59], 0 offset:156 ; 4-byte Folded Spill
	s_and_saveexec_b64 s[44:45], vcc
	s_cbranch_execz .LBB261_226
; %bb.225:                              ;   in Loop: Header=BB261_13 Depth=1
	v_and_b32_e32 v2, 7, v5
	v_lshrrev_b32_e32 v12, 3, v0
	v_cmp_gt_u32_e32 vcc, 8, v0
	v_ffbh_u32_e32 v0, v2
	v_min_u32_e32 v13, 32, v0
	v_subrev_u32_e32 v0, 28, v13
	v_lshlrev_b64 v[0:1], v0, v[5:6]
	v_sub_u32_e32 v1, 29, v13
	v_cndmask_b32_e32 v1, v12, v1, vcc
	v_mov_b32_e32 v12, 0x2000
	v_lshl_add_u32 v1, v1, 10, v12
	v_lshlrev_b32_e32 v5, 8, v5
	v_and_b32_e32 v0, 7, v0
	v_and_b32_e32 v1, 0xfc00, v1
	v_cndmask_b32_e32 v0, v2, v0, vcc
	v_and_or_b32 v1, v5, s54, v1
	v_lshl_or_b32 v0, v0, 7, v1
	buffer_store_dword v0, off, s[56:59], 0 offset:156 ; 4-byte Folded Spill
.LBB261_226:                            ;   in Loop: Header=BB261_13 Depth=1
	s_or_b64 exec, exec, s[44:45]
.LBB261_227:                            ;   in Loop: Header=BB261_13 Depth=1
	s_or_b64 exec, exec, s[42:43]
.LBB261_228:                            ;   in Loop: Header=BB261_13 Depth=1
	s_or_b64 exec, exec, s[40:41]
	v_cmp_lt_u32_e32 vcc, s55, v11
	s_and_saveexec_b64 s[40:41], vcc
	s_cbranch_execz .LBB261_234
; %bb.229:                              ;   in Loop: Header=BB261_13 Depth=1
	v_lshrrev_b32_e32 v5, 24, v11
	v_cmp_ne_u32_e32 vcc, s52, v5
	v_bfrev_b32_e32 v0, 1
	buffer_store_dword v0, off, s[56:59], 0 offset:152 ; 4-byte Folded Spill
	s_and_saveexec_b64 s[42:43], vcc
	s_cbranch_execz .LBB261_233
; %bb.230:                              ;   in Loop: Header=BB261_13 Depth=1
	v_and_b32_e32 v0, 0x7f, v5
	v_cmp_ne_u32_e32 vcc, s53, v0
	v_mov_b32_e32 v1, 0x7c010000
	buffer_store_dword v1, off, s[56:59], 0 offset:152 ; 4-byte Folded Spill
	s_and_saveexec_b64 s[44:45], vcc
	s_cbranch_execz .LBB261_232
; %bb.231:                              ;   in Loop: Header=BB261_13 Depth=1
	v_and_b32_e32 v2, 7, v5
	v_lshrrev_b32_e32 v11, 3, v0
	v_cmp_gt_u32_e32 vcc, 8, v0
	v_ffbh_u32_e32 v0, v2
	v_min_u32_e32 v12, 32, v0
	v_subrev_u32_e32 v0, 28, v12
	v_lshlrev_b64 v[0:1], v0, v[5:6]
	v_sub_u32_e32 v1, 29, v12
	v_cndmask_b32_e32 v1, v11, v1, vcc
	v_mov_b32_e32 v11, 0x2000
	v_lshlrev_b32_e32 v5, 8, v5
	v_lshl_add_u32 v1, v1, 10, v11
	v_and_b32_e32 v0, 7, v0
	v_and_or_b32 v1, v5, s54, v1
	v_cndmask_b32_e32 v0, v2, v0, vcc
	v_lshlrev_b32_e32 v1, 16, v1
	v_lshl_or_b32 v0, v0, 23, v1
	buffer_store_dword v0, off, s[56:59], 0 offset:152 ; 4-byte Folded Spill
.LBB261_232:                            ;   in Loop: Header=BB261_13 Depth=1
	s_or_b64 exec, exec, s[44:45]
.LBB261_233:                            ;   in Loop: Header=BB261_13 Depth=1
	s_or_b64 exec, exec, s[42:43]
.LBB261_234:                            ;   in Loop: Header=BB261_13 Depth=1
	s_or_b64 exec, exec, s[40:41]
	global_load_dword v11, v[9:10], off offset:2056
	v_mov_b32_e32 v0, 0
	buffer_store_dword v0, off, s[56:59], 0 offset:160 ; 4-byte Folded Spill
	v_mov_b32_e32 v0, 0
	buffer_store_dword v0, off, s[56:59], 0 offset:164 ; 4-byte Folded Spill
	s_waitcnt vmcnt(2)
	v_cmp_ne_u16_sdwa s[42:43], v11, v6 src0_sel:BYTE_0 src1_sel:DWORD
	s_and_saveexec_b64 s[40:41], s[42:43]
	s_cbranch_execz .LBB261_240
; %bb.235:                              ;   in Loop: Header=BB261_13 Depth=1
	v_cmp_ne_u16_sdwa s[44:45], v11, s52 src0_sel:BYTE_0 src1_sel:DWORD
	v_mov_b32_e32 v0, 0x8000
	buffer_store_dword v0, off, s[56:59], 0 offset:164 ; 4-byte Folded Spill
	s_and_saveexec_b64 s[42:43], s[44:45]
	s_cbranch_execz .LBB261_239
; %bb.236:                              ;   in Loop: Header=BB261_13 Depth=1
	v_and_b32_e32 v0, 0x7f, v11
	v_cmp_ne_u32_e32 vcc, s53, v0
	v_mov_b32_e32 v1, 0x7c01
	buffer_store_dword v1, off, s[56:59], 0 offset:164 ; 4-byte Folded Spill
	s_and_saveexec_b64 s[44:45], vcc
	s_cbranch_execz .LBB261_238
; %bb.237:                              ;   in Loop: Header=BB261_13 Depth=1
	v_and_b32_e32 v2, 7, v11
	v_lshrrev_b32_e32 v5, 3, v0
	v_cmp_gt_u32_e32 vcc, 8, v0
	v_ffbh_u32_e32 v0, v2
	v_min_u32_e32 v12, 32, v0
	v_subrev_u32_e32 v0, 28, v12
	v_lshlrev_b64 v[0:1], v0, v[11:12]
	v_sub_u32_e32 v1, 29, v12
	v_cndmask_b32_e32 v1, v5, v1, vcc
	v_mov_b32_e32 v12, 0x2000
	v_lshl_add_u32 v1, v1, 10, v12
	v_lshlrev_b32_e32 v5, 8, v11
	v_and_b32_e32 v0, 7, v0
	v_and_b32_e32 v1, 0xfc00, v1
	v_cndmask_b32_e32 v0, v2, v0, vcc
	v_and_or_b32 v1, v5, s54, v1
	v_lshl_or_b32 v0, v0, 7, v1
	buffer_store_dword v0, off, s[56:59], 0 offset:164 ; 4-byte Folded Spill
.LBB261_238:                            ;   in Loop: Header=BB261_13 Depth=1
	s_or_b64 exec, exec, s[44:45]
.LBB261_239:                            ;   in Loop: Header=BB261_13 Depth=1
	s_or_b64 exec, exec, s[42:43]
.LBB261_240:                            ;   in Loop: Header=BB261_13 Depth=1
	s_or_b64 exec, exec, s[40:41]
	v_lshrrev_b16_e32 v5, 8, v11
	v_cmp_ne_u16_e32 vcc, 0, v5
	s_and_saveexec_b64 s[40:41], vcc
	s_cbranch_execz .LBB261_246
; %bb.241:                              ;   in Loop: Header=BB261_13 Depth=1
	v_cmp_ne_u16_e32 vcc, s52, v5
	v_bfrev_b32_e32 v0, 1
	buffer_store_dword v0, off, s[56:59], 0 offset:160 ; 4-byte Folded Spill
	s_and_saveexec_b64 s[42:43], vcc
	s_cbranch_execz .LBB261_245
; %bb.242:                              ;   in Loop: Header=BB261_13 Depth=1
	v_and_b32_e32 v0, 0x7f, v5
	v_cmp_ne_u32_e32 vcc, s53, v0
	v_mov_b32_e32 v1, 0x7c010000
	buffer_store_dword v1, off, s[56:59], 0 offset:160 ; 4-byte Folded Spill
	s_and_saveexec_b64 s[44:45], vcc
	s_cbranch_execz .LBB261_244
; %bb.243:                              ;   in Loop: Header=BB261_13 Depth=1
	v_and_b32_e32 v2, 7, v5
	v_lshrrev_b32_e32 v12, 3, v0
	v_cmp_gt_u32_e32 vcc, 8, v0
	v_ffbh_u32_e32 v0, v2
	v_min_u32_e32 v13, 32, v0
	v_subrev_u32_e32 v0, 28, v13
	v_lshlrev_b64 v[0:1], v0, v[5:6]
	v_sub_u32_e32 v1, 29, v13
	v_cndmask_b32_e32 v1, v12, v1, vcc
	v_mov_b32_e32 v12, 0x2000
	v_lshlrev_b32_e32 v5, 8, v5
	v_lshl_add_u32 v1, v1, 10, v12
	v_and_b32_e32 v0, 7, v0
	v_and_or_b32 v1, v5, s54, v1
	v_cndmask_b32_e32 v0, v2, v0, vcc
	v_lshlrev_b32_e32 v1, 16, v1
	v_lshl_or_b32 v0, v0, 23, v1
	buffer_store_dword v0, off, s[56:59], 0 offset:160 ; 4-byte Folded Spill
.LBB261_244:                            ;   in Loop: Header=BB261_13 Depth=1
	s_or_b64 exec, exec, s[44:45]
.LBB261_245:                            ;   in Loop: Header=BB261_13 Depth=1
	s_or_b64 exec, exec, s[42:43]
.LBB261_246:                            ;   in Loop: Header=BB261_13 Depth=1
	s_or_b64 exec, exec, s[40:41]
	v_lshrrev_b32_e32 v5, 16, v11
	v_mov_b32_e32 v0, 0
	v_cmp_ne_u16_sdwa s[42:43], v5, v6 src0_sel:BYTE_0 src1_sel:DWORD
	buffer_store_dword v0, off, s[56:59], 0 offset:168 ; 4-byte Folded Spill
	v_mov_b32_e32 v0, 0
	buffer_store_dword v0, off, s[56:59], 0 offset:172 ; 4-byte Folded Spill
	s_and_saveexec_b64 s[40:41], s[42:43]
	s_cbranch_execz .LBB261_252
; %bb.247:                              ;   in Loop: Header=BB261_13 Depth=1
	v_cmp_ne_u16_sdwa s[44:45], v5, s52 src0_sel:BYTE_0 src1_sel:DWORD
	v_mov_b32_e32 v0, 0x8000
	buffer_store_dword v0, off, s[56:59], 0 offset:172 ; 4-byte Folded Spill
	s_and_saveexec_b64 s[42:43], s[44:45]
	s_cbranch_execz .LBB261_251
; %bb.248:                              ;   in Loop: Header=BB261_13 Depth=1
	v_bfe_u32 v0, v11, 16, 7
	v_cmp_ne_u32_e32 vcc, s53, v0
	v_mov_b32_e32 v1, 0x7c01
	buffer_store_dword v1, off, s[56:59], 0 offset:172 ; 4-byte Folded Spill
	s_and_saveexec_b64 s[44:45], vcc
	s_cbranch_execz .LBB261_250
; %bb.249:                              ;   in Loop: Header=BB261_13 Depth=1
	v_and_b32_e32 v2, 7, v5
	v_lshrrev_b32_e32 v12, 3, v0
	v_cmp_gt_u32_e32 vcc, 8, v0
	v_ffbh_u32_e32 v0, v2
	v_min_u32_e32 v13, 32, v0
	v_subrev_u32_e32 v0, 28, v13
	v_lshlrev_b64 v[0:1], v0, v[5:6]
	v_sub_u32_e32 v1, 29, v13
	v_cndmask_b32_e32 v1, v12, v1, vcc
	v_mov_b32_e32 v12, 0x2000
	v_lshl_add_u32 v1, v1, 10, v12
	v_lshlrev_b32_e32 v5, 8, v5
	v_and_b32_e32 v0, 7, v0
	v_and_b32_e32 v1, 0xfc00, v1
	v_cndmask_b32_e32 v0, v2, v0, vcc
	v_and_or_b32 v1, v5, s54, v1
	v_lshl_or_b32 v0, v0, 7, v1
	buffer_store_dword v0, off, s[56:59], 0 offset:172 ; 4-byte Folded Spill
.LBB261_250:                            ;   in Loop: Header=BB261_13 Depth=1
	s_or_b64 exec, exec, s[44:45]
.LBB261_251:                            ;   in Loop: Header=BB261_13 Depth=1
	s_or_b64 exec, exec, s[42:43]
.LBB261_252:                            ;   in Loop: Header=BB261_13 Depth=1
	s_or_b64 exec, exec, s[40:41]
	v_cmp_lt_u32_e32 vcc, s55, v11
	s_and_saveexec_b64 s[40:41], vcc
	s_cbranch_execz .LBB261_258
; %bb.253:                              ;   in Loop: Header=BB261_13 Depth=1
	v_lshrrev_b32_e32 v5, 24, v11
	v_cmp_ne_u32_e32 vcc, s52, v5
	v_bfrev_b32_e32 v0, 1
	buffer_store_dword v0, off, s[56:59], 0 offset:168 ; 4-byte Folded Spill
	s_and_saveexec_b64 s[42:43], vcc
	s_cbranch_execz .LBB261_257
; %bb.254:                              ;   in Loop: Header=BB261_13 Depth=1
	v_and_b32_e32 v0, 0x7f, v5
	v_cmp_ne_u32_e32 vcc, s53, v0
	v_mov_b32_e32 v1, 0x7c010000
	buffer_store_dword v1, off, s[56:59], 0 offset:168 ; 4-byte Folded Spill
	s_and_saveexec_b64 s[44:45], vcc
	s_cbranch_execz .LBB261_256
; %bb.255:                              ;   in Loop: Header=BB261_13 Depth=1
	v_and_b32_e32 v2, 7, v5
	v_lshrrev_b32_e32 v11, 3, v0
	v_cmp_gt_u32_e32 vcc, 8, v0
	v_ffbh_u32_e32 v0, v2
	v_min_u32_e32 v12, 32, v0
	v_subrev_u32_e32 v0, 28, v12
	v_lshlrev_b64 v[0:1], v0, v[5:6]
	v_sub_u32_e32 v1, 29, v12
	v_cndmask_b32_e32 v1, v11, v1, vcc
	v_mov_b32_e32 v11, 0x2000
	v_lshlrev_b32_e32 v5, 8, v5
	v_lshl_add_u32 v1, v1, 10, v11
	v_and_b32_e32 v0, 7, v0
	v_and_or_b32 v1, v5, s54, v1
	v_cndmask_b32_e32 v0, v2, v0, vcc
	v_lshlrev_b32_e32 v1, 16, v1
	v_lshl_or_b32 v0, v0, 23, v1
	buffer_store_dword v0, off, s[56:59], 0 offset:168 ; 4-byte Folded Spill
.LBB261_256:                            ;   in Loop: Header=BB261_13 Depth=1
	s_or_b64 exec, exec, s[44:45]
.LBB261_257:                            ;   in Loop: Header=BB261_13 Depth=1
	s_or_b64 exec, exec, s[42:43]
.LBB261_258:                            ;   in Loop: Header=BB261_13 Depth=1
	s_or_b64 exec, exec, s[40:41]
	global_load_dword v11, v[9:10], off offset:2560
	v_mov_b32_e32 v27, 0
	v_mov_b32_e32 v0, 0
	buffer_store_dword v0, off, s[56:59], 0 offset:176 ; 4-byte Folded Spill
	s_waitcnt vmcnt(1)
	v_cmp_ne_u16_sdwa s[42:43], v11, v6 src0_sel:BYTE_0 src1_sel:DWORD
	s_and_saveexec_b64 s[40:41], s[42:43]
	s_cbranch_execz .LBB261_264
; %bb.259:                              ;   in Loop: Header=BB261_13 Depth=1
	v_cmp_ne_u16_sdwa s[44:45], v11, s52 src0_sel:BYTE_0 src1_sel:DWORD
	v_mov_b32_e32 v0, 0x8000
	buffer_store_dword v0, off, s[56:59], 0 offset:176 ; 4-byte Folded Spill
	s_and_saveexec_b64 s[42:43], s[44:45]
	s_cbranch_execz .LBB261_263
; %bb.260:                              ;   in Loop: Header=BB261_13 Depth=1
	v_and_b32_e32 v0, 0x7f, v11
	v_cmp_ne_u32_e32 vcc, s53, v0
	v_mov_b32_e32 v1, 0x7c01
	buffer_store_dword v1, off, s[56:59], 0 offset:176 ; 4-byte Folded Spill
	s_and_saveexec_b64 s[44:45], vcc
	s_cbranch_execz .LBB261_262
; %bb.261:                              ;   in Loop: Header=BB261_13 Depth=1
	v_and_b32_e32 v2, 7, v11
	v_lshrrev_b32_e32 v5, 3, v0
	v_cmp_gt_u32_e32 vcc, 8, v0
	v_ffbh_u32_e32 v0, v2
	v_min_u32_e32 v12, 32, v0
	v_subrev_u32_e32 v0, 28, v12
	v_lshlrev_b64 v[0:1], v0, v[11:12]
	v_sub_u32_e32 v1, 29, v12
	v_cndmask_b32_e32 v1, v5, v1, vcc
	v_mov_b32_e32 v12, 0x2000
	v_lshl_add_u32 v1, v1, 10, v12
	v_lshlrev_b32_e32 v5, 8, v11
	v_and_b32_e32 v0, 7, v0
	v_and_b32_e32 v1, 0xfc00, v1
	v_cndmask_b32_e32 v0, v2, v0, vcc
	v_and_or_b32 v1, v5, s54, v1
	v_lshl_or_b32 v0, v0, 7, v1
	buffer_store_dword v0, off, s[56:59], 0 offset:176 ; 4-byte Folded Spill
.LBB261_262:                            ;   in Loop: Header=BB261_13 Depth=1
	s_or_b64 exec, exec, s[44:45]
.LBB261_263:                            ;   in Loop: Header=BB261_13 Depth=1
	s_or_b64 exec, exec, s[42:43]
.LBB261_264:                            ;   in Loop: Header=BB261_13 Depth=1
	s_or_b64 exec, exec, s[40:41]
	v_lshrrev_b16_e32 v5, 8, v11
	v_cmp_ne_u16_e32 vcc, 0, v5
	s_and_saveexec_b64 s[40:41], vcc
	s_cbranch_execz .LBB261_270
; %bb.265:                              ;   in Loop: Header=BB261_13 Depth=1
	v_cmp_ne_u16_e32 vcc, s52, v5
	v_bfrev_b32_e32 v27, 1
	s_and_saveexec_b64 s[42:43], vcc
	s_cbranch_execz .LBB261_269
; %bb.266:                              ;   in Loop: Header=BB261_13 Depth=1
	v_and_b32_e32 v0, 0x7f, v5
	v_cmp_ne_u32_e32 vcc, s53, v0
	v_mov_b32_e32 v27, 0x7c010000
	s_and_saveexec_b64 s[44:45], vcc
	s_cbranch_execz .LBB261_268
; %bb.267:                              ;   in Loop: Header=BB261_13 Depth=1
	v_and_b32_e32 v2, 7, v5
	v_lshrrev_b32_e32 v12, 3, v0
	v_cmp_gt_u32_e32 vcc, 8, v0
	v_ffbh_u32_e32 v0, v2
	v_min_u32_e32 v13, 32, v0
	v_subrev_u32_e32 v0, 28, v13
	v_lshlrev_b64 v[0:1], v0, v[5:6]
	v_sub_u32_e32 v1, 29, v13
	v_cndmask_b32_e32 v1, v12, v1, vcc
	v_mov_b32_e32 v12, 0x2000
	v_lshlrev_b32_e32 v5, 8, v5
	v_lshl_add_u32 v1, v1, 10, v12
	v_and_b32_e32 v0, 7, v0
	v_and_or_b32 v1, v5, s54, v1
	v_cndmask_b32_e32 v0, v2, v0, vcc
	v_lshlrev_b32_e32 v1, 16, v1
	v_lshl_or_b32 v27, v0, 23, v1
.LBB261_268:                            ;   in Loop: Header=BB261_13 Depth=1
	s_or_b64 exec, exec, s[44:45]
.LBB261_269:                            ;   in Loop: Header=BB261_13 Depth=1
	s_or_b64 exec, exec, s[42:43]
.LBB261_270:                            ;   in Loop: Header=BB261_13 Depth=1
	s_or_b64 exec, exec, s[40:41]
	v_lshrrev_b32_e32 v5, 16, v11
	v_cmp_ne_u16_sdwa s[42:43], v5, v6 src0_sel:BYTE_0 src1_sel:DWORD
	v_mov_b32_e32 v0, 0
	v_mov_b32_e32 v1, 0
	buffer_store_dword v1, off, s[56:59], 0 offset:180 ; 4-byte Folded Spill
	s_and_saveexec_b64 s[40:41], s[42:43]
	s_cbranch_execz .LBB261_276
; %bb.271:                              ;   in Loop: Header=BB261_13 Depth=1
	v_cmp_ne_u16_sdwa s[44:45], v5, s52 src0_sel:BYTE_0 src1_sel:DWORD
	v_mov_b32_e32 v1, 0x8000
	buffer_store_dword v1, off, s[56:59], 0 offset:180 ; 4-byte Folded Spill
	s_and_saveexec_b64 s[42:43], s[44:45]
	s_cbranch_execz .LBB261_275
; %bb.272:                              ;   in Loop: Header=BB261_13 Depth=1
	v_bfe_u32 v1, v11, 16, 7
	v_cmp_ne_u32_e32 vcc, s53, v1
	v_mov_b32_e32 v2, 0x7c01
	buffer_store_dword v2, off, s[56:59], 0 offset:180 ; 4-byte Folded Spill
	s_and_saveexec_b64 s[44:45], vcc
	s_cbranch_execz .LBB261_274
; %bb.273:                              ;   in Loop: Header=BB261_13 Depth=1
	v_and_b32_e32 v12, 7, v5
	v_lshrrev_b32_e32 v13, 3, v1
	v_cmp_gt_u32_e32 vcc, 8, v1
	v_ffbh_u32_e32 v1, v12
	v_min_u32_e32 v14, 32, v1
	v_subrev_u32_e32 v1, 28, v14
	v_lshlrev_b64 v[1:2], v1, v[5:6]
	v_sub_u32_e32 v2, 29, v14
	v_cndmask_b32_e32 v2, v13, v2, vcc
	v_mov_b32_e32 v13, 0x2000
	v_lshl_add_u32 v2, v2, 10, v13
	v_lshlrev_b32_e32 v5, 8, v5
	v_and_b32_e32 v1, 7, v1
	v_and_b32_e32 v2, 0xfc00, v2
	v_cndmask_b32_e32 v1, v12, v1, vcc
	v_and_or_b32 v2, v5, s54, v2
	v_lshl_or_b32 v1, v1, 7, v2
	buffer_store_dword v1, off, s[56:59], 0 offset:180 ; 4-byte Folded Spill
.LBB261_274:                            ;   in Loop: Header=BB261_13 Depth=1
	s_or_b64 exec, exec, s[44:45]
.LBB261_275:                            ;   in Loop: Header=BB261_13 Depth=1
	s_or_b64 exec, exec, s[42:43]
.LBB261_276:                            ;   in Loop: Header=BB261_13 Depth=1
	s_or_b64 exec, exec, s[40:41]
	v_cmp_lt_u32_e32 vcc, s55, v11
	s_and_saveexec_b64 s[40:41], vcc
	s_cbranch_execz .LBB261_282
; %bb.277:                              ;   in Loop: Header=BB261_13 Depth=1
	v_lshrrev_b32_e32 v5, 24, v11
	v_cmp_ne_u32_e32 vcc, s52, v5
	v_bfrev_b32_e32 v0, 1
	s_and_saveexec_b64 s[42:43], vcc
	s_cbranch_execz .LBB261_281
; %bb.278:                              ;   in Loop: Header=BB261_13 Depth=1
	v_and_b32_e32 v1, 0x7f, v5
	v_cmp_ne_u32_e32 vcc, s53, v1
	v_mov_b32_e32 v0, 0x7c010000
	s_and_saveexec_b64 s[44:45], vcc
	s_cbranch_execz .LBB261_280
; %bb.279:                              ;   in Loop: Header=BB261_13 Depth=1
	v_and_b32_e32 v2, 7, v5
	v_ffbh_u32_e32 v0, v2
	v_min_u32_e32 v12, 32, v0
	v_subrev_u32_e32 v0, 28, v12
	v_lshrrev_b32_e32 v11, 3, v1
	v_cmp_gt_u32_e32 vcc, 8, v1
	v_lshlrev_b64 v[0:1], v0, v[5:6]
	v_sub_u32_e32 v1, 29, v12
	v_cndmask_b32_e32 v1, v11, v1, vcc
	v_mov_b32_e32 v11, 0x2000
	v_lshlrev_b32_e32 v5, 8, v5
	v_lshl_add_u32 v1, v1, 10, v11
	v_and_b32_e32 v0, 7, v0
	v_and_or_b32 v1, v5, s54, v1
	v_cndmask_b32_e32 v0, v2, v0, vcc
	v_lshlrev_b32_e32 v1, 16, v1
	v_lshl_or_b32 v0, v0, 23, v1
.LBB261_280:                            ;   in Loop: Header=BB261_13 Depth=1
	s_or_b64 exec, exec, s[44:45]
.LBB261_281:                            ;   in Loop: Header=BB261_13 Depth=1
	s_or_b64 exec, exec, s[42:43]
.LBB261_282:                            ;   in Loop: Header=BB261_13 Depth=1
	s_or_b64 exec, exec, s[40:41]
	global_load_dword v11, v[9:10], off offset:2568
	v_mov_b32_e32 v20, 0
	v_mov_b32_e32 v1, 0
	buffer_store_dword v1, off, s[56:59], 0 offset:184 ; 4-byte Folded Spill
	s_waitcnt vmcnt(1)
	v_cmp_ne_u16_sdwa s[42:43], v11, v6 src0_sel:BYTE_0 src1_sel:DWORD
	s_and_saveexec_b64 s[40:41], s[42:43]
	s_cbranch_execz .LBB261_288
; %bb.283:                              ;   in Loop: Header=BB261_13 Depth=1
	v_cmp_ne_u16_sdwa s[44:45], v11, s52 src0_sel:BYTE_0 src1_sel:DWORD
	v_mov_b32_e32 v1, 0x8000
	buffer_store_dword v1, off, s[56:59], 0 offset:184 ; 4-byte Folded Spill
	s_and_saveexec_b64 s[42:43], s[44:45]
	s_cbranch_execz .LBB261_287
; %bb.284:                              ;   in Loop: Header=BB261_13 Depth=1
	v_and_b32_e32 v1, 0x7f, v11
	v_cmp_ne_u32_e32 vcc, s53, v1
	v_mov_b32_e32 v2, 0x7c01
	buffer_store_dword v2, off, s[56:59], 0 offset:184 ; 4-byte Folded Spill
	s_and_saveexec_b64 s[44:45], vcc
	s_cbranch_execz .LBB261_286
; %bb.285:                              ;   in Loop: Header=BB261_13 Depth=1
	v_and_b32_e32 v5, 7, v11
	v_lshrrev_b32_e32 v12, 3, v1
	v_cmp_gt_u32_e32 vcc, 8, v1
	v_ffbh_u32_e32 v1, v5
	v_min_u32_e32 v13, 32, v1
	v_subrev_u32_e32 v1, 28, v13
	v_lshlrev_b64 v[1:2], v1, v[11:12]
	v_sub_u32_e32 v2, 29, v13
	v_cndmask_b32_e32 v2, v12, v2, vcc
	v_mov_b32_e32 v13, 0x2000
	v_lshl_add_u32 v2, v2, 10, v13
	v_lshlrev_b32_e32 v12, 8, v11
	v_and_b32_e32 v1, 7, v1
	v_and_b32_e32 v2, 0xfc00, v2
	v_cndmask_b32_e32 v1, v5, v1, vcc
	v_and_or_b32 v2, v12, s54, v2
	v_lshl_or_b32 v1, v1, 7, v2
	buffer_store_dword v1, off, s[56:59], 0 offset:184 ; 4-byte Folded Spill
.LBB261_286:                            ;   in Loop: Header=BB261_13 Depth=1
	s_or_b64 exec, exec, s[44:45]
.LBB261_287:                            ;   in Loop: Header=BB261_13 Depth=1
	s_or_b64 exec, exec, s[42:43]
.LBB261_288:                            ;   in Loop: Header=BB261_13 Depth=1
	s_or_b64 exec, exec, s[40:41]
	v_lshrrev_b16_e32 v5, 8, v11
	v_cmp_ne_u16_e32 vcc, 0, v5
	s_and_saveexec_b64 s[40:41], vcc
	s_cbranch_execz .LBB261_294
; %bb.289:                              ;   in Loop: Header=BB261_13 Depth=1
	v_cmp_ne_u16_e32 vcc, s52, v5
	v_bfrev_b32_e32 v20, 1
	s_and_saveexec_b64 s[42:43], vcc
	s_cbranch_execz .LBB261_293
; %bb.290:                              ;   in Loop: Header=BB261_13 Depth=1
	v_and_b32_e32 v1, 0x7f, v5
	v_cmp_ne_u32_e32 vcc, s53, v1
	v_mov_b32_e32 v20, 0x7c010000
	s_and_saveexec_b64 s[44:45], vcc
	s_cbranch_execz .LBB261_292
; %bb.291:                              ;   in Loop: Header=BB261_13 Depth=1
	v_and_b32_e32 v12, 7, v5
	v_lshrrev_b32_e32 v13, 3, v1
	v_cmp_gt_u32_e32 vcc, 8, v1
	v_ffbh_u32_e32 v1, v12
	v_min_u32_e32 v14, 32, v1
	v_subrev_u32_e32 v1, 28, v14
	v_lshlrev_b64 v[1:2], v1, v[5:6]
	v_sub_u32_e32 v2, 29, v14
	v_cndmask_b32_e32 v2, v13, v2, vcc
	v_mov_b32_e32 v13, 0x2000
	v_lshlrev_b32_e32 v5, 8, v5
	v_lshl_add_u32 v2, v2, 10, v13
	v_and_b32_e32 v1, 7, v1
	v_and_or_b32 v2, v5, s54, v2
	v_cndmask_b32_e32 v1, v12, v1, vcc
	v_lshlrev_b32_e32 v2, 16, v2
	v_lshl_or_b32 v20, v1, 23, v2
.LBB261_292:                            ;   in Loop: Header=BB261_13 Depth=1
	s_or_b64 exec, exec, s[44:45]
.LBB261_293:                            ;   in Loop: Header=BB261_13 Depth=1
	s_or_b64 exec, exec, s[42:43]
.LBB261_294:                            ;   in Loop: Header=BB261_13 Depth=1
	s_or_b64 exec, exec, s[40:41]
	v_lshrrev_b32_e32 v5, 16, v11
	v_cmp_ne_u16_sdwa s[42:43], v5, v6 src0_sel:BYTE_0 src1_sel:DWORD
	v_mov_b32_e32 v55, 0
	v_mov_b32_e32 v1, 0
	buffer_store_dword v1, off, s[56:59], 0 offset:188 ; 4-byte Folded Spill
	s_and_saveexec_b64 s[40:41], s[42:43]
	s_cbranch_execz .LBB261_300
; %bb.295:                              ;   in Loop: Header=BB261_13 Depth=1
	v_cmp_ne_u16_sdwa s[44:45], v5, s52 src0_sel:BYTE_0 src1_sel:DWORD
	v_mov_b32_e32 v1, 0x8000
	buffer_store_dword v1, off, s[56:59], 0 offset:188 ; 4-byte Folded Spill
	s_and_saveexec_b64 s[42:43], s[44:45]
	s_cbranch_execz .LBB261_299
; %bb.296:                              ;   in Loop: Header=BB261_13 Depth=1
	v_bfe_u32 v1, v11, 16, 7
	v_cmp_ne_u32_e32 vcc, s53, v1
	v_mov_b32_e32 v2, 0x7c01
	buffer_store_dword v2, off, s[56:59], 0 offset:188 ; 4-byte Folded Spill
	s_and_saveexec_b64 s[44:45], vcc
	s_cbranch_execz .LBB261_298
; %bb.297:                              ;   in Loop: Header=BB261_13 Depth=1
	v_and_b32_e32 v12, 7, v5
	v_lshrrev_b32_e32 v13, 3, v1
	v_cmp_gt_u32_e32 vcc, 8, v1
	v_ffbh_u32_e32 v1, v12
	v_min_u32_e32 v14, 32, v1
	v_subrev_u32_e32 v1, 28, v14
	v_lshlrev_b64 v[1:2], v1, v[5:6]
	v_sub_u32_e32 v2, 29, v14
	v_cndmask_b32_e32 v2, v13, v2, vcc
	v_mov_b32_e32 v13, 0x2000
	v_lshl_add_u32 v2, v2, 10, v13
	v_lshlrev_b32_e32 v5, 8, v5
	v_and_b32_e32 v1, 7, v1
	v_and_b32_e32 v2, 0xfc00, v2
	v_cndmask_b32_e32 v1, v12, v1, vcc
	v_and_or_b32 v2, v5, s54, v2
	v_lshl_or_b32 v1, v1, 7, v2
	buffer_store_dword v1, off, s[56:59], 0 offset:188 ; 4-byte Folded Spill
.LBB261_298:                            ;   in Loop: Header=BB261_13 Depth=1
	s_or_b64 exec, exec, s[44:45]
.LBB261_299:                            ;   in Loop: Header=BB261_13 Depth=1
	s_or_b64 exec, exec, s[42:43]
.LBB261_300:                            ;   in Loop: Header=BB261_13 Depth=1
	s_or_b64 exec, exec, s[40:41]
	v_cmp_lt_u32_e32 vcc, s55, v11
	s_and_saveexec_b64 s[40:41], vcc
	s_cbranch_execz .LBB261_306
; %bb.301:                              ;   in Loop: Header=BB261_13 Depth=1
	v_lshrrev_b32_e32 v5, 24, v11
	v_cmp_ne_u32_e32 vcc, s52, v5
	v_bfrev_b32_e32 v55, 1
	s_and_saveexec_b64 s[42:43], vcc
	s_cbranch_execz .LBB261_305
; %bb.302:                              ;   in Loop: Header=BB261_13 Depth=1
	v_and_b32_e32 v1, 0x7f, v5
	v_cmp_ne_u32_e32 vcc, s53, v1
	v_mov_b32_e32 v55, 0x7c010000
	s_and_saveexec_b64 s[44:45], vcc
	s_cbranch_execz .LBB261_304
; %bb.303:                              ;   in Loop: Header=BB261_13 Depth=1
	v_and_b32_e32 v11, 7, v5
	v_lshrrev_b32_e32 v12, 3, v1
	v_cmp_gt_u32_e32 vcc, 8, v1
	v_ffbh_u32_e32 v1, v11
	v_min_u32_e32 v13, 32, v1
	v_subrev_u32_e32 v1, 28, v13
	v_lshlrev_b64 v[1:2], v1, v[5:6]
	v_sub_u32_e32 v2, 29, v13
	v_cndmask_b32_e32 v2, v12, v2, vcc
	v_mov_b32_e32 v12, 0x2000
	v_lshlrev_b32_e32 v5, 8, v5
	v_lshl_add_u32 v2, v2, 10, v12
	v_and_b32_e32 v1, 7, v1
	v_and_or_b32 v2, v5, s54, v2
	v_cndmask_b32_e32 v1, v11, v1, vcc
	v_lshlrev_b32_e32 v2, 16, v2
	v_lshl_or_b32 v55, v1, 23, v2
.LBB261_304:                            ;   in Loop: Header=BB261_13 Depth=1
	s_or_b64 exec, exec, s[44:45]
.LBB261_305:                            ;   in Loop: Header=BB261_13 Depth=1
	s_or_b64 exec, exec, s[42:43]
.LBB261_306:                            ;   in Loop: Header=BB261_13 Depth=1
	s_or_b64 exec, exec, s[40:41]
	global_load_dword v11, v[9:10], off offset:3072
	v_mov_b32_e32 v2, 0
	v_mov_b32_e32 v1, 0
	buffer_store_dword v1, off, s[56:59], 0 offset:192 ; 4-byte Folded Spill
	s_waitcnt vmcnt(1)
	v_cmp_ne_u16_sdwa s[42:43], v11, v6 src0_sel:BYTE_0 src1_sel:DWORD
	s_and_saveexec_b64 s[40:41], s[42:43]
	s_cbranch_execz .LBB261_312
; %bb.307:                              ;   in Loop: Header=BB261_13 Depth=1
	v_cmp_ne_u16_sdwa s[44:45], v11, s52 src0_sel:BYTE_0 src1_sel:DWORD
	v_mov_b32_e32 v1, 0x8000
	buffer_store_dword v1, off, s[56:59], 0 offset:192 ; 4-byte Folded Spill
	s_and_saveexec_b64 s[42:43], s[44:45]
	s_cbranch_execz .LBB261_311
; %bb.308:                              ;   in Loop: Header=BB261_13 Depth=1
	v_and_b32_e32 v1, 0x7f, v11
	v_cmp_ne_u32_e32 vcc, s53, v1
	v_mov_b32_e32 v5, 0x7c01
	buffer_store_dword v5, off, s[56:59], 0 offset:192 ; 4-byte Folded Spill
	s_and_saveexec_b64 s[44:45], vcc
	s_cbranch_execz .LBB261_310
; %bb.309:                              ;   in Loop: Header=BB261_13 Depth=1
	v_and_b32_e32 v5, 7, v11
	v_lshrrev_b32_e32 v14, 3, v1
	v_cmp_gt_u32_e32 vcc, 8, v1
	v_ffbh_u32_e32 v1, v5
	v_min_u32_e32 v1, 32, v1
	v_subrev_u32_e32 v12, 28, v1
	v_sub_u32_e32 v1, 29, v1
	v_lshlrev_b64 v[12:13], v12, v[11:12]
	v_cndmask_b32_e32 v1, v14, v1, vcc
	v_mov_b32_e32 v14, 0x2000
	v_lshl_add_u32 v1, v1, 10, v14
	v_lshlrev_b32_e32 v13, 8, v11
	v_and_b32_e32 v12, 7, v12
	v_and_b32_e32 v1, 0xfc00, v1
	v_cndmask_b32_e32 v5, v5, v12, vcc
	v_and_or_b32 v1, v13, s54, v1
	v_lshl_or_b32 v1, v5, 7, v1
	buffer_store_dword v1, off, s[56:59], 0 offset:192 ; 4-byte Folded Spill
.LBB261_310:                            ;   in Loop: Header=BB261_13 Depth=1
	s_or_b64 exec, exec, s[44:45]
.LBB261_311:                            ;   in Loop: Header=BB261_13 Depth=1
	s_or_b64 exec, exec, s[42:43]
.LBB261_312:                            ;   in Loop: Header=BB261_13 Depth=1
	s_or_b64 exec, exec, s[40:41]
	v_lshrrev_b16_e32 v5, 8, v11
	v_cmp_ne_u16_e32 vcc, 0, v5
	s_and_saveexec_b64 s[40:41], vcc
	s_cbranch_execz .LBB261_318
; %bb.313:                              ;   in Loop: Header=BB261_13 Depth=1
	v_cmp_ne_u16_e32 vcc, s52, v5
	v_bfrev_b32_e32 v2, 1
	s_and_saveexec_b64 s[42:43], vcc
	s_cbranch_execz .LBB261_317
; %bb.314:                              ;   in Loop: Header=BB261_13 Depth=1
	v_and_b32_e32 v1, 0x7f, v5
	v_cmp_ne_u32_e32 vcc, s53, v1
	v_mov_b32_e32 v2, 0x7c010000
	s_and_saveexec_b64 s[44:45], vcc
	s_cbranch_execz .LBB261_316
; %bb.315:                              ;   in Loop: Header=BB261_13 Depth=1
	v_and_b32_e32 v12, 7, v5
	v_lshrrev_b32_e32 v13, 3, v1
	v_cmp_gt_u32_e32 vcc, 8, v1
	v_ffbh_u32_e32 v1, v12
	v_min_u32_e32 v14, 32, v1
	v_subrev_u32_e32 v1, 28, v14
	v_lshlrev_b64 v[1:2], v1, v[5:6]
	v_sub_u32_e32 v2, 29, v14
	v_cndmask_b32_e32 v2, v13, v2, vcc
	v_mov_b32_e32 v13, 0x2000
	v_lshlrev_b32_e32 v5, 8, v5
	v_lshl_add_u32 v2, v2, 10, v13
	v_and_b32_e32 v1, 7, v1
	v_and_or_b32 v2, v5, s54, v2
	v_cndmask_b32_e32 v1, v12, v1, vcc
	v_lshlrev_b32_e32 v2, 16, v2
	v_lshl_or_b32 v2, v1, 23, v2
.LBB261_316:                            ;   in Loop: Header=BB261_13 Depth=1
	s_or_b64 exec, exec, s[44:45]
.LBB261_317:                            ;   in Loop: Header=BB261_13 Depth=1
	s_or_b64 exec, exec, s[42:43]
.LBB261_318:                            ;   in Loop: Header=BB261_13 Depth=1
	s_or_b64 exec, exec, s[40:41]
	v_lshrrev_b32_e32 v5, 16, v11
	v_cmp_ne_u16_sdwa s[42:43], v5, v6 src0_sel:BYTE_0 src1_sel:DWORD
	v_mov_b32_e32 v24, 0
	v_mov_b32_e32 v1, 0
	buffer_store_dword v1, off, s[56:59], 0 offset:196 ; 4-byte Folded Spill
	s_and_saveexec_b64 s[40:41], s[42:43]
	s_cbranch_execz .LBB261_324
; %bb.319:                              ;   in Loop: Header=BB261_13 Depth=1
	v_cmp_ne_u16_sdwa s[44:45], v5, s52 src0_sel:BYTE_0 src1_sel:DWORD
	v_mov_b32_e32 v1, 0x8000
	buffer_store_dword v1, off, s[56:59], 0 offset:196 ; 4-byte Folded Spill
	s_and_saveexec_b64 s[42:43], s[44:45]
	s_cbranch_execz .LBB261_323
; %bb.320:                              ;   in Loop: Header=BB261_13 Depth=1
	v_bfe_u32 v1, v11, 16, 7
	v_cmp_ne_u32_e32 vcc, s53, v1
	v_mov_b32_e32 v12, 0x7c01
	buffer_store_dword v12, off, s[56:59], 0 offset:196 ; 4-byte Folded Spill
	s_and_saveexec_b64 s[44:45], vcc
	s_cbranch_execz .LBB261_322
; %bb.321:                              ;   in Loop: Header=BB261_13 Depth=1
	v_and_b32_e32 v14, 7, v5
	v_lshrrev_b32_e32 v16, 3, v1
	v_cmp_gt_u32_e32 vcc, 8, v1
	v_ffbh_u32_e32 v1, v14
	v_min_u32_e32 v1, 32, v1
	v_subrev_u32_e32 v12, 28, v1
	v_lshlrev_b64 v[12:13], v12, v[5:6]
	v_sub_u32_e32 v1, 29, v1
	v_cndmask_b32_e32 v1, v16, v1, vcc
	v_mov_b32_e32 v13, 0x2000
	v_lshl_add_u32 v1, v1, 10, v13
	v_lshlrev_b32_e32 v5, 8, v5
	v_and_b32_e32 v12, 7, v12
	v_and_b32_e32 v1, 0xfc00, v1
	v_cndmask_b32_e32 v12, v14, v12, vcc
	v_and_or_b32 v1, v5, s54, v1
	v_lshl_or_b32 v1, v12, 7, v1
	buffer_store_dword v1, off, s[56:59], 0 offset:196 ; 4-byte Folded Spill
.LBB261_322:                            ;   in Loop: Header=BB261_13 Depth=1
	s_or_b64 exec, exec, s[44:45]
.LBB261_323:                            ;   in Loop: Header=BB261_13 Depth=1
	s_or_b64 exec, exec, s[42:43]
.LBB261_324:                            ;   in Loop: Header=BB261_13 Depth=1
	s_or_b64 exec, exec, s[40:41]
	v_cmp_lt_u32_e32 vcc, s55, v11
	s_and_saveexec_b64 s[40:41], vcc
	s_cbranch_execz .LBB261_330
; %bb.325:                              ;   in Loop: Header=BB261_13 Depth=1
	v_lshrrev_b32_e32 v5, 24, v11
	v_cmp_ne_u32_e32 vcc, s52, v5
	v_bfrev_b32_e32 v24, 1
	s_and_saveexec_b64 s[42:43], vcc
	s_cbranch_execz .LBB261_329
; %bb.326:                              ;   in Loop: Header=BB261_13 Depth=1
	v_and_b32_e32 v1, 0x7f, v5
	v_cmp_ne_u32_e32 vcc, s53, v1
	v_mov_b32_e32 v24, 0x7c010000
	s_and_saveexec_b64 s[44:45], vcc
	s_cbranch_execz .LBB261_328
; %bb.327:                              ;   in Loop: Header=BB261_13 Depth=1
	v_and_b32_e32 v13, 7, v5
	v_lshrrev_b32_e32 v14, 3, v1
	v_cmp_gt_u32_e32 vcc, 8, v1
	v_ffbh_u32_e32 v1, v13
	v_min_u32_e32 v1, 32, v1
	v_subrev_u32_e32 v11, 28, v1
	v_lshlrev_b64 v[11:12], v11, v[5:6]
	v_sub_u32_e32 v1, 29, v1
	v_cndmask_b32_e32 v1, v14, v1, vcc
	v_mov_b32_e32 v12, 0x2000
	v_lshlrev_b32_e32 v5, 8, v5
	v_lshl_add_u32 v1, v1, 10, v12
	v_and_b32_e32 v11, 7, v11
	v_and_or_b32 v1, v5, s54, v1
	v_cndmask_b32_e32 v11, v13, v11, vcc
	v_lshlrev_b32_e32 v1, 16, v1
	v_lshl_or_b32 v24, v11, 23, v1
.LBB261_328:                            ;   in Loop: Header=BB261_13 Depth=1
	s_or_b64 exec, exec, s[44:45]
.LBB261_329:                            ;   in Loop: Header=BB261_13 Depth=1
	s_or_b64 exec, exec, s[42:43]
.LBB261_330:                            ;   in Loop: Header=BB261_13 Depth=1
	s_or_b64 exec, exec, s[40:41]
	global_load_dword v11, v[9:10], off offset:3080
	v_mov_b32_e32 v62, 0
	v_mov_b32_e32 v13, 0
	s_waitcnt vmcnt(0)
	v_cmp_ne_u16_sdwa s[42:43], v11, v6 src0_sel:BYTE_0 src1_sel:DWORD
	s_and_saveexec_b64 s[40:41], s[42:43]
	s_cbranch_execz .LBB261_336
; %bb.331:                              ;   in Loop: Header=BB261_13 Depth=1
	v_cmp_ne_u16_sdwa s[44:45], v11, s52 src0_sel:BYTE_0 src1_sel:DWORD
	v_mov_b32_e32 v13, 0x8000
	s_and_saveexec_b64 s[42:43], s[44:45]
	s_cbranch_execz .LBB261_335
; %bb.332:                              ;   in Loop: Header=BB261_13 Depth=1
	v_and_b32_e32 v1, 0x7f, v11
	v_cmp_ne_u32_e32 vcc, s53, v1
	v_mov_b32_e32 v13, 0x7c01
	s_and_saveexec_b64 s[44:45], vcc
	s_cbranch_execz .LBB261_334
; %bb.333:                              ;   in Loop: Header=BB261_13 Depth=1
	v_and_b32_e32 v5, 7, v11
	v_lshrrev_b32_e32 v14, 3, v1
	v_cmp_gt_u32_e32 vcc, 8, v1
	v_ffbh_u32_e32 v1, v5
	v_min_u32_e32 v1, 32, v1
	v_subrev_u32_e32 v12, 28, v1
	v_sub_u32_e32 v1, 29, v1
	v_lshlrev_b64 v[12:13], v12, v[11:12]
	v_cndmask_b32_e32 v1, v14, v1, vcc
	v_mov_b32_e32 v14, 0x2000
	v_lshl_add_u32 v1, v1, 10, v14
	v_lshlrev_b32_e32 v13, 8, v11
	v_and_b32_e32 v12, 7, v12
	v_and_b32_e32 v1, 0xfc00, v1
	v_cndmask_b32_e32 v5, v5, v12, vcc
	v_and_or_b32 v1, v13, s54, v1
	v_lshl_or_b32 v13, v5, 7, v1
.LBB261_334:                            ;   in Loop: Header=BB261_13 Depth=1
	s_or_b64 exec, exec, s[44:45]
.LBB261_335:                            ;   in Loop: Header=BB261_13 Depth=1
	s_or_b64 exec, exec, s[42:43]
.LBB261_336:                            ;   in Loop: Header=BB261_13 Depth=1
	s_or_b64 exec, exec, s[40:41]
	v_lshrrev_b16_e32 v5, 8, v11
	v_cmp_ne_u16_e32 vcc, 0, v5
	s_and_saveexec_b64 s[40:41], vcc
	s_cbranch_execz .LBB261_342
; %bb.337:                              ;   in Loop: Header=BB261_13 Depth=1
	v_cmp_ne_u16_e32 vcc, s52, v5
	v_bfrev_b32_e32 v62, 1
	s_and_saveexec_b64 s[42:43], vcc
	s_cbranch_execz .LBB261_341
; %bb.338:                              ;   in Loop: Header=BB261_13 Depth=1
	v_and_b32_e32 v1, 0x7f, v5
	v_cmp_ne_u32_e32 vcc, s53, v1
	v_mov_b32_e32 v62, 0x7c010000
	s_and_saveexec_b64 s[44:45], vcc
	s_cbranch_execz .LBB261_340
; %bb.339:                              ;   in Loop: Header=BB261_13 Depth=1
	v_and_b32_e32 v12, 7, v5
	v_lshrrev_b32_e32 v14, 3, v1
	v_cmp_gt_u32_e32 vcc, 8, v1
	v_ffbh_u32_e32 v1, v12
	v_min_u32_e32 v1, 32, v1
	v_subrev_u32_e32 v16, 28, v1
	v_sub_u32_e32 v1, 29, v1
	v_lshlrev_b64 v[16:17], v16, v[5:6]
	v_cndmask_b32_e32 v1, v14, v1, vcc
	v_mov_b32_e32 v14, 0x2000
	v_lshlrev_b32_e32 v5, 8, v5
	v_lshl_add_u32 v1, v1, 10, v14
	v_and_b32_e32 v14, 7, v16
	v_and_or_b32 v1, v5, s54, v1
	v_cndmask_b32_e32 v12, v12, v14, vcc
	v_lshlrev_b32_e32 v1, 16, v1
	v_lshl_or_b32 v62, v12, 23, v1
.LBB261_340:                            ;   in Loop: Header=BB261_13 Depth=1
	s_or_b64 exec, exec, s[44:45]
.LBB261_341:                            ;   in Loop: Header=BB261_13 Depth=1
	s_or_b64 exec, exec, s[42:43]
.LBB261_342:                            ;   in Loop: Header=BB261_13 Depth=1
	s_or_b64 exec, exec, s[40:41]
	v_lshrrev_b32_e32 v5, 16, v11
	v_cmp_ne_u16_sdwa s[42:43], v5, v6 src0_sel:BYTE_0 src1_sel:DWORD
	v_mov_b32_e32 v36, 0
	v_mov_b32_e32 v33, 0
	s_and_saveexec_b64 s[40:41], s[42:43]
	s_cbranch_execz .LBB261_348
; %bb.343:                              ;   in Loop: Header=BB261_13 Depth=1
	v_cmp_ne_u16_sdwa s[44:45], v5, s52 src0_sel:BYTE_0 src1_sel:DWORD
	v_mov_b32_e32 v33, 0x8000
	s_and_saveexec_b64 s[42:43], s[44:45]
	s_cbranch_execz .LBB261_347
; %bb.344:                              ;   in Loop: Header=BB261_13 Depth=1
	v_bfe_u32 v1, v11, 16, 7
	v_cmp_ne_u32_e32 vcc, s53, v1
	v_mov_b32_e32 v33, 0x7c01
	s_and_saveexec_b64 s[44:45], vcc
	s_cbranch_execz .LBB261_346
; %bb.345:                              ;   in Loop: Header=BB261_13 Depth=1
	v_and_b32_e32 v12, 7, v5
	v_lshrrev_b32_e32 v14, 3, v1
	v_cmp_gt_u32_e32 vcc, 8, v1
	v_ffbh_u32_e32 v1, v12
	v_min_u32_e32 v1, 32, v1
	v_subrev_u32_e32 v16, 28, v1
	v_sub_u32_e32 v1, 29, v1
	v_lshlrev_b64 v[16:17], v16, v[5:6]
	v_cndmask_b32_e32 v1, v14, v1, vcc
	v_mov_b32_e32 v14, 0x2000
	v_lshl_add_u32 v1, v1, 10, v14
	v_lshlrev_b32_e32 v5, 8, v5
	v_and_b32_e32 v14, 7, v16
	v_and_b32_e32 v1, 0xfc00, v1
	v_cndmask_b32_e32 v12, v12, v14, vcc
	v_and_or_b32 v1, v5, s54, v1
	v_lshl_or_b32 v33, v12, 7, v1
.LBB261_346:                            ;   in Loop: Header=BB261_13 Depth=1
	s_or_b64 exec, exec, s[44:45]
.LBB261_347:                            ;   in Loop: Header=BB261_13 Depth=1
	s_or_b64 exec, exec, s[42:43]
.LBB261_348:                            ;   in Loop: Header=BB261_13 Depth=1
	s_or_b64 exec, exec, s[40:41]
	v_cmp_lt_u32_e32 vcc, s55, v11
	s_and_saveexec_b64 s[40:41], vcc
	s_cbranch_execz .LBB261_354
; %bb.349:                              ;   in Loop: Header=BB261_13 Depth=1
	v_lshrrev_b32_e32 v5, 24, v11
	v_cmp_ne_u32_e32 vcc, s52, v5
	v_bfrev_b32_e32 v36, 1
	s_and_saveexec_b64 s[42:43], vcc
	s_cbranch_execz .LBB261_353
; %bb.350:                              ;   in Loop: Header=BB261_13 Depth=1
	v_and_b32_e32 v1, 0x7f, v5
	v_cmp_ne_u32_e32 vcc, s53, v1
	v_mov_b32_e32 v36, 0x7c010000
	s_and_saveexec_b64 s[44:45], vcc
	s_cbranch_execz .LBB261_352
; %bb.351:                              ;   in Loop: Header=BB261_13 Depth=1
	v_and_b32_e32 v14, 7, v5
	v_lshrrev_b32_e32 v16, 3, v1
	v_cmp_gt_u32_e32 vcc, 8, v1
	v_ffbh_u32_e32 v1, v14
	v_min_u32_e32 v1, 32, v1
	v_subrev_u32_e32 v11, 28, v1
	v_lshlrev_b64 v[11:12], v11, v[5:6]
	v_sub_u32_e32 v1, 29, v1
	v_cndmask_b32_e32 v1, v16, v1, vcc
	v_mov_b32_e32 v12, 0x2000
	v_lshlrev_b32_e32 v5, 8, v5
	v_lshl_add_u32 v1, v1, 10, v12
	v_and_b32_e32 v11, 7, v11
	v_and_or_b32 v1, v5, s54, v1
	v_cndmask_b32_e32 v11, v14, v11, vcc
	v_lshlrev_b32_e32 v1, 16, v1
	v_lshl_or_b32 v36, v11, 23, v1
.LBB261_352:                            ;   in Loop: Header=BB261_13 Depth=1
	s_or_b64 exec, exec, s[44:45]
.LBB261_353:                            ;   in Loop: Header=BB261_13 Depth=1
	s_or_b64 exec, exec, s[42:43]
.LBB261_354:                            ;   in Loop: Header=BB261_13 Depth=1
	s_or_b64 exec, exec, s[40:41]
	global_load_dword v11, v[9:10], off offset:3584
	v_mov_b32_e32 v48, 0
	v_mov_b32_e32 v53, 0
	s_waitcnt vmcnt(0)
	v_cmp_ne_u16_sdwa s[42:43], v11, v6 src0_sel:BYTE_0 src1_sel:DWORD
	s_and_saveexec_b64 s[40:41], s[42:43]
	s_cbranch_execz .LBB261_360
; %bb.355:                              ;   in Loop: Header=BB261_13 Depth=1
	v_cmp_ne_u16_sdwa s[44:45], v11, s52 src0_sel:BYTE_0 src1_sel:DWORD
	v_mov_b32_e32 v53, 0x8000
	s_and_saveexec_b64 s[42:43], s[44:45]
	s_cbranch_execz .LBB261_359
; %bb.356:                              ;   in Loop: Header=BB261_13 Depth=1
	v_and_b32_e32 v1, 0x7f, v11
	v_cmp_ne_u32_e32 vcc, s53, v1
	v_mov_b32_e32 v53, 0x7c01
	s_and_saveexec_b64 s[44:45], vcc
	s_cbranch_execz .LBB261_358
; %bb.357:                              ;   in Loop: Header=BB261_13 Depth=1
	v_and_b32_e32 v5, 7, v11
	v_lshrrev_b32_e32 v12, 3, v1
	v_cmp_gt_u32_e32 vcc, 8, v1
	v_ffbh_u32_e32 v1, v5
	v_min_u32_e32 v1, 32, v1
	v_subrev_u32_e32 v14, 28, v1
	v_sub_u32_e32 v1, 29, v1
	v_lshlrev_b64 v[16:17], v14, v[11:12]
	v_cndmask_b32_e32 v1, v12, v1, vcc
	v_mov_b32_e32 v14, 0x2000
	v_lshl_add_u32 v1, v1, 10, v14
	v_lshlrev_b32_e32 v12, 8, v11
	v_and_b32_e32 v14, 7, v16
	v_and_b32_e32 v1, 0xfc00, v1
	v_cndmask_b32_e32 v5, v5, v14, vcc
	v_and_or_b32 v1, v12, s54, v1
	v_lshl_or_b32 v53, v5, 7, v1
.LBB261_358:                            ;   in Loop: Header=BB261_13 Depth=1
	s_or_b64 exec, exec, s[44:45]
.LBB261_359:                            ;   in Loop: Header=BB261_13 Depth=1
	s_or_b64 exec, exec, s[42:43]
.LBB261_360:                            ;   in Loop: Header=BB261_13 Depth=1
	s_or_b64 exec, exec, s[40:41]
	v_lshrrev_b16_e32 v5, 8, v11
	v_cmp_ne_u16_e32 vcc, 0, v5
	s_and_saveexec_b64 s[40:41], vcc
	s_cbranch_execz .LBB261_366
; %bb.361:                              ;   in Loop: Header=BB261_13 Depth=1
	v_cmp_ne_u16_e32 vcc, s52, v5
	v_bfrev_b32_e32 v48, 1
	s_and_saveexec_b64 s[42:43], vcc
	s_cbranch_execz .LBB261_365
; %bb.362:                              ;   in Loop: Header=BB261_13 Depth=1
	v_and_b32_e32 v1, 0x7f, v5
	v_cmp_ne_u32_e32 vcc, s53, v1
	v_mov_b32_e32 v48, 0x7c010000
	s_and_saveexec_b64 s[44:45], vcc
	s_cbranch_execz .LBB261_364
; %bb.363:                              ;   in Loop: Header=BB261_13 Depth=1
	v_and_b32_e32 v12, 7, v5
	v_lshrrev_b32_e32 v14, 3, v1
	v_cmp_gt_u32_e32 vcc, 8, v1
	v_ffbh_u32_e32 v1, v12
	v_min_u32_e32 v1, 32, v1
	v_subrev_u32_e32 v16, 28, v1
	v_sub_u32_e32 v1, 29, v1
	v_lshlrev_b64 v[16:17], v16, v[5:6]
	v_cndmask_b32_e32 v1, v14, v1, vcc
	v_mov_b32_e32 v14, 0x2000
	v_lshlrev_b32_e32 v5, 8, v5
	v_lshl_add_u32 v1, v1, 10, v14
	v_and_b32_e32 v14, 7, v16
	v_and_or_b32 v1, v5, s54, v1
	v_cndmask_b32_e32 v12, v12, v14, vcc
	v_lshlrev_b32_e32 v1, 16, v1
	v_lshl_or_b32 v48, v12, 23, v1
.LBB261_364:                            ;   in Loop: Header=BB261_13 Depth=1
	s_or_b64 exec, exec, s[44:45]
.LBB261_365:                            ;   in Loop: Header=BB261_13 Depth=1
	s_or_b64 exec, exec, s[42:43]
.LBB261_366:                            ;   in Loop: Header=BB261_13 Depth=1
	s_or_b64 exec, exec, s[40:41]
	v_lshrrev_b32_e32 v5, 16, v11
	v_cmp_ne_u16_sdwa s[42:43], v5, v6 src0_sel:BYTE_0 src1_sel:DWORD
	v_mov_b32_e32 v51, 0
	v_mov_b32_e32 v41, 0
	s_and_saveexec_b64 s[40:41], s[42:43]
	s_cbranch_execz .LBB261_372
; %bb.367:                              ;   in Loop: Header=BB261_13 Depth=1
	v_cmp_ne_u16_sdwa s[44:45], v5, s52 src0_sel:BYTE_0 src1_sel:DWORD
	v_mov_b32_e32 v41, 0x8000
	s_and_saveexec_b64 s[42:43], s[44:45]
	s_cbranch_execz .LBB261_371
; %bb.368:                              ;   in Loop: Header=BB261_13 Depth=1
	v_bfe_u32 v1, v11, 16, 7
	v_cmp_ne_u32_e32 vcc, s53, v1
	v_mov_b32_e32 v41, 0x7c01
	s_and_saveexec_b64 s[44:45], vcc
	s_cbranch_execz .LBB261_370
; %bb.369:                              ;   in Loop: Header=BB261_13 Depth=1
	v_and_b32_e32 v12, 7, v5
	v_lshrrev_b32_e32 v14, 3, v1
	v_cmp_gt_u32_e32 vcc, 8, v1
	v_ffbh_u32_e32 v1, v12
	v_min_u32_e32 v1, 32, v1
	v_subrev_u32_e32 v16, 28, v1
	v_sub_u32_e32 v1, 29, v1
	v_lshlrev_b64 v[16:17], v16, v[5:6]
	v_cndmask_b32_e32 v1, v14, v1, vcc
	v_mov_b32_e32 v14, 0x2000
	v_lshl_add_u32 v1, v1, 10, v14
	v_lshlrev_b32_e32 v5, 8, v5
	v_and_b32_e32 v14, 7, v16
	v_and_b32_e32 v1, 0xfc00, v1
	v_cndmask_b32_e32 v12, v12, v14, vcc
	v_and_or_b32 v1, v5, s54, v1
	v_lshl_or_b32 v41, v12, 7, v1
.LBB261_370:                            ;   in Loop: Header=BB261_13 Depth=1
	s_or_b64 exec, exec, s[44:45]
.LBB261_371:                            ;   in Loop: Header=BB261_13 Depth=1
	s_or_b64 exec, exec, s[42:43]
.LBB261_372:                            ;   in Loop: Header=BB261_13 Depth=1
	s_or_b64 exec, exec, s[40:41]
	v_cmp_lt_u32_e32 vcc, s55, v11
	s_and_saveexec_b64 s[40:41], vcc
	s_cbranch_execz .LBB261_378
; %bb.373:                              ;   in Loop: Header=BB261_13 Depth=1
	v_lshrrev_b32_e32 v5, 24, v11
	v_cmp_ne_u32_e32 vcc, s52, v5
	v_bfrev_b32_e32 v51, 1
	s_and_saveexec_b64 s[42:43], vcc
	s_cbranch_execz .LBB261_377
; %bb.374:                              ;   in Loop: Header=BB261_13 Depth=1
	v_and_b32_e32 v1, 0x7f, v5
	v_cmp_ne_u32_e32 vcc, s53, v1
	v_mov_b32_e32 v51, 0x7c010000
	s_and_saveexec_b64 s[44:45], vcc
	s_cbranch_execz .LBB261_376
; %bb.375:                              ;   in Loop: Header=BB261_13 Depth=1
	v_and_b32_e32 v14, 7, v5
	v_lshrrev_b32_e32 v16, 3, v1
	v_cmp_gt_u32_e32 vcc, 8, v1
	v_ffbh_u32_e32 v1, v14
	v_min_u32_e32 v1, 32, v1
	v_subrev_u32_e32 v11, 28, v1
	v_lshlrev_b64 v[11:12], v11, v[5:6]
	v_sub_u32_e32 v1, 29, v1
	v_cndmask_b32_e32 v1, v16, v1, vcc
	v_mov_b32_e32 v12, 0x2000
	v_lshlrev_b32_e32 v5, 8, v5
	v_lshl_add_u32 v1, v1, 10, v12
	v_and_b32_e32 v11, 7, v11
	v_and_or_b32 v1, v5, s54, v1
	v_cndmask_b32_e32 v11, v14, v11, vcc
	v_lshlrev_b32_e32 v1, 16, v1
	v_lshl_or_b32 v51, v11, 23, v1
.LBB261_376:                            ;   in Loop: Header=BB261_13 Depth=1
	s_or_b64 exec, exec, s[44:45]
.LBB261_377:                            ;   in Loop: Header=BB261_13 Depth=1
	s_or_b64 exec, exec, s[42:43]
.LBB261_378:                            ;   in Loop: Header=BB261_13 Depth=1
	s_or_b64 exec, exec, s[40:41]
	global_load_dword v9, v[9:10], off offset:3592
	v_mov_b32_e32 v11, 0
	v_mov_b32_e32 v21, 0
	s_waitcnt vmcnt(0)
	v_cmp_ne_u16_sdwa s[42:43], v9, v6 src0_sel:BYTE_0 src1_sel:DWORD
	s_and_saveexec_b64 s[40:41], s[42:43]
	s_cbranch_execz .LBB261_384
; %bb.379:                              ;   in Loop: Header=BB261_13 Depth=1
	v_cmp_ne_u16_sdwa s[44:45], v9, s52 src0_sel:BYTE_0 src1_sel:DWORD
	v_mov_b32_e32 v21, 0x8000
	s_and_saveexec_b64 s[42:43], s[44:45]
	s_cbranch_execz .LBB261_383
; %bb.380:                              ;   in Loop: Header=BB261_13 Depth=1
	v_and_b32_e32 v1, 0x7f, v9
	v_cmp_ne_u32_e32 vcc, s53, v1
	v_mov_b32_e32 v21, 0x7c01
	s_and_saveexec_b64 s[44:45], vcc
	s_cbranch_execz .LBB261_382
; %bb.381:                              ;   in Loop: Header=BB261_13 Depth=1
	v_and_b32_e32 v5, 7, v9
	v_lshrrev_b32_e32 v10, 3, v1
	v_cmp_gt_u32_e32 vcc, 8, v1
	v_ffbh_u32_e32 v1, v5
	v_min_u32_e32 v1, 32, v1
	v_subrev_u32_e32 v12, 28, v1
	v_sub_u32_e32 v1, 29, v1
	v_lshlrev_b64 v[16:17], v12, v[9:10]
	v_cndmask_b32_e32 v1, v10, v1, vcc
	v_mov_b32_e32 v12, 0x2000
	v_lshl_add_u32 v1, v1, 10, v12
	v_lshlrev_b32_e32 v10, 8, v9
	v_and_b32_e32 v12, 7, v16
	v_and_b32_e32 v1, 0xfc00, v1
	v_cndmask_b32_e32 v5, v5, v12, vcc
	v_and_or_b32 v1, v10, s54, v1
	v_lshl_or_b32 v21, v5, 7, v1
.LBB261_382:                            ;   in Loop: Header=BB261_13 Depth=1
	s_or_b64 exec, exec, s[44:45]
.LBB261_383:                            ;   in Loop: Header=BB261_13 Depth=1
	s_or_b64 exec, exec, s[42:43]
.LBB261_384:                            ;   in Loop: Header=BB261_13 Depth=1
	s_or_b64 exec, exec, s[40:41]
	v_lshrrev_b16_e32 v5, 8, v9
	v_cmp_ne_u16_e32 vcc, 0, v5
	s_and_saveexec_b64 s[40:41], vcc
	s_cbranch_execz .LBB261_390
; %bb.385:                              ;   in Loop: Header=BB261_13 Depth=1
	v_cmp_ne_u16_e32 vcc, s52, v5
	v_bfrev_b32_e32 v11, 1
	s_and_saveexec_b64 s[42:43], vcc
	s_cbranch_execz .LBB261_389
; %bb.386:                              ;   in Loop: Header=BB261_13 Depth=1
	v_and_b32_e32 v1, 0x7f, v5
	v_cmp_ne_u32_e32 vcc, s53, v1
	v_mov_b32_e32 v11, 0x7c010000
	s_and_saveexec_b64 s[44:45], vcc
	s_cbranch_execz .LBB261_388
; %bb.387:                              ;   in Loop: Header=BB261_13 Depth=1
	v_and_b32_e32 v12, 7, v5
	v_lshrrev_b32_e32 v14, 3, v1
	v_cmp_gt_u32_e32 vcc, 8, v1
	v_ffbh_u32_e32 v1, v12
	v_min_u32_e32 v1, 32, v1
	v_subrev_u32_e32 v10, 28, v1
	v_lshlrev_b64 v[10:11], v10, v[5:6]
	v_sub_u32_e32 v1, 29, v1
	v_cndmask_b32_e32 v1, v14, v1, vcc
	v_mov_b32_e32 v11, 0x2000
	v_lshlrev_b32_e32 v5, 8, v5
	v_lshl_add_u32 v1, v1, 10, v11
	v_and_b32_e32 v10, 7, v10
	v_and_or_b32 v1, v5, s54, v1
	v_cndmask_b32_e32 v10, v12, v10, vcc
	v_lshlrev_b32_e32 v1, 16, v1
	v_lshl_or_b32 v11, v10, 23, v1
.LBB261_388:                            ;   in Loop: Header=BB261_13 Depth=1
	s_or_b64 exec, exec, s[44:45]
.LBB261_389:                            ;   in Loop: Header=BB261_13 Depth=1
	s_or_b64 exec, exec, s[42:43]
.LBB261_390:                            ;   in Loop: Header=BB261_13 Depth=1
	s_or_b64 exec, exec, s[40:41]
	v_lshrrev_b32_e32 v5, 16, v9
	v_cmp_ne_u16_sdwa s[42:43], v5, v6 src0_sel:BYTE_0 src1_sel:DWORD
	v_mov_b32_e32 v61, 0
	v_mov_b32_e32 v16, 0
	s_and_saveexec_b64 s[40:41], s[42:43]
	s_cbranch_execz .LBB261_396
; %bb.391:                              ;   in Loop: Header=BB261_13 Depth=1
	v_cmp_ne_u16_sdwa s[44:45], v5, s52 src0_sel:BYTE_0 src1_sel:DWORD
	v_mov_b32_e32 v16, 0x8000
	s_and_saveexec_b64 s[42:43], s[44:45]
	s_cbranch_execz .LBB261_395
; %bb.392:                              ;   in Loop: Header=BB261_13 Depth=1
	v_bfe_u32 v1, v9, 16, 7
	v_cmp_ne_u32_e32 vcc, s53, v1
	v_mov_b32_e32 v16, 0x7c01
	s_and_saveexec_b64 s[44:45], vcc
	s_cbranch_execz .LBB261_394
; %bb.393:                              ;   in Loop: Header=BB261_13 Depth=1
	v_and_b32_e32 v10, 7, v5
	v_lshrrev_b32_e32 v12, 3, v1
	v_cmp_gt_u32_e32 vcc, 8, v1
	v_ffbh_u32_e32 v1, v10
	v_min_u32_e32 v1, 32, v1
	v_subrev_u32_e32 v14, 28, v1
	v_sub_u32_e32 v1, 29, v1
	v_lshlrev_b64 v[16:17], v14, v[5:6]
	v_cndmask_b32_e32 v1, v12, v1, vcc
	v_mov_b32_e32 v12, 0x2000
	v_lshl_add_u32 v1, v1, 10, v12
	v_lshlrev_b32_e32 v5, 8, v5
	v_and_b32_e32 v12, 7, v16
	v_and_b32_e32 v1, 0xfc00, v1
	v_cndmask_b32_e32 v10, v10, v12, vcc
	v_and_or_b32 v1, v5, s54, v1
	v_lshl_or_b32 v16, v10, 7, v1
.LBB261_394:                            ;   in Loop: Header=BB261_13 Depth=1
	s_or_b64 exec, exec, s[44:45]
.LBB261_395:                            ;   in Loop: Header=BB261_13 Depth=1
	s_or_b64 exec, exec, s[42:43]
.LBB261_396:                            ;   in Loop: Header=BB261_13 Depth=1
	s_or_b64 exec, exec, s[40:41]
	v_cmp_lt_u32_e32 vcc, s55, v9
	s_and_saveexec_b64 s[40:41], vcc
	s_cbranch_execz .LBB261_402
; %bb.397:                              ;   in Loop: Header=BB261_13 Depth=1
	v_lshrrev_b32_e32 v5, 24, v9
	v_cmp_ne_u32_e32 vcc, s52, v5
	v_bfrev_b32_e32 v61, 1
	s_and_saveexec_b64 s[42:43], vcc
	s_cbranch_execz .LBB261_401
; %bb.398:                              ;   in Loop: Header=BB261_13 Depth=1
	v_and_b32_e32 v1, 0x7f, v5
	v_cmp_ne_u32_e32 vcc, s53, v1
	v_mov_b32_e32 v61, 0x7c010000
	s_and_saveexec_b64 s[44:45], vcc
	s_cbranch_execz .LBB261_400
; %bb.399:                              ;   in Loop: Header=BB261_13 Depth=1
	v_and_b32_e32 v12, 7, v5
	v_lshrrev_b32_e32 v14, 3, v1
	v_cmp_gt_u32_e32 vcc, 8, v1
	v_ffbh_u32_e32 v1, v12
	v_min_u32_e32 v1, 32, v1
	v_subrev_u32_e32 v9, 28, v1
	v_lshlrev_b64 v[9:10], v9, v[5:6]
	v_sub_u32_e32 v1, 29, v1
	v_cndmask_b32_e32 v1, v14, v1, vcc
	v_mov_b32_e32 v10, 0x2000
	v_lshlrev_b32_e32 v5, 8, v5
	v_lshl_add_u32 v1, v1, 10, v10
	v_and_b32_e32 v9, 7, v9
	v_and_or_b32 v1, v5, s54, v1
	v_cndmask_b32_e32 v9, v12, v9, vcc
	v_lshlrev_b32_e32 v1, 16, v1
	v_lshl_or_b32 v61, v9, 23, v1
.LBB261_400:                            ;   in Loop: Header=BB261_13 Depth=1
	s_or_b64 exec, exec, s[44:45]
.LBB261_401:                            ;   in Loop: Header=BB261_13 Depth=1
	s_or_b64 exec, exec, s[42:43]
.LBB261_402:                            ;   in Loop: Header=BB261_13 Depth=1
	s_or_b64 exec, exec, s[40:41]
	buffer_load_dword v1, off, s[56:59], 0 offset:4 ; 4-byte Folded Reload
	v_add_co_u32_e32 v10, vcc, 0x1000, v7
	v_addc_co_u32_e32 v12, vcc, 0, v8, vcc
	v_mov_b32_e32 v43, 0
	s_waitcnt vmcnt(0)
	v_add_co_u32_e32 v17, vcc, v10, v1
	v_addc_co_u32_e32 v18, vcc, 0, v12, vcc
	global_load_dword v9, v[17:18], off
	v_mov_b32_e32 v1, 0
	s_waitcnt vmcnt(0)
	v_cmp_ne_u16_sdwa s[42:43], v9, v6 src0_sel:BYTE_0 src1_sel:DWORD
	s_and_saveexec_b64 s[40:41], s[42:43]
	s_cbranch_execz .LBB261_408
; %bb.403:                              ;   in Loop: Header=BB261_13 Depth=1
	v_cmp_ne_u16_sdwa s[44:45], v9, s52 src0_sel:BYTE_0 src1_sel:DWORD
	v_mov_b32_e32 v43, 0x8000
	s_and_saveexec_b64 s[42:43], s[44:45]
	s_cbranch_execz .LBB261_407
; %bb.404:                              ;   in Loop: Header=BB261_13 Depth=1
	v_and_b32_e32 v5, 0x7f, v9
	v_cmp_ne_u32_e32 vcc, s53, v5
	v_mov_b32_e32 v43, 0x7c01
	s_and_saveexec_b64 s[44:45], vcc
	s_cbranch_execz .LBB261_406
; %bb.405:                              ;   in Loop: Header=BB261_13 Depth=1
	v_and_b32_e32 v14, 7, v9
	v_lshrrev_b32_e32 v22, 3, v5
	v_cmp_gt_u32_e32 vcc, 8, v5
	v_ffbh_u32_e32 v5, v14
	v_min_u32_e32 v5, 32, v5
	v_subrev_u32_e32 v17, 28, v5
	v_sub_u32_e32 v5, 29, v5
	v_lshlrev_b64 v[17:18], v17, v[9:10]
	v_cndmask_b32_e32 v5, v22, v5, vcc
	v_mov_b32_e32 v15, 0x2000
	v_lshl_add_u32 v5, v5, 10, v15
	v_lshlrev_b32_e32 v18, 8, v9
	v_and_b32_e32 v17, 7, v17
	v_and_b32_e32 v5, 0xfc00, v5
	v_cndmask_b32_e32 v14, v14, v17, vcc
	v_and_or_b32 v5, v18, s54, v5
	v_lshl_or_b32 v43, v14, 7, v5
.LBB261_406:                            ;   in Loop: Header=BB261_13 Depth=1
	s_or_b64 exec, exec, s[44:45]
.LBB261_407:                            ;   in Loop: Header=BB261_13 Depth=1
	s_or_b64 exec, exec, s[42:43]
.LBB261_408:                            ;   in Loop: Header=BB261_13 Depth=1
	s_or_b64 exec, exec, s[40:41]
	v_lshrrev_b16_e32 v5, 8, v9
	v_cmp_ne_u16_e32 vcc, 0, v5
	s_and_saveexec_b64 s[40:41], vcc
	s_cbranch_execz .LBB261_414
; %bb.409:                              ;   in Loop: Header=BB261_13 Depth=1
	v_cmp_ne_u16_e32 vcc, s52, v5
	v_bfrev_b32_e32 v1, 1
	s_and_saveexec_b64 s[42:43], vcc
	s_cbranch_execz .LBB261_413
; %bb.410:                              ;   in Loop: Header=BB261_13 Depth=1
	v_and_b32_e32 v14, 0x7f, v5
	v_cmp_ne_u32_e32 vcc, s53, v14
	v_mov_b32_e32 v1, 0x7c010000
	s_and_saveexec_b64 s[44:45], vcc
	s_cbranch_execz .LBB261_412
; %bb.411:                              ;   in Loop: Header=BB261_13 Depth=1
	v_and_b32_e32 v1, 7, v5
	v_lshrrev_b32_e32 v22, 3, v14
	v_cmp_gt_u32_e32 vcc, 8, v14
	v_ffbh_u32_e32 v14, v1
	v_min_u32_e32 v14, 32, v14
	v_subrev_u32_e32 v17, 28, v14
	v_sub_u32_e32 v14, 29, v14
	v_lshlrev_b64 v[17:18], v17, v[5:6]
	v_cndmask_b32_e32 v14, v22, v14, vcc
	v_mov_b32_e32 v15, 0x2000
	v_lshlrev_b32_e32 v5, 8, v5
	v_lshl_add_u32 v14, v14, 10, v15
	v_and_b32_e32 v17, 7, v17
	v_and_or_b32 v5, v5, s54, v14
	v_cndmask_b32_e32 v1, v1, v17, vcc
	v_lshlrev_b32_e32 v5, 16, v5
	v_lshl_or_b32 v1, v1, 23, v5
.LBB261_412:                            ;   in Loop: Header=BB261_13 Depth=1
	s_or_b64 exec, exec, s[44:45]
.LBB261_413:                            ;   in Loop: Header=BB261_13 Depth=1
	s_or_b64 exec, exec, s[42:43]
.LBB261_414:                            ;   in Loop: Header=BB261_13 Depth=1
	s_or_b64 exec, exec, s[40:41]
	v_lshrrev_b32_e32 v5, 16, v9
	v_cmp_ne_u16_sdwa s[42:43], v5, v6 src0_sel:BYTE_0 src1_sel:DWORD
	v_mov_b32_e32 v32, 0
	v_mov_b32_e32 v15, 0
	s_and_saveexec_b64 s[40:41], s[42:43]
	s_cbranch_execz .LBB261_420
; %bb.415:                              ;   in Loop: Header=BB261_13 Depth=1
	v_cmp_ne_u16_sdwa s[44:45], v5, s52 src0_sel:BYTE_0 src1_sel:DWORD
	v_mov_b32_e32 v15, 0x8000
	s_and_saveexec_b64 s[42:43], s[44:45]
	s_cbranch_execz .LBB261_419
; %bb.416:                              ;   in Loop: Header=BB261_13 Depth=1
	v_bfe_u32 v14, v9, 16, 7
	v_cmp_ne_u32_e32 vcc, s53, v14
	v_mov_b32_e32 v15, 0x7c01
	s_and_saveexec_b64 s[44:45], vcc
	s_cbranch_execz .LBB261_418
; %bb.417:                              ;   in Loop: Header=BB261_13 Depth=1
	v_and_b32_e32 v22, 7, v5
	v_lshrrev_b32_e32 v25, 3, v14
	v_cmp_gt_u32_e32 vcc, 8, v14
	v_ffbh_u32_e32 v14, v22
	v_min_u32_e32 v14, 32, v14
	v_subrev_u32_e32 v17, 28, v14
	v_sub_u32_e32 v14, 29, v14
	v_lshlrev_b64 v[17:18], v17, v[5:6]
	v_cndmask_b32_e32 v14, v25, v14, vcc
	v_mov_b32_e32 v15, 0x2000
	v_lshl_add_u32 v14, v14, 10, v15
	v_lshlrev_b32_e32 v5, 8, v5
	v_and_b32_e32 v17, 7, v17
	v_and_b32_e32 v14, 0xfc00, v14
	v_cndmask_b32_e32 v17, v22, v17, vcc
	v_and_or_b32 v5, v5, s54, v14
	v_lshl_or_b32 v15, v17, 7, v5
.LBB261_418:                            ;   in Loop: Header=BB261_13 Depth=1
	s_or_b64 exec, exec, s[44:45]
.LBB261_419:                            ;   in Loop: Header=BB261_13 Depth=1
	s_or_b64 exec, exec, s[42:43]
.LBB261_420:                            ;   in Loop: Header=BB261_13 Depth=1
	s_or_b64 exec, exec, s[40:41]
	v_cmp_lt_u32_e32 vcc, s55, v9
	s_and_saveexec_b64 s[40:41], vcc
	s_cbranch_execz .LBB261_426
; %bb.421:                              ;   in Loop: Header=BB261_13 Depth=1
	v_lshrrev_b32_e32 v5, 24, v9
	v_cmp_ne_u32_e32 vcc, s52, v5
	v_bfrev_b32_e32 v32, 1
	s_and_saveexec_b64 s[42:43], vcc
	s_cbranch_execz .LBB261_425
; %bb.422:                              ;   in Loop: Header=BB261_13 Depth=1
	v_and_b32_e32 v9, 0x7f, v5
	v_cmp_ne_u32_e32 vcc, s53, v9
	v_mov_b32_e32 v32, 0x7c010000
	s_and_saveexec_b64 s[44:45], vcc
	s_cbranch_execz .LBB261_424
; %bb.423:                              ;   in Loop: Header=BB261_13 Depth=1
	v_and_b32_e32 v14, 7, v5
	v_lshrrev_b32_e32 v22, 3, v9
	v_cmp_gt_u32_e32 vcc, 8, v9
	v_ffbh_u32_e32 v9, v14
	v_min_u32_e32 v9, 32, v9
	v_subrev_u32_e32 v17, 28, v9
	v_lshlrev_b64 v[17:18], v17, v[5:6]
	v_sub_u32_e32 v9, 29, v9
	v_cndmask_b32_e32 v9, v22, v9, vcc
	v_mov_b32_e32 v18, 0x2000
	v_lshlrev_b32_e32 v5, 8, v5
	v_lshl_add_u32 v9, v9, 10, v18
	v_and_b32_e32 v17, 7, v17
	v_and_or_b32 v5, v5, s54, v9
	v_cndmask_b32_e32 v14, v14, v17, vcc
	v_lshlrev_b32_e32 v5, 16, v5
	v_lshl_or_b32 v32, v14, 23, v5
.LBB261_424:                            ;   in Loop: Header=BB261_13 Depth=1
	s_or_b64 exec, exec, s[44:45]
.LBB261_425:                            ;   in Loop: Header=BB261_13 Depth=1
	s_or_b64 exec, exec, s[42:43]
.LBB261_426:                            ;   in Loop: Header=BB261_13 Depth=1
	s_or_b64 exec, exec, s[40:41]
	buffer_load_dword v5, off, s[56:59], 0 offset:12 ; 4-byte Folded Reload
	v_mov_b32_e32 v17, 0
	v_mov_b32_e32 v18, 0
	s_waitcnt vmcnt(0)
	v_add_co_u32_e32 v9, vcc, v10, v5
	v_addc_co_u32_e32 v10, vcc, 0, v12, vcc
	global_load_dword v9, v[9:10], off
	s_waitcnt vmcnt(0)
	v_cmp_ne_u16_sdwa s[42:43], v9, v6 src0_sel:BYTE_0 src1_sel:DWORD
	s_and_saveexec_b64 s[40:41], s[42:43]
	s_cbranch_execz .LBB261_432
; %bb.427:                              ;   in Loop: Header=BB261_13 Depth=1
	v_cmp_ne_u16_sdwa s[44:45], v9, s52 src0_sel:BYTE_0 src1_sel:DWORD
	v_mov_b32_e32 v18, 0x8000
	s_and_saveexec_b64 s[42:43], s[44:45]
	s_cbranch_execz .LBB261_431
; %bb.428:                              ;   in Loop: Header=BB261_13 Depth=1
	v_and_b32_e32 v5, 0x7f, v9
	v_cmp_ne_u32_e32 vcc, s53, v5
	v_mov_b32_e32 v18, 0x7c01
	s_and_saveexec_b64 s[44:45], vcc
	s_cbranch_execz .LBB261_430
; %bb.429:                              ;   in Loop: Header=BB261_13 Depth=1
	v_and_b32_e32 v10, 7, v9
	v_lshrrev_b32_e32 v12, 3, v5
	v_cmp_gt_u32_e32 vcc, 8, v5
	v_ffbh_u32_e32 v5, v10
	v_min_u32_e32 v5, 32, v5
	v_subrev_u32_e32 v14, 28, v5
	v_sub_u32_e32 v5, 29, v5
	v_lshlrev_b64 v[25:26], v14, v[9:10]
	v_cndmask_b32_e32 v5, v12, v5, vcc
	v_mov_b32_e32 v14, 0x2000
	v_lshl_add_u32 v5, v5, 10, v14
	v_lshlrev_b32_e32 v12, 8, v9
	v_and_b32_e32 v14, 7, v25
	v_and_b32_e32 v5, 0xfc00, v5
	v_cndmask_b32_e32 v10, v10, v14, vcc
	v_and_or_b32 v5, v12, s54, v5
	v_lshl_or_b32 v18, v10, 7, v5
.LBB261_430:                            ;   in Loop: Header=BB261_13 Depth=1
	s_or_b64 exec, exec, s[44:45]
.LBB261_431:                            ;   in Loop: Header=BB261_13 Depth=1
	s_or_b64 exec, exec, s[42:43]
.LBB261_432:                            ;   in Loop: Header=BB261_13 Depth=1
	s_or_b64 exec, exec, s[40:41]
	v_lshrrev_b16_e32 v5, 8, v9
	v_cmp_ne_u16_e32 vcc, 0, v5
	s_and_saveexec_b64 s[40:41], vcc
	s_cbranch_execz .LBB261_438
; %bb.433:                              ;   in Loop: Header=BB261_13 Depth=1
	v_cmp_ne_u16_e32 vcc, s52, v5
	v_bfrev_b32_e32 v17, 1
	s_and_saveexec_b64 s[42:43], vcc
	s_cbranch_execz .LBB261_437
; %bb.434:                              ;   in Loop: Header=BB261_13 Depth=1
	v_and_b32_e32 v10, 0x7f, v5
	v_cmp_ne_u32_e32 vcc, s53, v10
	v_mov_b32_e32 v17, 0x7c010000
	s_and_saveexec_b64 s[44:45], vcc
	s_cbranch_execz .LBB261_436
; %bb.435:                              ;   in Loop: Header=BB261_13 Depth=1
	v_and_b32_e32 v12, 7, v5
	v_lshrrev_b32_e32 v14, 3, v10
	v_cmp_gt_u32_e32 vcc, 8, v10
	v_ffbh_u32_e32 v10, v12
	v_min_u32_e32 v10, 32, v10
	v_subrev_u32_e32 v17, 28, v10
	v_sub_u32_e32 v10, 29, v10
	v_lshlrev_b64 v[25:26], v17, v[5:6]
	v_cndmask_b32_e32 v10, v14, v10, vcc
	v_mov_b32_e32 v14, 0x2000
	v_lshlrev_b32_e32 v5, 8, v5
	v_lshl_add_u32 v10, v10, 10, v14
	v_and_b32_e32 v14, 7, v25
	v_and_or_b32 v5, v5, s54, v10
	v_cndmask_b32_e32 v12, v12, v14, vcc
	v_lshlrev_b32_e32 v5, 16, v5
	v_lshl_or_b32 v17, v12, 23, v5
.LBB261_436:                            ;   in Loop: Header=BB261_13 Depth=1
	s_or_b64 exec, exec, s[44:45]
.LBB261_437:                            ;   in Loop: Header=BB261_13 Depth=1
	s_or_b64 exec, exec, s[42:43]
.LBB261_438:                            ;   in Loop: Header=BB261_13 Depth=1
	s_or_b64 exec, exec, s[40:41]
	v_lshrrev_b32_e32 v5, 16, v9
	v_cmp_ne_u16_sdwa s[42:43], v5, v6 src0_sel:BYTE_0 src1_sel:DWORD
	v_mov_b32_e32 v34, 0
	v_mov_b32_e32 v59, 0
	s_and_saveexec_b64 s[40:41], s[42:43]
	s_cbranch_execz .LBB261_444
; %bb.439:                              ;   in Loop: Header=BB261_13 Depth=1
	v_cmp_ne_u16_sdwa s[44:45], v5, s52 src0_sel:BYTE_0 src1_sel:DWORD
	v_mov_b32_e32 v59, 0x8000
	s_and_saveexec_b64 s[42:43], s[44:45]
	s_cbranch_execz .LBB261_443
; %bb.440:                              ;   in Loop: Header=BB261_13 Depth=1
	v_bfe_u32 v10, v9, 16, 7
	v_cmp_ne_u32_e32 vcc, s53, v10
	v_mov_b32_e32 v59, 0x7c01
	s_and_saveexec_b64 s[44:45], vcc
	s_cbranch_execz .LBB261_442
; %bb.441:                              ;   in Loop: Header=BB261_13 Depth=1
	v_and_b32_e32 v12, 7, v5
	v_lshrrev_b32_e32 v14, 3, v10
	v_cmp_gt_u32_e32 vcc, 8, v10
	v_ffbh_u32_e32 v10, v12
	v_min_u32_e32 v10, 32, v10
	v_subrev_u32_e32 v22, 28, v10
	v_sub_u32_e32 v10, 29, v10
	v_lshlrev_b64 v[25:26], v22, v[5:6]
	v_cndmask_b32_e32 v10, v14, v10, vcc
	v_mov_b32_e32 v14, 0x2000
	v_lshl_add_u32 v10, v10, 10, v14
	v_lshlrev_b32_e32 v5, 8, v5
	v_and_b32_e32 v14, 7, v25
	v_and_b32_e32 v10, 0xfc00, v10
	v_cndmask_b32_e32 v12, v12, v14, vcc
	v_and_or_b32 v5, v5, s54, v10
	v_lshl_or_b32 v59, v12, 7, v5
.LBB261_442:                            ;   in Loop: Header=BB261_13 Depth=1
	s_or_b64 exec, exec, s[44:45]
.LBB261_443:                            ;   in Loop: Header=BB261_13 Depth=1
	s_or_b64 exec, exec, s[42:43]
.LBB261_444:                            ;   in Loop: Header=BB261_13 Depth=1
	s_or_b64 exec, exec, s[40:41]
	v_cmp_lt_u32_e32 vcc, s55, v9
	s_and_saveexec_b64 s[40:41], vcc
	s_cbranch_execz .LBB261_450
; %bb.445:                              ;   in Loop: Header=BB261_13 Depth=1
	v_lshrrev_b32_e32 v5, 24, v9
	v_cmp_ne_u32_e32 vcc, s52, v5
	v_bfrev_b32_e32 v34, 1
	s_and_saveexec_b64 s[42:43], vcc
	s_cbranch_execz .LBB261_449
; %bb.446:                              ;   in Loop: Header=BB261_13 Depth=1
	v_and_b32_e32 v9, 0x7f, v5
	v_cmp_ne_u32_e32 vcc, s53, v9
	v_mov_b32_e32 v34, 0x7c010000
	s_and_saveexec_b64 s[44:45], vcc
	s_cbranch_execz .LBB261_448
; %bb.447:                              ;   in Loop: Header=BB261_13 Depth=1
	v_and_b32_e32 v12, 7, v5
	v_lshrrev_b32_e32 v14, 3, v9
	v_cmp_gt_u32_e32 vcc, 8, v9
	v_ffbh_u32_e32 v9, v12
	v_min_u32_e32 v22, 32, v9
	v_subrev_u32_e32 v9, 28, v22
	v_lshlrev_b64 v[9:10], v9, v[5:6]
	v_sub_u32_e32 v10, 29, v22
	v_cndmask_b32_e32 v10, v14, v10, vcc
	v_mov_b32_e32 v14, 0x2000
	v_lshlrev_b32_e32 v5, 8, v5
	v_lshl_add_u32 v10, v10, 10, v14
	v_and_b32_e32 v9, 7, v9
	v_and_or_b32 v5, v5, s54, v10
	v_cndmask_b32_e32 v9, v12, v9, vcc
	v_lshlrev_b32_e32 v5, 16, v5
	v_lshl_or_b32 v34, v9, 23, v5
.LBB261_448:                            ;   in Loop: Header=BB261_13 Depth=1
	s_or_b64 exec, exec, s[44:45]
.LBB261_449:                            ;   in Loop: Header=BB261_13 Depth=1
	s_or_b64 exec, exec, s[42:43]
.LBB261_450:                            ;   in Loop: Header=BB261_13 Depth=1
	s_or_b64 exec, exec, s[40:41]
	buffer_load_dword v5, off, s[56:59], 0 offset:4 ; 4-byte Folded Reload
	v_add_co_u32_e32 v10, vcc, 0x1200, v7
	v_addc_co_u32_e32 v12, vcc, 0, v8, vcc
	v_mov_b32_e32 v14, 0
	v_mov_b32_e32 v42, 0
	s_waitcnt vmcnt(0)
	v_add_co_u32_e32 v25, vcc, v10, v5
	v_addc_co_u32_e32 v26, vcc, 0, v12, vcc
	global_load_dword v9, v[25:26], off
	s_waitcnt vmcnt(0)
	v_cmp_ne_u16_sdwa s[42:43], v9, v6 src0_sel:BYTE_0 src1_sel:DWORD
	s_and_saveexec_b64 s[40:41], s[42:43]
	s_cbranch_execz .LBB261_456
; %bb.451:                              ;   in Loop: Header=BB261_13 Depth=1
	v_cmp_ne_u16_sdwa s[44:45], v9, s52 src0_sel:BYTE_0 src1_sel:DWORD
	v_mov_b32_e32 v42, 0x8000
	s_and_saveexec_b64 s[42:43], s[44:45]
	s_cbranch_execz .LBB261_455
; %bb.452:                              ;   in Loop: Header=BB261_13 Depth=1
	v_and_b32_e32 v5, 0x7f, v9
	v_cmp_ne_u32_e32 vcc, s53, v5
	v_mov_b32_e32 v42, 0x7c01
	s_and_saveexec_b64 s[44:45], vcc
	s_cbranch_execz .LBB261_454
; %bb.453:                              ;   in Loop: Header=BB261_13 Depth=1
	v_and_b32_e32 v22, 7, v9
	v_lshrrev_b32_e32 v30, 3, v5
	v_cmp_gt_u32_e32 vcc, 8, v5
	v_ffbh_u32_e32 v5, v22
	v_min_u32_e32 v5, 32, v5
	v_subrev_u32_e32 v25, 28, v5
	v_sub_u32_e32 v5, 29, v5
	v_lshlrev_b64 v[25:26], v25, v[9:10]
	v_cndmask_b32_e32 v5, v30, v5, vcc
	v_mov_b32_e32 v28, 0x2000
	v_lshl_add_u32 v5, v5, 10, v28
	v_lshlrev_b32_e32 v26, 8, v9
	v_and_b32_e32 v25, 7, v25
	v_and_b32_e32 v5, 0xfc00, v5
	v_cndmask_b32_e32 v22, v22, v25, vcc
	v_and_or_b32 v5, v26, s54, v5
	v_lshl_or_b32 v42, v22, 7, v5
.LBB261_454:                            ;   in Loop: Header=BB261_13 Depth=1
	s_or_b64 exec, exec, s[44:45]
.LBB261_455:                            ;   in Loop: Header=BB261_13 Depth=1
	s_or_b64 exec, exec, s[42:43]
.LBB261_456:                            ;   in Loop: Header=BB261_13 Depth=1
	s_or_b64 exec, exec, s[40:41]
	v_lshrrev_b16_e32 v5, 8, v9
	v_cmp_ne_u16_e32 vcc, 0, v5
	s_and_saveexec_b64 s[40:41], vcc
	s_cbranch_execz .LBB261_462
; %bb.457:                              ;   in Loop: Header=BB261_13 Depth=1
	v_cmp_ne_u16_e32 vcc, s52, v5
	v_bfrev_b32_e32 v14, 1
	s_and_saveexec_b64 s[42:43], vcc
	s_cbranch_execz .LBB261_461
; %bb.458:                              ;   in Loop: Header=BB261_13 Depth=1
	v_and_b32_e32 v22, 0x7f, v5
	v_cmp_ne_u32_e32 vcc, s53, v22
	v_mov_b32_e32 v14, 0x7c010000
	s_and_saveexec_b64 s[44:45], vcc
	s_cbranch_execz .LBB261_460
; %bb.459:                              ;   in Loop: Header=BB261_13 Depth=1
	v_and_b32_e32 v14, 7, v5
	v_lshrrev_b32_e32 v30, 3, v22
	v_cmp_gt_u32_e32 vcc, 8, v22
	v_ffbh_u32_e32 v22, v14
	v_min_u32_e32 v22, 32, v22
	v_subrev_u32_e32 v25, 28, v22
	v_lshlrev_b64 v[25:26], v25, v[5:6]
	v_sub_u32_e32 v22, 29, v22
	v_cndmask_b32_e32 v22, v30, v22, vcc
	v_mov_b32_e32 v26, 0x2000
	v_lshlrev_b32_e32 v5, 8, v5
	v_lshl_add_u32 v22, v22, 10, v26
	v_and_b32_e32 v25, 7, v25
	v_and_or_b32 v5, v5, s54, v22
	v_cndmask_b32_e32 v14, v14, v25, vcc
	v_lshlrev_b32_e32 v5, 16, v5
	v_lshl_or_b32 v14, v14, 23, v5
.LBB261_460:                            ;   in Loop: Header=BB261_13 Depth=1
	s_or_b64 exec, exec, s[44:45]
.LBB261_461:                            ;   in Loop: Header=BB261_13 Depth=1
	s_or_b64 exec, exec, s[42:43]
.LBB261_462:                            ;   in Loop: Header=BB261_13 Depth=1
	s_or_b64 exec, exec, s[40:41]
	v_lshrrev_b32_e32 v5, 16, v9
	v_cmp_ne_u16_sdwa s[42:43], v5, v6 src0_sel:BYTE_0 src1_sel:DWORD
	v_mov_b32_e32 v30, 0
	v_mov_b32_e32 v40, 0
	s_and_saveexec_b64 s[40:41], s[42:43]
	s_cbranch_execz .LBB261_468
; %bb.463:                              ;   in Loop: Header=BB261_13 Depth=1
	v_cmp_ne_u16_sdwa s[44:45], v5, s52 src0_sel:BYTE_0 src1_sel:DWORD
	v_mov_b32_e32 v40, 0x8000
	s_and_saveexec_b64 s[42:43], s[44:45]
	s_cbranch_execz .LBB261_467
; %bb.464:                              ;   in Loop: Header=BB261_13 Depth=1
	v_bfe_u32 v22, v9, 16, 7
	v_cmp_ne_u32_e32 vcc, s53, v22
	v_mov_b32_e32 v40, 0x7c01
	s_and_saveexec_b64 s[44:45], vcc
	s_cbranch_execz .LBB261_466
; %bb.465:                              ;   in Loop: Header=BB261_13 Depth=1
	v_and_b32_e32 v31, 7, v5
	v_lshrrev_b32_e32 v37, 3, v22
	v_cmp_gt_u32_e32 vcc, 8, v22
	v_ffbh_u32_e32 v22, v31
	v_min_u32_e32 v22, 32, v22
	v_subrev_u32_e32 v25, 28, v22
	v_lshlrev_b64 v[25:26], v25, v[5:6]
	v_sub_u32_e32 v22, 29, v22
	v_cndmask_b32_e32 v22, v37, v22, vcc
	v_mov_b32_e32 v26, 0x2000
	v_lshl_add_u32 v22, v22, 10, v26
	v_lshlrev_b32_e32 v5, 8, v5
	v_and_b32_e32 v25, 7, v25
	v_and_b32_e32 v22, 0xfc00, v22
	v_cndmask_b32_e32 v25, v31, v25, vcc
	v_and_or_b32 v5, v5, s54, v22
	v_lshl_or_b32 v40, v25, 7, v5
.LBB261_466:                            ;   in Loop: Header=BB261_13 Depth=1
	s_or_b64 exec, exec, s[44:45]
.LBB261_467:                            ;   in Loop: Header=BB261_13 Depth=1
	s_or_b64 exec, exec, s[42:43]
.LBB261_468:                            ;   in Loop: Header=BB261_13 Depth=1
	s_or_b64 exec, exec, s[40:41]
	v_cmp_lt_u32_e32 vcc, s55, v9
	s_and_saveexec_b64 s[40:41], vcc
	s_cbranch_execz .LBB261_474
; %bb.469:                              ;   in Loop: Header=BB261_13 Depth=1
	v_lshrrev_b32_e32 v5, 24, v9
	v_cmp_ne_u32_e32 vcc, s52, v5
	v_bfrev_b32_e32 v30, 1
	s_and_saveexec_b64 s[42:43], vcc
	s_cbranch_execz .LBB261_473
; %bb.470:                              ;   in Loop: Header=BB261_13 Depth=1
	v_and_b32_e32 v9, 0x7f, v5
	v_cmp_ne_u32_e32 vcc, s53, v9
	v_mov_b32_e32 v30, 0x7c010000
	s_and_saveexec_b64 s[44:45], vcc
	s_cbranch_execz .LBB261_472
; %bb.471:                              ;   in Loop: Header=BB261_13 Depth=1
	v_and_b32_e32 v22, 7, v5
	v_lshrrev_b32_e32 v30, 3, v9
	v_cmp_gt_u32_e32 vcc, 8, v9
	v_ffbh_u32_e32 v9, v22
	v_min_u32_e32 v9, 32, v9
	v_subrev_u32_e32 v25, 28, v9
	v_lshlrev_b64 v[25:26], v25, v[5:6]
	v_sub_u32_e32 v9, 29, v9
	v_cndmask_b32_e32 v9, v30, v9, vcc
	v_mov_b32_e32 v26, 0x2000
	v_lshlrev_b32_e32 v5, 8, v5
	v_lshl_add_u32 v9, v9, 10, v26
	v_and_b32_e32 v25, 7, v25
	v_and_or_b32 v5, v5, s54, v9
	v_cndmask_b32_e32 v22, v22, v25, vcc
	v_lshlrev_b32_e32 v5, 16, v5
	v_lshl_or_b32 v30, v22, 23, v5
.LBB261_472:                            ;   in Loop: Header=BB261_13 Depth=1
	s_or_b64 exec, exec, s[44:45]
.LBB261_473:                            ;   in Loop: Header=BB261_13 Depth=1
	s_or_b64 exec, exec, s[42:43]
.LBB261_474:                            ;   in Loop: Header=BB261_13 Depth=1
	s_or_b64 exec, exec, s[40:41]
	buffer_load_dword v5, off, s[56:59], 0 offset:12 ; 4-byte Folded Reload
	v_mov_b32_e32 v44, 0
	s_waitcnt vmcnt(0)
	v_add_co_u32_e32 v9, vcc, v10, v5
	v_addc_co_u32_e32 v10, vcc, 0, v12, vcc
	global_load_dword v9, v[9:10], off
	v_mov_b32_e32 v12, 0
	s_waitcnt vmcnt(0)
	v_cmp_ne_u16_sdwa s[42:43], v9, v6 src0_sel:BYTE_0 src1_sel:DWORD
	s_and_saveexec_b64 s[40:41], s[42:43]
	s_cbranch_execz .LBB261_480
; %bb.475:                              ;   in Loop: Header=BB261_13 Depth=1
	v_cmp_ne_u16_sdwa s[44:45], v9, s52 src0_sel:BYTE_0 src1_sel:DWORD
	v_mov_b32_e32 v44, 0x8000
	s_and_saveexec_b64 s[42:43], s[44:45]
	s_cbranch_execz .LBB261_479
; %bb.476:                              ;   in Loop: Header=BB261_13 Depth=1
	v_and_b32_e32 v5, 0x7f, v9
	v_cmp_ne_u32_e32 vcc, s53, v5
	v_mov_b32_e32 v44, 0x7c01
	s_and_saveexec_b64 s[44:45], vcc
	s_cbranch_execz .LBB261_478
; %bb.477:                              ;   in Loop: Header=BB261_13 Depth=1
	v_and_b32_e32 v10, 7, v9
	v_lshrrev_b32_e32 v22, 3, v5
	v_cmp_gt_u32_e32 vcc, 8, v5
	v_ffbh_u32_e32 v5, v10
	v_min_u32_e32 v5, 32, v5
	v_subrev_u32_e32 v25, 28, v5
	v_lshlrev_b64 v[25:26], v25, v[9:10]
	v_sub_u32_e32 v5, 29, v5
	v_cndmask_b32_e32 v5, v22, v5, vcc
	v_mov_b32_e32 v26, 0x2000
	v_lshl_add_u32 v5, v5, 10, v26
	v_lshlrev_b32_e32 v22, 8, v9
	v_and_b32_e32 v25, 7, v25
	v_and_b32_e32 v5, 0xfc00, v5
	v_cndmask_b32_e32 v10, v10, v25, vcc
	v_and_or_b32 v5, v22, s54, v5
	v_lshl_or_b32 v44, v10, 7, v5
.LBB261_478:                            ;   in Loop: Header=BB261_13 Depth=1
	s_or_b64 exec, exec, s[44:45]
.LBB261_479:                            ;   in Loop: Header=BB261_13 Depth=1
	s_or_b64 exec, exec, s[42:43]
.LBB261_480:                            ;   in Loop: Header=BB261_13 Depth=1
	s_or_b64 exec, exec, s[40:41]
	v_lshrrev_b16_e32 v5, 8, v9
	v_cmp_ne_u16_e32 vcc, 0, v5
	s_and_saveexec_b64 s[40:41], vcc
	s_cbranch_execz .LBB261_486
; %bb.481:                              ;   in Loop: Header=BB261_13 Depth=1
	v_cmp_ne_u16_e32 vcc, s52, v5
	v_bfrev_b32_e32 v12, 1
	s_and_saveexec_b64 s[42:43], vcc
	s_cbranch_execz .LBB261_485
; %bb.482:                              ;   in Loop: Header=BB261_13 Depth=1
	v_and_b32_e32 v10, 0x7f, v5
	v_cmp_ne_u32_e32 vcc, s53, v10
	v_mov_b32_e32 v12, 0x7c010000
	s_and_saveexec_b64 s[44:45], vcc
	s_cbranch_execz .LBB261_484
; %bb.483:                              ;   in Loop: Header=BB261_13 Depth=1
	v_and_b32_e32 v12, 7, v5
	v_lshrrev_b32_e32 v22, 3, v10
	v_cmp_gt_u32_e32 vcc, 8, v10
	v_ffbh_u32_e32 v10, v12
	v_min_u32_e32 v10, 32, v10
	v_subrev_u32_e32 v25, 28, v10
	v_sub_u32_e32 v10, 29, v10
	v_lshlrev_b64 v[25:26], v25, v[5:6]
	v_cndmask_b32_e32 v10, v22, v10, vcc
	v_mov_b32_e32 v22, 0x2000
	v_lshlrev_b32_e32 v5, 8, v5
	v_lshl_add_u32 v10, v10, 10, v22
	v_and_b32_e32 v22, 7, v25
	v_and_or_b32 v5, v5, s54, v10
	v_cndmask_b32_e32 v12, v12, v22, vcc
	v_lshlrev_b32_e32 v5, 16, v5
	v_lshl_or_b32 v12, v12, 23, v5
.LBB261_484:                            ;   in Loop: Header=BB261_13 Depth=1
	s_or_b64 exec, exec, s[44:45]
.LBB261_485:                            ;   in Loop: Header=BB261_13 Depth=1
	s_or_b64 exec, exec, s[42:43]
.LBB261_486:                            ;   in Loop: Header=BB261_13 Depth=1
	s_or_b64 exec, exec, s[40:41]
	v_lshrrev_b32_e32 v5, 16, v9
	v_cmp_ne_u16_sdwa s[42:43], v5, v6 src0_sel:BYTE_0 src1_sel:DWORD
	v_mov_b32_e32 v45, 0
	v_mov_b32_e32 v50, 0
	s_and_saveexec_b64 s[40:41], s[42:43]
	s_cbranch_execz .LBB261_492
; %bb.487:                              ;   in Loop: Header=BB261_13 Depth=1
	v_cmp_ne_u16_sdwa s[44:45], v5, s52 src0_sel:BYTE_0 src1_sel:DWORD
	v_mov_b32_e32 v50, 0x8000
	s_and_saveexec_b64 s[42:43], s[44:45]
	s_cbranch_execz .LBB261_491
; %bb.488:                              ;   in Loop: Header=BB261_13 Depth=1
	v_bfe_u32 v10, v9, 16, 7
	v_cmp_ne_u32_e32 vcc, s53, v10
	v_mov_b32_e32 v50, 0x7c01
	s_and_saveexec_b64 s[44:45], vcc
	s_cbranch_execz .LBB261_490
; %bb.489:                              ;   in Loop: Header=BB261_13 Depth=1
	v_and_b32_e32 v22, 7, v5
	v_lshrrev_b32_e32 v31, 3, v10
	v_cmp_gt_u32_e32 vcc, 8, v10
	v_ffbh_u32_e32 v10, v22
	v_min_u32_e32 v10, 32, v10
	v_subrev_u32_e32 v25, 28, v10
	v_lshlrev_b64 v[25:26], v25, v[5:6]
	v_sub_u32_e32 v10, 29, v10
	v_cndmask_b32_e32 v10, v31, v10, vcc
	v_mov_b32_e32 v26, 0x2000
	v_lshl_add_u32 v10, v10, 10, v26
	v_lshlrev_b32_e32 v5, 8, v5
	v_and_b32_e32 v25, 7, v25
	v_and_b32_e32 v10, 0xfc00, v10
	v_cndmask_b32_e32 v22, v22, v25, vcc
	v_and_or_b32 v5, v5, s54, v10
	v_lshl_or_b32 v50, v22, 7, v5
.LBB261_490:                            ;   in Loop: Header=BB261_13 Depth=1
	s_or_b64 exec, exec, s[44:45]
.LBB261_491:                            ;   in Loop: Header=BB261_13 Depth=1
	s_or_b64 exec, exec, s[42:43]
.LBB261_492:                            ;   in Loop: Header=BB261_13 Depth=1
	s_or_b64 exec, exec, s[40:41]
	v_cmp_lt_u32_e32 vcc, s55, v9
	s_and_saveexec_b64 s[40:41], vcc
	s_cbranch_execz .LBB261_498
; %bb.493:                              ;   in Loop: Header=BB261_13 Depth=1
	v_lshrrev_b32_e32 v5, 24, v9
	v_cmp_ne_u32_e32 vcc, s52, v5
	v_bfrev_b32_e32 v45, 1
	s_and_saveexec_b64 s[42:43], vcc
	s_cbranch_execz .LBB261_497
; %bb.494:                              ;   in Loop: Header=BB261_13 Depth=1
	v_and_b32_e32 v9, 0x7f, v5
	v_cmp_ne_u32_e32 vcc, s53, v9
	v_mov_b32_e32 v45, 0x7c010000
	s_and_saveexec_b64 s[44:45], vcc
	s_cbranch_execz .LBB261_496
; %bb.495:                              ;   in Loop: Header=BB261_13 Depth=1
	v_and_b32_e32 v22, 7, v5
	v_lshrrev_b32_e32 v25, 3, v9
	v_cmp_gt_u32_e32 vcc, 8, v9
	v_ffbh_u32_e32 v9, v22
	v_min_u32_e32 v26, 32, v9
	v_subrev_u32_e32 v9, 28, v26
	v_lshlrev_b64 v[9:10], v9, v[5:6]
	v_sub_u32_e32 v10, 29, v26
	v_cndmask_b32_e32 v10, v25, v10, vcc
	v_mov_b32_e32 v25, 0x2000
	v_lshlrev_b32_e32 v5, 8, v5
	v_lshl_add_u32 v10, v10, 10, v25
	v_and_b32_e32 v9, 7, v9
	v_and_or_b32 v5, v5, s54, v10
	v_cndmask_b32_e32 v9, v22, v9, vcc
	v_lshlrev_b32_e32 v5, 16, v5
	v_lshl_or_b32 v45, v9, 23, v5
.LBB261_496:                            ;   in Loop: Header=BB261_13 Depth=1
	s_or_b64 exec, exec, s[44:45]
.LBB261_497:                            ;   in Loop: Header=BB261_13 Depth=1
	s_or_b64 exec, exec, s[42:43]
.LBB261_498:                            ;   in Loop: Header=BB261_13 Depth=1
	s_or_b64 exec, exec, s[40:41]
	buffer_load_dword v5, off, s[56:59], 0 offset:4 ; 4-byte Folded Reload
	v_add_co_u32_e32 v10, vcc, 0x1400, v7
	v_addc_co_u32_e32 v22, vcc, 0, v8, vcc
	v_mov_b32_e32 v54, 0
	v_mov_b32_e32 v56, 0
	s_waitcnt vmcnt(0)
	v_add_co_u32_e32 v25, vcc, v10, v5
	v_addc_co_u32_e32 v26, vcc, 0, v22, vcc
	global_load_dword v9, v[25:26], off
	s_waitcnt vmcnt(0)
	v_cmp_ne_u16_sdwa s[42:43], v9, v6 src0_sel:BYTE_0 src1_sel:DWORD
	s_and_saveexec_b64 s[40:41], s[42:43]
	s_cbranch_execz .LBB261_504
; %bb.499:                              ;   in Loop: Header=BB261_13 Depth=1
	v_cmp_ne_u16_sdwa s[44:45], v9, s52 src0_sel:BYTE_0 src1_sel:DWORD
	v_mov_b32_e32 v56, 0x8000
	s_and_saveexec_b64 s[42:43], s[44:45]
	s_cbranch_execz .LBB261_503
; %bb.500:                              ;   in Loop: Header=BB261_13 Depth=1
	v_and_b32_e32 v5, 0x7f, v9
	v_cmp_ne_u32_e32 vcc, s53, v5
	v_mov_b32_e32 v56, 0x7c01
	s_and_saveexec_b64 s[44:45], vcc
	s_cbranch_execz .LBB261_502
; %bb.501:                              ;   in Loop: Header=BB261_13 Depth=1
	v_and_b32_e32 v31, 7, v9
	v_lshrrev_b32_e32 v37, 3, v5
	v_cmp_gt_u32_e32 vcc, 8, v5
	v_ffbh_u32_e32 v5, v31
	v_min_u32_e32 v5, 32, v5
	v_subrev_u32_e32 v25, 28, v5
	v_sub_u32_e32 v5, 29, v5
	v_lshlrev_b64 v[25:26], v25, v[9:10]
	v_cndmask_b32_e32 v5, v37, v5, vcc
	v_mov_b32_e32 v28, 0x2000
	v_lshl_add_u32 v5, v5, 10, v28
	v_lshlrev_b32_e32 v26, 8, v9
	v_and_b32_e32 v25, 7, v25
	v_and_b32_e32 v5, 0xfc00, v5
	v_cndmask_b32_e32 v25, v31, v25, vcc
	v_and_or_b32 v5, v26, s54, v5
	v_lshl_or_b32 v56, v25, 7, v5
.LBB261_502:                            ;   in Loop: Header=BB261_13 Depth=1
	s_or_b64 exec, exec, s[44:45]
.LBB261_503:                            ;   in Loop: Header=BB261_13 Depth=1
	s_or_b64 exec, exec, s[42:43]
.LBB261_504:                            ;   in Loop: Header=BB261_13 Depth=1
	s_or_b64 exec, exec, s[40:41]
	v_lshrrev_b16_e32 v5, 8, v9
	v_cmp_ne_u16_e32 vcc, 0, v5
	s_and_saveexec_b64 s[40:41], vcc
	s_cbranch_execz .LBB261_510
; %bb.505:                              ;   in Loop: Header=BB261_13 Depth=1
	v_cmp_ne_u16_e32 vcc, s52, v5
	v_bfrev_b32_e32 v54, 1
	s_and_saveexec_b64 s[42:43], vcc
	s_cbranch_execz .LBB261_509
; %bb.506:                              ;   in Loop: Header=BB261_13 Depth=1
	v_and_b32_e32 v25, 0x7f, v5
	v_cmp_ne_u32_e32 vcc, s53, v25
	v_mov_b32_e32 v54, 0x7c010000
	s_and_saveexec_b64 s[44:45], vcc
	s_cbranch_execz .LBB261_508
; %bb.507:                              ;   in Loop: Header=BB261_13 Depth=1
	v_and_b32_e32 v31, 7, v5
	v_lshrrev_b32_e32 v37, 3, v25
	v_cmp_gt_u32_e32 vcc, 8, v25
	v_ffbh_u32_e32 v25, v31
	v_min_u32_e32 v38, 32, v25
	v_subrev_u32_e32 v25, 28, v38
	v_lshlrev_b64 v[25:26], v25, v[5:6]
	v_sub_u32_e32 v26, 29, v38
	v_cndmask_b32_e32 v26, v37, v26, vcc
	v_mov_b32_e32 v28, 0x2000
	v_lshlrev_b32_e32 v5, 8, v5
	v_lshl_add_u32 v26, v26, 10, v28
	v_and_b32_e32 v25, 7, v25
	v_and_or_b32 v5, v5, s54, v26
	v_cndmask_b32_e32 v25, v31, v25, vcc
	v_lshlrev_b32_e32 v5, 16, v5
	v_lshl_or_b32 v54, v25, 23, v5
.LBB261_508:                            ;   in Loop: Header=BB261_13 Depth=1
	s_or_b64 exec, exec, s[44:45]
.LBB261_509:                            ;   in Loop: Header=BB261_13 Depth=1
	s_or_b64 exec, exec, s[42:43]
.LBB261_510:                            ;   in Loop: Header=BB261_13 Depth=1
	s_or_b64 exec, exec, s[40:41]
	v_lshrrev_b32_e32 v5, 16, v9
	v_cmp_ne_u16_sdwa s[42:43], v5, v6 src0_sel:BYTE_0 src1_sel:DWORD
	v_mov_b32_e32 v57, 0
	v_mov_b32_e32 v60, 0
	s_and_saveexec_b64 s[40:41], s[42:43]
	s_cbranch_execz .LBB261_516
; %bb.511:                              ;   in Loop: Header=BB261_13 Depth=1
	v_cmp_ne_u16_sdwa s[44:45], v5, s52 src0_sel:BYTE_0 src1_sel:DWORD
	v_mov_b32_e32 v60, 0x8000
	s_and_saveexec_b64 s[42:43], s[44:45]
	s_cbranch_execz .LBB261_515
; %bb.512:                              ;   in Loop: Header=BB261_13 Depth=1
	v_bfe_u32 v25, v9, 16, 7
	v_cmp_ne_u32_e32 vcc, s53, v25
	v_mov_b32_e32 v60, 0x7c01
	s_and_saveexec_b64 s[44:45], vcc
	s_cbranch_execz .LBB261_514
; %bb.513:                              ;   in Loop: Header=BB261_13 Depth=1
	v_and_b32_e32 v31, 7, v5
	v_lshrrev_b32_e32 v37, 3, v25
	v_cmp_gt_u32_e32 vcc, 8, v25
	v_ffbh_u32_e32 v25, v31
	v_min_u32_e32 v38, 32, v25
	v_subrev_u32_e32 v25, 28, v38
	v_lshlrev_b64 v[25:26], v25, v[5:6]
	v_sub_u32_e32 v26, 29, v38
	v_cndmask_b32_e32 v26, v37, v26, vcc
	v_mov_b32_e32 v28, 0x2000
	v_lshl_add_u32 v26, v26, 10, v28
	v_lshlrev_b32_e32 v5, 8, v5
	v_and_b32_e32 v25, 7, v25
	v_and_b32_e32 v26, 0xfc00, v26
	v_cndmask_b32_e32 v25, v31, v25, vcc
	v_and_or_b32 v5, v5, s54, v26
	v_lshl_or_b32 v60, v25, 7, v5
.LBB261_514:                            ;   in Loop: Header=BB261_13 Depth=1
	s_or_b64 exec, exec, s[44:45]
.LBB261_515:                            ;   in Loop: Header=BB261_13 Depth=1
	s_or_b64 exec, exec, s[42:43]
.LBB261_516:                            ;   in Loop: Header=BB261_13 Depth=1
	s_or_b64 exec, exec, s[40:41]
	v_cmp_lt_u32_e32 vcc, s55, v9
	s_and_saveexec_b64 s[40:41], vcc
	s_cbranch_execz .LBB261_522
; %bb.517:                              ;   in Loop: Header=BB261_13 Depth=1
	v_lshrrev_b32_e32 v5, 24, v9
	v_cmp_ne_u32_e32 vcc, s52, v5
	v_bfrev_b32_e32 v57, 1
	s_and_saveexec_b64 s[42:43], vcc
	s_cbranch_execz .LBB261_521
; %bb.518:                              ;   in Loop: Header=BB261_13 Depth=1
	v_and_b32_e32 v9, 0x7f, v5
	v_cmp_ne_u32_e32 vcc, s53, v9
	v_mov_b32_e32 v57, 0x7c010000
	s_and_saveexec_b64 s[44:45], vcc
	s_cbranch_execz .LBB261_520
; %bb.519:                              ;   in Loop: Header=BB261_13 Depth=1
	v_and_b32_e32 v31, 7, v5
	v_lshrrev_b32_e32 v37, 3, v9
	v_cmp_gt_u32_e32 vcc, 8, v9
	v_ffbh_u32_e32 v9, v31
	v_min_u32_e32 v9, 32, v9
	v_subrev_u32_e32 v25, 28, v9
	v_lshlrev_b64 v[25:26], v25, v[5:6]
	v_sub_u32_e32 v9, 29, v9
	v_cndmask_b32_e32 v9, v37, v9, vcc
	v_mov_b32_e32 v26, 0x2000
	v_lshlrev_b32_e32 v5, 8, v5
	v_lshl_add_u32 v9, v9, 10, v26
	v_and_b32_e32 v25, 7, v25
	v_and_or_b32 v5, v5, s54, v9
	v_cndmask_b32_e32 v25, v31, v25, vcc
	v_lshlrev_b32_e32 v5, 16, v5
	v_lshl_or_b32 v57, v25, 23, v5
.LBB261_520:                            ;   in Loop: Header=BB261_13 Depth=1
	s_or_b64 exec, exec, s[44:45]
.LBB261_521:                            ;   in Loop: Header=BB261_13 Depth=1
	s_or_b64 exec, exec, s[42:43]
.LBB261_522:                            ;   in Loop: Header=BB261_13 Depth=1
	s_or_b64 exec, exec, s[40:41]
	buffer_load_dword v5, off, s[56:59], 0 offset:12 ; 4-byte Folded Reload
	v_mov_b32_e32 v31, 0
	v_mov_b32_e32 v47, 0
	s_waitcnt vmcnt(0)
	v_add_co_u32_e32 v9, vcc, v10, v5
	v_addc_co_u32_e32 v10, vcc, 0, v22, vcc
	global_load_dword v9, v[9:10], off
	s_waitcnt vmcnt(0)
	v_cmp_ne_u16_sdwa s[42:43], v9, v6 src0_sel:BYTE_0 src1_sel:DWORD
	s_and_saveexec_b64 s[40:41], s[42:43]
	s_cbranch_execz .LBB261_528
; %bb.523:                              ;   in Loop: Header=BB261_13 Depth=1
	v_cmp_ne_u16_sdwa s[44:45], v9, s52 src0_sel:BYTE_0 src1_sel:DWORD
	v_mov_b32_e32 v47, 0x8000
	s_and_saveexec_b64 s[42:43], s[44:45]
	s_cbranch_execz .LBB261_527
; %bb.524:                              ;   in Loop: Header=BB261_13 Depth=1
	v_and_b32_e32 v5, 0x7f, v9
	v_cmp_ne_u32_e32 vcc, s53, v5
	v_mov_b32_e32 v47, 0x7c01
	s_and_saveexec_b64 s[44:45], vcc
	s_cbranch_execz .LBB261_526
; %bb.525:                              ;   in Loop: Header=BB261_13 Depth=1
	v_and_b32_e32 v10, 7, v9
	v_lshrrev_b32_e32 v22, 3, v5
	v_cmp_gt_u32_e32 vcc, 8, v5
	v_ffbh_u32_e32 v5, v10
	v_min_u32_e32 v5, 32, v5
	v_subrev_u32_e32 v25, 28, v5
	v_lshlrev_b64 v[25:26], v25, v[9:10]
	v_sub_u32_e32 v5, 29, v5
	v_cndmask_b32_e32 v5, v22, v5, vcc
	v_mov_b32_e32 v26, 0x2000
	v_lshl_add_u32 v5, v5, 10, v26
	v_lshlrev_b32_e32 v22, 8, v9
	v_and_b32_e32 v25, 7, v25
	v_and_b32_e32 v5, 0xfc00, v5
	v_cndmask_b32_e32 v10, v10, v25, vcc
	v_and_or_b32 v5, v22, s54, v5
	v_lshl_or_b32 v47, v10, 7, v5
.LBB261_526:                            ;   in Loop: Header=BB261_13 Depth=1
	s_or_b64 exec, exec, s[44:45]
.LBB261_527:                            ;   in Loop: Header=BB261_13 Depth=1
	s_or_b64 exec, exec, s[42:43]
.LBB261_528:                            ;   in Loop: Header=BB261_13 Depth=1
	s_or_b64 exec, exec, s[40:41]
	v_lshrrev_b16_e32 v5, 8, v9
	v_cmp_ne_u16_e32 vcc, 0, v5
	s_and_saveexec_b64 s[40:41], vcc
	s_cbranch_execz .LBB261_534
; %bb.529:                              ;   in Loop: Header=BB261_13 Depth=1
	v_cmp_ne_u16_e32 vcc, s52, v5
	v_bfrev_b32_e32 v31, 1
	s_and_saveexec_b64 s[42:43], vcc
	s_cbranch_execz .LBB261_533
; %bb.530:                              ;   in Loop: Header=BB261_13 Depth=1
	v_and_b32_e32 v10, 0x7f, v5
	v_cmp_ne_u32_e32 vcc, s53, v10
	v_mov_b32_e32 v31, 0x7c010000
	s_and_saveexec_b64 s[44:45], vcc
	s_cbranch_execz .LBB261_532
; %bb.531:                              ;   in Loop: Header=BB261_13 Depth=1
	v_and_b32_e32 v22, 7, v5
	v_lshrrev_b32_e32 v31, 3, v10
	v_cmp_gt_u32_e32 vcc, 8, v10
	v_ffbh_u32_e32 v10, v22
	v_min_u32_e32 v10, 32, v10
	v_subrev_u32_e32 v25, 28, v10
	v_lshlrev_b64 v[25:26], v25, v[5:6]
	v_sub_u32_e32 v10, 29, v10
	v_cndmask_b32_e32 v10, v31, v10, vcc
	v_mov_b32_e32 v26, 0x2000
	v_lshlrev_b32_e32 v5, 8, v5
	v_lshl_add_u32 v10, v10, 10, v26
	v_and_b32_e32 v25, 7, v25
	v_and_or_b32 v5, v5, s54, v10
	v_cndmask_b32_e32 v22, v22, v25, vcc
	v_lshlrev_b32_e32 v5, 16, v5
	v_lshl_or_b32 v31, v22, 23, v5
.LBB261_532:                            ;   in Loop: Header=BB261_13 Depth=1
	s_or_b64 exec, exec, s[44:45]
.LBB261_533:                            ;   in Loop: Header=BB261_13 Depth=1
	s_or_b64 exec, exec, s[42:43]
.LBB261_534:                            ;   in Loop: Header=BB261_13 Depth=1
	s_or_b64 exec, exec, s[40:41]
	v_lshrrev_b32_e32 v5, 16, v9
	v_cmp_ne_u16_sdwa s[42:43], v5, v6 src0_sel:BYTE_0 src1_sel:DWORD
	v_mov_b32_e32 v46, 0
	v_mov_b32_e32 v22, 0
	s_and_saveexec_b64 s[40:41], s[42:43]
	s_cbranch_execz .LBB261_540
; %bb.535:                              ;   in Loop: Header=BB261_13 Depth=1
	v_cmp_ne_u16_sdwa s[44:45], v5, s52 src0_sel:BYTE_0 src1_sel:DWORD
	v_mov_b32_e32 v22, 0x8000
	s_and_saveexec_b64 s[42:43], s[44:45]
	s_cbranch_execz .LBB261_539
; %bb.536:                              ;   in Loop: Header=BB261_13 Depth=1
	v_bfe_u32 v10, v9, 16, 7
	v_cmp_ne_u32_e32 vcc, s53, v10
	v_mov_b32_e32 v22, 0x7c01
	s_and_saveexec_b64 s[44:45], vcc
	s_cbranch_execz .LBB261_538
; %bb.537:                              ;   in Loop: Header=BB261_13 Depth=1
	v_and_b32_e32 v22, 7, v5
	v_lshrrev_b32_e32 v37, 3, v10
	v_cmp_gt_u32_e32 vcc, 8, v10
	v_ffbh_u32_e32 v10, v22
	v_min_u32_e32 v10, 32, v10
	v_subrev_u32_e32 v25, 28, v10
	v_lshlrev_b64 v[25:26], v25, v[5:6]
	v_sub_u32_e32 v10, 29, v10
	v_cndmask_b32_e32 v10, v37, v10, vcc
	v_mov_b32_e32 v26, 0x2000
	v_lshl_add_u32 v10, v10, 10, v26
	v_lshlrev_b32_e32 v5, 8, v5
	v_and_b32_e32 v25, 7, v25
	v_and_b32_e32 v10, 0xfc00, v10
	v_cndmask_b32_e32 v22, v22, v25, vcc
	v_and_or_b32 v5, v5, s54, v10
	v_lshl_or_b32 v22, v22, 7, v5
.LBB261_538:                            ;   in Loop: Header=BB261_13 Depth=1
	s_or_b64 exec, exec, s[44:45]
.LBB261_539:                            ;   in Loop: Header=BB261_13 Depth=1
	s_or_b64 exec, exec, s[42:43]
.LBB261_540:                            ;   in Loop: Header=BB261_13 Depth=1
	s_or_b64 exec, exec, s[40:41]
	v_cmp_lt_u32_e32 vcc, s55, v9
	s_and_saveexec_b64 s[40:41], vcc
	s_cbranch_execz .LBB261_546
; %bb.541:                              ;   in Loop: Header=BB261_13 Depth=1
	v_lshrrev_b32_e32 v5, 24, v9
	v_cmp_ne_u32_e32 vcc, s52, v5
	v_bfrev_b32_e32 v46, 1
	s_and_saveexec_b64 s[42:43], vcc
	s_cbranch_execz .LBB261_545
; %bb.542:                              ;   in Loop: Header=BB261_13 Depth=1
	v_and_b32_e32 v9, 0x7f, v5
	v_cmp_ne_u32_e32 vcc, s53, v9
	v_mov_b32_e32 v46, 0x7c010000
	s_and_saveexec_b64 s[44:45], vcc
	s_cbranch_execz .LBB261_544
; %bb.543:                              ;   in Loop: Header=BB261_13 Depth=1
	v_and_b32_e32 v25, 7, v5
	v_lshrrev_b32_e32 v26, 3, v9
	v_cmp_gt_u32_e32 vcc, 8, v9
	v_ffbh_u32_e32 v9, v25
	v_min_u32_e32 v37, 32, v9
	v_subrev_u32_e32 v9, 28, v37
	v_lshlrev_b64 v[9:10], v9, v[5:6]
	v_sub_u32_e32 v10, 29, v37
	v_cndmask_b32_e32 v10, v26, v10, vcc
	v_mov_b32_e32 v26, 0x2000
	v_lshlrev_b32_e32 v5, 8, v5
	v_lshl_add_u32 v10, v10, 10, v26
	v_and_b32_e32 v9, 7, v9
	v_and_or_b32 v5, v5, s54, v10
	v_cndmask_b32_e32 v9, v25, v9, vcc
	v_lshlrev_b32_e32 v5, 16, v5
	v_lshl_or_b32 v46, v9, 23, v5
.LBB261_544:                            ;   in Loop: Header=BB261_13 Depth=1
	s_or_b64 exec, exec, s[44:45]
.LBB261_545:                            ;   in Loop: Header=BB261_13 Depth=1
	s_or_b64 exec, exec, s[42:43]
.LBB261_546:                            ;   in Loop: Header=BB261_13 Depth=1
	s_or_b64 exec, exec, s[40:41]
	buffer_load_dword v5, off, s[56:59], 0 offset:4 ; 4-byte Folded Reload
	v_add_co_u32_e32 v10, vcc, 0x1600, v7
	v_addc_co_u32_e32 v49, vcc, 0, v8, vcc
	v_mov_b32_e32 v9, 0
	s_waitcnt vmcnt(0)
	v_add_co_u32_e32 v7, vcc, v10, v5
	v_addc_co_u32_e32 v8, vcc, 0, v49, vcc
	global_load_dword v7, v[7:8], off
	v_mov_b32_e32 v8, 0
	s_waitcnt vmcnt(0)
	v_cmp_ne_u16_sdwa s[42:43], v7, v6 src0_sel:BYTE_0 src1_sel:DWORD
	s_and_saveexec_b64 s[40:41], s[42:43]
	s_cbranch_execz .LBB261_552
; %bb.547:                              ;   in Loop: Header=BB261_13 Depth=1
	v_cmp_ne_u16_sdwa s[44:45], v7, s52 src0_sel:BYTE_0 src1_sel:DWORD
	v_mov_b32_e32 v9, 0x8000
	s_and_saveexec_b64 s[42:43], s[44:45]
	s_cbranch_execz .LBB261_551
; %bb.548:                              ;   in Loop: Header=BB261_13 Depth=1
	v_and_b32_e32 v5, 0x7f, v7
	v_cmp_ne_u32_e32 vcc, s53, v5
	v_mov_b32_e32 v9, 0x7c01
	s_and_saveexec_b64 s[44:45], vcc
	s_cbranch_execz .LBB261_550
; %bb.549:                              ;   in Loop: Header=BB261_13 Depth=1
	v_and_b32_e32 v9, 7, v7
	v_lshrrev_b32_e32 v37, 3, v5
	v_cmp_gt_u32_e32 vcc, 8, v5
	v_ffbh_u32_e32 v5, v9
	v_min_u32_e32 v5, 32, v5
	v_subrev_u32_e32 v25, 28, v5
	v_sub_u32_e32 v5, 29, v5
	v_lshlrev_b64 v[25:26], v25, v[7:8]
	v_cndmask_b32_e32 v5, v37, v5, vcc
	v_mov_b32_e32 v28, 0x2000
	v_lshl_add_u32 v5, v5, 10, v28
	v_lshlrev_b32_e32 v26, 8, v7
	v_and_b32_e32 v25, 7, v25
	v_and_b32_e32 v5, 0xfc00, v5
	v_cndmask_b32_e32 v9, v9, v25, vcc
	v_and_or_b32 v5, v26, s54, v5
	v_lshl_or_b32 v9, v9, 7, v5
.LBB261_550:                            ;   in Loop: Header=BB261_13 Depth=1
	s_or_b64 exec, exec, s[44:45]
.LBB261_551:                            ;   in Loop: Header=BB261_13 Depth=1
	s_or_b64 exec, exec, s[42:43]
.LBB261_552:                            ;   in Loop: Header=BB261_13 Depth=1
	s_or_b64 exec, exec, s[40:41]
	v_lshrrev_b16_e32 v5, 8, v7
	v_cmp_ne_u16_e32 vcc, 0, v5
	s_and_saveexec_b64 s[40:41], vcc
	s_cbranch_execz .LBB261_558
; %bb.553:                              ;   in Loop: Header=BB261_13 Depth=1
	v_cmp_ne_u16_e32 vcc, s52, v5
	v_bfrev_b32_e32 v8, 1
	s_and_saveexec_b64 s[42:43], vcc
	s_cbranch_execz .LBB261_557
; %bb.554:                              ;   in Loop: Header=BB261_13 Depth=1
	v_and_b32_e32 v25, 0x7f, v5
	v_cmp_ne_u32_e32 vcc, s53, v25
	v_mov_b32_e32 v8, 0x7c010000
	s_and_saveexec_b64 s[44:45], vcc
	s_cbranch_execz .LBB261_556
; %bb.555:                              ;   in Loop: Header=BB261_13 Depth=1
	v_and_b32_e32 v8, 7, v5
	v_lshrrev_b32_e32 v37, 3, v25
	v_cmp_gt_u32_e32 vcc, 8, v25
	v_ffbh_u32_e32 v25, v8
	v_min_u32_e32 v38, 32, v25
	v_subrev_u32_e32 v25, 28, v38
	v_lshlrev_b64 v[25:26], v25, v[5:6]
	v_sub_u32_e32 v26, 29, v38
	v_cndmask_b32_e32 v26, v37, v26, vcc
	v_mov_b32_e32 v28, 0x2000
	v_lshlrev_b32_e32 v5, 8, v5
	v_lshl_add_u32 v26, v26, 10, v28
	v_and_b32_e32 v25, 7, v25
	v_and_or_b32 v5, v5, s54, v26
	v_cndmask_b32_e32 v8, v8, v25, vcc
	v_lshlrev_b32_e32 v5, 16, v5
	v_lshl_or_b32 v8, v8, 23, v5
.LBB261_556:                            ;   in Loop: Header=BB261_13 Depth=1
	s_or_b64 exec, exec, s[44:45]
.LBB261_557:                            ;   in Loop: Header=BB261_13 Depth=1
	s_or_b64 exec, exec, s[42:43]
.LBB261_558:                            ;   in Loop: Header=BB261_13 Depth=1
	s_or_b64 exec, exec, s[40:41]
	v_lshrrev_b32_e32 v5, 16, v7
	v_cmp_ne_u16_sdwa s[42:43], v5, v6 src0_sel:BYTE_0 src1_sel:DWORD
	v_mov_b32_e32 v37, 0
	v_mov_b32_e32 v25, 0
	s_and_saveexec_b64 s[40:41], s[42:43]
	s_cbranch_execz .LBB261_564
; %bb.559:                              ;   in Loop: Header=BB261_13 Depth=1
	v_cmp_ne_u16_sdwa s[44:45], v5, s52 src0_sel:BYTE_0 src1_sel:DWORD
	v_mov_b32_e32 v25, 0x8000
	s_and_saveexec_b64 s[42:43], s[44:45]
	s_cbranch_execz .LBB261_563
; %bb.560:                              ;   in Loop: Header=BB261_13 Depth=1
	v_bfe_u32 v26, v7, 16, 7
	v_cmp_ne_u32_e32 vcc, s53, v26
	v_mov_b32_e32 v25, 0x7c01
	s_and_saveexec_b64 s[44:45], vcc
	s_cbranch_execz .LBB261_562
; %bb.561:                              ;   in Loop: Header=BB261_13 Depth=1
	v_and_b32_e32 v38, 7, v5
	v_ffbh_u32_e32 v25, v38
	v_min_u32_e32 v58, 32, v25
	v_subrev_u32_e32 v25, 28, v58
	v_lshrrev_b32_e32 v39, 3, v26
	v_cmp_gt_u32_e32 vcc, 8, v26
	v_lshlrev_b64 v[25:26], v25, v[5:6]
	v_sub_u32_e32 v26, 29, v58
	v_cndmask_b32_e32 v26, v39, v26, vcc
	v_mov_b32_e32 v28, 0x2000
	v_lshl_add_u32 v26, v26, 10, v28
	v_lshlrev_b32_e32 v5, 8, v5
	v_and_b32_e32 v25, 7, v25
	v_and_b32_e32 v26, 0xfc00, v26
	v_cndmask_b32_e32 v25, v38, v25, vcc
	v_and_or_b32 v5, v5, s54, v26
	v_lshl_or_b32 v25, v25, 7, v5
.LBB261_562:                            ;   in Loop: Header=BB261_13 Depth=1
	s_or_b64 exec, exec, s[44:45]
.LBB261_563:                            ;   in Loop: Header=BB261_13 Depth=1
	s_or_b64 exec, exec, s[42:43]
.LBB261_564:                            ;   in Loop: Header=BB261_13 Depth=1
	s_or_b64 exec, exec, s[40:41]
	v_cmp_lt_u32_e32 vcc, s55, v7
	s_and_saveexec_b64 s[40:41], vcc
	s_cbranch_execz .LBB261_570
; %bb.565:                              ;   in Loop: Header=BB261_13 Depth=1
	v_lshrrev_b32_e32 v5, 24, v7
	v_cmp_ne_u32_e32 vcc, s52, v5
	v_bfrev_b32_e32 v37, 1
	s_and_saveexec_b64 s[42:43], vcc
	s_cbranch_execz .LBB261_569
; %bb.566:                              ;   in Loop: Header=BB261_13 Depth=1
	v_and_b32_e32 v7, 0x7f, v5
	v_cmp_ne_u32_e32 vcc, s53, v7
	v_mov_b32_e32 v37, 0x7c010000
	s_and_saveexec_b64 s[44:45], vcc
	s_cbranch_execz .LBB261_568
; %bb.567:                              ;   in Loop: Header=BB261_13 Depth=1
	v_and_b32_e32 v26, 7, v5
	v_lshrrev_b32_e32 v39, 3, v7
	v_cmp_gt_u32_e32 vcc, 8, v7
	v_ffbh_u32_e32 v7, v26
	v_min_u32_e32 v7, 32, v7
	v_subrev_u32_e32 v37, 28, v7
	v_sub_u32_e32 v7, 29, v7
	v_lshlrev_b64 v[37:38], v37, v[5:6]
	v_cndmask_b32_e32 v7, v39, v7, vcc
	v_mov_b32_e32 v28, 0x2000
	v_lshlrev_b32_e32 v5, 8, v5
	v_lshl_add_u32 v7, v7, 10, v28
	v_and_b32_e32 v37, 7, v37
	v_and_or_b32 v5, v5, s54, v7
	v_cndmask_b32_e32 v26, v26, v37, vcc
	v_lshlrev_b32_e32 v5, 16, v5
	v_lshl_or_b32 v37, v26, 23, v5
.LBB261_568:                            ;   in Loop: Header=BB261_13 Depth=1
	s_or_b64 exec, exec, s[44:45]
.LBB261_569:                            ;   in Loop: Header=BB261_13 Depth=1
	s_or_b64 exec, exec, s[42:43]
.LBB261_570:                            ;   in Loop: Header=BB261_13 Depth=1
	s_or_b64 exec, exec, s[40:41]
	buffer_load_dword v5, off, s[56:59], 0 offset:12 ; 4-byte Folded Reload
	s_waitcnt vmcnt(0)
	v_add_co_u32_e32 v38, vcc, v10, v5
	v_addc_co_u32_e32 v39, vcc, 0, v49, vcc
	global_load_dword v7, v[38:39], off
	v_mov_b32_e32 v10, 0
	v_mov_b32_e32 v49, 0
	s_waitcnt vmcnt(0)
	v_cmp_ne_u16_sdwa s[42:43], v7, v6 src0_sel:BYTE_0 src1_sel:DWORD
	s_and_saveexec_b64 s[40:41], s[42:43]
	s_cbranch_execz .LBB261_576
; %bb.571:                              ;   in Loop: Header=BB261_13 Depth=1
	v_cmp_ne_u16_sdwa s[44:45], v7, s52 src0_sel:BYTE_0 src1_sel:DWORD
	v_mov_b32_e32 v49, 0x8000
	s_and_saveexec_b64 s[42:43], s[44:45]
	s_cbranch_execz .LBB261_575
; %bb.572:                              ;   in Loop: Header=BB261_13 Depth=1
	v_and_b32_e32 v5, 0x7f, v7
	v_cmp_ne_u32_e32 vcc, s53, v5
	v_mov_b32_e32 v49, 0x7c01
	s_and_saveexec_b64 s[44:45], vcc
	s_cbranch_execz .LBB261_574
; %bb.573:                              ;   in Loop: Header=BB261_13 Depth=1
	v_and_b32_e32 v26, 7, v7
	v_lshrrev_b32_e32 v49, 3, v5
	v_cmp_gt_u32_e32 vcc, 8, v5
	v_ffbh_u32_e32 v5, v26
	v_min_u32_e32 v5, 32, v5
	v_subrev_u32_e32 v38, 28, v5
	v_sub_u32_e32 v5, 29, v5
	v_lshlrev_b64 v[38:39], v38, v[7:8]
	v_cndmask_b32_e32 v5, v49, v5, vcc
	v_mov_b32_e32 v28, 0x2000
	v_lshl_add_u32 v5, v5, 10, v28
	v_lshlrev_b32_e32 v39, 8, v7
	v_and_b32_e32 v38, 7, v38
	v_and_b32_e32 v5, 0xfc00, v5
	v_cndmask_b32_e32 v26, v26, v38, vcc
	v_and_or_b32 v5, v39, s54, v5
	v_lshl_or_b32 v49, v26, 7, v5
.LBB261_574:                            ;   in Loop: Header=BB261_13 Depth=1
	s_or_b64 exec, exec, s[44:45]
.LBB261_575:                            ;   in Loop: Header=BB261_13 Depth=1
	s_or_b64 exec, exec, s[42:43]
.LBB261_576:                            ;   in Loop: Header=BB261_13 Depth=1
	s_or_b64 exec, exec, s[40:41]
	v_lshrrev_b16_e32 v5, 8, v7
	v_cmp_ne_u16_e32 vcc, 0, v5
	s_and_saveexec_b64 s[40:41], vcc
	s_cbranch_execz .LBB261_582
; %bb.577:                              ;   in Loop: Header=BB261_13 Depth=1
	v_cmp_ne_u16_e32 vcc, s52, v5
	v_bfrev_b32_e32 v10, 1
	s_and_saveexec_b64 s[42:43], vcc
	s_cbranch_execz .LBB261_581
; %bb.578:                              ;   in Loop: Header=BB261_13 Depth=1
	v_and_b32_e32 v26, 0x7f, v5
	v_cmp_ne_u32_e32 vcc, s53, v26
	v_mov_b32_e32 v10, 0x7c010000
	s_and_saveexec_b64 s[44:45], vcc
	s_cbranch_execz .LBB261_580
; %bb.579:                              ;   in Loop: Header=BB261_13 Depth=1
	v_and_b32_e32 v10, 7, v5
	v_lshrrev_b32_e32 v58, 3, v26
	v_cmp_gt_u32_e32 vcc, 8, v26
	v_ffbh_u32_e32 v26, v10
	v_min_u32_e32 v26, 32, v26
	v_subrev_u32_e32 v38, 28, v26
	v_sub_u32_e32 v26, 29, v26
	v_lshlrev_b64 v[38:39], v38, v[5:6]
	v_cndmask_b32_e32 v26, v58, v26, vcc
	v_mov_b32_e32 v28, 0x2000
	v_lshlrev_b32_e32 v5, 8, v5
	v_lshl_add_u32 v26, v26, 10, v28
	v_and_b32_e32 v38, 7, v38
	v_and_or_b32 v5, v5, s54, v26
	v_cndmask_b32_e32 v10, v10, v38, vcc
	v_lshlrev_b32_e32 v5, 16, v5
	v_lshl_or_b32 v10, v10, 23, v5
.LBB261_580:                            ;   in Loop: Header=BB261_13 Depth=1
	s_or_b64 exec, exec, s[44:45]
.LBB261_581:                            ;   in Loop: Header=BB261_13 Depth=1
	s_or_b64 exec, exec, s[42:43]
.LBB261_582:                            ;   in Loop: Header=BB261_13 Depth=1
	s_or_b64 exec, exec, s[40:41]
	v_lshrrev_b32_e32 v5, 16, v7
	v_cmp_ne_u16_sdwa s[42:43], v5, v6 src0_sel:BYTE_0 src1_sel:DWORD
	v_mov_b32_e32 v26, 0
	v_mov_b32_e32 v58, 0
	s_and_saveexec_b64 s[40:41], s[42:43]
	s_cbranch_execz .LBB261_588
; %bb.583:                              ;   in Loop: Header=BB261_13 Depth=1
	v_cmp_ne_u16_sdwa s[44:45], v5, s52 src0_sel:BYTE_0 src1_sel:DWORD
	v_mov_b32_e32 v58, 0x8000
	s_and_saveexec_b64 s[42:43], s[44:45]
	s_cbranch_execz .LBB261_587
; %bb.584:                              ;   in Loop: Header=BB261_13 Depth=1
	v_bfe_u32 v39, v7, 16, 7
	v_cmp_ne_u32_e32 vcc, s53, v39
	v_mov_b32_e32 v58, 0x7c01
	s_and_saveexec_b64 s[44:45], vcc
	s_cbranch_execz .LBB261_586
; %bb.585:                              ;   in Loop: Header=BB261_13 Depth=1
	v_and_b32_e32 v58, 7, v5
	v_ffbh_u32_e32 v38, v58
	v_min_u32_e32 v35, 32, v38
	v_lshrrev_b32_e32 v28, 3, v39
	v_cmp_gt_u32_e32 vcc, 8, v39
	v_subrev_u32_e32 v38, 28, v35
	v_sub_u32_e32 v35, 29, v35
	v_lshlrev_b64 v[38:39], v38, v[5:6]
	v_cndmask_b32_e32 v28, v28, v35, vcc
	v_mov_b32_e32 v35, 0x2000
	v_lshl_add_u32 v28, v28, 10, v35
	v_lshlrev_b32_e32 v5, 8, v5
	v_and_b32_e32 v35, 7, v38
	v_and_b32_e32 v28, 0xfc00, v28
	v_cndmask_b32_e32 v35, v58, v35, vcc
	v_and_or_b32 v5, v5, s54, v28
	v_lshl_or_b32 v58, v35, 7, v5
.LBB261_586:                            ;   in Loop: Header=BB261_13 Depth=1
	s_or_b64 exec, exec, s[44:45]
.LBB261_587:                            ;   in Loop: Header=BB261_13 Depth=1
	s_or_b64 exec, exec, s[42:43]
.LBB261_588:                            ;   in Loop: Header=BB261_13 Depth=1
	s_or_b64 exec, exec, s[40:41]
	v_cmp_lt_u32_e32 vcc, s55, v7
	s_and_saveexec_b64 s[40:41], vcc
	s_cbranch_execz .LBB261_594
; %bb.589:                              ;   in Loop: Header=BB261_13 Depth=1
	v_lshrrev_b32_e32 v5, 24, v7
	v_cmp_ne_u32_e32 vcc, s52, v5
	v_bfrev_b32_e32 v26, 1
	s_and_saveexec_b64 s[42:43], vcc
	s_cbranch_execz .LBB261_593
; %bb.590:                              ;   in Loop: Header=BB261_13 Depth=1
	v_and_b32_e32 v7, 0x7f, v5
	v_cmp_ne_u32_e32 vcc, s53, v7
	v_mov_b32_e32 v26, 0x7c010000
	s_and_saveexec_b64 s[44:45], vcc
	s_cbranch_execz .LBB261_592
; %bb.591:                              ;   in Loop: Header=BB261_13 Depth=1
	v_and_b32_e32 v26, 7, v5
	v_lshrrev_b32_e32 v28, 3, v7
	v_cmp_gt_u32_e32 vcc, 8, v7
	v_ffbh_u32_e32 v7, v26
	v_min_u32_e32 v7, 32, v7
	v_subrev_u32_e32 v35, 28, v7
	v_sub_u32_e32 v7, 29, v7
	v_lshlrev_b64 v[38:39], v35, v[5:6]
	v_cndmask_b32_e32 v7, v28, v7, vcc
	v_mov_b32_e32 v28, 0x2000
	v_lshlrev_b32_e32 v5, 8, v5
	v_lshl_add_u32 v7, v7, 10, v28
	v_and_b32_e32 v28, 7, v38
	v_and_or_b32 v5, v5, s54, v7
	v_cndmask_b32_e32 v26, v26, v28, vcc
	v_lshlrev_b32_e32 v5, 16, v5
	v_lshl_or_b32 v26, v26, 23, v5
.LBB261_592:                            ;   in Loop: Header=BB261_13 Depth=1
	s_or_b64 exec, exec, s[44:45]
.LBB261_593:                            ;   in Loop: Header=BB261_13 Depth=1
	s_or_b64 exec, exec, s[42:43]
.LBB261_594:                            ;   in Loop: Header=BB261_13 Depth=1
	s_or_b64 exec, exec, s[40:41]
	v_or_b32_e32 v5, v8, v9
	v_fma_mixlo_f16 v5, v29, v5, 0 op_sel_hi:[0,1,0]
	buffer_store_dword v5, off, s[56:59], 0 offset:216 ; 4-byte Folded Spill
	v_or_b32_e32 v5, v37, v25
	v_fma_mixlo_f16 v5, v29, v5, 0 op_sel_hi:[0,1,0]
	buffer_store_dword v5, off, s[56:59], 0 offset:208 ; 4-byte Folded Spill
	v_fma_mixlo_f16 v5, v29, v37, 0 op_sel:[0,1,0] op_sel_hi:[0,1,0]
	buffer_store_dword v5, off, s[56:59], 0 offset:204 ; 4-byte Folded Spill
	v_or_b32_e32 v5, v31, v47
	v_fma_mixlo_f16 v5, v29, v5, 0 op_sel_hi:[0,1,0]
	buffer_store_dword v5, off, s[56:59], 0 offset:232 ; 4-byte Folded Spill
	v_or_b32_e32 v5, v46, v22
	v_fma_mixlo_f16 v5, v29, v5, 0 op_sel_hi:[0,1,0]
	buffer_store_dword v5, off, s[56:59], 0 offset:224 ; 4-byte Folded Spill
	v_fma_mixlo_f16 v5, v29, v46, 0 op_sel:[0,1,0] op_sel_hi:[0,1,0]
	buffer_store_dword v5, off, s[56:59], 0 offset:220 ; 4-byte Folded Spill
	;; [unrolled: 8-line block ×6, first 2 shown]
	v_or_b32_e32 v5, v1, v43
	v_fma_mixlo_f16 v1, v29, v1, 0 op_sel:[0,1,0] op_sel_hi:[0,1,0]
	buffer_store_dword v1, off, s[56:59], 0 offset:308 ; 4-byte Folded Spill
	v_fma_mixlo_f16 v1, v29, v5, 0 op_sel_hi:[0,1,0]
	buffer_store_dword v1, off, s[56:59], 0 offset:312 ; 4-byte Folded Spill
	v_or_b32_e32 v1, v32, v15
	v_fma_mixlo_f16 v1, v29, v1, 0 op_sel_hi:[0,1,0]
	buffer_store_dword v1, off, s[56:59], 0 offset:304 ; 4-byte Folded Spill
	v_fma_mixlo_f16 v1, v29, v32, 0 op_sel:[0,1,0] op_sel_hi:[0,1,0]
	buffer_store_dword v1, off, s[56:59], 0 offset:300 ; 4-byte Folded Spill
	v_or_b32_e32 v1, v11, v21
	v_fma_mixlo_f16 v1, v29, v1, 0 op_sel_hi:[0,1,0]
	buffer_store_dword v1, off, s[56:59], 0 offset:328 ; 4-byte Folded Spill
	v_or_b32_e32 v1, v61, v16
	v_fma_mixlo_f16 v1, v29, v1, 0 op_sel_hi:[0,1,0]
	buffer_store_dword v1, off, s[56:59], 0 offset:320 ; 4-byte Folded Spill
	v_fma_mixlo_f16 v1, v29, v61, 0 op_sel:[0,1,0] op_sel_hi:[0,1,0]
	buffer_store_dword v1, off, s[56:59], 0 offset:316 ; 4-byte Folded Spill
	v_or_b32_e32 v1, v48, v53
	;; [unrolled: 8-line block ×3, first 2 shown]
	v_fma_mixlo_f16 v1, v29, v1, 0 op_sel_hi:[0,1,0]
	buffer_store_dword v1, off, s[56:59], 0 offset:360 ; 4-byte Folded Spill
	v_or_b32_e32 v1, v36, v33
	v_fma_mixlo_f16 v1, v29, v1, 0 op_sel_hi:[0,1,0]
	buffer_store_dword v1, off, s[56:59], 0 offset:352 ; 4-byte Folded Spill
	v_fma_mixlo_f16 v1, v29, v36, 0 op_sel:[0,1,0] op_sel_hi:[0,1,0]
	buffer_store_dword v1, off, s[56:59], 0 offset:348 ; 4-byte Folded Spill
	buffer_load_dword v1, off, s[56:59], 0 offset:192 ; 4-byte Folded Reload
	v_fma_mixlo_f16 v7, v29, v8, 0 op_sel:[0,1,0] op_sel_hi:[0,1,0]
	buffer_store_dword v7, off, s[56:59], 0 offset:212 ; 4-byte Folded Spill
	v_fma_mixlo_f16 v7, v29, v31, 0 op_sel:[0,1,0] op_sel_hi:[0,1,0]
	buffer_store_dword v7, off, s[56:59], 0 offset:228 ; 4-byte Folded Spill
	;; [unrolled: 2-line block ×4, first 2 shown]
	v_fma_mixlo_f16 v7, v29, v14, 0 op_sel:[0,1,0] op_sel_hi:[0,1,0]
	v_fma_mixlo_f16 v5, v29, v11, 0 op_sel:[0,1,0] op_sel_hi:[0,1,0]
	buffer_store_dword v5, off, s[56:59], 0 offset:324 ; 4-byte Folded Spill
	v_fma_mixlo_f16 v5, v29, v48, 0 op_sel:[0,1,0] op_sel_hi:[0,1,0]
	buffer_store_dword v7, off, s[56:59], 0 offset:276 ; 4-byte Folded Spill
	;; [unrolled: 2-line block ×4, first 2 shown]
	buffer_store_dword v5, off, s[56:59], 0 offset:356 ; 4-byte Folded Spill
	v_fma_mixlo_f16 v32, v29, v0, 0 op_sel:[0,1,0] op_sel_hi:[0,1,0]
	v_fma_mixlo_f16 v59, v29, v55, 0 op_sel:[0,1,0] op_sel_hi:[0,1,0]
	;; [unrolled: 1-line block ×5, first 2 shown]
	s_waitcnt vmcnt(9)
	v_or_b32_e32 v1, v2, v1
	v_fma_mixlo_f16 v61, v29, v1, 0 op_sel_hi:[0,1,0]
	buffer_load_dword v1, off, s[56:59], 0 offset:196 ; 4-byte Folded Reload
	v_fma_mixlo_f16 v2, v29, v2, 0 op_sel:[0,1,0] op_sel_hi:[0,1,0]
	buffer_store_dword v2, off, s[56:59], 0 offset:364 ; 4-byte Folded Spill
	s_waitcnt vmcnt(1)
	v_or_b32_e32 v1, v24, v1
	v_fma_mixlo_f16 v1, v29, v1, 0 op_sel_hi:[0,1,0]
	buffer_store_dword v1, off, s[56:59], 0 offset:196 ; 4-byte Folded Spill
	v_fma_mixlo_f16 v1, v29, v24, 0 op_sel:[0,1,0] op_sel_hi:[0,1,0]
	buffer_store_dword v1, off, s[56:59], 0 offset:192 ; 4-byte Folded Spill
	buffer_load_dword v1, off, s[56:59], 0 offset:184 ; 4-byte Folded Reload
	s_waitcnt vmcnt(0)
	v_or_b32_e32 v1, v20, v1
	v_fma_mixlo_f16 v34, v29, v1, 0 op_sel_hi:[0,1,0]
	buffer_load_dword v1, off, s[56:59], 0 offset:188 ; 4-byte Folded Reload
	s_waitcnt vmcnt(0)
	v_or_b32_e32 v1, v55, v1
	v_fma_mixlo_f16 v51, v29, v1, 0 op_sel_hi:[0,1,0]
	;; [unrolled: 4-line block ×4, first 2 shown]
	buffer_load_dword v1, off, s[56:59], 0 offset:160 ; 4-byte Folded Reload
	buffer_load_dword v0, off, s[56:59], 0 offset:164 ; 4-byte Folded Reload
	s_waitcnt vmcnt(1)
	v_fma_mixlo_f16 v40, v29, v1, 0 op_sel:[0,1,0] op_sel_hi:[0,1,0]
	s_waitcnt vmcnt(0)
	v_or_b32_e32 v0, v1, v0
	v_fma_mixlo_f16 v50, v29, v0, 0 op_sel_hi:[0,1,0]
	buffer_load_dword v1, off, s[56:59], 0 offset:168 ; 4-byte Folded Reload
	buffer_load_dword v0, off, s[56:59], 0 offset:172 ; 4-byte Folded Reload
	s_waitcnt vmcnt(1)
	v_fma_mixlo_f16 v11, v29, v1, 0 op_sel:[0,1,0] op_sel_hi:[0,1,0]
	s_waitcnt vmcnt(0)
	v_or_b32_e32 v0, v1, v0
	v_fma_mixlo_f16 v9, v29, v0, 0 op_sel_hi:[0,1,0]
	;; [unrolled: 7-line block ×4, first 2 shown]
	buffer_load_dword v1, off, s[56:59], 0 offset:128 ; 4-byte Folded Reload
	buffer_load_dword v0, off, s[56:59], 0 offset:132 ; 4-byte Folded Reload
	s_waitcnt vmcnt(0)
	v_or_b32_e32 v0, v1, v0
	v_fma_mixlo_f16 v12, v29, v0, 0 op_sel_hi:[0,1,0]
	buffer_load_dword v2, off, s[56:59], 0 offset:136 ; 4-byte Folded Reload
	buffer_load_dword v0, off, s[56:59], 0 offset:140 ; 4-byte Folded Reload
	v_fma_mixlo_f16 v1, v29, v1, 0 op_sel:[0,1,0] op_sel_hi:[0,1,0]
	v_and_b32_e32 v1, 0xffff, v1
	s_waitcnt vmcnt(1)
	v_fma_mixlo_f16 v7, v29, v2, 0 op_sel:[0,1,0] op_sel_hi:[0,1,0]
	s_waitcnt vmcnt(0)
	v_or_b32_e32 v0, v2, v0
	v_fma_mixlo_f16 v5, v29, v0, 0 op_sel_hi:[0,1,0]
	buffer_load_dword v2, off, s[56:59], 0 offset:112 ; 4-byte Folded Reload
	buffer_load_dword v0, off, s[56:59], 0 offset:116 ; 4-byte Folded Reload
	s_waitcnt vmcnt(1)
	v_fma_mixlo_f16 v54, v29, v2, 0 op_sel:[0,1,0] op_sel_hi:[0,1,0]
	s_waitcnt vmcnt(0)
	v_or_b32_e32 v0, v2, v0
	v_fma_mixlo_f16 v56, v29, v0, 0 op_sel_hi:[0,1,0]
	buffer_load_dword v2, off, s[56:59], 0 offset:120 ; 4-byte Folded Reload
	buffer_load_dword v0, off, s[56:59], 0 offset:124 ; 4-byte Folded Reload
	;; [unrolled: 7-line block ×3, first 2 shown]
	s_waitcnt vmcnt(0)
	v_or_b32_e32 v2, v0, v2
	v_fma_mixlo_f16 v25, v29, v2, 0 op_sel_hi:[0,1,0]
	buffer_load_dword v13, off, s[56:59], 0 offset:104 ; 4-byte Folded Reload
	buffer_load_dword v2, off, s[56:59], 0 offset:108 ; 4-byte Folded Reload
	v_fma_mixlo_f16 v0, v29, v0, 0 op_sel:[0,1,0] op_sel_hi:[0,1,0]
	v_and_b32_e32 v0, 0xffff, v0
	s_waitcnt vmcnt(0)
	v_or_b32_e32 v2, v13, v2
	v_fma_mixlo_f16 v45, v29, v2, 0 op_sel_hi:[0,1,0]
	buffer_load_dword v15, off, s[56:59], 0 offset:80 ; 4-byte Folded Reload
	buffer_load_dword v2, off, s[56:59], 0 offset:84 ; 4-byte Folded Reload
	v_fma_mixlo_f16 v13, v29, v13, 0 op_sel:[0,1,0] op_sel_hi:[0,1,0]
	v_and_b32_e32 v13, 0xffff, v13
	s_waitcnt vmcnt(1)
	v_fma_mixlo_f16 v33, v29, v15, 0 op_sel:[0,1,0] op_sel_hi:[0,1,0]
	s_waitcnt vmcnt(0)
	v_or_b32_e32 v2, v15, v2
	v_fma_mixlo_f16 v53, v29, v2, 0 op_sel_hi:[0,1,0]
	buffer_load_dword v15, off, s[56:59], 0 offset:88 ; 4-byte Folded Reload
	buffer_load_dword v2, off, s[56:59], 0 offset:92 ; 4-byte Folded Reload
	s_waitcnt vmcnt(1)
	v_fma_mixlo_f16 v60, v29, v15, 0 op_sel:[0,1,0] op_sel_hi:[0,1,0]
	s_waitcnt vmcnt(0)
	v_or_b32_e32 v2, v15, v2
	v_fma_mixlo_f16 v37, v29, v2, 0 op_sel_hi:[0,1,0]
	buffer_load_dword v15, off, s[56:59], 0 offset:64 ; 4-byte Folded Reload
	buffer_load_dword v2, off, s[56:59], 0 offset:68 ; 4-byte Folded Reload
	;; [unrolled: 7-line block ×5, first 2 shown]
	v_and_b32_e32 v16, 0xffff, v16
	s_waitcnt vmcnt(1)
	v_fma_mixlo_f16 v27, v29, v15, 0 op_sel:[0,1,0] op_sel_hi:[0,1,0]
	s_waitcnt vmcnt(0)
	v_or_b32_e32 v2, v15, v2
	buffer_load_dword v15, off, s[56:59], 0 offset:32 ; 4-byte Folded Reload
	buffer_load_dword v20, off, s[56:59], 0 offset:36 ; 4-byte Folded Reload
	v_fma_mixlo_f16 v2, v29, v2, 0 op_sel_hi:[0,1,0]
	v_and_b32_e32 v2, 0xffff, v2
	s_waitcnt vmcnt(0)
	v_or_b32_e32 v21, v15, v20
	v_fma_mixlo_f16 v20, v29, v15, 0 op_sel:[0,1,0] op_sel_hi:[0,1,0]
	buffer_load_dword v15, off, s[56:59], 0 offset:40 ; 4-byte Folded Reload
	buffer_load_dword v22, off, s[56:59], 0 offset:44 ; 4-byte Folded Reload
	v_fma_mixlo_f16 v21, v29, v21, 0 op_sel_hi:[0,1,0]
	v_and_b32_e32 v21, 0xffff, v21
	v_and_b32_e32 v20, 0xffff, v20
	s_waitcnt vmcnt(0)
	v_or_b32_e32 v22, v15, v22
	v_fma_mixlo_f16 v24, v29, v22, 0 op_sel_hi:[0,1,0]
	v_fma_mixlo_f16 v22, v29, v15, 0 op_sel:[0,1,0] op_sel_hi:[0,1,0]
	buffer_load_dword v15, off, s[56:59], 0 offset:16 ; 4-byte Folded Reload
	v_and_b32_e32 v24, 0xffff, v24
	v_and_b32_e32 v22, 0xffff, v22
	s_waitcnt vmcnt(0)
	v_or_b32_e32 v28, v63, v15
	v_fma_mixlo_f16 v43, v29, v28, 0 op_sel_hi:[0,1,0]
	buffer_load_dword v15, off, s[56:59], 0 offset:20 ; 4-byte Folded Reload
	buffer_load_dword v28, off, s[56:59], 0 offset:24 ; 4-byte Folded Reload
	s_waitcnt vmcnt(1)
	v_fma_mixlo_f16 v63, v29, v15, 0 op_sel:[0,1,0] op_sel_hi:[0,1,0]
	s_waitcnt vmcnt(0)
	v_or_b32_e32 v28, v15, v28
	v_fma_mixlo_f16 v39, v29, v28, 0 op_sel_hi:[0,1,0]
	v_or_b32_e32 v28, v10, v49
	v_fma_mixlo_f16 v10, v29, v10, 0 op_sel:[0,1,0] op_sel_hi:[0,1,0]
	buffer_store_dword v10, off, s[56:59], 0 offset:20 ; 4-byte Folded Spill
	v_fma_mixlo_f16 v10, v29, v28, 0 op_sel_hi:[0,1,0]
	buffer_store_dword v10, off, s[56:59], 0 offset:24 ; 4-byte Folded Spill
	v_or_b32_e32 v10, v26, v58
	v_fma_mixlo_f16 v10, v29, v10, 0 op_sel_hi:[0,1,0]
	v_fma_mixlo_f16 v58, v29, v26, 0 op_sel:[0,1,0] op_sel_hi:[0,1,0]
	ds_read_b64 v[28:29], v19
	buffer_store_dword v10, off, s[56:59], 0 offset:16 ; 4-byte Folded Spill
	s_waitcnt lgkmcnt(0)
	v_and_b32_e32 v15, 0xffff, v28
	v_lshrrev_b32_e32 v10, 16, v28
	;;#ASMSTART
	v_cvt_f32_f16 v49, v15;
	;;#ASMEND
	v_and_b32_e32 v15, 0xffff, v43
	;;#ASMSTART
	v_cvt_f32_f16 v10, v10;
	;;#ASMEND
	;;#ASMSTART
	v_cvt_f32_f16 v43, v15;
	;;#ASMEND
	v_and_b32_e32 v15, 0xffff, v62
	v_and_b32_e32 v28, 0xffff, v29
	;;#ASMSTART
	v_cvt_f32_f16 v26, v15;
	;;#ASMEND
	v_lshrrev_b32_e32 v15, 16, v29
	;;#ASMSTART
	v_cvt_f32_f16 v62, v28;
	;;#ASMEND
	v_and_b32_e32 v28, 0xffff, v39
	;;#ASMSTART
	v_cvt_f32_f16 v15, v15;
	;;#ASMEND
	;;#ASMSTART
	v_cvt_f32_f16 v39, v28;
	;;#ASMEND
	v_and_b32_e32 v28, 0xffff, v63
	;;#ASMSTART
	v_cvt_f32_f16 v63, v28;
	;;#ASMEND
	ds_read_b64 v[28:29], v19 offset:8
	s_waitcnt lgkmcnt(0)
	v_lshrrev_b32_e32 v36, 16, v28
	v_and_b32_e32 v28, 0xffff, v28
	;;#ASMSTART
	v_cvt_f32_f16 v28, v28;
	;;#ASMEND
	;;#ASMSTART
	v_cvt_f32_f16 v48, v36;
	;;#ASMEND
	;; [unrolled: 3-line block ×4, first 2 shown]
	v_mul_f32_e32 v20, v28, v21
	v_mul_f32_e32 v21, v48, v36
	v_fmac_f32_e32 v21, v10, v26
	v_lshrrev_b32_e32 v26, 16, v29
	v_and_b32_e32 v10, 0xffff, v29
	;;#ASMSTART
	v_cvt_f32_f16 v10, v10;
	;;#ASMEND
	;;#ASMSTART
	v_cvt_f32_f16 v26, v26;
	;;#ASMEND
	;;#ASMSTART
	v_cvt_f32_f16 v24, v24;
	;;#ASMEND
	;;#ASMSTART
	v_cvt_f32_f16 v28, v22;
	;;#ASMEND
	v_mul_f32_e32 v22, v10, v24
	v_mul_f32_e32 v24, v26, v28
	ds_read_b64 v[28:29], v19 offset:16
	v_fmac_f32_e32 v24, v15, v63
	v_fmac_f32_e32 v20, v49, v43
	v_and_b32_e32 v26, 0xffff, v35
	v_fmac_f32_e32 v22, v62, v39
	s_waitcnt lgkmcnt(0)
	v_lshrrev_b32_e32 v15, 16, v28
	v_and_b32_e32 v10, 0xffff, v28
	;;#ASMSTART
	v_cvt_f32_f16 v10, v10;
	;;#ASMEND
	;;#ASMSTART
	v_cvt_f32_f16 v15, v15;
	;;#ASMEND
	;; [unrolled: 3-line block ×4, first 2 shown]
	v_fmac_f32_e32 v20, v10, v16
	v_fmac_f32_e32 v21, v15, v26
	v_lshrrev_b32_e32 v15, 16, v29
	v_and_b32_e32 v10, 0xffff, v29
	v_and_b32_e32 v16, 0xffff, v27
	;;#ASMSTART
	v_cvt_f32_f16 v10, v10;
	;;#ASMEND
	;;#ASMSTART
	v_cvt_f32_f16 v15, v15;
	;;#ASMEND
	;; [unrolled: 3-line block ×4, first 2 shown]
	ds_read_b64 v[26:27], v19 offset:24
	v_fmac_f32_e32 v22, v10, v2
	v_fmac_f32_e32 v24, v15, v16
	v_and_b32_e32 v15, 0xffff, v31
	v_and_b32_e32 v16, 0xffff, v55
	s_waitcnt lgkmcnt(0)
	v_lshrrev_b32_e32 v10, 16, v26
	v_and_b32_e32 v2, 0xffff, v26
	;;#ASMSTART
	v_cvt_f32_f16 v2, v2;
	;;#ASMEND
	;;#ASMSTART
	v_cvt_f32_f16 v10, v10;
	;;#ASMEND
	;; [unrolled: 3-line block ×4, first 2 shown]
	v_fmac_f32_e32 v20, v2, v15
	v_fmac_f32_e32 v21, v10, v16
	v_lshrrev_b32_e32 v10, 16, v27
	v_and_b32_e32 v2, 0xffff, v27
	v_and_b32_e32 v15, 0xffff, v41
	;; [unrolled: 1-line block ×3, first 2 shown]
	;;#ASMSTART
	v_cvt_f32_f16 v2, v2;
	;;#ASMEND
	;;#ASMSTART
	v_cvt_f32_f16 v10, v10;
	;;#ASMEND
	;; [unrolled: 3-line block ×4, first 2 shown]
	ds_read_b64 v[26:27], v19 offset:32
	v_fmac_f32_e32 v22, v2, v15
	v_fmac_f32_e32 v24, v10, v16
	v_and_b32_e32 v15, 0xffff, v53
	v_and_b32_e32 v16, 0xffff, v33
	s_waitcnt lgkmcnt(0)
	v_lshrrev_b32_e32 v10, 16, v26
	v_and_b32_e32 v2, 0xffff, v26
	;;#ASMSTART
	v_cvt_f32_f16 v2, v2;
	;;#ASMEND
	;;#ASMSTART
	v_cvt_f32_f16 v10, v10;
	;;#ASMEND
	;; [unrolled: 3-line block ×4, first 2 shown]
	v_fmac_f32_e32 v20, v2, v15
	v_fmac_f32_e32 v21, v10, v16
	v_lshrrev_b32_e32 v10, 16, v27
	v_and_b32_e32 v2, 0xffff, v27
	v_and_b32_e32 v15, 0xffff, v37
	;; [unrolled: 1-line block ×3, first 2 shown]
	;;#ASMSTART
	v_cvt_f32_f16 v2, v2;
	;;#ASMEND
	;;#ASMSTART
	v_cvt_f32_f16 v10, v10;
	;;#ASMEND
	;; [unrolled: 3-line block ×4, first 2 shown]
	ds_read_b64 v[26:27], v19 offset:40
	v_fmac_f32_e32 v22, v2, v15
	v_fmac_f32_e32 v24, v10, v16
	v_and_b32_e32 v15, 0xffff, v25
	s_waitcnt lgkmcnt(0)
	v_lshrrev_b32_e32 v10, 16, v26
	v_and_b32_e32 v2, 0xffff, v26
	;;#ASMSTART
	v_cvt_f32_f16 v2, v2;
	;;#ASMEND
	;;#ASMSTART
	v_cvt_f32_f16 v10, v10;
	;;#ASMEND
	;; [unrolled: 3-line block ×4, first 2 shown]
	v_fmac_f32_e32 v20, v2, v15
	v_fmac_f32_e32 v21, v10, v0
	v_lshrrev_b32_e32 v2, 16, v27
	v_and_b32_e32 v0, 0xffff, v27
	v_and_b32_e32 v10, 0xffff, v45
	;;#ASMSTART
	v_cvt_f32_f16 v0, v0;
	;;#ASMEND
	;;#ASMSTART
	v_cvt_f32_f16 v2, v2;
	;;#ASMEND
	;; [unrolled: 3-line block ×4, first 2 shown]
	ds_read_b64 v[25:26], v19 offset:48
	v_fmac_f32_e32 v22, v0, v10
	v_fmac_f32_e32 v24, v2, v13
	v_and_b32_e32 v10, 0xffff, v56
	v_and_b32_e32 v13, 0xffff, v54
	s_waitcnt lgkmcnt(0)
	v_lshrrev_b32_e32 v2, 16, v25
	v_and_b32_e32 v0, 0xffff, v25
	;;#ASMSTART
	v_cvt_f32_f16 v0, v0;
	;;#ASMEND
	;;#ASMSTART
	v_cvt_f32_f16 v2, v2;
	;;#ASMEND
	;;#ASMSTART
	v_cvt_f32_f16 v10, v10;
	;;#ASMEND
	;;#ASMSTART
	v_cvt_f32_f16 v13, v13;
	;;#ASMEND
	v_fmac_f32_e32 v20, v0, v10
	v_fmac_f32_e32 v21, v2, v13
	v_lshrrev_b32_e32 v2, 16, v26
	v_and_b32_e32 v0, 0xffff, v26
	v_and_b32_e32 v10, 0xffff, v57
	;; [unrolled: 1-line block ×3, first 2 shown]
	;;#ASMSTART
	v_cvt_f32_f16 v0, v0;
	;;#ASMEND
	;;#ASMSTART
	v_cvt_f32_f16 v2, v2;
	;;#ASMEND
	;; [unrolled: 3-line block ×4, first 2 shown]
	ds_read_b64 v[25:26], v19 offset:56
	v_fmac_f32_e32 v22, v0, v10
	v_fmac_f32_e32 v24, v2, v13
	v_and_b32_e32 v10, 0xffff, v12
	s_waitcnt lgkmcnt(0)
	v_lshrrev_b32_e32 v2, 16, v25
	v_and_b32_e32 v0, 0xffff, v25
	;;#ASMSTART
	v_cvt_f32_f16 v0, v0;
	;;#ASMEND
	;;#ASMSTART
	v_cvt_f32_f16 v2, v2;
	;;#ASMEND
	;;#ASMSTART
	v_cvt_f32_f16 v10, v10;
	;;#ASMEND
	;;#ASMSTART
	v_cvt_f32_f16 v1, v1;
	;;#ASMEND
	v_fmac_f32_e32 v20, v0, v10
	v_fmac_f32_e32 v21, v2, v1
	v_lshrrev_b32_e32 v1, 16, v26
	v_and_b32_e32 v0, 0xffff, v26
	;;#ASMSTART
	v_cvt_f32_f16 v0, v0;
	;;#ASMEND
	;;#ASMSTART
	v_cvt_f32_f16 v1, v1;
	;;#ASMEND
	v_and_b32_e32 v2, 0xffff, v5
	v_and_b32_e32 v5, 0xffff, v7
	;;#ASMSTART
	v_cvt_f32_f16 v2, v2;
	;;#ASMEND
	;;#ASMSTART
	v_cvt_f32_f16 v5, v5;
	;;#ASMEND
	v_fmac_f32_e32 v22, v0, v2
	v_fmac_f32_e32 v24, v1, v5
	ds_read_b64 v[0:1], v19 offset:64
	v_and_b32_e32 v5, 0xffff, v30
	v_and_b32_e32 v7, 0xffff, v47
	s_waitcnt lgkmcnt(0)
	v_lshrrev_b32_e32 v2, 16, v0
	v_and_b32_e32 v0, 0xffff, v0
	;;#ASMSTART
	v_cvt_f32_f16 v0, v0;
	;;#ASMEND
	;;#ASMSTART
	v_cvt_f32_f16 v2, v2;
	;;#ASMEND
	;;#ASMSTART
	v_cvt_f32_f16 v5, v5;
	;;#ASMEND
	;;#ASMSTART
	v_cvt_f32_f16 v7, v7;
	;;#ASMEND
	v_fmac_f32_e32 v20, v0, v5
	v_fmac_f32_e32 v21, v2, v7
	v_lshrrev_b32_e32 v2, 16, v1
	v_and_b32_e32 v0, 0xffff, v1
	;;#ASMSTART
	v_cvt_f32_f16 v0, v0;
	;;#ASMEND
	;;#ASMSTART
	v_cvt_f32_f16 v1, v2;
	;;#ASMEND
	v_and_b32_e32 v2, 0xffff, v44
	v_and_b32_e32 v5, 0xffff, v8
	;;#ASMSTART
	v_cvt_f32_f16 v2, v2;
	;;#ASMEND
	;;#ASMSTART
	v_cvt_f32_f16 v5, v5;
	;;#ASMEND
	v_fmac_f32_e32 v22, v0, v2
	v_fmac_f32_e32 v24, v1, v5
	ds_read_b64 v[0:1], v19 offset:72
	v_and_b32_e32 v5, 0xffff, v50
	v_and_b32_e32 v7, 0xffff, v40
	s_waitcnt lgkmcnt(0)
	v_lshrrev_b32_e32 v2, 16, v0
	v_and_b32_e32 v0, 0xffff, v0
	;;#ASMSTART
	v_cvt_f32_f16 v0, v0;
	;;#ASMEND
	;;#ASMSTART
	v_cvt_f32_f16 v2, v2;
	;;#ASMEND
	;;#ASMSTART
	v_cvt_f32_f16 v5, v5;
	;;#ASMEND
	;;#ASMSTART
	v_cvt_f32_f16 v7, v7;
	;;#ASMEND
	v_fmac_f32_e32 v20, v0, v5
	v_fmac_f32_e32 v21, v2, v7
	v_lshrrev_b32_e32 v2, 16, v1
	v_and_b32_e32 v0, 0xffff, v1
	;;#ASMSTART
	v_cvt_f32_f16 v0, v0;
	;;#ASMEND
	;;#ASMSTART
	v_cvt_f32_f16 v1, v2;
	;;#ASMEND
	v_and_b32_e32 v2, 0xffff, v9
	v_and_b32_e32 v5, 0xffff, v11
	;;#ASMSTART
	v_cvt_f32_f16 v2, v2;
	;;#ASMEND
	;;#ASMSTART
	v_cvt_f32_f16 v5, v5;
	;;#ASMEND
	v_fmac_f32_e32 v22, v0, v2
	v_fmac_f32_e32 v24, v1, v5
	ds_read_b64 v[0:1], v19 offset:80
	v_and_b32_e32 v5, 0xffff, v14
	v_and_b32_e32 v7, 0xffff, v17
	s_waitcnt lgkmcnt(0)
	v_lshrrev_b32_e32 v2, 16, v0
	v_and_b32_e32 v0, 0xffff, v0
	;;#ASMSTART
	v_cvt_f32_f16 v0, v0;
	;;#ASMEND
	;;#ASMSTART
	v_cvt_f32_f16 v2, v2;
	;;#ASMEND
	;; [unrolled: 3-line block ×4, first 2 shown]
	v_fmac_f32_e32 v20, v0, v5
	v_fmac_f32_e32 v21, v2, v7
	v_lshrrev_b32_e32 v2, 16, v1
	v_and_b32_e32 v0, 0xffff, v1
	;;#ASMSTART
	v_cvt_f32_f16 v0, v0;
	;;#ASMEND
	;;#ASMSTART
	v_cvt_f32_f16 v1, v2;
	;;#ASMEND
	v_and_b32_e32 v2, 0xffff, v18
	v_and_b32_e32 v5, 0xffff, v32
	;;#ASMSTART
	v_cvt_f32_f16 v2, v2;
	;;#ASMEND
	;;#ASMSTART
	v_cvt_f32_f16 v5, v5;
	;;#ASMEND
	ds_read_b64 v[7:8], v19 offset:88
	v_fmac_f32_e32 v24, v1, v5
	v_fmac_f32_e32 v22, v0, v2
	s_waitcnt lgkmcnt(0)
	v_and_b32_e32 v1, 0xffff, v7
	v_lshrrev_b32_e32 v0, 16, v7
	;;#ASMSTART
	v_cvt_f32_f16 v2, v1;
	;;#ASMEND
	v_and_b32_e32 v1, 0xffff, v34
	;;#ASMSTART
	v_cvt_f32_f16 v0, v0;
	;;#ASMEND
	;;#ASMSTART
	v_cvt_f32_f16 v5, v1;
	;;#ASMEND
	v_and_b32_e32 v1, 0xffff, v42
	;;#ASMSTART
	v_cvt_f32_f16 v1, v1;
	;;#ASMEND
	v_fmac_f32_e32 v21, v0, v1
	v_lshrrev_b32_e32 v1, 16, v8
	v_and_b32_e32 v0, 0xffff, v8
	v_fmac_f32_e32 v20, v2, v5
	;;#ASMSTART
	v_cvt_f32_f16 v0, v0;
	;;#ASMEND
	;;#ASMSTART
	v_cvt_f32_f16 v1, v1;
	;;#ASMEND
	v_and_b32_e32 v2, 0xffff, v51
	v_and_b32_e32 v5, 0xffff, v59
	;;#ASMSTART
	v_cvt_f32_f16 v2, v2;
	;;#ASMEND
	;;#ASMSTART
	v_cvt_f32_f16 v5, v5;
	;;#ASMEND
	v_fmac_f32_e32 v22, v0, v2
	v_fmac_f32_e32 v24, v1, v5
	ds_read_b64 v[0:1], v19 offset:96
	v_and_b32_e32 v5, 0xffff, v61
	s_waitcnt lgkmcnt(0)
	v_lshrrev_b32_e32 v2, 16, v0
	v_and_b32_e32 v0, 0xffff, v0
	;;#ASMSTART
	v_cvt_f32_f16 v0, v0;
	;;#ASMEND
	;;#ASMSTART
	v_cvt_f32_f16 v2, v2;
	;;#ASMEND
	;; [unrolled: 3-line block ×3, first 2 shown]
	buffer_load_dword v7, off, s[56:59], 0 offset:364 ; 4-byte Folded Reload
	v_fmac_f32_e32 v20, v0, v5
	v_and_b32_e32 v0, 0xffff, v1
	s_waitcnt vmcnt(0)
	v_and_b32_e32 v7, 0xffff, v7
	;;#ASMSTART
	v_cvt_f32_f16 v7, v7;
	;;#ASMEND
	v_fmac_f32_e32 v21, v2, v7
	v_lshrrev_b32_e32 v2, 16, v1
	;;#ASMSTART
	v_cvt_f32_f16 v0, v0;
	;;#ASMEND
	;;#ASMSTART
	v_cvt_f32_f16 v1, v2;
	;;#ASMEND
	buffer_load_dword v2, off, s[56:59], 0 offset:196 ; 4-byte Folded Reload
	s_waitcnt vmcnt(0)
	v_and_b32_e32 v2, 0xffff, v2
	;;#ASMSTART
	v_cvt_f32_f16 v2, v2;
	;;#ASMEND
	buffer_load_dword v5, off, s[56:59], 0 offset:192 ; 4-byte Folded Reload
	v_fmac_f32_e32 v22, v0, v2
	s_waitcnt vmcnt(0)
	v_and_b32_e32 v5, 0xffff, v5
	;;#ASMSTART
	v_cvt_f32_f16 v5, v5;
	;;#ASMEND
	v_fmac_f32_e32 v24, v1, v5
	ds_read_b64 v[0:1], v19 offset:104
	s_waitcnt lgkmcnt(0)
	v_lshrrev_b32_e32 v2, 16, v0
	v_and_b32_e32 v0, 0xffff, v0
	;;#ASMSTART
	v_cvt_f32_f16 v0, v0;
	;;#ASMEND
	;;#ASMSTART
	v_cvt_f32_f16 v2, v2;
	;;#ASMEND
	buffer_load_dword v5, off, s[56:59], 0 offset:360 ; 4-byte Folded Reload
	s_waitcnt vmcnt(0)
	v_and_b32_e32 v5, 0xffff, v5
	;;#ASMSTART
	v_cvt_f32_f16 v5, v5;
	;;#ASMEND
	buffer_load_dword v7, off, s[56:59], 0 offset:356 ; 4-byte Folded Reload
	v_fmac_f32_e32 v20, v0, v5
	v_and_b32_e32 v0, 0xffff, v1
	s_waitcnt vmcnt(0)
	v_and_b32_e32 v7, 0xffff, v7
	;;#ASMSTART
	v_cvt_f32_f16 v7, v7;
	;;#ASMEND
	v_fmac_f32_e32 v21, v2, v7
	v_lshrrev_b32_e32 v2, 16, v1
	;;#ASMSTART
	v_cvt_f32_f16 v0, v0;
	;;#ASMEND
	;;#ASMSTART
	v_cvt_f32_f16 v1, v2;
	;;#ASMEND
	buffer_load_dword v2, off, s[56:59], 0 offset:352 ; 4-byte Folded Reload
	s_waitcnt vmcnt(0)
	v_and_b32_e32 v2, 0xffff, v2
	;;#ASMSTART
	v_cvt_f32_f16 v2, v2;
	;;#ASMEND
	buffer_load_dword v5, off, s[56:59], 0 offset:348 ; 4-byte Folded Reload
	v_fmac_f32_e32 v22, v0, v2
	s_waitcnt vmcnt(0)
	v_and_b32_e32 v5, 0xffff, v5
	;;#ASMSTART
	v_cvt_f32_f16 v5, v5;
	;;#ASMEND
	v_fmac_f32_e32 v24, v1, v5
	ds_read_b64 v[0:1], v19 offset:112
	s_waitcnt lgkmcnt(0)
	v_lshrrev_b32_e32 v2, 16, v0
	v_and_b32_e32 v0, 0xffff, v0
	;;#ASMSTART
	v_cvt_f32_f16 v0, v0;
	;;#ASMEND
	;;#ASMSTART
	v_cvt_f32_f16 v2, v2;
	;;#ASMEND
	buffer_load_dword v5, off, s[56:59], 0 offset:344 ; 4-byte Folded Reload
	s_waitcnt vmcnt(0)
	v_and_b32_e32 v5, 0xffff, v5
	;;#ASMSTART
	v_cvt_f32_f16 v5, v5;
	;;#ASMEND
	;; [unrolled: 46-line block ×11, first 2 shown]
	buffer_load_dword v7, off, s[56:59], 0 offset:20 ; 4-byte Folded Reload
	v_fmac_f32_e32 v20, v0, v5
	v_and_b32_e32 v0, 0xffff, v1
	v_and_b32_e32 v5, 0xffff, v58
	s_waitcnt vmcnt(0)
	v_and_b32_e32 v7, 0xffff, v7
	;;#ASMSTART
	v_cvt_f32_f16 v7, v7;
	;;#ASMEND
	v_fmac_f32_e32 v21, v2, v7
	v_lshrrev_b32_e32 v2, 16, v1
	;;#ASMSTART
	v_cvt_f32_f16 v0, v0;
	;;#ASMEND
	;;#ASMSTART
	v_cvt_f32_f16 v1, v2;
	;;#ASMEND
	buffer_load_dword v2, off, s[56:59], 0 offset:16 ; 4-byte Folded Reload
	s_waitcnt vmcnt(0)
	v_and_b32_e32 v2, 0xffff, v2
	;;#ASMSTART
	v_cvt_f32_f16 v2, v2;
	;;#ASMEND
	;;#ASMSTART
	v_cvt_f32_f16 v5, v5;
	;;#ASMEND
	v_fmac_f32_e32 v24, v1, v5
	buffer_load_dword v5, off, s[56:59], 0 offset:380 ; 4-byte Folded Reload
	v_fmac_f32_e32 v22, v0, v2
	v_add_f32_e32 v0, v20, v21
	v_add_f32_e32 v0, v0, v22
	;; [unrolled: 1-line block ×3, first 2 shown]
	s_waitcnt vmcnt(0)
	v_and_b32_e32 v2, 64, v5
	v_xor_b32_e32 v1, 1, v5
	v_add_u32_e32 v2, 64, v2
	v_cmp_lt_i32_e32 vcc, v1, v2
	v_cndmask_b32_e32 v1, v5, v1, vcc
	v_lshlrev_b32_e32 v1, 2, v1
	ds_bpermute_b32 v1, v1, v0
	s_and_saveexec_b64 s[40:41], s[2:3]
	s_cbranch_execz .LBB261_11
; %bb.595:                              ;   in Loop: Header=BB261_13 Depth=1
	buffer_load_dword v2, off, s[56:59], 0 offset:388 ; 4-byte Folded Reload
	buffer_load_dword v5, off, s[56:59], 0 offset:384 ; 4-byte Folded Reload
	s_waitcnt lgkmcnt(0)
	v_add_f32_e32 v0, v0, v1
	s_waitcnt vmcnt(1)
	v_add_u32_e32 v2, v2, v23
	v_cvt_f32_i32_e32 v2, v2
	v_mul_f32_e32 v1, s48, v2
	buffer_load_dword v2, off, s[56:59], 0 offset:8 ; 4-byte Folded Reload
	s_waitcnt vmcnt(1)
	v_add_u32_e32 v5, v5, v23
	v_cndmask_b32_e64 v1, 0, v1, s[4:5]
	v_fmac_f32_e32 v1, s37, v0
	v_cmp_gt_i32_e32 vcc, s33, v5
	v_cndmask_b32_e32 v0, 0, v1, vcc
	s_waitcnt vmcnt(0)
	ds_write_b32 v2, v0
	buffer_load_dword v2, off, s[56:59], 0 offset:368 ; 4-byte Folded Reload
	s_waitcnt vmcnt(0)
	v_max_f32_e32 v0, v2, v2
	v_max_f32_e32 v0, v0, v1
	v_cndmask_b32_e32 v2, v2, v0, vcc
	buffer_store_dword v2, off, s[56:59], 0 offset:368 ; 4-byte Folded Spill
	s_branch .LBB261_11
.LBB261_596:
	s_or_b64 exec, exec, s[38:39]
	buffer_load_dword v12, off, s[56:59], 0 offset:392 ; 4-byte Folded Reload
	buffer_load_dword v13, off, s[56:59], 0 offset:400 ; 4-byte Folded Reload
	;; [unrolled: 1-line block ×4, first 2 shown]
	v_mbcnt_lo_u32_b32 v5, -1, 0
.LBB261_597:
	s_or_b64 exec, exec, s[18:19]
	v_mbcnt_hi_u32_b32 v0, -1, v5
	v_and_b32_e32 v7, 64, v0
	v_add_u32_e32 v8, 64, v7
	s_waitcnt lgkmcnt(0)
	v_xor_b32_e32 v1, 32, v0
	v_cmp_lt_i32_e32 vcc, v1, v8
	v_cndmask_b32_e32 v1, v0, v1, vcc
	v_lshlrev_b32_e32 v1, 2, v1
	s_waitcnt vmcnt(0)
	ds_bpermute_b32 v2, v1, v3
	v_xor_b32_e32 v4, 16, v0
	v_max_f32_e32 v3, v3, v3
	v_cmp_lt_i32_e32 vcc, v4, v8
	v_xor_b32_e32 v5, 8, v0
	s_waitcnt lgkmcnt(0)
	v_max_f32_e32 v2, v2, v2
	v_max_f32_e32 v3, v3, v2
	v_cndmask_b32_e32 v2, v0, v4, vcc
	v_lshlrev_b32_e32 v2, 2, v2
	ds_bpermute_b32 v4, v2, v3
	v_cmp_lt_i32_e32 vcc, v5, v8
	v_xor_b32_e32 v6, 4, v0
	v_xor_b32_e32 v9, 2, v0
	v_and_b32_e32 v19, 63, v12
	s_waitcnt lgkmcnt(0)
	v_max_f32_e32 v4, v4, v4
	v_max_f32_e32 v4, v3, v4
	v_cndmask_b32_e32 v3, v0, v5, vcc
	v_lshlrev_b32_e32 v3, 2, v3
	ds_bpermute_b32 v5, v3, v4
	v_cmp_lt_i32_e32 vcc, v6, v8
	s_waitcnt lgkmcnt(0)
	v_max_f32_e32 v5, v5, v5
	v_max_f32_e32 v5, v4, v5
	v_cndmask_b32_e32 v4, v0, v6, vcc
	v_lshlrev_b32_e32 v4, 2, v4
	ds_bpermute_b32 v6, v4, v5
	v_cmp_lt_i32_e32 vcc, v9, v8
	s_waitcnt lgkmcnt(0)
	v_max_f32_e32 v6, v6, v6
	v_max_f32_e32 v6, v5, v6
	v_cndmask_b32_e32 v5, v0, v9, vcc
	v_lshlrev_b32_e32 v15, 2, v5
	buffer_load_dword v5, off, s[56:59], 0  ; 4-byte Folded Reload
	ds_bpermute_b32 v9, v15, v6
	v_cmp_eq_u32_e32 vcc, 0, v19
	s_waitcnt vmcnt(0)
	v_lshlrev_b32_e32 v5, 2, v5
	s_and_saveexec_b64 s[2:3], vcc
	s_cbranch_execz .LBB261_599
; %bb.598:
	s_waitcnt lgkmcnt(0)
	v_max_f32_e32 v9, v9, v9
	v_max_f32_e32 v6, v6, v6
	;; [unrolled: 1-line block ×3, first 2 shown]
	ds_write_b32 v5, v6 offset:384
.LBB261_599:
	s_or_b64 exec, exec, s[2:3]
	v_cmp_gt_u32_e64 s[2:3], 2, v19
	s_waitcnt lgkmcnt(0)
	v_mov_b32_e32 v9, 0xff7fffff
	v_lshlrev_b32_e32 v6, 2, v19
	s_barrier
	s_and_saveexec_b64 s[4:5], s[2:3]
; %bb.600:
	ds_read_b32 v9, v6 offset:384
; %bb.601:
	s_or_b64 exec, exec, s[4:5]
	v_xor_b32_e32 v10, 1, v0
	v_cmp_lt_i32_e64 s[4:5], v10, v8
	v_cndmask_b32_e64 v8, v0, v10, s[4:5]
	v_lshlrev_b32_e32 v18, 2, v8
	s_waitcnt lgkmcnt(0)
	ds_bpermute_b32 v8, v18, v9
	v_max_f32_e32 v9, v9, v9
	v_lshlrev_b32_e32 v7, 2, v7
	s_lshl_b32 s4, s47, 5
	s_min_i32 s37, s4, s33
	s_waitcnt lgkmcnt(0)
	v_max_f32_e32 v8, v8, v8
	v_max_f32_e32 v8, v9, v8
	ds_bpermute_b32 v8, v7, v8
	v_cmp_gt_i32_e64 s[4:5], s37, v12
	v_mov_b32_e32 v7, 0
	s_and_saveexec_b64 s[12:13], s[4:5]
	s_cbranch_execz .LBB261_605
; %bb.602:
	v_mov_b32_e32 v7, 0x190
	v_lshl_add_u32 v9, v12, 2, v7
	v_mov_b32_e32 v7, 0
	s_mov_b64 s[18:19], 0
	v_mov_b32_e32 v10, v12
.LBB261_603:                            ; =>This Inner Loop Header: Depth=1
	ds_read_b32 v11, v9
	v_add_u32_e32 v10, 0x80, v10
	v_cmp_le_i32_e64 s[6:7], s37, v10
	s_or_b64 s[18:19], s[6:7], s[18:19]
	s_waitcnt lgkmcnt(0)
	v_sub_f32_e32 v11, v11, v8
	v_mul_f32_e32 v11, 0x3fb8aa3b, v11
	v_exp_f32_e32 v11, v11
	ds_write_b32 v9, v11
	v_add_f32_e32 v7, v7, v11
	v_add_u32_e32 v9, 0x200, v9
	s_andn2_b64 exec, exec, s[18:19]
	s_cbranch_execnz .LBB261_603
; %bb.604:
	s_or_b64 exec, exec, s[18:19]
.LBB261_605:
	s_or_b64 exec, exec, s[12:13]
	ds_bpermute_b32 v1, v1, v7
	s_waitcnt lgkmcnt(0)
	v_add_f32_e32 v1, v7, v1
	ds_bpermute_b32 v2, v2, v1
	s_waitcnt lgkmcnt(0)
	v_add_f32_e32 v1, v1, v2
	;; [unrolled: 3-line block ×6, first 2 shown]
	s_and_saveexec_b64 s[6:7], vcc
; %bb.606:
	ds_write_b32 v5, v1 offset:392
; %bb.607:
	s_or_b64 exec, exec, s[6:7]
	s_waitcnt lgkmcnt(0)
	s_barrier
	s_and_saveexec_b64 s[6:7], s[2:3]
; %bb.608:
	ds_read_b32 v1, v6 offset:392
; %bb.609:
	s_or_b64 exec, exec, s[6:7]
	s_waitcnt lgkmcnt(0)
	ds_bpermute_b32 v2, v18, v1
	v_lshlrev_b32_e32 v0, 2, v0
	v_and_b32_e32 v0, 0x100, v0
	s_waitcnt lgkmcnt(0)
	v_add_f32_e32 v1, v1, v2
	ds_bpermute_b32 v0, v0, v1
	s_and_saveexec_b64 s[2:3], s[4:5]
	s_cbranch_execz .LBB261_612
; %bb.610:
	s_waitcnt lgkmcnt(0)
	v_add_f32_e32 v1, 0x358637bd, v0
	v_div_scale_f32 v0, s[4:5], v1, v1, 1.0
	v_div_scale_f32 v2, vcc, 1.0, v1, 1.0
	s_mov_b64 s[4:5], 0
	v_rcp_f32_e32 v3, v0
	v_fma_f32 v4, -v0, v3, 1.0
	v_fmac_f32_e32 v3, v4, v3
	v_mul_f32_e32 v4, v2, v3
	v_fma_f32 v5, -v0, v4, v2
	v_fmac_f32_e32 v4, v5, v3
	v_fma_f32 v0, -v0, v4, v2
	v_div_fmas_f32 v2, v0, v3, v4
	v_mov_b32_e32 v0, 0x190
	v_lshl_add_u32 v0, v12, 2, v0
	v_div_fixup_f32 v1, v2, v1, 1.0
	v_mov_b32_e32 v2, v12
.LBB261_611:                            ; =>This Inner Loop Header: Depth=1
	ds_read_b32 v3, v0
	v_add_u32_e32 v2, 0x80, v2
	v_cmp_le_i32_e32 vcc, s37, v2
	s_or_b64 s[4:5], vcc, s[4:5]
	s_waitcnt lgkmcnt(0)
	v_mul_f32_e32 v3, v1, v3
	ds_write_b32 v0, v3
	v_add_u32_e32 v0, 0x200, v0
	s_andn2_b64 exec, exec, s[4:5]
	s_cbranch_execnz .LBB261_611
.LBB261_612:
	s_or_b64 exec, exec, s[2:3]
	v_mov_b32_e32 v29, 0
	v_and_b32_e32 v31, 3, v12
	v_mov_b32_e32 v30, 0
	v_mov_b32_e32 v28, 0
	;; [unrolled: 1-line block ×11, first 2 shown]
	s_waitcnt lgkmcnt(0)
	s_barrier
	s_and_saveexec_b64 s[2:3], s[0:1]
	s_cbranch_execz .LBB261_1218
; %bb.613:
	s_sub_i32 s37, s16, s21
	s_ashr_i32 s0, s20, 31
	s_add_u32 s1, s34, s20
	v_and_b32_e32 v1, 24, v13
	buffer_store_dword v18, off, s[56:59], 0 offset:40 ; 4-byte Folded Spill
	buffer_store_dword v15, off, s[56:59], 0 offset:36 ; 4-byte Folded Spill
	buffer_store_dword v19, off, s[56:59], 0 offset:32 ; 4-byte Folded Spill
	s_addc_u32 s0, s35, s0
	buffer_store_dword v1, off, s[56:59], 0 offset:20 ; 4-byte Folded Spill
	v_and_b32_e32 v1, 0x1f8, v13
	v_mov_b32_e32 v5, s0
	v_add_co_u32_e32 v6, vcc, s1, v1
	v_addc_co_u32_e32 v7, vcc, 0, v5, vcc
	s_abs_i32 s22, s22
	buffer_store_dword v6, off, s[56:59], 0 offset:24 ; 4-byte Folded Spill
	s_nop 0
	buffer_store_dword v7, off, s[56:59], 0 offset:28 ; 4-byte Folded Spill
	s_sub_i32 s6, 0, s22
	s_add_i32 s35, s47, -1
	s_lshl_b64 s[0:1], s[30:31], 2
	buffer_load_dword v1, off, s[56:59], 0  ; 4-byte Folded Reload
	v_and_b32_e32 v4, 60, v14
	s_add_u32 s0, s28, s0
	v_add_co_u32_e32 v5, vcc, s0, v4
	buffer_load_dword v4, off, s[56:59], 0 offset:396 ; 4-byte Folded Reload
	v_cvt_f32_u32_e32 v0, s22
	s_addc_u32 s1, s29, s1
	s_mov_b32 s4, -1
	s_mov_b32 s34, s17
	v_rcp_iflag_f32_e32 v0, v0
	s_mov_b32 s5, 0xffffff
	v_mov_b32_e32 v2, 0
	s_movk_i32 s28, 0x80
	v_mul_f32_e32 v0, 0x4f7ffffe, v0
	v_cvt_u32_f32_e32 v0, v0
	s_movk_i32 s29, 0x7f
	s_mov_b32 s30, 0x8000
	v_mov_b32_e32 v32, 0x2000
	v_mul_lo_u32 v3, s6, v0
	s_mov_b64 s[6:7], 0
	v_mov_b32_e32 v33, 0
	v_mov_b32_e32 v20, 0
	v_mul_hi_u32 v3, v0, v3
	v_mov_b32_e32 v21, 0
	v_mov_b32_e32 v22, 0
	v_mov_b32_e32 v23, 0
	v_add_u32_e32 v0, v0, v3
	buffer_store_dword v0, off, s[56:59], 0 offset:4 ; 4-byte Folded Spill
	v_mov_b32_e32 v0, s1
	v_addc_co_u32_e32 v6, vcc, 0, v0, vcc
	v_lshlrev_b32_e32 v0, 5, v31
	v_mov_b32_e32 v24, 0
	v_mov_b32_e32 v25, 0
	;; [unrolled: 1-line block ×7, first 2 shown]
	buffer_store_dword v31, off, s[56:59], 0 offset:44 ; 4-byte Folded Spill
	s_waitcnt vmcnt(3)
	v_lshl_or_b32 v0, v1, 7, v0
	v_add_u32_e32 v15, 0x190, v0
	s_branch .LBB261_616
.LBB261_614:                            ;   in Loop: Header=BB261_616 Depth=1
	s_or_b64 exec, exec, s[16:17]
	v_add_f32_e32 v8, v9, v10
	v_add_f32_e32 v0, v0, v55
	;; [unrolled: 1-line block ×20, first 2 shown]
	buffer_load_dword v0, off, s[56:59], 0 offset:12 ; 4-byte Folded Reload
	buffer_load_dword v8, off, s[56:59], 0 offset:16 ; 4-byte Folded Reload
	s_waitcnt vmcnt(0)
	v_add_f32_e32 v0, v0, v8
	v_add_f32_e32 v29, v29, v0
	;;#ASMSTART
	v_pk_mul_f16 v0, v41, v7;

	;;#ASMEND
	;;#ASMSTART
	v_pk_mul_f16 v1, v39, v1;

	;;#ASMEND
	;; [unrolled: 4-line block ×4, first 2 shown]
	;;#ASMSTART
	v_pk_add_f16 v0, v0, v1;

	;;#ASMEND
	;;#ASMSTART
	v_pk_add_f16 v0, v0, v4;

	;;#ASMEND
	;; [unrolled: 4-line block ×3, first 2 shown]
	v_lshrrev_b32_e32 v1, 16, v0
	v_and_b32_e32 v0, 0xffff, v0
	;;#ASMSTART
	v_cvt_f32_f16 v0, v0;
	;;#ASMEND
	;;#ASMSTART
	v_cvt_f32_f16 v1, v1;
	;;#ASMEND
	buffer_load_dword v33, off, s[56:59], 0 offset:8 ; 4-byte Folded Reload
	v_add_f32_e32 v0, v0, v1
	s_waitcnt vmcnt(0)
	v_add_f32_e32 v33, v33, v0
.LBB261_615:                            ;   in Loop: Header=BB261_616 Depth=1
	s_or_b64 exec, exec, s[12:13]
	buffer_load_dword v0, off, s[56:59], 0  ; 4-byte Folded Reload
	v_add_co_u32_e32 v5, vcc, 8, v5
	v_addc_co_u32_e32 v6, vcc, 0, v6, vcc
	v_mov_b32_e32 v4, v19
	v_add_u32_e32 v4, 64, v4
	v_add_u32_e32 v15, 0x100, v15
	s_waitcnt vmcnt(0)
	v_add_u32_e32 v0, 2, v0
	v_cmp_le_i32_e32 vcc, s47, v0
	s_or_b64 s[6:7], vcc, s[6:7]
	buffer_store_dword v0, off, s[56:59], 0 ; 4-byte Folded Spill
	s_andn2_b64 exec, exec, s[6:7]
	s_cbranch_execz .LBB261_1217
.LBB261_616:                            ; =>This Inner Loop Header: Depth=1
	s_waitcnt vmcnt(2)
	v_mul_hi_u32 v0, v4, s46
	v_mov_b32_e32 v19, v4
	v_mul_lo_u32 v1, v0, s25
	v_add_u32_e32 v3, 1, v0
	v_sub_u32_e32 v1, v4, v1
	buffer_load_dword v4, off, s[56:59], 0 offset:4 ; 4-byte Folded Reload
	v_cmp_le_u32_e32 vcc, s25, v1
	v_cndmask_b32_e32 v0, v0, v3, vcc
	v_subrev_u32_e32 v3, s25, v1
	v_cndmask_b32_e32 v1, v1, v3, vcc
	v_add_u32_e32 v3, 1, v0
	v_cmp_le_u32_e32 vcc, s25, v1
	v_cndmask_b32_e32 v0, v0, v3, vcc
	v_xor_b32_e32 v0, s23, v0
	v_subrev_u32_e32 v0, s23, v0
	v_add_u32_e32 v1, s36, v0
	v_sub_u32_e32 v3, 0, v1
	v_max_i32_e32 v3, v1, v3
	v_ashrrev_i32_e32 v1, 31, v1
	v_cmp_lt_i32_e64 s[0:1], s37, v0
	s_waitcnt vmcnt(0)
	v_mul_hi_u32 v4, v3, v4
	v_mul_lo_u32 v4, v4, s22
	v_sub_u32_e32 v3, v3, v4
	v_subrev_u32_e32 v4, s22, v3
	v_cmp_le_u32_e32 vcc, s22, v3
	v_cndmask_b32_e32 v3, v3, v4, vcc
	v_subrev_u32_e32 v4, s22, v3
	v_cmp_le_u32_e32 vcc, s22, v3
	v_cndmask_b32_e32 v3, v3, v4, vcc
	v_xor_b32_e32 v3, v3, v1
	v_sub_u32_e32 v1, v3, v1
	v_cmp_eq_u32_e32 vcc, 0, v1
	s_or_b64 s[0:1], vcc, s[0:1]
	s_and_saveexec_b64 s[12:13], s[0:1]
	s_cbranch_execz .LBB261_615
; %bb.617:                              ;   in Loop: Header=BB261_616 Depth=1
	buffer_store_dword v33, off, s[56:59], 0 offset:8 ; 4-byte Folded Spill
	global_load_dword v1, v[5:6], off
	ds_read2_b64 v[7:10], v15 offset1:1
	ds_read2_b64 v[37:40], v15 offset0:2 offset1:3
	v_mov_b32_e32 v18, 0
	v_mov_b32_e32 v35, 0
	s_waitcnt lgkmcnt(1)
	;;#ASMSTART
	v_cvt_f16_f32 v0, v7;

	;;#ASMEND
	;;#ASMSTART
	v_cvt_f16_f32 v12, v8;

	;;#ASMEND
	;;#ASMSTART
	v_cvt_f16_f32 v13, v9;

	;;#ASMEND
	;;#ASMSTART
	v_cvt_f16_f32 v36, v10;

	;;#ASMEND
	s_waitcnt lgkmcnt(0)
	;;#ASMSTART
	v_cvt_f16_f32 v37, v37;

	;;#ASMEND
	buffer_load_dword v3, off, s[56:59], 0 offset:24 ; 4-byte Folded Reload
	buffer_load_dword v4, off, s[56:59], 0 offset:28 ; 4-byte Folded Reload
	;;#ASMSTART
	v_cvt_f16_f32 v45, v38;

	;;#ASMEND
	;;#ASMSTART
	v_cvt_f16_f32 v46, v39;

	;;#ASMEND
	;; [unrolled: 4-line block ×3, first 2 shown]
	global_load_dword v34, v18, s[14:15]
	s_waitcnt vmcnt(1)
	v_mad_i64_i32 v[7:8], s[0:1], v1, s34, v[3:4]
	global_load_dwordx2 v[9:10], v[7:8], off
	s_waitcnt vmcnt(0)
	v_cmp_ne_u16_sdwa s[16:17], v9, v2 src0_sel:BYTE_0 src1_sel:DWORD
	s_and_saveexec_b64 s[0:1], s[16:17]
	s_cbranch_execz .LBB261_623
; %bb.618:                              ;   in Loop: Header=BB261_616 Depth=1
	v_cmp_ne_u16_sdwa s[18:19], v9, s28 src0_sel:BYTE_0 src1_sel:DWORD
	v_mov_b32_e32 v35, 0x8000
	s_and_saveexec_b64 s[16:17], s[18:19]
	s_cbranch_execz .LBB261_622
; %bb.619:                              ;   in Loop: Header=BB261_616 Depth=1
	v_and_b32_e32 v1, 0x7f, v9
	v_cmp_ne_u32_e32 vcc, s29, v1
	v_mov_b32_e32 v35, 0x7c01
	s_and_saveexec_b64 s[18:19], vcc
	s_cbranch_execz .LBB261_621
; %bb.620:                              ;   in Loop: Header=BB261_616 Depth=1
	v_and_b32_e32 v11, 7, v9
	v_ffbh_u32_e32 v3, v11
	v_min_u32_e32 v16, 32, v3
	v_subrev_u32_e32 v3, 28, v16
	v_lshlrev_b64 v[3:4], v3, v[9:10]
	v_lshrrev_b32_e32 v14, 3, v1
	v_sub_u32_e32 v4, 29, v16
	v_cmp_gt_u32_e32 vcc, 8, v1
	v_cndmask_b32_e32 v1, v14, v4, vcc
	v_lshl_add_u32 v1, v1, 10, v32
	v_lshlrev_b32_e32 v4, 8, v9
	v_and_b32_e32 v3, 7, v3
	v_and_b32_e32 v1, 0xfc00, v1
	v_cndmask_b32_e32 v3, v11, v3, vcc
	v_and_or_b32 v1, v4, s30, v1
	v_lshl_or_b32 v35, v3, 7, v1
.LBB261_621:                            ;   in Loop: Header=BB261_616 Depth=1
	s_or_b64 exec, exec, s[18:19]
.LBB261_622:                            ;   in Loop: Header=BB261_616 Depth=1
	s_or_b64 exec, exec, s[16:17]
.LBB261_623:                            ;   in Loop: Header=BB261_616 Depth=1
	s_or_b64 exec, exec, s[0:1]
	v_lshrrev_b16_e32 v1, 8, v9
	v_cmp_ne_u16_e32 vcc, 0, v1
	s_and_saveexec_b64 s[0:1], vcc
	s_cbranch_execz .LBB261_629
; %bb.624:                              ;   in Loop: Header=BB261_616 Depth=1
	v_cmp_ne_u16_e32 vcc, s28, v1
	v_bfrev_b32_e32 v18, 1
	s_and_saveexec_b64 s[16:17], vcc
	s_cbranch_execz .LBB261_628
; %bb.625:                              ;   in Loop: Header=BB261_616 Depth=1
	v_and_b32_e32 v3, 0x7f, v1
	v_cmp_ne_u32_e32 vcc, s29, v3
	v_mov_b32_e32 v18, 0x7c010000
	s_and_saveexec_b64 s[18:19], vcc
	s_cbranch_execz .LBB261_627
; %bb.626:                              ;   in Loop: Header=BB261_616 Depth=1
	v_and_b32_e32 v4, 7, v1
	v_ffbh_u32_e32 v14, v4
	v_min_u32_e32 v14, 32, v14
	v_lshrrev_b32_e32 v11, 3, v3
	v_subrev_u32_e32 v16, 28, v14
	v_sub_u32_e32 v14, 29, v14
	v_cmp_gt_u32_e32 vcc, 8, v3
	v_lshlrev_b64 v[16:17], v16, v[1:2]
	v_cndmask_b32_e32 v3, v11, v14, vcc
	v_lshlrev_b32_e32 v1, 8, v1
	v_lshl_add_u32 v3, v3, 10, v32
	v_and_b32_e32 v11, 7, v16
	v_and_or_b32 v1, v1, s30, v3
	v_cndmask_b32_e32 v4, v4, v11, vcc
	v_lshlrev_b32_e32 v1, 16, v1
	v_lshl_or_b32 v18, v4, 23, v1
.LBB261_627:                            ;   in Loop: Header=BB261_616 Depth=1
	s_or_b64 exec, exec, s[18:19]
.LBB261_628:                            ;   in Loop: Header=BB261_616 Depth=1
	s_or_b64 exec, exec, s[16:17]
.LBB261_629:                            ;   in Loop: Header=BB261_616 Depth=1
	s_or_b64 exec, exec, s[0:1]
	v_lshrrev_b32_e32 v1, 16, v9
	v_cmp_ne_u16_sdwa s[16:17], v1, v2 src0_sel:BYTE_0 src1_sel:DWORD
	v_mov_b32_e32 v11, 0
	v_mov_b32_e32 v31, 0
	s_and_saveexec_b64 s[0:1], s[16:17]
	s_cbranch_execz .LBB261_635
; %bb.630:                              ;   in Loop: Header=BB261_616 Depth=1
	v_cmp_ne_u16_sdwa s[18:19], v1, s28 src0_sel:BYTE_0 src1_sel:DWORD
	v_mov_b32_e32 v31, 0x8000
	s_and_saveexec_b64 s[16:17], s[18:19]
	s_cbranch_execz .LBB261_634
; %bb.631:                              ;   in Loop: Header=BB261_616 Depth=1
	v_bfe_u32 v3, v9, 16, 7
	v_cmp_ne_u32_e32 vcc, s29, v3
	v_mov_b32_e32 v31, 0x7c01
	s_and_saveexec_b64 s[18:19], vcc
	s_cbranch_execz .LBB261_633
; %bb.632:                              ;   in Loop: Header=BB261_616 Depth=1
	v_and_b32_e32 v4, 7, v1
	v_ffbh_u32_e32 v16, v4
	v_min_u32_e32 v31, 32, v16
	v_subrev_u32_e32 v16, 28, v31
	v_lshlrev_b64 v[16:17], v16, v[1:2]
	v_lshrrev_b32_e32 v14, 3, v3
	v_sub_u32_e32 v17, 29, v31
	v_cmp_gt_u32_e32 vcc, 8, v3
	v_cndmask_b32_e32 v3, v14, v17, vcc
	v_lshl_add_u32 v3, v3, 10, v32
	v_lshlrev_b32_e32 v1, 8, v1
	v_and_b32_e32 v14, 7, v16
	v_and_b32_e32 v3, 0xfc00, v3
	v_cndmask_b32_e32 v4, v4, v14, vcc
	v_and_or_b32 v1, v1, s30, v3
	v_lshl_or_b32 v31, v4, 7, v1
.LBB261_633:                            ;   in Loop: Header=BB261_616 Depth=1
	s_or_b64 exec, exec, s[18:19]
.LBB261_634:                            ;   in Loop: Header=BB261_616 Depth=1
	s_or_b64 exec, exec, s[16:17]
.LBB261_635:                            ;   in Loop: Header=BB261_616 Depth=1
	s_or_b64 exec, exec, s[0:1]
	v_cmp_lt_u32_e32 vcc, s5, v9
	s_and_saveexec_b64 s[0:1], vcc
	s_cbranch_execz .LBB261_641
; %bb.636:                              ;   in Loop: Header=BB261_616 Depth=1
	v_lshrrev_b32_e32 v1, 24, v9
	v_cmp_ne_u32_e32 vcc, s28, v1
	v_bfrev_b32_e32 v11, 1
	s_and_saveexec_b64 s[16:17], vcc
	s_cbranch_execz .LBB261_640
; %bb.637:                              ;   in Loop: Header=BB261_616 Depth=1
	v_and_b32_e32 v3, 0x7f, v1
	v_cmp_ne_u32_e32 vcc, s29, v3
	v_mov_b32_e32 v11, 0x7c010000
	s_and_saveexec_b64 s[18:19], vcc
	s_cbranch_execz .LBB261_639
; %bb.638:                              ;   in Loop: Header=BB261_616 Depth=1
	v_and_b32_e32 v4, 7, v1
	v_ffbh_u32_e32 v14, v4
	v_min_u32_e32 v14, 32, v14
	v_lshrrev_b32_e32 v11, 3, v3
	v_subrev_u32_e32 v16, 28, v14
	v_sub_u32_e32 v14, 29, v14
	v_cmp_gt_u32_e32 vcc, 8, v3
	v_lshlrev_b64 v[16:17], v16, v[1:2]
	v_cndmask_b32_e32 v3, v11, v14, vcc
	v_lshlrev_b32_e32 v1, 8, v1
	v_lshl_add_u32 v3, v3, 10, v32
	v_and_b32_e32 v11, 7, v16
	v_and_or_b32 v1, v1, s30, v3
	v_cndmask_b32_e32 v4, v4, v11, vcc
	v_lshlrev_b32_e32 v1, 16, v1
	v_lshl_or_b32 v11, v4, 23, v1
.LBB261_639:                            ;   in Loop: Header=BB261_616 Depth=1
	s_or_b64 exec, exec, s[18:19]
.LBB261_640:                            ;   in Loop: Header=BB261_616 Depth=1
	s_or_b64 exec, exec, s[16:17]
.LBB261_641:                            ;   in Loop: Header=BB261_616 Depth=1
	s_or_b64 exec, exec, s[0:1]
	v_mov_b32_e32 v1, v10
	v_cmp_ne_u16_sdwa s[16:17], v10, v2 src0_sel:BYTE_0 src1_sel:DWORD
	v_mov_b32_e32 v3, 0
	v_mov_b32_e32 v4, 0
	s_and_saveexec_b64 s[0:1], s[16:17]
	s_cbranch_execz .LBB261_647
; %bb.642:                              ;   in Loop: Header=BB261_616 Depth=1
	v_cmp_ne_u16_sdwa s[18:19], v10, s28 src0_sel:BYTE_0 src1_sel:DWORD
	v_mov_b32_e32 v4, 0x8000
	s_and_saveexec_b64 s[16:17], s[18:19]
	s_cbranch_execz .LBB261_646
; %bb.643:                              ;   in Loop: Header=BB261_616 Depth=1
	v_and_b32_e32 v16, 0x7f, v10
	v_cmp_ne_u32_e32 vcc, s29, v16
	v_mov_b32_e32 v4, 0x7c01
	s_and_saveexec_b64 s[18:19], vcc
	s_cbranch_execz .LBB261_645
; %bb.644:                              ;   in Loop: Header=BB261_616 Depth=1
	v_and_b32_e32 v4, 7, v10
	v_ffbh_u32_e32 v17, v4
	v_min_u32_e32 v17, 32, v17
	v_lshrrev_b32_e32 v14, 3, v16
	v_subrev_u32_e32 v33, 28, v17
	v_sub_u32_e32 v17, 29, v17
	v_cmp_gt_u32_e32 vcc, 8, v16
	v_lshlrev_b64 v[38:39], v33, v[1:2]
	v_cndmask_b32_e32 v14, v14, v17, vcc
	v_lshl_add_u32 v14, v14, 10, v32
	v_lshlrev_b32_e32 v16, 8, v10
	v_and_b32_e32 v17, 7, v38
	v_and_b32_e32 v14, 0xfc00, v14
	v_cndmask_b32_e32 v4, v4, v17, vcc
	v_and_or_b32 v14, v16, s30, v14
	v_lshl_or_b32 v4, v4, 7, v14
.LBB261_645:                            ;   in Loop: Header=BB261_616 Depth=1
	s_or_b64 exec, exec, s[18:19]
.LBB261_646:                            ;   in Loop: Header=BB261_616 Depth=1
	s_or_b64 exec, exec, s[16:17]
.LBB261_647:                            ;   in Loop: Header=BB261_616 Depth=1
	s_or_b64 exec, exec, s[0:1]
	v_lshrrev_b16_e32 v1, 8, v1
	v_cmp_ne_u16_e32 vcc, 0, v1
	v_mov_b32_e32 v16, 0
	s_and_saveexec_b64 s[0:1], vcc
	s_cbranch_execz .LBB261_653
; %bb.648:                              ;   in Loop: Header=BB261_616 Depth=1
	v_cmp_ne_u16_e32 vcc, s28, v1
	v_bfrev_b32_e32 v16, 1
	s_and_saveexec_b64 s[16:17], vcc
	s_cbranch_execz .LBB261_652
; %bb.649:                              ;   in Loop: Header=BB261_616 Depth=1
	v_and_b32_e32 v17, 0x7f, v1
	v_cmp_ne_u32_e32 vcc, s29, v17
	v_mov_b32_e32 v16, 0x7c010000
	s_and_saveexec_b64 s[18:19], vcc
	s_cbranch_execz .LBB261_651
; %bb.650:                              ;   in Loop: Header=BB261_616 Depth=1
	v_and_b32_e32 v14, 7, v1
	v_ffbh_u32_e32 v33, v14
	v_min_u32_e32 v33, 32, v33
	v_lshrrev_b32_e32 v16, 3, v17
	v_subrev_u32_e32 v38, 28, v33
	v_sub_u32_e32 v33, 29, v33
	v_cmp_gt_u32_e32 vcc, 8, v17
	v_lshlrev_b64 v[38:39], v38, v[1:2]
	v_cndmask_b32_e32 v16, v16, v33, vcc
	v_lshlrev_b32_e32 v1, 8, v1
	v_lshl_add_u32 v16, v16, 10, v32
	v_and_b32_e32 v17, 7, v38
	v_and_or_b32 v1, v1, s30, v16
	v_cndmask_b32_e32 v14, v14, v17, vcc
	v_lshlrev_b32_e32 v1, 16, v1
	v_lshl_or_b32 v16, v14, 23, v1
.LBB261_651:                            ;   in Loop: Header=BB261_616 Depth=1
	s_or_b64 exec, exec, s[18:19]
.LBB261_652:                            ;   in Loop: Header=BB261_616 Depth=1
	s_or_b64 exec, exec, s[16:17]
.LBB261_653:                            ;   in Loop: Header=BB261_616 Depth=1
	s_or_b64 exec, exec, s[0:1]
	v_lshrrev_b32_e32 v1, 16, v10
	v_cmp_ne_u16_sdwa s[16:17], v1, v2 src0_sel:BYTE_0 src1_sel:DWORD
	s_and_saveexec_b64 s[0:1], s[16:17]
	s_cbranch_execz .LBB261_659
; %bb.654:                              ;   in Loop: Header=BB261_616 Depth=1
	v_cmp_ne_u16_sdwa s[18:19], v1, s28 src0_sel:BYTE_0 src1_sel:DWORD
	v_mov_b32_e32 v3, 0x8000
	s_and_saveexec_b64 s[16:17], s[18:19]
	s_cbranch_execz .LBB261_658
; %bb.655:                              ;   in Loop: Header=BB261_616 Depth=1
	v_bfe_u32 v17, v10, 16, 7
	v_cmp_ne_u32_e32 vcc, s29, v17
	v_mov_b32_e32 v3, 0x7c01
	s_and_saveexec_b64 s[18:19], vcc
	s_cbranch_execz .LBB261_657
; %bb.656:                              ;   in Loop: Header=BB261_616 Depth=1
	v_and_b32_e32 v3, 7, v1
	v_ffbh_u32_e32 v33, v3
	v_min_u32_e32 v33, 32, v33
	v_lshrrev_b32_e32 v14, 3, v17
	v_subrev_u32_e32 v38, 28, v33
	v_sub_u32_e32 v33, 29, v33
	v_cmp_gt_u32_e32 vcc, 8, v17
	v_lshlrev_b64 v[38:39], v38, v[1:2]
	v_cndmask_b32_e32 v14, v14, v33, vcc
	v_lshl_add_u32 v14, v14, 10, v32
	v_lshlrev_b32_e32 v1, 8, v1
	v_and_b32_e32 v17, 7, v38
	v_and_b32_e32 v14, 0xfc00, v14
	v_cndmask_b32_e32 v3, v3, v17, vcc
	v_and_or_b32 v1, v1, s30, v14
	v_lshl_or_b32 v3, v3, 7, v1
.LBB261_657:                            ;   in Loop: Header=BB261_616 Depth=1
	s_or_b64 exec, exec, s[18:19]
.LBB261_658:                            ;   in Loop: Header=BB261_616 Depth=1
	s_or_b64 exec, exec, s[16:17]
.LBB261_659:                            ;   in Loop: Header=BB261_616 Depth=1
	s_or_b64 exec, exec, s[0:1]
	v_cmp_lt_u64_e32 vcc, s[4:5], v[9:10]
	v_mov_b32_e32 v38, 0
	s_and_saveexec_b64 s[0:1], vcc
	s_cbranch_execz .LBB261_665
; %bb.660:                              ;   in Loop: Header=BB261_616 Depth=1
	v_lshrrev_b32_e32 v1, 24, v10
	v_cmp_ne_u32_e32 vcc, s28, v1
	v_bfrev_b32_e32 v38, 1
	s_and_saveexec_b64 s[16:17], vcc
	s_cbranch_execz .LBB261_664
; %bb.661:                              ;   in Loop: Header=BB261_616 Depth=1
	v_and_b32_e32 v9, 0x7f, v1
	v_cmp_ne_u32_e32 vcc, s29, v9
	v_mov_b32_e32 v38, 0x7c010000
	s_and_saveexec_b64 s[18:19], vcc
	s_cbranch_execz .LBB261_663
; %bb.662:                              ;   in Loop: Header=BB261_616 Depth=1
	v_and_b32_e32 v10, 7, v1
	v_ffbh_u32_e32 v17, v10
	v_min_u32_e32 v17, 32, v17
	v_lshrrev_b32_e32 v14, 3, v9
	v_subrev_u32_e32 v33, 28, v17
	v_sub_u32_e32 v17, 29, v17
	v_cmp_gt_u32_e32 vcc, 8, v9
	v_lshlrev_b64 v[38:39], v33, v[1:2]
	v_cndmask_b32_e32 v9, v14, v17, vcc
	v_lshlrev_b32_e32 v1, 8, v1
	v_lshl_add_u32 v9, v9, 10, v32
	v_and_b32_e32 v14, 7, v38
	v_and_or_b32 v1, v1, s30, v9
	v_cndmask_b32_e32 v10, v10, v14, vcc
	v_lshlrev_b32_e32 v1, 16, v1
	v_lshl_or_b32 v38, v10, 23, v1
.LBB261_663:                            ;   in Loop: Header=BB261_616 Depth=1
	s_or_b64 exec, exec, s[18:19]
.LBB261_664:                            ;   in Loop: Header=BB261_616 Depth=1
	s_or_b64 exec, exec, s[16:17]
.LBB261_665:                            ;   in Loop: Header=BB261_616 Depth=1
	s_or_b64 exec, exec, s[0:1]
	buffer_load_dword v1, off, s[56:59], 0 offset:20 ; 4-byte Folded Reload
	v_fma_mixlo_f16 v9, v34, v11, 0 op_sel:[0,1,0] op_sel_hi:[0,1,0]
	v_fma_mixlo_f16 v14, v34, v18, 0 op_sel:[0,1,0] op_sel_hi:[0,1,0]
	v_lshlrev_b32_e32 v10, 16, v9
	v_or_b32_e32 v9, v18, v35
	v_lshlrev_b32_e32 v18, 16, v14
	v_or_b32_e32 v4, v16, v4
	v_fma_mixlo_f16 v14, v34, v16, 0 op_sel:[0,1,0] op_sel_hi:[0,1,0]
	v_or_b32_e32 v3, v38, v3
	v_fma_mixlo_f16 v9, v34, v9, 0 op_sel_hi:[0,1,0]
	v_lshlrev_b32_e32 v16, 16, v14
	v_fma_mixlo_f16 v4, v34, v4, 0 op_sel_hi:[0,1,0]
	v_fma_mixlo_f16 v3, v34, v3, 0 op_sel_hi:[0,1,0]
	v_fma_mixlo_f16 v14, v34, v38, 0 op_sel:[0,1,0] op_sel_hi:[0,1,0]
	v_and_b32_e32 v41, 0xffff, v9
	v_lshlrev_b32_e32 v17, 16, v14
	v_and_b32_e32 v39, 0xffff, v3
	v_or_b32_e32 v9, v18, v41
	v_or_b32_e32 v3, v17, v39
	s_waitcnt vmcnt(0)
	v_add_u32_e32 v33, v1, v19
	buffer_load_dword v1, off, s[56:59], 0  ; 4-byte Folded Reload
	v_add_u32_e32 v44, 1, v33
	v_add_u32_e32 v43, 2, v33
	;; [unrolled: 1-line block ×6, first 2 shown]
	s_waitcnt vmcnt(0)
	v_cmp_eq_u32_e64 s[0:1], s35, v1
	v_or_b32_e32 v1, v11, v31
	v_fma_mixlo_f16 v1, v34, v1, 0 op_sel_hi:[0,1,0]
	v_and_b32_e32 v11, 0xffff, v1
	v_and_b32_e32 v31, 0xffff, v4
	v_or_b32_e32 v1, v10, v11
	v_or_b32_e32 v4, v16, v31
	v_add_u32_e32 v34, 7, v33
	s_and_saveexec_b64 s[16:17], s[0:1]
	s_cbranch_execz .LBB261_667
; %bb.666:                              ;   in Loop: Header=BB261_616 Depth=1
	v_cmp_gt_i32_e32 vcc, s33, v33
	v_cndmask_b32_e32 v1, 0, v41, vcc
	v_cmp_gt_i32_e32 vcc, s33, v44
	v_cndmask_b32_e32 v3, 0, v18, vcc
	v_cmp_gt_i32_e32 vcc, s33, v43
	v_or_b32_e32 v9, v3, v1
	v_cndmask_b32_e32 v1, 0, v11, vcc
	v_cmp_gt_i32_e32 vcc, s33, v42
	v_cndmask_b32_e32 v3, 0, v10, vcc
	v_cmp_gt_i32_e32 vcc, s33, v40
	v_or_b32_e32 v1, v3, v1
	;; [unrolled: 5-line block ×3, first 2 shown]
	v_cndmask_b32_e32 v3, 0, v39, vcc
	v_cmp_gt_i32_e32 vcc, s33, v34
	v_cndmask_b32_e32 v10, 0, v17, vcc
	v_or_b32_e32 v3, v10, v3
.LBB261_667:                            ;   in Loop: Header=BB261_616 Depth=1
	s_or_b64 exec, exec, s[16:17]
	v_and_b32_e32 v0, 0xffff, v0
	v_lshl_or_b32 v41, v12, 16, v0
	v_and_b32_e32 v0, 0xffff, v13
	v_lshl_or_b32 v39, v36, 16, v0
	;; [unrolled: 2-line block ×4, first 2 shown]
	;;#ASMSTART
	v_pk_mul_f16 v0, v41, v9;

	;;#ASMEND
	;;#ASMSTART
	v_pk_mul_f16 v1, v39, v1;

	;;#ASMEND
	;; [unrolled: 4-line block ×4, first 2 shown]
	;;#ASMSTART
	v_pk_add_f16 v0, v0, v1;

	;;#ASMEND
	;;#ASMSTART
	v_pk_add_f16 v0, v0, v4;

	;;#ASMEND
	;; [unrolled: 4-line block ×3, first 2 shown]
	v_lshrrev_b32_e32 v1, 16, v0
	v_and_b32_e32 v0, 0xffff, v0
	;;#ASMSTART
	v_cvt_f32_f16 v0, v0;
	;;#ASMEND
	buffer_store_dword v0, off, s[56:59], 0 offset:12 ; 4-byte Folded Spill
	;;#ASMSTART
	v_cvt_f32_f16 v0, v1;
	;;#ASMEND
	global_load_dwordx2 v[9:10], v[7:8], off offset:512
	v_mov_b32_e32 v18, 0
	buffer_store_dword v0, off, s[56:59], 0 offset:16 ; 4-byte Folded Spill
	global_load_dword v0, v18, s[14:15]
	v_mov_b32_e32 v45, 0
	s_waitcnt vmcnt(2)
	v_cmp_ne_u16_sdwa s[18:19], v9, v2 src0_sel:BYTE_0 src1_sel:DWORD
	s_and_saveexec_b64 s[16:17], s[18:19]
	s_cbranch_execz .LBB261_673
; %bb.668:                              ;   in Loop: Header=BB261_616 Depth=1
	v_cmp_ne_u16_sdwa s[20:21], v9, s28 src0_sel:BYTE_0 src1_sel:DWORD
	v_mov_b32_e32 v45, 0x8000
	s_and_saveexec_b64 s[18:19], s[20:21]
	s_cbranch_execz .LBB261_672
; %bb.669:                              ;   in Loop: Header=BB261_616 Depth=1
	v_and_b32_e32 v1, 0x7f, v9
	v_cmp_ne_u32_e32 vcc, s29, v1
	v_mov_b32_e32 v45, 0x7c01
	s_and_saveexec_b64 s[20:21], vcc
	s_cbranch_execz .LBB261_671
; %bb.670:                              ;   in Loop: Header=BB261_616 Depth=1
	v_and_b32_e32 v11, 7, v9
	v_ffbh_u32_e32 v3, v11
	v_min_u32_e32 v14, 32, v3
	v_subrev_u32_e32 v3, 28, v14
	v_lshlrev_b64 v[3:4], v3, v[9:10]
	v_lshrrev_b32_e32 v13, 3, v1
	v_sub_u32_e32 v4, 29, v14
	v_cmp_gt_u32_e32 vcc, 8, v1
	v_cndmask_b32_e32 v1, v13, v4, vcc
	v_lshl_add_u32 v1, v1, 10, v32
	v_lshlrev_b32_e32 v4, 8, v9
	v_and_b32_e32 v3, 7, v3
	v_and_b32_e32 v1, 0xfc00, v1
	v_cndmask_b32_e32 v3, v11, v3, vcc
	v_and_or_b32 v1, v4, s30, v1
	v_lshl_or_b32 v45, v3, 7, v1
.LBB261_671:                            ;   in Loop: Header=BB261_616 Depth=1
	s_or_b64 exec, exec, s[20:21]
.LBB261_672:                            ;   in Loop: Header=BB261_616 Depth=1
	s_or_b64 exec, exec, s[18:19]
.LBB261_673:                            ;   in Loop: Header=BB261_616 Depth=1
	s_or_b64 exec, exec, s[16:17]
	v_lshrrev_b16_e32 v1, 8, v9
	v_cmp_ne_u16_e32 vcc, 0, v1
	s_and_saveexec_b64 s[16:17], vcc
	s_cbranch_execz .LBB261_679
; %bb.674:                              ;   in Loop: Header=BB261_616 Depth=1
	v_cmp_ne_u16_e32 vcc, s28, v1
	v_bfrev_b32_e32 v18, 1
	s_and_saveexec_b64 s[18:19], vcc
	s_cbranch_execz .LBB261_678
; %bb.675:                              ;   in Loop: Header=BB261_616 Depth=1
	v_and_b32_e32 v3, 0x7f, v1
	v_cmp_ne_u32_e32 vcc, s29, v3
	v_mov_b32_e32 v18, 0x7c010000
	s_and_saveexec_b64 s[20:21], vcc
	s_cbranch_execz .LBB261_677
; %bb.676:                              ;   in Loop: Header=BB261_616 Depth=1
	v_and_b32_e32 v4, 7, v1
	v_ffbh_u32_e32 v13, v4
	v_min_u32_e32 v13, 32, v13
	v_lshrrev_b32_e32 v11, 3, v3
	v_subrev_u32_e32 v14, 28, v13
	v_sub_u32_e32 v13, 29, v13
	v_cmp_gt_u32_e32 vcc, 8, v3
	v_lshlrev_b64 v[16:17], v14, v[1:2]
	v_cndmask_b32_e32 v3, v11, v13, vcc
	v_lshlrev_b32_e32 v1, 8, v1
	v_lshl_add_u32 v3, v3, 10, v32
	v_and_b32_e32 v11, 7, v16
	v_and_or_b32 v1, v1, s30, v3
	v_cndmask_b32_e32 v4, v4, v11, vcc
	v_lshlrev_b32_e32 v1, 16, v1
	v_lshl_or_b32 v18, v4, 23, v1
.LBB261_677:                            ;   in Loop: Header=BB261_616 Depth=1
	s_or_b64 exec, exec, s[20:21]
.LBB261_678:                            ;   in Loop: Header=BB261_616 Depth=1
	s_or_b64 exec, exec, s[18:19]
.LBB261_679:                            ;   in Loop: Header=BB261_616 Depth=1
	s_or_b64 exec, exec, s[16:17]
	v_lshrrev_b32_e32 v1, 16, v9
	v_cmp_ne_u16_sdwa s[18:19], v1, v2 src0_sel:BYTE_0 src1_sel:DWORD
	v_mov_b32_e32 v11, 0
	v_mov_b32_e32 v31, 0
	s_and_saveexec_b64 s[16:17], s[18:19]
	s_cbranch_execz .LBB261_685
; %bb.680:                              ;   in Loop: Header=BB261_616 Depth=1
	v_cmp_ne_u16_sdwa s[20:21], v1, s28 src0_sel:BYTE_0 src1_sel:DWORD
	v_mov_b32_e32 v31, 0x8000
	s_and_saveexec_b64 s[18:19], s[20:21]
	s_cbranch_execz .LBB261_684
; %bb.681:                              ;   in Loop: Header=BB261_616 Depth=1
	v_bfe_u32 v3, v9, 16, 7
	v_cmp_ne_u32_e32 vcc, s29, v3
	v_mov_b32_e32 v31, 0x7c01
	s_and_saveexec_b64 s[20:21], vcc
	s_cbranch_execz .LBB261_683
; %bb.682:                              ;   in Loop: Header=BB261_616 Depth=1
	v_and_b32_e32 v4, 7, v1
	v_ffbh_u32_e32 v14, v4
	v_min_u32_e32 v14, 32, v14
	v_lshrrev_b32_e32 v13, 3, v3
	v_subrev_u32_e32 v16, 28, v14
	v_sub_u32_e32 v14, 29, v14
	v_cmp_gt_u32_e32 vcc, 8, v3
	v_lshlrev_b64 v[16:17], v16, v[1:2]
	v_cndmask_b32_e32 v3, v13, v14, vcc
	v_lshl_add_u32 v3, v3, 10, v32
	v_lshlrev_b32_e32 v1, 8, v1
	v_and_b32_e32 v13, 7, v16
	v_and_b32_e32 v3, 0xfc00, v3
	v_cndmask_b32_e32 v4, v4, v13, vcc
	v_and_or_b32 v1, v1, s30, v3
	v_lshl_or_b32 v31, v4, 7, v1
.LBB261_683:                            ;   in Loop: Header=BB261_616 Depth=1
	s_or_b64 exec, exec, s[20:21]
.LBB261_684:                            ;   in Loop: Header=BB261_616 Depth=1
	s_or_b64 exec, exec, s[18:19]
.LBB261_685:                            ;   in Loop: Header=BB261_616 Depth=1
	s_or_b64 exec, exec, s[16:17]
	v_cmp_lt_u32_e32 vcc, s5, v9
	s_and_saveexec_b64 s[16:17], vcc
	s_cbranch_execz .LBB261_691
; %bb.686:                              ;   in Loop: Header=BB261_616 Depth=1
	v_lshrrev_b32_e32 v1, 24, v9
	v_cmp_ne_u32_e32 vcc, s28, v1
	v_bfrev_b32_e32 v11, 1
	s_and_saveexec_b64 s[18:19], vcc
	s_cbranch_execz .LBB261_690
; %bb.687:                              ;   in Loop: Header=BB261_616 Depth=1
	v_and_b32_e32 v3, 0x7f, v1
	v_cmp_ne_u32_e32 vcc, s29, v3
	v_mov_b32_e32 v11, 0x7c010000
	s_and_saveexec_b64 s[20:21], vcc
	s_cbranch_execz .LBB261_689
; %bb.688:                              ;   in Loop: Header=BB261_616 Depth=1
	v_and_b32_e32 v4, 7, v1
	v_ffbh_u32_e32 v13, v4
	v_min_u32_e32 v13, 32, v13
	v_lshrrev_b32_e32 v11, 3, v3
	v_subrev_u32_e32 v14, 28, v13
	v_sub_u32_e32 v13, 29, v13
	v_cmp_gt_u32_e32 vcc, 8, v3
	v_lshlrev_b64 v[16:17], v14, v[1:2]
	v_cndmask_b32_e32 v3, v11, v13, vcc
	v_lshlrev_b32_e32 v1, 8, v1
	v_lshl_add_u32 v3, v3, 10, v32
	v_and_b32_e32 v11, 7, v16
	v_and_or_b32 v1, v1, s30, v3
	v_cndmask_b32_e32 v4, v4, v11, vcc
	v_lshlrev_b32_e32 v1, 16, v1
	v_lshl_or_b32 v11, v4, 23, v1
.LBB261_689:                            ;   in Loop: Header=BB261_616 Depth=1
	s_or_b64 exec, exec, s[20:21]
.LBB261_690:                            ;   in Loop: Header=BB261_616 Depth=1
	s_or_b64 exec, exec, s[18:19]
.LBB261_691:                            ;   in Loop: Header=BB261_616 Depth=1
	s_or_b64 exec, exec, s[16:17]
	v_mov_b32_e32 v1, v10
	v_cmp_ne_u16_sdwa s[18:19], v10, v2 src0_sel:BYTE_0 src1_sel:DWORD
	v_mov_b32_e32 v3, 0
	v_mov_b32_e32 v4, 0
	s_and_saveexec_b64 s[16:17], s[18:19]
	s_cbranch_execz .LBB261_697
; %bb.692:                              ;   in Loop: Header=BB261_616 Depth=1
	v_cmp_ne_u16_sdwa s[20:21], v10, s28 src0_sel:BYTE_0 src1_sel:DWORD
	v_mov_b32_e32 v4, 0x8000
	s_and_saveexec_b64 s[18:19], s[20:21]
	s_cbranch_execz .LBB261_696
; %bb.693:                              ;   in Loop: Header=BB261_616 Depth=1
	v_and_b32_e32 v16, 0x7f, v10
	v_cmp_ne_u32_e32 vcc, s29, v16
	v_mov_b32_e32 v4, 0x7c01
	s_and_saveexec_b64 s[20:21], vcc
	s_cbranch_execz .LBB261_695
; %bb.694:                              ;   in Loop: Header=BB261_616 Depth=1
	v_and_b32_e32 v4, 7, v10
	v_ffbh_u32_e32 v14, v4
	v_min_u32_e32 v14, 32, v14
	v_lshrrev_b32_e32 v13, 3, v16
	v_subrev_u32_e32 v17, 28, v14
	v_sub_u32_e32 v14, 29, v14
	v_cmp_gt_u32_e32 vcc, 8, v16
	v_lshlrev_b64 v[46:47], v17, v[1:2]
	v_cndmask_b32_e32 v13, v13, v14, vcc
	v_lshl_add_u32 v13, v13, 10, v32
	v_lshlrev_b32_e32 v14, 8, v10
	v_and_b32_e32 v16, 7, v46
	v_and_b32_e32 v13, 0xfc00, v13
	v_cndmask_b32_e32 v4, v4, v16, vcc
	v_and_or_b32 v13, v14, s30, v13
	v_lshl_or_b32 v4, v4, 7, v13
.LBB261_695:                            ;   in Loop: Header=BB261_616 Depth=1
	s_or_b64 exec, exec, s[20:21]
.LBB261_696:                            ;   in Loop: Header=BB261_616 Depth=1
	s_or_b64 exec, exec, s[18:19]
.LBB261_697:                            ;   in Loop: Header=BB261_616 Depth=1
	s_or_b64 exec, exec, s[16:17]
	v_lshrrev_b16_e32 v1, 8, v1
	v_cmp_ne_u16_e32 vcc, 0, v1
	v_mov_b32_e32 v16, 0
	s_and_saveexec_b64 s[16:17], vcc
	s_cbranch_execz .LBB261_703
; %bb.698:                              ;   in Loop: Header=BB261_616 Depth=1
	v_cmp_ne_u16_e32 vcc, s28, v1
	v_bfrev_b32_e32 v16, 1
	s_and_saveexec_b64 s[18:19], vcc
	s_cbranch_execz .LBB261_702
; %bb.699:                              ;   in Loop: Header=BB261_616 Depth=1
	v_and_b32_e32 v17, 0x7f, v1
	v_cmp_ne_u32_e32 vcc, s29, v17
	v_mov_b32_e32 v16, 0x7c010000
	s_and_saveexec_b64 s[20:21], vcc
	s_cbranch_execz .LBB261_701
; %bb.700:                              ;   in Loop: Header=BB261_616 Depth=1
	v_and_b32_e32 v13, 7, v1
	v_ffbh_u32_e32 v16, v13
	v_min_u32_e32 v16, 32, v16
	v_lshrrev_b32_e32 v14, 3, v17
	v_subrev_u32_e32 v46, 28, v16
	v_sub_u32_e32 v16, 29, v16
	v_cmp_gt_u32_e32 vcc, 8, v17
	v_lshlrev_b64 v[46:47], v46, v[1:2]
	v_cndmask_b32_e32 v14, v14, v16, vcc
	v_lshlrev_b32_e32 v1, 8, v1
	v_lshl_add_u32 v14, v14, 10, v32
	v_and_b32_e32 v16, 7, v46
	v_and_or_b32 v1, v1, s30, v14
	v_cndmask_b32_e32 v13, v13, v16, vcc
	v_lshlrev_b32_e32 v1, 16, v1
	v_lshl_or_b32 v16, v13, 23, v1
.LBB261_701:                            ;   in Loop: Header=BB261_616 Depth=1
	s_or_b64 exec, exec, s[20:21]
.LBB261_702:                            ;   in Loop: Header=BB261_616 Depth=1
	s_or_b64 exec, exec, s[18:19]
.LBB261_703:                            ;   in Loop: Header=BB261_616 Depth=1
	s_or_b64 exec, exec, s[16:17]
	v_lshrrev_b32_e32 v1, 16, v10
	v_cmp_ne_u16_sdwa s[18:19], v1, v2 src0_sel:BYTE_0 src1_sel:DWORD
	s_and_saveexec_b64 s[16:17], s[18:19]
	s_cbranch_execz .LBB261_709
; %bb.704:                              ;   in Loop: Header=BB261_616 Depth=1
	v_cmp_ne_u16_sdwa s[20:21], v1, s28 src0_sel:BYTE_0 src1_sel:DWORD
	v_mov_b32_e32 v3, 0x8000
	s_and_saveexec_b64 s[18:19], s[20:21]
	s_cbranch_execz .LBB261_708
; %bb.705:                              ;   in Loop: Header=BB261_616 Depth=1
	v_bfe_u32 v17, v10, 16, 7
	v_cmp_ne_u32_e32 vcc, s29, v17
	v_mov_b32_e32 v3, 0x7c01
	s_and_saveexec_b64 s[20:21], vcc
	s_cbranch_execz .LBB261_707
; %bb.706:                              ;   in Loop: Header=BB261_616 Depth=1
	v_and_b32_e32 v3, 7, v1
	v_ffbh_u32_e32 v14, v3
	v_min_u32_e32 v14, 32, v14
	v_lshrrev_b32_e32 v13, 3, v17
	v_subrev_u32_e32 v46, 28, v14
	v_sub_u32_e32 v14, 29, v14
	v_cmp_gt_u32_e32 vcc, 8, v17
	v_lshlrev_b64 v[46:47], v46, v[1:2]
	v_cndmask_b32_e32 v13, v13, v14, vcc
	v_lshl_add_u32 v13, v13, 10, v32
	v_lshlrev_b32_e32 v1, 8, v1
	v_and_b32_e32 v14, 7, v46
	v_and_b32_e32 v13, 0xfc00, v13
	v_cndmask_b32_e32 v3, v3, v14, vcc
	v_and_or_b32 v1, v1, s30, v13
	v_lshl_or_b32 v3, v3, 7, v1
.LBB261_707:                            ;   in Loop: Header=BB261_616 Depth=1
	s_or_b64 exec, exec, s[20:21]
.LBB261_708:                            ;   in Loop: Header=BB261_616 Depth=1
	s_or_b64 exec, exec, s[18:19]
.LBB261_709:                            ;   in Loop: Header=BB261_616 Depth=1
	s_or_b64 exec, exec, s[16:17]
	v_cmp_lt_u64_e32 vcc, s[4:5], v[9:10]
	v_mov_b32_e32 v9, 0
	s_and_saveexec_b64 s[16:17], vcc
	s_cbranch_execz .LBB261_715
; %bb.710:                              ;   in Loop: Header=BB261_616 Depth=1
	v_lshrrev_b32_e32 v1, 24, v10
	v_cmp_ne_u32_e32 vcc, s28, v1
	v_bfrev_b32_e32 v9, 1
	s_and_saveexec_b64 s[18:19], vcc
	s_cbranch_execz .LBB261_714
; %bb.711:                              ;   in Loop: Header=BB261_616 Depth=1
	v_and_b32_e32 v10, 0x7f, v1
	v_cmp_ne_u32_e32 vcc, s29, v10
	v_mov_b32_e32 v9, 0x7c010000
	s_and_saveexec_b64 s[20:21], vcc
	s_cbranch_execz .LBB261_713
; %bb.712:                              ;   in Loop: Header=BB261_616 Depth=1
	v_and_b32_e32 v9, 7, v1
	v_ffbh_u32_e32 v14, v9
	v_min_u32_e32 v14, 32, v14
	v_lshrrev_b32_e32 v13, 3, v10
	v_subrev_u32_e32 v17, 28, v14
	v_sub_u32_e32 v14, 29, v14
	v_cmp_gt_u32_e32 vcc, 8, v10
	v_lshlrev_b64 v[46:47], v17, v[1:2]
	v_cndmask_b32_e32 v10, v13, v14, vcc
	v_lshlrev_b32_e32 v1, 8, v1
	v_lshl_add_u32 v10, v10, 10, v32
	v_and_b32_e32 v13, 7, v46
	v_and_or_b32 v1, v1, s30, v10
	v_cndmask_b32_e32 v9, v9, v13, vcc
	v_lshlrev_b32_e32 v1, 16, v1
	v_lshl_or_b32 v9, v9, 23, v1
.LBB261_713:                            ;   in Loop: Header=BB261_616 Depth=1
	s_or_b64 exec, exec, s[20:21]
.LBB261_714:                            ;   in Loop: Header=BB261_616 Depth=1
	s_or_b64 exec, exec, s[18:19]
.LBB261_715:                            ;   in Loop: Header=BB261_616 Depth=1
	s_or_b64 exec, exec, s[16:17]
	s_waitcnt vmcnt(0)
	v_fma_mixlo_f16 v10, v0, v11, 0 op_sel:[0,1,0] op_sel_hi:[0,1,0]
	v_or_b32_e32 v1, v11, v31
	v_lshlrev_b32_e32 v11, 16, v10
	v_or_b32_e32 v10, v18, v45
	v_fma_mixlo_f16 v13, v0, v18, 0 op_sel:[0,1,0] op_sel_hi:[0,1,0]
	v_or_b32_e32 v4, v16, v4
	v_or_b32_e32 v3, v9, v3
	v_fma_mixlo_f16 v1, v0, v1, 0 op_sel_hi:[0,1,0]
	v_lshlrev_b32_e32 v18, 16, v13
	v_fma_mixlo_f16 v10, v0, v10, 0 op_sel_hi:[0,1,0]
	v_fma_mixlo_f16 v13, v0, v16, 0 op_sel:[0,1,0] op_sel_hi:[0,1,0]
	v_fma_mixlo_f16 v4, v0, v4, 0 op_sel_hi:[0,1,0]
	v_fma_mixlo_f16 v3, v0, v3, 0 op_sel_hi:[0,1,0]
	v_fma_mixlo_f16 v0, v0, v9, 0 op_sel:[0,1,0] op_sel_hi:[0,1,0]
	v_and_b32_e32 v17, 0xffff, v1
	v_and_b32_e32 v45, 0xffff, v10
	v_lshlrev_b32_e32 v16, 16, v13
	v_and_b32_e32 v31, 0xffff, v4
	v_lshlrev_b32_e32 v0, 16, v0
	v_and_b32_e32 v3, 0xffff, v3
	v_or_b32_e32 v1, v11, v17
	v_or_b32_e32 v10, v18, v45
	;; [unrolled: 1-line block ×4, first 2 shown]
	s_and_saveexec_b64 s[16:17], s[0:1]
	s_cbranch_execz .LBB261_717
; %bb.716:                              ;   in Loop: Header=BB261_616 Depth=1
	v_cmp_gt_i32_e32 vcc, s33, v33
	v_cndmask_b32_e32 v1, 0, v45, vcc
	v_cmp_gt_i32_e32 vcc, s33, v44
	v_cndmask_b32_e32 v4, 0, v18, vcc
	v_cmp_gt_i32_e32 vcc, s33, v43
	v_or_b32_e32 v10, v4, v1
	v_cndmask_b32_e32 v1, 0, v17, vcc
	v_cmp_gt_i32_e32 vcc, s33, v42
	v_cndmask_b32_e32 v4, 0, v11, vcc
	v_cmp_gt_i32_e32 vcc, s33, v40
	v_or_b32_e32 v1, v4, v1
	v_cndmask_b32_e32 v4, 0, v31, vcc
	v_cmp_gt_i32_e32 vcc, s33, v38
	v_cndmask_b32_e32 v9, 0, v16, vcc
	v_cmp_gt_i32_e32 vcc, s33, v35
	;; [unrolled: 2-line block ×3, first 2 shown]
	v_cndmask_b32_e32 v0, 0, v0, vcc
	v_or_b32_e32 v4, v9, v4
	v_or_b32_e32 v9, v0, v3
.LBB261_717:                            ;   in Loop: Header=BB261_616 Depth=1
	s_or_b64 exec, exec, s[16:17]
	;;#ASMSTART
	v_pk_mul_f16 v0, v41, v10;

	;;#ASMEND
	;;#ASMSTART
	v_pk_mul_f16 v1, v39, v1;

	;;#ASMEND
	;; [unrolled: 4-line block ×4, first 2 shown]
	;;#ASMSTART
	v_pk_add_f16 v0, v0, v1;

	;;#ASMEND
	;;#ASMSTART
	v_pk_add_f16 v0, v0, v3;

	;;#ASMEND
	;; [unrolled: 4-line block ×3, first 2 shown]
	v_lshrrev_b32_e32 v1, 16, v0
	v_and_b32_e32 v0, 0xffff, v0
	;;#ASMSTART
	v_cvt_f32_f16 v47, v0;
	;;#ASMEND
	;;#ASMSTART
	v_cvt_f32_f16 v48, v1;
	;;#ASMEND
	global_load_dwordx2 v[9:10], v[7:8], off offset:1024
	v_mov_b32_e32 v18, 0
	global_load_dword v0, v18, s[14:15]
	v_mov_b32_e32 v45, 0
	s_waitcnt vmcnt(1)
	v_cmp_ne_u16_sdwa s[18:19], v9, v2 src0_sel:BYTE_0 src1_sel:DWORD
	s_and_saveexec_b64 s[16:17], s[18:19]
	s_cbranch_execz .LBB261_723
; %bb.718:                              ;   in Loop: Header=BB261_616 Depth=1
	v_cmp_ne_u16_sdwa s[20:21], v9, s28 src0_sel:BYTE_0 src1_sel:DWORD
	v_mov_b32_e32 v45, 0x8000
	s_and_saveexec_b64 s[18:19], s[20:21]
	s_cbranch_execz .LBB261_722
; %bb.719:                              ;   in Loop: Header=BB261_616 Depth=1
	v_and_b32_e32 v1, 0x7f, v9
	v_cmp_ne_u32_e32 vcc, s29, v1
	v_mov_b32_e32 v45, 0x7c01
	s_and_saveexec_b64 s[20:21], vcc
	s_cbranch_execz .LBB261_721
; %bb.720:                              ;   in Loop: Header=BB261_616 Depth=1
	v_and_b32_e32 v11, 7, v9
	v_ffbh_u32_e32 v3, v11
	v_min_u32_e32 v14, 32, v3
	v_subrev_u32_e32 v3, 28, v14
	v_lshlrev_b64 v[3:4], v3, v[9:10]
	v_lshrrev_b32_e32 v13, 3, v1
	v_sub_u32_e32 v4, 29, v14
	v_cmp_gt_u32_e32 vcc, 8, v1
	v_cndmask_b32_e32 v1, v13, v4, vcc
	v_lshl_add_u32 v1, v1, 10, v32
	v_lshlrev_b32_e32 v4, 8, v9
	v_and_b32_e32 v3, 7, v3
	v_and_b32_e32 v1, 0xfc00, v1
	v_cndmask_b32_e32 v3, v11, v3, vcc
	v_and_or_b32 v1, v4, s30, v1
	v_lshl_or_b32 v45, v3, 7, v1
.LBB261_721:                            ;   in Loop: Header=BB261_616 Depth=1
	s_or_b64 exec, exec, s[20:21]
.LBB261_722:                            ;   in Loop: Header=BB261_616 Depth=1
	s_or_b64 exec, exec, s[18:19]
.LBB261_723:                            ;   in Loop: Header=BB261_616 Depth=1
	s_or_b64 exec, exec, s[16:17]
	v_lshrrev_b16_e32 v1, 8, v9
	v_cmp_ne_u16_e32 vcc, 0, v1
	s_and_saveexec_b64 s[16:17], vcc
	s_cbranch_execz .LBB261_729
; %bb.724:                              ;   in Loop: Header=BB261_616 Depth=1
	v_cmp_ne_u16_e32 vcc, s28, v1
	v_bfrev_b32_e32 v18, 1
	s_and_saveexec_b64 s[18:19], vcc
	s_cbranch_execz .LBB261_728
; %bb.725:                              ;   in Loop: Header=BB261_616 Depth=1
	v_and_b32_e32 v3, 0x7f, v1
	v_cmp_ne_u32_e32 vcc, s29, v3
	v_mov_b32_e32 v18, 0x7c010000
	s_and_saveexec_b64 s[20:21], vcc
	s_cbranch_execz .LBB261_727
; %bb.726:                              ;   in Loop: Header=BB261_616 Depth=1
	v_and_b32_e32 v4, 7, v1
	v_ffbh_u32_e32 v13, v4
	v_min_u32_e32 v13, 32, v13
	v_lshrrev_b32_e32 v11, 3, v3
	v_subrev_u32_e32 v14, 28, v13
	v_sub_u32_e32 v13, 29, v13
	v_cmp_gt_u32_e32 vcc, 8, v3
	v_lshlrev_b64 v[16:17], v14, v[1:2]
	v_cndmask_b32_e32 v3, v11, v13, vcc
	v_lshlrev_b32_e32 v1, 8, v1
	v_lshl_add_u32 v3, v3, 10, v32
	v_and_b32_e32 v11, 7, v16
	v_and_or_b32 v1, v1, s30, v3
	v_cndmask_b32_e32 v4, v4, v11, vcc
	v_lshlrev_b32_e32 v1, 16, v1
	v_lshl_or_b32 v18, v4, 23, v1
.LBB261_727:                            ;   in Loop: Header=BB261_616 Depth=1
	s_or_b64 exec, exec, s[20:21]
.LBB261_728:                            ;   in Loop: Header=BB261_616 Depth=1
	s_or_b64 exec, exec, s[18:19]
.LBB261_729:                            ;   in Loop: Header=BB261_616 Depth=1
	s_or_b64 exec, exec, s[16:17]
	v_lshrrev_b32_e32 v1, 16, v9
	v_cmp_ne_u16_sdwa s[18:19], v1, v2 src0_sel:BYTE_0 src1_sel:DWORD
	v_mov_b32_e32 v11, 0
	v_mov_b32_e32 v31, 0
	s_and_saveexec_b64 s[16:17], s[18:19]
	s_cbranch_execz .LBB261_735
; %bb.730:                              ;   in Loop: Header=BB261_616 Depth=1
	v_cmp_ne_u16_sdwa s[20:21], v1, s28 src0_sel:BYTE_0 src1_sel:DWORD
	v_mov_b32_e32 v31, 0x8000
	s_and_saveexec_b64 s[18:19], s[20:21]
	s_cbranch_execz .LBB261_734
; %bb.731:                              ;   in Loop: Header=BB261_616 Depth=1
	v_bfe_u32 v3, v9, 16, 7
	v_cmp_ne_u32_e32 vcc, s29, v3
	v_mov_b32_e32 v31, 0x7c01
	s_and_saveexec_b64 s[20:21], vcc
	s_cbranch_execz .LBB261_733
; %bb.732:                              ;   in Loop: Header=BB261_616 Depth=1
	v_and_b32_e32 v4, 7, v1
	v_ffbh_u32_e32 v14, v4
	v_min_u32_e32 v14, 32, v14
	v_lshrrev_b32_e32 v13, 3, v3
	v_subrev_u32_e32 v16, 28, v14
	v_sub_u32_e32 v14, 29, v14
	v_cmp_gt_u32_e32 vcc, 8, v3
	v_lshlrev_b64 v[16:17], v16, v[1:2]
	v_cndmask_b32_e32 v3, v13, v14, vcc
	v_lshl_add_u32 v3, v3, 10, v32
	v_lshlrev_b32_e32 v1, 8, v1
	v_and_b32_e32 v13, 7, v16
	v_and_b32_e32 v3, 0xfc00, v3
	v_cndmask_b32_e32 v4, v4, v13, vcc
	v_and_or_b32 v1, v1, s30, v3
	v_lshl_or_b32 v31, v4, 7, v1
.LBB261_733:                            ;   in Loop: Header=BB261_616 Depth=1
	s_or_b64 exec, exec, s[20:21]
.LBB261_734:                            ;   in Loop: Header=BB261_616 Depth=1
	s_or_b64 exec, exec, s[18:19]
.LBB261_735:                            ;   in Loop: Header=BB261_616 Depth=1
	s_or_b64 exec, exec, s[16:17]
	v_cmp_lt_u32_e32 vcc, s5, v9
	s_and_saveexec_b64 s[16:17], vcc
	s_cbranch_execz .LBB261_741
; %bb.736:                              ;   in Loop: Header=BB261_616 Depth=1
	v_lshrrev_b32_e32 v1, 24, v9
	v_cmp_ne_u32_e32 vcc, s28, v1
	v_bfrev_b32_e32 v11, 1
	s_and_saveexec_b64 s[18:19], vcc
	s_cbranch_execz .LBB261_740
; %bb.737:                              ;   in Loop: Header=BB261_616 Depth=1
	v_and_b32_e32 v3, 0x7f, v1
	v_cmp_ne_u32_e32 vcc, s29, v3
	v_mov_b32_e32 v11, 0x7c010000
	s_and_saveexec_b64 s[20:21], vcc
	s_cbranch_execz .LBB261_739
; %bb.738:                              ;   in Loop: Header=BB261_616 Depth=1
	v_and_b32_e32 v4, 7, v1
	v_ffbh_u32_e32 v13, v4
	v_min_u32_e32 v13, 32, v13
	v_lshrrev_b32_e32 v11, 3, v3
	v_subrev_u32_e32 v14, 28, v13
	v_sub_u32_e32 v13, 29, v13
	v_cmp_gt_u32_e32 vcc, 8, v3
	v_lshlrev_b64 v[16:17], v14, v[1:2]
	v_cndmask_b32_e32 v3, v11, v13, vcc
	v_lshlrev_b32_e32 v1, 8, v1
	v_lshl_add_u32 v3, v3, 10, v32
	v_and_b32_e32 v11, 7, v16
	v_and_or_b32 v1, v1, s30, v3
	v_cndmask_b32_e32 v4, v4, v11, vcc
	v_lshlrev_b32_e32 v1, 16, v1
	v_lshl_or_b32 v11, v4, 23, v1
.LBB261_739:                            ;   in Loop: Header=BB261_616 Depth=1
	s_or_b64 exec, exec, s[20:21]
.LBB261_740:                            ;   in Loop: Header=BB261_616 Depth=1
	s_or_b64 exec, exec, s[18:19]
.LBB261_741:                            ;   in Loop: Header=BB261_616 Depth=1
	s_or_b64 exec, exec, s[16:17]
	v_mov_b32_e32 v1, v10
	v_cmp_ne_u16_sdwa s[18:19], v10, v2 src0_sel:BYTE_0 src1_sel:DWORD
	v_mov_b32_e32 v3, 0
	v_mov_b32_e32 v4, 0
	s_and_saveexec_b64 s[16:17], s[18:19]
	s_cbranch_execz .LBB261_747
; %bb.742:                              ;   in Loop: Header=BB261_616 Depth=1
	v_cmp_ne_u16_sdwa s[20:21], v10, s28 src0_sel:BYTE_0 src1_sel:DWORD
	v_mov_b32_e32 v4, 0x8000
	s_and_saveexec_b64 s[18:19], s[20:21]
	s_cbranch_execz .LBB261_746
; %bb.743:                              ;   in Loop: Header=BB261_616 Depth=1
	v_and_b32_e32 v16, 0x7f, v10
	v_cmp_ne_u32_e32 vcc, s29, v16
	v_mov_b32_e32 v4, 0x7c01
	s_and_saveexec_b64 s[20:21], vcc
	s_cbranch_execz .LBB261_745
; %bb.744:                              ;   in Loop: Header=BB261_616 Depth=1
	v_and_b32_e32 v4, 7, v10
	v_ffbh_u32_e32 v14, v4
	v_min_u32_e32 v14, 32, v14
	v_lshrrev_b32_e32 v13, 3, v16
	v_subrev_u32_e32 v17, 28, v14
	v_sub_u32_e32 v14, 29, v14
	v_cmp_gt_u32_e32 vcc, 8, v16
	v_lshlrev_b64 v[49:50], v17, v[1:2]
	v_cndmask_b32_e32 v13, v13, v14, vcc
	v_lshl_add_u32 v13, v13, 10, v32
	v_lshlrev_b32_e32 v14, 8, v10
	v_and_b32_e32 v16, 7, v49
	v_and_b32_e32 v13, 0xfc00, v13
	v_cndmask_b32_e32 v4, v4, v16, vcc
	v_and_or_b32 v13, v14, s30, v13
	v_lshl_or_b32 v4, v4, 7, v13
.LBB261_745:                            ;   in Loop: Header=BB261_616 Depth=1
	s_or_b64 exec, exec, s[20:21]
.LBB261_746:                            ;   in Loop: Header=BB261_616 Depth=1
	s_or_b64 exec, exec, s[18:19]
.LBB261_747:                            ;   in Loop: Header=BB261_616 Depth=1
	s_or_b64 exec, exec, s[16:17]
	v_lshrrev_b16_e32 v1, 8, v1
	v_cmp_ne_u16_e32 vcc, 0, v1
	v_mov_b32_e32 v16, 0
	s_and_saveexec_b64 s[16:17], vcc
	s_cbranch_execz .LBB261_753
; %bb.748:                              ;   in Loop: Header=BB261_616 Depth=1
	v_cmp_ne_u16_e32 vcc, s28, v1
	v_bfrev_b32_e32 v16, 1
	s_and_saveexec_b64 s[18:19], vcc
	s_cbranch_execz .LBB261_752
; %bb.749:                              ;   in Loop: Header=BB261_616 Depth=1
	v_and_b32_e32 v17, 0x7f, v1
	v_cmp_ne_u32_e32 vcc, s29, v17
	v_mov_b32_e32 v16, 0x7c010000
	s_and_saveexec_b64 s[20:21], vcc
	s_cbranch_execz .LBB261_751
; %bb.750:                              ;   in Loop: Header=BB261_616 Depth=1
	v_and_b32_e32 v13, 7, v1
	v_ffbh_u32_e32 v16, v13
	v_min_u32_e32 v16, 32, v16
	v_lshrrev_b32_e32 v14, 3, v17
	v_subrev_u32_e32 v46, 28, v16
	v_sub_u32_e32 v16, 29, v16
	v_cmp_gt_u32_e32 vcc, 8, v17
	v_lshlrev_b64 v[49:50], v46, v[1:2]
	v_cndmask_b32_e32 v14, v14, v16, vcc
	v_lshlrev_b32_e32 v1, 8, v1
	v_lshl_add_u32 v14, v14, 10, v32
	v_and_b32_e32 v16, 7, v49
	v_and_or_b32 v1, v1, s30, v14
	v_cndmask_b32_e32 v13, v13, v16, vcc
	v_lshlrev_b32_e32 v1, 16, v1
	v_lshl_or_b32 v16, v13, 23, v1
.LBB261_751:                            ;   in Loop: Header=BB261_616 Depth=1
	s_or_b64 exec, exec, s[20:21]
.LBB261_752:                            ;   in Loop: Header=BB261_616 Depth=1
	s_or_b64 exec, exec, s[18:19]
.LBB261_753:                            ;   in Loop: Header=BB261_616 Depth=1
	s_or_b64 exec, exec, s[16:17]
	v_lshrrev_b32_e32 v1, 16, v10
	v_cmp_ne_u16_sdwa s[18:19], v1, v2 src0_sel:BYTE_0 src1_sel:DWORD
	s_and_saveexec_b64 s[16:17], s[18:19]
	s_cbranch_execz .LBB261_759
; %bb.754:                              ;   in Loop: Header=BB261_616 Depth=1
	v_cmp_ne_u16_sdwa s[20:21], v1, s28 src0_sel:BYTE_0 src1_sel:DWORD
	v_mov_b32_e32 v3, 0x8000
	s_and_saveexec_b64 s[18:19], s[20:21]
	s_cbranch_execz .LBB261_758
; %bb.755:                              ;   in Loop: Header=BB261_616 Depth=1
	v_bfe_u32 v17, v10, 16, 7
	v_cmp_ne_u32_e32 vcc, s29, v17
	v_mov_b32_e32 v3, 0x7c01
	s_and_saveexec_b64 s[20:21], vcc
	s_cbranch_execz .LBB261_757
; %bb.756:                              ;   in Loop: Header=BB261_616 Depth=1
	v_and_b32_e32 v3, 7, v1
	v_ffbh_u32_e32 v14, v3
	v_min_u32_e32 v14, 32, v14
	v_lshrrev_b32_e32 v13, 3, v17
	v_subrev_u32_e32 v46, 28, v14
	v_sub_u32_e32 v14, 29, v14
	v_cmp_gt_u32_e32 vcc, 8, v17
	v_lshlrev_b64 v[49:50], v46, v[1:2]
	v_cndmask_b32_e32 v13, v13, v14, vcc
	v_lshl_add_u32 v13, v13, 10, v32
	v_lshlrev_b32_e32 v1, 8, v1
	v_and_b32_e32 v14, 7, v49
	v_and_b32_e32 v13, 0xfc00, v13
	v_cndmask_b32_e32 v3, v3, v14, vcc
	v_and_or_b32 v1, v1, s30, v13
	v_lshl_or_b32 v3, v3, 7, v1
.LBB261_757:                            ;   in Loop: Header=BB261_616 Depth=1
	s_or_b64 exec, exec, s[20:21]
.LBB261_758:                            ;   in Loop: Header=BB261_616 Depth=1
	s_or_b64 exec, exec, s[18:19]
.LBB261_759:                            ;   in Loop: Header=BB261_616 Depth=1
	s_or_b64 exec, exec, s[16:17]
	v_cmp_lt_u64_e32 vcc, s[4:5], v[9:10]
	v_mov_b32_e32 v9, 0
	s_and_saveexec_b64 s[16:17], vcc
	s_cbranch_execz .LBB261_765
; %bb.760:                              ;   in Loop: Header=BB261_616 Depth=1
	v_lshrrev_b32_e32 v1, 24, v10
	v_cmp_ne_u32_e32 vcc, s28, v1
	v_bfrev_b32_e32 v9, 1
	s_and_saveexec_b64 s[18:19], vcc
	s_cbranch_execz .LBB261_764
; %bb.761:                              ;   in Loop: Header=BB261_616 Depth=1
	v_and_b32_e32 v10, 0x7f, v1
	v_cmp_ne_u32_e32 vcc, s29, v10
	v_mov_b32_e32 v9, 0x7c010000
	s_and_saveexec_b64 s[20:21], vcc
	s_cbranch_execz .LBB261_763
; %bb.762:                              ;   in Loop: Header=BB261_616 Depth=1
	v_and_b32_e32 v9, 7, v1
	v_ffbh_u32_e32 v14, v9
	v_min_u32_e32 v14, 32, v14
	v_lshrrev_b32_e32 v13, 3, v10
	v_subrev_u32_e32 v17, 28, v14
	v_sub_u32_e32 v14, 29, v14
	v_cmp_gt_u32_e32 vcc, 8, v10
	v_lshlrev_b64 v[49:50], v17, v[1:2]
	v_cndmask_b32_e32 v10, v13, v14, vcc
	v_lshlrev_b32_e32 v1, 8, v1
	v_lshl_add_u32 v10, v10, 10, v32
	v_and_b32_e32 v13, 7, v49
	v_and_or_b32 v1, v1, s30, v10
	v_cndmask_b32_e32 v9, v9, v13, vcc
	v_lshlrev_b32_e32 v1, 16, v1
	v_lshl_or_b32 v9, v9, 23, v1
.LBB261_763:                            ;   in Loop: Header=BB261_616 Depth=1
	s_or_b64 exec, exec, s[20:21]
.LBB261_764:                            ;   in Loop: Header=BB261_616 Depth=1
	s_or_b64 exec, exec, s[18:19]
.LBB261_765:                            ;   in Loop: Header=BB261_616 Depth=1
	s_or_b64 exec, exec, s[16:17]
	s_waitcnt vmcnt(0)
	v_fma_mixlo_f16 v10, v0, v11, 0 op_sel:[0,1,0] op_sel_hi:[0,1,0]
	v_or_b32_e32 v1, v11, v31
	v_lshlrev_b32_e32 v11, 16, v10
	v_or_b32_e32 v10, v18, v45
	v_fma_mixlo_f16 v13, v0, v18, 0 op_sel:[0,1,0] op_sel_hi:[0,1,0]
	v_or_b32_e32 v4, v16, v4
	v_or_b32_e32 v3, v9, v3
	v_fma_mixlo_f16 v1, v0, v1, 0 op_sel_hi:[0,1,0]
	v_lshlrev_b32_e32 v18, 16, v13
	v_fma_mixlo_f16 v10, v0, v10, 0 op_sel_hi:[0,1,0]
	v_fma_mixlo_f16 v13, v0, v16, 0 op_sel:[0,1,0] op_sel_hi:[0,1,0]
	v_fma_mixlo_f16 v4, v0, v4, 0 op_sel_hi:[0,1,0]
	v_fma_mixlo_f16 v3, v0, v3, 0 op_sel_hi:[0,1,0]
	v_fma_mixlo_f16 v0, v0, v9, 0 op_sel:[0,1,0] op_sel_hi:[0,1,0]
	v_and_b32_e32 v17, 0xffff, v1
	v_and_b32_e32 v45, 0xffff, v10
	v_lshlrev_b32_e32 v16, 16, v13
	v_and_b32_e32 v31, 0xffff, v4
	v_lshlrev_b32_e32 v0, 16, v0
	v_and_b32_e32 v3, 0xffff, v3
	v_or_b32_e32 v1, v11, v17
	v_or_b32_e32 v10, v18, v45
	;; [unrolled: 1-line block ×4, first 2 shown]
	s_and_saveexec_b64 s[16:17], s[0:1]
	s_cbranch_execz .LBB261_767
; %bb.766:                              ;   in Loop: Header=BB261_616 Depth=1
	v_cmp_gt_i32_e32 vcc, s33, v33
	v_cndmask_b32_e32 v1, 0, v45, vcc
	v_cmp_gt_i32_e32 vcc, s33, v44
	v_cndmask_b32_e32 v4, 0, v18, vcc
	v_cmp_gt_i32_e32 vcc, s33, v43
	v_or_b32_e32 v10, v4, v1
	v_cndmask_b32_e32 v1, 0, v17, vcc
	v_cmp_gt_i32_e32 vcc, s33, v42
	v_cndmask_b32_e32 v4, 0, v11, vcc
	v_cmp_gt_i32_e32 vcc, s33, v40
	v_or_b32_e32 v1, v4, v1
	v_cndmask_b32_e32 v4, 0, v31, vcc
	v_cmp_gt_i32_e32 vcc, s33, v38
	v_cndmask_b32_e32 v9, 0, v16, vcc
	v_cmp_gt_i32_e32 vcc, s33, v35
	;; [unrolled: 2-line block ×3, first 2 shown]
	v_cndmask_b32_e32 v0, 0, v0, vcc
	v_or_b32_e32 v4, v9, v4
	v_or_b32_e32 v9, v0, v3
.LBB261_767:                            ;   in Loop: Header=BB261_616 Depth=1
	s_or_b64 exec, exec, s[16:17]
	;;#ASMSTART
	v_pk_mul_f16 v0, v41, v10;

	;;#ASMEND
	;;#ASMSTART
	v_pk_mul_f16 v1, v39, v1;

	;;#ASMEND
	;; [unrolled: 4-line block ×4, first 2 shown]
	;;#ASMSTART
	v_pk_add_f16 v0, v0, v1;

	;;#ASMEND
	;;#ASMSTART
	v_pk_add_f16 v0, v0, v3;

	;;#ASMEND
	;; [unrolled: 4-line block ×3, first 2 shown]
	v_lshrrev_b32_e32 v1, 16, v0
	v_and_b32_e32 v0, 0xffff, v0
	;;#ASMSTART
	v_cvt_f32_f16 v49, v0;
	;;#ASMEND
	;;#ASMSTART
	v_cvt_f32_f16 v50, v1;
	;;#ASMEND
	global_load_dwordx2 v[9:10], v[7:8], off offset:1536
	v_mov_b32_e32 v18, 0
	global_load_dword v0, v18, s[14:15]
	v_mov_b32_e32 v45, 0
	s_waitcnt vmcnt(1)
	v_cmp_ne_u16_sdwa s[18:19], v9, v2 src0_sel:BYTE_0 src1_sel:DWORD
	s_and_saveexec_b64 s[16:17], s[18:19]
	s_cbranch_execz .LBB261_773
; %bb.768:                              ;   in Loop: Header=BB261_616 Depth=1
	v_cmp_ne_u16_sdwa s[20:21], v9, s28 src0_sel:BYTE_0 src1_sel:DWORD
	v_mov_b32_e32 v45, 0x8000
	s_and_saveexec_b64 s[18:19], s[20:21]
	s_cbranch_execz .LBB261_772
; %bb.769:                              ;   in Loop: Header=BB261_616 Depth=1
	v_and_b32_e32 v1, 0x7f, v9
	v_cmp_ne_u32_e32 vcc, s29, v1
	v_mov_b32_e32 v45, 0x7c01
	s_and_saveexec_b64 s[20:21], vcc
	s_cbranch_execz .LBB261_771
; %bb.770:                              ;   in Loop: Header=BB261_616 Depth=1
	v_and_b32_e32 v11, 7, v9
	v_ffbh_u32_e32 v3, v11
	v_min_u32_e32 v14, 32, v3
	v_subrev_u32_e32 v3, 28, v14
	v_lshlrev_b64 v[3:4], v3, v[9:10]
	v_lshrrev_b32_e32 v13, 3, v1
	v_sub_u32_e32 v4, 29, v14
	v_cmp_gt_u32_e32 vcc, 8, v1
	v_cndmask_b32_e32 v1, v13, v4, vcc
	v_lshl_add_u32 v1, v1, 10, v32
	v_lshlrev_b32_e32 v4, 8, v9
	v_and_b32_e32 v3, 7, v3
	v_and_b32_e32 v1, 0xfc00, v1
	v_cndmask_b32_e32 v3, v11, v3, vcc
	v_and_or_b32 v1, v4, s30, v1
	v_lshl_or_b32 v45, v3, 7, v1
.LBB261_771:                            ;   in Loop: Header=BB261_616 Depth=1
	s_or_b64 exec, exec, s[20:21]
.LBB261_772:                            ;   in Loop: Header=BB261_616 Depth=1
	s_or_b64 exec, exec, s[18:19]
.LBB261_773:                            ;   in Loop: Header=BB261_616 Depth=1
	s_or_b64 exec, exec, s[16:17]
	v_lshrrev_b16_e32 v1, 8, v9
	v_cmp_ne_u16_e32 vcc, 0, v1
	s_and_saveexec_b64 s[16:17], vcc
	s_cbranch_execz .LBB261_779
; %bb.774:                              ;   in Loop: Header=BB261_616 Depth=1
	v_cmp_ne_u16_e32 vcc, s28, v1
	v_bfrev_b32_e32 v18, 1
	s_and_saveexec_b64 s[18:19], vcc
	s_cbranch_execz .LBB261_778
; %bb.775:                              ;   in Loop: Header=BB261_616 Depth=1
	v_and_b32_e32 v3, 0x7f, v1
	v_cmp_ne_u32_e32 vcc, s29, v3
	v_mov_b32_e32 v18, 0x7c010000
	s_and_saveexec_b64 s[20:21], vcc
	s_cbranch_execz .LBB261_777
; %bb.776:                              ;   in Loop: Header=BB261_616 Depth=1
	v_and_b32_e32 v4, 7, v1
	v_ffbh_u32_e32 v13, v4
	v_min_u32_e32 v13, 32, v13
	v_lshrrev_b32_e32 v11, 3, v3
	v_subrev_u32_e32 v14, 28, v13
	v_sub_u32_e32 v13, 29, v13
	v_cmp_gt_u32_e32 vcc, 8, v3
	v_lshlrev_b64 v[16:17], v14, v[1:2]
	v_cndmask_b32_e32 v3, v11, v13, vcc
	v_lshlrev_b32_e32 v1, 8, v1
	v_lshl_add_u32 v3, v3, 10, v32
	v_and_b32_e32 v11, 7, v16
	v_and_or_b32 v1, v1, s30, v3
	v_cndmask_b32_e32 v4, v4, v11, vcc
	v_lshlrev_b32_e32 v1, 16, v1
	v_lshl_or_b32 v18, v4, 23, v1
.LBB261_777:                            ;   in Loop: Header=BB261_616 Depth=1
	s_or_b64 exec, exec, s[20:21]
.LBB261_778:                            ;   in Loop: Header=BB261_616 Depth=1
	s_or_b64 exec, exec, s[18:19]
.LBB261_779:                            ;   in Loop: Header=BB261_616 Depth=1
	s_or_b64 exec, exec, s[16:17]
	v_lshrrev_b32_e32 v1, 16, v9
	v_cmp_ne_u16_sdwa s[18:19], v1, v2 src0_sel:BYTE_0 src1_sel:DWORD
	v_mov_b32_e32 v11, 0
	v_mov_b32_e32 v31, 0
	s_and_saveexec_b64 s[16:17], s[18:19]
	s_cbranch_execz .LBB261_785
; %bb.780:                              ;   in Loop: Header=BB261_616 Depth=1
	v_cmp_ne_u16_sdwa s[20:21], v1, s28 src0_sel:BYTE_0 src1_sel:DWORD
	v_mov_b32_e32 v31, 0x8000
	s_and_saveexec_b64 s[18:19], s[20:21]
	s_cbranch_execz .LBB261_784
; %bb.781:                              ;   in Loop: Header=BB261_616 Depth=1
	v_bfe_u32 v3, v9, 16, 7
	v_cmp_ne_u32_e32 vcc, s29, v3
	v_mov_b32_e32 v31, 0x7c01
	s_and_saveexec_b64 s[20:21], vcc
	s_cbranch_execz .LBB261_783
; %bb.782:                              ;   in Loop: Header=BB261_616 Depth=1
	v_and_b32_e32 v4, 7, v1
	v_ffbh_u32_e32 v14, v4
	v_min_u32_e32 v14, 32, v14
	v_lshrrev_b32_e32 v13, 3, v3
	v_subrev_u32_e32 v16, 28, v14
	v_sub_u32_e32 v14, 29, v14
	v_cmp_gt_u32_e32 vcc, 8, v3
	v_lshlrev_b64 v[16:17], v16, v[1:2]
	v_cndmask_b32_e32 v3, v13, v14, vcc
	v_lshl_add_u32 v3, v3, 10, v32
	v_lshlrev_b32_e32 v1, 8, v1
	v_and_b32_e32 v13, 7, v16
	v_and_b32_e32 v3, 0xfc00, v3
	v_cndmask_b32_e32 v4, v4, v13, vcc
	v_and_or_b32 v1, v1, s30, v3
	v_lshl_or_b32 v31, v4, 7, v1
.LBB261_783:                            ;   in Loop: Header=BB261_616 Depth=1
	s_or_b64 exec, exec, s[20:21]
.LBB261_784:                            ;   in Loop: Header=BB261_616 Depth=1
	s_or_b64 exec, exec, s[18:19]
.LBB261_785:                            ;   in Loop: Header=BB261_616 Depth=1
	s_or_b64 exec, exec, s[16:17]
	v_cmp_lt_u32_e32 vcc, s5, v9
	s_and_saveexec_b64 s[16:17], vcc
	s_cbranch_execz .LBB261_791
; %bb.786:                              ;   in Loop: Header=BB261_616 Depth=1
	v_lshrrev_b32_e32 v1, 24, v9
	v_cmp_ne_u32_e32 vcc, s28, v1
	v_bfrev_b32_e32 v11, 1
	s_and_saveexec_b64 s[18:19], vcc
	s_cbranch_execz .LBB261_790
; %bb.787:                              ;   in Loop: Header=BB261_616 Depth=1
	v_and_b32_e32 v3, 0x7f, v1
	v_cmp_ne_u32_e32 vcc, s29, v3
	v_mov_b32_e32 v11, 0x7c010000
	s_and_saveexec_b64 s[20:21], vcc
	s_cbranch_execz .LBB261_789
; %bb.788:                              ;   in Loop: Header=BB261_616 Depth=1
	v_and_b32_e32 v4, 7, v1
	v_ffbh_u32_e32 v13, v4
	v_min_u32_e32 v13, 32, v13
	v_lshrrev_b32_e32 v11, 3, v3
	v_subrev_u32_e32 v14, 28, v13
	v_sub_u32_e32 v13, 29, v13
	v_cmp_gt_u32_e32 vcc, 8, v3
	v_lshlrev_b64 v[16:17], v14, v[1:2]
	v_cndmask_b32_e32 v3, v11, v13, vcc
	v_lshlrev_b32_e32 v1, 8, v1
	v_lshl_add_u32 v3, v3, 10, v32
	v_and_b32_e32 v11, 7, v16
	v_and_or_b32 v1, v1, s30, v3
	v_cndmask_b32_e32 v4, v4, v11, vcc
	v_lshlrev_b32_e32 v1, 16, v1
	v_lshl_or_b32 v11, v4, 23, v1
.LBB261_789:                            ;   in Loop: Header=BB261_616 Depth=1
	s_or_b64 exec, exec, s[20:21]
.LBB261_790:                            ;   in Loop: Header=BB261_616 Depth=1
	s_or_b64 exec, exec, s[18:19]
.LBB261_791:                            ;   in Loop: Header=BB261_616 Depth=1
	s_or_b64 exec, exec, s[16:17]
	v_mov_b32_e32 v1, v10
	v_cmp_ne_u16_sdwa s[18:19], v10, v2 src0_sel:BYTE_0 src1_sel:DWORD
	v_mov_b32_e32 v3, 0
	v_mov_b32_e32 v4, 0
	s_and_saveexec_b64 s[16:17], s[18:19]
	s_cbranch_execz .LBB261_797
; %bb.792:                              ;   in Loop: Header=BB261_616 Depth=1
	v_cmp_ne_u16_sdwa s[20:21], v10, s28 src0_sel:BYTE_0 src1_sel:DWORD
	v_mov_b32_e32 v4, 0x8000
	s_and_saveexec_b64 s[18:19], s[20:21]
	s_cbranch_execz .LBB261_796
; %bb.793:                              ;   in Loop: Header=BB261_616 Depth=1
	v_and_b32_e32 v16, 0x7f, v10
	v_cmp_ne_u32_e32 vcc, s29, v16
	v_mov_b32_e32 v4, 0x7c01
	s_and_saveexec_b64 s[20:21], vcc
	s_cbranch_execz .LBB261_795
; %bb.794:                              ;   in Loop: Header=BB261_616 Depth=1
	v_and_b32_e32 v4, 7, v10
	v_ffbh_u32_e32 v14, v4
	v_min_u32_e32 v14, 32, v14
	v_lshrrev_b32_e32 v13, 3, v16
	v_subrev_u32_e32 v17, 28, v14
	v_sub_u32_e32 v14, 29, v14
	v_cmp_gt_u32_e32 vcc, 8, v16
	v_lshlrev_b64 v[51:52], v17, v[1:2]
	v_cndmask_b32_e32 v13, v13, v14, vcc
	v_lshl_add_u32 v13, v13, 10, v32
	v_lshlrev_b32_e32 v14, 8, v10
	v_and_b32_e32 v16, 7, v51
	v_and_b32_e32 v13, 0xfc00, v13
	v_cndmask_b32_e32 v4, v4, v16, vcc
	v_and_or_b32 v13, v14, s30, v13
	v_lshl_or_b32 v4, v4, 7, v13
.LBB261_795:                            ;   in Loop: Header=BB261_616 Depth=1
	s_or_b64 exec, exec, s[20:21]
.LBB261_796:                            ;   in Loop: Header=BB261_616 Depth=1
	s_or_b64 exec, exec, s[18:19]
.LBB261_797:                            ;   in Loop: Header=BB261_616 Depth=1
	s_or_b64 exec, exec, s[16:17]
	v_lshrrev_b16_e32 v1, 8, v1
	v_cmp_ne_u16_e32 vcc, 0, v1
	v_mov_b32_e32 v16, 0
	s_and_saveexec_b64 s[16:17], vcc
	s_cbranch_execz .LBB261_803
; %bb.798:                              ;   in Loop: Header=BB261_616 Depth=1
	v_cmp_ne_u16_e32 vcc, s28, v1
	v_bfrev_b32_e32 v16, 1
	s_and_saveexec_b64 s[18:19], vcc
	s_cbranch_execz .LBB261_802
; %bb.799:                              ;   in Loop: Header=BB261_616 Depth=1
	v_and_b32_e32 v17, 0x7f, v1
	v_cmp_ne_u32_e32 vcc, s29, v17
	v_mov_b32_e32 v16, 0x7c010000
	s_and_saveexec_b64 s[20:21], vcc
	s_cbranch_execz .LBB261_801
; %bb.800:                              ;   in Loop: Header=BB261_616 Depth=1
	v_and_b32_e32 v13, 7, v1
	v_ffbh_u32_e32 v16, v13
	v_min_u32_e32 v46, 32, v16
	v_subrev_u32_e32 v16, 28, v46
	v_lshrrev_b32_e32 v14, 3, v17
	v_cmp_gt_u32_e32 vcc, 8, v17
	v_lshlrev_b64 v[16:17], v16, v[1:2]
	v_sub_u32_e32 v17, 29, v46
	v_cndmask_b32_e32 v14, v14, v17, vcc
	v_lshlrev_b32_e32 v1, 8, v1
	v_lshl_add_u32 v14, v14, 10, v32
	v_and_b32_e32 v16, 7, v16
	v_and_or_b32 v1, v1, s30, v14
	v_cndmask_b32_e32 v13, v13, v16, vcc
	v_lshlrev_b32_e32 v1, 16, v1
	v_lshl_or_b32 v16, v13, 23, v1
.LBB261_801:                            ;   in Loop: Header=BB261_616 Depth=1
	s_or_b64 exec, exec, s[20:21]
.LBB261_802:                            ;   in Loop: Header=BB261_616 Depth=1
	s_or_b64 exec, exec, s[18:19]
.LBB261_803:                            ;   in Loop: Header=BB261_616 Depth=1
	s_or_b64 exec, exec, s[16:17]
	v_lshrrev_b32_e32 v1, 16, v10
	v_cmp_ne_u16_sdwa s[18:19], v1, v2 src0_sel:BYTE_0 src1_sel:DWORD
	s_and_saveexec_b64 s[16:17], s[18:19]
	s_cbranch_execz .LBB261_809
; %bb.804:                              ;   in Loop: Header=BB261_616 Depth=1
	v_cmp_ne_u16_sdwa s[20:21], v1, s28 src0_sel:BYTE_0 src1_sel:DWORD
	v_mov_b32_e32 v3, 0x8000
	s_and_saveexec_b64 s[18:19], s[20:21]
	s_cbranch_execz .LBB261_808
; %bb.805:                              ;   in Loop: Header=BB261_616 Depth=1
	v_bfe_u32 v17, v10, 16, 7
	v_cmp_ne_u32_e32 vcc, s29, v17
	v_mov_b32_e32 v3, 0x7c01
	s_and_saveexec_b64 s[20:21], vcc
	s_cbranch_execz .LBB261_807
; %bb.806:                              ;   in Loop: Header=BB261_616 Depth=1
	v_and_b32_e32 v3, 7, v1
	v_ffbh_u32_e32 v14, v3
	v_min_u32_e32 v14, 32, v14
	v_lshrrev_b32_e32 v13, 3, v17
	v_cmp_gt_u32_e32 vcc, 8, v17
	v_subrev_u32_e32 v17, 28, v14
	v_sub_u32_e32 v14, 29, v14
	v_lshlrev_b64 v[51:52], v17, v[1:2]
	v_cndmask_b32_e32 v13, v13, v14, vcc
	v_lshl_add_u32 v13, v13, 10, v32
	v_lshlrev_b32_e32 v1, 8, v1
	v_and_b32_e32 v14, 7, v51
	v_and_b32_e32 v13, 0xfc00, v13
	v_cndmask_b32_e32 v3, v3, v14, vcc
	v_and_or_b32 v1, v1, s30, v13
	v_lshl_or_b32 v3, v3, 7, v1
.LBB261_807:                            ;   in Loop: Header=BB261_616 Depth=1
	s_or_b64 exec, exec, s[20:21]
.LBB261_808:                            ;   in Loop: Header=BB261_616 Depth=1
	s_or_b64 exec, exec, s[18:19]
.LBB261_809:                            ;   in Loop: Header=BB261_616 Depth=1
	s_or_b64 exec, exec, s[16:17]
	v_cmp_lt_u64_e32 vcc, s[4:5], v[9:10]
	v_mov_b32_e32 v9, 0
	s_and_saveexec_b64 s[16:17], vcc
	s_cbranch_execz .LBB261_815
; %bb.810:                              ;   in Loop: Header=BB261_616 Depth=1
	v_lshrrev_b32_e32 v1, 24, v10
	v_cmp_ne_u32_e32 vcc, s28, v1
	v_bfrev_b32_e32 v9, 1
	s_and_saveexec_b64 s[18:19], vcc
	s_cbranch_execz .LBB261_814
; %bb.811:                              ;   in Loop: Header=BB261_616 Depth=1
	v_and_b32_e32 v10, 0x7f, v1
	v_cmp_ne_u32_e32 vcc, s29, v10
	v_mov_b32_e32 v9, 0x7c010000
	s_and_saveexec_b64 s[20:21], vcc
	s_cbranch_execz .LBB261_813
; %bb.812:                              ;   in Loop: Header=BB261_616 Depth=1
	v_and_b32_e32 v9, 7, v1
	v_ffbh_u32_e32 v14, v9
	v_min_u32_e32 v14, 32, v14
	v_lshrrev_b32_e32 v13, 3, v10
	v_subrev_u32_e32 v17, 28, v14
	v_sub_u32_e32 v14, 29, v14
	v_cmp_gt_u32_e32 vcc, 8, v10
	v_lshlrev_b64 v[51:52], v17, v[1:2]
	v_cndmask_b32_e32 v10, v13, v14, vcc
	v_lshlrev_b32_e32 v1, 8, v1
	v_lshl_add_u32 v10, v10, 10, v32
	v_and_b32_e32 v13, 7, v51
	v_and_or_b32 v1, v1, s30, v10
	v_cndmask_b32_e32 v9, v9, v13, vcc
	v_lshlrev_b32_e32 v1, 16, v1
	v_lshl_or_b32 v9, v9, 23, v1
.LBB261_813:                            ;   in Loop: Header=BB261_616 Depth=1
	s_or_b64 exec, exec, s[20:21]
.LBB261_814:                            ;   in Loop: Header=BB261_616 Depth=1
	s_or_b64 exec, exec, s[18:19]
.LBB261_815:                            ;   in Loop: Header=BB261_616 Depth=1
	s_or_b64 exec, exec, s[16:17]
	s_waitcnt vmcnt(0)
	v_fma_mixlo_f16 v10, v0, v11, 0 op_sel:[0,1,0] op_sel_hi:[0,1,0]
	v_or_b32_e32 v1, v11, v31
	v_lshlrev_b32_e32 v11, 16, v10
	v_or_b32_e32 v10, v18, v45
	v_fma_mixlo_f16 v13, v0, v18, 0 op_sel:[0,1,0] op_sel_hi:[0,1,0]
	v_or_b32_e32 v4, v16, v4
	v_or_b32_e32 v3, v9, v3
	v_fma_mixlo_f16 v1, v0, v1, 0 op_sel_hi:[0,1,0]
	v_lshlrev_b32_e32 v18, 16, v13
	v_fma_mixlo_f16 v10, v0, v10, 0 op_sel_hi:[0,1,0]
	v_fma_mixlo_f16 v13, v0, v16, 0 op_sel:[0,1,0] op_sel_hi:[0,1,0]
	v_fma_mixlo_f16 v4, v0, v4, 0 op_sel_hi:[0,1,0]
	v_fma_mixlo_f16 v3, v0, v3, 0 op_sel_hi:[0,1,0]
	v_fma_mixlo_f16 v0, v0, v9, 0 op_sel:[0,1,0] op_sel_hi:[0,1,0]
	v_and_b32_e32 v17, 0xffff, v1
	v_and_b32_e32 v45, 0xffff, v10
	v_lshlrev_b32_e32 v16, 16, v13
	v_and_b32_e32 v31, 0xffff, v4
	v_lshlrev_b32_e32 v0, 16, v0
	v_and_b32_e32 v3, 0xffff, v3
	v_or_b32_e32 v1, v11, v17
	v_or_b32_e32 v10, v18, v45
	;; [unrolled: 1-line block ×4, first 2 shown]
	s_and_saveexec_b64 s[16:17], s[0:1]
	s_cbranch_execz .LBB261_817
; %bb.816:                              ;   in Loop: Header=BB261_616 Depth=1
	v_cmp_gt_i32_e32 vcc, s33, v33
	v_cndmask_b32_e32 v1, 0, v45, vcc
	v_cmp_gt_i32_e32 vcc, s33, v44
	v_cndmask_b32_e32 v4, 0, v18, vcc
	v_cmp_gt_i32_e32 vcc, s33, v43
	v_or_b32_e32 v10, v4, v1
	v_cndmask_b32_e32 v1, 0, v17, vcc
	v_cmp_gt_i32_e32 vcc, s33, v42
	v_cndmask_b32_e32 v4, 0, v11, vcc
	v_cmp_gt_i32_e32 vcc, s33, v40
	v_or_b32_e32 v1, v4, v1
	v_cndmask_b32_e32 v4, 0, v31, vcc
	v_cmp_gt_i32_e32 vcc, s33, v38
	v_cndmask_b32_e32 v9, 0, v16, vcc
	v_cmp_gt_i32_e32 vcc, s33, v35
	;; [unrolled: 2-line block ×3, first 2 shown]
	v_cndmask_b32_e32 v0, 0, v0, vcc
	v_or_b32_e32 v4, v9, v4
	v_or_b32_e32 v9, v0, v3
.LBB261_817:                            ;   in Loop: Header=BB261_616 Depth=1
	s_or_b64 exec, exec, s[16:17]
	;;#ASMSTART
	v_pk_mul_f16 v0, v41, v10;

	;;#ASMEND
	;;#ASMSTART
	v_pk_mul_f16 v1, v39, v1;

	;;#ASMEND
	;; [unrolled: 4-line block ×4, first 2 shown]
	;;#ASMSTART
	v_pk_add_f16 v0, v0, v1;

	;;#ASMEND
	;;#ASMSTART
	v_pk_add_f16 v0, v0, v3;

	;;#ASMEND
	;; [unrolled: 4-line block ×3, first 2 shown]
	v_lshrrev_b32_e32 v1, 16, v0
	v_and_b32_e32 v0, 0xffff, v0
	;;#ASMSTART
	v_cvt_f32_f16 v51, v0;
	;;#ASMEND
	;;#ASMSTART
	v_cvt_f32_f16 v52, v1;
	;;#ASMEND
	global_load_dwordx2 v[9:10], v[7:8], off offset:2048
	v_mov_b32_e32 v18, 0
	global_load_dword v0, v18, s[14:15]
	v_mov_b32_e32 v45, 0
	s_waitcnt vmcnt(1)
	v_cmp_ne_u16_sdwa s[18:19], v9, v2 src0_sel:BYTE_0 src1_sel:DWORD
	s_and_saveexec_b64 s[16:17], s[18:19]
	s_cbranch_execz .LBB261_823
; %bb.818:                              ;   in Loop: Header=BB261_616 Depth=1
	v_cmp_ne_u16_sdwa s[20:21], v9, s28 src0_sel:BYTE_0 src1_sel:DWORD
	v_mov_b32_e32 v45, 0x8000
	s_and_saveexec_b64 s[18:19], s[20:21]
	s_cbranch_execz .LBB261_822
; %bb.819:                              ;   in Loop: Header=BB261_616 Depth=1
	v_and_b32_e32 v1, 0x7f, v9
	v_cmp_ne_u32_e32 vcc, s29, v1
	v_mov_b32_e32 v45, 0x7c01
	s_and_saveexec_b64 s[20:21], vcc
	s_cbranch_execz .LBB261_821
; %bb.820:                              ;   in Loop: Header=BB261_616 Depth=1
	v_and_b32_e32 v11, 7, v9
	v_ffbh_u32_e32 v3, v11
	v_min_u32_e32 v14, 32, v3
	v_subrev_u32_e32 v3, 28, v14
	v_lshlrev_b64 v[3:4], v3, v[9:10]
	v_lshrrev_b32_e32 v13, 3, v1
	v_sub_u32_e32 v4, 29, v14
	v_cmp_gt_u32_e32 vcc, 8, v1
	v_cndmask_b32_e32 v1, v13, v4, vcc
	v_lshl_add_u32 v1, v1, 10, v32
	v_lshlrev_b32_e32 v4, 8, v9
	v_and_b32_e32 v3, 7, v3
	v_and_b32_e32 v1, 0xfc00, v1
	v_cndmask_b32_e32 v3, v11, v3, vcc
	v_and_or_b32 v1, v4, s30, v1
	v_lshl_or_b32 v45, v3, 7, v1
.LBB261_821:                            ;   in Loop: Header=BB261_616 Depth=1
	s_or_b64 exec, exec, s[20:21]
.LBB261_822:                            ;   in Loop: Header=BB261_616 Depth=1
	s_or_b64 exec, exec, s[18:19]
.LBB261_823:                            ;   in Loop: Header=BB261_616 Depth=1
	s_or_b64 exec, exec, s[16:17]
	v_lshrrev_b16_e32 v1, 8, v9
	v_cmp_ne_u16_e32 vcc, 0, v1
	s_and_saveexec_b64 s[16:17], vcc
	s_cbranch_execz .LBB261_829
; %bb.824:                              ;   in Loop: Header=BB261_616 Depth=1
	v_cmp_ne_u16_e32 vcc, s28, v1
	v_bfrev_b32_e32 v18, 1
	s_and_saveexec_b64 s[18:19], vcc
	s_cbranch_execz .LBB261_828
; %bb.825:                              ;   in Loop: Header=BB261_616 Depth=1
	v_and_b32_e32 v3, 0x7f, v1
	v_cmp_ne_u32_e32 vcc, s29, v3
	v_mov_b32_e32 v18, 0x7c010000
	s_and_saveexec_b64 s[20:21], vcc
	s_cbranch_execz .LBB261_827
; %bb.826:                              ;   in Loop: Header=BB261_616 Depth=1
	v_and_b32_e32 v4, 7, v1
	v_ffbh_u32_e32 v13, v4
	v_min_u32_e32 v13, 32, v13
	v_lshrrev_b32_e32 v11, 3, v3
	v_subrev_u32_e32 v14, 28, v13
	v_sub_u32_e32 v13, 29, v13
	v_cmp_gt_u32_e32 vcc, 8, v3
	v_lshlrev_b64 v[16:17], v14, v[1:2]
	v_cndmask_b32_e32 v3, v11, v13, vcc
	v_lshlrev_b32_e32 v1, 8, v1
	v_lshl_add_u32 v3, v3, 10, v32
	v_and_b32_e32 v11, 7, v16
	v_and_or_b32 v1, v1, s30, v3
	v_cndmask_b32_e32 v4, v4, v11, vcc
	v_lshlrev_b32_e32 v1, 16, v1
	v_lshl_or_b32 v18, v4, 23, v1
.LBB261_827:                            ;   in Loop: Header=BB261_616 Depth=1
	s_or_b64 exec, exec, s[20:21]
.LBB261_828:                            ;   in Loop: Header=BB261_616 Depth=1
	s_or_b64 exec, exec, s[18:19]
.LBB261_829:                            ;   in Loop: Header=BB261_616 Depth=1
	s_or_b64 exec, exec, s[16:17]
	v_lshrrev_b32_e32 v1, 16, v9
	v_cmp_ne_u16_sdwa s[18:19], v1, v2 src0_sel:BYTE_0 src1_sel:DWORD
	v_mov_b32_e32 v11, 0
	v_mov_b32_e32 v31, 0
	s_and_saveexec_b64 s[16:17], s[18:19]
	s_cbranch_execz .LBB261_835
; %bb.830:                              ;   in Loop: Header=BB261_616 Depth=1
	v_cmp_ne_u16_sdwa s[20:21], v1, s28 src0_sel:BYTE_0 src1_sel:DWORD
	v_mov_b32_e32 v31, 0x8000
	s_and_saveexec_b64 s[18:19], s[20:21]
	s_cbranch_execz .LBB261_834
; %bb.831:                              ;   in Loop: Header=BB261_616 Depth=1
	v_bfe_u32 v3, v9, 16, 7
	v_cmp_ne_u32_e32 vcc, s29, v3
	v_mov_b32_e32 v31, 0x7c01
	s_and_saveexec_b64 s[20:21], vcc
	s_cbranch_execz .LBB261_833
; %bb.832:                              ;   in Loop: Header=BB261_616 Depth=1
	v_and_b32_e32 v4, 7, v1
	v_ffbh_u32_e32 v14, v4
	v_min_u32_e32 v14, 32, v14
	v_lshrrev_b32_e32 v13, 3, v3
	v_subrev_u32_e32 v16, 28, v14
	v_sub_u32_e32 v14, 29, v14
	v_cmp_gt_u32_e32 vcc, 8, v3
	v_lshlrev_b64 v[16:17], v16, v[1:2]
	v_cndmask_b32_e32 v3, v13, v14, vcc
	v_lshl_add_u32 v3, v3, 10, v32
	v_lshlrev_b32_e32 v1, 8, v1
	v_and_b32_e32 v13, 7, v16
	v_and_b32_e32 v3, 0xfc00, v3
	v_cndmask_b32_e32 v4, v4, v13, vcc
	v_and_or_b32 v1, v1, s30, v3
	v_lshl_or_b32 v31, v4, 7, v1
.LBB261_833:                            ;   in Loop: Header=BB261_616 Depth=1
	s_or_b64 exec, exec, s[20:21]
.LBB261_834:                            ;   in Loop: Header=BB261_616 Depth=1
	s_or_b64 exec, exec, s[18:19]
.LBB261_835:                            ;   in Loop: Header=BB261_616 Depth=1
	s_or_b64 exec, exec, s[16:17]
	v_cmp_lt_u32_e32 vcc, s5, v9
	s_and_saveexec_b64 s[16:17], vcc
	s_cbranch_execz .LBB261_841
; %bb.836:                              ;   in Loop: Header=BB261_616 Depth=1
	v_lshrrev_b32_e32 v1, 24, v9
	v_cmp_ne_u32_e32 vcc, s28, v1
	v_bfrev_b32_e32 v11, 1
	s_and_saveexec_b64 s[18:19], vcc
	s_cbranch_execz .LBB261_840
; %bb.837:                              ;   in Loop: Header=BB261_616 Depth=1
	v_and_b32_e32 v3, 0x7f, v1
	v_cmp_ne_u32_e32 vcc, s29, v3
	v_mov_b32_e32 v11, 0x7c010000
	s_and_saveexec_b64 s[20:21], vcc
	s_cbranch_execz .LBB261_839
; %bb.838:                              ;   in Loop: Header=BB261_616 Depth=1
	v_and_b32_e32 v4, 7, v1
	v_ffbh_u32_e32 v13, v4
	v_min_u32_e32 v13, 32, v13
	v_lshrrev_b32_e32 v11, 3, v3
	v_subrev_u32_e32 v14, 28, v13
	v_sub_u32_e32 v13, 29, v13
	v_cmp_gt_u32_e32 vcc, 8, v3
	v_lshlrev_b64 v[16:17], v14, v[1:2]
	v_cndmask_b32_e32 v3, v11, v13, vcc
	v_lshlrev_b32_e32 v1, 8, v1
	v_lshl_add_u32 v3, v3, 10, v32
	v_and_b32_e32 v11, 7, v16
	v_and_or_b32 v1, v1, s30, v3
	v_cndmask_b32_e32 v4, v4, v11, vcc
	v_lshlrev_b32_e32 v1, 16, v1
	v_lshl_or_b32 v11, v4, 23, v1
.LBB261_839:                            ;   in Loop: Header=BB261_616 Depth=1
	s_or_b64 exec, exec, s[20:21]
.LBB261_840:                            ;   in Loop: Header=BB261_616 Depth=1
	s_or_b64 exec, exec, s[18:19]
.LBB261_841:                            ;   in Loop: Header=BB261_616 Depth=1
	s_or_b64 exec, exec, s[16:17]
	v_mov_b32_e32 v1, v10
	v_cmp_ne_u16_sdwa s[18:19], v10, v2 src0_sel:BYTE_0 src1_sel:DWORD
	v_mov_b32_e32 v46, 0
	v_mov_b32_e32 v3, 0
	s_and_saveexec_b64 s[16:17], s[18:19]
	s_cbranch_execz .LBB261_847
; %bb.842:                              ;   in Loop: Header=BB261_616 Depth=1
	v_cmp_ne_u16_sdwa s[20:21], v10, s28 src0_sel:BYTE_0 src1_sel:DWORD
	v_mov_b32_e32 v3, 0x8000
	s_and_saveexec_b64 s[18:19], s[20:21]
	s_cbranch_execz .LBB261_846
; %bb.843:                              ;   in Loop: Header=BB261_616 Depth=1
	v_and_b32_e32 v4, 0x7f, v10
	v_cmp_ne_u32_e32 vcc, s29, v4
	v_mov_b32_e32 v3, 0x7c01
	s_and_saveexec_b64 s[20:21], vcc
	s_cbranch_execz .LBB261_845
; %bb.844:                              ;   in Loop: Header=BB261_616 Depth=1
	v_and_b32_e32 v13, 7, v10
	v_ffbh_u32_e32 v3, v13
	v_min_u32_e32 v16, 32, v3
	v_subrev_u32_e32 v3, 28, v16
	v_lshrrev_b32_e32 v14, 3, v4
	v_cmp_gt_u32_e32 vcc, 8, v4
	v_lshlrev_b64 v[3:4], v3, v[1:2]
	v_sub_u32_e32 v4, 29, v16
	v_cndmask_b32_e32 v4, v14, v4, vcc
	v_lshl_add_u32 v4, v4, 10, v32
	v_lshlrev_b32_e32 v14, 8, v10
	v_and_b32_e32 v3, 7, v3
	v_and_b32_e32 v4, 0xfc00, v4
	v_cndmask_b32_e32 v3, v13, v3, vcc
	v_and_or_b32 v4, v14, s30, v4
	v_lshl_or_b32 v3, v3, 7, v4
.LBB261_845:                            ;   in Loop: Header=BB261_616 Depth=1
	s_or_b64 exec, exec, s[20:21]
.LBB261_846:                            ;   in Loop: Header=BB261_616 Depth=1
	s_or_b64 exec, exec, s[18:19]
.LBB261_847:                            ;   in Loop: Header=BB261_616 Depth=1
	s_or_b64 exec, exec, s[16:17]
	v_lshrrev_b16_e32 v1, 8, v1
	v_cmp_ne_u16_e32 vcc, 0, v1
	v_mov_b32_e32 v4, 0
	s_and_saveexec_b64 s[16:17], vcc
	s_cbranch_execz .LBB261_853
; %bb.848:                              ;   in Loop: Header=BB261_616 Depth=1
	v_cmp_ne_u16_e32 vcc, s28, v1
	v_bfrev_b32_e32 v4, 1
	s_and_saveexec_b64 s[18:19], vcc
	s_cbranch_execz .LBB261_852
; %bb.849:                              ;   in Loop: Header=BB261_616 Depth=1
	v_and_b32_e32 v16, 0x7f, v1
	v_cmp_ne_u32_e32 vcc, s29, v16
	v_mov_b32_e32 v4, 0x7c010000
	s_and_saveexec_b64 s[20:21], vcc
	s_cbranch_execz .LBB261_851
; %bb.850:                              ;   in Loop: Header=BB261_616 Depth=1
	v_and_b32_e32 v4, 7, v1
	v_ffbh_u32_e32 v14, v4
	v_min_u32_e32 v14, 32, v14
	v_lshrrev_b32_e32 v13, 3, v16
	v_cmp_gt_u32_e32 vcc, 8, v16
	v_subrev_u32_e32 v16, 28, v14
	v_sub_u32_e32 v14, 29, v14
	v_lshlrev_b64 v[16:17], v16, v[1:2]
	v_cndmask_b32_e32 v13, v13, v14, vcc
	v_lshlrev_b32_e32 v1, 8, v1
	v_lshl_add_u32 v13, v13, 10, v32
	v_and_b32_e32 v14, 7, v16
	v_and_or_b32 v1, v1, s30, v13
	v_cndmask_b32_e32 v4, v4, v14, vcc
	v_lshlrev_b32_e32 v1, 16, v1
	v_lshl_or_b32 v4, v4, 23, v1
.LBB261_851:                            ;   in Loop: Header=BB261_616 Depth=1
	s_or_b64 exec, exec, s[20:21]
.LBB261_852:                            ;   in Loop: Header=BB261_616 Depth=1
	s_or_b64 exec, exec, s[18:19]
.LBB261_853:                            ;   in Loop: Header=BB261_616 Depth=1
	s_or_b64 exec, exec, s[16:17]
	v_lshrrev_b32_e32 v1, 16, v10
	v_cmp_ne_u16_sdwa s[18:19], v1, v2 src0_sel:BYTE_0 src1_sel:DWORD
	s_and_saveexec_b64 s[16:17], s[18:19]
	s_cbranch_execz .LBB261_859
; %bb.854:                              ;   in Loop: Header=BB261_616 Depth=1
	v_cmp_ne_u16_sdwa s[20:21], v1, s28 src0_sel:BYTE_0 src1_sel:DWORD
	v_mov_b32_e32 v46, 0x8000
	s_and_saveexec_b64 s[18:19], s[20:21]
	s_cbranch_execz .LBB261_858
; %bb.855:                              ;   in Loop: Header=BB261_616 Depth=1
	v_bfe_u32 v16, v10, 16, 7
	v_cmp_ne_u32_e32 vcc, s29, v16
	v_mov_b32_e32 v46, 0x7c01
	s_and_saveexec_b64 s[20:21], vcc
	s_cbranch_execz .LBB261_857
; %bb.856:                              ;   in Loop: Header=BB261_616 Depth=1
	v_and_b32_e32 v13, 7, v1
	v_lshrrev_b32_e32 v14, 3, v16
	v_cmp_gt_u32_e32 vcc, 8, v16
	v_ffbh_u32_e32 v16, v13
	v_min_u32_e32 v46, 32, v16
	v_subrev_u32_e32 v16, 28, v46
	v_lshlrev_b64 v[16:17], v16, v[1:2]
	v_sub_u32_e32 v17, 29, v46
	v_cndmask_b32_e32 v14, v14, v17, vcc
	v_lshl_add_u32 v14, v14, 10, v32
	v_lshlrev_b32_e32 v1, 8, v1
	v_and_b32_e32 v16, 7, v16
	v_and_b32_e32 v14, 0xfc00, v14
	v_cndmask_b32_e32 v13, v13, v16, vcc
	v_and_or_b32 v1, v1, s30, v14
	v_lshl_or_b32 v46, v13, 7, v1
.LBB261_857:                            ;   in Loop: Header=BB261_616 Depth=1
	s_or_b64 exec, exec, s[20:21]
.LBB261_858:                            ;   in Loop: Header=BB261_616 Depth=1
	s_or_b64 exec, exec, s[18:19]
.LBB261_859:                            ;   in Loop: Header=BB261_616 Depth=1
	s_or_b64 exec, exec, s[16:17]
	v_cmp_lt_u64_e32 vcc, s[4:5], v[9:10]
	v_mov_b32_e32 v9, 0
	s_and_saveexec_b64 s[16:17], vcc
	s_cbranch_execz .LBB261_865
; %bb.860:                              ;   in Loop: Header=BB261_616 Depth=1
	v_lshrrev_b32_e32 v1, 24, v10
	v_cmp_ne_u32_e32 vcc, s28, v1
	v_bfrev_b32_e32 v9, 1
	s_and_saveexec_b64 s[18:19], vcc
	s_cbranch_execz .LBB261_864
; %bb.861:                              ;   in Loop: Header=BB261_616 Depth=1
	v_and_b32_e32 v10, 0x7f, v1
	v_cmp_ne_u32_e32 vcc, s29, v10
	v_mov_b32_e32 v9, 0x7c010000
	s_and_saveexec_b64 s[20:21], vcc
	s_cbranch_execz .LBB261_863
; %bb.862:                              ;   in Loop: Header=BB261_616 Depth=1
	v_and_b32_e32 v13, 7, v1
	v_ffbh_u32_e32 v9, v13
	v_min_u32_e32 v16, 32, v9
	v_subrev_u32_e32 v9, 28, v16
	v_lshrrev_b32_e32 v14, 3, v10
	v_cmp_gt_u32_e32 vcc, 8, v10
	v_lshlrev_b64 v[9:10], v9, v[1:2]
	v_sub_u32_e32 v10, 29, v16
	v_cndmask_b32_e32 v10, v14, v10, vcc
	v_lshlrev_b32_e32 v1, 8, v1
	v_lshl_add_u32 v10, v10, 10, v32
	v_and_b32_e32 v9, 7, v9
	v_and_or_b32 v1, v1, s30, v10
	v_cndmask_b32_e32 v9, v13, v9, vcc
	v_lshlrev_b32_e32 v1, 16, v1
	v_lshl_or_b32 v9, v9, 23, v1
.LBB261_863:                            ;   in Loop: Header=BB261_616 Depth=1
	s_or_b64 exec, exec, s[20:21]
.LBB261_864:                            ;   in Loop: Header=BB261_616 Depth=1
	s_or_b64 exec, exec, s[18:19]
.LBB261_865:                            ;   in Loop: Header=BB261_616 Depth=1
	s_or_b64 exec, exec, s[16:17]
	s_waitcnt vmcnt(0)
	v_fma_mixlo_f16 v10, v0, v11, 0 op_sel:[0,1,0] op_sel_hi:[0,1,0]
	v_fma_mixlo_f16 v13, v0, v18, 0 op_sel:[0,1,0] op_sel_hi:[0,1,0]
	v_or_b32_e32 v1, v11, v31
	v_lshlrev_b32_e32 v11, 16, v10
	v_or_b32_e32 v10, v18, v45
	v_lshlrev_b32_e32 v17, 16, v13
	v_or_b32_e32 v3, v4, v3
	v_or_b32_e32 v13, v9, v46
	v_fma_mixlo_f16 v1, v0, v1, 0 op_sel_hi:[0,1,0]
	v_fma_mixlo_f16 v10, v0, v10, 0 op_sel_hi:[0,1,0]
	v_fma_mixlo_f16 v4, v0, v4, 0 op_sel:[0,1,0] op_sel_hi:[0,1,0]
	v_fma_mixlo_f16 v3, v0, v3, 0 op_sel_hi:[0,1,0]
	v_fma_mixlo_f16 v13, v0, v13, 0 op_sel_hi:[0,1,0]
	v_fma_mixlo_f16 v0, v0, v9, 0 op_sel:[0,1,0] op_sel_hi:[0,1,0]
	v_and_b32_e32 v16, 0xffff, v1
	v_and_b32_e32 v45, 0xffff, v10
	v_lshlrev_b32_e32 v4, 16, v4
	v_and_b32_e32 v18, 0xffff, v3
	v_lshlrev_b32_e32 v0, 16, v0
	v_and_b32_e32 v9, 0xffff, v13
	v_or_b32_e32 v1, v11, v16
	v_or_b32_e32 v10, v17, v45
	;; [unrolled: 1-line block ×4, first 2 shown]
	s_and_saveexec_b64 s[16:17], s[0:1]
	s_cbranch_execz .LBB261_867
; %bb.866:                              ;   in Loop: Header=BB261_616 Depth=1
	v_cmp_gt_i32_e32 vcc, s33, v33
	v_cndmask_b32_e32 v1, 0, v45, vcc
	v_cmp_gt_i32_e32 vcc, s33, v44
	v_cndmask_b32_e32 v3, 0, v17, vcc
	v_cmp_gt_i32_e32 vcc, s33, v43
	v_or_b32_e32 v10, v3, v1
	v_cndmask_b32_e32 v1, 0, v16, vcc
	v_cmp_gt_i32_e32 vcc, s33, v42
	v_cndmask_b32_e32 v3, 0, v11, vcc
	v_cmp_gt_i32_e32 vcc, s33, v40
	v_or_b32_e32 v1, v3, v1
	;; [unrolled: 5-line block ×3, first 2 shown]
	v_cndmask_b32_e32 v4, 0, v9, vcc
	v_cmp_gt_i32_e32 vcc, s33, v34
	v_cndmask_b32_e32 v0, 0, v0, vcc
	v_or_b32_e32 v31, v0, v4
.LBB261_867:                            ;   in Loop: Header=BB261_616 Depth=1
	s_or_b64 exec, exec, s[16:17]
	;;#ASMSTART
	v_pk_mul_f16 v0, v41, v10;

	;;#ASMEND
	;;#ASMSTART
	v_pk_mul_f16 v1, v39, v1;

	;;#ASMEND
	;; [unrolled: 4-line block ×4, first 2 shown]
	;;#ASMSTART
	v_pk_add_f16 v0, v0, v1;

	;;#ASMEND
	;;#ASMSTART
	v_pk_add_f16 v0, v0, v3;

	;;#ASMEND
	;; [unrolled: 4-line block ×3, first 2 shown]
	v_lshrrev_b32_e32 v1, 16, v0
	v_and_b32_e32 v0, 0xffff, v0
	;;#ASMSTART
	v_cvt_f32_f16 v53, v0;
	;;#ASMEND
	;;#ASMSTART
	v_cvt_f32_f16 v57, v1;
	;;#ASMEND
	global_load_dwordx2 v[9:10], v[7:8], off offset:2560
	v_mov_b32_e32 v18, 0
	global_load_dword v0, v18, s[14:15]
	v_mov_b32_e32 v45, 0
	s_waitcnt vmcnt(1)
	v_cmp_ne_u16_sdwa s[18:19], v9, v2 src0_sel:BYTE_0 src1_sel:DWORD
	s_and_saveexec_b64 s[16:17], s[18:19]
	s_cbranch_execz .LBB261_873
; %bb.868:                              ;   in Loop: Header=BB261_616 Depth=1
	v_cmp_ne_u16_sdwa s[20:21], v9, s28 src0_sel:BYTE_0 src1_sel:DWORD
	v_mov_b32_e32 v45, 0x8000
	s_and_saveexec_b64 s[18:19], s[20:21]
	s_cbranch_execz .LBB261_872
; %bb.869:                              ;   in Loop: Header=BB261_616 Depth=1
	v_and_b32_e32 v1, 0x7f, v9
	v_cmp_ne_u32_e32 vcc, s29, v1
	v_mov_b32_e32 v45, 0x7c01
	s_and_saveexec_b64 s[20:21], vcc
	s_cbranch_execz .LBB261_871
; %bb.870:                              ;   in Loop: Header=BB261_616 Depth=1
	v_and_b32_e32 v11, 7, v9
	v_ffbh_u32_e32 v3, v11
	v_min_u32_e32 v14, 32, v3
	v_subrev_u32_e32 v3, 28, v14
	v_lshlrev_b64 v[3:4], v3, v[9:10]
	v_lshrrev_b32_e32 v13, 3, v1
	v_sub_u32_e32 v4, 29, v14
	v_cmp_gt_u32_e32 vcc, 8, v1
	v_cndmask_b32_e32 v1, v13, v4, vcc
	v_lshl_add_u32 v1, v1, 10, v32
	v_lshlrev_b32_e32 v4, 8, v9
	v_and_b32_e32 v3, 7, v3
	v_and_b32_e32 v1, 0xfc00, v1
	v_cndmask_b32_e32 v3, v11, v3, vcc
	v_and_or_b32 v1, v4, s30, v1
	v_lshl_or_b32 v45, v3, 7, v1
.LBB261_871:                            ;   in Loop: Header=BB261_616 Depth=1
	s_or_b64 exec, exec, s[20:21]
.LBB261_872:                            ;   in Loop: Header=BB261_616 Depth=1
	s_or_b64 exec, exec, s[18:19]
.LBB261_873:                            ;   in Loop: Header=BB261_616 Depth=1
	s_or_b64 exec, exec, s[16:17]
	v_lshrrev_b16_e32 v1, 8, v9
	v_cmp_ne_u16_e32 vcc, 0, v1
	s_and_saveexec_b64 s[16:17], vcc
	s_cbranch_execz .LBB261_879
; %bb.874:                              ;   in Loop: Header=BB261_616 Depth=1
	v_cmp_ne_u16_e32 vcc, s28, v1
	v_bfrev_b32_e32 v18, 1
	s_and_saveexec_b64 s[18:19], vcc
	s_cbranch_execz .LBB261_878
; %bb.875:                              ;   in Loop: Header=BB261_616 Depth=1
	v_and_b32_e32 v3, 0x7f, v1
	v_cmp_ne_u32_e32 vcc, s29, v3
	v_mov_b32_e32 v18, 0x7c010000
	s_and_saveexec_b64 s[20:21], vcc
	s_cbranch_execz .LBB261_877
; %bb.876:                              ;   in Loop: Header=BB261_616 Depth=1
	v_and_b32_e32 v4, 7, v1
	v_ffbh_u32_e32 v13, v4
	v_min_u32_e32 v13, 32, v13
	v_lshrrev_b32_e32 v11, 3, v3
	v_subrev_u32_e32 v14, 28, v13
	v_sub_u32_e32 v13, 29, v13
	v_cmp_gt_u32_e32 vcc, 8, v3
	v_lshlrev_b64 v[16:17], v14, v[1:2]
	v_cndmask_b32_e32 v3, v11, v13, vcc
	v_lshlrev_b32_e32 v1, 8, v1
	v_lshl_add_u32 v3, v3, 10, v32
	v_and_b32_e32 v11, 7, v16
	v_and_or_b32 v1, v1, s30, v3
	v_cndmask_b32_e32 v4, v4, v11, vcc
	v_lshlrev_b32_e32 v1, 16, v1
	v_lshl_or_b32 v18, v4, 23, v1
.LBB261_877:                            ;   in Loop: Header=BB261_616 Depth=1
	s_or_b64 exec, exec, s[20:21]
.LBB261_878:                            ;   in Loop: Header=BB261_616 Depth=1
	s_or_b64 exec, exec, s[18:19]
.LBB261_879:                            ;   in Loop: Header=BB261_616 Depth=1
	s_or_b64 exec, exec, s[16:17]
	v_lshrrev_b32_e32 v1, 16, v9
	v_cmp_ne_u16_sdwa s[18:19], v1, v2 src0_sel:BYTE_0 src1_sel:DWORD
	v_mov_b32_e32 v46, 0
	v_mov_b32_e32 v11, 0
	s_and_saveexec_b64 s[16:17], s[18:19]
	s_cbranch_execz .LBB261_885
; %bb.880:                              ;   in Loop: Header=BB261_616 Depth=1
	v_cmp_ne_u16_sdwa s[20:21], v1, s28 src0_sel:BYTE_0 src1_sel:DWORD
	v_mov_b32_e32 v11, 0x8000
	s_and_saveexec_b64 s[18:19], s[20:21]
	s_cbranch_execz .LBB261_884
; %bb.881:                              ;   in Loop: Header=BB261_616 Depth=1
	v_bfe_u32 v3, v9, 16, 7
	v_cmp_ne_u32_e32 vcc, s29, v3
	v_mov_b32_e32 v11, 0x7c01
	s_and_saveexec_b64 s[20:21], vcc
	s_cbranch_execz .LBB261_883
; %bb.882:                              ;   in Loop: Header=BB261_616 Depth=1
	v_and_b32_e32 v11, 7, v1
	v_lshrrev_b32_e32 v13, 3, v3
	v_cmp_gt_u32_e32 vcc, 8, v3
	v_ffbh_u32_e32 v3, v11
	v_min_u32_e32 v14, 32, v3
	v_subrev_u32_e32 v3, 28, v14
	v_lshlrev_b64 v[3:4], v3, v[1:2]
	v_sub_u32_e32 v4, 29, v14
	v_cndmask_b32_e32 v4, v13, v4, vcc
	v_lshl_add_u32 v4, v4, 10, v32
	v_lshlrev_b32_e32 v1, 8, v1
	v_and_b32_e32 v3, 7, v3
	v_and_b32_e32 v4, 0xfc00, v4
	v_cndmask_b32_e32 v3, v11, v3, vcc
	v_and_or_b32 v1, v1, s30, v4
	v_lshl_or_b32 v11, v3, 7, v1
.LBB261_883:                            ;   in Loop: Header=BB261_616 Depth=1
	s_or_b64 exec, exec, s[20:21]
.LBB261_884:                            ;   in Loop: Header=BB261_616 Depth=1
	s_or_b64 exec, exec, s[18:19]
.LBB261_885:                            ;   in Loop: Header=BB261_616 Depth=1
	s_or_b64 exec, exec, s[16:17]
	v_cmp_lt_u32_e32 vcc, s5, v9
	s_and_saveexec_b64 s[16:17], vcc
	s_cbranch_execz .LBB261_891
; %bb.886:                              ;   in Loop: Header=BB261_616 Depth=1
	v_lshrrev_b32_e32 v1, 24, v9
	v_cmp_ne_u32_e32 vcc, s28, v1
	v_bfrev_b32_e32 v46, 1
	s_and_saveexec_b64 s[18:19], vcc
	s_cbranch_execz .LBB261_890
; %bb.887:                              ;   in Loop: Header=BB261_616 Depth=1
	v_and_b32_e32 v3, 0x7f, v1
	v_cmp_ne_u32_e32 vcc, s29, v3
	v_mov_b32_e32 v46, 0x7c010000
	s_and_saveexec_b64 s[20:21], vcc
	s_cbranch_execz .LBB261_889
; %bb.888:                              ;   in Loop: Header=BB261_616 Depth=1
	v_and_b32_e32 v13, 7, v1
	v_lshrrev_b32_e32 v14, 3, v3
	v_cmp_gt_u32_e32 vcc, 8, v3
	v_ffbh_u32_e32 v3, v13
	v_min_u32_e32 v16, 32, v3
	v_subrev_u32_e32 v3, 28, v16
	v_lshlrev_b64 v[3:4], v3, v[1:2]
	v_sub_u32_e32 v4, 29, v16
	v_cndmask_b32_e32 v4, v14, v4, vcc
	v_lshlrev_b32_e32 v1, 8, v1
	v_lshl_add_u32 v4, v4, 10, v32
	v_and_b32_e32 v3, 7, v3
	v_and_or_b32 v1, v1, s30, v4
	v_cndmask_b32_e32 v3, v13, v3, vcc
	v_lshlrev_b32_e32 v1, 16, v1
	v_lshl_or_b32 v46, v3, 23, v1
.LBB261_889:                            ;   in Loop: Header=BB261_616 Depth=1
	s_or_b64 exec, exec, s[20:21]
.LBB261_890:                            ;   in Loop: Header=BB261_616 Depth=1
	s_or_b64 exec, exec, s[18:19]
.LBB261_891:                            ;   in Loop: Header=BB261_616 Depth=1
	s_or_b64 exec, exec, s[16:17]
	v_mov_b32_e32 v1, v10
	v_cmp_ne_u16_sdwa s[18:19], v10, v2 src0_sel:BYTE_0 src1_sel:DWORD
	v_mov_b32_e32 v31, 0
	v_mov_b32_e32 v3, 0
	s_and_saveexec_b64 s[16:17], s[18:19]
	s_cbranch_execz .LBB261_897
; %bb.892:                              ;   in Loop: Header=BB261_616 Depth=1
	v_cmp_ne_u16_sdwa s[20:21], v10, s28 src0_sel:BYTE_0 src1_sel:DWORD
	v_mov_b32_e32 v3, 0x8000
	s_and_saveexec_b64 s[18:19], s[20:21]
	s_cbranch_execz .LBB261_896
; %bb.893:                              ;   in Loop: Header=BB261_616 Depth=1
	v_and_b32_e32 v4, 0x7f, v10
	v_cmp_ne_u32_e32 vcc, s29, v4
	v_mov_b32_e32 v3, 0x7c01
	s_and_saveexec_b64 s[20:21], vcc
	s_cbranch_execz .LBB261_895
; %bb.894:                              ;   in Loop: Header=BB261_616 Depth=1
	v_and_b32_e32 v13, 7, v10
	v_ffbh_u32_e32 v3, v13
	v_min_u32_e32 v16, 32, v3
	v_subrev_u32_e32 v3, 28, v16
	v_lshrrev_b32_e32 v14, 3, v4
	v_cmp_gt_u32_e32 vcc, 8, v4
	v_lshlrev_b64 v[3:4], v3, v[1:2]
	v_sub_u32_e32 v4, 29, v16
	v_cndmask_b32_e32 v4, v14, v4, vcc
	v_lshl_add_u32 v4, v4, 10, v32
	v_lshlrev_b32_e32 v14, 8, v10
	v_and_b32_e32 v3, 7, v3
	v_and_b32_e32 v4, 0xfc00, v4
	v_cndmask_b32_e32 v3, v13, v3, vcc
	v_and_or_b32 v4, v14, s30, v4
	v_lshl_or_b32 v3, v3, 7, v4
.LBB261_895:                            ;   in Loop: Header=BB261_616 Depth=1
	s_or_b64 exec, exec, s[20:21]
.LBB261_896:                            ;   in Loop: Header=BB261_616 Depth=1
	s_or_b64 exec, exec, s[18:19]
.LBB261_897:                            ;   in Loop: Header=BB261_616 Depth=1
	s_or_b64 exec, exec, s[16:17]
	v_lshrrev_b16_e32 v1, 8, v1
	v_cmp_ne_u16_e32 vcc, 0, v1
	v_mov_b32_e32 v4, 0
	s_and_saveexec_b64 s[16:17], vcc
	s_cbranch_execz .LBB261_903
; %bb.898:                              ;   in Loop: Header=BB261_616 Depth=1
	v_cmp_ne_u16_e32 vcc, s28, v1
	v_bfrev_b32_e32 v4, 1
	s_and_saveexec_b64 s[18:19], vcc
	s_cbranch_execz .LBB261_902
; %bb.899:                              ;   in Loop: Header=BB261_616 Depth=1
	v_and_b32_e32 v16, 0x7f, v1
	v_cmp_ne_u32_e32 vcc, s29, v16
	v_mov_b32_e32 v4, 0x7c010000
	s_and_saveexec_b64 s[20:21], vcc
	s_cbranch_execz .LBB261_901
; %bb.900:                              ;   in Loop: Header=BB261_616 Depth=1
	v_and_b32_e32 v4, 7, v1
	v_ffbh_u32_e32 v14, v4
	v_min_u32_e32 v14, 32, v14
	v_lshrrev_b32_e32 v13, 3, v16
	v_cmp_gt_u32_e32 vcc, 8, v16
	v_subrev_u32_e32 v16, 28, v14
	v_sub_u32_e32 v14, 29, v14
	v_lshlrev_b64 v[16:17], v16, v[1:2]
	v_cndmask_b32_e32 v13, v13, v14, vcc
	v_lshlrev_b32_e32 v1, 8, v1
	v_lshl_add_u32 v13, v13, 10, v32
	v_and_b32_e32 v14, 7, v16
	v_and_or_b32 v1, v1, s30, v13
	v_cndmask_b32_e32 v4, v4, v14, vcc
	v_lshlrev_b32_e32 v1, 16, v1
	v_lshl_or_b32 v4, v4, 23, v1
.LBB261_901:                            ;   in Loop: Header=BB261_616 Depth=1
	s_or_b64 exec, exec, s[20:21]
.LBB261_902:                            ;   in Loop: Header=BB261_616 Depth=1
	s_or_b64 exec, exec, s[18:19]
.LBB261_903:                            ;   in Loop: Header=BB261_616 Depth=1
	s_or_b64 exec, exec, s[16:17]
	v_lshrrev_b32_e32 v1, 16, v10
	v_cmp_ne_u16_sdwa s[18:19], v1, v2 src0_sel:BYTE_0 src1_sel:DWORD
	s_and_saveexec_b64 s[16:17], s[18:19]
	s_cbranch_execz .LBB261_909
; %bb.904:                              ;   in Loop: Header=BB261_616 Depth=1
	v_cmp_ne_u16_sdwa s[20:21], v1, s28 src0_sel:BYTE_0 src1_sel:DWORD
	v_mov_b32_e32 v31, 0x8000
	s_and_saveexec_b64 s[18:19], s[20:21]
	s_cbranch_execz .LBB261_908
; %bb.905:                              ;   in Loop: Header=BB261_616 Depth=1
	v_bfe_u32 v16, v10, 16, 7
	v_cmp_ne_u32_e32 vcc, s29, v16
	v_mov_b32_e32 v31, 0x7c01
	s_and_saveexec_b64 s[20:21], vcc
	s_cbranch_execz .LBB261_907
; %bb.906:                              ;   in Loop: Header=BB261_616 Depth=1
	v_and_b32_e32 v13, 7, v1
	v_lshrrev_b32_e32 v14, 3, v16
	v_cmp_gt_u32_e32 vcc, 8, v16
	v_ffbh_u32_e32 v16, v13
	v_min_u32_e32 v31, 32, v16
	v_subrev_u32_e32 v16, 28, v31
	v_lshlrev_b64 v[16:17], v16, v[1:2]
	v_sub_u32_e32 v17, 29, v31
	v_cndmask_b32_e32 v14, v14, v17, vcc
	v_lshl_add_u32 v14, v14, 10, v32
	v_lshlrev_b32_e32 v1, 8, v1
	v_and_b32_e32 v16, 7, v16
	v_and_b32_e32 v14, 0xfc00, v14
	v_cndmask_b32_e32 v13, v13, v16, vcc
	v_and_or_b32 v1, v1, s30, v14
	v_lshl_or_b32 v31, v13, 7, v1
.LBB261_907:                            ;   in Loop: Header=BB261_616 Depth=1
	s_or_b64 exec, exec, s[20:21]
.LBB261_908:                            ;   in Loop: Header=BB261_616 Depth=1
	s_or_b64 exec, exec, s[18:19]
.LBB261_909:                            ;   in Loop: Header=BB261_616 Depth=1
	s_or_b64 exec, exec, s[16:17]
	v_cmp_lt_u64_e32 vcc, s[4:5], v[9:10]
	v_mov_b32_e32 v9, 0
	s_and_saveexec_b64 s[16:17], vcc
	s_cbranch_execz .LBB261_915
; %bb.910:                              ;   in Loop: Header=BB261_616 Depth=1
	v_lshrrev_b32_e32 v1, 24, v10
	v_cmp_ne_u32_e32 vcc, s28, v1
	v_bfrev_b32_e32 v9, 1
	s_and_saveexec_b64 s[18:19], vcc
	s_cbranch_execz .LBB261_914
; %bb.911:                              ;   in Loop: Header=BB261_616 Depth=1
	v_and_b32_e32 v10, 0x7f, v1
	v_cmp_ne_u32_e32 vcc, s29, v10
	v_mov_b32_e32 v9, 0x7c010000
	s_and_saveexec_b64 s[20:21], vcc
	s_cbranch_execz .LBB261_913
; %bb.912:                              ;   in Loop: Header=BB261_616 Depth=1
	v_and_b32_e32 v13, 7, v1
	v_ffbh_u32_e32 v9, v13
	v_min_u32_e32 v16, 32, v9
	v_subrev_u32_e32 v9, 28, v16
	v_lshrrev_b32_e32 v14, 3, v10
	v_cmp_gt_u32_e32 vcc, 8, v10
	v_lshlrev_b64 v[9:10], v9, v[1:2]
	v_sub_u32_e32 v10, 29, v16
	v_cndmask_b32_e32 v10, v14, v10, vcc
	v_lshlrev_b32_e32 v1, 8, v1
	v_lshl_add_u32 v10, v10, 10, v32
	v_and_b32_e32 v9, 7, v9
	v_and_or_b32 v1, v1, s30, v10
	v_cndmask_b32_e32 v9, v13, v9, vcc
	v_lshlrev_b32_e32 v1, 16, v1
	v_lshl_or_b32 v9, v9, 23, v1
.LBB261_913:                            ;   in Loop: Header=BB261_616 Depth=1
	s_or_b64 exec, exec, s[20:21]
.LBB261_914:                            ;   in Loop: Header=BB261_616 Depth=1
	s_or_b64 exec, exec, s[18:19]
.LBB261_915:                            ;   in Loop: Header=BB261_616 Depth=1
	s_or_b64 exec, exec, s[16:17]
	s_waitcnt vmcnt(0)
	v_fma_mixlo_f16 v10, v0, v46, 0 op_sel:[0,1,0] op_sel_hi:[0,1,0]
	v_fma_mixlo_f16 v13, v0, v18, 0 op_sel:[0,1,0] op_sel_hi:[0,1,0]
	v_or_b32_e32 v1, v46, v11
	v_lshlrev_b32_e32 v11, 16, v10
	v_or_b32_e32 v10, v18, v45
	v_lshlrev_b32_e32 v17, 16, v13
	v_or_b32_e32 v3, v4, v3
	v_or_b32_e32 v13, v9, v31
	v_fma_mixlo_f16 v1, v0, v1, 0 op_sel_hi:[0,1,0]
	v_fma_mixlo_f16 v10, v0, v10, 0 op_sel_hi:[0,1,0]
	v_fma_mixlo_f16 v4, v0, v4, 0 op_sel:[0,1,0] op_sel_hi:[0,1,0]
	v_fma_mixlo_f16 v3, v0, v3, 0 op_sel_hi:[0,1,0]
	v_fma_mixlo_f16 v13, v0, v13, 0 op_sel_hi:[0,1,0]
	v_fma_mixlo_f16 v0, v0, v9, 0 op_sel:[0,1,0] op_sel_hi:[0,1,0]
	v_and_b32_e32 v16, 0xffff, v1
	v_and_b32_e32 v45, 0xffff, v10
	v_lshlrev_b32_e32 v4, 16, v4
	v_and_b32_e32 v18, 0xffff, v3
	v_lshlrev_b32_e32 v0, 16, v0
	v_and_b32_e32 v9, 0xffff, v13
	v_or_b32_e32 v1, v11, v16
	v_or_b32_e32 v10, v17, v45
	;; [unrolled: 1-line block ×4, first 2 shown]
	s_and_saveexec_b64 s[16:17], s[0:1]
	s_cbranch_execz .LBB261_917
; %bb.916:                              ;   in Loop: Header=BB261_616 Depth=1
	v_cmp_gt_i32_e32 vcc, s33, v33
	v_cndmask_b32_e32 v1, 0, v45, vcc
	v_cmp_gt_i32_e32 vcc, s33, v44
	v_cndmask_b32_e32 v3, 0, v17, vcc
	v_cmp_gt_i32_e32 vcc, s33, v43
	v_or_b32_e32 v10, v3, v1
	v_cndmask_b32_e32 v1, 0, v16, vcc
	v_cmp_gt_i32_e32 vcc, s33, v42
	v_cndmask_b32_e32 v3, 0, v11, vcc
	v_cmp_gt_i32_e32 vcc, s33, v40
	v_or_b32_e32 v1, v3, v1
	;; [unrolled: 5-line block ×3, first 2 shown]
	v_cndmask_b32_e32 v4, 0, v9, vcc
	v_cmp_gt_i32_e32 vcc, s33, v34
	v_cndmask_b32_e32 v0, 0, v0, vcc
	v_or_b32_e32 v31, v0, v4
.LBB261_917:                            ;   in Loop: Header=BB261_616 Depth=1
	s_or_b64 exec, exec, s[16:17]
	;;#ASMSTART
	v_pk_mul_f16 v0, v41, v10;

	;;#ASMEND
	;;#ASMSTART
	v_pk_mul_f16 v1, v39, v1;

	;;#ASMEND
	;; [unrolled: 4-line block ×4, first 2 shown]
	;;#ASMSTART
	v_pk_add_f16 v0, v0, v1;

	;;#ASMEND
	;;#ASMSTART
	v_pk_add_f16 v0, v0, v3;

	;;#ASMEND
	;; [unrolled: 4-line block ×3, first 2 shown]
	v_lshrrev_b32_e32 v1, 16, v0
	v_and_b32_e32 v0, 0xffff, v0
	;;#ASMSTART
	v_cvt_f32_f16 v0, v0;
	;;#ASMEND
	;;#ASMSTART
	v_cvt_f32_f16 v55, v1;
	;;#ASMEND
	global_load_dwordx2 v[9:10], v[7:8], off offset:3072
	v_mov_b32_e32 v46, 0
	global_load_dword v45, v46, s[14:15]
	v_mov_b32_e32 v54, 0
	s_waitcnt vmcnt(1)
	v_cmp_ne_u16_sdwa s[18:19], v9, v2 src0_sel:BYTE_0 src1_sel:DWORD
	s_and_saveexec_b64 s[16:17], s[18:19]
	s_cbranch_execz .LBB261_923
; %bb.918:                              ;   in Loop: Header=BB261_616 Depth=1
	v_cmp_ne_u16_sdwa s[20:21], v9, s28 src0_sel:BYTE_0 src1_sel:DWORD
	v_mov_b32_e32 v54, 0x8000
	s_and_saveexec_b64 s[18:19], s[20:21]
	s_cbranch_execz .LBB261_922
; %bb.919:                              ;   in Loop: Header=BB261_616 Depth=1
	v_and_b32_e32 v1, 0x7f, v9
	v_cmp_ne_u32_e32 vcc, s29, v1
	v_mov_b32_e32 v54, 0x7c01
	s_and_saveexec_b64 s[20:21], vcc
	s_cbranch_execz .LBB261_921
; %bb.920:                              ;   in Loop: Header=BB261_616 Depth=1
	v_and_b32_e32 v11, 7, v9
	v_lshrrev_b32_e32 v13, 3, v1
	v_cmp_gt_u32_e32 vcc, 8, v1
	v_ffbh_u32_e32 v1, v11
	v_min_u32_e32 v1, 32, v1
	v_subrev_u32_e32 v3, 28, v1
	v_sub_u32_e32 v1, 29, v1
	v_lshlrev_b64 v[3:4], v3, v[9:10]
	v_cndmask_b32_e32 v1, v13, v1, vcc
	v_lshl_add_u32 v1, v1, 10, v32
	v_lshlrev_b32_e32 v4, 8, v9
	v_and_b32_e32 v3, 7, v3
	v_and_b32_e32 v1, 0xfc00, v1
	v_cndmask_b32_e32 v3, v11, v3, vcc
	v_and_or_b32 v1, v4, s30, v1
	v_lshl_or_b32 v54, v3, 7, v1
.LBB261_921:                            ;   in Loop: Header=BB261_616 Depth=1
	s_or_b64 exec, exec, s[20:21]
.LBB261_922:                            ;   in Loop: Header=BB261_616 Depth=1
	s_or_b64 exec, exec, s[18:19]
.LBB261_923:                            ;   in Loop: Header=BB261_616 Depth=1
	s_or_b64 exec, exec, s[16:17]
	v_lshrrev_b16_e32 v1, 8, v9
	v_cmp_ne_u16_e32 vcc, 0, v1
	s_and_saveexec_b64 s[16:17], vcc
	s_cbranch_execz .LBB261_929
; %bb.924:                              ;   in Loop: Header=BB261_616 Depth=1
	v_cmp_ne_u16_e32 vcc, s28, v1
	v_bfrev_b32_e32 v46, 1
	s_and_saveexec_b64 s[18:19], vcc
	s_cbranch_execz .LBB261_928
; %bb.925:                              ;   in Loop: Header=BB261_616 Depth=1
	v_and_b32_e32 v3, 0x7f, v1
	v_cmp_ne_u32_e32 vcc, s29, v3
	v_mov_b32_e32 v46, 0x7c010000
	s_and_saveexec_b64 s[20:21], vcc
	s_cbranch_execz .LBB261_927
; %bb.926:                              ;   in Loop: Header=BB261_616 Depth=1
	v_and_b32_e32 v11, 7, v1
	v_lshrrev_b32_e32 v13, 3, v3
	v_cmp_gt_u32_e32 vcc, 8, v3
	v_ffbh_u32_e32 v3, v11
	v_min_u32_e32 v14, 32, v3
	v_subrev_u32_e32 v3, 28, v14
	v_lshlrev_b64 v[3:4], v3, v[1:2]
	v_sub_u32_e32 v4, 29, v14
	v_cndmask_b32_e32 v4, v13, v4, vcc
	v_lshlrev_b32_e32 v1, 8, v1
	v_lshl_add_u32 v4, v4, 10, v32
	v_and_b32_e32 v3, 7, v3
	v_and_or_b32 v1, v1, s30, v4
	v_cndmask_b32_e32 v3, v11, v3, vcc
	v_lshlrev_b32_e32 v1, 16, v1
	v_lshl_or_b32 v46, v3, 23, v1
.LBB261_927:                            ;   in Loop: Header=BB261_616 Depth=1
	s_or_b64 exec, exec, s[20:21]
.LBB261_928:                            ;   in Loop: Header=BB261_616 Depth=1
	s_or_b64 exec, exec, s[18:19]
.LBB261_929:                            ;   in Loop: Header=BB261_616 Depth=1
	s_or_b64 exec, exec, s[16:17]
	v_lshrrev_b32_e32 v1, 16, v9
	v_cmp_ne_u16_sdwa s[18:19], v1, v2 src0_sel:BYTE_0 src1_sel:DWORD
	v_mov_b32_e32 v18, 0
	v_mov_b32_e32 v11, 0
	s_and_saveexec_b64 s[16:17], s[18:19]
	s_cbranch_execz .LBB261_935
; %bb.930:                              ;   in Loop: Header=BB261_616 Depth=1
	v_cmp_ne_u16_sdwa s[20:21], v1, s28 src0_sel:BYTE_0 src1_sel:DWORD
	v_mov_b32_e32 v11, 0x8000
	s_and_saveexec_b64 s[18:19], s[20:21]
	s_cbranch_execz .LBB261_934
; %bb.931:                              ;   in Loop: Header=BB261_616 Depth=1
	v_bfe_u32 v3, v9, 16, 7
	v_cmp_ne_u32_e32 vcc, s29, v3
	v_mov_b32_e32 v11, 0x7c01
	s_and_saveexec_b64 s[20:21], vcc
	s_cbranch_execz .LBB261_933
; %bb.932:                              ;   in Loop: Header=BB261_616 Depth=1
	v_and_b32_e32 v11, 7, v1
	v_lshrrev_b32_e32 v13, 3, v3
	v_cmp_gt_u32_e32 vcc, 8, v3
	v_ffbh_u32_e32 v3, v11
	v_min_u32_e32 v14, 32, v3
	v_subrev_u32_e32 v3, 28, v14
	v_lshlrev_b64 v[3:4], v3, v[1:2]
	v_sub_u32_e32 v4, 29, v14
	v_cndmask_b32_e32 v4, v13, v4, vcc
	v_lshl_add_u32 v4, v4, 10, v32
	v_lshlrev_b32_e32 v1, 8, v1
	v_and_b32_e32 v3, 7, v3
	v_and_b32_e32 v4, 0xfc00, v4
	v_cndmask_b32_e32 v3, v11, v3, vcc
	v_and_or_b32 v1, v1, s30, v4
	v_lshl_or_b32 v11, v3, 7, v1
.LBB261_933:                            ;   in Loop: Header=BB261_616 Depth=1
	s_or_b64 exec, exec, s[20:21]
.LBB261_934:                            ;   in Loop: Header=BB261_616 Depth=1
	s_or_b64 exec, exec, s[18:19]
.LBB261_935:                            ;   in Loop: Header=BB261_616 Depth=1
	s_or_b64 exec, exec, s[16:17]
	v_cmp_lt_u32_e32 vcc, s5, v9
	s_and_saveexec_b64 s[16:17], vcc
	s_cbranch_execz .LBB261_941
; %bb.936:                              ;   in Loop: Header=BB261_616 Depth=1
	v_lshrrev_b32_e32 v1, 24, v9
	v_cmp_ne_u32_e32 vcc, s28, v1
	v_bfrev_b32_e32 v18, 1
	s_and_saveexec_b64 s[18:19], vcc
	s_cbranch_execz .LBB261_940
; %bb.937:                              ;   in Loop: Header=BB261_616 Depth=1
	v_and_b32_e32 v3, 0x7f, v1
	v_cmp_ne_u32_e32 vcc, s29, v3
	v_mov_b32_e32 v18, 0x7c010000
	s_and_saveexec_b64 s[20:21], vcc
	s_cbranch_execz .LBB261_939
; %bb.938:                              ;   in Loop: Header=BB261_616 Depth=1
	v_and_b32_e32 v13, 7, v1
	v_lshrrev_b32_e32 v14, 3, v3
	v_cmp_gt_u32_e32 vcc, 8, v3
	v_ffbh_u32_e32 v3, v13
	v_min_u32_e32 v16, 32, v3
	v_subrev_u32_e32 v3, 28, v16
	v_lshlrev_b64 v[3:4], v3, v[1:2]
	v_sub_u32_e32 v4, 29, v16
	v_cndmask_b32_e32 v4, v14, v4, vcc
	v_lshlrev_b32_e32 v1, 8, v1
	v_lshl_add_u32 v4, v4, 10, v32
	v_and_b32_e32 v3, 7, v3
	v_and_or_b32 v1, v1, s30, v4
	v_cndmask_b32_e32 v3, v13, v3, vcc
	v_lshlrev_b32_e32 v1, 16, v1
	v_lshl_or_b32 v18, v3, 23, v1
.LBB261_939:                            ;   in Loop: Header=BB261_616 Depth=1
	s_or_b64 exec, exec, s[20:21]
.LBB261_940:                            ;   in Loop: Header=BB261_616 Depth=1
	s_or_b64 exec, exec, s[18:19]
.LBB261_941:                            ;   in Loop: Header=BB261_616 Depth=1
	s_or_b64 exec, exec, s[16:17]
	v_mov_b32_e32 v1, v10
	v_cmp_ne_u16_sdwa s[18:19], v10, v2 src0_sel:BYTE_0 src1_sel:DWORD
	v_mov_b32_e32 v31, 0
	v_mov_b32_e32 v3, 0
	s_and_saveexec_b64 s[16:17], s[18:19]
	s_cbranch_execz .LBB261_947
; %bb.942:                              ;   in Loop: Header=BB261_616 Depth=1
	v_cmp_ne_u16_sdwa s[20:21], v10, s28 src0_sel:BYTE_0 src1_sel:DWORD
	v_mov_b32_e32 v3, 0x8000
	s_and_saveexec_b64 s[18:19], s[20:21]
	s_cbranch_execz .LBB261_946
; %bb.943:                              ;   in Loop: Header=BB261_616 Depth=1
	v_and_b32_e32 v4, 0x7f, v10
	v_cmp_ne_u32_e32 vcc, s29, v4
	v_mov_b32_e32 v3, 0x7c01
	s_and_saveexec_b64 s[20:21], vcc
	s_cbranch_execz .LBB261_945
; %bb.944:                              ;   in Loop: Header=BB261_616 Depth=1
	v_and_b32_e32 v13, 7, v10
	v_ffbh_u32_e32 v3, v13
	v_min_u32_e32 v16, 32, v3
	v_subrev_u32_e32 v3, 28, v16
	v_lshrrev_b32_e32 v14, 3, v4
	v_cmp_gt_u32_e32 vcc, 8, v4
	v_lshlrev_b64 v[3:4], v3, v[1:2]
	v_sub_u32_e32 v4, 29, v16
	v_cndmask_b32_e32 v4, v14, v4, vcc
	v_lshl_add_u32 v4, v4, 10, v32
	v_lshlrev_b32_e32 v14, 8, v10
	v_and_b32_e32 v3, 7, v3
	v_and_b32_e32 v4, 0xfc00, v4
	v_cndmask_b32_e32 v3, v13, v3, vcc
	v_and_or_b32 v4, v14, s30, v4
	v_lshl_or_b32 v3, v3, 7, v4
.LBB261_945:                            ;   in Loop: Header=BB261_616 Depth=1
	s_or_b64 exec, exec, s[20:21]
.LBB261_946:                            ;   in Loop: Header=BB261_616 Depth=1
	s_or_b64 exec, exec, s[18:19]
.LBB261_947:                            ;   in Loop: Header=BB261_616 Depth=1
	s_or_b64 exec, exec, s[16:17]
	v_lshrrev_b16_e32 v1, 8, v1
	v_cmp_ne_u16_e32 vcc, 0, v1
	v_mov_b32_e32 v4, 0
	s_and_saveexec_b64 s[16:17], vcc
	s_cbranch_execz .LBB261_953
; %bb.948:                              ;   in Loop: Header=BB261_616 Depth=1
	v_cmp_ne_u16_e32 vcc, s28, v1
	v_bfrev_b32_e32 v4, 1
	s_and_saveexec_b64 s[18:19], vcc
	s_cbranch_execz .LBB261_952
; %bb.949:                              ;   in Loop: Header=BB261_616 Depth=1
	v_and_b32_e32 v16, 0x7f, v1
	v_cmp_ne_u32_e32 vcc, s29, v16
	v_mov_b32_e32 v4, 0x7c010000
	s_and_saveexec_b64 s[20:21], vcc
	s_cbranch_execz .LBB261_951
; %bb.950:                              ;   in Loop: Header=BB261_616 Depth=1
	v_and_b32_e32 v4, 7, v1
	v_ffbh_u32_e32 v14, v4
	v_min_u32_e32 v14, 32, v14
	v_lshrrev_b32_e32 v13, 3, v16
	v_cmp_gt_u32_e32 vcc, 8, v16
	v_subrev_u32_e32 v16, 28, v14
	v_sub_u32_e32 v14, 29, v14
	v_lshlrev_b64 v[16:17], v16, v[1:2]
	v_cndmask_b32_e32 v13, v13, v14, vcc
	v_lshlrev_b32_e32 v1, 8, v1
	v_lshl_add_u32 v13, v13, 10, v32
	v_and_b32_e32 v14, 7, v16
	v_and_or_b32 v1, v1, s30, v13
	v_cndmask_b32_e32 v4, v4, v14, vcc
	v_lshlrev_b32_e32 v1, 16, v1
	v_lshl_or_b32 v4, v4, 23, v1
.LBB261_951:                            ;   in Loop: Header=BB261_616 Depth=1
	s_or_b64 exec, exec, s[20:21]
.LBB261_952:                            ;   in Loop: Header=BB261_616 Depth=1
	s_or_b64 exec, exec, s[18:19]
.LBB261_953:                            ;   in Loop: Header=BB261_616 Depth=1
	s_or_b64 exec, exec, s[16:17]
	v_lshrrev_b32_e32 v1, 16, v10
	v_cmp_ne_u16_sdwa s[18:19], v1, v2 src0_sel:BYTE_0 src1_sel:DWORD
	s_and_saveexec_b64 s[16:17], s[18:19]
	s_cbranch_execz .LBB261_959
; %bb.954:                              ;   in Loop: Header=BB261_616 Depth=1
	v_cmp_ne_u16_sdwa s[20:21], v1, s28 src0_sel:BYTE_0 src1_sel:DWORD
	v_mov_b32_e32 v31, 0x8000
	s_and_saveexec_b64 s[18:19], s[20:21]
	s_cbranch_execz .LBB261_958
; %bb.955:                              ;   in Loop: Header=BB261_616 Depth=1
	v_bfe_u32 v16, v10, 16, 7
	v_cmp_ne_u32_e32 vcc, s29, v16
	v_mov_b32_e32 v31, 0x7c01
	s_and_saveexec_b64 s[20:21], vcc
	s_cbranch_execz .LBB261_957
; %bb.956:                              ;   in Loop: Header=BB261_616 Depth=1
	v_and_b32_e32 v13, 7, v1
	v_lshrrev_b32_e32 v14, 3, v16
	v_cmp_gt_u32_e32 vcc, 8, v16
	v_ffbh_u32_e32 v16, v13
	v_min_u32_e32 v31, 32, v16
	v_subrev_u32_e32 v16, 28, v31
	v_lshlrev_b64 v[16:17], v16, v[1:2]
	v_sub_u32_e32 v17, 29, v31
	v_cndmask_b32_e32 v14, v14, v17, vcc
	v_lshl_add_u32 v14, v14, 10, v32
	v_lshlrev_b32_e32 v1, 8, v1
	v_and_b32_e32 v16, 7, v16
	v_and_b32_e32 v14, 0xfc00, v14
	v_cndmask_b32_e32 v13, v13, v16, vcc
	v_and_or_b32 v1, v1, s30, v14
	v_lshl_or_b32 v31, v13, 7, v1
.LBB261_957:                            ;   in Loop: Header=BB261_616 Depth=1
	s_or_b64 exec, exec, s[20:21]
.LBB261_958:                            ;   in Loop: Header=BB261_616 Depth=1
	s_or_b64 exec, exec, s[18:19]
.LBB261_959:                            ;   in Loop: Header=BB261_616 Depth=1
	s_or_b64 exec, exec, s[16:17]
	v_cmp_lt_u64_e32 vcc, s[4:5], v[9:10]
	v_mov_b32_e32 v9, 0
	s_and_saveexec_b64 s[16:17], vcc
	s_cbranch_execz .LBB261_965
; %bb.960:                              ;   in Loop: Header=BB261_616 Depth=1
	v_lshrrev_b32_e32 v1, 24, v10
	v_cmp_ne_u32_e32 vcc, s28, v1
	v_bfrev_b32_e32 v9, 1
	s_and_saveexec_b64 s[18:19], vcc
	s_cbranch_execz .LBB261_964
; %bb.961:                              ;   in Loop: Header=BB261_616 Depth=1
	v_and_b32_e32 v10, 0x7f, v1
	v_cmp_ne_u32_e32 vcc, s29, v10
	v_mov_b32_e32 v9, 0x7c010000
	s_and_saveexec_b64 s[20:21], vcc
	s_cbranch_execz .LBB261_963
; %bb.962:                              ;   in Loop: Header=BB261_616 Depth=1
	v_and_b32_e32 v13, 7, v1
	v_ffbh_u32_e32 v9, v13
	v_min_u32_e32 v16, 32, v9
	v_subrev_u32_e32 v9, 28, v16
	v_lshrrev_b32_e32 v14, 3, v10
	v_cmp_gt_u32_e32 vcc, 8, v10
	v_lshlrev_b64 v[9:10], v9, v[1:2]
	v_sub_u32_e32 v10, 29, v16
	v_cndmask_b32_e32 v10, v14, v10, vcc
	v_lshlrev_b32_e32 v1, 8, v1
	v_lshl_add_u32 v10, v10, 10, v32
	v_and_b32_e32 v9, 7, v9
	v_and_or_b32 v1, v1, s30, v10
	v_cndmask_b32_e32 v9, v13, v9, vcc
	v_lshlrev_b32_e32 v1, 16, v1
	v_lshl_or_b32 v9, v9, 23, v1
.LBB261_963:                            ;   in Loop: Header=BB261_616 Depth=1
	s_or_b64 exec, exec, s[20:21]
.LBB261_964:                            ;   in Loop: Header=BB261_616 Depth=1
	s_or_b64 exec, exec, s[18:19]
.LBB261_965:                            ;   in Loop: Header=BB261_616 Depth=1
	s_or_b64 exec, exec, s[16:17]
	s_waitcnt vmcnt(0)
	v_fma_mixlo_f16 v10, v45, v18, 0 op_sel:[0,1,0] op_sel_hi:[0,1,0]
	v_fma_mixlo_f16 v13, v45, v46, 0 op_sel:[0,1,0] op_sel_hi:[0,1,0]
	v_or_b32_e32 v1, v18, v11
	v_lshlrev_b32_e32 v11, 16, v10
	v_or_b32_e32 v10, v46, v54
	v_lshlrev_b32_e32 v17, 16, v13
	v_or_b32_e32 v3, v4, v3
	v_or_b32_e32 v13, v9, v31
	v_fma_mixlo_f16 v1, v45, v1, 0 op_sel_hi:[0,1,0]
	v_fma_mixlo_f16 v10, v45, v10, 0 op_sel_hi:[0,1,0]
	v_fma_mixlo_f16 v4, v45, v4, 0 op_sel:[0,1,0] op_sel_hi:[0,1,0]
	v_fma_mixlo_f16 v3, v45, v3, 0 op_sel_hi:[0,1,0]
	v_fma_mixlo_f16 v13, v45, v13, 0 op_sel_hi:[0,1,0]
	v_fma_mixlo_f16 v9, v45, v9, 0 op_sel:[0,1,0] op_sel_hi:[0,1,0]
	v_and_b32_e32 v16, 0xffff, v1
	v_and_b32_e32 v46, 0xffff, v10
	v_lshlrev_b32_e32 v4, 16, v4
	v_and_b32_e32 v18, 0xffff, v3
	v_lshlrev_b32_e32 v9, 16, v9
	v_and_b32_e32 v31, 0xffff, v13
	v_or_b32_e32 v1, v11, v16
	v_or_b32_e32 v10, v17, v46
	;; [unrolled: 1-line block ×4, first 2 shown]
	s_and_saveexec_b64 s[16:17], s[0:1]
	s_cbranch_execz .LBB261_967
; %bb.966:                              ;   in Loop: Header=BB261_616 Depth=1
	v_cmp_gt_i32_e32 vcc, s33, v33
	v_cndmask_b32_e32 v1, 0, v46, vcc
	v_cmp_gt_i32_e32 vcc, s33, v44
	v_cndmask_b32_e32 v3, 0, v17, vcc
	v_cmp_gt_i32_e32 vcc, s33, v43
	v_or_b32_e32 v10, v3, v1
	v_cndmask_b32_e32 v1, 0, v16, vcc
	v_cmp_gt_i32_e32 vcc, s33, v42
	v_cndmask_b32_e32 v3, 0, v11, vcc
	v_cmp_gt_i32_e32 vcc, s33, v40
	v_or_b32_e32 v1, v3, v1
	;; [unrolled: 5-line block ×3, first 2 shown]
	v_cndmask_b32_e32 v4, 0, v31, vcc
	v_cmp_gt_i32_e32 vcc, s33, v34
	v_cndmask_b32_e32 v9, 0, v9, vcc
	v_or_b32_e32 v45, v9, v4
.LBB261_967:                            ;   in Loop: Header=BB261_616 Depth=1
	s_or_b64 exec, exec, s[16:17]
	;;#ASMSTART
	v_pk_mul_f16 v4, v41, v10;

	;;#ASMEND
	;;#ASMSTART
	v_pk_mul_f16 v1, v39, v1;

	;;#ASMEND
	;; [unrolled: 4-line block ×4, first 2 shown]
	;;#ASMSTART
	v_pk_add_f16 v1, v4, v1;

	;;#ASMEND
	;;#ASMSTART
	v_pk_add_f16 v1, v1, v3;

	;;#ASMEND
	;; [unrolled: 4-line block ×3, first 2 shown]
	v_lshrrev_b32_e32 v3, 16, v1
	v_and_b32_e32 v1, 0xffff, v1
	;;#ASMSTART
	v_cvt_f32_f16 v54, v1;
	;;#ASMEND
	;;#ASMSTART
	v_cvt_f32_f16 v46, v3;
	;;#ASMEND
	global_load_dwordx2 v[9:10], v[7:8], off offset:3584
	v_mov_b32_e32 v56, 0
	global_load_dword v45, v56, s[14:15]
	v_mov_b32_e32 v58, 0
	s_waitcnt vmcnt(1)
	v_cmp_ne_u16_sdwa s[18:19], v9, v2 src0_sel:BYTE_0 src1_sel:DWORD
	s_and_saveexec_b64 s[16:17], s[18:19]
	s_cbranch_execz .LBB261_973
; %bb.968:                              ;   in Loop: Header=BB261_616 Depth=1
	v_cmp_ne_u16_sdwa s[20:21], v9, s28 src0_sel:BYTE_0 src1_sel:DWORD
	v_mov_b32_e32 v58, 0x8000
	s_and_saveexec_b64 s[18:19], s[20:21]
	s_cbranch_execz .LBB261_972
; %bb.969:                              ;   in Loop: Header=BB261_616 Depth=1
	v_and_b32_e32 v1, 0x7f, v9
	v_cmp_ne_u32_e32 vcc, s29, v1
	v_mov_b32_e32 v58, 0x7c01
	s_and_saveexec_b64 s[20:21], vcc
	s_cbranch_execz .LBB261_971
; %bb.970:                              ;   in Loop: Header=BB261_616 Depth=1
	v_and_b32_e32 v11, 7, v9
	v_lshrrev_b32_e32 v13, 3, v1
	v_cmp_gt_u32_e32 vcc, 8, v1
	v_ffbh_u32_e32 v1, v11
	v_min_u32_e32 v1, 32, v1
	v_subrev_u32_e32 v3, 28, v1
	v_sub_u32_e32 v1, 29, v1
	v_lshlrev_b64 v[3:4], v3, v[9:10]
	v_cndmask_b32_e32 v1, v13, v1, vcc
	v_lshl_add_u32 v1, v1, 10, v32
	v_lshlrev_b32_e32 v4, 8, v9
	v_and_b32_e32 v3, 7, v3
	v_and_b32_e32 v1, 0xfc00, v1
	v_cndmask_b32_e32 v3, v11, v3, vcc
	v_and_or_b32 v1, v4, s30, v1
	v_lshl_or_b32 v58, v3, 7, v1
.LBB261_971:                            ;   in Loop: Header=BB261_616 Depth=1
	s_or_b64 exec, exec, s[20:21]
.LBB261_972:                            ;   in Loop: Header=BB261_616 Depth=1
	s_or_b64 exec, exec, s[18:19]
.LBB261_973:                            ;   in Loop: Header=BB261_616 Depth=1
	s_or_b64 exec, exec, s[16:17]
	v_lshrrev_b16_e32 v1, 8, v9
	v_cmp_ne_u16_e32 vcc, 0, v1
	s_and_saveexec_b64 s[16:17], vcc
	s_cbranch_execz .LBB261_979
; %bb.974:                              ;   in Loop: Header=BB261_616 Depth=1
	v_cmp_ne_u16_e32 vcc, s28, v1
	v_bfrev_b32_e32 v56, 1
	s_and_saveexec_b64 s[18:19], vcc
	s_cbranch_execz .LBB261_978
; %bb.975:                              ;   in Loop: Header=BB261_616 Depth=1
	v_and_b32_e32 v3, 0x7f, v1
	v_cmp_ne_u32_e32 vcc, s29, v3
	v_mov_b32_e32 v56, 0x7c010000
	s_and_saveexec_b64 s[20:21], vcc
	s_cbranch_execz .LBB261_977
; %bb.976:                              ;   in Loop: Header=BB261_616 Depth=1
	v_and_b32_e32 v11, 7, v1
	v_lshrrev_b32_e32 v13, 3, v3
	v_cmp_gt_u32_e32 vcc, 8, v3
	v_ffbh_u32_e32 v3, v11
	v_min_u32_e32 v14, 32, v3
	v_subrev_u32_e32 v3, 28, v14
	v_lshlrev_b64 v[3:4], v3, v[1:2]
	v_sub_u32_e32 v4, 29, v14
	v_cndmask_b32_e32 v4, v13, v4, vcc
	v_lshlrev_b32_e32 v1, 8, v1
	v_lshl_add_u32 v4, v4, 10, v32
	v_and_b32_e32 v3, 7, v3
	v_and_or_b32 v1, v1, s30, v4
	v_cndmask_b32_e32 v3, v11, v3, vcc
	v_lshlrev_b32_e32 v1, 16, v1
	v_lshl_or_b32 v56, v3, 23, v1
.LBB261_977:                            ;   in Loop: Header=BB261_616 Depth=1
	s_or_b64 exec, exec, s[20:21]
.LBB261_978:                            ;   in Loop: Header=BB261_616 Depth=1
	s_or_b64 exec, exec, s[18:19]
.LBB261_979:                            ;   in Loop: Header=BB261_616 Depth=1
	s_or_b64 exec, exec, s[16:17]
	v_lshrrev_b32_e32 v1, 16, v9
	v_cmp_ne_u16_sdwa s[18:19], v1, v2 src0_sel:BYTE_0 src1_sel:DWORD
	v_mov_b32_e32 v18, 0
	v_mov_b32_e32 v11, 0
	s_and_saveexec_b64 s[16:17], s[18:19]
	s_cbranch_execz .LBB261_985
; %bb.980:                              ;   in Loop: Header=BB261_616 Depth=1
	v_cmp_ne_u16_sdwa s[20:21], v1, s28 src0_sel:BYTE_0 src1_sel:DWORD
	v_mov_b32_e32 v11, 0x8000
	s_and_saveexec_b64 s[18:19], s[20:21]
	s_cbranch_execz .LBB261_984
; %bb.981:                              ;   in Loop: Header=BB261_616 Depth=1
	v_bfe_u32 v3, v9, 16, 7
	v_cmp_ne_u32_e32 vcc, s29, v3
	v_mov_b32_e32 v11, 0x7c01
	s_and_saveexec_b64 s[20:21], vcc
	s_cbranch_execz .LBB261_983
; %bb.982:                              ;   in Loop: Header=BB261_616 Depth=1
	v_and_b32_e32 v11, 7, v1
	v_lshrrev_b32_e32 v13, 3, v3
	v_cmp_gt_u32_e32 vcc, 8, v3
	v_ffbh_u32_e32 v3, v11
	v_min_u32_e32 v14, 32, v3
	v_subrev_u32_e32 v3, 28, v14
	v_lshlrev_b64 v[3:4], v3, v[1:2]
	v_sub_u32_e32 v4, 29, v14
	v_cndmask_b32_e32 v4, v13, v4, vcc
	v_lshl_add_u32 v4, v4, 10, v32
	v_lshlrev_b32_e32 v1, 8, v1
	v_and_b32_e32 v3, 7, v3
	v_and_b32_e32 v4, 0xfc00, v4
	v_cndmask_b32_e32 v3, v11, v3, vcc
	v_and_or_b32 v1, v1, s30, v4
	v_lshl_or_b32 v11, v3, 7, v1
.LBB261_983:                            ;   in Loop: Header=BB261_616 Depth=1
	s_or_b64 exec, exec, s[20:21]
.LBB261_984:                            ;   in Loop: Header=BB261_616 Depth=1
	s_or_b64 exec, exec, s[18:19]
.LBB261_985:                            ;   in Loop: Header=BB261_616 Depth=1
	s_or_b64 exec, exec, s[16:17]
	v_cmp_lt_u32_e32 vcc, s5, v9
	s_and_saveexec_b64 s[16:17], vcc
	s_cbranch_execz .LBB261_991
; %bb.986:                              ;   in Loop: Header=BB261_616 Depth=1
	v_lshrrev_b32_e32 v1, 24, v9
	v_cmp_ne_u32_e32 vcc, s28, v1
	v_bfrev_b32_e32 v18, 1
	s_and_saveexec_b64 s[18:19], vcc
	s_cbranch_execz .LBB261_990
; %bb.987:                              ;   in Loop: Header=BB261_616 Depth=1
	v_and_b32_e32 v3, 0x7f, v1
	v_cmp_ne_u32_e32 vcc, s29, v3
	v_mov_b32_e32 v18, 0x7c010000
	s_and_saveexec_b64 s[20:21], vcc
	s_cbranch_execz .LBB261_989
; %bb.988:                              ;   in Loop: Header=BB261_616 Depth=1
	v_and_b32_e32 v13, 7, v1
	v_lshrrev_b32_e32 v14, 3, v3
	v_cmp_gt_u32_e32 vcc, 8, v3
	v_ffbh_u32_e32 v3, v13
	v_min_u32_e32 v16, 32, v3
	v_subrev_u32_e32 v3, 28, v16
	v_lshlrev_b64 v[3:4], v3, v[1:2]
	v_sub_u32_e32 v4, 29, v16
	v_cndmask_b32_e32 v4, v14, v4, vcc
	v_lshlrev_b32_e32 v1, 8, v1
	v_lshl_add_u32 v4, v4, 10, v32
	v_and_b32_e32 v3, 7, v3
	v_and_or_b32 v1, v1, s30, v4
	v_cndmask_b32_e32 v3, v13, v3, vcc
	v_lshlrev_b32_e32 v1, 16, v1
	v_lshl_or_b32 v18, v3, 23, v1
.LBB261_989:                            ;   in Loop: Header=BB261_616 Depth=1
	s_or_b64 exec, exec, s[20:21]
.LBB261_990:                            ;   in Loop: Header=BB261_616 Depth=1
	s_or_b64 exec, exec, s[18:19]
.LBB261_991:                            ;   in Loop: Header=BB261_616 Depth=1
	s_or_b64 exec, exec, s[16:17]
	v_mov_b32_e32 v1, v10
	v_cmp_ne_u16_sdwa s[18:19], v10, v2 src0_sel:BYTE_0 src1_sel:DWORD
	v_mov_b32_e32 v31, 0
	v_mov_b32_e32 v3, 0
	s_and_saveexec_b64 s[16:17], s[18:19]
	s_cbranch_execz .LBB261_997
; %bb.992:                              ;   in Loop: Header=BB261_616 Depth=1
	v_cmp_ne_u16_sdwa s[20:21], v10, s28 src0_sel:BYTE_0 src1_sel:DWORD
	v_mov_b32_e32 v3, 0x8000
	s_and_saveexec_b64 s[18:19], s[20:21]
	s_cbranch_execz .LBB261_996
; %bb.993:                              ;   in Loop: Header=BB261_616 Depth=1
	v_and_b32_e32 v4, 0x7f, v10
	v_cmp_ne_u32_e32 vcc, s29, v4
	v_mov_b32_e32 v3, 0x7c01
	s_and_saveexec_b64 s[20:21], vcc
	s_cbranch_execz .LBB261_995
; %bb.994:                              ;   in Loop: Header=BB261_616 Depth=1
	v_and_b32_e32 v13, 7, v10
	v_ffbh_u32_e32 v3, v13
	v_min_u32_e32 v16, 32, v3
	v_subrev_u32_e32 v3, 28, v16
	v_lshrrev_b32_e32 v14, 3, v4
	v_cmp_gt_u32_e32 vcc, 8, v4
	v_lshlrev_b64 v[3:4], v3, v[1:2]
	v_sub_u32_e32 v4, 29, v16
	v_cndmask_b32_e32 v4, v14, v4, vcc
	v_lshl_add_u32 v4, v4, 10, v32
	v_lshlrev_b32_e32 v14, 8, v10
	v_and_b32_e32 v3, 7, v3
	v_and_b32_e32 v4, 0xfc00, v4
	v_cndmask_b32_e32 v3, v13, v3, vcc
	v_and_or_b32 v4, v14, s30, v4
	v_lshl_or_b32 v3, v3, 7, v4
.LBB261_995:                            ;   in Loop: Header=BB261_616 Depth=1
	s_or_b64 exec, exec, s[20:21]
.LBB261_996:                            ;   in Loop: Header=BB261_616 Depth=1
	s_or_b64 exec, exec, s[18:19]
.LBB261_997:                            ;   in Loop: Header=BB261_616 Depth=1
	s_or_b64 exec, exec, s[16:17]
	v_lshrrev_b16_e32 v1, 8, v1
	v_cmp_ne_u16_e32 vcc, 0, v1
	v_mov_b32_e32 v4, 0
	s_and_saveexec_b64 s[16:17], vcc
	s_cbranch_execz .LBB261_1003
; %bb.998:                              ;   in Loop: Header=BB261_616 Depth=1
	v_cmp_ne_u16_e32 vcc, s28, v1
	v_bfrev_b32_e32 v4, 1
	s_and_saveexec_b64 s[18:19], vcc
	s_cbranch_execz .LBB261_1002
; %bb.999:                              ;   in Loop: Header=BB261_616 Depth=1
	v_and_b32_e32 v16, 0x7f, v1
	v_cmp_ne_u32_e32 vcc, s29, v16
	v_mov_b32_e32 v4, 0x7c010000
	s_and_saveexec_b64 s[20:21], vcc
	s_cbranch_execz .LBB261_1001
; %bb.1000:                             ;   in Loop: Header=BB261_616 Depth=1
	v_and_b32_e32 v4, 7, v1
	v_ffbh_u32_e32 v14, v4
	v_min_u32_e32 v14, 32, v14
	v_lshrrev_b32_e32 v13, 3, v16
	v_cmp_gt_u32_e32 vcc, 8, v16
	v_subrev_u32_e32 v16, 28, v14
	v_sub_u32_e32 v14, 29, v14
	v_lshlrev_b64 v[16:17], v16, v[1:2]
	v_cndmask_b32_e32 v13, v13, v14, vcc
	v_lshlrev_b32_e32 v1, 8, v1
	v_lshl_add_u32 v13, v13, 10, v32
	v_and_b32_e32 v14, 7, v16
	v_and_or_b32 v1, v1, s30, v13
	v_cndmask_b32_e32 v4, v4, v14, vcc
	v_lshlrev_b32_e32 v1, 16, v1
	v_lshl_or_b32 v4, v4, 23, v1
.LBB261_1001:                           ;   in Loop: Header=BB261_616 Depth=1
	s_or_b64 exec, exec, s[20:21]
.LBB261_1002:                           ;   in Loop: Header=BB261_616 Depth=1
	s_or_b64 exec, exec, s[18:19]
.LBB261_1003:                           ;   in Loop: Header=BB261_616 Depth=1
	s_or_b64 exec, exec, s[16:17]
	v_lshrrev_b32_e32 v1, 16, v10
	v_cmp_ne_u16_sdwa s[18:19], v1, v2 src0_sel:BYTE_0 src1_sel:DWORD
	s_and_saveexec_b64 s[16:17], s[18:19]
	s_cbranch_execz .LBB261_1009
; %bb.1004:                             ;   in Loop: Header=BB261_616 Depth=1
	v_cmp_ne_u16_sdwa s[20:21], v1, s28 src0_sel:BYTE_0 src1_sel:DWORD
	v_mov_b32_e32 v31, 0x8000
	s_and_saveexec_b64 s[18:19], s[20:21]
	s_cbranch_execz .LBB261_1008
; %bb.1005:                             ;   in Loop: Header=BB261_616 Depth=1
	v_bfe_u32 v16, v10, 16, 7
	v_cmp_ne_u32_e32 vcc, s29, v16
	v_mov_b32_e32 v31, 0x7c01
	s_and_saveexec_b64 s[20:21], vcc
	s_cbranch_execz .LBB261_1007
; %bb.1006:                             ;   in Loop: Header=BB261_616 Depth=1
	v_and_b32_e32 v13, 7, v1
	v_lshrrev_b32_e32 v14, 3, v16
	v_cmp_gt_u32_e32 vcc, 8, v16
	v_ffbh_u32_e32 v16, v13
	v_min_u32_e32 v31, 32, v16
	v_subrev_u32_e32 v16, 28, v31
	v_lshlrev_b64 v[16:17], v16, v[1:2]
	v_sub_u32_e32 v17, 29, v31
	v_cndmask_b32_e32 v14, v14, v17, vcc
	v_lshl_add_u32 v14, v14, 10, v32
	v_lshlrev_b32_e32 v1, 8, v1
	v_and_b32_e32 v16, 7, v16
	v_and_b32_e32 v14, 0xfc00, v14
	v_cndmask_b32_e32 v13, v13, v16, vcc
	v_and_or_b32 v1, v1, s30, v14
	v_lshl_or_b32 v31, v13, 7, v1
.LBB261_1007:                           ;   in Loop: Header=BB261_616 Depth=1
	s_or_b64 exec, exec, s[20:21]
.LBB261_1008:                           ;   in Loop: Header=BB261_616 Depth=1
	s_or_b64 exec, exec, s[18:19]
.LBB261_1009:                           ;   in Loop: Header=BB261_616 Depth=1
	s_or_b64 exec, exec, s[16:17]
	v_cmp_lt_u64_e32 vcc, s[4:5], v[9:10]
	v_mov_b32_e32 v9, 0
	s_and_saveexec_b64 s[16:17], vcc
	s_cbranch_execz .LBB261_1015
; %bb.1010:                             ;   in Loop: Header=BB261_616 Depth=1
	v_lshrrev_b32_e32 v1, 24, v10
	v_cmp_ne_u32_e32 vcc, s28, v1
	v_bfrev_b32_e32 v9, 1
	s_and_saveexec_b64 s[18:19], vcc
	s_cbranch_execz .LBB261_1014
; %bb.1011:                             ;   in Loop: Header=BB261_616 Depth=1
	v_and_b32_e32 v10, 0x7f, v1
	v_cmp_ne_u32_e32 vcc, s29, v10
	v_mov_b32_e32 v9, 0x7c010000
	s_and_saveexec_b64 s[20:21], vcc
	s_cbranch_execz .LBB261_1013
; %bb.1012:                             ;   in Loop: Header=BB261_616 Depth=1
	v_and_b32_e32 v13, 7, v1
	v_ffbh_u32_e32 v9, v13
	v_min_u32_e32 v16, 32, v9
	v_subrev_u32_e32 v9, 28, v16
	v_lshrrev_b32_e32 v14, 3, v10
	v_cmp_gt_u32_e32 vcc, 8, v10
	v_lshlrev_b64 v[9:10], v9, v[1:2]
	v_sub_u32_e32 v10, 29, v16
	v_cndmask_b32_e32 v10, v14, v10, vcc
	v_lshlrev_b32_e32 v1, 8, v1
	v_lshl_add_u32 v10, v10, 10, v32
	v_and_b32_e32 v9, 7, v9
	v_and_or_b32 v1, v1, s30, v10
	v_cndmask_b32_e32 v9, v13, v9, vcc
	v_lshlrev_b32_e32 v1, 16, v1
	v_lshl_or_b32 v9, v9, 23, v1
.LBB261_1013:                           ;   in Loop: Header=BB261_616 Depth=1
	s_or_b64 exec, exec, s[20:21]
.LBB261_1014:                           ;   in Loop: Header=BB261_616 Depth=1
	s_or_b64 exec, exec, s[18:19]
.LBB261_1015:                           ;   in Loop: Header=BB261_616 Depth=1
	s_or_b64 exec, exec, s[16:17]
	s_waitcnt vmcnt(0)
	v_fma_mixlo_f16 v10, v45, v18, 0 op_sel:[0,1,0] op_sel_hi:[0,1,0]
	v_fma_mixlo_f16 v13, v45, v56, 0 op_sel:[0,1,0] op_sel_hi:[0,1,0]
	v_or_b32_e32 v1, v18, v11
	v_lshlrev_b32_e32 v11, 16, v10
	v_or_b32_e32 v10, v56, v58
	v_lshlrev_b32_e32 v17, 16, v13
	v_or_b32_e32 v3, v4, v3
	v_or_b32_e32 v13, v9, v31
	v_fma_mixlo_f16 v1, v45, v1, 0 op_sel_hi:[0,1,0]
	v_fma_mixlo_f16 v10, v45, v10, 0 op_sel_hi:[0,1,0]
	v_fma_mixlo_f16 v4, v45, v4, 0 op_sel:[0,1,0] op_sel_hi:[0,1,0]
	v_fma_mixlo_f16 v3, v45, v3, 0 op_sel_hi:[0,1,0]
	v_fma_mixlo_f16 v13, v45, v13, 0 op_sel_hi:[0,1,0]
	v_fma_mixlo_f16 v9, v45, v9, 0 op_sel:[0,1,0] op_sel_hi:[0,1,0]
	v_and_b32_e32 v16, 0xffff, v1
	v_and_b32_e32 v56, 0xffff, v10
	v_lshlrev_b32_e32 v4, 16, v4
	v_and_b32_e32 v18, 0xffff, v3
	v_lshlrev_b32_e32 v9, 16, v9
	v_and_b32_e32 v31, 0xffff, v13
	v_or_b32_e32 v1, v11, v16
	v_or_b32_e32 v10, v17, v56
	;; [unrolled: 1-line block ×4, first 2 shown]
	s_and_saveexec_b64 s[16:17], s[0:1]
	s_cbranch_execz .LBB261_1017
; %bb.1016:                             ;   in Loop: Header=BB261_616 Depth=1
	v_cmp_gt_i32_e32 vcc, s33, v33
	v_cndmask_b32_e32 v1, 0, v56, vcc
	v_cmp_gt_i32_e32 vcc, s33, v44
	v_cndmask_b32_e32 v3, 0, v17, vcc
	v_cmp_gt_i32_e32 vcc, s33, v43
	v_or_b32_e32 v10, v3, v1
	v_cndmask_b32_e32 v1, 0, v16, vcc
	v_cmp_gt_i32_e32 vcc, s33, v42
	v_cndmask_b32_e32 v3, 0, v11, vcc
	v_cmp_gt_i32_e32 vcc, s33, v40
	v_or_b32_e32 v1, v3, v1
	;; [unrolled: 5-line block ×3, first 2 shown]
	v_cndmask_b32_e32 v4, 0, v31, vcc
	v_cmp_gt_i32_e32 vcc, s33, v34
	v_cndmask_b32_e32 v9, 0, v9, vcc
	v_or_b32_e32 v45, v9, v4
.LBB261_1017:                           ;   in Loop: Header=BB261_616 Depth=1
	s_or_b64 exec, exec, s[16:17]
	;;#ASMSTART
	v_pk_mul_f16 v4, v41, v10;

	;;#ASMEND
	;;#ASMSTART
	v_pk_mul_f16 v1, v39, v1;

	;;#ASMEND
	;; [unrolled: 4-line block ×4, first 2 shown]
	;;#ASMSTART
	v_pk_add_f16 v1, v4, v1;

	;;#ASMEND
	;;#ASMSTART
	v_pk_add_f16 v1, v1, v3;

	;;#ASMEND
	;; [unrolled: 4-line block ×3, first 2 shown]
	v_lshrrev_b32_e32 v3, 16, v1
	v_and_b32_e32 v1, 0xffff, v1
	;;#ASMSTART
	v_cvt_f32_f16 v58, v1;
	;;#ASMEND
	;;#ASMSTART
	v_cvt_f32_f16 v59, v3;
	;;#ASMEND
	v_add_co_u32_e32 v3, vcc, 0x1000, v7
	v_addc_co_u32_e32 v4, vcc, 0, v8, vcc
	global_load_dwordx2 v[9:10], v[3:4], off
	v_mov_b32_e32 v56, 0
	global_load_dword v45, v56, s[14:15]
	v_mov_b32_e32 v60, 0
	s_waitcnt vmcnt(1)
	v_cmp_ne_u16_sdwa s[18:19], v9, v2 src0_sel:BYTE_0 src1_sel:DWORD
	s_and_saveexec_b64 s[16:17], s[18:19]
	s_cbranch_execz .LBB261_1023
; %bb.1018:                             ;   in Loop: Header=BB261_616 Depth=1
	v_cmp_ne_u16_sdwa s[20:21], v9, s28 src0_sel:BYTE_0 src1_sel:DWORD
	v_mov_b32_e32 v60, 0x8000
	s_and_saveexec_b64 s[18:19], s[20:21]
	s_cbranch_execz .LBB261_1022
; %bb.1019:                             ;   in Loop: Header=BB261_616 Depth=1
	v_and_b32_e32 v1, 0x7f, v9
	v_cmp_ne_u32_e32 vcc, s29, v1
	v_mov_b32_e32 v60, 0x7c01
	s_and_saveexec_b64 s[20:21], vcc
	s_cbranch_execz .LBB261_1021
; %bb.1020:                             ;   in Loop: Header=BB261_616 Depth=1
	v_and_b32_e32 v11, 7, v9
	v_lshrrev_b32_e32 v13, 3, v1
	v_cmp_gt_u32_e32 vcc, 8, v1
	v_ffbh_u32_e32 v1, v11
	v_min_u32_e32 v1, 32, v1
	v_subrev_u32_e32 v3, 28, v1
	v_sub_u32_e32 v1, 29, v1
	v_lshlrev_b64 v[3:4], v3, v[9:10]
	v_cndmask_b32_e32 v1, v13, v1, vcc
	v_lshl_add_u32 v1, v1, 10, v32
	v_lshlrev_b32_e32 v4, 8, v9
	v_and_b32_e32 v3, 7, v3
	v_and_b32_e32 v1, 0xfc00, v1
	v_cndmask_b32_e32 v3, v11, v3, vcc
	v_and_or_b32 v1, v4, s30, v1
	v_lshl_or_b32 v60, v3, 7, v1
.LBB261_1021:                           ;   in Loop: Header=BB261_616 Depth=1
	s_or_b64 exec, exec, s[20:21]
.LBB261_1022:                           ;   in Loop: Header=BB261_616 Depth=1
	s_or_b64 exec, exec, s[18:19]
.LBB261_1023:                           ;   in Loop: Header=BB261_616 Depth=1
	s_or_b64 exec, exec, s[16:17]
	v_lshrrev_b16_e32 v1, 8, v9
	v_cmp_ne_u16_e32 vcc, 0, v1
	s_and_saveexec_b64 s[16:17], vcc
	s_cbranch_execz .LBB261_1029
; %bb.1024:                             ;   in Loop: Header=BB261_616 Depth=1
	v_cmp_ne_u16_e32 vcc, s28, v1
	v_bfrev_b32_e32 v56, 1
	s_and_saveexec_b64 s[18:19], vcc
	s_cbranch_execz .LBB261_1028
; %bb.1025:                             ;   in Loop: Header=BB261_616 Depth=1
	v_and_b32_e32 v3, 0x7f, v1
	v_cmp_ne_u32_e32 vcc, s29, v3
	v_mov_b32_e32 v56, 0x7c010000
	s_and_saveexec_b64 s[20:21], vcc
	s_cbranch_execz .LBB261_1027
; %bb.1026:                             ;   in Loop: Header=BB261_616 Depth=1
	v_and_b32_e32 v11, 7, v1
	v_lshrrev_b32_e32 v13, 3, v3
	v_cmp_gt_u32_e32 vcc, 8, v3
	v_ffbh_u32_e32 v3, v11
	v_min_u32_e32 v14, 32, v3
	v_subrev_u32_e32 v3, 28, v14
	v_lshlrev_b64 v[3:4], v3, v[1:2]
	v_sub_u32_e32 v4, 29, v14
	v_cndmask_b32_e32 v4, v13, v4, vcc
	v_lshlrev_b32_e32 v1, 8, v1
	v_lshl_add_u32 v4, v4, 10, v32
	v_and_b32_e32 v3, 7, v3
	v_and_or_b32 v1, v1, s30, v4
	v_cndmask_b32_e32 v3, v11, v3, vcc
	v_lshlrev_b32_e32 v1, 16, v1
	v_lshl_or_b32 v56, v3, 23, v1
.LBB261_1027:                           ;   in Loop: Header=BB261_616 Depth=1
	s_or_b64 exec, exec, s[20:21]
.LBB261_1028:                           ;   in Loop: Header=BB261_616 Depth=1
	s_or_b64 exec, exec, s[18:19]
.LBB261_1029:                           ;   in Loop: Header=BB261_616 Depth=1
	s_or_b64 exec, exec, s[16:17]
	v_lshrrev_b32_e32 v1, 16, v9
	v_cmp_ne_u16_sdwa s[18:19], v1, v2 src0_sel:BYTE_0 src1_sel:DWORD
	v_mov_b32_e32 v18, 0
	v_mov_b32_e32 v11, 0
	s_and_saveexec_b64 s[16:17], s[18:19]
	s_cbranch_execz .LBB261_1035
; %bb.1030:                             ;   in Loop: Header=BB261_616 Depth=1
	v_cmp_ne_u16_sdwa s[20:21], v1, s28 src0_sel:BYTE_0 src1_sel:DWORD
	v_mov_b32_e32 v11, 0x8000
	s_and_saveexec_b64 s[18:19], s[20:21]
	s_cbranch_execz .LBB261_1034
; %bb.1031:                             ;   in Loop: Header=BB261_616 Depth=1
	v_bfe_u32 v3, v9, 16, 7
	v_cmp_ne_u32_e32 vcc, s29, v3
	v_mov_b32_e32 v11, 0x7c01
	s_and_saveexec_b64 s[20:21], vcc
	s_cbranch_execz .LBB261_1033
; %bb.1032:                             ;   in Loop: Header=BB261_616 Depth=1
	v_and_b32_e32 v11, 7, v1
	v_lshrrev_b32_e32 v13, 3, v3
	v_cmp_gt_u32_e32 vcc, 8, v3
	v_ffbh_u32_e32 v3, v11
	v_min_u32_e32 v14, 32, v3
	v_subrev_u32_e32 v3, 28, v14
	v_lshlrev_b64 v[3:4], v3, v[1:2]
	v_sub_u32_e32 v4, 29, v14
	v_cndmask_b32_e32 v4, v13, v4, vcc
	v_lshl_add_u32 v4, v4, 10, v32
	v_lshlrev_b32_e32 v1, 8, v1
	v_and_b32_e32 v3, 7, v3
	v_and_b32_e32 v4, 0xfc00, v4
	v_cndmask_b32_e32 v3, v11, v3, vcc
	v_and_or_b32 v1, v1, s30, v4
	v_lshl_or_b32 v11, v3, 7, v1
.LBB261_1033:                           ;   in Loop: Header=BB261_616 Depth=1
	s_or_b64 exec, exec, s[20:21]
.LBB261_1034:                           ;   in Loop: Header=BB261_616 Depth=1
	s_or_b64 exec, exec, s[18:19]
.LBB261_1035:                           ;   in Loop: Header=BB261_616 Depth=1
	s_or_b64 exec, exec, s[16:17]
	v_cmp_lt_u32_e32 vcc, s5, v9
	s_and_saveexec_b64 s[16:17], vcc
	s_cbranch_execz .LBB261_1041
; %bb.1036:                             ;   in Loop: Header=BB261_616 Depth=1
	v_lshrrev_b32_e32 v1, 24, v9
	v_cmp_ne_u32_e32 vcc, s28, v1
	v_bfrev_b32_e32 v18, 1
	s_and_saveexec_b64 s[18:19], vcc
	s_cbranch_execz .LBB261_1040
; %bb.1037:                             ;   in Loop: Header=BB261_616 Depth=1
	v_and_b32_e32 v3, 0x7f, v1
	v_cmp_ne_u32_e32 vcc, s29, v3
	v_mov_b32_e32 v18, 0x7c010000
	s_and_saveexec_b64 s[20:21], vcc
	s_cbranch_execz .LBB261_1039
; %bb.1038:                             ;   in Loop: Header=BB261_616 Depth=1
	v_and_b32_e32 v13, 7, v1
	v_lshrrev_b32_e32 v14, 3, v3
	v_cmp_gt_u32_e32 vcc, 8, v3
	v_ffbh_u32_e32 v3, v13
	v_min_u32_e32 v16, 32, v3
	v_subrev_u32_e32 v3, 28, v16
	v_lshlrev_b64 v[3:4], v3, v[1:2]
	v_sub_u32_e32 v4, 29, v16
	v_cndmask_b32_e32 v4, v14, v4, vcc
	v_lshlrev_b32_e32 v1, 8, v1
	v_lshl_add_u32 v4, v4, 10, v32
	v_and_b32_e32 v3, 7, v3
	v_and_or_b32 v1, v1, s30, v4
	v_cndmask_b32_e32 v3, v13, v3, vcc
	v_lshlrev_b32_e32 v1, 16, v1
	v_lshl_or_b32 v18, v3, 23, v1
.LBB261_1039:                           ;   in Loop: Header=BB261_616 Depth=1
	s_or_b64 exec, exec, s[20:21]
.LBB261_1040:                           ;   in Loop: Header=BB261_616 Depth=1
	s_or_b64 exec, exec, s[18:19]
.LBB261_1041:                           ;   in Loop: Header=BB261_616 Depth=1
	s_or_b64 exec, exec, s[16:17]
	v_mov_b32_e32 v1, v10
	v_cmp_ne_u16_sdwa s[18:19], v10, v2 src0_sel:BYTE_0 src1_sel:DWORD
	v_mov_b32_e32 v31, 0
	v_mov_b32_e32 v3, 0
	s_and_saveexec_b64 s[16:17], s[18:19]
	s_cbranch_execz .LBB261_1047
; %bb.1042:                             ;   in Loop: Header=BB261_616 Depth=1
	v_cmp_ne_u16_sdwa s[20:21], v10, s28 src0_sel:BYTE_0 src1_sel:DWORD
	v_mov_b32_e32 v3, 0x8000
	s_and_saveexec_b64 s[18:19], s[20:21]
	s_cbranch_execz .LBB261_1046
; %bb.1043:                             ;   in Loop: Header=BB261_616 Depth=1
	v_and_b32_e32 v4, 0x7f, v10
	v_cmp_ne_u32_e32 vcc, s29, v4
	v_mov_b32_e32 v3, 0x7c01
	s_and_saveexec_b64 s[20:21], vcc
	s_cbranch_execz .LBB261_1045
; %bb.1044:                             ;   in Loop: Header=BB261_616 Depth=1
	v_and_b32_e32 v13, 7, v10
	v_ffbh_u32_e32 v3, v13
	v_min_u32_e32 v16, 32, v3
	v_subrev_u32_e32 v3, 28, v16
	v_lshrrev_b32_e32 v14, 3, v4
	v_cmp_gt_u32_e32 vcc, 8, v4
	v_lshlrev_b64 v[3:4], v3, v[1:2]
	v_sub_u32_e32 v4, 29, v16
	v_cndmask_b32_e32 v4, v14, v4, vcc
	v_lshl_add_u32 v4, v4, 10, v32
	v_lshlrev_b32_e32 v14, 8, v10
	v_and_b32_e32 v3, 7, v3
	v_and_b32_e32 v4, 0xfc00, v4
	v_cndmask_b32_e32 v3, v13, v3, vcc
	v_and_or_b32 v4, v14, s30, v4
	v_lshl_or_b32 v3, v3, 7, v4
.LBB261_1045:                           ;   in Loop: Header=BB261_616 Depth=1
	s_or_b64 exec, exec, s[20:21]
.LBB261_1046:                           ;   in Loop: Header=BB261_616 Depth=1
	s_or_b64 exec, exec, s[18:19]
.LBB261_1047:                           ;   in Loop: Header=BB261_616 Depth=1
	s_or_b64 exec, exec, s[16:17]
	v_lshrrev_b16_e32 v1, 8, v1
	v_cmp_ne_u16_e32 vcc, 0, v1
	v_mov_b32_e32 v4, 0
	s_and_saveexec_b64 s[16:17], vcc
	s_cbranch_execz .LBB261_1053
; %bb.1048:                             ;   in Loop: Header=BB261_616 Depth=1
	v_cmp_ne_u16_e32 vcc, s28, v1
	v_bfrev_b32_e32 v4, 1
	s_and_saveexec_b64 s[18:19], vcc
	s_cbranch_execz .LBB261_1052
; %bb.1049:                             ;   in Loop: Header=BB261_616 Depth=1
	v_and_b32_e32 v16, 0x7f, v1
	v_cmp_ne_u32_e32 vcc, s29, v16
	v_mov_b32_e32 v4, 0x7c010000
	s_and_saveexec_b64 s[20:21], vcc
	s_cbranch_execz .LBB261_1051
; %bb.1050:                             ;   in Loop: Header=BB261_616 Depth=1
	v_and_b32_e32 v4, 7, v1
	v_ffbh_u32_e32 v14, v4
	v_min_u32_e32 v14, 32, v14
	v_lshrrev_b32_e32 v13, 3, v16
	v_cmp_gt_u32_e32 vcc, 8, v16
	v_subrev_u32_e32 v16, 28, v14
	v_sub_u32_e32 v14, 29, v14
	v_lshlrev_b64 v[16:17], v16, v[1:2]
	v_cndmask_b32_e32 v13, v13, v14, vcc
	v_lshlrev_b32_e32 v1, 8, v1
	v_lshl_add_u32 v13, v13, 10, v32
	v_and_b32_e32 v14, 7, v16
	v_and_or_b32 v1, v1, s30, v13
	v_cndmask_b32_e32 v4, v4, v14, vcc
	v_lshlrev_b32_e32 v1, 16, v1
	v_lshl_or_b32 v4, v4, 23, v1
.LBB261_1051:                           ;   in Loop: Header=BB261_616 Depth=1
	s_or_b64 exec, exec, s[20:21]
.LBB261_1052:                           ;   in Loop: Header=BB261_616 Depth=1
	s_or_b64 exec, exec, s[18:19]
.LBB261_1053:                           ;   in Loop: Header=BB261_616 Depth=1
	s_or_b64 exec, exec, s[16:17]
	v_lshrrev_b32_e32 v1, 16, v10
	v_cmp_ne_u16_sdwa s[18:19], v1, v2 src0_sel:BYTE_0 src1_sel:DWORD
	s_and_saveexec_b64 s[16:17], s[18:19]
	s_cbranch_execz .LBB261_1059
; %bb.1054:                             ;   in Loop: Header=BB261_616 Depth=1
	v_cmp_ne_u16_sdwa s[20:21], v1, s28 src0_sel:BYTE_0 src1_sel:DWORD
	v_mov_b32_e32 v31, 0x8000
	s_and_saveexec_b64 s[18:19], s[20:21]
	s_cbranch_execz .LBB261_1058
; %bb.1055:                             ;   in Loop: Header=BB261_616 Depth=1
	v_bfe_u32 v16, v10, 16, 7
	v_cmp_ne_u32_e32 vcc, s29, v16
	v_mov_b32_e32 v31, 0x7c01
	s_and_saveexec_b64 s[20:21], vcc
	s_cbranch_execz .LBB261_1057
; %bb.1056:                             ;   in Loop: Header=BB261_616 Depth=1
	v_and_b32_e32 v13, 7, v1
	v_lshrrev_b32_e32 v14, 3, v16
	v_cmp_gt_u32_e32 vcc, 8, v16
	v_ffbh_u32_e32 v16, v13
	v_min_u32_e32 v31, 32, v16
	v_subrev_u32_e32 v16, 28, v31
	v_lshlrev_b64 v[16:17], v16, v[1:2]
	v_sub_u32_e32 v17, 29, v31
	v_cndmask_b32_e32 v14, v14, v17, vcc
	v_lshl_add_u32 v14, v14, 10, v32
	v_lshlrev_b32_e32 v1, 8, v1
	v_and_b32_e32 v16, 7, v16
	v_and_b32_e32 v14, 0xfc00, v14
	v_cndmask_b32_e32 v13, v13, v16, vcc
	v_and_or_b32 v1, v1, s30, v14
	v_lshl_or_b32 v31, v13, 7, v1
.LBB261_1057:                           ;   in Loop: Header=BB261_616 Depth=1
	s_or_b64 exec, exec, s[20:21]
.LBB261_1058:                           ;   in Loop: Header=BB261_616 Depth=1
	s_or_b64 exec, exec, s[18:19]
.LBB261_1059:                           ;   in Loop: Header=BB261_616 Depth=1
	s_or_b64 exec, exec, s[16:17]
	v_cmp_lt_u64_e32 vcc, s[4:5], v[9:10]
	v_mov_b32_e32 v9, 0
	s_and_saveexec_b64 s[16:17], vcc
	s_cbranch_execz .LBB261_1065
; %bb.1060:                             ;   in Loop: Header=BB261_616 Depth=1
	v_lshrrev_b32_e32 v1, 24, v10
	v_cmp_ne_u32_e32 vcc, s28, v1
	v_bfrev_b32_e32 v9, 1
	s_and_saveexec_b64 s[18:19], vcc
	s_cbranch_execz .LBB261_1064
; %bb.1061:                             ;   in Loop: Header=BB261_616 Depth=1
	v_and_b32_e32 v10, 0x7f, v1
	v_cmp_ne_u32_e32 vcc, s29, v10
	v_mov_b32_e32 v9, 0x7c010000
	s_and_saveexec_b64 s[20:21], vcc
	s_cbranch_execz .LBB261_1063
; %bb.1062:                             ;   in Loop: Header=BB261_616 Depth=1
	v_and_b32_e32 v13, 7, v1
	v_ffbh_u32_e32 v9, v13
	v_min_u32_e32 v16, 32, v9
	v_subrev_u32_e32 v9, 28, v16
	v_lshrrev_b32_e32 v14, 3, v10
	v_cmp_gt_u32_e32 vcc, 8, v10
	v_lshlrev_b64 v[9:10], v9, v[1:2]
	v_sub_u32_e32 v10, 29, v16
	v_cndmask_b32_e32 v10, v14, v10, vcc
	v_lshlrev_b32_e32 v1, 8, v1
	v_lshl_add_u32 v10, v10, 10, v32
	v_and_b32_e32 v9, 7, v9
	v_and_or_b32 v1, v1, s30, v10
	v_cndmask_b32_e32 v9, v13, v9, vcc
	v_lshlrev_b32_e32 v1, 16, v1
	v_lshl_or_b32 v9, v9, 23, v1
.LBB261_1063:                           ;   in Loop: Header=BB261_616 Depth=1
	s_or_b64 exec, exec, s[20:21]
.LBB261_1064:                           ;   in Loop: Header=BB261_616 Depth=1
	s_or_b64 exec, exec, s[18:19]
.LBB261_1065:                           ;   in Loop: Header=BB261_616 Depth=1
	s_or_b64 exec, exec, s[16:17]
	s_waitcnt vmcnt(0)
	v_fma_mixlo_f16 v10, v45, v18, 0 op_sel:[0,1,0] op_sel_hi:[0,1,0]
	v_fma_mixlo_f16 v13, v45, v56, 0 op_sel:[0,1,0] op_sel_hi:[0,1,0]
	v_or_b32_e32 v1, v18, v11
	v_lshlrev_b32_e32 v11, 16, v10
	v_or_b32_e32 v10, v56, v60
	v_lshlrev_b32_e32 v17, 16, v13
	v_or_b32_e32 v3, v4, v3
	v_or_b32_e32 v13, v9, v31
	v_fma_mixlo_f16 v1, v45, v1, 0 op_sel_hi:[0,1,0]
	v_fma_mixlo_f16 v10, v45, v10, 0 op_sel_hi:[0,1,0]
	v_fma_mixlo_f16 v4, v45, v4, 0 op_sel:[0,1,0] op_sel_hi:[0,1,0]
	v_fma_mixlo_f16 v3, v45, v3, 0 op_sel_hi:[0,1,0]
	v_fma_mixlo_f16 v13, v45, v13, 0 op_sel_hi:[0,1,0]
	v_fma_mixlo_f16 v9, v45, v9, 0 op_sel:[0,1,0] op_sel_hi:[0,1,0]
	v_and_b32_e32 v16, 0xffff, v1
	v_and_b32_e32 v56, 0xffff, v10
	v_lshlrev_b32_e32 v4, 16, v4
	v_and_b32_e32 v18, 0xffff, v3
	v_lshlrev_b32_e32 v9, 16, v9
	v_and_b32_e32 v31, 0xffff, v13
	v_or_b32_e32 v1, v11, v16
	v_or_b32_e32 v10, v17, v56
	;; [unrolled: 1-line block ×4, first 2 shown]
	s_and_saveexec_b64 s[16:17], s[0:1]
	s_cbranch_execz .LBB261_1067
; %bb.1066:                             ;   in Loop: Header=BB261_616 Depth=1
	v_cmp_gt_i32_e32 vcc, s33, v33
	v_cndmask_b32_e32 v1, 0, v56, vcc
	v_cmp_gt_i32_e32 vcc, s33, v44
	v_cndmask_b32_e32 v3, 0, v17, vcc
	v_cmp_gt_i32_e32 vcc, s33, v43
	v_or_b32_e32 v10, v3, v1
	v_cndmask_b32_e32 v1, 0, v16, vcc
	v_cmp_gt_i32_e32 vcc, s33, v42
	v_cndmask_b32_e32 v3, 0, v11, vcc
	v_cmp_gt_i32_e32 vcc, s33, v40
	v_or_b32_e32 v1, v3, v1
	;; [unrolled: 5-line block ×3, first 2 shown]
	v_cndmask_b32_e32 v4, 0, v31, vcc
	v_cmp_gt_i32_e32 vcc, s33, v34
	v_cndmask_b32_e32 v9, 0, v9, vcc
	v_or_b32_e32 v45, v9, v4
.LBB261_1067:                           ;   in Loop: Header=BB261_616 Depth=1
	s_or_b64 exec, exec, s[16:17]
	;;#ASMSTART
	v_pk_mul_f16 v4, v41, v10;

	;;#ASMEND
	;;#ASMSTART
	v_pk_mul_f16 v1, v39, v1;

	;;#ASMEND
	;; [unrolled: 4-line block ×4, first 2 shown]
	;;#ASMSTART
	v_pk_add_f16 v1, v4, v1;

	;;#ASMEND
	;;#ASMSTART
	v_pk_add_f16 v1, v1, v3;

	;;#ASMEND
	;; [unrolled: 4-line block ×3, first 2 shown]
	v_lshrrev_b32_e32 v3, 16, v1
	v_and_b32_e32 v1, 0xffff, v1
	;;#ASMSTART
	v_cvt_f32_f16 v60, v1;
	;;#ASMEND
	;;#ASMSTART
	v_cvt_f32_f16 v61, v3;
	;;#ASMEND
	v_add_co_u32_e32 v3, vcc, 0x1000, v7
	v_addc_co_u32_e32 v4, vcc, 0, v8, vcc
	global_load_dwordx2 v[9:10], v[3:4], off offset:512
	v_mov_b32_e32 v56, 0
	global_load_dword v45, v56, s[14:15]
	v_mov_b32_e32 v62, 0
	s_waitcnt vmcnt(1)
	v_cmp_ne_u16_sdwa s[18:19], v9, v2 src0_sel:BYTE_0 src1_sel:DWORD
	s_and_saveexec_b64 s[16:17], s[18:19]
	s_cbranch_execz .LBB261_1073
; %bb.1068:                             ;   in Loop: Header=BB261_616 Depth=1
	v_cmp_ne_u16_sdwa s[20:21], v9, s28 src0_sel:BYTE_0 src1_sel:DWORD
	v_mov_b32_e32 v62, 0x8000
	s_and_saveexec_b64 s[18:19], s[20:21]
	s_cbranch_execz .LBB261_1072
; %bb.1069:                             ;   in Loop: Header=BB261_616 Depth=1
	v_and_b32_e32 v1, 0x7f, v9
	v_cmp_ne_u32_e32 vcc, s29, v1
	v_mov_b32_e32 v62, 0x7c01
	s_and_saveexec_b64 s[20:21], vcc
	s_cbranch_execz .LBB261_1071
; %bb.1070:                             ;   in Loop: Header=BB261_616 Depth=1
	v_and_b32_e32 v11, 7, v9
	v_lshrrev_b32_e32 v13, 3, v1
	v_cmp_gt_u32_e32 vcc, 8, v1
	v_ffbh_u32_e32 v1, v11
	v_min_u32_e32 v1, 32, v1
	v_subrev_u32_e32 v3, 28, v1
	v_sub_u32_e32 v1, 29, v1
	v_lshlrev_b64 v[3:4], v3, v[9:10]
	v_cndmask_b32_e32 v1, v13, v1, vcc
	v_lshl_add_u32 v1, v1, 10, v32
	v_lshlrev_b32_e32 v4, 8, v9
	v_and_b32_e32 v3, 7, v3
	v_and_b32_e32 v1, 0xfc00, v1
	v_cndmask_b32_e32 v3, v11, v3, vcc
	v_and_or_b32 v1, v4, s30, v1
	v_lshl_or_b32 v62, v3, 7, v1
.LBB261_1071:                           ;   in Loop: Header=BB261_616 Depth=1
	s_or_b64 exec, exec, s[20:21]
.LBB261_1072:                           ;   in Loop: Header=BB261_616 Depth=1
	s_or_b64 exec, exec, s[18:19]
.LBB261_1073:                           ;   in Loop: Header=BB261_616 Depth=1
	s_or_b64 exec, exec, s[16:17]
	v_lshrrev_b16_e32 v1, 8, v9
	v_cmp_ne_u16_e32 vcc, 0, v1
	s_and_saveexec_b64 s[16:17], vcc
	s_cbranch_execz .LBB261_1079
; %bb.1074:                             ;   in Loop: Header=BB261_616 Depth=1
	v_cmp_ne_u16_e32 vcc, s28, v1
	v_bfrev_b32_e32 v56, 1
	s_and_saveexec_b64 s[18:19], vcc
	s_cbranch_execz .LBB261_1078
; %bb.1075:                             ;   in Loop: Header=BB261_616 Depth=1
	v_and_b32_e32 v3, 0x7f, v1
	v_cmp_ne_u32_e32 vcc, s29, v3
	v_mov_b32_e32 v56, 0x7c010000
	s_and_saveexec_b64 s[20:21], vcc
	s_cbranch_execz .LBB261_1077
; %bb.1076:                             ;   in Loop: Header=BB261_616 Depth=1
	v_and_b32_e32 v11, 7, v1
	v_lshrrev_b32_e32 v13, 3, v3
	v_cmp_gt_u32_e32 vcc, 8, v3
	v_ffbh_u32_e32 v3, v11
	v_min_u32_e32 v14, 32, v3
	v_subrev_u32_e32 v3, 28, v14
	v_lshlrev_b64 v[3:4], v3, v[1:2]
	v_sub_u32_e32 v4, 29, v14
	v_cndmask_b32_e32 v4, v13, v4, vcc
	v_lshlrev_b32_e32 v1, 8, v1
	v_lshl_add_u32 v4, v4, 10, v32
	v_and_b32_e32 v3, 7, v3
	v_and_or_b32 v1, v1, s30, v4
	v_cndmask_b32_e32 v3, v11, v3, vcc
	v_lshlrev_b32_e32 v1, 16, v1
	v_lshl_or_b32 v56, v3, 23, v1
.LBB261_1077:                           ;   in Loop: Header=BB261_616 Depth=1
	s_or_b64 exec, exec, s[20:21]
.LBB261_1078:                           ;   in Loop: Header=BB261_616 Depth=1
	s_or_b64 exec, exec, s[18:19]
.LBB261_1079:                           ;   in Loop: Header=BB261_616 Depth=1
	s_or_b64 exec, exec, s[16:17]
	v_lshrrev_b32_e32 v1, 16, v9
	v_cmp_ne_u16_sdwa s[18:19], v1, v2 src0_sel:BYTE_0 src1_sel:DWORD
	v_mov_b32_e32 v18, 0
	v_mov_b32_e32 v11, 0
	s_and_saveexec_b64 s[16:17], s[18:19]
	s_cbranch_execz .LBB261_1085
; %bb.1080:                             ;   in Loop: Header=BB261_616 Depth=1
	v_cmp_ne_u16_sdwa s[20:21], v1, s28 src0_sel:BYTE_0 src1_sel:DWORD
	v_mov_b32_e32 v11, 0x8000
	s_and_saveexec_b64 s[18:19], s[20:21]
	s_cbranch_execz .LBB261_1084
; %bb.1081:                             ;   in Loop: Header=BB261_616 Depth=1
	v_bfe_u32 v3, v9, 16, 7
	v_cmp_ne_u32_e32 vcc, s29, v3
	v_mov_b32_e32 v11, 0x7c01
	s_and_saveexec_b64 s[20:21], vcc
	s_cbranch_execz .LBB261_1083
; %bb.1082:                             ;   in Loop: Header=BB261_616 Depth=1
	v_and_b32_e32 v11, 7, v1
	v_lshrrev_b32_e32 v13, 3, v3
	v_cmp_gt_u32_e32 vcc, 8, v3
	v_ffbh_u32_e32 v3, v11
	v_min_u32_e32 v14, 32, v3
	v_subrev_u32_e32 v3, 28, v14
	v_lshlrev_b64 v[3:4], v3, v[1:2]
	v_sub_u32_e32 v4, 29, v14
	v_cndmask_b32_e32 v4, v13, v4, vcc
	v_lshl_add_u32 v4, v4, 10, v32
	v_lshlrev_b32_e32 v1, 8, v1
	v_and_b32_e32 v3, 7, v3
	v_and_b32_e32 v4, 0xfc00, v4
	v_cndmask_b32_e32 v3, v11, v3, vcc
	v_and_or_b32 v1, v1, s30, v4
	v_lshl_or_b32 v11, v3, 7, v1
.LBB261_1083:                           ;   in Loop: Header=BB261_616 Depth=1
	s_or_b64 exec, exec, s[20:21]
.LBB261_1084:                           ;   in Loop: Header=BB261_616 Depth=1
	s_or_b64 exec, exec, s[18:19]
.LBB261_1085:                           ;   in Loop: Header=BB261_616 Depth=1
	s_or_b64 exec, exec, s[16:17]
	v_cmp_lt_u32_e32 vcc, s5, v9
	s_and_saveexec_b64 s[16:17], vcc
	s_cbranch_execz .LBB261_1091
; %bb.1086:                             ;   in Loop: Header=BB261_616 Depth=1
	v_lshrrev_b32_e32 v1, 24, v9
	v_cmp_ne_u32_e32 vcc, s28, v1
	v_bfrev_b32_e32 v18, 1
	s_and_saveexec_b64 s[18:19], vcc
	s_cbranch_execz .LBB261_1090
; %bb.1087:                             ;   in Loop: Header=BB261_616 Depth=1
	v_and_b32_e32 v3, 0x7f, v1
	v_cmp_ne_u32_e32 vcc, s29, v3
	v_mov_b32_e32 v18, 0x7c010000
	s_and_saveexec_b64 s[20:21], vcc
	s_cbranch_execz .LBB261_1089
; %bb.1088:                             ;   in Loop: Header=BB261_616 Depth=1
	v_and_b32_e32 v13, 7, v1
	v_lshrrev_b32_e32 v14, 3, v3
	v_cmp_gt_u32_e32 vcc, 8, v3
	v_ffbh_u32_e32 v3, v13
	v_min_u32_e32 v16, 32, v3
	v_subrev_u32_e32 v3, 28, v16
	v_lshlrev_b64 v[3:4], v3, v[1:2]
	v_sub_u32_e32 v4, 29, v16
	v_cndmask_b32_e32 v4, v14, v4, vcc
	v_lshlrev_b32_e32 v1, 8, v1
	v_lshl_add_u32 v4, v4, 10, v32
	v_and_b32_e32 v3, 7, v3
	v_and_or_b32 v1, v1, s30, v4
	v_cndmask_b32_e32 v3, v13, v3, vcc
	v_lshlrev_b32_e32 v1, 16, v1
	v_lshl_or_b32 v18, v3, 23, v1
.LBB261_1089:                           ;   in Loop: Header=BB261_616 Depth=1
	s_or_b64 exec, exec, s[20:21]
.LBB261_1090:                           ;   in Loop: Header=BB261_616 Depth=1
	s_or_b64 exec, exec, s[18:19]
.LBB261_1091:                           ;   in Loop: Header=BB261_616 Depth=1
	s_or_b64 exec, exec, s[16:17]
	v_mov_b32_e32 v1, v10
	v_cmp_ne_u16_sdwa s[18:19], v10, v2 src0_sel:BYTE_0 src1_sel:DWORD
	v_mov_b32_e32 v31, 0
	v_mov_b32_e32 v3, 0
	s_and_saveexec_b64 s[16:17], s[18:19]
	s_cbranch_execz .LBB261_1097
; %bb.1092:                             ;   in Loop: Header=BB261_616 Depth=1
	v_cmp_ne_u16_sdwa s[20:21], v10, s28 src0_sel:BYTE_0 src1_sel:DWORD
	v_mov_b32_e32 v3, 0x8000
	s_and_saveexec_b64 s[18:19], s[20:21]
	s_cbranch_execz .LBB261_1096
; %bb.1093:                             ;   in Loop: Header=BB261_616 Depth=1
	v_and_b32_e32 v4, 0x7f, v10
	v_cmp_ne_u32_e32 vcc, s29, v4
	v_mov_b32_e32 v3, 0x7c01
	s_and_saveexec_b64 s[20:21], vcc
	s_cbranch_execz .LBB261_1095
; %bb.1094:                             ;   in Loop: Header=BB261_616 Depth=1
	v_and_b32_e32 v13, 7, v10
	v_ffbh_u32_e32 v3, v13
	v_min_u32_e32 v16, 32, v3
	v_subrev_u32_e32 v3, 28, v16
	v_lshrrev_b32_e32 v14, 3, v4
	v_cmp_gt_u32_e32 vcc, 8, v4
	v_lshlrev_b64 v[3:4], v3, v[1:2]
	v_sub_u32_e32 v4, 29, v16
	v_cndmask_b32_e32 v4, v14, v4, vcc
	v_lshl_add_u32 v4, v4, 10, v32
	v_lshlrev_b32_e32 v14, 8, v10
	v_and_b32_e32 v3, 7, v3
	v_and_b32_e32 v4, 0xfc00, v4
	v_cndmask_b32_e32 v3, v13, v3, vcc
	v_and_or_b32 v4, v14, s30, v4
	v_lshl_or_b32 v3, v3, 7, v4
.LBB261_1095:                           ;   in Loop: Header=BB261_616 Depth=1
	s_or_b64 exec, exec, s[20:21]
.LBB261_1096:                           ;   in Loop: Header=BB261_616 Depth=1
	s_or_b64 exec, exec, s[18:19]
.LBB261_1097:                           ;   in Loop: Header=BB261_616 Depth=1
	s_or_b64 exec, exec, s[16:17]
	v_lshrrev_b16_e32 v1, 8, v1
	v_cmp_ne_u16_e32 vcc, 0, v1
	v_mov_b32_e32 v4, 0
	s_and_saveexec_b64 s[16:17], vcc
	s_cbranch_execz .LBB261_1103
; %bb.1098:                             ;   in Loop: Header=BB261_616 Depth=1
	v_cmp_ne_u16_e32 vcc, s28, v1
	v_bfrev_b32_e32 v4, 1
	s_and_saveexec_b64 s[18:19], vcc
	s_cbranch_execz .LBB261_1102
; %bb.1099:                             ;   in Loop: Header=BB261_616 Depth=1
	v_and_b32_e32 v16, 0x7f, v1
	v_cmp_ne_u32_e32 vcc, s29, v16
	v_mov_b32_e32 v4, 0x7c010000
	s_and_saveexec_b64 s[20:21], vcc
	s_cbranch_execz .LBB261_1101
; %bb.1100:                             ;   in Loop: Header=BB261_616 Depth=1
	v_and_b32_e32 v4, 7, v1
	v_ffbh_u32_e32 v14, v4
	v_min_u32_e32 v14, 32, v14
	v_lshrrev_b32_e32 v13, 3, v16
	v_cmp_gt_u32_e32 vcc, 8, v16
	v_subrev_u32_e32 v16, 28, v14
	v_sub_u32_e32 v14, 29, v14
	v_lshlrev_b64 v[16:17], v16, v[1:2]
	v_cndmask_b32_e32 v13, v13, v14, vcc
	v_lshlrev_b32_e32 v1, 8, v1
	v_lshl_add_u32 v13, v13, 10, v32
	v_and_b32_e32 v14, 7, v16
	v_and_or_b32 v1, v1, s30, v13
	v_cndmask_b32_e32 v4, v4, v14, vcc
	v_lshlrev_b32_e32 v1, 16, v1
	v_lshl_or_b32 v4, v4, 23, v1
.LBB261_1101:                           ;   in Loop: Header=BB261_616 Depth=1
	s_or_b64 exec, exec, s[20:21]
.LBB261_1102:                           ;   in Loop: Header=BB261_616 Depth=1
	s_or_b64 exec, exec, s[18:19]
.LBB261_1103:                           ;   in Loop: Header=BB261_616 Depth=1
	s_or_b64 exec, exec, s[16:17]
	v_lshrrev_b32_e32 v1, 16, v10
	v_cmp_ne_u16_sdwa s[18:19], v1, v2 src0_sel:BYTE_0 src1_sel:DWORD
	s_and_saveexec_b64 s[16:17], s[18:19]
	s_cbranch_execz .LBB261_1109
; %bb.1104:                             ;   in Loop: Header=BB261_616 Depth=1
	v_cmp_ne_u16_sdwa s[20:21], v1, s28 src0_sel:BYTE_0 src1_sel:DWORD
	v_mov_b32_e32 v31, 0x8000
	s_and_saveexec_b64 s[18:19], s[20:21]
	s_cbranch_execz .LBB261_1108
; %bb.1105:                             ;   in Loop: Header=BB261_616 Depth=1
	v_bfe_u32 v16, v10, 16, 7
	v_cmp_ne_u32_e32 vcc, s29, v16
	v_mov_b32_e32 v31, 0x7c01
	s_and_saveexec_b64 s[20:21], vcc
	s_cbranch_execz .LBB261_1107
; %bb.1106:                             ;   in Loop: Header=BB261_616 Depth=1
	v_and_b32_e32 v13, 7, v1
	v_lshrrev_b32_e32 v14, 3, v16
	v_cmp_gt_u32_e32 vcc, 8, v16
	v_ffbh_u32_e32 v16, v13
	v_min_u32_e32 v31, 32, v16
	v_subrev_u32_e32 v16, 28, v31
	v_lshlrev_b64 v[16:17], v16, v[1:2]
	v_sub_u32_e32 v17, 29, v31
	v_cndmask_b32_e32 v14, v14, v17, vcc
	v_lshl_add_u32 v14, v14, 10, v32
	v_lshlrev_b32_e32 v1, 8, v1
	v_and_b32_e32 v16, 7, v16
	v_and_b32_e32 v14, 0xfc00, v14
	v_cndmask_b32_e32 v13, v13, v16, vcc
	v_and_or_b32 v1, v1, s30, v14
	v_lshl_or_b32 v31, v13, 7, v1
.LBB261_1107:                           ;   in Loop: Header=BB261_616 Depth=1
	s_or_b64 exec, exec, s[20:21]
.LBB261_1108:                           ;   in Loop: Header=BB261_616 Depth=1
	s_or_b64 exec, exec, s[18:19]
.LBB261_1109:                           ;   in Loop: Header=BB261_616 Depth=1
	s_or_b64 exec, exec, s[16:17]
	v_cmp_lt_u64_e32 vcc, s[4:5], v[9:10]
	v_mov_b32_e32 v9, 0
	s_and_saveexec_b64 s[16:17], vcc
	s_cbranch_execz .LBB261_1115
; %bb.1110:                             ;   in Loop: Header=BB261_616 Depth=1
	v_lshrrev_b32_e32 v1, 24, v10
	v_cmp_ne_u32_e32 vcc, s28, v1
	v_bfrev_b32_e32 v9, 1
	s_and_saveexec_b64 s[18:19], vcc
	s_cbranch_execz .LBB261_1114
; %bb.1111:                             ;   in Loop: Header=BB261_616 Depth=1
	v_and_b32_e32 v10, 0x7f, v1
	v_cmp_ne_u32_e32 vcc, s29, v10
	v_mov_b32_e32 v9, 0x7c010000
	s_and_saveexec_b64 s[20:21], vcc
	s_cbranch_execz .LBB261_1113
; %bb.1112:                             ;   in Loop: Header=BB261_616 Depth=1
	v_and_b32_e32 v13, 7, v1
	v_ffbh_u32_e32 v9, v13
	v_min_u32_e32 v16, 32, v9
	v_subrev_u32_e32 v9, 28, v16
	v_lshrrev_b32_e32 v14, 3, v10
	v_cmp_gt_u32_e32 vcc, 8, v10
	v_lshlrev_b64 v[9:10], v9, v[1:2]
	v_sub_u32_e32 v10, 29, v16
	v_cndmask_b32_e32 v10, v14, v10, vcc
	v_lshlrev_b32_e32 v1, 8, v1
	v_lshl_add_u32 v10, v10, 10, v32
	v_and_b32_e32 v9, 7, v9
	v_and_or_b32 v1, v1, s30, v10
	v_cndmask_b32_e32 v9, v13, v9, vcc
	v_lshlrev_b32_e32 v1, 16, v1
	v_lshl_or_b32 v9, v9, 23, v1
.LBB261_1113:                           ;   in Loop: Header=BB261_616 Depth=1
	s_or_b64 exec, exec, s[20:21]
.LBB261_1114:                           ;   in Loop: Header=BB261_616 Depth=1
	s_or_b64 exec, exec, s[18:19]
.LBB261_1115:                           ;   in Loop: Header=BB261_616 Depth=1
	s_or_b64 exec, exec, s[16:17]
	s_waitcnt vmcnt(0)
	v_fma_mixlo_f16 v10, v45, v18, 0 op_sel:[0,1,0] op_sel_hi:[0,1,0]
	v_fma_mixlo_f16 v13, v45, v56, 0 op_sel:[0,1,0] op_sel_hi:[0,1,0]
	v_or_b32_e32 v1, v18, v11
	v_lshlrev_b32_e32 v11, 16, v10
	v_or_b32_e32 v10, v56, v62
	v_lshlrev_b32_e32 v17, 16, v13
	v_or_b32_e32 v3, v4, v3
	v_or_b32_e32 v13, v9, v31
	v_fma_mixlo_f16 v1, v45, v1, 0 op_sel_hi:[0,1,0]
	v_fma_mixlo_f16 v10, v45, v10, 0 op_sel_hi:[0,1,0]
	v_fma_mixlo_f16 v4, v45, v4, 0 op_sel:[0,1,0] op_sel_hi:[0,1,0]
	v_fma_mixlo_f16 v3, v45, v3, 0 op_sel_hi:[0,1,0]
	v_fma_mixlo_f16 v13, v45, v13, 0 op_sel_hi:[0,1,0]
	v_fma_mixlo_f16 v9, v45, v9, 0 op_sel:[0,1,0] op_sel_hi:[0,1,0]
	v_and_b32_e32 v16, 0xffff, v1
	v_and_b32_e32 v56, 0xffff, v10
	v_lshlrev_b32_e32 v4, 16, v4
	v_and_b32_e32 v18, 0xffff, v3
	v_lshlrev_b32_e32 v9, 16, v9
	v_and_b32_e32 v31, 0xffff, v13
	v_or_b32_e32 v1, v11, v16
	v_or_b32_e32 v10, v17, v56
	;; [unrolled: 1-line block ×4, first 2 shown]
	s_and_saveexec_b64 s[16:17], s[0:1]
	s_cbranch_execz .LBB261_1117
; %bb.1116:                             ;   in Loop: Header=BB261_616 Depth=1
	v_cmp_gt_i32_e32 vcc, s33, v33
	v_cndmask_b32_e32 v1, 0, v56, vcc
	v_cmp_gt_i32_e32 vcc, s33, v44
	v_cndmask_b32_e32 v3, 0, v17, vcc
	v_cmp_gt_i32_e32 vcc, s33, v43
	v_or_b32_e32 v10, v3, v1
	v_cndmask_b32_e32 v1, 0, v16, vcc
	v_cmp_gt_i32_e32 vcc, s33, v42
	v_cndmask_b32_e32 v3, 0, v11, vcc
	v_cmp_gt_i32_e32 vcc, s33, v40
	v_or_b32_e32 v1, v3, v1
	;; [unrolled: 5-line block ×3, first 2 shown]
	v_cndmask_b32_e32 v4, 0, v31, vcc
	v_cmp_gt_i32_e32 vcc, s33, v34
	v_cndmask_b32_e32 v9, 0, v9, vcc
	v_or_b32_e32 v45, v9, v4
.LBB261_1117:                           ;   in Loop: Header=BB261_616 Depth=1
	s_or_b64 exec, exec, s[16:17]
	;;#ASMSTART
	v_pk_mul_f16 v4, v41, v10;

	;;#ASMEND
	;;#ASMSTART
	v_pk_mul_f16 v1, v39, v1;

	;;#ASMEND
	;; [unrolled: 4-line block ×4, first 2 shown]
	;;#ASMSTART
	v_pk_add_f16 v1, v4, v1;

	;;#ASMEND
	;;#ASMSTART
	v_pk_add_f16 v1, v1, v3;

	;;#ASMEND
	;; [unrolled: 4-line block ×3, first 2 shown]
	v_lshrrev_b32_e32 v3, 16, v1
	v_and_b32_e32 v1, 0xffff, v1
	;;#ASMSTART
	v_cvt_f32_f16 v45, v1;
	;;#ASMEND
	;;#ASMSTART
	v_cvt_f32_f16 v56, v3;
	;;#ASMEND
	v_add_co_u32_e32 v3, vcc, 0x1000, v7
	v_addc_co_u32_e32 v4, vcc, 0, v8, vcc
	global_load_dwordx2 v[9:10], v[3:4], off offset:1024
	v_mov_b32_e32 v63, 0
	global_load_dword v62, v63, s[14:15]
	v_mov_b32_e32 v18, 0
	s_waitcnt vmcnt(1)
	v_cmp_ne_u16_sdwa s[18:19], v9, v2 src0_sel:BYTE_0 src1_sel:DWORD
	s_and_saveexec_b64 s[16:17], s[18:19]
	s_cbranch_execz .LBB261_1123
; %bb.1118:                             ;   in Loop: Header=BB261_616 Depth=1
	v_cmp_ne_u16_sdwa s[20:21], v9, s28 src0_sel:BYTE_0 src1_sel:DWORD
	v_mov_b32_e32 v18, 0x8000
	s_and_saveexec_b64 s[18:19], s[20:21]
	s_cbranch_execz .LBB261_1122
; %bb.1119:                             ;   in Loop: Header=BB261_616 Depth=1
	v_and_b32_e32 v1, 0x7f, v9
	v_cmp_ne_u32_e32 vcc, s29, v1
	v_mov_b32_e32 v18, 0x7c01
	s_and_saveexec_b64 s[20:21], vcc
	s_cbranch_execz .LBB261_1121
; %bb.1120:                             ;   in Loop: Header=BB261_616 Depth=1
	v_and_b32_e32 v11, 7, v9
	v_lshrrev_b32_e32 v13, 3, v1
	v_cmp_gt_u32_e32 vcc, 8, v1
	v_ffbh_u32_e32 v1, v11
	v_min_u32_e32 v1, 32, v1
	v_subrev_u32_e32 v3, 28, v1
	v_sub_u32_e32 v1, 29, v1
	v_lshlrev_b64 v[3:4], v3, v[9:10]
	v_cndmask_b32_e32 v1, v13, v1, vcc
	v_lshl_add_u32 v1, v1, 10, v32
	v_lshlrev_b32_e32 v4, 8, v9
	v_and_b32_e32 v3, 7, v3
	v_and_b32_e32 v1, 0xfc00, v1
	v_cndmask_b32_e32 v3, v11, v3, vcc
	v_and_or_b32 v1, v4, s30, v1
	v_lshl_or_b32 v18, v3, 7, v1
.LBB261_1121:                           ;   in Loop: Header=BB261_616 Depth=1
	s_or_b64 exec, exec, s[20:21]
.LBB261_1122:                           ;   in Loop: Header=BB261_616 Depth=1
	s_or_b64 exec, exec, s[18:19]
.LBB261_1123:                           ;   in Loop: Header=BB261_616 Depth=1
	s_or_b64 exec, exec, s[16:17]
	v_lshrrev_b16_e32 v1, 8, v9
	v_cmp_ne_u16_e32 vcc, 0, v1
	s_and_saveexec_b64 s[16:17], vcc
	s_cbranch_execz .LBB261_1129
; %bb.1124:                             ;   in Loop: Header=BB261_616 Depth=1
	v_cmp_ne_u16_e32 vcc, s28, v1
	v_bfrev_b32_e32 v63, 1
	s_and_saveexec_b64 s[18:19], vcc
	s_cbranch_execz .LBB261_1128
; %bb.1125:                             ;   in Loop: Header=BB261_616 Depth=1
	v_and_b32_e32 v3, 0x7f, v1
	v_cmp_ne_u32_e32 vcc, s29, v3
	v_mov_b32_e32 v63, 0x7c010000
	s_and_saveexec_b64 s[20:21], vcc
	s_cbranch_execz .LBB261_1127
; %bb.1126:                             ;   in Loop: Header=BB261_616 Depth=1
	v_and_b32_e32 v11, 7, v1
	v_lshrrev_b32_e32 v13, 3, v3
	v_cmp_gt_u32_e32 vcc, 8, v3
	v_ffbh_u32_e32 v3, v11
	v_min_u32_e32 v14, 32, v3
	v_subrev_u32_e32 v3, 28, v14
	v_lshlrev_b64 v[3:4], v3, v[1:2]
	v_sub_u32_e32 v4, 29, v14
	v_cndmask_b32_e32 v4, v13, v4, vcc
	v_lshlrev_b32_e32 v1, 8, v1
	v_lshl_add_u32 v4, v4, 10, v32
	v_and_b32_e32 v3, 7, v3
	v_and_or_b32 v1, v1, s30, v4
	v_cndmask_b32_e32 v3, v11, v3, vcc
	v_lshlrev_b32_e32 v1, 16, v1
	v_lshl_or_b32 v63, v3, 23, v1
.LBB261_1127:                           ;   in Loop: Header=BB261_616 Depth=1
	s_or_b64 exec, exec, s[20:21]
.LBB261_1128:                           ;   in Loop: Header=BB261_616 Depth=1
	s_or_b64 exec, exec, s[18:19]
.LBB261_1129:                           ;   in Loop: Header=BB261_616 Depth=1
	s_or_b64 exec, exec, s[16:17]
	v_lshrrev_b32_e32 v1, 16, v9
	v_cmp_ne_u16_sdwa s[18:19], v1, v2 src0_sel:BYTE_0 src1_sel:DWORD
	v_mov_b32_e32 v11, 0
	v_mov_b32_e32 v31, 0
	s_and_saveexec_b64 s[16:17], s[18:19]
	s_cbranch_execz .LBB261_1135
; %bb.1130:                             ;   in Loop: Header=BB261_616 Depth=1
	v_cmp_ne_u16_sdwa s[20:21], v1, s28 src0_sel:BYTE_0 src1_sel:DWORD
	v_mov_b32_e32 v31, 0x8000
	s_and_saveexec_b64 s[18:19], s[20:21]
	s_cbranch_execz .LBB261_1134
; %bb.1131:                             ;   in Loop: Header=BB261_616 Depth=1
	v_bfe_u32 v3, v9, 16, 7
	v_cmp_ne_u32_e32 vcc, s29, v3
	v_mov_b32_e32 v31, 0x7c01
	s_and_saveexec_b64 s[20:21], vcc
	s_cbranch_execz .LBB261_1133
; %bb.1132:                             ;   in Loop: Header=BB261_616 Depth=1
	v_and_b32_e32 v13, 7, v1
	v_lshrrev_b32_e32 v14, 3, v3
	v_cmp_gt_u32_e32 vcc, 8, v3
	v_ffbh_u32_e32 v3, v13
	v_min_u32_e32 v16, 32, v3
	v_subrev_u32_e32 v3, 28, v16
	v_lshlrev_b64 v[3:4], v3, v[1:2]
	v_sub_u32_e32 v4, 29, v16
	v_cndmask_b32_e32 v4, v14, v4, vcc
	v_lshl_add_u32 v4, v4, 10, v32
	v_lshlrev_b32_e32 v1, 8, v1
	v_and_b32_e32 v3, 7, v3
	v_and_b32_e32 v4, 0xfc00, v4
	v_cndmask_b32_e32 v3, v13, v3, vcc
	v_and_or_b32 v1, v1, s30, v4
	v_lshl_or_b32 v31, v3, 7, v1
.LBB261_1133:                           ;   in Loop: Header=BB261_616 Depth=1
	s_or_b64 exec, exec, s[20:21]
.LBB261_1134:                           ;   in Loop: Header=BB261_616 Depth=1
	s_or_b64 exec, exec, s[18:19]
.LBB261_1135:                           ;   in Loop: Header=BB261_616 Depth=1
	s_or_b64 exec, exec, s[16:17]
	v_cmp_lt_u32_e32 vcc, s5, v9
	s_and_saveexec_b64 s[16:17], vcc
	s_cbranch_execz .LBB261_1141
; %bb.1136:                             ;   in Loop: Header=BB261_616 Depth=1
	v_lshrrev_b32_e32 v1, 24, v9
	v_cmp_ne_u32_e32 vcc, s28, v1
	v_bfrev_b32_e32 v11, 1
	s_and_saveexec_b64 s[18:19], vcc
	s_cbranch_execz .LBB261_1140
; %bb.1137:                             ;   in Loop: Header=BB261_616 Depth=1
	v_and_b32_e32 v3, 0x7f, v1
	v_cmp_ne_u32_e32 vcc, s29, v3
	v_mov_b32_e32 v11, 0x7c010000
	s_and_saveexec_b64 s[20:21], vcc
	s_cbranch_execz .LBB261_1139
; %bb.1138:                             ;   in Loop: Header=BB261_616 Depth=1
	v_and_b32_e32 v11, 7, v1
	v_lshrrev_b32_e32 v13, 3, v3
	v_cmp_gt_u32_e32 vcc, 8, v3
	v_ffbh_u32_e32 v3, v11
	v_min_u32_e32 v14, 32, v3
	v_subrev_u32_e32 v3, 28, v14
	v_lshlrev_b64 v[3:4], v3, v[1:2]
	v_sub_u32_e32 v4, 29, v14
	v_cndmask_b32_e32 v4, v13, v4, vcc
	v_lshlrev_b32_e32 v1, 8, v1
	v_lshl_add_u32 v4, v4, 10, v32
	v_and_b32_e32 v3, 7, v3
	v_and_or_b32 v1, v1, s30, v4
	v_cndmask_b32_e32 v3, v11, v3, vcc
	v_lshlrev_b32_e32 v1, 16, v1
	v_lshl_or_b32 v11, v3, 23, v1
.LBB261_1139:                           ;   in Loop: Header=BB261_616 Depth=1
	s_or_b64 exec, exec, s[20:21]
.LBB261_1140:                           ;   in Loop: Header=BB261_616 Depth=1
	s_or_b64 exec, exec, s[18:19]
.LBB261_1141:                           ;   in Loop: Header=BB261_616 Depth=1
	s_or_b64 exec, exec, s[16:17]
	v_mov_b32_e32 v1, v10
	v_cmp_ne_u16_sdwa s[18:19], v10, v2 src0_sel:BYTE_0 src1_sel:DWORD
	v_mov_b32_e32 v3, 0
	v_mov_b32_e32 v4, 0
	s_and_saveexec_b64 s[16:17], s[18:19]
	s_cbranch_execz .LBB261_1147
; %bb.1142:                             ;   in Loop: Header=BB261_616 Depth=1
	v_cmp_ne_u16_sdwa s[20:21], v10, s28 src0_sel:BYTE_0 src1_sel:DWORD
	v_mov_b32_e32 v4, 0x8000
	s_and_saveexec_b64 s[18:19], s[20:21]
	s_cbranch_execz .LBB261_1146
; %bb.1143:                             ;   in Loop: Header=BB261_616 Depth=1
	v_and_b32_e32 v16, 0x7f, v10
	v_cmp_ne_u32_e32 vcc, s29, v16
	v_mov_b32_e32 v4, 0x7c01
	s_and_saveexec_b64 s[20:21], vcc
	s_cbranch_execz .LBB261_1145
; %bb.1144:                             ;   in Loop: Header=BB261_616 Depth=1
	v_and_b32_e32 v4, 7, v10
	v_ffbh_u32_e32 v14, v4
	v_min_u32_e32 v14, 32, v14
	v_lshrrev_b32_e32 v13, 3, v16
	v_cmp_gt_u32_e32 vcc, 8, v16
	v_subrev_u32_e32 v16, 28, v14
	v_sub_u32_e32 v14, 29, v14
	v_lshlrev_b64 v[16:17], v16, v[1:2]
	v_cndmask_b32_e32 v13, v13, v14, vcc
	v_lshl_add_u32 v13, v13, 10, v32
	v_lshlrev_b32_e32 v14, 8, v10
	v_and_b32_e32 v16, 7, v16
	v_and_b32_e32 v13, 0xfc00, v13
	v_cndmask_b32_e32 v4, v4, v16, vcc
	v_and_or_b32 v13, v14, s30, v13
	v_lshl_or_b32 v4, v4, 7, v13
.LBB261_1145:                           ;   in Loop: Header=BB261_616 Depth=1
	s_or_b64 exec, exec, s[20:21]
.LBB261_1146:                           ;   in Loop: Header=BB261_616 Depth=1
	s_or_b64 exec, exec, s[18:19]
.LBB261_1147:                           ;   in Loop: Header=BB261_616 Depth=1
	s_or_b64 exec, exec, s[16:17]
	v_lshrrev_b16_e32 v1, 8, v1
	v_cmp_ne_u16_e32 vcc, 0, v1
	v_mov_b32_e32 v16, 0
	s_and_saveexec_b64 s[16:17], vcc
	s_cbranch_execz .LBB261_1153
; %bb.1148:                             ;   in Loop: Header=BB261_616 Depth=1
	v_cmp_ne_u16_e32 vcc, s28, v1
	v_bfrev_b32_e32 v16, 1
	s_and_saveexec_b64 s[18:19], vcc
	s_cbranch_execz .LBB261_1152
; %bb.1149:                             ;   in Loop: Header=BB261_616 Depth=1
	v_and_b32_e32 v17, 0x7f, v1
	v_cmp_ne_u32_e32 vcc, s29, v17
	v_mov_b32_e32 v16, 0x7c010000
	s_and_saveexec_b64 s[20:21], vcc
	s_cbranch_execz .LBB261_1151
; %bb.1150:                             ;   in Loop: Header=BB261_616 Depth=1
	v_and_b32_e32 v13, 7, v1
	v_ffbh_u32_e32 v16, v13
	v_min_u32_e32 v12, 32, v16
	v_lshrrev_b32_e32 v14, 3, v17
	v_cmp_gt_u32_e32 vcc, 8, v17
	v_subrev_u32_e32 v16, 28, v12
	v_sub_u32_e32 v12, 29, v12
	v_lshlrev_b64 v[16:17], v16, v[1:2]
	v_cndmask_b32_e32 v12, v14, v12, vcc
	v_lshlrev_b32_e32 v1, 8, v1
	v_lshl_add_u32 v12, v12, 10, v32
	v_and_b32_e32 v14, 7, v16
	v_and_or_b32 v1, v1, s30, v12
	v_cndmask_b32_e32 v13, v13, v14, vcc
	v_lshlrev_b32_e32 v1, 16, v1
	v_lshl_or_b32 v16, v13, 23, v1
.LBB261_1151:                           ;   in Loop: Header=BB261_616 Depth=1
	s_or_b64 exec, exec, s[20:21]
.LBB261_1152:                           ;   in Loop: Header=BB261_616 Depth=1
	s_or_b64 exec, exec, s[18:19]
.LBB261_1153:                           ;   in Loop: Header=BB261_616 Depth=1
	s_or_b64 exec, exec, s[16:17]
	v_lshrrev_b32_e32 v1, 16, v10
	v_cmp_ne_u16_sdwa s[18:19], v1, v2 src0_sel:BYTE_0 src1_sel:DWORD
	s_and_saveexec_b64 s[16:17], s[18:19]
	s_cbranch_execz .LBB261_1159
; %bb.1154:                             ;   in Loop: Header=BB261_616 Depth=1
	v_cmp_ne_u16_sdwa s[20:21], v1, s28 src0_sel:BYTE_0 src1_sel:DWORD
	v_mov_b32_e32 v3, 0x8000
	s_and_saveexec_b64 s[18:19], s[20:21]
	s_cbranch_execz .LBB261_1158
; %bb.1155:                             ;   in Loop: Header=BB261_616 Depth=1
	v_bfe_u32 v17, v10, 16, 7
	v_cmp_ne_u32_e32 vcc, s29, v17
	v_mov_b32_e32 v3, 0x7c01
	s_and_saveexec_b64 s[20:21], vcc
	s_cbranch_execz .LBB261_1157
; %bb.1156:                             ;   in Loop: Header=BB261_616 Depth=1
	v_and_b32_e32 v3, 7, v1
	v_ffbh_u32_e32 v13, v3
	v_lshrrev_b32_e32 v12, 3, v17
	v_cmp_gt_u32_e32 vcc, 8, v17
	v_min_u32_e32 v17, 32, v13
	v_subrev_u32_e32 v13, 28, v17
	v_lshlrev_b64 v[13:14], v13, v[1:2]
	v_sub_u32_e32 v14, 29, v17
	v_cndmask_b32_e32 v12, v12, v14, vcc
	v_lshl_add_u32 v12, v12, 10, v32
	v_lshlrev_b32_e32 v1, 8, v1
	v_and_b32_e32 v13, 7, v13
	v_and_b32_e32 v12, 0xfc00, v12
	v_cndmask_b32_e32 v3, v3, v13, vcc
	v_and_or_b32 v1, v1, s30, v12
	v_lshl_or_b32 v3, v3, 7, v1
.LBB261_1157:                           ;   in Loop: Header=BB261_616 Depth=1
	s_or_b64 exec, exec, s[20:21]
.LBB261_1158:                           ;   in Loop: Header=BB261_616 Depth=1
	s_or_b64 exec, exec, s[18:19]
.LBB261_1159:                           ;   in Loop: Header=BB261_616 Depth=1
	s_or_b64 exec, exec, s[16:17]
	v_cmp_lt_u64_e32 vcc, s[4:5], v[9:10]
	v_mov_b32_e32 v9, 0
	s_and_saveexec_b64 s[16:17], vcc
	s_cbranch_execz .LBB261_1165
; %bb.1160:                             ;   in Loop: Header=BB261_616 Depth=1
	v_lshrrev_b32_e32 v1, 24, v10
	v_cmp_ne_u32_e32 vcc, s28, v1
	v_bfrev_b32_e32 v9, 1
	s_and_saveexec_b64 s[18:19], vcc
	s_cbranch_execz .LBB261_1164
; %bb.1161:                             ;   in Loop: Header=BB261_616 Depth=1
	v_and_b32_e32 v10, 0x7f, v1
	v_cmp_ne_u32_e32 vcc, s29, v10
	v_mov_b32_e32 v9, 0x7c010000
	s_and_saveexec_b64 s[20:21], vcc
	s_cbranch_execz .LBB261_1163
; %bb.1162:                             ;   in Loop: Header=BB261_616 Depth=1
	v_and_b32_e32 v12, 7, v1
	v_ffbh_u32_e32 v9, v12
	v_min_u32_e32 v14, 32, v9
	v_subrev_u32_e32 v9, 28, v14
	v_lshrrev_b32_e32 v13, 3, v10
	v_cmp_gt_u32_e32 vcc, 8, v10
	v_lshlrev_b64 v[9:10], v9, v[1:2]
	v_sub_u32_e32 v10, 29, v14
	v_cndmask_b32_e32 v10, v13, v10, vcc
	v_lshlrev_b32_e32 v1, 8, v1
	v_lshl_add_u32 v10, v10, 10, v32
	v_and_b32_e32 v9, 7, v9
	v_and_or_b32 v1, v1, s30, v10
	v_cndmask_b32_e32 v9, v12, v9, vcc
	v_lshlrev_b32_e32 v1, 16, v1
	v_lshl_or_b32 v9, v9, 23, v1
.LBB261_1163:                           ;   in Loop: Header=BB261_616 Depth=1
	s_or_b64 exec, exec, s[20:21]
.LBB261_1164:                           ;   in Loop: Header=BB261_616 Depth=1
	s_or_b64 exec, exec, s[18:19]
.LBB261_1165:                           ;   in Loop: Header=BB261_616 Depth=1
	s_or_b64 exec, exec, s[16:17]
	s_waitcnt vmcnt(0)
	v_fma_mixlo_f16 v10, v62, v11, 0 op_sel:[0,1,0] op_sel_hi:[0,1,0]
	v_fma_mixlo_f16 v12, v62, v63, 0 op_sel:[0,1,0] op_sel_hi:[0,1,0]
	v_or_b32_e32 v1, v11, v31
	v_lshlrev_b32_e32 v11, 16, v10
	v_or_b32_e32 v10, v63, v18
	v_lshlrev_b32_e32 v18, 16, v12
	v_or_b32_e32 v4, v16, v4
	v_fma_mixlo_f16 v12, v62, v16, 0 op_sel:[0,1,0] op_sel_hi:[0,1,0]
	v_or_b32_e32 v3, v9, v3
	v_fma_mixlo_f16 v1, v62, v1, 0 op_sel_hi:[0,1,0]
	v_fma_mixlo_f16 v10, v62, v10, 0 op_sel_hi:[0,1,0]
	v_lshlrev_b32_e32 v16, 16, v12
	v_fma_mixlo_f16 v4, v62, v4, 0 op_sel_hi:[0,1,0]
	v_fma_mixlo_f16 v12, v62, v3, 0 op_sel_hi:[0,1,0]
	v_fma_mixlo_f16 v3, v62, v9, 0 op_sel:[0,1,0] op_sel_hi:[0,1,0]
	v_and_b32_e32 v17, 0xffff, v1
	v_and_b32_e32 v63, 0xffff, v10
	;; [unrolled: 1-line block ×3, first 2 shown]
	v_lshlrev_b32_e32 v3, 16, v3
	v_and_b32_e32 v9, 0xffff, v12
	v_or_b32_e32 v1, v11, v17
	v_or_b32_e32 v10, v18, v63
	;; [unrolled: 1-line block ×4, first 2 shown]
	s_and_saveexec_b64 s[16:17], s[0:1]
	s_cbranch_execz .LBB261_1167
; %bb.1166:                             ;   in Loop: Header=BB261_616 Depth=1
	v_cmp_gt_i32_e32 vcc, s33, v33
	v_cndmask_b32_e32 v1, 0, v63, vcc
	v_cmp_gt_i32_e32 vcc, s33, v44
	v_cndmask_b32_e32 v4, 0, v18, vcc
	v_cmp_gt_i32_e32 vcc, s33, v43
	v_or_b32_e32 v10, v4, v1
	v_cndmask_b32_e32 v1, 0, v17, vcc
	v_cmp_gt_i32_e32 vcc, s33, v42
	v_cndmask_b32_e32 v4, 0, v11, vcc
	v_cmp_gt_i32_e32 vcc, s33, v40
	v_or_b32_e32 v1, v4, v1
	v_cndmask_b32_e32 v4, 0, v31, vcc
	v_cmp_gt_i32_e32 vcc, s33, v38
	v_cndmask_b32_e32 v11, 0, v16, vcc
	v_cmp_gt_i32_e32 vcc, s33, v35
	v_cndmask_b32_e32 v9, 0, v9, vcc
	v_cmp_gt_i32_e32 vcc, s33, v34
	v_cndmask_b32_e32 v3, 0, v3, vcc
	v_or_b32_e32 v4, v11, v4
	v_or_b32_e32 v62, v3, v9
.LBB261_1167:                           ;   in Loop: Header=BB261_616 Depth=1
	s_or_b64 exec, exec, s[16:17]
	;;#ASMSTART
	v_pk_mul_f16 v3, v41, v10;

	;;#ASMEND
	;;#ASMSTART
	v_pk_mul_f16 v1, v39, v1;

	;;#ASMEND
	;;#ASMSTART
	v_pk_mul_f16 v4, v37, v4;

	;;#ASMEND
	;;#ASMSTART
	v_pk_mul_f16 v9, v36, v62;

	;;#ASMEND
	;;#ASMSTART
	v_pk_add_f16 v1, v3, v1;

	;;#ASMEND
	;;#ASMSTART
	v_pk_add_f16 v1, v1, v4;

	;;#ASMEND
	;; [unrolled: 4-line block ×3, first 2 shown]
	v_lshrrev_b32_e32 v3, 16, v1
	v_and_b32_e32 v1, 0xffff, v1
	;;#ASMSTART
	v_cvt_f32_f16 v9, v1;
	;;#ASMEND
	;;#ASMSTART
	v_cvt_f32_f16 v10, v3;
	;;#ASMEND
	v_add_co_u32_e32 v3, vcc, 0x1000, v7
	v_addc_co_u32_e32 v4, vcc, 0, v8, vcc
	global_load_dwordx2 v[7:8], v[3:4], off offset:1536
	v_mov_b32_e32 v63, 0
	global_load_dword v62, v63, s[14:15]
	v_mov_b32_e32 v18, 0
	s_waitcnt vmcnt(1)
	v_cmp_ne_u16_sdwa s[18:19], v7, v2 src0_sel:BYTE_0 src1_sel:DWORD
	s_and_saveexec_b64 s[16:17], s[18:19]
	s_cbranch_execz .LBB261_1173
; %bb.1168:                             ;   in Loop: Header=BB261_616 Depth=1
	v_cmp_ne_u16_sdwa s[20:21], v7, s28 src0_sel:BYTE_0 src1_sel:DWORD
	v_mov_b32_e32 v18, 0x8000
	s_and_saveexec_b64 s[18:19], s[20:21]
	s_cbranch_execz .LBB261_1172
; %bb.1169:                             ;   in Loop: Header=BB261_616 Depth=1
	v_and_b32_e32 v1, 0x7f, v7
	v_cmp_ne_u32_e32 vcc, s29, v1
	v_mov_b32_e32 v18, 0x7c01
	s_and_saveexec_b64 s[20:21], vcc
	s_cbranch_execz .LBB261_1171
; %bb.1170:                             ;   in Loop: Header=BB261_616 Depth=1
	v_and_b32_e32 v11, 7, v7
	v_lshrrev_b32_e32 v12, 3, v1
	v_cmp_gt_u32_e32 vcc, 8, v1
	v_ffbh_u32_e32 v1, v11
	v_min_u32_e32 v1, 32, v1
	v_subrev_u32_e32 v3, 28, v1
	v_sub_u32_e32 v1, 29, v1
	v_lshlrev_b64 v[3:4], v3, v[7:8]
	v_cndmask_b32_e32 v1, v12, v1, vcc
	v_lshl_add_u32 v1, v1, 10, v32
	v_lshlrev_b32_e32 v4, 8, v7
	v_and_b32_e32 v3, 7, v3
	v_and_b32_e32 v1, 0xfc00, v1
	v_cndmask_b32_e32 v3, v11, v3, vcc
	v_and_or_b32 v1, v4, s30, v1
	v_lshl_or_b32 v18, v3, 7, v1
.LBB261_1171:                           ;   in Loop: Header=BB261_616 Depth=1
	s_or_b64 exec, exec, s[20:21]
.LBB261_1172:                           ;   in Loop: Header=BB261_616 Depth=1
	s_or_b64 exec, exec, s[18:19]
.LBB261_1173:                           ;   in Loop: Header=BB261_616 Depth=1
	s_or_b64 exec, exec, s[16:17]
	v_lshrrev_b16_e32 v1, 8, v7
	v_cmp_ne_u16_e32 vcc, 0, v1
	s_and_saveexec_b64 s[16:17], vcc
	s_cbranch_execz .LBB261_1179
; %bb.1174:                             ;   in Loop: Header=BB261_616 Depth=1
	v_cmp_ne_u16_e32 vcc, s28, v1
	v_bfrev_b32_e32 v63, 1
	s_and_saveexec_b64 s[18:19], vcc
	s_cbranch_execz .LBB261_1178
; %bb.1175:                             ;   in Loop: Header=BB261_616 Depth=1
	v_and_b32_e32 v3, 0x7f, v1
	v_cmp_ne_u32_e32 vcc, s29, v3
	v_mov_b32_e32 v63, 0x7c010000
	s_and_saveexec_b64 s[20:21], vcc
	s_cbranch_execz .LBB261_1177
; %bb.1176:                             ;   in Loop: Header=BB261_616 Depth=1
	v_and_b32_e32 v11, 7, v1
	v_lshrrev_b32_e32 v12, 3, v3
	v_cmp_gt_u32_e32 vcc, 8, v3
	v_ffbh_u32_e32 v3, v11
	v_min_u32_e32 v13, 32, v3
	v_subrev_u32_e32 v3, 28, v13
	v_lshlrev_b64 v[3:4], v3, v[1:2]
	v_sub_u32_e32 v4, 29, v13
	v_cndmask_b32_e32 v4, v12, v4, vcc
	v_lshlrev_b32_e32 v1, 8, v1
	v_lshl_add_u32 v4, v4, 10, v32
	v_and_b32_e32 v3, 7, v3
	v_and_or_b32 v1, v1, s30, v4
	v_cndmask_b32_e32 v3, v11, v3, vcc
	v_lshlrev_b32_e32 v1, 16, v1
	v_lshl_or_b32 v63, v3, 23, v1
.LBB261_1177:                           ;   in Loop: Header=BB261_616 Depth=1
	s_or_b64 exec, exec, s[20:21]
.LBB261_1178:                           ;   in Loop: Header=BB261_616 Depth=1
	s_or_b64 exec, exec, s[18:19]
.LBB261_1179:                           ;   in Loop: Header=BB261_616 Depth=1
	s_or_b64 exec, exec, s[16:17]
	v_lshrrev_b32_e32 v1, 16, v7
	v_cmp_ne_u16_sdwa s[18:19], v1, v2 src0_sel:BYTE_0 src1_sel:DWORD
	v_mov_b32_e32 v11, 0
	v_mov_b32_e32 v31, 0
	s_and_saveexec_b64 s[16:17], s[18:19]
	s_cbranch_execz .LBB261_1185
; %bb.1180:                             ;   in Loop: Header=BB261_616 Depth=1
	v_cmp_ne_u16_sdwa s[20:21], v1, s28 src0_sel:BYTE_0 src1_sel:DWORD
	v_mov_b32_e32 v31, 0x8000
	s_and_saveexec_b64 s[18:19], s[20:21]
	s_cbranch_execz .LBB261_1184
; %bb.1181:                             ;   in Loop: Header=BB261_616 Depth=1
	v_bfe_u32 v3, v7, 16, 7
	v_cmp_ne_u32_e32 vcc, s29, v3
	v_mov_b32_e32 v31, 0x7c01
	s_and_saveexec_b64 s[20:21], vcc
	s_cbranch_execz .LBB261_1183
; %bb.1182:                             ;   in Loop: Header=BB261_616 Depth=1
	v_and_b32_e32 v12, 7, v1
	v_lshrrev_b32_e32 v13, 3, v3
	v_cmp_gt_u32_e32 vcc, 8, v3
	v_ffbh_u32_e32 v3, v12
	v_min_u32_e32 v14, 32, v3
	v_subrev_u32_e32 v3, 28, v14
	v_lshlrev_b64 v[3:4], v3, v[1:2]
	v_sub_u32_e32 v4, 29, v14
	v_cndmask_b32_e32 v4, v13, v4, vcc
	v_lshl_add_u32 v4, v4, 10, v32
	v_lshlrev_b32_e32 v1, 8, v1
	v_and_b32_e32 v3, 7, v3
	v_and_b32_e32 v4, 0xfc00, v4
	v_cndmask_b32_e32 v3, v12, v3, vcc
	v_and_or_b32 v1, v1, s30, v4
	v_lshl_or_b32 v31, v3, 7, v1
.LBB261_1183:                           ;   in Loop: Header=BB261_616 Depth=1
	s_or_b64 exec, exec, s[20:21]
.LBB261_1184:                           ;   in Loop: Header=BB261_616 Depth=1
	s_or_b64 exec, exec, s[18:19]
.LBB261_1185:                           ;   in Loop: Header=BB261_616 Depth=1
	s_or_b64 exec, exec, s[16:17]
	v_cmp_lt_u32_e32 vcc, s5, v7
	s_and_saveexec_b64 s[16:17], vcc
	s_cbranch_execz .LBB261_1191
; %bb.1186:                             ;   in Loop: Header=BB261_616 Depth=1
	v_lshrrev_b32_e32 v1, 24, v7
	v_cmp_ne_u32_e32 vcc, s28, v1
	v_bfrev_b32_e32 v11, 1
	s_and_saveexec_b64 s[18:19], vcc
	s_cbranch_execz .LBB261_1190
; %bb.1187:                             ;   in Loop: Header=BB261_616 Depth=1
	v_and_b32_e32 v3, 0x7f, v1
	v_cmp_ne_u32_e32 vcc, s29, v3
	v_mov_b32_e32 v11, 0x7c010000
	s_and_saveexec_b64 s[20:21], vcc
	s_cbranch_execz .LBB261_1189
; %bb.1188:                             ;   in Loop: Header=BB261_616 Depth=1
	v_and_b32_e32 v11, 7, v1
	v_lshrrev_b32_e32 v12, 3, v3
	v_cmp_gt_u32_e32 vcc, 8, v3
	v_ffbh_u32_e32 v3, v11
	v_min_u32_e32 v13, 32, v3
	v_subrev_u32_e32 v3, 28, v13
	v_lshlrev_b64 v[3:4], v3, v[1:2]
	v_sub_u32_e32 v4, 29, v13
	v_cndmask_b32_e32 v4, v12, v4, vcc
	v_lshlrev_b32_e32 v1, 8, v1
	v_lshl_add_u32 v4, v4, 10, v32
	v_and_b32_e32 v3, 7, v3
	v_and_or_b32 v1, v1, s30, v4
	v_cndmask_b32_e32 v3, v11, v3, vcc
	v_lshlrev_b32_e32 v1, 16, v1
	v_lshl_or_b32 v11, v3, 23, v1
.LBB261_1189:                           ;   in Loop: Header=BB261_616 Depth=1
	s_or_b64 exec, exec, s[20:21]
.LBB261_1190:                           ;   in Loop: Header=BB261_616 Depth=1
	s_or_b64 exec, exec, s[18:19]
.LBB261_1191:                           ;   in Loop: Header=BB261_616 Depth=1
	s_or_b64 exec, exec, s[16:17]
	v_mov_b32_e32 v1, v8
	v_cmp_ne_u16_sdwa s[18:19], v8, v2 src0_sel:BYTE_0 src1_sel:DWORD
	v_mov_b32_e32 v3, 0
	v_mov_b32_e32 v4, 0
	s_and_saveexec_b64 s[16:17], s[18:19]
	s_cbranch_execz .LBB261_1197
; %bb.1192:                             ;   in Loop: Header=BB261_616 Depth=1
	v_cmp_ne_u16_sdwa s[20:21], v8, s28 src0_sel:BYTE_0 src1_sel:DWORD
	v_mov_b32_e32 v4, 0x8000
	s_and_saveexec_b64 s[18:19], s[20:21]
	s_cbranch_execz .LBB261_1196
; %bb.1193:                             ;   in Loop: Header=BB261_616 Depth=1
	v_and_b32_e32 v16, 0x7f, v8
	v_cmp_ne_u32_e32 vcc, s29, v16
	v_mov_b32_e32 v4, 0x7c01
	s_and_saveexec_b64 s[20:21], vcc
	s_cbranch_execz .LBB261_1195
; %bb.1194:                             ;   in Loop: Header=BB261_616 Depth=1
	v_and_b32_e32 v4, 7, v8
	v_ffbh_u32_e32 v13, v4
	v_lshrrev_b32_e32 v12, 3, v16
	v_cmp_gt_u32_e32 vcc, 8, v16
	v_min_u32_e32 v16, 32, v13
	v_subrev_u32_e32 v13, 28, v16
	v_lshlrev_b64 v[13:14], v13, v[1:2]
	v_sub_u32_e32 v14, 29, v16
	v_cndmask_b32_e32 v12, v12, v14, vcc
	v_lshl_add_u32 v12, v12, 10, v32
	v_lshlrev_b32_e32 v14, 8, v8
	v_and_b32_e32 v13, 7, v13
	v_and_b32_e32 v12, 0xfc00, v12
	v_cndmask_b32_e32 v4, v4, v13, vcc
	v_and_or_b32 v12, v14, s30, v12
	v_lshl_or_b32 v4, v4, 7, v12
.LBB261_1195:                           ;   in Loop: Header=BB261_616 Depth=1
	s_or_b64 exec, exec, s[20:21]
.LBB261_1196:                           ;   in Loop: Header=BB261_616 Depth=1
	s_or_b64 exec, exec, s[18:19]
.LBB261_1197:                           ;   in Loop: Header=BB261_616 Depth=1
	s_or_b64 exec, exec, s[16:17]
	v_lshrrev_b16_e32 v1, 8, v1
	v_cmp_ne_u16_e32 vcc, 0, v1
	v_mov_b32_e32 v16, 0
	s_and_saveexec_b64 s[16:17], vcc
	s_cbranch_execz .LBB261_1203
; %bb.1198:                             ;   in Loop: Header=BB261_616 Depth=1
	v_cmp_ne_u16_e32 vcc, s28, v1
	v_bfrev_b32_e32 v16, 1
	s_and_saveexec_b64 s[18:19], vcc
	s_cbranch_execz .LBB261_1202
; %bb.1199:                             ;   in Loop: Header=BB261_616 Depth=1
	v_and_b32_e32 v17, 0x7f, v1
	v_cmp_ne_u32_e32 vcc, s29, v17
	v_mov_b32_e32 v16, 0x7c010000
	s_and_saveexec_b64 s[20:21], vcc
	s_cbranch_execz .LBB261_1201
; %bb.1200:                             ;   in Loop: Header=BB261_616 Depth=1
	v_and_b32_e32 v12, 7, v1
	v_ffbh_u32_e32 v13, v12
	v_lshrrev_b32_e32 v16, 3, v17
	v_cmp_gt_u32_e32 vcc, 8, v17
	v_min_u32_e32 v17, 32, v13
	v_subrev_u32_e32 v13, 28, v17
	v_lshlrev_b64 v[13:14], v13, v[1:2]
	v_sub_u32_e32 v14, 29, v17
	v_cndmask_b32_e32 v14, v16, v14, vcc
	v_lshlrev_b32_e32 v1, 8, v1
	v_lshl_add_u32 v14, v14, 10, v32
	v_and_b32_e32 v13, 7, v13
	v_and_or_b32 v1, v1, s30, v14
	v_cndmask_b32_e32 v12, v12, v13, vcc
	v_lshlrev_b32_e32 v1, 16, v1
	v_lshl_or_b32 v16, v12, 23, v1
.LBB261_1201:                           ;   in Loop: Header=BB261_616 Depth=1
	s_or_b64 exec, exec, s[20:21]
.LBB261_1202:                           ;   in Loop: Header=BB261_616 Depth=1
	s_or_b64 exec, exec, s[18:19]
.LBB261_1203:                           ;   in Loop: Header=BB261_616 Depth=1
	s_or_b64 exec, exec, s[16:17]
	v_lshrrev_b32_e32 v1, 16, v8
	v_cmp_ne_u16_sdwa s[18:19], v1, v2 src0_sel:BYTE_0 src1_sel:DWORD
	s_and_saveexec_b64 s[16:17], s[18:19]
	s_cbranch_execz .LBB261_1209
; %bb.1204:                             ;   in Loop: Header=BB261_616 Depth=1
	v_cmp_ne_u16_sdwa s[20:21], v1, s28 src0_sel:BYTE_0 src1_sel:DWORD
	v_mov_b32_e32 v3, 0x8000
	s_and_saveexec_b64 s[18:19], s[20:21]
	s_cbranch_execz .LBB261_1208
; %bb.1205:                             ;   in Loop: Header=BB261_616 Depth=1
	v_bfe_u32 v17, v8, 16, 7
	v_cmp_ne_u32_e32 vcc, s29, v17
	v_mov_b32_e32 v3, 0x7c01
	s_and_saveexec_b64 s[20:21], vcc
	s_cbranch_execz .LBB261_1207
; %bb.1206:                             ;   in Loop: Header=BB261_616 Depth=1
	v_and_b32_e32 v3, 7, v1
	v_ffbh_u32_e32 v13, v3
	v_lshrrev_b32_e32 v12, 3, v17
	v_cmp_gt_u32_e32 vcc, 8, v17
	v_min_u32_e32 v17, 32, v13
	v_subrev_u32_e32 v13, 28, v17
	v_lshlrev_b64 v[13:14], v13, v[1:2]
	v_sub_u32_e32 v14, 29, v17
	v_cndmask_b32_e32 v12, v12, v14, vcc
	v_lshl_add_u32 v12, v12, 10, v32
	v_lshlrev_b32_e32 v1, 8, v1
	v_and_b32_e32 v13, 7, v13
	v_and_b32_e32 v12, 0xfc00, v12
	v_cndmask_b32_e32 v3, v3, v13, vcc
	v_and_or_b32 v1, v1, s30, v12
	v_lshl_or_b32 v3, v3, 7, v1
.LBB261_1207:                           ;   in Loop: Header=BB261_616 Depth=1
	s_or_b64 exec, exec, s[20:21]
.LBB261_1208:                           ;   in Loop: Header=BB261_616 Depth=1
	s_or_b64 exec, exec, s[18:19]
.LBB261_1209:                           ;   in Loop: Header=BB261_616 Depth=1
	s_or_b64 exec, exec, s[16:17]
	v_cmp_lt_u64_e32 vcc, s[4:5], v[7:8]
	v_mov_b32_e32 v17, 0
	s_and_saveexec_b64 s[16:17], vcc
	s_cbranch_execz .LBB261_1215
; %bb.1210:                             ;   in Loop: Header=BB261_616 Depth=1
	v_lshrrev_b32_e32 v1, 24, v8
	v_cmp_ne_u32_e32 vcc, s28, v1
	v_bfrev_b32_e32 v17, 1
	s_and_saveexec_b64 s[18:19], vcc
	s_cbranch_execz .LBB261_1214
; %bb.1211:                             ;   in Loop: Header=BB261_616 Depth=1
	v_and_b32_e32 v7, 0x7f, v1
	v_cmp_ne_u32_e32 vcc, s29, v7
	v_mov_b32_e32 v17, 0x7c010000
	s_and_saveexec_b64 s[20:21], vcc
	s_cbranch_execz .LBB261_1213
; %bb.1212:                             ;   in Loop: Header=BB261_616 Depth=1
	v_and_b32_e32 v12, 7, v1
	v_lshrrev_b32_e32 v13, 3, v7
	v_cmp_gt_u32_e32 vcc, 8, v7
	v_ffbh_u32_e32 v7, v12
	v_min_u32_e32 v14, 32, v7
	v_subrev_u32_e32 v7, 28, v14
	v_lshlrev_b64 v[7:8], v7, v[1:2]
	v_sub_u32_e32 v8, 29, v14
	v_cndmask_b32_e32 v8, v13, v8, vcc
	v_lshlrev_b32_e32 v1, 8, v1
	v_lshl_add_u32 v8, v8, 10, v32
	v_and_b32_e32 v7, 7, v7
	v_and_or_b32 v1, v1, s30, v8
	v_cndmask_b32_e32 v7, v12, v7, vcc
	v_lshlrev_b32_e32 v1, 16, v1
	v_lshl_or_b32 v17, v7, 23, v1
.LBB261_1213:                           ;   in Loop: Header=BB261_616 Depth=1
	s_or_b64 exec, exec, s[20:21]
.LBB261_1214:                           ;   in Loop: Header=BB261_616 Depth=1
	s_or_b64 exec, exec, s[18:19]
.LBB261_1215:                           ;   in Loop: Header=BB261_616 Depth=1
	s_or_b64 exec, exec, s[16:17]
	s_waitcnt vmcnt(0)
	v_fma_mixlo_f16 v7, v62, v11, 0 op_sel:[0,1,0] op_sel_hi:[0,1,0]
	v_fma_mixlo_f16 v12, v62, v63, 0 op_sel:[0,1,0] op_sel_hi:[0,1,0]
	v_or_b32_e32 v1, v11, v31
	v_lshlrev_b32_e32 v8, 16, v7
	v_or_b32_e32 v7, v63, v18
	v_lshlrev_b32_e32 v18, 16, v12
	v_or_b32_e32 v4, v16, v4
	v_fma_mixlo_f16 v12, v62, v16, 0 op_sel:[0,1,0] op_sel_hi:[0,1,0]
	v_or_b32_e32 v3, v17, v3
	v_fma_mixlo_f16 v1, v62, v1, 0 op_sel_hi:[0,1,0]
	v_fma_mixlo_f16 v7, v62, v7, 0 op_sel_hi:[0,1,0]
	v_lshlrev_b32_e32 v16, 16, v12
	v_fma_mixlo_f16 v4, v62, v4, 0 op_sel_hi:[0,1,0]
	v_fma_mixlo_f16 v3, v62, v3, 0 op_sel_hi:[0,1,0]
	v_fma_mixlo_f16 v12, v62, v17, 0 op_sel:[0,1,0] op_sel_hi:[0,1,0]
	v_and_b32_e32 v11, 0xffff, v1
	v_and_b32_e32 v63, 0xffff, v7
	;; [unrolled: 1-line block ×3, first 2 shown]
	v_lshlrev_b32_e32 v17, 16, v12
	v_and_b32_e32 v62, 0xffff, v3
	v_or_b32_e32 v1, v8, v11
	v_or_b32_e32 v7, v18, v63
	;; [unrolled: 1-line block ×4, first 2 shown]
	s_and_saveexec_b64 s[16:17], s[0:1]
	s_cbranch_execz .LBB261_614
; %bb.1216:                             ;   in Loop: Header=BB261_616 Depth=1
	v_cmp_gt_i32_e32 vcc, s33, v33
	v_cndmask_b32_e32 v1, 0, v63, vcc
	v_cmp_gt_i32_e32 vcc, s33, v44
	v_cndmask_b32_e32 v3, 0, v18, vcc
	v_cmp_gt_i32_e32 vcc, s33, v43
	v_or_b32_e32 v7, v3, v1
	v_cndmask_b32_e32 v1, 0, v11, vcc
	v_cmp_gt_i32_e32 vcc, s33, v42
	v_cndmask_b32_e32 v3, 0, v8, vcc
	v_cmp_gt_i32_e32 vcc, s33, v40
	v_or_b32_e32 v1, v3, v1
	;; [unrolled: 5-line block ×3, first 2 shown]
	v_cndmask_b32_e32 v3, 0, v62, vcc
	v_cmp_gt_i32_e32 vcc, s33, v34
	v_cndmask_b32_e32 v8, 0, v17, vcc
	v_or_b32_e32 v3, v8, v3
	s_branch .LBB261_614
.LBB261_1217:
	s_or_b64 exec, exec, s[6:7]
	buffer_load_dword v19, off, s[56:59], 0 offset:32 ; 4-byte Folded Reload
	buffer_load_dword v15, off, s[56:59], 0 offset:36 ; 4-byte Folded Reload
	;; [unrolled: 1-line block ×4, first 2 shown]
.LBB261_1218:
	s_or_b64 exec, exec, s[2:3]
	s_waitcnt vmcnt(2)
	ds_bpermute_b32 v0, v15, v29
	ds_bpermute_b32 v1, v15, v30
	;; [unrolled: 1-line block ×5, first 2 shown]
	s_waitcnt lgkmcnt(4)
	v_add_f32_e32 v0, v29, v0
	s_waitcnt vmcnt(1)
	ds_bpermute_b32 v4, v18, v0
	s_waitcnt lgkmcnt(4)
	v_add_f32_e32 v1, v30, v1
	s_waitcnt lgkmcnt(3)
	v_add_f32_e32 v3, v27, v3
	;; [unrolled: 2-line block ×3, first 2 shown]
	ds_bpermute_b32 v6, v18, v1
	s_waitcnt lgkmcnt(1)
	v_add_f32_e32 v2, v0, v4
	ds_bpermute_b32 v4, v18, v3
	ds_bpermute_b32 v7, v18, v5
	;; [unrolled: 1-line block ×3, first 2 shown]
	s_waitcnt lgkmcnt(3)
	v_add_f32_e32 v0, v1, v6
	ds_bpermute_b32 v6, v15, v26
	s_waitcnt lgkmcnt(3)
	v_add_f32_e32 v3, v3, v4
	ds_bpermute_b32 v4, v15, v24
	;; [unrolled: 3-line block ×8, first 2 shown]
	s_waitcnt lgkmcnt(2)
	v_add_f32_e32 v4, v8, v9
	v_add_f32_e32 v8, v23, v12
	ds_bpermute_b32 v9, v18, v8
	ds_bpermute_b32 v11, v15, v20
	s_waitcnt lgkmcnt(2)
	v_add_f32_e32 v14, v21, v10
	ds_bpermute_b32 v15, v18, v14
	s_waitcnt vmcnt(0) lgkmcnt(0)
	s_barrier
	v_add_f32_e32 v16, v20, v11
	v_add_f32_e32 v11, v8, v9
	;; [unrolled: 1-line block ×3, first 2 shown]
	buffer_load_dword v14, off, s[56:59], 0 offset:392 ; 4-byte Folded Reload
	v_add_f32_e32 v7, v22, v7
	v_add_f32_e32 v13, v33, v13
	ds_bpermute_b32 v12, v18, v7
	ds_bpermute_b32 v17, v18, v16
	;; [unrolled: 1-line block ×3, first 2 shown]
	s_waitcnt lgkmcnt(2)
	v_add_f32_e32 v10, v7, v12
	s_waitcnt lgkmcnt(1)
	v_add_f32_e32 v8, v16, v17
	;; [unrolled: 2-line block ×3, first 2 shown]
	s_waitcnt vmcnt(0)
	v_and_b32_e32 v13, 0x3c3, v14
	v_cmp_eq_u32_e32 vcc, 64, v13
	s_and_saveexec_b64 s[0:1], vcc
	s_cbranch_execz .LBB261_1220
; %bb.1219:
	v_add_u32_e32 v12, 0x190, v19
	ds_write2_b32 v12, v2, v0 offset1:16
	ds_write2_b32 v12, v1, v3 offset0:32 offset1:48
	ds_write2_b32 v12, v5, v4 offset0:64 offset1:80
	;; [unrolled: 1-line block ×5, first 2 shown]
.LBB261_1220:
	s_or_b64 exec, exec, s[0:1]
	v_cmp_gt_u32_e32 vcc, 64, v14
	v_lshrrev_b32_e32 v12, 2, v14
	s_waitcnt lgkmcnt(0)
	s_barrier
	s_and_saveexec_b64 s[0:1], vcc
	s_cbranch_execz .LBB261_1235
; %bb.1221:
	v_mov_b32_e32 v14, 0x190
	v_cmp_eq_u32_e32 vcc, 0, v31
	v_lshl_add_u32 v14, v12, 2, v14
	s_and_saveexec_b64 s[2:3], vcc
	s_cbranch_execnz .LBB261_1238
; %bb.1222:
	s_or_b64 exec, exec, s[2:3]
	s_and_saveexec_b64 s[2:3], vcc
	s_cbranch_execnz .LBB261_1239
.LBB261_1223:
	s_or_b64 exec, exec, s[2:3]
	s_and_saveexec_b64 s[2:3], vcc
	s_cbranch_execnz .LBB261_1240
.LBB261_1224:
	s_or_b64 exec, exec, s[2:3]
	s_and_saveexec_b64 s[2:3], vcc
	s_cbranch_execnz .LBB261_1241
.LBB261_1225:
	s_or_b64 exec, exec, s[2:3]
	s_and_saveexec_b64 s[2:3], vcc
	s_cbranch_execnz .LBB261_1242
.LBB261_1226:
	s_or_b64 exec, exec, s[2:3]
	s_and_saveexec_b64 s[2:3], vcc
	s_cbranch_execnz .LBB261_1243
.LBB261_1227:
	s_or_b64 exec, exec, s[2:3]
	s_and_saveexec_b64 s[2:3], vcc
	s_cbranch_execnz .LBB261_1244
.LBB261_1228:
	s_or_b64 exec, exec, s[2:3]
	s_and_saveexec_b64 s[2:3], vcc
	s_cbranch_execnz .LBB261_1245
.LBB261_1229:
	s_or_b64 exec, exec, s[2:3]
	s_and_saveexec_b64 s[2:3], vcc
	s_cbranch_execnz .LBB261_1246
.LBB261_1230:
	s_or_b64 exec, exec, s[2:3]
	s_and_saveexec_b64 s[2:3], vcc
	s_cbranch_execnz .LBB261_1247
.LBB261_1231:
	s_or_b64 exec, exec, s[2:3]
	s_and_saveexec_b64 s[2:3], vcc
	s_cbranch_execnz .LBB261_1248
.LBB261_1232:
	s_or_b64 exec, exec, s[2:3]
	s_and_saveexec_b64 s[2:3], vcc
	s_cbranch_execz .LBB261_1234
.LBB261_1233:
	ds_read_b32 v14, v14 offset:704
	s_waitcnt lgkmcnt(0)
	v_add_f32_e32 v7, v7, v14
.LBB261_1234:
	s_or_b64 exec, exec, s[2:3]
.LBB261_1235:
	s_or_b64 exec, exec, s[0:1]
	v_cmp_eq_u32_e32 vcc, 0, v13
	s_barrier
	s_and_saveexec_b64 s[0:1], vcc
	s_cbranch_execz .LBB261_1237
; %bb.1236:
	s_mul_i32 s0, s10, s11
	s_mul_i32 s0, s0, s9
	s_mulk_i32 s0, 0xc0
	s_ashr_i32 s1, s0, 31
	s_lshl_b64 s[0:1], s[0:1], 1
	s_add_u32 s2, s26, s0
	s_mul_i32 s0, s11, s24
	s_addc_u32 s3, s27, s1
	s_ashr_i32 s1, s0, 31
	s_lshl_b64 s[0:1], s[0:1], 1
	s_add_u32 s2, s2, s0
	s_mul_i32 s0, s8, 0xc0
	s_addc_u32 s3, s3, s1
	s_ashr_i32 s1, s0, 31
	s_lshl_b64 s[0:1], s[0:1], 1
	s_add_u32 s0, s2, s0
	s_addc_u32 s1, s3, s1
	v_lshlrev_b32_e32 v12, 1, v12
	;;#ASMSTART
	v_cvt_f16_f32 v2, v2;

	;;#ASMEND
	global_store_short v12, v2, s[0:1]
	;;#ASMSTART
	v_cvt_f16_f32 v0, v0;

	;;#ASMEND
	global_store_short v12, v0, s[0:1] offset:32
	;;#ASMSTART
	v_cvt_f16_f32 v0, v1;

	;;#ASMEND
	global_store_short v12, v0, s[0:1] offset:64
	;; [unrolled: 5-line block ×11, first 2 shown]
.LBB261_1237:
	s_endpgm
.LBB261_1238:
	ds_read_b32 v15, v14
	s_waitcnt lgkmcnt(0)
	v_add_f32_e32 v2, v2, v15
	s_or_b64 exec, exec, s[2:3]
	s_and_saveexec_b64 s[2:3], vcc
	s_cbranch_execz .LBB261_1223
.LBB261_1239:
	ds_read_b32 v15, v14 offset:64
	s_waitcnt lgkmcnt(0)
	v_add_f32_e32 v0, v0, v15
	s_or_b64 exec, exec, s[2:3]
	s_and_saveexec_b64 s[2:3], vcc
	s_cbranch_execz .LBB261_1224
.LBB261_1240:
	ds_read_b32 v15, v14 offset:128
	s_waitcnt lgkmcnt(0)
	v_add_f32_e32 v1, v1, v15
	s_or_b64 exec, exec, s[2:3]
	s_and_saveexec_b64 s[2:3], vcc
	s_cbranch_execz .LBB261_1225
.LBB261_1241:
	ds_read_b32 v15, v14 offset:192
	s_waitcnt lgkmcnt(0)
	v_add_f32_e32 v3, v3, v15
	s_or_b64 exec, exec, s[2:3]
	s_and_saveexec_b64 s[2:3], vcc
	s_cbranch_execz .LBB261_1226
.LBB261_1242:
	ds_read_b32 v15, v14 offset:256
	s_waitcnt lgkmcnt(0)
	v_add_f32_e32 v5, v5, v15
	s_or_b64 exec, exec, s[2:3]
	s_and_saveexec_b64 s[2:3], vcc
	s_cbranch_execz .LBB261_1227
.LBB261_1243:
	ds_read_b32 v15, v14 offset:320
	s_waitcnt lgkmcnt(0)
	v_add_f32_e32 v4, v4, v15
	s_or_b64 exec, exec, s[2:3]
	s_and_saveexec_b64 s[2:3], vcc
	s_cbranch_execz .LBB261_1228
.LBB261_1244:
	ds_read_b32 v15, v14 offset:384
	s_waitcnt lgkmcnt(0)
	v_add_f32_e32 v6, v6, v15
	s_or_b64 exec, exec, s[2:3]
	s_and_saveexec_b64 s[2:3], vcc
	s_cbranch_execz .LBB261_1229
.LBB261_1245:
	ds_read_b32 v15, v14 offset:448
	s_waitcnt lgkmcnt(0)
	v_add_f32_e32 v11, v11, v15
	s_or_b64 exec, exec, s[2:3]
	s_and_saveexec_b64 s[2:3], vcc
	s_cbranch_execz .LBB261_1230
.LBB261_1246:
	ds_read_b32 v15, v14 offset:512
	s_waitcnt lgkmcnt(0)
	v_add_f32_e32 v10, v10, v15
	s_or_b64 exec, exec, s[2:3]
	s_and_saveexec_b64 s[2:3], vcc
	s_cbranch_execz .LBB261_1231
.LBB261_1247:
	ds_read_b32 v15, v14 offset:576
	s_waitcnt lgkmcnt(0)
	v_add_f32_e32 v9, v9, v15
	s_or_b64 exec, exec, s[2:3]
	s_and_saveexec_b64 s[2:3], vcc
	s_cbranch_execz .LBB261_1232
.LBB261_1248:
	ds_read_b32 v15, v14 offset:640
	s_waitcnt lgkmcnt(0)
	v_add_f32_e32 v8, v8, v15
	s_or_b64 exec, exec, s[2:3]
	s_and_saveexec_b64 s[2:3], vcc
	s_cbranch_execnz .LBB261_1233
	s_branch .LBB261_1234
	.section	.rodata,"a",@progbits
	.p2align	6, 0x0
	.amdhsa_kernel _ZN4vllm25paged_attention_v1_kernelIthLi192ELi32ELi128ELNS_18Fp8KVCacheDataTypeE1ELb1EEEvPT_PKS2_PKT0_S8_ifPKiSA_iPKfiiiSC_SC_iiiii
		.amdhsa_group_segment_fixed_size 400
		.amdhsa_private_segment_fixed_size 412
		.amdhsa_kernarg_size 384
		.amdhsa_user_sgpr_count 6
		.amdhsa_user_sgpr_private_segment_buffer 1
		.amdhsa_user_sgpr_dispatch_ptr 0
		.amdhsa_user_sgpr_queue_ptr 0
		.amdhsa_user_sgpr_kernarg_segment_ptr 1
		.amdhsa_user_sgpr_dispatch_id 0
		.amdhsa_user_sgpr_flat_scratch_init 0
		.amdhsa_user_sgpr_private_segment_size 0
		.amdhsa_uses_dynamic_stack 0
		.amdhsa_system_sgpr_private_segment_wavefront_offset 1
		.amdhsa_system_sgpr_workgroup_id_x 1
		.amdhsa_system_sgpr_workgroup_id_y 1
		.amdhsa_system_sgpr_workgroup_id_z 1
		.amdhsa_system_sgpr_workgroup_info 0
		.amdhsa_system_vgpr_workitem_id 0
		.amdhsa_next_free_vgpr 64
		.amdhsa_next_free_sgpr 60
		.amdhsa_reserve_vcc 1
		.amdhsa_reserve_flat_scratch 0
		.amdhsa_float_round_mode_32 0
		.amdhsa_float_round_mode_16_64 0
		.amdhsa_float_denorm_mode_32 3
		.amdhsa_float_denorm_mode_16_64 3
		.amdhsa_dx10_clamp 1
		.amdhsa_ieee_mode 1
		.amdhsa_fp16_overflow 0
		.amdhsa_exception_fp_ieee_invalid_op 0
		.amdhsa_exception_fp_denorm_src 0
		.amdhsa_exception_fp_ieee_div_zero 0
		.amdhsa_exception_fp_ieee_overflow 0
		.amdhsa_exception_fp_ieee_underflow 0
		.amdhsa_exception_fp_ieee_inexact 0
		.amdhsa_exception_int_div_zero 0
	.end_amdhsa_kernel
	.section	.text._ZN4vllm25paged_attention_v1_kernelIthLi192ELi32ELi128ELNS_18Fp8KVCacheDataTypeE1ELb1EEEvPT_PKS2_PKT0_S8_ifPKiSA_iPKfiiiSC_SC_iiiii,"axG",@progbits,_ZN4vllm25paged_attention_v1_kernelIthLi192ELi32ELi128ELNS_18Fp8KVCacheDataTypeE1ELb1EEEvPT_PKS2_PKT0_S8_ifPKiSA_iPKfiiiSC_SC_iiiii,comdat
.Lfunc_end261:
	.size	_ZN4vllm25paged_attention_v1_kernelIthLi192ELi32ELi128ELNS_18Fp8KVCacheDataTypeE1ELb1EEEvPT_PKS2_PKT0_S8_ifPKiSA_iPKfiiiSC_SC_iiiii, .Lfunc_end261-_ZN4vllm25paged_attention_v1_kernelIthLi192ELi32ELi128ELNS_18Fp8KVCacheDataTypeE1ELb1EEEvPT_PKS2_PKT0_S8_ifPKiSA_iPKfiiiSC_SC_iiiii
                                        ; -- End function
	.set _ZN4vllm25paged_attention_v1_kernelIthLi192ELi32ELi128ELNS_18Fp8KVCacheDataTypeE1ELb1EEEvPT_PKS2_PKT0_S8_ifPKiSA_iPKfiiiSC_SC_iiiii.num_vgpr, 64
	.set _ZN4vllm25paged_attention_v1_kernelIthLi192ELi32ELi128ELNS_18Fp8KVCacheDataTypeE1ELb1EEEvPT_PKS2_PKT0_S8_ifPKiSA_iPKfiiiSC_SC_iiiii.num_agpr, 0
	.set _ZN4vllm25paged_attention_v1_kernelIthLi192ELi32ELi128ELNS_18Fp8KVCacheDataTypeE1ELb1EEEvPT_PKS2_PKT0_S8_ifPKiSA_iPKfiiiSC_SC_iiiii.numbered_sgpr, 60
	.set _ZN4vllm25paged_attention_v1_kernelIthLi192ELi32ELi128ELNS_18Fp8KVCacheDataTypeE1ELb1EEEvPT_PKS2_PKT0_S8_ifPKiSA_iPKfiiiSC_SC_iiiii.num_named_barrier, 0
	.set _ZN4vllm25paged_attention_v1_kernelIthLi192ELi32ELi128ELNS_18Fp8KVCacheDataTypeE1ELb1EEEvPT_PKS2_PKT0_S8_ifPKiSA_iPKfiiiSC_SC_iiiii.private_seg_size, 412
	.set _ZN4vllm25paged_attention_v1_kernelIthLi192ELi32ELi128ELNS_18Fp8KVCacheDataTypeE1ELb1EEEvPT_PKS2_PKT0_S8_ifPKiSA_iPKfiiiSC_SC_iiiii.uses_vcc, 1
	.set _ZN4vllm25paged_attention_v1_kernelIthLi192ELi32ELi128ELNS_18Fp8KVCacheDataTypeE1ELb1EEEvPT_PKS2_PKT0_S8_ifPKiSA_iPKfiiiSC_SC_iiiii.uses_flat_scratch, 0
	.set _ZN4vllm25paged_attention_v1_kernelIthLi192ELi32ELi128ELNS_18Fp8KVCacheDataTypeE1ELb1EEEvPT_PKS2_PKT0_S8_ifPKiSA_iPKfiiiSC_SC_iiiii.has_dyn_sized_stack, 0
	.set _ZN4vllm25paged_attention_v1_kernelIthLi192ELi32ELi128ELNS_18Fp8KVCacheDataTypeE1ELb1EEEvPT_PKS2_PKT0_S8_ifPKiSA_iPKfiiiSC_SC_iiiii.has_recursion, 0
	.set _ZN4vllm25paged_attention_v1_kernelIthLi192ELi32ELi128ELNS_18Fp8KVCacheDataTypeE1ELb1EEEvPT_PKS2_PKT0_S8_ifPKiSA_iPKfiiiSC_SC_iiiii.has_indirect_call, 0
	.section	.AMDGPU.csdata,"",@progbits
; Kernel info:
; codeLenInByte = 49172
; TotalNumSgprs: 64
; NumVgprs: 64
; ScratchSize: 412
; MemoryBound: 0
; FloatMode: 240
; IeeeMode: 1
; LDSByteSize: 400 bytes/workgroup (compile time only)
; SGPRBlocks: 7
; VGPRBlocks: 15
; NumSGPRsForWavesPerEU: 64
; NumVGPRsForWavesPerEU: 64
; Occupancy: 4
; WaveLimiterHint : 1
; COMPUTE_PGM_RSRC2:SCRATCH_EN: 1
; COMPUTE_PGM_RSRC2:USER_SGPR: 6
; COMPUTE_PGM_RSRC2:TRAP_HANDLER: 0
; COMPUTE_PGM_RSRC2:TGID_X_EN: 1
; COMPUTE_PGM_RSRC2:TGID_Y_EN: 1
; COMPUTE_PGM_RSRC2:TGID_Z_EN: 1
; COMPUTE_PGM_RSRC2:TIDIG_COMP_CNT: 0
	.text
	.p2align	2                               ; -- Begin function _ZN4vllm22paged_attention_kernelIthLi256ELi32ELi128ELNS_18Fp8KVCacheDataTypeE1ELb1ELi0EEEvPfS2_PT_PKS3_PKT0_S9_ifPKiSB_iPKfiiiSD_SD_iiiii
	.type	_ZN4vllm22paged_attention_kernelIthLi256ELi32ELi128ELNS_18Fp8KVCacheDataTypeE1ELb1ELi0EEEvPfS2_PT_PKS3_PKT0_S9_ifPKiSB_iPKfiiiSD_SD_iiiii,@function
_ZN4vllm22paged_attention_kernelIthLi256ELi32ELi128ELNS_18Fp8KVCacheDataTypeE1ELb1ELi0EEEvPfS2_PT_PKS3_PKT0_S9_ifPKiSB_iPKfiiiSD_SD_iiiii: ; @_ZN4vllm22paged_attention_kernelIthLi256ELi32ELi128ELNS_18Fp8KVCacheDataTypeE1ELb1ELi0EEEvPfS2_PT_PKS3_PKT0_S9_ifPKiSB_iPKfiiiSD_SD_iiiii
; %bb.0:
	s_waitcnt vmcnt(0) expcnt(0) lgkmcnt(0)
	buffer_store_dword v40, off, s[0:3], s32 offset:60 ; 4-byte Folded Spill
	buffer_store_dword v41, off, s[0:3], s32 offset:56 ; 4-byte Folded Spill
	;; [unrolled: 1-line block ×15, first 2 shown]
	buffer_store_dword v63, off, s[0:3], s32 ; 4-byte Folded Spill
	s_mov_b32 s16, s13
	s_ashr_i32 s17, s13, 31
	s_lshl_b64 s[4:5], s[16:17], 2
	buffer_store_dword v18, off, s[0:3], s32 offset:432 ; 4-byte Folded Spill
	buffer_store_dword v11, off, s[0:3], s32 offset:672 ; 4-byte Folded Spill
	buffer_store_dword v10, off, s[0:3], s32 offset:676 ; 4-byte Folded Spill
	buffer_store_dword v9, off, s[0:3], s32 offset:660 ; 4-byte Folded Spill
	buffer_store_dword v1, off, s[0:3], s32 offset:680 ; 4-byte Folded Spill
	buffer_store_dword v0, off, s[0:3], s32 offset:684 ; 4-byte Folded Spill
	v_mov_b32_e32 v1, s5
	v_add_co_u32_e32 v0, vcc, s4, v12
	buffer_store_dword v22, off, s[0:3], s32 offset:64 ; 4-byte Folded Spill
	s_nop 0
	buffer_store_dword v23, off, s[0:3], s32 offset:68 ; 4-byte Folded Spill
	buffer_store_dword v20, off, s[0:3], s32 offset:632 ; 4-byte Folded Spill
	s_nop 0
	buffer_store_dword v21, off, s[0:3], s32 offset:636 ; 4-byte Folded Spill
	v_addc_co_u32_e32 v1, vcc, v13, v1, vcc
	flat_load_dword v30, v[0:1]
	v_mov_b32_e32 v29, v6
	v_sub_u32_e32 v6, 0, v8
	v_max_i32_e32 v6, v8, v6
	v_mov_b32_e32 v18, v7
	v_cvt_f32_u32_e32 v7, v6
	s_load_dword s4, s[8:9], 0x10
	s_load_dword s6, s[8:9], 0x0
	v_sub_u32_e32 v1, 0, v6
	v_rcp_iflag_f32_e32 v0, v7
	s_mov_b32 s20, s15
	s_waitcnt lgkmcnt(0)
	s_lshr_b32 s4, s4, 16
	s_cmp_lg_u32 s4, 0
	v_mul_f32_e32 v0, 0x4f7ffffe, v0
	v_cvt_u32_f32_e32 v0, v0
	s_cselect_b64 s[4:5], -1, 0
	s_cmp_lg_u64 s[4:5], 0
	s_addc_u32 s15, s6, 0
	v_mul_lo_u32 v1, v1, v0
	s_abs_i32 s4, s15
	s_abs_i32 s10, s12
	v_mul_hi_u32 v1, v0, v1
	v_add_u32_e32 v0, v0, v1
	v_mul_hi_u32 v0, s4, v0
	v_mul_lo_u32 v1, v0, v6
	v_add_u32_e32 v7, 1, v0
	v_sub_u32_e32 v1, s4, v1
	v_cmp_ge_u32_e32 vcc, v1, v6
	v_cndmask_b32_e32 v0, v0, v7, vcc
	v_sub_u32_e32 v7, v1, v6
	v_cndmask_b32_e32 v1, v1, v7, vcc
	v_add_u32_e32 v7, 1, v0
	v_cmp_ge_u32_e32 vcc, v1, v6
	v_xor_b32_e32 v1, s15, v8
	v_cndmask_b32_e32 v0, v0, v7, vcc
	v_ashrrev_i32_e32 v1, 31, v1
	v_xor_b32_e32 v0, v0, v1
	v_sub_u32_e32 v0, v0, v1
	v_sub_u32_e32 v1, 0, v0
	v_max_i32_e32 v1, v0, v1
	v_cvt_f32_u32_e32 v6, v1
	v_sub_u32_e32 v7, 0, v1
	v_cmp_ne_u64_e32 vcc, 0, v[15:16]
	v_rcp_iflag_f32_e32 v6, v6
	v_mul_f32_e32 v6, 0x4f7ffffe, v6
	v_cvt_u32_f32_e32 v6, v6
	v_mul_lo_u32 v7, v7, v6
	v_mul_hi_u32 v7, v6, v7
	v_add_u32_e32 v6, v6, v7
	v_mad_u64_u32 v[12:13], s[4:5], s10, v6, 0
	v_mov_b32_e32 v6, 0
	buffer_store_dword v6, off, s[0:3], s32 offset:656 ; 4-byte Folded Spill
	s_and_saveexec_b64 s[4:5], vcc
	s_cbranch_execz .LBB262_2
; %bb.1:
	s_ashr_i32 s13, s12, 31
	s_lshl_b64 s[6:7], s[12:13], 2
	v_mov_b32_e32 v7, s7
	v_add_co_u32_e32 v6, vcc, s6, v15
	v_addc_co_u32_e32 v7, vcc, v16, v7, vcc
	flat_load_dword v6, v[6:7]
	s_waitcnt vmcnt(0) lgkmcnt(0)
	buffer_store_dword v6, off, s[0:3], s32 offset:656 ; 4-byte Folded Spill
.LBB262_2:
	s_or_b64 exec, exec, s[4:5]
	v_and_b32_e32 v7, 0x3ff, v31
	s_ashr_i32 s11, s12, 31
	v_ashrrev_i32_e32 v6, 31, v0
	v_and_b32_e32 v0, 1, v31
	s_lshl_b32 s18, s12, 8
	v_cmp_gt_u32_e64 s[4:5], 64, v7
	v_lshlrev_b32_e32 v20, 3, v7
	buffer_store_dword v7, off, s[0:3], s32 offset:628 ; 4-byte Folded Spill
	s_and_saveexec_b64 s[6:7], s[4:5]
	s_cbranch_execz .LBB262_4
; %bb.3:
	v_mul_lo_u32 v9, v17, s16
	s_ashr_i32 s19, s18, 31
	s_lshl_b64 s[22:23], s[18:19], 1
	v_mov_b32_e32 v7, s23
	v_ashrrev_i32_e32 v10, 31, v9
	v_lshlrev_b64 v[9:10], 1, v[9:10]
	v_add_co_u32_e32 v2, vcc, v2, v9
	v_addc_co_u32_e32 v3, vcc, v3, v10, vcc
	v_add_co_u32_e32 v2, vcc, s22, v2
	v_addc_co_u32_e32 v3, vcc, v3, v7, vcc
	buffer_load_dword v7, off, s[0:3], s32 offset:628 ; 4-byte Folded Reload
	v_add_co_u32_e32 v2, vcc, v2, v20
	v_addc_co_u32_e32 v3, vcc, 0, v3, vcc
	flat_load_dwordx2 v[2:3], v[2:3]
	s_waitcnt vmcnt(0)
	v_lshlrev_b32_e32 v7, 2, v7
	v_and_b32_e32 v7, 0xff8, v7
	v_lshl_add_u32 v7, v0, 8, v7
	s_waitcnt lgkmcnt(0)
	ds_write_b64 v7, v[2:3]
.LBB262_4:
	s_or_b64 exec, exec, s[6:7]
	v_xor_b32_e32 v3, s11, v6
	v_sub_u32_e32 v6, 0, v27
	v_max_i32_e32 v10, v27, v6
	v_cvt_f32_u32_e32 v6, v10
	v_mul_lo_u32 v2, v13, v1
	v_add_u32_e32 v7, 1, v13
	buffer_store_dword v10, off, s[0:3], s32 offset:100 ; 4-byte Folded Spill
	v_rcp_iflag_f32_e32 v6, v6
	v_sub_u32_e32 v2, s10, v2
	v_cmp_ge_u32_e32 vcc, v2, v1
	v_sub_u32_e32 v9, v2, v1
	v_mul_f32_e32 v6, 0x4f7ffffe, v6
	v_cvt_u32_f32_e32 v6, v6
	v_cndmask_b32_e32 v2, v2, v9, vcc
	v_cndmask_b32_e32 v7, v13, v7, vcc
	v_cmp_ge_u32_e32 vcc, v2, v1
	v_sub_u32_e32 v2, 0, v10
	v_mul_lo_u32 v2, v2, v6
	v_add_u32_e32 v9, 1, v7
	v_cndmask_b32_e32 v1, v7, v9, vcc
	v_xor_b32_e32 v1, v1, v3
	v_sub_u32_e32 v12, v1, v3
	v_mul_hi_u32 v3, v6, v2
	s_waitcnt vmcnt(0)
	v_add_u32_e32 v2, -1, v30
	v_sub_u32_e32 v1, 0, v2
	v_max_i32_e32 v1, v2, v1
	v_add_u32_e32 v3, v6, v3
	v_mad_u64_u32 v[15:16], s[6:7], v1, v3, 0
	s_waitcnt lgkmcnt(0)
	buffer_store_dword v3, off, s[0:3], s32 offset:108 ; 4-byte Folded Spill
	v_cmp_gt_i32_e32 vcc, 0, v28
                                        ; implicit-def: $vgpr3
	s_waitcnt vmcnt(0)
	s_barrier
	buffer_store_dword v3, off, s[0:3], s32 offset:92 ; 4-byte Folded Spill
	s_nop 0
	buffer_store_dword v4, off, s[0:3], s32 offset:96 ; 4-byte Folded Spill
	s_and_saveexec_b64 s[6:7], vcc
	s_xor_b64 s[6:7], exec, s[6:7]
	s_cbranch_execz .LBB262_6
; %bb.5:
	v_mad_u64_u32 v[6:7], s[10:11], v24, v8, v[12:13]
                                        ; implicit-def: $vgpr24
	v_mul_lo_u32 v3, v6, v28
                                        ; implicit-def: $vgpr28
	v_sub_u32_e32 v3, 1, v3
	buffer_store_dword v3, off, s[0:3], s32 offset:92 ; 4-byte Folded Spill
	s_nop 0
	buffer_store_dword v4, off, s[0:3], s32 offset:96 ; 4-byte Folded Spill
.LBB262_6:
	s_or_saveexec_b64 s[6:7], s[6:7]
	v_ashrrev_i32_e32 v2, 31, v2
	v_ashrrev_i32_e32 v3, 31, v27
	buffer_store_dword v3, off, s[0:3], s32 offset:104 ; 4-byte Folded Spill
	s_xor_b64 exec, exec, s[6:7]
	s_cbranch_execz .LBB262_8
; %bb.7:
	v_mul_lo_u32 v3, s15, v24
	v_add_u32_e32 v3, s12, v3
	v_mad_u64_u32 v[6:7], s[10:11], v3, v28, 1
	buffer_store_dword v6, off, s[0:3], s32 offset:92 ; 4-byte Folded Spill
	s_nop 0
	buffer_store_dword v7, off, s[0:3], s32 offset:96 ; 4-byte Folded Spill
.LBB262_8:
	s_or_b64 exec, exec, s[6:7]
	buffer_load_dword v9, off, s[0:3], s32 offset:100 ; 4-byte Folded Reload
	s_load_dword s19, s[8:9], 0x14
	s_load_dword s17, s[8:9], 0x8
	buffer_load_dword v8, off, s[0:3], s32 offset:104 ; 4-byte Folded Reload
	v_mul_lo_u32 v6, v14, s16
	v_ashrrev_i32_e32 v7, 31, v6
	v_lshlrev_b64 v[14:15], 2, v[6:7]
	s_waitcnt vmcnt(1)
	v_mul_lo_u32 v3, v16, v9
	s_waitcnt vmcnt(0)
	v_xor_b32_e32 v2, v2, v8
	v_sub_u32_e32 v1, v1, v3
	v_add_u32_e32 v3, 1, v16
	v_cmp_ge_u32_e32 vcc, v1, v9
	v_sub_u32_e32 v8, v1, v9
	v_cndmask_b32_e32 v3, v16, v3, vcc
	v_cndmask_b32_e32 v1, v1, v8, vcc
	v_add_u32_e32 v8, 1, v3
	v_cmp_ge_u32_e32 vcc, v1, v9
	v_cndmask_b32_e32 v1, v3, v8, vcc
	v_xor_b32_e32 v1, v1, v2
	v_sub_u32_e32 v1, v1, v2
	v_add_u32_e32 v2, 31, v30
	v_ashrrev_i32_e32 v3, 31, v2
	v_lshrrev_b32_e32 v3, 27, v3
	v_add_u32_e32 v2, v2, v3
	v_ashrrev_i32_e32 v3, 5, v2
	buffer_load_dword v2, off, s[0:3], s32 offset:628 ; 4-byte Folded Reload
	v_mul_lo_u32 v16, v12, v19
	v_sub_u32_e32 v1, v1, v25
	buffer_store_dword v3, off, s[0:3], s32 offset:80 ; 4-byte Folded Spill
	v_mov_b32_e32 v9, 0xff7fffff
	buffer_store_dword v1, off, s[0:3], s32 offset:112 ; 4-byte Folded Spill
	v_ashrrev_i32_e32 v17, 31, v16
	v_sub_u32_e32 v19, 0, v26
	s_waitcnt vmcnt(2)
	v_lshrrev_b32_e32 v55, 6, v2
	v_cmp_ge_i32_e64 s[6:7], v55, v3
	v_cmp_lt_i32_e32 vcc, v55, v3
	v_lshlrev_b32_e32 v1, 5, v55
	v_lshrrev_b32_e32 v13, 4, v2
	v_mbcnt_lo_u32_b32 v3, -1, 0
	buffer_store_dword v1, off, s[0:3], s32 offset:84 ; 4-byte Folded Spill
	s_and_saveexec_b64 s[22:23], vcc
	s_cbranch_execz .LBB262_788
; %bb.9:
	buffer_store_dword v20, off, s[0:3], s32 offset:704 ; 4-byte Folded Spill
	buffer_store_dword v29, off, s[0:3], s32 offset:700 ; 4-byte Folded Spill
	;; [unrolled: 1-line block ×3, first 2 shown]
	buffer_load_dword v1, off, s[0:3], s32 offset:628 ; 4-byte Folded Reload
	s_ashr_i32 s21, s20, 31
	s_lshl_b64 s[10:11], s[20:21], 2
	v_add_co_u32_e32 v2, vcc, v4, v16
	s_getpc_b64 s[12:13]
	s_add_u32 s12, s12, llvm.amdgcn.dynlds.offset.table@rel32@lo+4
	s_addc_u32 s13, s13, llvm.amdgcn.dynlds.offset.table@rel32@hi+12
	v_mov_b32_e32 v7, v3
	v_addc_co_u32_e32 v3, vcc, v5, v17, vcc
	s_add_u32 s24, s12, s10
	buffer_store_dword v26, off, s[0:3], s32 offset:692 ; 4-byte Folded Spill
	buffer_store_dword v19, off, s[0:3], s32 offset:728 ; 4-byte Folded Spill
	v_max_i32_e32 v6, v26, v19
	s_addc_u32 s25, s13, s11
	s_load_dword s21, s[24:25], 0x0
	buffer_store_dword v16, off, s[0:3], s32 offset:720 ; 4-byte Folded Spill
	buffer_store_dword v17, off, s[0:3], s32 offset:724 ; 4-byte Folded Spill
	;; [unrolled: 1-line block ×3, first 2 shown]
	v_cmp_eq_u32_e64 s[8:9], 0, v0
	v_mov_b32_e32 v4, 0
	s_mov_b64 s[26:27], 0
	s_movk_i32 s44, 0x80
	s_movk_i32 s45, 0x7f
	s_mov_b32 s46, 0x8000
	s_mov_b32 s47, 0xffffff
	s_waitcnt vmcnt(5)
	v_bfe_u32 v8, v1, 1, 5
	v_lshlrev_b32_e32 v5, 4, v8
	v_add_co_u32_e32 v2, vcc, v2, v5
	v_addc_co_u32_e32 v3, vcc, 0, v3, vcc
	buffer_store_dword v2, off, s[0:3], s32 offset:644 ; 4-byte Folded Spill
	s_nop 0
	buffer_store_dword v3, off, s[0:3], s32 offset:648 ; 4-byte Folded Spill
	v_lshlrev_b32_e32 v5, 2, v0
	v_mov_b32_e32 v3, v55
	v_lshlrev_b32_e32 v55, 8, v0
	buffer_load_dword v0, off, s[0:3], s32 offset:656 ; 4-byte Folded Reload
	v_cvt_f32_u32_e32 v1, v6
	v_sub_u32_e32 v6, 0, v6
	buffer_store_dword v5, off, s[0:3], s32 offset:72 ; 4-byte Folded Spill
	v_lshlrev_b32_e32 v56, 5, v3
	v_rcp_iflag_f32_e32 v1, v1
	v_mul_f32_e32 v1, 0x4f7ffffe, v1
	v_cvt_u32_f32_e32 v1, v1
	v_mul_lo_u32 v6, v6, v1
	v_mul_hi_u32 v2, v1, v6
	s_waitcnt vmcnt(1)
	v_cmp_neq_f32_e64 s[10:11], 0, v0
	v_or_b32_e32 v0, 8, v5
	buffer_store_dword v0, off, s[0:3], s32 offset:76 ; 4-byte Folded Spill
	v_add_u32_e32 v0, v1, v2
	buffer_store_dword v0, off, s[0:3], s32 offset:440 ; 4-byte Folded Spill
	v_lshlrev_b32_e32 v0, 2, v8
	v_lshl_or_b32 v0, v3, 7, v0
	buffer_store_dword v0, off, s[0:3], s32 offset:88 ; 4-byte Folded Spill
	buffer_store_dword v8, off, s[0:3], s32 offset:664 ; 4-byte Folded Spill
	v_sub_u32_e32 v0, v8, v30
	v_add_u32_e32 v0, 1, v0
	buffer_store_dword v0, off, s[0:3], s32 offset:668 ; 4-byte Folded Spill
	buffer_store_dword v13, off, s[0:3], s32 offset:708 ; 4-byte Folded Spill
	v_and_b32_e32 v0, 60, v13
	v_add_co_u32_e32 v0, vcc, v0, v14
	buffer_store_dword v14, off, s[0:3], s32 offset:712 ; 4-byte Folded Spill
	s_nop 0
	buffer_store_dword v15, off, s[0:3], s32 offset:716 ; 4-byte Folded Spill
	buffer_load_dword v2, off, s[0:3], s32 offset:676 ; 4-byte Folded Reload
	v_addc_co_u32_e32 v1, vcc, 0, v15, vcc
	s_waitcnt vmcnt(0)
	v_add_co_u32_e32 v16, vcc, v2, v0
	buffer_load_dword v0, off, s[0:3], s32 offset:672 ; 4-byte Folded Reload
	s_waitcnt vmcnt(0)
	v_addc_co_u32_e32 v17, vcc, v0, v1, vcc
	v_mbcnt_hi_u32_b32 v0, -1, v7
	buffer_store_dword v0, off, s[0:3], s32 offset:652 ; 4-byte Folded Spill
	v_mov_b32_e32 v0, 0xff7fffff
	buffer_store_dword v0, off, s[0:3], s32 offset:640 ; 4-byte Folded Spill
	buffer_store_dword v3, off, s[0:3], s32 offset:688 ; 4-byte Folded Spill
	s_branch .LBB262_12
.LBB262_10:                             ;   in Loop: Header=BB262_12 Depth=1
	s_or_b64 exec, exec, s[28:29]
.LBB262_11:                             ;   in Loop: Header=BB262_12 Depth=1
	s_or_b64 exec, exec, s[12:13]
	buffer_load_dword v0, off, s[0:3], s32 offset:88 ; 4-byte Folded Reload
	buffer_load_dword v3, off, s[0:3], s32 offset:116 ; 4-byte Folded Reload
	v_add_u32_e32 v56, 64, v56
	s_waitcnt vmcnt(1)
	v_add_u32_e32 v0, 0x100, v0
	buffer_store_dword v0, off, s[0:3], s32 offset:88 ; 4-byte Folded Spill
	buffer_load_dword v0, off, s[0:3], s32 offset:80 ; 4-byte Folded Reload
	s_waitcnt vmcnt(2)
	v_add_u32_e32 v3, 2, v3
	s_waitcnt vmcnt(0)
	v_cmp_ge_i32_e32 vcc, v3, v0
	s_or_b64 s[26:27], vcc, s[26:27]
	v_add_co_u32_e32 v16, vcc, 8, v16
	v_addc_co_u32_e32 v17, vcc, 0, v17, vcc
	s_andn2_b64 exec, exec, s[26:27]
	s_cbranch_execz .LBB262_787
.LBB262_12:                             ; =>This Inner Loop Header: Depth=1
	buffer_load_dword v0, off, s[0:3], s32 offset:108 ; 4-byte Folded Reload
	s_nop 0
	buffer_store_dword v3, off, s[0:3], s32 offset:116 ; 4-byte Folded Spill
	buffer_load_dword v3, off, s[0:3], s32 offset:100 ; 4-byte Folded Reload
	s_waitcnt vmcnt(2)
	v_mul_hi_u32 v0, v56, v0
	s_waitcnt vmcnt(0) lgkmcnt(0)
	v_mul_lo_u32 v1, v0, v3
	v_add_u32_e32 v2, 1, v0
	v_sub_u32_e32 v1, v56, v1
	v_cmp_ge_u32_e32 vcc, v1, v3
	v_cndmask_b32_e32 v0, v0, v2, vcc
	v_sub_u32_e32 v2, v1, v3
	v_cndmask_b32_e32 v1, v1, v2, vcc
	v_cmp_ge_u32_e32 vcc, v1, v3
	buffer_load_dword v1, off, s[0:3], s32 offset:104 ; 4-byte Folded Reload
	v_add_u32_e32 v2, 1, v0
	v_cndmask_b32_e32 v0, v0, v2, vcc
	s_waitcnt vmcnt(0)
	v_xor_b32_e32 v0, v0, v1
	v_sub_u32_e32 v0, v0, v1
	buffer_load_dword v1, off, s[0:3], s32 offset:92 ; 4-byte Folded Reload
	buffer_load_dword v2, off, s[0:3], s32 offset:96 ; 4-byte Folded Reload
	;; [unrolled: 1-line block ×4, first 2 shown]
	s_waitcnt vmcnt(3)
	v_add_u32_e32 v1, v0, v1
	s_waitcnt vmcnt(2)
	v_sub_u32_e32 v2, 0, v1
	v_max_i32_e32 v2, v1, v2
	s_waitcnt vmcnt(1)
	v_mul_hi_u32 v3, v2, v3
	v_ashrrev_i32_e32 v1, 31, v1
	s_waitcnt vmcnt(0)
	v_mul_lo_u32 v3, v3, v5
	v_sub_u32_e32 v2, v2, v3
	v_sub_u32_e32 v3, v2, v5
	v_cmp_ge_u32_e32 vcc, v2, v5
	v_cndmask_b32_e32 v2, v2, v3, vcc
	v_sub_u32_e32 v3, v2, v5
	v_cmp_ge_u32_e32 vcc, v2, v5
	v_cndmask_b32_e32 v2, v2, v3, vcc
	v_xor_b32_e32 v2, v2, v1
	v_sub_u32_e32 v1, v2, v1
	v_cmp_ne_u32_e32 vcc, 0, v1
	buffer_load_dword v1, off, s[0:3], s32 offset:112 ; 4-byte Folded Reload
	s_waitcnt vmcnt(0)
	v_cmp_le_i32_e64 s[12:13], v0, v1
	s_and_b64 s[12:13], vcc, s[12:13]
	s_and_saveexec_b64 s[28:29], s[12:13]
	s_xor_b64 s[12:13], exec, s[28:29]
	s_cbranch_execz .LBB262_16
; %bb.13:                               ;   in Loop: Header=BB262_12 Depth=1
	s_and_saveexec_b64 s[28:29], s[8:9]
	s_cbranch_execz .LBB262_15
; %bb.14:                               ;   in Loop: Header=BB262_12 Depth=1
	buffer_load_dword v0, off, s[0:3], s32 offset:88 ; 4-byte Folded Reload
	v_mov_b32_e32 v1, 0xff7fffff
	s_waitcnt vmcnt(0) lgkmcnt(0)
	v_add_u32_e32 v0, s21, v0
	ds_write_b32 v0, v1
.LBB262_15:                             ;   in Loop: Header=BB262_12 Depth=1
	s_or_b64 exec, exec, s[28:29]
.LBB262_16:                             ;   in Loop: Header=BB262_12 Depth=1
	s_andn2_saveexec_b64 s[12:13], s[12:13]
	s_cbranch_execz .LBB262_11
; %bb.17:                               ;   in Loop: Header=BB262_12 Depth=1
	flat_load_dword v0, v[16:17]
	buffer_load_dword v1, off, s[0:3], s32 offset:432 ; 4-byte Folded Reload
	buffer_load_dword v2, off, s[0:3], s32 offset:644 ; 4-byte Folded Reload
	;; [unrolled: 1-line block ×3, first 2 shown]
	v_mov_b32_e32 v42, 0
	v_mov_b32_e32 v57, 0
	s_waitcnt vmcnt(0) lgkmcnt(0)
	v_mad_i64_i32 v[24:25], s[28:29], v0, v1, v[2:3]
	buffer_load_dword v0, off, s[0:3], s32 offset:72 ; 4-byte Folded Reload
	s_waitcnt vmcnt(0)
	v_add_co_u32_e32 v27, vcc, v24, v0
	v_addc_co_u32_e32 v28, vcc, 0, v25, vcc
	flat_load_dword v5, v[27:28]
	buffer_load_dword v0, off, s[0:3], s32 offset:632 ; 4-byte Folded Reload
	buffer_load_dword v1, off, s[0:3], s32 offset:636 ; 4-byte Folded Reload
	s_waitcnt vmcnt(0) lgkmcnt(0)
	v_cmp_ne_u16_sdwa s[40:41], v5, v4 src0_sel:BYTE_0 src1_sel:DWORD
	flat_load_dword v0, v[0:1]
	s_and_saveexec_b64 s[28:29], s[40:41]
	s_cbranch_execz .LBB262_23
; %bb.18:                               ;   in Loop: Header=BB262_12 Depth=1
	v_cmp_ne_u16_sdwa s[42:43], v5, s44 src0_sel:BYTE_0 src1_sel:DWORD
	v_mov_b32_e32 v57, 0x8000
	s_and_saveexec_b64 s[40:41], s[42:43]
	s_cbranch_execz .LBB262_22
; %bb.19:                               ;   in Loop: Header=BB262_12 Depth=1
	v_and_b32_e32 v1, 0x7f, v5
	v_cmp_ne_u32_e32 vcc, s45, v1
	v_mov_b32_e32 v57, 0x7c01
	s_and_saveexec_b64 s[42:43], vcc
	s_cbranch_execz .LBB262_21
; %bb.20:                               ;   in Loop: Header=BB262_12 Depth=1
	v_and_b32_e32 v3, 7, v5
	v_lshrrev_b32_e32 v6, 3, v1
	v_cmp_gt_u32_e32 vcc, 8, v1
	v_ffbh_u32_e32 v1, v3
	v_min_u32_e32 v7, 32, v1
	v_subrev_u32_e32 v1, 28, v7
	v_lshlrev_b64 v[1:2], v1, v[5:6]
	v_sub_u32_e32 v2, 29, v7
	v_cndmask_b32_e32 v2, v6, v2, vcc
	v_mov_b32_e32 v7, 0x2000
	v_lshl_add_u32 v2, v2, 10, v7
	v_lshlrev_b32_e32 v6, 8, v5
	v_and_b32_e32 v1, 7, v1
	v_and_b32_e32 v2, 0xfc00, v2
	v_cndmask_b32_e32 v1, v3, v1, vcc
	v_and_or_b32 v2, v6, s46, v2
	v_lshl_or_b32 v57, v1, 7, v2
.LBB262_21:                             ;   in Loop: Header=BB262_12 Depth=1
	s_or_b64 exec, exec, s[42:43]
.LBB262_22:                             ;   in Loop: Header=BB262_12 Depth=1
	s_or_b64 exec, exec, s[40:41]
.LBB262_23:                             ;   in Loop: Header=BB262_12 Depth=1
	s_or_b64 exec, exec, s[28:29]
	v_lshrrev_b16_e32 v3, 8, v5
	v_cmp_ne_u16_e32 vcc, 0, v3
	s_and_saveexec_b64 s[28:29], vcc
	s_cbranch_execz .LBB262_29
; %bb.24:                               ;   in Loop: Header=BB262_12 Depth=1
	v_cmp_ne_u16_e32 vcc, s44, v3
	v_bfrev_b32_e32 v42, 1
	s_and_saveexec_b64 s[40:41], vcc
	s_cbranch_execz .LBB262_28
; %bb.25:                               ;   in Loop: Header=BB262_12 Depth=1
	v_and_b32_e32 v1, 0x7f, v3
	v_cmp_ne_u32_e32 vcc, s45, v1
	v_mov_b32_e32 v42, 0x7c010000
	s_and_saveexec_b64 s[42:43], vcc
	s_cbranch_execz .LBB262_27
; %bb.26:                               ;   in Loop: Header=BB262_12 Depth=1
	v_and_b32_e32 v6, 7, v3
	v_lshrrev_b32_e32 v7, 3, v1
	v_cmp_gt_u32_e32 vcc, 8, v1
	v_ffbh_u32_e32 v1, v6
	v_min_u32_e32 v8, 32, v1
	v_subrev_u32_e32 v1, 28, v8
	v_lshlrev_b64 v[1:2], v1, v[3:4]
	v_sub_u32_e32 v2, 29, v8
	v_cndmask_b32_e32 v2, v7, v2, vcc
	v_mov_b32_e32 v7, 0x2000
	v_lshlrev_b32_e32 v3, 8, v3
	v_lshl_add_u32 v2, v2, 10, v7
	v_and_b32_e32 v1, 7, v1
	v_and_or_b32 v2, v3, s46, v2
	v_cndmask_b32_e32 v1, v6, v1, vcc
	v_lshlrev_b32_e32 v2, 16, v2
	v_lshl_or_b32 v42, v1, 23, v2
.LBB262_27:                             ;   in Loop: Header=BB262_12 Depth=1
	s_or_b64 exec, exec, s[42:43]
.LBB262_28:                             ;   in Loop: Header=BB262_12 Depth=1
	s_or_b64 exec, exec, s[40:41]
.LBB262_29:                             ;   in Loop: Header=BB262_12 Depth=1
	s_or_b64 exec, exec, s[28:29]
	v_lshrrev_b32_e32 v3, 16, v5
	v_cmp_ne_u16_sdwa s[40:41], v3, v4 src0_sel:BYTE_0 src1_sel:DWORD
	v_mov_b32_e32 v13, 0
	v_mov_b32_e32 v1, 0
	buffer_store_dword v1, off, s[0:3], s32 offset:120 ; 4-byte Folded Spill
	s_and_saveexec_b64 s[28:29], s[40:41]
	s_cbranch_execz .LBB262_35
; %bb.30:                               ;   in Loop: Header=BB262_12 Depth=1
	v_cmp_ne_u16_sdwa s[42:43], v3, s44 src0_sel:BYTE_0 src1_sel:DWORD
	v_mov_b32_e32 v1, 0x8000
	buffer_store_dword v1, off, s[0:3], s32 offset:120 ; 4-byte Folded Spill
	s_and_saveexec_b64 s[40:41], s[42:43]
	s_cbranch_execz .LBB262_34
; %bb.31:                               ;   in Loop: Header=BB262_12 Depth=1
	v_bfe_u32 v1, v5, 16, 7
	v_cmp_ne_u32_e32 vcc, s45, v1
	v_mov_b32_e32 v2, 0x7c01
	buffer_store_dword v2, off, s[0:3], s32 offset:120 ; 4-byte Folded Spill
	s_and_saveexec_b64 s[42:43], vcc
	s_cbranch_execz .LBB262_33
; %bb.32:                               ;   in Loop: Header=BB262_12 Depth=1
	v_and_b32_e32 v6, 7, v3
	v_lshrrev_b32_e32 v7, 3, v1
	v_cmp_gt_u32_e32 vcc, 8, v1
	v_ffbh_u32_e32 v1, v6
	v_min_u32_e32 v8, 32, v1
	v_subrev_u32_e32 v1, 28, v8
	v_lshlrev_b64 v[1:2], v1, v[3:4]
	v_sub_u32_e32 v2, 29, v8
	v_cndmask_b32_e32 v2, v7, v2, vcc
	v_mov_b32_e32 v7, 0x2000
	v_lshl_add_u32 v2, v2, 10, v7
	v_lshlrev_b32_e32 v3, 8, v3
	v_and_b32_e32 v1, 7, v1
	v_and_b32_e32 v2, 0xfc00, v2
	v_cndmask_b32_e32 v1, v6, v1, vcc
	v_and_or_b32 v2, v3, s46, v2
	v_lshl_or_b32 v1, v1, 7, v2
	buffer_store_dword v1, off, s[0:3], s32 offset:120 ; 4-byte Folded Spill
.LBB262_33:                             ;   in Loop: Header=BB262_12 Depth=1
	s_or_b64 exec, exec, s[42:43]
.LBB262_34:                             ;   in Loop: Header=BB262_12 Depth=1
	s_or_b64 exec, exec, s[40:41]
.LBB262_35:                             ;   in Loop: Header=BB262_12 Depth=1
	s_or_b64 exec, exec, s[28:29]
	v_cmp_lt_u32_e32 vcc, s47, v5
	s_and_saveexec_b64 s[28:29], vcc
	s_cbranch_execz .LBB262_41
; %bb.36:                               ;   in Loop: Header=BB262_12 Depth=1
	v_lshrrev_b32_e32 v3, 24, v5
	v_cmp_ne_u32_e32 vcc, s44, v3
	v_bfrev_b32_e32 v13, 1
	s_and_saveexec_b64 s[40:41], vcc
	s_cbranch_execz .LBB262_40
; %bb.37:                               ;   in Loop: Header=BB262_12 Depth=1
	v_and_b32_e32 v1, 0x7f, v3
	v_cmp_ne_u32_e32 vcc, s45, v1
	v_mov_b32_e32 v13, 0x7c010000
	s_and_saveexec_b64 s[42:43], vcc
	s_cbranch_execz .LBB262_39
; %bb.38:                               ;   in Loop: Header=BB262_12 Depth=1
	v_and_b32_e32 v5, 7, v3
	v_lshrrev_b32_e32 v6, 3, v1
	v_cmp_gt_u32_e32 vcc, 8, v1
	v_ffbh_u32_e32 v1, v5
	v_min_u32_e32 v7, 32, v1
	v_subrev_u32_e32 v1, 28, v7
	v_lshlrev_b64 v[1:2], v1, v[3:4]
	v_sub_u32_e32 v2, 29, v7
	v_cndmask_b32_e32 v2, v6, v2, vcc
	v_mov_b32_e32 v6, 0x2000
	v_lshlrev_b32_e32 v3, 8, v3
	v_lshl_add_u32 v2, v2, 10, v6
	v_and_b32_e32 v1, 7, v1
	v_and_or_b32 v2, v3, s46, v2
	v_cndmask_b32_e32 v1, v5, v1, vcc
	v_lshlrev_b32_e32 v2, 16, v2
	v_lshl_or_b32 v13, v1, 23, v2
.LBB262_39:                             ;   in Loop: Header=BB262_12 Depth=1
	s_or_b64 exec, exec, s[42:43]
.LBB262_40:                             ;   in Loop: Header=BB262_12 Depth=1
	s_or_b64 exec, exec, s[40:41]
.LBB262_41:                             ;   in Loop: Header=BB262_12 Depth=1
	s_or_b64 exec, exec, s[28:29]
	flat_load_dword v5, v[27:28] offset:8
	v_mov_b32_e32 v1, 0
	buffer_store_dword v1, off, s[0:3], s32 offset:124 ; 4-byte Folded Spill
	v_mov_b32_e32 v1, 0
	buffer_store_dword v1, off, s[0:3], s32 offset:128 ; 4-byte Folded Spill
	s_waitcnt vmcnt(0) lgkmcnt(0)
	v_cmp_ne_u16_sdwa s[40:41], v5, v4 src0_sel:BYTE_0 src1_sel:DWORD
	s_and_saveexec_b64 s[28:29], s[40:41]
	s_cbranch_execz .LBB262_47
; %bb.42:                               ;   in Loop: Header=BB262_12 Depth=1
	v_cmp_ne_u16_sdwa s[42:43], v5, s44 src0_sel:BYTE_0 src1_sel:DWORD
	v_mov_b32_e32 v1, 0x8000
	buffer_store_dword v1, off, s[0:3], s32 offset:128 ; 4-byte Folded Spill
	s_and_saveexec_b64 s[40:41], s[42:43]
	s_cbranch_execz .LBB262_46
; %bb.43:                               ;   in Loop: Header=BB262_12 Depth=1
	v_and_b32_e32 v1, 0x7f, v5
	v_cmp_ne_u32_e32 vcc, s45, v1
	v_mov_b32_e32 v2, 0x7c01
	buffer_store_dword v2, off, s[0:3], s32 offset:128 ; 4-byte Folded Spill
	s_and_saveexec_b64 s[42:43], vcc
	s_cbranch_execz .LBB262_45
; %bb.44:                               ;   in Loop: Header=BB262_12 Depth=1
	v_and_b32_e32 v3, 7, v5
	v_lshrrev_b32_e32 v6, 3, v1
	v_cmp_gt_u32_e32 vcc, 8, v1
	v_ffbh_u32_e32 v1, v3
	v_min_u32_e32 v7, 32, v1
	v_subrev_u32_e32 v1, 28, v7
	v_lshlrev_b64 v[1:2], v1, v[5:6]
	v_sub_u32_e32 v2, 29, v7
	v_cndmask_b32_e32 v2, v6, v2, vcc
	v_mov_b32_e32 v7, 0x2000
	v_lshl_add_u32 v2, v2, 10, v7
	v_lshlrev_b32_e32 v6, 8, v5
	v_and_b32_e32 v1, 7, v1
	v_and_b32_e32 v2, 0xfc00, v2
	v_cndmask_b32_e32 v1, v3, v1, vcc
	v_and_or_b32 v2, v6, s46, v2
	v_lshl_or_b32 v1, v1, 7, v2
	buffer_store_dword v1, off, s[0:3], s32 offset:128 ; 4-byte Folded Spill
.LBB262_45:                             ;   in Loop: Header=BB262_12 Depth=1
	s_or_b64 exec, exec, s[42:43]
.LBB262_46:                             ;   in Loop: Header=BB262_12 Depth=1
	s_or_b64 exec, exec, s[40:41]
.LBB262_47:                             ;   in Loop: Header=BB262_12 Depth=1
	s_or_b64 exec, exec, s[28:29]
	v_lshrrev_b16_e32 v3, 8, v5
	v_cmp_ne_u16_e32 vcc, 0, v3
	s_and_saveexec_b64 s[28:29], vcc
	s_cbranch_execz .LBB262_53
; %bb.48:                               ;   in Loop: Header=BB262_12 Depth=1
	v_cmp_ne_u16_e32 vcc, s44, v3
	v_bfrev_b32_e32 v1, 1
	buffer_store_dword v1, off, s[0:3], s32 offset:124 ; 4-byte Folded Spill
	s_and_saveexec_b64 s[40:41], vcc
	s_cbranch_execz .LBB262_52
; %bb.49:                               ;   in Loop: Header=BB262_12 Depth=1
	v_and_b32_e32 v1, 0x7f, v3
	v_cmp_ne_u32_e32 vcc, s45, v1
	v_mov_b32_e32 v2, 0x7c010000
	buffer_store_dword v2, off, s[0:3], s32 offset:124 ; 4-byte Folded Spill
	s_and_saveexec_b64 s[42:43], vcc
	s_cbranch_execz .LBB262_51
; %bb.50:                               ;   in Loop: Header=BB262_12 Depth=1
	v_and_b32_e32 v6, 7, v3
	v_lshrrev_b32_e32 v7, 3, v1
	v_cmp_gt_u32_e32 vcc, 8, v1
	v_ffbh_u32_e32 v1, v6
	v_min_u32_e32 v8, 32, v1
	v_subrev_u32_e32 v1, 28, v8
	v_lshlrev_b64 v[1:2], v1, v[3:4]
	v_sub_u32_e32 v2, 29, v8
	v_cndmask_b32_e32 v2, v7, v2, vcc
	v_mov_b32_e32 v7, 0x2000
	v_lshlrev_b32_e32 v3, 8, v3
	v_lshl_add_u32 v2, v2, 10, v7
	v_and_b32_e32 v1, 7, v1
	v_and_or_b32 v2, v3, s46, v2
	v_cndmask_b32_e32 v1, v6, v1, vcc
	v_lshlrev_b32_e32 v2, 16, v2
	v_lshl_or_b32 v1, v1, 23, v2
	buffer_store_dword v1, off, s[0:3], s32 offset:124 ; 4-byte Folded Spill
.LBB262_51:                             ;   in Loop: Header=BB262_12 Depth=1
	s_or_b64 exec, exec, s[42:43]
.LBB262_52:                             ;   in Loop: Header=BB262_12 Depth=1
	s_or_b64 exec, exec, s[40:41]
.LBB262_53:                             ;   in Loop: Header=BB262_12 Depth=1
	s_or_b64 exec, exec, s[28:29]
	v_lshrrev_b32_e32 v3, 16, v5
	v_mov_b32_e32 v1, 0
	v_cmp_ne_u16_sdwa s[40:41], v3, v4 src0_sel:BYTE_0 src1_sel:DWORD
	buffer_store_dword v1, off, s[0:3], s32 offset:132 ; 4-byte Folded Spill
	v_mov_b32_e32 v1, 0
	buffer_store_dword v1, off, s[0:3], s32 offset:136 ; 4-byte Folded Spill
	s_and_saveexec_b64 s[28:29], s[40:41]
	s_cbranch_execz .LBB262_59
; %bb.54:                               ;   in Loop: Header=BB262_12 Depth=1
	v_cmp_ne_u16_sdwa s[42:43], v3, s44 src0_sel:BYTE_0 src1_sel:DWORD
	v_mov_b32_e32 v1, 0x8000
	buffer_store_dword v1, off, s[0:3], s32 offset:136 ; 4-byte Folded Spill
	s_and_saveexec_b64 s[40:41], s[42:43]
	s_cbranch_execz .LBB262_58
; %bb.55:                               ;   in Loop: Header=BB262_12 Depth=1
	v_bfe_u32 v1, v5, 16, 7
	v_cmp_ne_u32_e32 vcc, s45, v1
	v_mov_b32_e32 v2, 0x7c01
	buffer_store_dword v2, off, s[0:3], s32 offset:136 ; 4-byte Folded Spill
	s_and_saveexec_b64 s[42:43], vcc
	s_cbranch_execz .LBB262_57
; %bb.56:                               ;   in Loop: Header=BB262_12 Depth=1
	v_and_b32_e32 v6, 7, v3
	v_lshrrev_b32_e32 v7, 3, v1
	v_cmp_gt_u32_e32 vcc, 8, v1
	v_ffbh_u32_e32 v1, v6
	v_min_u32_e32 v8, 32, v1
	v_subrev_u32_e32 v1, 28, v8
	v_lshlrev_b64 v[1:2], v1, v[3:4]
	v_sub_u32_e32 v2, 29, v8
	v_cndmask_b32_e32 v2, v7, v2, vcc
	v_mov_b32_e32 v7, 0x2000
	v_lshl_add_u32 v2, v2, 10, v7
	v_lshlrev_b32_e32 v3, 8, v3
	v_and_b32_e32 v1, 7, v1
	v_and_b32_e32 v2, 0xfc00, v2
	v_cndmask_b32_e32 v1, v6, v1, vcc
	v_and_or_b32 v2, v3, s46, v2
	v_lshl_or_b32 v1, v1, 7, v2
	buffer_store_dword v1, off, s[0:3], s32 offset:136 ; 4-byte Folded Spill
.LBB262_57:                             ;   in Loop: Header=BB262_12 Depth=1
	s_or_b64 exec, exec, s[42:43]
.LBB262_58:                             ;   in Loop: Header=BB262_12 Depth=1
	s_or_b64 exec, exec, s[40:41]
.LBB262_59:                             ;   in Loop: Header=BB262_12 Depth=1
	s_or_b64 exec, exec, s[28:29]
	v_cmp_lt_u32_e32 vcc, s47, v5
	s_and_saveexec_b64 s[28:29], vcc
	s_cbranch_execz .LBB262_65
; %bb.60:                               ;   in Loop: Header=BB262_12 Depth=1
	v_lshrrev_b32_e32 v3, 24, v5
	v_cmp_ne_u32_e32 vcc, s44, v3
	v_bfrev_b32_e32 v1, 1
	buffer_store_dword v1, off, s[0:3], s32 offset:132 ; 4-byte Folded Spill
	s_and_saveexec_b64 s[40:41], vcc
	s_cbranch_execz .LBB262_64
; %bb.61:                               ;   in Loop: Header=BB262_12 Depth=1
	v_and_b32_e32 v1, 0x7f, v3
	v_cmp_ne_u32_e32 vcc, s45, v1
	v_mov_b32_e32 v2, 0x7c010000
	buffer_store_dword v2, off, s[0:3], s32 offset:132 ; 4-byte Folded Spill
	s_and_saveexec_b64 s[42:43], vcc
	s_cbranch_execz .LBB262_63
; %bb.62:                               ;   in Loop: Header=BB262_12 Depth=1
	v_and_b32_e32 v5, 7, v3
	v_lshrrev_b32_e32 v6, 3, v1
	v_cmp_gt_u32_e32 vcc, 8, v1
	v_ffbh_u32_e32 v1, v5
	v_min_u32_e32 v7, 32, v1
	v_subrev_u32_e32 v1, 28, v7
	v_lshlrev_b64 v[1:2], v1, v[3:4]
	v_sub_u32_e32 v2, 29, v7
	v_cndmask_b32_e32 v2, v6, v2, vcc
	v_mov_b32_e32 v6, 0x2000
	v_lshlrev_b32_e32 v3, 8, v3
	v_lshl_add_u32 v2, v2, 10, v6
	v_and_b32_e32 v1, 7, v1
	v_and_or_b32 v2, v3, s46, v2
	v_cndmask_b32_e32 v1, v5, v1, vcc
	v_lshlrev_b32_e32 v2, 16, v2
	v_lshl_or_b32 v1, v1, 23, v2
	buffer_store_dword v1, off, s[0:3], s32 offset:132 ; 4-byte Folded Spill
.LBB262_63:                             ;   in Loop: Header=BB262_12 Depth=1
	s_or_b64 exec, exec, s[42:43]
.LBB262_64:                             ;   in Loop: Header=BB262_12 Depth=1
	s_or_b64 exec, exec, s[40:41]
.LBB262_65:                             ;   in Loop: Header=BB262_12 Depth=1
	s_or_b64 exec, exec, s[28:29]
	flat_load_dword v5, v[27:28] offset:512
	v_mov_b32_e32 v1, 0
	buffer_store_dword v1, off, s[0:3], s32 offset:140 ; 4-byte Folded Spill
	v_mov_b32_e32 v1, 0
	buffer_store_dword v1, off, s[0:3], s32 offset:144 ; 4-byte Folded Spill
	s_waitcnt vmcnt(0) lgkmcnt(0)
	v_cmp_ne_u16_sdwa s[40:41], v5, v4 src0_sel:BYTE_0 src1_sel:DWORD
	s_and_saveexec_b64 s[28:29], s[40:41]
	s_cbranch_execz .LBB262_71
; %bb.66:                               ;   in Loop: Header=BB262_12 Depth=1
	v_cmp_ne_u16_sdwa s[42:43], v5, s44 src0_sel:BYTE_0 src1_sel:DWORD
	v_mov_b32_e32 v1, 0x8000
	buffer_store_dword v1, off, s[0:3], s32 offset:144 ; 4-byte Folded Spill
	s_and_saveexec_b64 s[40:41], s[42:43]
	s_cbranch_execz .LBB262_70
; %bb.67:                               ;   in Loop: Header=BB262_12 Depth=1
	v_and_b32_e32 v1, 0x7f, v5
	v_cmp_ne_u32_e32 vcc, s45, v1
	v_mov_b32_e32 v2, 0x7c01
	buffer_store_dword v2, off, s[0:3], s32 offset:144 ; 4-byte Folded Spill
	s_and_saveexec_b64 s[42:43], vcc
	s_cbranch_execz .LBB262_69
; %bb.68:                               ;   in Loop: Header=BB262_12 Depth=1
	v_and_b32_e32 v3, 7, v5
	v_lshrrev_b32_e32 v6, 3, v1
	v_cmp_gt_u32_e32 vcc, 8, v1
	v_ffbh_u32_e32 v1, v3
	v_min_u32_e32 v7, 32, v1
	v_subrev_u32_e32 v1, 28, v7
	v_lshlrev_b64 v[1:2], v1, v[5:6]
	v_sub_u32_e32 v2, 29, v7
	v_cndmask_b32_e32 v2, v6, v2, vcc
	v_mov_b32_e32 v7, 0x2000
	v_lshl_add_u32 v2, v2, 10, v7
	v_lshlrev_b32_e32 v6, 8, v5
	v_and_b32_e32 v1, 7, v1
	v_and_b32_e32 v2, 0xfc00, v2
	v_cndmask_b32_e32 v1, v3, v1, vcc
	v_and_or_b32 v2, v6, s46, v2
	v_lshl_or_b32 v1, v1, 7, v2
	buffer_store_dword v1, off, s[0:3], s32 offset:144 ; 4-byte Folded Spill
.LBB262_69:                             ;   in Loop: Header=BB262_12 Depth=1
	s_or_b64 exec, exec, s[42:43]
.LBB262_70:                             ;   in Loop: Header=BB262_12 Depth=1
	s_or_b64 exec, exec, s[40:41]
.LBB262_71:                             ;   in Loop: Header=BB262_12 Depth=1
	s_or_b64 exec, exec, s[28:29]
	v_lshrrev_b16_e32 v3, 8, v5
	v_cmp_ne_u16_e32 vcc, 0, v3
	s_and_saveexec_b64 s[28:29], vcc
	s_cbranch_execz .LBB262_77
; %bb.72:                               ;   in Loop: Header=BB262_12 Depth=1
	v_cmp_ne_u16_e32 vcc, s44, v3
	v_bfrev_b32_e32 v1, 1
	buffer_store_dword v1, off, s[0:3], s32 offset:140 ; 4-byte Folded Spill
	s_and_saveexec_b64 s[40:41], vcc
	s_cbranch_execz .LBB262_76
; %bb.73:                               ;   in Loop: Header=BB262_12 Depth=1
	v_and_b32_e32 v1, 0x7f, v3
	v_cmp_ne_u32_e32 vcc, s45, v1
	v_mov_b32_e32 v2, 0x7c010000
	buffer_store_dword v2, off, s[0:3], s32 offset:140 ; 4-byte Folded Spill
	s_and_saveexec_b64 s[42:43], vcc
	s_cbranch_execz .LBB262_75
; %bb.74:                               ;   in Loop: Header=BB262_12 Depth=1
	v_and_b32_e32 v6, 7, v3
	v_lshrrev_b32_e32 v7, 3, v1
	v_cmp_gt_u32_e32 vcc, 8, v1
	v_ffbh_u32_e32 v1, v6
	v_min_u32_e32 v8, 32, v1
	v_subrev_u32_e32 v1, 28, v8
	v_lshlrev_b64 v[1:2], v1, v[3:4]
	v_sub_u32_e32 v2, 29, v8
	v_cndmask_b32_e32 v2, v7, v2, vcc
	v_mov_b32_e32 v7, 0x2000
	v_lshlrev_b32_e32 v3, 8, v3
	v_lshl_add_u32 v2, v2, 10, v7
	v_and_b32_e32 v1, 7, v1
	v_and_or_b32 v2, v3, s46, v2
	v_cndmask_b32_e32 v1, v6, v1, vcc
	v_lshlrev_b32_e32 v2, 16, v2
	v_lshl_or_b32 v1, v1, 23, v2
	buffer_store_dword v1, off, s[0:3], s32 offset:140 ; 4-byte Folded Spill
.LBB262_75:                             ;   in Loop: Header=BB262_12 Depth=1
	s_or_b64 exec, exec, s[42:43]
.LBB262_76:                             ;   in Loop: Header=BB262_12 Depth=1
	s_or_b64 exec, exec, s[40:41]
.LBB262_77:                             ;   in Loop: Header=BB262_12 Depth=1
	s_or_b64 exec, exec, s[28:29]
	v_lshrrev_b32_e32 v3, 16, v5
	v_mov_b32_e32 v1, 0
	v_cmp_ne_u16_sdwa s[40:41], v3, v4 src0_sel:BYTE_0 src1_sel:DWORD
	buffer_store_dword v1, off, s[0:3], s32 offset:148 ; 4-byte Folded Spill
	v_mov_b32_e32 v1, 0
	buffer_store_dword v1, off, s[0:3], s32 offset:152 ; 4-byte Folded Spill
	s_and_saveexec_b64 s[28:29], s[40:41]
	s_cbranch_execz .LBB262_83
; %bb.78:                               ;   in Loop: Header=BB262_12 Depth=1
	v_cmp_ne_u16_sdwa s[42:43], v3, s44 src0_sel:BYTE_0 src1_sel:DWORD
	v_mov_b32_e32 v1, 0x8000
	buffer_store_dword v1, off, s[0:3], s32 offset:152 ; 4-byte Folded Spill
	s_and_saveexec_b64 s[40:41], s[42:43]
	s_cbranch_execz .LBB262_82
; %bb.79:                               ;   in Loop: Header=BB262_12 Depth=1
	v_bfe_u32 v1, v5, 16, 7
	v_cmp_ne_u32_e32 vcc, s45, v1
	v_mov_b32_e32 v2, 0x7c01
	buffer_store_dword v2, off, s[0:3], s32 offset:152 ; 4-byte Folded Spill
	s_and_saveexec_b64 s[42:43], vcc
	s_cbranch_execz .LBB262_81
; %bb.80:                               ;   in Loop: Header=BB262_12 Depth=1
	v_and_b32_e32 v6, 7, v3
	v_lshrrev_b32_e32 v7, 3, v1
	v_cmp_gt_u32_e32 vcc, 8, v1
	v_ffbh_u32_e32 v1, v6
	v_min_u32_e32 v8, 32, v1
	v_subrev_u32_e32 v1, 28, v8
	v_lshlrev_b64 v[1:2], v1, v[3:4]
	v_sub_u32_e32 v2, 29, v8
	v_cndmask_b32_e32 v2, v7, v2, vcc
	v_mov_b32_e32 v7, 0x2000
	v_lshl_add_u32 v2, v2, 10, v7
	v_lshlrev_b32_e32 v3, 8, v3
	v_and_b32_e32 v1, 7, v1
	v_and_b32_e32 v2, 0xfc00, v2
	v_cndmask_b32_e32 v1, v6, v1, vcc
	v_and_or_b32 v2, v3, s46, v2
	v_lshl_or_b32 v1, v1, 7, v2
	buffer_store_dword v1, off, s[0:3], s32 offset:152 ; 4-byte Folded Spill
.LBB262_81:                             ;   in Loop: Header=BB262_12 Depth=1
	s_or_b64 exec, exec, s[42:43]
.LBB262_82:                             ;   in Loop: Header=BB262_12 Depth=1
	s_or_b64 exec, exec, s[40:41]
.LBB262_83:                             ;   in Loop: Header=BB262_12 Depth=1
	s_or_b64 exec, exec, s[28:29]
	v_cmp_lt_u32_e32 vcc, s47, v5
	s_and_saveexec_b64 s[28:29], vcc
	s_cbranch_execz .LBB262_89
; %bb.84:                               ;   in Loop: Header=BB262_12 Depth=1
	v_lshrrev_b32_e32 v3, 24, v5
	v_cmp_ne_u32_e32 vcc, s44, v3
	v_bfrev_b32_e32 v1, 1
	buffer_store_dword v1, off, s[0:3], s32 offset:148 ; 4-byte Folded Spill
	s_and_saveexec_b64 s[40:41], vcc
	s_cbranch_execz .LBB262_88
; %bb.85:                               ;   in Loop: Header=BB262_12 Depth=1
	v_and_b32_e32 v1, 0x7f, v3
	v_cmp_ne_u32_e32 vcc, s45, v1
	v_mov_b32_e32 v2, 0x7c010000
	buffer_store_dword v2, off, s[0:3], s32 offset:148 ; 4-byte Folded Spill
	s_and_saveexec_b64 s[42:43], vcc
	s_cbranch_execz .LBB262_87
; %bb.86:                               ;   in Loop: Header=BB262_12 Depth=1
	v_and_b32_e32 v5, 7, v3
	v_lshrrev_b32_e32 v6, 3, v1
	v_cmp_gt_u32_e32 vcc, 8, v1
	v_ffbh_u32_e32 v1, v5
	v_min_u32_e32 v7, 32, v1
	v_subrev_u32_e32 v1, 28, v7
	v_lshlrev_b64 v[1:2], v1, v[3:4]
	v_sub_u32_e32 v2, 29, v7
	v_cndmask_b32_e32 v2, v6, v2, vcc
	v_mov_b32_e32 v6, 0x2000
	v_lshlrev_b32_e32 v3, 8, v3
	v_lshl_add_u32 v2, v2, 10, v6
	v_and_b32_e32 v1, 7, v1
	v_and_or_b32 v2, v3, s46, v2
	v_cndmask_b32_e32 v1, v5, v1, vcc
	v_lshlrev_b32_e32 v2, 16, v2
	v_lshl_or_b32 v1, v1, 23, v2
	buffer_store_dword v1, off, s[0:3], s32 offset:148 ; 4-byte Folded Spill
.LBB262_87:                             ;   in Loop: Header=BB262_12 Depth=1
	s_or_b64 exec, exec, s[42:43]
.LBB262_88:                             ;   in Loop: Header=BB262_12 Depth=1
	s_or_b64 exec, exec, s[40:41]
.LBB262_89:                             ;   in Loop: Header=BB262_12 Depth=1
	s_or_b64 exec, exec, s[28:29]
	flat_load_dword v5, v[27:28] offset:520
	v_mov_b32_e32 v1, 0
	buffer_store_dword v1, off, s[0:3], s32 offset:156 ; 4-byte Folded Spill
	v_mov_b32_e32 v1, 0
	buffer_store_dword v1, off, s[0:3], s32 offset:160 ; 4-byte Folded Spill
	s_waitcnt vmcnt(0) lgkmcnt(0)
	v_cmp_ne_u16_sdwa s[40:41], v5, v4 src0_sel:BYTE_0 src1_sel:DWORD
	s_and_saveexec_b64 s[28:29], s[40:41]
	s_cbranch_execz .LBB262_95
; %bb.90:                               ;   in Loop: Header=BB262_12 Depth=1
	v_cmp_ne_u16_sdwa s[42:43], v5, s44 src0_sel:BYTE_0 src1_sel:DWORD
	v_mov_b32_e32 v1, 0x8000
	buffer_store_dword v1, off, s[0:3], s32 offset:160 ; 4-byte Folded Spill
	s_and_saveexec_b64 s[40:41], s[42:43]
	s_cbranch_execz .LBB262_94
; %bb.91:                               ;   in Loop: Header=BB262_12 Depth=1
	v_and_b32_e32 v1, 0x7f, v5
	v_cmp_ne_u32_e32 vcc, s45, v1
	v_mov_b32_e32 v2, 0x7c01
	buffer_store_dword v2, off, s[0:3], s32 offset:160 ; 4-byte Folded Spill
	s_and_saveexec_b64 s[42:43], vcc
	s_cbranch_execz .LBB262_93
; %bb.92:                               ;   in Loop: Header=BB262_12 Depth=1
	v_and_b32_e32 v3, 7, v5
	v_lshrrev_b32_e32 v6, 3, v1
	v_cmp_gt_u32_e32 vcc, 8, v1
	v_ffbh_u32_e32 v1, v3
	v_min_u32_e32 v7, 32, v1
	v_subrev_u32_e32 v1, 28, v7
	v_lshlrev_b64 v[1:2], v1, v[5:6]
	v_sub_u32_e32 v2, 29, v7
	v_cndmask_b32_e32 v2, v6, v2, vcc
	v_mov_b32_e32 v7, 0x2000
	v_lshl_add_u32 v2, v2, 10, v7
	v_lshlrev_b32_e32 v6, 8, v5
	v_and_b32_e32 v1, 7, v1
	v_and_b32_e32 v2, 0xfc00, v2
	v_cndmask_b32_e32 v1, v3, v1, vcc
	v_and_or_b32 v2, v6, s46, v2
	v_lshl_or_b32 v1, v1, 7, v2
	buffer_store_dword v1, off, s[0:3], s32 offset:160 ; 4-byte Folded Spill
.LBB262_93:                             ;   in Loop: Header=BB262_12 Depth=1
	s_or_b64 exec, exec, s[42:43]
.LBB262_94:                             ;   in Loop: Header=BB262_12 Depth=1
	s_or_b64 exec, exec, s[40:41]
.LBB262_95:                             ;   in Loop: Header=BB262_12 Depth=1
	s_or_b64 exec, exec, s[28:29]
	v_lshrrev_b16_e32 v3, 8, v5
	v_cmp_ne_u16_e32 vcc, 0, v3
	s_and_saveexec_b64 s[28:29], vcc
	s_cbranch_execz .LBB262_101
; %bb.96:                               ;   in Loop: Header=BB262_12 Depth=1
	v_cmp_ne_u16_e32 vcc, s44, v3
	v_bfrev_b32_e32 v1, 1
	buffer_store_dword v1, off, s[0:3], s32 offset:156 ; 4-byte Folded Spill
	s_and_saveexec_b64 s[40:41], vcc
	s_cbranch_execz .LBB262_100
; %bb.97:                               ;   in Loop: Header=BB262_12 Depth=1
	v_and_b32_e32 v1, 0x7f, v3
	v_cmp_ne_u32_e32 vcc, s45, v1
	v_mov_b32_e32 v2, 0x7c010000
	buffer_store_dword v2, off, s[0:3], s32 offset:156 ; 4-byte Folded Spill
	s_and_saveexec_b64 s[42:43], vcc
	s_cbranch_execz .LBB262_99
; %bb.98:                               ;   in Loop: Header=BB262_12 Depth=1
	v_and_b32_e32 v6, 7, v3
	v_lshrrev_b32_e32 v7, 3, v1
	v_cmp_gt_u32_e32 vcc, 8, v1
	v_ffbh_u32_e32 v1, v6
	v_min_u32_e32 v8, 32, v1
	v_subrev_u32_e32 v1, 28, v8
	v_lshlrev_b64 v[1:2], v1, v[3:4]
	v_sub_u32_e32 v2, 29, v8
	v_cndmask_b32_e32 v2, v7, v2, vcc
	v_mov_b32_e32 v7, 0x2000
	v_lshlrev_b32_e32 v3, 8, v3
	v_lshl_add_u32 v2, v2, 10, v7
	v_and_b32_e32 v1, 7, v1
	v_and_or_b32 v2, v3, s46, v2
	v_cndmask_b32_e32 v1, v6, v1, vcc
	v_lshlrev_b32_e32 v2, 16, v2
	v_lshl_or_b32 v1, v1, 23, v2
	buffer_store_dword v1, off, s[0:3], s32 offset:156 ; 4-byte Folded Spill
.LBB262_99:                             ;   in Loop: Header=BB262_12 Depth=1
	s_or_b64 exec, exec, s[42:43]
.LBB262_100:                            ;   in Loop: Header=BB262_12 Depth=1
	s_or_b64 exec, exec, s[40:41]
.LBB262_101:                            ;   in Loop: Header=BB262_12 Depth=1
	s_or_b64 exec, exec, s[28:29]
	v_lshrrev_b32_e32 v3, 16, v5
	v_mov_b32_e32 v1, 0
	v_cmp_ne_u16_sdwa s[40:41], v3, v4 src0_sel:BYTE_0 src1_sel:DWORD
	buffer_store_dword v1, off, s[0:3], s32 offset:164 ; 4-byte Folded Spill
	v_mov_b32_e32 v1, 0
	buffer_store_dword v1, off, s[0:3], s32 offset:168 ; 4-byte Folded Spill
	s_and_saveexec_b64 s[28:29], s[40:41]
	s_cbranch_execz .LBB262_107
; %bb.102:                              ;   in Loop: Header=BB262_12 Depth=1
	v_cmp_ne_u16_sdwa s[42:43], v3, s44 src0_sel:BYTE_0 src1_sel:DWORD
	v_mov_b32_e32 v1, 0x8000
	buffer_store_dword v1, off, s[0:3], s32 offset:168 ; 4-byte Folded Spill
	s_and_saveexec_b64 s[40:41], s[42:43]
	s_cbranch_execz .LBB262_106
; %bb.103:                              ;   in Loop: Header=BB262_12 Depth=1
	v_bfe_u32 v1, v5, 16, 7
	v_cmp_ne_u32_e32 vcc, s45, v1
	v_mov_b32_e32 v2, 0x7c01
	buffer_store_dword v2, off, s[0:3], s32 offset:168 ; 4-byte Folded Spill
	s_and_saveexec_b64 s[42:43], vcc
	s_cbranch_execz .LBB262_105
; %bb.104:                              ;   in Loop: Header=BB262_12 Depth=1
	v_and_b32_e32 v6, 7, v3
	v_lshrrev_b32_e32 v7, 3, v1
	v_cmp_gt_u32_e32 vcc, 8, v1
	v_ffbh_u32_e32 v1, v6
	v_min_u32_e32 v8, 32, v1
	v_subrev_u32_e32 v1, 28, v8
	v_lshlrev_b64 v[1:2], v1, v[3:4]
	v_sub_u32_e32 v2, 29, v8
	v_cndmask_b32_e32 v2, v7, v2, vcc
	v_mov_b32_e32 v7, 0x2000
	v_lshl_add_u32 v2, v2, 10, v7
	v_lshlrev_b32_e32 v3, 8, v3
	v_and_b32_e32 v1, 7, v1
	v_and_b32_e32 v2, 0xfc00, v2
	v_cndmask_b32_e32 v1, v6, v1, vcc
	v_and_or_b32 v2, v3, s46, v2
	v_lshl_or_b32 v1, v1, 7, v2
	buffer_store_dword v1, off, s[0:3], s32 offset:168 ; 4-byte Folded Spill
.LBB262_105:                            ;   in Loop: Header=BB262_12 Depth=1
	s_or_b64 exec, exec, s[42:43]
.LBB262_106:                            ;   in Loop: Header=BB262_12 Depth=1
	s_or_b64 exec, exec, s[40:41]
.LBB262_107:                            ;   in Loop: Header=BB262_12 Depth=1
	s_or_b64 exec, exec, s[28:29]
	v_cmp_lt_u32_e32 vcc, s47, v5
	s_and_saveexec_b64 s[28:29], vcc
	s_cbranch_execz .LBB262_113
; %bb.108:                              ;   in Loop: Header=BB262_12 Depth=1
	v_lshrrev_b32_e32 v3, 24, v5
	v_cmp_ne_u32_e32 vcc, s44, v3
	v_bfrev_b32_e32 v1, 1
	buffer_store_dword v1, off, s[0:3], s32 offset:164 ; 4-byte Folded Spill
	s_and_saveexec_b64 s[40:41], vcc
	s_cbranch_execz .LBB262_112
; %bb.109:                              ;   in Loop: Header=BB262_12 Depth=1
	v_and_b32_e32 v1, 0x7f, v3
	v_cmp_ne_u32_e32 vcc, s45, v1
	v_mov_b32_e32 v2, 0x7c010000
	buffer_store_dword v2, off, s[0:3], s32 offset:164 ; 4-byte Folded Spill
	s_and_saveexec_b64 s[42:43], vcc
	s_cbranch_execz .LBB262_111
; %bb.110:                              ;   in Loop: Header=BB262_12 Depth=1
	v_and_b32_e32 v5, 7, v3
	v_lshrrev_b32_e32 v6, 3, v1
	v_cmp_gt_u32_e32 vcc, 8, v1
	v_ffbh_u32_e32 v1, v5
	v_min_u32_e32 v7, 32, v1
	v_subrev_u32_e32 v1, 28, v7
	v_lshlrev_b64 v[1:2], v1, v[3:4]
	v_sub_u32_e32 v2, 29, v7
	v_cndmask_b32_e32 v2, v6, v2, vcc
	v_mov_b32_e32 v6, 0x2000
	v_lshlrev_b32_e32 v3, 8, v3
	v_lshl_add_u32 v2, v2, 10, v6
	v_and_b32_e32 v1, 7, v1
	v_and_or_b32 v2, v3, s46, v2
	v_cndmask_b32_e32 v1, v5, v1, vcc
	v_lshlrev_b32_e32 v2, 16, v2
	v_lshl_or_b32 v1, v1, 23, v2
	buffer_store_dword v1, off, s[0:3], s32 offset:164 ; 4-byte Folded Spill
.LBB262_111:                            ;   in Loop: Header=BB262_12 Depth=1
	s_or_b64 exec, exec, s[42:43]
.LBB262_112:                            ;   in Loop: Header=BB262_12 Depth=1
	s_or_b64 exec, exec, s[40:41]
.LBB262_113:                            ;   in Loop: Header=BB262_12 Depth=1
	s_or_b64 exec, exec, s[28:29]
	flat_load_dword v5, v[27:28] offset:1024
	v_mov_b32_e32 v1, 0
	buffer_store_dword v1, off, s[0:3], s32 offset:172 ; 4-byte Folded Spill
	v_mov_b32_e32 v1, 0
	buffer_store_dword v1, off, s[0:3], s32 offset:176 ; 4-byte Folded Spill
	s_waitcnt vmcnt(0) lgkmcnt(0)
	v_cmp_ne_u16_sdwa s[40:41], v5, v4 src0_sel:BYTE_0 src1_sel:DWORD
	s_and_saveexec_b64 s[28:29], s[40:41]
	s_cbranch_execz .LBB262_119
; %bb.114:                              ;   in Loop: Header=BB262_12 Depth=1
	v_cmp_ne_u16_sdwa s[42:43], v5, s44 src0_sel:BYTE_0 src1_sel:DWORD
	v_mov_b32_e32 v1, 0x8000
	buffer_store_dword v1, off, s[0:3], s32 offset:176 ; 4-byte Folded Spill
	s_and_saveexec_b64 s[40:41], s[42:43]
	s_cbranch_execz .LBB262_118
; %bb.115:                              ;   in Loop: Header=BB262_12 Depth=1
	v_and_b32_e32 v1, 0x7f, v5
	v_cmp_ne_u32_e32 vcc, s45, v1
	v_mov_b32_e32 v2, 0x7c01
	buffer_store_dword v2, off, s[0:3], s32 offset:176 ; 4-byte Folded Spill
	s_and_saveexec_b64 s[42:43], vcc
	s_cbranch_execz .LBB262_117
; %bb.116:                              ;   in Loop: Header=BB262_12 Depth=1
	v_and_b32_e32 v3, 7, v5
	v_lshrrev_b32_e32 v6, 3, v1
	v_cmp_gt_u32_e32 vcc, 8, v1
	v_ffbh_u32_e32 v1, v3
	v_min_u32_e32 v7, 32, v1
	v_subrev_u32_e32 v1, 28, v7
	v_lshlrev_b64 v[1:2], v1, v[5:6]
	v_sub_u32_e32 v2, 29, v7
	v_cndmask_b32_e32 v2, v6, v2, vcc
	v_mov_b32_e32 v7, 0x2000
	v_lshl_add_u32 v2, v2, 10, v7
	v_lshlrev_b32_e32 v6, 8, v5
	v_and_b32_e32 v1, 7, v1
	v_and_b32_e32 v2, 0xfc00, v2
	v_cndmask_b32_e32 v1, v3, v1, vcc
	v_and_or_b32 v2, v6, s46, v2
	v_lshl_or_b32 v1, v1, 7, v2
	buffer_store_dword v1, off, s[0:3], s32 offset:176 ; 4-byte Folded Spill
.LBB262_117:                            ;   in Loop: Header=BB262_12 Depth=1
	s_or_b64 exec, exec, s[42:43]
.LBB262_118:                            ;   in Loop: Header=BB262_12 Depth=1
	s_or_b64 exec, exec, s[40:41]
.LBB262_119:                            ;   in Loop: Header=BB262_12 Depth=1
	s_or_b64 exec, exec, s[28:29]
	v_lshrrev_b16_e32 v3, 8, v5
	v_cmp_ne_u16_e32 vcc, 0, v3
	s_and_saveexec_b64 s[28:29], vcc
	s_cbranch_execz .LBB262_125
; %bb.120:                              ;   in Loop: Header=BB262_12 Depth=1
	v_cmp_ne_u16_e32 vcc, s44, v3
	v_bfrev_b32_e32 v1, 1
	buffer_store_dword v1, off, s[0:3], s32 offset:172 ; 4-byte Folded Spill
	s_and_saveexec_b64 s[40:41], vcc
	s_cbranch_execz .LBB262_124
; %bb.121:                              ;   in Loop: Header=BB262_12 Depth=1
	v_and_b32_e32 v1, 0x7f, v3
	v_cmp_ne_u32_e32 vcc, s45, v1
	v_mov_b32_e32 v2, 0x7c010000
	buffer_store_dword v2, off, s[0:3], s32 offset:172 ; 4-byte Folded Spill
	s_and_saveexec_b64 s[42:43], vcc
	s_cbranch_execz .LBB262_123
; %bb.122:                              ;   in Loop: Header=BB262_12 Depth=1
	v_and_b32_e32 v6, 7, v3
	v_lshrrev_b32_e32 v7, 3, v1
	v_cmp_gt_u32_e32 vcc, 8, v1
	v_ffbh_u32_e32 v1, v6
	v_min_u32_e32 v8, 32, v1
	v_subrev_u32_e32 v1, 28, v8
	v_lshlrev_b64 v[1:2], v1, v[3:4]
	v_sub_u32_e32 v2, 29, v8
	v_cndmask_b32_e32 v2, v7, v2, vcc
	v_mov_b32_e32 v7, 0x2000
	v_lshlrev_b32_e32 v3, 8, v3
	v_lshl_add_u32 v2, v2, 10, v7
	v_and_b32_e32 v1, 7, v1
	v_and_or_b32 v2, v3, s46, v2
	v_cndmask_b32_e32 v1, v6, v1, vcc
	v_lshlrev_b32_e32 v2, 16, v2
	v_lshl_or_b32 v1, v1, 23, v2
	buffer_store_dword v1, off, s[0:3], s32 offset:172 ; 4-byte Folded Spill
.LBB262_123:                            ;   in Loop: Header=BB262_12 Depth=1
	s_or_b64 exec, exec, s[42:43]
.LBB262_124:                            ;   in Loop: Header=BB262_12 Depth=1
	s_or_b64 exec, exec, s[40:41]
.LBB262_125:                            ;   in Loop: Header=BB262_12 Depth=1
	s_or_b64 exec, exec, s[28:29]
	v_lshrrev_b32_e32 v3, 16, v5
	v_mov_b32_e32 v1, 0
	v_cmp_ne_u16_sdwa s[40:41], v3, v4 src0_sel:BYTE_0 src1_sel:DWORD
	buffer_store_dword v1, off, s[0:3], s32 offset:180 ; 4-byte Folded Spill
	v_mov_b32_e32 v1, 0
	buffer_store_dword v1, off, s[0:3], s32 offset:188 ; 4-byte Folded Spill
	s_and_saveexec_b64 s[28:29], s[40:41]
	s_cbranch_execz .LBB262_131
; %bb.126:                              ;   in Loop: Header=BB262_12 Depth=1
	v_cmp_ne_u16_sdwa s[42:43], v3, s44 src0_sel:BYTE_0 src1_sel:DWORD
	v_mov_b32_e32 v1, 0x8000
	buffer_store_dword v1, off, s[0:3], s32 offset:188 ; 4-byte Folded Spill
	s_and_saveexec_b64 s[40:41], s[42:43]
	s_cbranch_execz .LBB262_130
; %bb.127:                              ;   in Loop: Header=BB262_12 Depth=1
	v_bfe_u32 v1, v5, 16, 7
	v_cmp_ne_u32_e32 vcc, s45, v1
	v_mov_b32_e32 v2, 0x7c01
	buffer_store_dword v2, off, s[0:3], s32 offset:188 ; 4-byte Folded Spill
	s_and_saveexec_b64 s[42:43], vcc
	s_cbranch_execz .LBB262_129
; %bb.128:                              ;   in Loop: Header=BB262_12 Depth=1
	v_and_b32_e32 v6, 7, v3
	v_lshrrev_b32_e32 v7, 3, v1
	v_cmp_gt_u32_e32 vcc, 8, v1
	v_ffbh_u32_e32 v1, v6
	v_min_u32_e32 v8, 32, v1
	v_subrev_u32_e32 v1, 28, v8
	v_lshlrev_b64 v[1:2], v1, v[3:4]
	v_sub_u32_e32 v2, 29, v8
	v_cndmask_b32_e32 v2, v7, v2, vcc
	v_mov_b32_e32 v7, 0x2000
	v_lshl_add_u32 v2, v2, 10, v7
	v_lshlrev_b32_e32 v3, 8, v3
	v_and_b32_e32 v1, 7, v1
	v_and_b32_e32 v2, 0xfc00, v2
	v_cndmask_b32_e32 v1, v6, v1, vcc
	v_and_or_b32 v2, v3, s46, v2
	v_lshl_or_b32 v1, v1, 7, v2
	buffer_store_dword v1, off, s[0:3], s32 offset:188 ; 4-byte Folded Spill
.LBB262_129:                            ;   in Loop: Header=BB262_12 Depth=1
	s_or_b64 exec, exec, s[42:43]
.LBB262_130:                            ;   in Loop: Header=BB262_12 Depth=1
	s_or_b64 exec, exec, s[40:41]
.LBB262_131:                            ;   in Loop: Header=BB262_12 Depth=1
	s_or_b64 exec, exec, s[28:29]
	v_cmp_lt_u32_e32 vcc, s47, v5
	s_and_saveexec_b64 s[28:29], vcc
	s_cbranch_execz .LBB262_137
; %bb.132:                              ;   in Loop: Header=BB262_12 Depth=1
	v_lshrrev_b32_e32 v3, 24, v5
	v_cmp_ne_u32_e32 vcc, s44, v3
	v_bfrev_b32_e32 v1, 1
	buffer_store_dword v1, off, s[0:3], s32 offset:180 ; 4-byte Folded Spill
	s_and_saveexec_b64 s[40:41], vcc
	s_cbranch_execz .LBB262_136
; %bb.133:                              ;   in Loop: Header=BB262_12 Depth=1
	v_and_b32_e32 v1, 0x7f, v3
	v_cmp_ne_u32_e32 vcc, s45, v1
	v_mov_b32_e32 v2, 0x7c010000
	buffer_store_dword v2, off, s[0:3], s32 offset:180 ; 4-byte Folded Spill
	s_and_saveexec_b64 s[42:43], vcc
	s_cbranch_execz .LBB262_135
; %bb.134:                              ;   in Loop: Header=BB262_12 Depth=1
	v_and_b32_e32 v5, 7, v3
	v_lshrrev_b32_e32 v6, 3, v1
	v_cmp_gt_u32_e32 vcc, 8, v1
	v_ffbh_u32_e32 v1, v5
	v_min_u32_e32 v7, 32, v1
	v_subrev_u32_e32 v1, 28, v7
	v_lshlrev_b64 v[1:2], v1, v[3:4]
	v_sub_u32_e32 v2, 29, v7
	v_cndmask_b32_e32 v2, v6, v2, vcc
	v_mov_b32_e32 v6, 0x2000
	v_lshlrev_b32_e32 v3, 8, v3
	v_lshl_add_u32 v2, v2, 10, v6
	v_and_b32_e32 v1, 7, v1
	v_and_or_b32 v2, v3, s46, v2
	v_cndmask_b32_e32 v1, v5, v1, vcc
	v_lshlrev_b32_e32 v2, 16, v2
	v_lshl_or_b32 v1, v1, 23, v2
	buffer_store_dword v1, off, s[0:3], s32 offset:180 ; 4-byte Folded Spill
.LBB262_135:                            ;   in Loop: Header=BB262_12 Depth=1
	s_or_b64 exec, exec, s[42:43]
.LBB262_136:                            ;   in Loop: Header=BB262_12 Depth=1
	s_or_b64 exec, exec, s[40:41]
.LBB262_137:                            ;   in Loop: Header=BB262_12 Depth=1
	s_or_b64 exec, exec, s[28:29]
	flat_load_dword v5, v[27:28] offset:1032
	v_mov_b32_e32 v1, 0
	buffer_store_dword v1, off, s[0:3], s32 offset:192 ; 4-byte Folded Spill
	v_mov_b32_e32 v1, 0
	buffer_store_dword v1, off, s[0:3], s32 offset:196 ; 4-byte Folded Spill
	s_waitcnt vmcnt(0) lgkmcnt(0)
	v_cmp_ne_u16_sdwa s[40:41], v5, v4 src0_sel:BYTE_0 src1_sel:DWORD
	s_and_saveexec_b64 s[28:29], s[40:41]
	s_cbranch_execz .LBB262_143
; %bb.138:                              ;   in Loop: Header=BB262_12 Depth=1
	v_cmp_ne_u16_sdwa s[42:43], v5, s44 src0_sel:BYTE_0 src1_sel:DWORD
	v_mov_b32_e32 v1, 0x8000
	buffer_store_dword v1, off, s[0:3], s32 offset:196 ; 4-byte Folded Spill
	s_and_saveexec_b64 s[40:41], s[42:43]
	s_cbranch_execz .LBB262_142
; %bb.139:                              ;   in Loop: Header=BB262_12 Depth=1
	v_and_b32_e32 v1, 0x7f, v5
	v_cmp_ne_u32_e32 vcc, s45, v1
	v_mov_b32_e32 v2, 0x7c01
	buffer_store_dword v2, off, s[0:3], s32 offset:196 ; 4-byte Folded Spill
	s_and_saveexec_b64 s[42:43], vcc
	s_cbranch_execz .LBB262_141
; %bb.140:                              ;   in Loop: Header=BB262_12 Depth=1
	v_and_b32_e32 v3, 7, v5
	v_lshrrev_b32_e32 v6, 3, v1
	v_cmp_gt_u32_e32 vcc, 8, v1
	v_ffbh_u32_e32 v1, v3
	v_min_u32_e32 v7, 32, v1
	v_subrev_u32_e32 v1, 28, v7
	v_lshlrev_b64 v[1:2], v1, v[5:6]
	v_sub_u32_e32 v2, 29, v7
	v_cndmask_b32_e32 v2, v6, v2, vcc
	v_mov_b32_e32 v7, 0x2000
	v_lshl_add_u32 v2, v2, 10, v7
	v_lshlrev_b32_e32 v6, 8, v5
	v_and_b32_e32 v1, 7, v1
	v_and_b32_e32 v2, 0xfc00, v2
	v_cndmask_b32_e32 v1, v3, v1, vcc
	v_and_or_b32 v2, v6, s46, v2
	v_lshl_or_b32 v1, v1, 7, v2
	buffer_store_dword v1, off, s[0:3], s32 offset:196 ; 4-byte Folded Spill
.LBB262_141:                            ;   in Loop: Header=BB262_12 Depth=1
	s_or_b64 exec, exec, s[42:43]
.LBB262_142:                            ;   in Loop: Header=BB262_12 Depth=1
	s_or_b64 exec, exec, s[40:41]
.LBB262_143:                            ;   in Loop: Header=BB262_12 Depth=1
	s_or_b64 exec, exec, s[28:29]
	v_lshrrev_b16_e32 v3, 8, v5
	v_cmp_ne_u16_e32 vcc, 0, v3
	s_and_saveexec_b64 s[28:29], vcc
	s_cbranch_execz .LBB262_149
; %bb.144:                              ;   in Loop: Header=BB262_12 Depth=1
	v_cmp_ne_u16_e32 vcc, s44, v3
	v_bfrev_b32_e32 v1, 1
	buffer_store_dword v1, off, s[0:3], s32 offset:192 ; 4-byte Folded Spill
	s_and_saveexec_b64 s[40:41], vcc
	s_cbranch_execz .LBB262_148
; %bb.145:                              ;   in Loop: Header=BB262_12 Depth=1
	v_and_b32_e32 v1, 0x7f, v3
	v_cmp_ne_u32_e32 vcc, s45, v1
	v_mov_b32_e32 v2, 0x7c010000
	buffer_store_dword v2, off, s[0:3], s32 offset:192 ; 4-byte Folded Spill
	s_and_saveexec_b64 s[42:43], vcc
	s_cbranch_execz .LBB262_147
; %bb.146:                              ;   in Loop: Header=BB262_12 Depth=1
	v_and_b32_e32 v6, 7, v3
	v_lshrrev_b32_e32 v7, 3, v1
	v_cmp_gt_u32_e32 vcc, 8, v1
	v_ffbh_u32_e32 v1, v6
	v_min_u32_e32 v8, 32, v1
	v_subrev_u32_e32 v1, 28, v8
	v_lshlrev_b64 v[1:2], v1, v[3:4]
	v_sub_u32_e32 v2, 29, v8
	v_cndmask_b32_e32 v2, v7, v2, vcc
	v_mov_b32_e32 v7, 0x2000
	v_lshlrev_b32_e32 v3, 8, v3
	v_lshl_add_u32 v2, v2, 10, v7
	v_and_b32_e32 v1, 7, v1
	v_and_or_b32 v2, v3, s46, v2
	v_cndmask_b32_e32 v1, v6, v1, vcc
	v_lshlrev_b32_e32 v2, 16, v2
	v_lshl_or_b32 v1, v1, 23, v2
	buffer_store_dword v1, off, s[0:3], s32 offset:192 ; 4-byte Folded Spill
.LBB262_147:                            ;   in Loop: Header=BB262_12 Depth=1
	s_or_b64 exec, exec, s[42:43]
.LBB262_148:                            ;   in Loop: Header=BB262_12 Depth=1
	s_or_b64 exec, exec, s[40:41]
.LBB262_149:                            ;   in Loop: Header=BB262_12 Depth=1
	s_or_b64 exec, exec, s[28:29]
	v_lshrrev_b32_e32 v3, 16, v5
	v_mov_b32_e32 v1, 0
	v_cmp_ne_u16_sdwa s[40:41], v3, v4 src0_sel:BYTE_0 src1_sel:DWORD
	buffer_store_dword v1, off, s[0:3], s32 offset:200 ; 4-byte Folded Spill
	v_mov_b32_e32 v1, 0
	buffer_store_dword v1, off, s[0:3], s32 offset:204 ; 4-byte Folded Spill
	s_and_saveexec_b64 s[28:29], s[40:41]
	s_cbranch_execz .LBB262_155
; %bb.150:                              ;   in Loop: Header=BB262_12 Depth=1
	v_cmp_ne_u16_sdwa s[42:43], v3, s44 src0_sel:BYTE_0 src1_sel:DWORD
	v_mov_b32_e32 v1, 0x8000
	buffer_store_dword v1, off, s[0:3], s32 offset:204 ; 4-byte Folded Spill
	s_and_saveexec_b64 s[40:41], s[42:43]
	s_cbranch_execz .LBB262_154
; %bb.151:                              ;   in Loop: Header=BB262_12 Depth=1
	v_bfe_u32 v1, v5, 16, 7
	v_cmp_ne_u32_e32 vcc, s45, v1
	v_mov_b32_e32 v2, 0x7c01
	buffer_store_dword v2, off, s[0:3], s32 offset:204 ; 4-byte Folded Spill
	s_and_saveexec_b64 s[42:43], vcc
	s_cbranch_execz .LBB262_153
; %bb.152:                              ;   in Loop: Header=BB262_12 Depth=1
	v_and_b32_e32 v6, 7, v3
	v_lshrrev_b32_e32 v7, 3, v1
	v_cmp_gt_u32_e32 vcc, 8, v1
	v_ffbh_u32_e32 v1, v6
	v_min_u32_e32 v8, 32, v1
	v_subrev_u32_e32 v1, 28, v8
	v_lshlrev_b64 v[1:2], v1, v[3:4]
	v_sub_u32_e32 v2, 29, v8
	v_cndmask_b32_e32 v2, v7, v2, vcc
	v_mov_b32_e32 v7, 0x2000
	v_lshl_add_u32 v2, v2, 10, v7
	v_lshlrev_b32_e32 v3, 8, v3
	v_and_b32_e32 v1, 7, v1
	v_and_b32_e32 v2, 0xfc00, v2
	v_cndmask_b32_e32 v1, v6, v1, vcc
	v_and_or_b32 v2, v3, s46, v2
	v_lshl_or_b32 v1, v1, 7, v2
	buffer_store_dword v1, off, s[0:3], s32 offset:204 ; 4-byte Folded Spill
.LBB262_153:                            ;   in Loop: Header=BB262_12 Depth=1
	s_or_b64 exec, exec, s[42:43]
.LBB262_154:                            ;   in Loop: Header=BB262_12 Depth=1
	s_or_b64 exec, exec, s[40:41]
.LBB262_155:                            ;   in Loop: Header=BB262_12 Depth=1
	s_or_b64 exec, exec, s[28:29]
	v_cmp_lt_u32_e32 vcc, s47, v5
	s_and_saveexec_b64 s[28:29], vcc
	s_cbranch_execz .LBB262_161
; %bb.156:                              ;   in Loop: Header=BB262_12 Depth=1
	v_lshrrev_b32_e32 v3, 24, v5
	v_cmp_ne_u32_e32 vcc, s44, v3
	v_bfrev_b32_e32 v1, 1
	buffer_store_dword v1, off, s[0:3], s32 offset:200 ; 4-byte Folded Spill
	s_and_saveexec_b64 s[40:41], vcc
	s_cbranch_execz .LBB262_160
; %bb.157:                              ;   in Loop: Header=BB262_12 Depth=1
	v_and_b32_e32 v1, 0x7f, v3
	v_cmp_ne_u32_e32 vcc, s45, v1
	v_mov_b32_e32 v2, 0x7c010000
	buffer_store_dword v2, off, s[0:3], s32 offset:200 ; 4-byte Folded Spill
	s_and_saveexec_b64 s[42:43], vcc
	s_cbranch_execz .LBB262_159
; %bb.158:                              ;   in Loop: Header=BB262_12 Depth=1
	v_and_b32_e32 v5, 7, v3
	v_lshrrev_b32_e32 v6, 3, v1
	v_cmp_gt_u32_e32 vcc, 8, v1
	v_ffbh_u32_e32 v1, v5
	v_min_u32_e32 v7, 32, v1
	v_subrev_u32_e32 v1, 28, v7
	v_lshlrev_b64 v[1:2], v1, v[3:4]
	v_sub_u32_e32 v2, 29, v7
	v_cndmask_b32_e32 v2, v6, v2, vcc
	v_mov_b32_e32 v6, 0x2000
	v_lshlrev_b32_e32 v3, 8, v3
	v_lshl_add_u32 v2, v2, 10, v6
	v_and_b32_e32 v1, 7, v1
	v_and_or_b32 v2, v3, s46, v2
	v_cndmask_b32_e32 v1, v5, v1, vcc
	v_lshlrev_b32_e32 v2, 16, v2
	v_lshl_or_b32 v1, v1, 23, v2
	buffer_store_dword v1, off, s[0:3], s32 offset:200 ; 4-byte Folded Spill
.LBB262_159:                            ;   in Loop: Header=BB262_12 Depth=1
	s_or_b64 exec, exec, s[42:43]
.LBB262_160:                            ;   in Loop: Header=BB262_12 Depth=1
	s_or_b64 exec, exec, s[40:41]
.LBB262_161:                            ;   in Loop: Header=BB262_12 Depth=1
	s_or_b64 exec, exec, s[28:29]
	flat_load_dword v5, v[27:28] offset:1536
	v_mov_b32_e32 v1, 0
	buffer_store_dword v1, off, s[0:3], s32 offset:208 ; 4-byte Folded Spill
	v_mov_b32_e32 v1, 0
	buffer_store_dword v1, off, s[0:3], s32 offset:212 ; 4-byte Folded Spill
	s_waitcnt vmcnt(0) lgkmcnt(0)
	v_cmp_ne_u16_sdwa s[40:41], v5, v4 src0_sel:BYTE_0 src1_sel:DWORD
	s_and_saveexec_b64 s[28:29], s[40:41]
	s_cbranch_execz .LBB262_167
; %bb.162:                              ;   in Loop: Header=BB262_12 Depth=1
	v_cmp_ne_u16_sdwa s[42:43], v5, s44 src0_sel:BYTE_0 src1_sel:DWORD
	v_mov_b32_e32 v1, 0x8000
	buffer_store_dword v1, off, s[0:3], s32 offset:212 ; 4-byte Folded Spill
	s_and_saveexec_b64 s[40:41], s[42:43]
	s_cbranch_execz .LBB262_166
; %bb.163:                              ;   in Loop: Header=BB262_12 Depth=1
	v_and_b32_e32 v1, 0x7f, v5
	v_cmp_ne_u32_e32 vcc, s45, v1
	v_mov_b32_e32 v2, 0x7c01
	buffer_store_dword v2, off, s[0:3], s32 offset:212 ; 4-byte Folded Spill
	s_and_saveexec_b64 s[42:43], vcc
	s_cbranch_execz .LBB262_165
; %bb.164:                              ;   in Loop: Header=BB262_12 Depth=1
	v_and_b32_e32 v3, 7, v5
	v_lshrrev_b32_e32 v6, 3, v1
	v_cmp_gt_u32_e32 vcc, 8, v1
	v_ffbh_u32_e32 v1, v3
	v_min_u32_e32 v7, 32, v1
	v_subrev_u32_e32 v1, 28, v7
	v_lshlrev_b64 v[1:2], v1, v[5:6]
	v_sub_u32_e32 v2, 29, v7
	v_cndmask_b32_e32 v2, v6, v2, vcc
	v_mov_b32_e32 v7, 0x2000
	v_lshl_add_u32 v2, v2, 10, v7
	v_lshlrev_b32_e32 v6, 8, v5
	v_and_b32_e32 v1, 7, v1
	v_and_b32_e32 v2, 0xfc00, v2
	v_cndmask_b32_e32 v1, v3, v1, vcc
	v_and_or_b32 v2, v6, s46, v2
	v_lshl_or_b32 v1, v1, 7, v2
	buffer_store_dword v1, off, s[0:3], s32 offset:212 ; 4-byte Folded Spill
.LBB262_165:                            ;   in Loop: Header=BB262_12 Depth=1
	s_or_b64 exec, exec, s[42:43]
.LBB262_166:                            ;   in Loop: Header=BB262_12 Depth=1
	s_or_b64 exec, exec, s[40:41]
.LBB262_167:                            ;   in Loop: Header=BB262_12 Depth=1
	s_or_b64 exec, exec, s[28:29]
	v_lshrrev_b16_e32 v3, 8, v5
	v_cmp_ne_u16_e32 vcc, 0, v3
	s_and_saveexec_b64 s[28:29], vcc
	s_cbranch_execz .LBB262_173
; %bb.168:                              ;   in Loop: Header=BB262_12 Depth=1
	v_cmp_ne_u16_e32 vcc, s44, v3
	v_bfrev_b32_e32 v1, 1
	buffer_store_dword v1, off, s[0:3], s32 offset:208 ; 4-byte Folded Spill
	s_and_saveexec_b64 s[40:41], vcc
	s_cbranch_execz .LBB262_172
; %bb.169:                              ;   in Loop: Header=BB262_12 Depth=1
	v_and_b32_e32 v1, 0x7f, v3
	v_cmp_ne_u32_e32 vcc, s45, v1
	v_mov_b32_e32 v2, 0x7c010000
	buffer_store_dword v2, off, s[0:3], s32 offset:208 ; 4-byte Folded Spill
	s_and_saveexec_b64 s[42:43], vcc
	s_cbranch_execz .LBB262_171
; %bb.170:                              ;   in Loop: Header=BB262_12 Depth=1
	v_and_b32_e32 v6, 7, v3
	v_lshrrev_b32_e32 v7, 3, v1
	v_cmp_gt_u32_e32 vcc, 8, v1
	v_ffbh_u32_e32 v1, v6
	v_min_u32_e32 v8, 32, v1
	v_subrev_u32_e32 v1, 28, v8
	v_lshlrev_b64 v[1:2], v1, v[3:4]
	v_sub_u32_e32 v2, 29, v8
	v_cndmask_b32_e32 v2, v7, v2, vcc
	v_mov_b32_e32 v7, 0x2000
	v_lshlrev_b32_e32 v3, 8, v3
	v_lshl_add_u32 v2, v2, 10, v7
	v_and_b32_e32 v1, 7, v1
	v_and_or_b32 v2, v3, s46, v2
	v_cndmask_b32_e32 v1, v6, v1, vcc
	v_lshlrev_b32_e32 v2, 16, v2
	v_lshl_or_b32 v1, v1, 23, v2
	buffer_store_dword v1, off, s[0:3], s32 offset:208 ; 4-byte Folded Spill
.LBB262_171:                            ;   in Loop: Header=BB262_12 Depth=1
	s_or_b64 exec, exec, s[42:43]
.LBB262_172:                            ;   in Loop: Header=BB262_12 Depth=1
	s_or_b64 exec, exec, s[40:41]
.LBB262_173:                            ;   in Loop: Header=BB262_12 Depth=1
	s_or_b64 exec, exec, s[28:29]
	v_lshrrev_b32_e32 v3, 16, v5
	v_mov_b32_e32 v1, 0
	v_cmp_ne_u16_sdwa s[40:41], v3, v4 src0_sel:BYTE_0 src1_sel:DWORD
	buffer_store_dword v1, off, s[0:3], s32 offset:216 ; 4-byte Folded Spill
	v_mov_b32_e32 v1, 0
	buffer_store_dword v1, off, s[0:3], s32 offset:220 ; 4-byte Folded Spill
	s_and_saveexec_b64 s[28:29], s[40:41]
	s_cbranch_execz .LBB262_179
; %bb.174:                              ;   in Loop: Header=BB262_12 Depth=1
	v_cmp_ne_u16_sdwa s[42:43], v3, s44 src0_sel:BYTE_0 src1_sel:DWORD
	v_mov_b32_e32 v1, 0x8000
	buffer_store_dword v1, off, s[0:3], s32 offset:220 ; 4-byte Folded Spill
	s_and_saveexec_b64 s[40:41], s[42:43]
	s_cbranch_execz .LBB262_178
; %bb.175:                              ;   in Loop: Header=BB262_12 Depth=1
	v_bfe_u32 v1, v5, 16, 7
	v_cmp_ne_u32_e32 vcc, s45, v1
	v_mov_b32_e32 v2, 0x7c01
	buffer_store_dword v2, off, s[0:3], s32 offset:220 ; 4-byte Folded Spill
	s_and_saveexec_b64 s[42:43], vcc
	s_cbranch_execz .LBB262_177
; %bb.176:                              ;   in Loop: Header=BB262_12 Depth=1
	v_and_b32_e32 v6, 7, v3
	v_lshrrev_b32_e32 v7, 3, v1
	v_cmp_gt_u32_e32 vcc, 8, v1
	v_ffbh_u32_e32 v1, v6
	v_min_u32_e32 v8, 32, v1
	v_subrev_u32_e32 v1, 28, v8
	v_lshlrev_b64 v[1:2], v1, v[3:4]
	v_sub_u32_e32 v2, 29, v8
	v_cndmask_b32_e32 v2, v7, v2, vcc
	v_mov_b32_e32 v7, 0x2000
	v_lshl_add_u32 v2, v2, 10, v7
	v_lshlrev_b32_e32 v3, 8, v3
	v_and_b32_e32 v1, 7, v1
	v_and_b32_e32 v2, 0xfc00, v2
	v_cndmask_b32_e32 v1, v6, v1, vcc
	v_and_or_b32 v2, v3, s46, v2
	v_lshl_or_b32 v1, v1, 7, v2
	buffer_store_dword v1, off, s[0:3], s32 offset:220 ; 4-byte Folded Spill
.LBB262_177:                            ;   in Loop: Header=BB262_12 Depth=1
	s_or_b64 exec, exec, s[42:43]
.LBB262_178:                            ;   in Loop: Header=BB262_12 Depth=1
	s_or_b64 exec, exec, s[40:41]
.LBB262_179:                            ;   in Loop: Header=BB262_12 Depth=1
	s_or_b64 exec, exec, s[28:29]
	v_cmp_lt_u32_e32 vcc, s47, v5
	s_and_saveexec_b64 s[28:29], vcc
	s_cbranch_execz .LBB262_185
; %bb.180:                              ;   in Loop: Header=BB262_12 Depth=1
	v_lshrrev_b32_e32 v3, 24, v5
	v_cmp_ne_u32_e32 vcc, s44, v3
	v_bfrev_b32_e32 v1, 1
	buffer_store_dword v1, off, s[0:3], s32 offset:216 ; 4-byte Folded Spill
	s_and_saveexec_b64 s[40:41], vcc
	s_cbranch_execz .LBB262_184
; %bb.181:                              ;   in Loop: Header=BB262_12 Depth=1
	v_and_b32_e32 v1, 0x7f, v3
	v_cmp_ne_u32_e32 vcc, s45, v1
	v_mov_b32_e32 v2, 0x7c010000
	buffer_store_dword v2, off, s[0:3], s32 offset:216 ; 4-byte Folded Spill
	s_and_saveexec_b64 s[42:43], vcc
	s_cbranch_execz .LBB262_183
; %bb.182:                              ;   in Loop: Header=BB262_12 Depth=1
	v_and_b32_e32 v5, 7, v3
	v_lshrrev_b32_e32 v6, 3, v1
	v_cmp_gt_u32_e32 vcc, 8, v1
	v_ffbh_u32_e32 v1, v5
	v_min_u32_e32 v7, 32, v1
	v_subrev_u32_e32 v1, 28, v7
	v_lshlrev_b64 v[1:2], v1, v[3:4]
	v_sub_u32_e32 v2, 29, v7
	v_cndmask_b32_e32 v2, v6, v2, vcc
	v_mov_b32_e32 v6, 0x2000
	v_lshlrev_b32_e32 v3, 8, v3
	v_lshl_add_u32 v2, v2, 10, v6
	v_and_b32_e32 v1, 7, v1
	v_and_or_b32 v2, v3, s46, v2
	v_cndmask_b32_e32 v1, v5, v1, vcc
	v_lshlrev_b32_e32 v2, 16, v2
	v_lshl_or_b32 v1, v1, 23, v2
	buffer_store_dword v1, off, s[0:3], s32 offset:216 ; 4-byte Folded Spill
.LBB262_183:                            ;   in Loop: Header=BB262_12 Depth=1
	s_or_b64 exec, exec, s[42:43]
.LBB262_184:                            ;   in Loop: Header=BB262_12 Depth=1
	s_or_b64 exec, exec, s[40:41]
.LBB262_185:                            ;   in Loop: Header=BB262_12 Depth=1
	s_or_b64 exec, exec, s[28:29]
	flat_load_dword v5, v[27:28] offset:1544
	v_mov_b32_e32 v1, 0
	buffer_store_dword v1, off, s[0:3], s32 offset:224 ; 4-byte Folded Spill
	v_mov_b32_e32 v1, 0
	buffer_store_dword v1, off, s[0:3], s32 offset:228 ; 4-byte Folded Spill
	s_waitcnt vmcnt(0) lgkmcnt(0)
	v_cmp_ne_u16_sdwa s[40:41], v5, v4 src0_sel:BYTE_0 src1_sel:DWORD
	s_and_saveexec_b64 s[28:29], s[40:41]
	s_cbranch_execz .LBB262_191
; %bb.186:                              ;   in Loop: Header=BB262_12 Depth=1
	v_cmp_ne_u16_sdwa s[42:43], v5, s44 src0_sel:BYTE_0 src1_sel:DWORD
	v_mov_b32_e32 v1, 0x8000
	buffer_store_dword v1, off, s[0:3], s32 offset:228 ; 4-byte Folded Spill
	s_and_saveexec_b64 s[40:41], s[42:43]
	s_cbranch_execz .LBB262_190
; %bb.187:                              ;   in Loop: Header=BB262_12 Depth=1
	v_and_b32_e32 v1, 0x7f, v5
	v_cmp_ne_u32_e32 vcc, s45, v1
	v_mov_b32_e32 v2, 0x7c01
	buffer_store_dword v2, off, s[0:3], s32 offset:228 ; 4-byte Folded Spill
	s_and_saveexec_b64 s[42:43], vcc
	s_cbranch_execz .LBB262_189
; %bb.188:                              ;   in Loop: Header=BB262_12 Depth=1
	v_and_b32_e32 v3, 7, v5
	v_lshrrev_b32_e32 v6, 3, v1
	v_cmp_gt_u32_e32 vcc, 8, v1
	v_ffbh_u32_e32 v1, v3
	v_min_u32_e32 v7, 32, v1
	v_subrev_u32_e32 v1, 28, v7
	v_lshlrev_b64 v[1:2], v1, v[5:6]
	v_sub_u32_e32 v2, 29, v7
	v_cndmask_b32_e32 v2, v6, v2, vcc
	v_mov_b32_e32 v7, 0x2000
	v_lshl_add_u32 v2, v2, 10, v7
	v_lshlrev_b32_e32 v6, 8, v5
	v_and_b32_e32 v1, 7, v1
	v_and_b32_e32 v2, 0xfc00, v2
	v_cndmask_b32_e32 v1, v3, v1, vcc
	v_and_or_b32 v2, v6, s46, v2
	v_lshl_or_b32 v1, v1, 7, v2
	buffer_store_dword v1, off, s[0:3], s32 offset:228 ; 4-byte Folded Spill
.LBB262_189:                            ;   in Loop: Header=BB262_12 Depth=1
	s_or_b64 exec, exec, s[42:43]
.LBB262_190:                            ;   in Loop: Header=BB262_12 Depth=1
	s_or_b64 exec, exec, s[40:41]
.LBB262_191:                            ;   in Loop: Header=BB262_12 Depth=1
	s_or_b64 exec, exec, s[28:29]
	v_lshrrev_b16_e32 v3, 8, v5
	v_cmp_ne_u16_e32 vcc, 0, v3
	s_and_saveexec_b64 s[28:29], vcc
	s_cbranch_execz .LBB262_197
; %bb.192:                              ;   in Loop: Header=BB262_12 Depth=1
	v_cmp_ne_u16_e32 vcc, s44, v3
	v_bfrev_b32_e32 v1, 1
	buffer_store_dword v1, off, s[0:3], s32 offset:224 ; 4-byte Folded Spill
	s_and_saveexec_b64 s[40:41], vcc
	s_cbranch_execz .LBB262_196
; %bb.193:                              ;   in Loop: Header=BB262_12 Depth=1
	v_and_b32_e32 v1, 0x7f, v3
	v_cmp_ne_u32_e32 vcc, s45, v1
	v_mov_b32_e32 v2, 0x7c010000
	buffer_store_dword v2, off, s[0:3], s32 offset:224 ; 4-byte Folded Spill
	s_and_saveexec_b64 s[42:43], vcc
	s_cbranch_execz .LBB262_195
; %bb.194:                              ;   in Loop: Header=BB262_12 Depth=1
	v_and_b32_e32 v6, 7, v3
	v_lshrrev_b32_e32 v7, 3, v1
	v_cmp_gt_u32_e32 vcc, 8, v1
	v_ffbh_u32_e32 v1, v6
	v_min_u32_e32 v8, 32, v1
	v_subrev_u32_e32 v1, 28, v8
	v_lshlrev_b64 v[1:2], v1, v[3:4]
	v_sub_u32_e32 v2, 29, v8
	v_cndmask_b32_e32 v2, v7, v2, vcc
	v_mov_b32_e32 v7, 0x2000
	v_lshlrev_b32_e32 v3, 8, v3
	v_lshl_add_u32 v2, v2, 10, v7
	v_and_b32_e32 v1, 7, v1
	v_and_or_b32 v2, v3, s46, v2
	v_cndmask_b32_e32 v1, v6, v1, vcc
	v_lshlrev_b32_e32 v2, 16, v2
	v_lshl_or_b32 v1, v1, 23, v2
	buffer_store_dword v1, off, s[0:3], s32 offset:224 ; 4-byte Folded Spill
.LBB262_195:                            ;   in Loop: Header=BB262_12 Depth=1
	s_or_b64 exec, exec, s[42:43]
.LBB262_196:                            ;   in Loop: Header=BB262_12 Depth=1
	s_or_b64 exec, exec, s[40:41]
.LBB262_197:                            ;   in Loop: Header=BB262_12 Depth=1
	s_or_b64 exec, exec, s[28:29]
	v_lshrrev_b32_e32 v3, 16, v5
	v_mov_b32_e32 v1, 0
	v_cmp_ne_u16_sdwa s[40:41], v3, v4 src0_sel:BYTE_0 src1_sel:DWORD
	buffer_store_dword v1, off, s[0:3], s32 offset:232 ; 4-byte Folded Spill
	v_mov_b32_e32 v1, 0
	buffer_store_dword v1, off, s[0:3], s32 offset:236 ; 4-byte Folded Spill
	s_and_saveexec_b64 s[28:29], s[40:41]
	s_cbranch_execz .LBB262_203
; %bb.198:                              ;   in Loop: Header=BB262_12 Depth=1
	v_cmp_ne_u16_sdwa s[42:43], v3, s44 src0_sel:BYTE_0 src1_sel:DWORD
	v_mov_b32_e32 v1, 0x8000
	buffer_store_dword v1, off, s[0:3], s32 offset:236 ; 4-byte Folded Spill
	s_and_saveexec_b64 s[40:41], s[42:43]
	s_cbranch_execz .LBB262_202
; %bb.199:                              ;   in Loop: Header=BB262_12 Depth=1
	v_bfe_u32 v1, v5, 16, 7
	v_cmp_ne_u32_e32 vcc, s45, v1
	v_mov_b32_e32 v2, 0x7c01
	buffer_store_dword v2, off, s[0:3], s32 offset:236 ; 4-byte Folded Spill
	s_and_saveexec_b64 s[42:43], vcc
	s_cbranch_execz .LBB262_201
; %bb.200:                              ;   in Loop: Header=BB262_12 Depth=1
	v_and_b32_e32 v6, 7, v3
	v_lshrrev_b32_e32 v7, 3, v1
	v_cmp_gt_u32_e32 vcc, 8, v1
	v_ffbh_u32_e32 v1, v6
	v_min_u32_e32 v8, 32, v1
	v_subrev_u32_e32 v1, 28, v8
	v_lshlrev_b64 v[1:2], v1, v[3:4]
	v_sub_u32_e32 v2, 29, v8
	v_cndmask_b32_e32 v2, v7, v2, vcc
	v_mov_b32_e32 v7, 0x2000
	v_lshl_add_u32 v2, v2, 10, v7
	v_lshlrev_b32_e32 v3, 8, v3
	v_and_b32_e32 v1, 7, v1
	v_and_b32_e32 v2, 0xfc00, v2
	v_cndmask_b32_e32 v1, v6, v1, vcc
	v_and_or_b32 v2, v3, s46, v2
	v_lshl_or_b32 v1, v1, 7, v2
	buffer_store_dword v1, off, s[0:3], s32 offset:236 ; 4-byte Folded Spill
.LBB262_201:                            ;   in Loop: Header=BB262_12 Depth=1
	s_or_b64 exec, exec, s[42:43]
.LBB262_202:                            ;   in Loop: Header=BB262_12 Depth=1
	s_or_b64 exec, exec, s[40:41]
.LBB262_203:                            ;   in Loop: Header=BB262_12 Depth=1
	s_or_b64 exec, exec, s[28:29]
	v_cmp_lt_u32_e32 vcc, s47, v5
	s_and_saveexec_b64 s[28:29], vcc
	s_cbranch_execz .LBB262_209
; %bb.204:                              ;   in Loop: Header=BB262_12 Depth=1
	v_lshrrev_b32_e32 v3, 24, v5
	v_cmp_ne_u32_e32 vcc, s44, v3
	v_bfrev_b32_e32 v1, 1
	buffer_store_dword v1, off, s[0:3], s32 offset:232 ; 4-byte Folded Spill
	s_and_saveexec_b64 s[40:41], vcc
	s_cbranch_execz .LBB262_208
; %bb.205:                              ;   in Loop: Header=BB262_12 Depth=1
	v_and_b32_e32 v1, 0x7f, v3
	v_cmp_ne_u32_e32 vcc, s45, v1
	v_mov_b32_e32 v2, 0x7c010000
	buffer_store_dword v2, off, s[0:3], s32 offset:232 ; 4-byte Folded Spill
	s_and_saveexec_b64 s[42:43], vcc
	s_cbranch_execz .LBB262_207
; %bb.206:                              ;   in Loop: Header=BB262_12 Depth=1
	v_and_b32_e32 v5, 7, v3
	v_lshrrev_b32_e32 v6, 3, v1
	v_cmp_gt_u32_e32 vcc, 8, v1
	v_ffbh_u32_e32 v1, v5
	v_min_u32_e32 v7, 32, v1
	v_subrev_u32_e32 v1, 28, v7
	v_lshlrev_b64 v[1:2], v1, v[3:4]
	v_sub_u32_e32 v2, 29, v7
	v_cndmask_b32_e32 v2, v6, v2, vcc
	v_mov_b32_e32 v6, 0x2000
	v_lshlrev_b32_e32 v3, 8, v3
	v_lshl_add_u32 v2, v2, 10, v6
	v_and_b32_e32 v1, 7, v1
	v_and_or_b32 v2, v3, s46, v2
	v_cndmask_b32_e32 v1, v5, v1, vcc
	v_lshlrev_b32_e32 v2, 16, v2
	v_lshl_or_b32 v1, v1, 23, v2
	buffer_store_dword v1, off, s[0:3], s32 offset:232 ; 4-byte Folded Spill
.LBB262_207:                            ;   in Loop: Header=BB262_12 Depth=1
	s_or_b64 exec, exec, s[42:43]
.LBB262_208:                            ;   in Loop: Header=BB262_12 Depth=1
	s_or_b64 exec, exec, s[40:41]
.LBB262_209:                            ;   in Loop: Header=BB262_12 Depth=1
	s_or_b64 exec, exec, s[28:29]
	flat_load_dword v5, v[27:28] offset:2048
	v_mov_b32_e32 v1, 0
	buffer_store_dword v1, off, s[0:3], s32 offset:240 ; 4-byte Folded Spill
	v_mov_b32_e32 v1, 0
	buffer_store_dword v1, off, s[0:3], s32 offset:244 ; 4-byte Folded Spill
	s_waitcnt vmcnt(0) lgkmcnt(0)
	v_cmp_ne_u16_sdwa s[40:41], v5, v4 src0_sel:BYTE_0 src1_sel:DWORD
	s_and_saveexec_b64 s[28:29], s[40:41]
	s_cbranch_execz .LBB262_215
; %bb.210:                              ;   in Loop: Header=BB262_12 Depth=1
	v_cmp_ne_u16_sdwa s[42:43], v5, s44 src0_sel:BYTE_0 src1_sel:DWORD
	v_mov_b32_e32 v1, 0x8000
	buffer_store_dword v1, off, s[0:3], s32 offset:244 ; 4-byte Folded Spill
	s_and_saveexec_b64 s[40:41], s[42:43]
	s_cbranch_execz .LBB262_214
; %bb.211:                              ;   in Loop: Header=BB262_12 Depth=1
	v_and_b32_e32 v1, 0x7f, v5
	v_cmp_ne_u32_e32 vcc, s45, v1
	v_mov_b32_e32 v2, 0x7c01
	buffer_store_dword v2, off, s[0:3], s32 offset:244 ; 4-byte Folded Spill
	s_and_saveexec_b64 s[42:43], vcc
	s_cbranch_execz .LBB262_213
; %bb.212:                              ;   in Loop: Header=BB262_12 Depth=1
	v_and_b32_e32 v3, 7, v5
	v_lshrrev_b32_e32 v6, 3, v1
	v_cmp_gt_u32_e32 vcc, 8, v1
	v_ffbh_u32_e32 v1, v3
	v_min_u32_e32 v7, 32, v1
	v_subrev_u32_e32 v1, 28, v7
	v_lshlrev_b64 v[1:2], v1, v[5:6]
	v_sub_u32_e32 v2, 29, v7
	v_cndmask_b32_e32 v2, v6, v2, vcc
	v_mov_b32_e32 v7, 0x2000
	v_lshl_add_u32 v2, v2, 10, v7
	v_lshlrev_b32_e32 v6, 8, v5
	v_and_b32_e32 v1, 7, v1
	v_and_b32_e32 v2, 0xfc00, v2
	v_cndmask_b32_e32 v1, v3, v1, vcc
	v_and_or_b32 v2, v6, s46, v2
	v_lshl_or_b32 v1, v1, 7, v2
	buffer_store_dword v1, off, s[0:3], s32 offset:244 ; 4-byte Folded Spill
.LBB262_213:                            ;   in Loop: Header=BB262_12 Depth=1
	s_or_b64 exec, exec, s[42:43]
.LBB262_214:                            ;   in Loop: Header=BB262_12 Depth=1
	s_or_b64 exec, exec, s[40:41]
.LBB262_215:                            ;   in Loop: Header=BB262_12 Depth=1
	s_or_b64 exec, exec, s[28:29]
	v_lshrrev_b16_e32 v3, 8, v5
	v_cmp_ne_u16_e32 vcc, 0, v3
	s_and_saveexec_b64 s[28:29], vcc
	s_cbranch_execz .LBB262_221
; %bb.216:                              ;   in Loop: Header=BB262_12 Depth=1
	v_cmp_ne_u16_e32 vcc, s44, v3
	v_bfrev_b32_e32 v1, 1
	buffer_store_dword v1, off, s[0:3], s32 offset:240 ; 4-byte Folded Spill
	s_and_saveexec_b64 s[40:41], vcc
	s_cbranch_execz .LBB262_220
; %bb.217:                              ;   in Loop: Header=BB262_12 Depth=1
	v_and_b32_e32 v1, 0x7f, v3
	v_cmp_ne_u32_e32 vcc, s45, v1
	v_mov_b32_e32 v2, 0x7c010000
	buffer_store_dword v2, off, s[0:3], s32 offset:240 ; 4-byte Folded Spill
	s_and_saveexec_b64 s[42:43], vcc
	s_cbranch_execz .LBB262_219
; %bb.218:                              ;   in Loop: Header=BB262_12 Depth=1
	v_and_b32_e32 v6, 7, v3
	v_lshrrev_b32_e32 v7, 3, v1
	v_cmp_gt_u32_e32 vcc, 8, v1
	v_ffbh_u32_e32 v1, v6
	v_min_u32_e32 v8, 32, v1
	v_subrev_u32_e32 v1, 28, v8
	v_lshlrev_b64 v[1:2], v1, v[3:4]
	v_sub_u32_e32 v2, 29, v8
	v_cndmask_b32_e32 v2, v7, v2, vcc
	v_mov_b32_e32 v7, 0x2000
	v_lshlrev_b32_e32 v3, 8, v3
	v_lshl_add_u32 v2, v2, 10, v7
	v_and_b32_e32 v1, 7, v1
	v_and_or_b32 v2, v3, s46, v2
	v_cndmask_b32_e32 v1, v6, v1, vcc
	v_lshlrev_b32_e32 v2, 16, v2
	v_lshl_or_b32 v1, v1, 23, v2
	buffer_store_dword v1, off, s[0:3], s32 offset:240 ; 4-byte Folded Spill
.LBB262_219:                            ;   in Loop: Header=BB262_12 Depth=1
	s_or_b64 exec, exec, s[42:43]
.LBB262_220:                            ;   in Loop: Header=BB262_12 Depth=1
	s_or_b64 exec, exec, s[40:41]
.LBB262_221:                            ;   in Loop: Header=BB262_12 Depth=1
	s_or_b64 exec, exec, s[28:29]
	v_lshrrev_b32_e32 v3, 16, v5
	v_mov_b32_e32 v1, 0
	v_cmp_ne_u16_sdwa s[40:41], v3, v4 src0_sel:BYTE_0 src1_sel:DWORD
	buffer_store_dword v1, off, s[0:3], s32 offset:248 ; 4-byte Folded Spill
	v_mov_b32_e32 v1, 0
	buffer_store_dword v1, off, s[0:3], s32 offset:252 ; 4-byte Folded Spill
	s_and_saveexec_b64 s[28:29], s[40:41]
	s_cbranch_execz .LBB262_227
; %bb.222:                              ;   in Loop: Header=BB262_12 Depth=1
	v_cmp_ne_u16_sdwa s[42:43], v3, s44 src0_sel:BYTE_0 src1_sel:DWORD
	v_mov_b32_e32 v1, 0x8000
	buffer_store_dword v1, off, s[0:3], s32 offset:252 ; 4-byte Folded Spill
	s_and_saveexec_b64 s[40:41], s[42:43]
	s_cbranch_execz .LBB262_226
; %bb.223:                              ;   in Loop: Header=BB262_12 Depth=1
	v_bfe_u32 v1, v5, 16, 7
	v_cmp_ne_u32_e32 vcc, s45, v1
	v_mov_b32_e32 v2, 0x7c01
	buffer_store_dword v2, off, s[0:3], s32 offset:252 ; 4-byte Folded Spill
	s_and_saveexec_b64 s[42:43], vcc
	s_cbranch_execz .LBB262_225
; %bb.224:                              ;   in Loop: Header=BB262_12 Depth=1
	v_and_b32_e32 v6, 7, v3
	v_lshrrev_b32_e32 v7, 3, v1
	v_cmp_gt_u32_e32 vcc, 8, v1
	v_ffbh_u32_e32 v1, v6
	v_min_u32_e32 v8, 32, v1
	v_subrev_u32_e32 v1, 28, v8
	v_lshlrev_b64 v[1:2], v1, v[3:4]
	v_sub_u32_e32 v2, 29, v8
	v_cndmask_b32_e32 v2, v7, v2, vcc
	v_mov_b32_e32 v7, 0x2000
	v_lshl_add_u32 v2, v2, 10, v7
	v_lshlrev_b32_e32 v3, 8, v3
	v_and_b32_e32 v1, 7, v1
	v_and_b32_e32 v2, 0xfc00, v2
	v_cndmask_b32_e32 v1, v6, v1, vcc
	v_and_or_b32 v2, v3, s46, v2
	v_lshl_or_b32 v1, v1, 7, v2
	buffer_store_dword v1, off, s[0:3], s32 offset:252 ; 4-byte Folded Spill
.LBB262_225:                            ;   in Loop: Header=BB262_12 Depth=1
	s_or_b64 exec, exec, s[42:43]
.LBB262_226:                            ;   in Loop: Header=BB262_12 Depth=1
	s_or_b64 exec, exec, s[40:41]
.LBB262_227:                            ;   in Loop: Header=BB262_12 Depth=1
	s_or_b64 exec, exec, s[28:29]
	v_cmp_lt_u32_e32 vcc, s47, v5
	s_and_saveexec_b64 s[28:29], vcc
	s_cbranch_execz .LBB262_233
; %bb.228:                              ;   in Loop: Header=BB262_12 Depth=1
	v_lshrrev_b32_e32 v3, 24, v5
	v_cmp_ne_u32_e32 vcc, s44, v3
	v_bfrev_b32_e32 v1, 1
	buffer_store_dword v1, off, s[0:3], s32 offset:248 ; 4-byte Folded Spill
	s_and_saveexec_b64 s[40:41], vcc
	s_cbranch_execz .LBB262_232
; %bb.229:                              ;   in Loop: Header=BB262_12 Depth=1
	v_and_b32_e32 v1, 0x7f, v3
	v_cmp_ne_u32_e32 vcc, s45, v1
	v_mov_b32_e32 v2, 0x7c010000
	buffer_store_dword v2, off, s[0:3], s32 offset:248 ; 4-byte Folded Spill
	s_and_saveexec_b64 s[42:43], vcc
	s_cbranch_execz .LBB262_231
; %bb.230:                              ;   in Loop: Header=BB262_12 Depth=1
	v_and_b32_e32 v5, 7, v3
	v_lshrrev_b32_e32 v6, 3, v1
	v_cmp_gt_u32_e32 vcc, 8, v1
	v_ffbh_u32_e32 v1, v5
	v_min_u32_e32 v7, 32, v1
	v_subrev_u32_e32 v1, 28, v7
	v_lshlrev_b64 v[1:2], v1, v[3:4]
	v_sub_u32_e32 v2, 29, v7
	v_cndmask_b32_e32 v2, v6, v2, vcc
	v_mov_b32_e32 v6, 0x2000
	v_lshlrev_b32_e32 v3, 8, v3
	v_lshl_add_u32 v2, v2, 10, v6
	v_and_b32_e32 v1, 7, v1
	v_and_or_b32 v2, v3, s46, v2
	v_cndmask_b32_e32 v1, v5, v1, vcc
	v_lshlrev_b32_e32 v2, 16, v2
	v_lshl_or_b32 v1, v1, 23, v2
	buffer_store_dword v1, off, s[0:3], s32 offset:248 ; 4-byte Folded Spill
.LBB262_231:                            ;   in Loop: Header=BB262_12 Depth=1
	s_or_b64 exec, exec, s[42:43]
.LBB262_232:                            ;   in Loop: Header=BB262_12 Depth=1
	s_or_b64 exec, exec, s[40:41]
.LBB262_233:                            ;   in Loop: Header=BB262_12 Depth=1
	s_or_b64 exec, exec, s[28:29]
	flat_load_dword v5, v[27:28] offset:2056
	v_mov_b32_e32 v1, 0
	buffer_store_dword v1, off, s[0:3], s32 offset:256 ; 4-byte Folded Spill
	v_mov_b32_e32 v1, 0
	buffer_store_dword v1, off, s[0:3], s32 offset:260 ; 4-byte Folded Spill
	s_waitcnt vmcnt(0) lgkmcnt(0)
	v_cmp_ne_u16_sdwa s[40:41], v5, v4 src0_sel:BYTE_0 src1_sel:DWORD
	s_and_saveexec_b64 s[28:29], s[40:41]
	s_cbranch_execz .LBB262_239
; %bb.234:                              ;   in Loop: Header=BB262_12 Depth=1
	v_cmp_ne_u16_sdwa s[42:43], v5, s44 src0_sel:BYTE_0 src1_sel:DWORD
	v_mov_b32_e32 v1, 0x8000
	buffer_store_dword v1, off, s[0:3], s32 offset:260 ; 4-byte Folded Spill
	s_and_saveexec_b64 s[40:41], s[42:43]
	s_cbranch_execz .LBB262_238
; %bb.235:                              ;   in Loop: Header=BB262_12 Depth=1
	v_and_b32_e32 v1, 0x7f, v5
	v_cmp_ne_u32_e32 vcc, s45, v1
	v_mov_b32_e32 v2, 0x7c01
	buffer_store_dword v2, off, s[0:3], s32 offset:260 ; 4-byte Folded Spill
	s_and_saveexec_b64 s[42:43], vcc
	s_cbranch_execz .LBB262_237
; %bb.236:                              ;   in Loop: Header=BB262_12 Depth=1
	v_and_b32_e32 v3, 7, v5
	v_lshrrev_b32_e32 v6, 3, v1
	v_cmp_gt_u32_e32 vcc, 8, v1
	v_ffbh_u32_e32 v1, v3
	v_min_u32_e32 v7, 32, v1
	v_subrev_u32_e32 v1, 28, v7
	v_lshlrev_b64 v[1:2], v1, v[5:6]
	v_sub_u32_e32 v2, 29, v7
	v_cndmask_b32_e32 v2, v6, v2, vcc
	v_mov_b32_e32 v7, 0x2000
	v_lshl_add_u32 v2, v2, 10, v7
	v_lshlrev_b32_e32 v6, 8, v5
	v_and_b32_e32 v1, 7, v1
	v_and_b32_e32 v2, 0xfc00, v2
	v_cndmask_b32_e32 v1, v3, v1, vcc
	v_and_or_b32 v2, v6, s46, v2
	v_lshl_or_b32 v1, v1, 7, v2
	buffer_store_dword v1, off, s[0:3], s32 offset:260 ; 4-byte Folded Spill
.LBB262_237:                            ;   in Loop: Header=BB262_12 Depth=1
	s_or_b64 exec, exec, s[42:43]
.LBB262_238:                            ;   in Loop: Header=BB262_12 Depth=1
	s_or_b64 exec, exec, s[40:41]
.LBB262_239:                            ;   in Loop: Header=BB262_12 Depth=1
	s_or_b64 exec, exec, s[28:29]
	v_lshrrev_b16_e32 v3, 8, v5
	v_cmp_ne_u16_e32 vcc, 0, v3
	s_and_saveexec_b64 s[28:29], vcc
	s_cbranch_execz .LBB262_245
; %bb.240:                              ;   in Loop: Header=BB262_12 Depth=1
	v_cmp_ne_u16_e32 vcc, s44, v3
	v_bfrev_b32_e32 v1, 1
	buffer_store_dword v1, off, s[0:3], s32 offset:256 ; 4-byte Folded Spill
	s_and_saveexec_b64 s[40:41], vcc
	s_cbranch_execz .LBB262_244
; %bb.241:                              ;   in Loop: Header=BB262_12 Depth=1
	v_and_b32_e32 v1, 0x7f, v3
	v_cmp_ne_u32_e32 vcc, s45, v1
	v_mov_b32_e32 v2, 0x7c010000
	buffer_store_dword v2, off, s[0:3], s32 offset:256 ; 4-byte Folded Spill
	s_and_saveexec_b64 s[42:43], vcc
	s_cbranch_execz .LBB262_243
; %bb.242:                              ;   in Loop: Header=BB262_12 Depth=1
	v_and_b32_e32 v6, 7, v3
	v_lshrrev_b32_e32 v7, 3, v1
	v_cmp_gt_u32_e32 vcc, 8, v1
	v_ffbh_u32_e32 v1, v6
	v_min_u32_e32 v8, 32, v1
	v_subrev_u32_e32 v1, 28, v8
	v_lshlrev_b64 v[1:2], v1, v[3:4]
	v_sub_u32_e32 v2, 29, v8
	v_cndmask_b32_e32 v2, v7, v2, vcc
	v_mov_b32_e32 v7, 0x2000
	v_lshlrev_b32_e32 v3, 8, v3
	v_lshl_add_u32 v2, v2, 10, v7
	v_and_b32_e32 v1, 7, v1
	v_and_or_b32 v2, v3, s46, v2
	v_cndmask_b32_e32 v1, v6, v1, vcc
	v_lshlrev_b32_e32 v2, 16, v2
	v_lshl_or_b32 v1, v1, 23, v2
	buffer_store_dword v1, off, s[0:3], s32 offset:256 ; 4-byte Folded Spill
.LBB262_243:                            ;   in Loop: Header=BB262_12 Depth=1
	s_or_b64 exec, exec, s[42:43]
.LBB262_244:                            ;   in Loop: Header=BB262_12 Depth=1
	s_or_b64 exec, exec, s[40:41]
.LBB262_245:                            ;   in Loop: Header=BB262_12 Depth=1
	s_or_b64 exec, exec, s[28:29]
	v_lshrrev_b32_e32 v3, 16, v5
	v_mov_b32_e32 v1, 0
	v_cmp_ne_u16_sdwa s[40:41], v3, v4 src0_sel:BYTE_0 src1_sel:DWORD
	buffer_store_dword v1, off, s[0:3], s32 offset:264 ; 4-byte Folded Spill
	v_mov_b32_e32 v1, 0
	buffer_store_dword v1, off, s[0:3], s32 offset:268 ; 4-byte Folded Spill
	s_and_saveexec_b64 s[28:29], s[40:41]
	s_cbranch_execz .LBB262_251
; %bb.246:                              ;   in Loop: Header=BB262_12 Depth=1
	v_cmp_ne_u16_sdwa s[42:43], v3, s44 src0_sel:BYTE_0 src1_sel:DWORD
	v_mov_b32_e32 v1, 0x8000
	buffer_store_dword v1, off, s[0:3], s32 offset:268 ; 4-byte Folded Spill
	s_and_saveexec_b64 s[40:41], s[42:43]
	s_cbranch_execz .LBB262_250
; %bb.247:                              ;   in Loop: Header=BB262_12 Depth=1
	v_bfe_u32 v1, v5, 16, 7
	v_cmp_ne_u32_e32 vcc, s45, v1
	v_mov_b32_e32 v2, 0x7c01
	buffer_store_dword v2, off, s[0:3], s32 offset:268 ; 4-byte Folded Spill
	s_and_saveexec_b64 s[42:43], vcc
	s_cbranch_execz .LBB262_249
; %bb.248:                              ;   in Loop: Header=BB262_12 Depth=1
	v_and_b32_e32 v6, 7, v3
	v_lshrrev_b32_e32 v7, 3, v1
	v_cmp_gt_u32_e32 vcc, 8, v1
	v_ffbh_u32_e32 v1, v6
	v_min_u32_e32 v8, 32, v1
	v_subrev_u32_e32 v1, 28, v8
	v_lshlrev_b64 v[1:2], v1, v[3:4]
	v_sub_u32_e32 v2, 29, v8
	v_cndmask_b32_e32 v2, v7, v2, vcc
	v_mov_b32_e32 v7, 0x2000
	v_lshl_add_u32 v2, v2, 10, v7
	v_lshlrev_b32_e32 v3, 8, v3
	v_and_b32_e32 v1, 7, v1
	v_and_b32_e32 v2, 0xfc00, v2
	v_cndmask_b32_e32 v1, v6, v1, vcc
	v_and_or_b32 v2, v3, s46, v2
	v_lshl_or_b32 v1, v1, 7, v2
	buffer_store_dword v1, off, s[0:3], s32 offset:268 ; 4-byte Folded Spill
.LBB262_249:                            ;   in Loop: Header=BB262_12 Depth=1
	s_or_b64 exec, exec, s[42:43]
.LBB262_250:                            ;   in Loop: Header=BB262_12 Depth=1
	s_or_b64 exec, exec, s[40:41]
.LBB262_251:                            ;   in Loop: Header=BB262_12 Depth=1
	s_or_b64 exec, exec, s[28:29]
	v_cmp_lt_u32_e32 vcc, s47, v5
	s_and_saveexec_b64 s[28:29], vcc
	s_cbranch_execz .LBB262_257
; %bb.252:                              ;   in Loop: Header=BB262_12 Depth=1
	v_lshrrev_b32_e32 v3, 24, v5
	v_cmp_ne_u32_e32 vcc, s44, v3
	v_bfrev_b32_e32 v1, 1
	buffer_store_dword v1, off, s[0:3], s32 offset:264 ; 4-byte Folded Spill
	s_and_saveexec_b64 s[40:41], vcc
	s_cbranch_execz .LBB262_256
; %bb.253:                              ;   in Loop: Header=BB262_12 Depth=1
	v_and_b32_e32 v1, 0x7f, v3
	v_cmp_ne_u32_e32 vcc, s45, v1
	v_mov_b32_e32 v2, 0x7c010000
	buffer_store_dword v2, off, s[0:3], s32 offset:264 ; 4-byte Folded Spill
	s_and_saveexec_b64 s[42:43], vcc
	s_cbranch_execz .LBB262_255
; %bb.254:                              ;   in Loop: Header=BB262_12 Depth=1
	v_and_b32_e32 v5, 7, v3
	v_lshrrev_b32_e32 v6, 3, v1
	v_cmp_gt_u32_e32 vcc, 8, v1
	v_ffbh_u32_e32 v1, v5
	v_min_u32_e32 v7, 32, v1
	v_subrev_u32_e32 v1, 28, v7
	v_lshlrev_b64 v[1:2], v1, v[3:4]
	v_sub_u32_e32 v2, 29, v7
	v_cndmask_b32_e32 v2, v6, v2, vcc
	v_mov_b32_e32 v6, 0x2000
	v_lshlrev_b32_e32 v3, 8, v3
	v_lshl_add_u32 v2, v2, 10, v6
	v_and_b32_e32 v1, 7, v1
	v_and_or_b32 v2, v3, s46, v2
	v_cndmask_b32_e32 v1, v5, v1, vcc
	v_lshlrev_b32_e32 v2, 16, v2
	v_lshl_or_b32 v1, v1, 23, v2
	buffer_store_dword v1, off, s[0:3], s32 offset:264 ; 4-byte Folded Spill
.LBB262_255:                            ;   in Loop: Header=BB262_12 Depth=1
	s_or_b64 exec, exec, s[42:43]
.LBB262_256:                            ;   in Loop: Header=BB262_12 Depth=1
	s_or_b64 exec, exec, s[40:41]
.LBB262_257:                            ;   in Loop: Header=BB262_12 Depth=1
	s_or_b64 exec, exec, s[28:29]
	flat_load_dword v5, v[27:28] offset:2560
	v_mov_b32_e32 v1, 0
	buffer_store_dword v1, off, s[0:3], s32 offset:272 ; 4-byte Folded Spill
	v_mov_b32_e32 v1, 0
	buffer_store_dword v1, off, s[0:3], s32 offset:276 ; 4-byte Folded Spill
	s_waitcnt vmcnt(0) lgkmcnt(0)
	v_cmp_ne_u16_sdwa s[40:41], v5, v4 src0_sel:BYTE_0 src1_sel:DWORD
	s_and_saveexec_b64 s[28:29], s[40:41]
	s_cbranch_execz .LBB262_263
; %bb.258:                              ;   in Loop: Header=BB262_12 Depth=1
	v_cmp_ne_u16_sdwa s[42:43], v5, s44 src0_sel:BYTE_0 src1_sel:DWORD
	v_mov_b32_e32 v1, 0x8000
	buffer_store_dword v1, off, s[0:3], s32 offset:276 ; 4-byte Folded Spill
	s_and_saveexec_b64 s[40:41], s[42:43]
	s_cbranch_execz .LBB262_262
; %bb.259:                              ;   in Loop: Header=BB262_12 Depth=1
	v_and_b32_e32 v1, 0x7f, v5
	v_cmp_ne_u32_e32 vcc, s45, v1
	v_mov_b32_e32 v2, 0x7c01
	buffer_store_dword v2, off, s[0:3], s32 offset:276 ; 4-byte Folded Spill
	s_and_saveexec_b64 s[42:43], vcc
	s_cbranch_execz .LBB262_261
; %bb.260:                              ;   in Loop: Header=BB262_12 Depth=1
	v_and_b32_e32 v3, 7, v5
	v_lshrrev_b32_e32 v6, 3, v1
	v_cmp_gt_u32_e32 vcc, 8, v1
	v_ffbh_u32_e32 v1, v3
	v_min_u32_e32 v7, 32, v1
	v_subrev_u32_e32 v1, 28, v7
	v_lshlrev_b64 v[1:2], v1, v[5:6]
	v_sub_u32_e32 v2, 29, v7
	v_cndmask_b32_e32 v2, v6, v2, vcc
	v_mov_b32_e32 v7, 0x2000
	v_lshl_add_u32 v2, v2, 10, v7
	v_lshlrev_b32_e32 v6, 8, v5
	v_and_b32_e32 v1, 7, v1
	v_and_b32_e32 v2, 0xfc00, v2
	v_cndmask_b32_e32 v1, v3, v1, vcc
	v_and_or_b32 v2, v6, s46, v2
	v_lshl_or_b32 v1, v1, 7, v2
	buffer_store_dword v1, off, s[0:3], s32 offset:276 ; 4-byte Folded Spill
.LBB262_261:                            ;   in Loop: Header=BB262_12 Depth=1
	s_or_b64 exec, exec, s[42:43]
.LBB262_262:                            ;   in Loop: Header=BB262_12 Depth=1
	s_or_b64 exec, exec, s[40:41]
.LBB262_263:                            ;   in Loop: Header=BB262_12 Depth=1
	s_or_b64 exec, exec, s[28:29]
	v_lshrrev_b16_e32 v3, 8, v5
	v_cmp_ne_u16_e32 vcc, 0, v3
	s_and_saveexec_b64 s[28:29], vcc
	s_cbranch_execz .LBB262_269
; %bb.264:                              ;   in Loop: Header=BB262_12 Depth=1
	v_cmp_ne_u16_e32 vcc, s44, v3
	v_bfrev_b32_e32 v1, 1
	buffer_store_dword v1, off, s[0:3], s32 offset:272 ; 4-byte Folded Spill
	s_and_saveexec_b64 s[40:41], vcc
	s_cbranch_execz .LBB262_268
; %bb.265:                              ;   in Loop: Header=BB262_12 Depth=1
	v_and_b32_e32 v1, 0x7f, v3
	v_cmp_ne_u32_e32 vcc, s45, v1
	v_mov_b32_e32 v2, 0x7c010000
	buffer_store_dword v2, off, s[0:3], s32 offset:272 ; 4-byte Folded Spill
	s_and_saveexec_b64 s[42:43], vcc
	s_cbranch_execz .LBB262_267
; %bb.266:                              ;   in Loop: Header=BB262_12 Depth=1
	v_and_b32_e32 v6, 7, v3
	v_lshrrev_b32_e32 v7, 3, v1
	v_cmp_gt_u32_e32 vcc, 8, v1
	v_ffbh_u32_e32 v1, v6
	v_min_u32_e32 v8, 32, v1
	v_subrev_u32_e32 v1, 28, v8
	v_lshlrev_b64 v[1:2], v1, v[3:4]
	v_sub_u32_e32 v2, 29, v8
	v_cndmask_b32_e32 v2, v7, v2, vcc
	v_mov_b32_e32 v7, 0x2000
	v_lshlrev_b32_e32 v3, 8, v3
	v_lshl_add_u32 v2, v2, 10, v7
	v_and_b32_e32 v1, 7, v1
	v_and_or_b32 v2, v3, s46, v2
	v_cndmask_b32_e32 v1, v6, v1, vcc
	v_lshlrev_b32_e32 v2, 16, v2
	v_lshl_or_b32 v1, v1, 23, v2
	buffer_store_dword v1, off, s[0:3], s32 offset:272 ; 4-byte Folded Spill
.LBB262_267:                            ;   in Loop: Header=BB262_12 Depth=1
	s_or_b64 exec, exec, s[42:43]
.LBB262_268:                            ;   in Loop: Header=BB262_12 Depth=1
	s_or_b64 exec, exec, s[40:41]
.LBB262_269:                            ;   in Loop: Header=BB262_12 Depth=1
	s_or_b64 exec, exec, s[28:29]
	v_lshrrev_b32_e32 v3, 16, v5
	v_mov_b32_e32 v1, 0
	v_cmp_ne_u16_sdwa s[40:41], v3, v4 src0_sel:BYTE_0 src1_sel:DWORD
	buffer_store_dword v1, off, s[0:3], s32 offset:280 ; 4-byte Folded Spill
	v_mov_b32_e32 v1, 0
	buffer_store_dword v1, off, s[0:3], s32 offset:284 ; 4-byte Folded Spill
	s_and_saveexec_b64 s[28:29], s[40:41]
	s_cbranch_execz .LBB262_275
; %bb.270:                              ;   in Loop: Header=BB262_12 Depth=1
	v_cmp_ne_u16_sdwa s[42:43], v3, s44 src0_sel:BYTE_0 src1_sel:DWORD
	v_mov_b32_e32 v1, 0x8000
	buffer_store_dword v1, off, s[0:3], s32 offset:284 ; 4-byte Folded Spill
	s_and_saveexec_b64 s[40:41], s[42:43]
	s_cbranch_execz .LBB262_274
; %bb.271:                              ;   in Loop: Header=BB262_12 Depth=1
	v_bfe_u32 v1, v5, 16, 7
	v_cmp_ne_u32_e32 vcc, s45, v1
	v_mov_b32_e32 v2, 0x7c01
	buffer_store_dword v2, off, s[0:3], s32 offset:284 ; 4-byte Folded Spill
	s_and_saveexec_b64 s[42:43], vcc
	s_cbranch_execz .LBB262_273
; %bb.272:                              ;   in Loop: Header=BB262_12 Depth=1
	v_and_b32_e32 v6, 7, v3
	v_lshrrev_b32_e32 v7, 3, v1
	v_cmp_gt_u32_e32 vcc, 8, v1
	v_ffbh_u32_e32 v1, v6
	v_min_u32_e32 v8, 32, v1
	v_subrev_u32_e32 v1, 28, v8
	v_lshlrev_b64 v[1:2], v1, v[3:4]
	v_sub_u32_e32 v2, 29, v8
	v_cndmask_b32_e32 v2, v7, v2, vcc
	v_mov_b32_e32 v7, 0x2000
	v_lshl_add_u32 v2, v2, 10, v7
	v_lshlrev_b32_e32 v3, 8, v3
	v_and_b32_e32 v1, 7, v1
	v_and_b32_e32 v2, 0xfc00, v2
	v_cndmask_b32_e32 v1, v6, v1, vcc
	v_and_or_b32 v2, v3, s46, v2
	v_lshl_or_b32 v1, v1, 7, v2
	buffer_store_dword v1, off, s[0:3], s32 offset:284 ; 4-byte Folded Spill
.LBB262_273:                            ;   in Loop: Header=BB262_12 Depth=1
	s_or_b64 exec, exec, s[42:43]
.LBB262_274:                            ;   in Loop: Header=BB262_12 Depth=1
	s_or_b64 exec, exec, s[40:41]
.LBB262_275:                            ;   in Loop: Header=BB262_12 Depth=1
	s_or_b64 exec, exec, s[28:29]
	v_cmp_lt_u32_e32 vcc, s47, v5
	s_and_saveexec_b64 s[28:29], vcc
	s_cbranch_execz .LBB262_281
; %bb.276:                              ;   in Loop: Header=BB262_12 Depth=1
	v_lshrrev_b32_e32 v3, 24, v5
	v_cmp_ne_u32_e32 vcc, s44, v3
	v_bfrev_b32_e32 v1, 1
	buffer_store_dword v1, off, s[0:3], s32 offset:280 ; 4-byte Folded Spill
	s_and_saveexec_b64 s[40:41], vcc
	s_cbranch_execz .LBB262_280
; %bb.277:                              ;   in Loop: Header=BB262_12 Depth=1
	v_and_b32_e32 v1, 0x7f, v3
	v_cmp_ne_u32_e32 vcc, s45, v1
	v_mov_b32_e32 v2, 0x7c010000
	buffer_store_dword v2, off, s[0:3], s32 offset:280 ; 4-byte Folded Spill
	s_and_saveexec_b64 s[42:43], vcc
	s_cbranch_execz .LBB262_279
; %bb.278:                              ;   in Loop: Header=BB262_12 Depth=1
	v_and_b32_e32 v5, 7, v3
	v_lshrrev_b32_e32 v6, 3, v1
	v_cmp_gt_u32_e32 vcc, 8, v1
	v_ffbh_u32_e32 v1, v5
	v_min_u32_e32 v7, 32, v1
	v_subrev_u32_e32 v1, 28, v7
	v_lshlrev_b64 v[1:2], v1, v[3:4]
	v_sub_u32_e32 v2, 29, v7
	v_cndmask_b32_e32 v2, v6, v2, vcc
	v_mov_b32_e32 v6, 0x2000
	v_lshlrev_b32_e32 v3, 8, v3
	v_lshl_add_u32 v2, v2, 10, v6
	v_and_b32_e32 v1, 7, v1
	v_and_or_b32 v2, v3, s46, v2
	v_cndmask_b32_e32 v1, v5, v1, vcc
	v_lshlrev_b32_e32 v2, 16, v2
	v_lshl_or_b32 v1, v1, 23, v2
	buffer_store_dword v1, off, s[0:3], s32 offset:280 ; 4-byte Folded Spill
.LBB262_279:                            ;   in Loop: Header=BB262_12 Depth=1
	s_or_b64 exec, exec, s[42:43]
.LBB262_280:                            ;   in Loop: Header=BB262_12 Depth=1
	s_or_b64 exec, exec, s[40:41]
.LBB262_281:                            ;   in Loop: Header=BB262_12 Depth=1
	s_or_b64 exec, exec, s[28:29]
	flat_load_dword v5, v[27:28] offset:2568
	v_mov_b32_e32 v1, 0
	buffer_store_dword v1, off, s[0:3], s32 offset:288 ; 4-byte Folded Spill
	v_mov_b32_e32 v1, 0
	buffer_store_dword v1, off, s[0:3], s32 offset:292 ; 4-byte Folded Spill
	s_waitcnt vmcnt(0) lgkmcnt(0)
	v_cmp_ne_u16_sdwa s[40:41], v5, v4 src0_sel:BYTE_0 src1_sel:DWORD
	s_and_saveexec_b64 s[28:29], s[40:41]
	s_cbranch_execz .LBB262_287
; %bb.282:                              ;   in Loop: Header=BB262_12 Depth=1
	v_cmp_ne_u16_sdwa s[42:43], v5, s44 src0_sel:BYTE_0 src1_sel:DWORD
	v_mov_b32_e32 v1, 0x8000
	buffer_store_dword v1, off, s[0:3], s32 offset:292 ; 4-byte Folded Spill
	s_and_saveexec_b64 s[40:41], s[42:43]
	s_cbranch_execz .LBB262_286
; %bb.283:                              ;   in Loop: Header=BB262_12 Depth=1
	v_and_b32_e32 v1, 0x7f, v5
	v_cmp_ne_u32_e32 vcc, s45, v1
	v_mov_b32_e32 v2, 0x7c01
	buffer_store_dword v2, off, s[0:3], s32 offset:292 ; 4-byte Folded Spill
	s_and_saveexec_b64 s[42:43], vcc
	s_cbranch_execz .LBB262_285
; %bb.284:                              ;   in Loop: Header=BB262_12 Depth=1
	v_and_b32_e32 v3, 7, v5
	v_lshrrev_b32_e32 v6, 3, v1
	v_cmp_gt_u32_e32 vcc, 8, v1
	v_ffbh_u32_e32 v1, v3
	v_min_u32_e32 v7, 32, v1
	v_subrev_u32_e32 v1, 28, v7
	v_lshlrev_b64 v[1:2], v1, v[5:6]
	v_sub_u32_e32 v2, 29, v7
	v_cndmask_b32_e32 v2, v6, v2, vcc
	v_mov_b32_e32 v7, 0x2000
	v_lshl_add_u32 v2, v2, 10, v7
	v_lshlrev_b32_e32 v6, 8, v5
	v_and_b32_e32 v1, 7, v1
	v_and_b32_e32 v2, 0xfc00, v2
	v_cndmask_b32_e32 v1, v3, v1, vcc
	v_and_or_b32 v2, v6, s46, v2
	v_lshl_or_b32 v1, v1, 7, v2
	buffer_store_dword v1, off, s[0:3], s32 offset:292 ; 4-byte Folded Spill
.LBB262_285:                            ;   in Loop: Header=BB262_12 Depth=1
	s_or_b64 exec, exec, s[42:43]
.LBB262_286:                            ;   in Loop: Header=BB262_12 Depth=1
	s_or_b64 exec, exec, s[40:41]
.LBB262_287:                            ;   in Loop: Header=BB262_12 Depth=1
	s_or_b64 exec, exec, s[28:29]
	v_lshrrev_b16_e32 v3, 8, v5
	v_cmp_ne_u16_e32 vcc, 0, v3
	s_and_saveexec_b64 s[28:29], vcc
	s_cbranch_execz .LBB262_293
; %bb.288:                              ;   in Loop: Header=BB262_12 Depth=1
	v_cmp_ne_u16_e32 vcc, s44, v3
	v_bfrev_b32_e32 v1, 1
	buffer_store_dword v1, off, s[0:3], s32 offset:288 ; 4-byte Folded Spill
	s_and_saveexec_b64 s[40:41], vcc
	s_cbranch_execz .LBB262_292
; %bb.289:                              ;   in Loop: Header=BB262_12 Depth=1
	v_and_b32_e32 v1, 0x7f, v3
	v_cmp_ne_u32_e32 vcc, s45, v1
	v_mov_b32_e32 v2, 0x7c010000
	buffer_store_dword v2, off, s[0:3], s32 offset:288 ; 4-byte Folded Spill
	s_and_saveexec_b64 s[42:43], vcc
	s_cbranch_execz .LBB262_291
; %bb.290:                              ;   in Loop: Header=BB262_12 Depth=1
	v_and_b32_e32 v6, 7, v3
	v_lshrrev_b32_e32 v7, 3, v1
	v_cmp_gt_u32_e32 vcc, 8, v1
	v_ffbh_u32_e32 v1, v6
	v_min_u32_e32 v8, 32, v1
	v_subrev_u32_e32 v1, 28, v8
	v_lshlrev_b64 v[1:2], v1, v[3:4]
	v_sub_u32_e32 v2, 29, v8
	v_cndmask_b32_e32 v2, v7, v2, vcc
	v_mov_b32_e32 v7, 0x2000
	v_lshlrev_b32_e32 v3, 8, v3
	v_lshl_add_u32 v2, v2, 10, v7
	v_and_b32_e32 v1, 7, v1
	v_and_or_b32 v2, v3, s46, v2
	v_cndmask_b32_e32 v1, v6, v1, vcc
	v_lshlrev_b32_e32 v2, 16, v2
	v_lshl_or_b32 v1, v1, 23, v2
	buffer_store_dword v1, off, s[0:3], s32 offset:288 ; 4-byte Folded Spill
.LBB262_291:                            ;   in Loop: Header=BB262_12 Depth=1
	s_or_b64 exec, exec, s[42:43]
.LBB262_292:                            ;   in Loop: Header=BB262_12 Depth=1
	s_or_b64 exec, exec, s[40:41]
.LBB262_293:                            ;   in Loop: Header=BB262_12 Depth=1
	s_or_b64 exec, exec, s[28:29]
	v_lshrrev_b32_e32 v3, 16, v5
	v_mov_b32_e32 v1, 0
	v_cmp_ne_u16_sdwa s[40:41], v3, v4 src0_sel:BYTE_0 src1_sel:DWORD
	buffer_store_dword v1, off, s[0:3], s32 offset:296 ; 4-byte Folded Spill
	v_mov_b32_e32 v1, 0
	buffer_store_dword v1, off, s[0:3], s32 offset:300 ; 4-byte Folded Spill
	s_and_saveexec_b64 s[28:29], s[40:41]
	s_cbranch_execz .LBB262_299
; %bb.294:                              ;   in Loop: Header=BB262_12 Depth=1
	v_cmp_ne_u16_sdwa s[42:43], v3, s44 src0_sel:BYTE_0 src1_sel:DWORD
	v_mov_b32_e32 v1, 0x8000
	buffer_store_dword v1, off, s[0:3], s32 offset:300 ; 4-byte Folded Spill
	s_and_saveexec_b64 s[40:41], s[42:43]
	s_cbranch_execz .LBB262_298
; %bb.295:                              ;   in Loop: Header=BB262_12 Depth=1
	v_bfe_u32 v1, v5, 16, 7
	v_cmp_ne_u32_e32 vcc, s45, v1
	v_mov_b32_e32 v2, 0x7c01
	buffer_store_dword v2, off, s[0:3], s32 offset:300 ; 4-byte Folded Spill
	s_and_saveexec_b64 s[42:43], vcc
	s_cbranch_execz .LBB262_297
; %bb.296:                              ;   in Loop: Header=BB262_12 Depth=1
	v_and_b32_e32 v6, 7, v3
	v_lshrrev_b32_e32 v7, 3, v1
	v_cmp_gt_u32_e32 vcc, 8, v1
	v_ffbh_u32_e32 v1, v6
	v_min_u32_e32 v8, 32, v1
	v_subrev_u32_e32 v1, 28, v8
	v_lshlrev_b64 v[1:2], v1, v[3:4]
	v_sub_u32_e32 v2, 29, v8
	v_cndmask_b32_e32 v2, v7, v2, vcc
	v_mov_b32_e32 v7, 0x2000
	v_lshl_add_u32 v2, v2, 10, v7
	v_lshlrev_b32_e32 v3, 8, v3
	v_and_b32_e32 v1, 7, v1
	v_and_b32_e32 v2, 0xfc00, v2
	v_cndmask_b32_e32 v1, v6, v1, vcc
	v_and_or_b32 v2, v3, s46, v2
	v_lshl_or_b32 v1, v1, 7, v2
	buffer_store_dword v1, off, s[0:3], s32 offset:300 ; 4-byte Folded Spill
.LBB262_297:                            ;   in Loop: Header=BB262_12 Depth=1
	s_or_b64 exec, exec, s[42:43]
.LBB262_298:                            ;   in Loop: Header=BB262_12 Depth=1
	s_or_b64 exec, exec, s[40:41]
.LBB262_299:                            ;   in Loop: Header=BB262_12 Depth=1
	s_or_b64 exec, exec, s[28:29]
	v_cmp_lt_u32_e32 vcc, s47, v5
	s_and_saveexec_b64 s[28:29], vcc
	s_cbranch_execz .LBB262_305
; %bb.300:                              ;   in Loop: Header=BB262_12 Depth=1
	v_lshrrev_b32_e32 v3, 24, v5
	v_cmp_ne_u32_e32 vcc, s44, v3
	v_bfrev_b32_e32 v1, 1
	buffer_store_dword v1, off, s[0:3], s32 offset:296 ; 4-byte Folded Spill
	s_and_saveexec_b64 s[40:41], vcc
	s_cbranch_execz .LBB262_304
; %bb.301:                              ;   in Loop: Header=BB262_12 Depth=1
	v_and_b32_e32 v1, 0x7f, v3
	v_cmp_ne_u32_e32 vcc, s45, v1
	v_mov_b32_e32 v2, 0x7c010000
	buffer_store_dword v2, off, s[0:3], s32 offset:296 ; 4-byte Folded Spill
	s_and_saveexec_b64 s[42:43], vcc
	s_cbranch_execz .LBB262_303
; %bb.302:                              ;   in Loop: Header=BB262_12 Depth=1
	v_and_b32_e32 v5, 7, v3
	v_lshrrev_b32_e32 v6, 3, v1
	v_cmp_gt_u32_e32 vcc, 8, v1
	v_ffbh_u32_e32 v1, v5
	v_min_u32_e32 v7, 32, v1
	v_subrev_u32_e32 v1, 28, v7
	v_lshlrev_b64 v[1:2], v1, v[3:4]
	v_sub_u32_e32 v2, 29, v7
	v_cndmask_b32_e32 v2, v6, v2, vcc
	v_mov_b32_e32 v6, 0x2000
	v_lshlrev_b32_e32 v3, 8, v3
	v_lshl_add_u32 v2, v2, 10, v6
	v_and_b32_e32 v1, 7, v1
	v_and_or_b32 v2, v3, s46, v2
	v_cndmask_b32_e32 v1, v5, v1, vcc
	v_lshlrev_b32_e32 v2, 16, v2
	v_lshl_or_b32 v1, v1, 23, v2
	buffer_store_dword v1, off, s[0:3], s32 offset:296 ; 4-byte Folded Spill
.LBB262_303:                            ;   in Loop: Header=BB262_12 Depth=1
	s_or_b64 exec, exec, s[42:43]
.LBB262_304:                            ;   in Loop: Header=BB262_12 Depth=1
	s_or_b64 exec, exec, s[40:41]
.LBB262_305:                            ;   in Loop: Header=BB262_12 Depth=1
	s_or_b64 exec, exec, s[28:29]
	flat_load_dword v5, v[27:28] offset:3072
	v_mov_b32_e32 v1, 0
	buffer_store_dword v1, off, s[0:3], s32 offset:304 ; 4-byte Folded Spill
	v_mov_b32_e32 v1, 0
	buffer_store_dword v1, off, s[0:3], s32 offset:308 ; 4-byte Folded Spill
	s_waitcnt vmcnt(0) lgkmcnt(0)
	v_cmp_ne_u16_sdwa s[40:41], v5, v4 src0_sel:BYTE_0 src1_sel:DWORD
	s_and_saveexec_b64 s[28:29], s[40:41]
	s_cbranch_execz .LBB262_311
; %bb.306:                              ;   in Loop: Header=BB262_12 Depth=1
	v_cmp_ne_u16_sdwa s[42:43], v5, s44 src0_sel:BYTE_0 src1_sel:DWORD
	v_mov_b32_e32 v1, 0x8000
	buffer_store_dword v1, off, s[0:3], s32 offset:308 ; 4-byte Folded Spill
	s_and_saveexec_b64 s[40:41], s[42:43]
	s_cbranch_execz .LBB262_310
; %bb.307:                              ;   in Loop: Header=BB262_12 Depth=1
	v_and_b32_e32 v1, 0x7f, v5
	v_cmp_ne_u32_e32 vcc, s45, v1
	v_mov_b32_e32 v2, 0x7c01
	buffer_store_dword v2, off, s[0:3], s32 offset:308 ; 4-byte Folded Spill
	s_and_saveexec_b64 s[42:43], vcc
	s_cbranch_execz .LBB262_309
; %bb.308:                              ;   in Loop: Header=BB262_12 Depth=1
	v_and_b32_e32 v3, 7, v5
	v_lshrrev_b32_e32 v6, 3, v1
	v_cmp_gt_u32_e32 vcc, 8, v1
	v_ffbh_u32_e32 v1, v3
	v_min_u32_e32 v7, 32, v1
	v_subrev_u32_e32 v1, 28, v7
	v_lshlrev_b64 v[1:2], v1, v[5:6]
	v_sub_u32_e32 v2, 29, v7
	v_cndmask_b32_e32 v2, v6, v2, vcc
	v_mov_b32_e32 v7, 0x2000
	v_lshl_add_u32 v2, v2, 10, v7
	v_lshlrev_b32_e32 v6, 8, v5
	v_and_b32_e32 v1, 7, v1
	v_and_b32_e32 v2, 0xfc00, v2
	v_cndmask_b32_e32 v1, v3, v1, vcc
	v_and_or_b32 v2, v6, s46, v2
	v_lshl_or_b32 v1, v1, 7, v2
	buffer_store_dword v1, off, s[0:3], s32 offset:308 ; 4-byte Folded Spill
.LBB262_309:                            ;   in Loop: Header=BB262_12 Depth=1
	s_or_b64 exec, exec, s[42:43]
.LBB262_310:                            ;   in Loop: Header=BB262_12 Depth=1
	s_or_b64 exec, exec, s[40:41]
.LBB262_311:                            ;   in Loop: Header=BB262_12 Depth=1
	s_or_b64 exec, exec, s[28:29]
	v_lshrrev_b16_e32 v3, 8, v5
	v_cmp_ne_u16_e32 vcc, 0, v3
	s_and_saveexec_b64 s[28:29], vcc
	s_cbranch_execz .LBB262_317
; %bb.312:                              ;   in Loop: Header=BB262_12 Depth=1
	v_cmp_ne_u16_e32 vcc, s44, v3
	v_bfrev_b32_e32 v1, 1
	buffer_store_dword v1, off, s[0:3], s32 offset:304 ; 4-byte Folded Spill
	s_and_saveexec_b64 s[40:41], vcc
	s_cbranch_execz .LBB262_316
; %bb.313:                              ;   in Loop: Header=BB262_12 Depth=1
	v_and_b32_e32 v1, 0x7f, v3
	v_cmp_ne_u32_e32 vcc, s45, v1
	v_mov_b32_e32 v2, 0x7c010000
	buffer_store_dword v2, off, s[0:3], s32 offset:304 ; 4-byte Folded Spill
	s_and_saveexec_b64 s[42:43], vcc
	s_cbranch_execz .LBB262_315
; %bb.314:                              ;   in Loop: Header=BB262_12 Depth=1
	v_and_b32_e32 v6, 7, v3
	v_lshrrev_b32_e32 v7, 3, v1
	v_cmp_gt_u32_e32 vcc, 8, v1
	v_ffbh_u32_e32 v1, v6
	v_min_u32_e32 v8, 32, v1
	v_subrev_u32_e32 v1, 28, v8
	v_lshlrev_b64 v[1:2], v1, v[3:4]
	v_sub_u32_e32 v2, 29, v8
	v_cndmask_b32_e32 v2, v7, v2, vcc
	v_mov_b32_e32 v7, 0x2000
	v_lshlrev_b32_e32 v3, 8, v3
	v_lshl_add_u32 v2, v2, 10, v7
	v_and_b32_e32 v1, 7, v1
	v_and_or_b32 v2, v3, s46, v2
	v_cndmask_b32_e32 v1, v6, v1, vcc
	v_lshlrev_b32_e32 v2, 16, v2
	v_lshl_or_b32 v1, v1, 23, v2
	buffer_store_dword v1, off, s[0:3], s32 offset:304 ; 4-byte Folded Spill
.LBB262_315:                            ;   in Loop: Header=BB262_12 Depth=1
	s_or_b64 exec, exec, s[42:43]
.LBB262_316:                            ;   in Loop: Header=BB262_12 Depth=1
	s_or_b64 exec, exec, s[40:41]
.LBB262_317:                            ;   in Loop: Header=BB262_12 Depth=1
	s_or_b64 exec, exec, s[28:29]
	v_lshrrev_b32_e32 v3, 16, v5
	v_mov_b32_e32 v1, 0
	v_cmp_ne_u16_sdwa s[40:41], v3, v4 src0_sel:BYTE_0 src1_sel:DWORD
	buffer_store_dword v1, off, s[0:3], s32 offset:312 ; 4-byte Folded Spill
	v_mov_b32_e32 v1, 0
	buffer_store_dword v1, off, s[0:3], s32 offset:316 ; 4-byte Folded Spill
	s_and_saveexec_b64 s[28:29], s[40:41]
	s_cbranch_execz .LBB262_323
; %bb.318:                              ;   in Loop: Header=BB262_12 Depth=1
	v_cmp_ne_u16_sdwa s[42:43], v3, s44 src0_sel:BYTE_0 src1_sel:DWORD
	v_mov_b32_e32 v1, 0x8000
	buffer_store_dword v1, off, s[0:3], s32 offset:316 ; 4-byte Folded Spill
	s_and_saveexec_b64 s[40:41], s[42:43]
	s_cbranch_execz .LBB262_322
; %bb.319:                              ;   in Loop: Header=BB262_12 Depth=1
	v_bfe_u32 v1, v5, 16, 7
	v_cmp_ne_u32_e32 vcc, s45, v1
	v_mov_b32_e32 v2, 0x7c01
	buffer_store_dword v2, off, s[0:3], s32 offset:316 ; 4-byte Folded Spill
	s_and_saveexec_b64 s[42:43], vcc
	s_cbranch_execz .LBB262_321
; %bb.320:                              ;   in Loop: Header=BB262_12 Depth=1
	v_and_b32_e32 v6, 7, v3
	v_lshrrev_b32_e32 v7, 3, v1
	v_cmp_gt_u32_e32 vcc, 8, v1
	v_ffbh_u32_e32 v1, v6
	v_min_u32_e32 v8, 32, v1
	v_subrev_u32_e32 v1, 28, v8
	v_lshlrev_b64 v[1:2], v1, v[3:4]
	v_sub_u32_e32 v2, 29, v8
	v_cndmask_b32_e32 v2, v7, v2, vcc
	v_mov_b32_e32 v7, 0x2000
	v_lshl_add_u32 v2, v2, 10, v7
	v_lshlrev_b32_e32 v3, 8, v3
	v_and_b32_e32 v1, 7, v1
	v_and_b32_e32 v2, 0xfc00, v2
	v_cndmask_b32_e32 v1, v6, v1, vcc
	v_and_or_b32 v2, v3, s46, v2
	v_lshl_or_b32 v1, v1, 7, v2
	buffer_store_dword v1, off, s[0:3], s32 offset:316 ; 4-byte Folded Spill
.LBB262_321:                            ;   in Loop: Header=BB262_12 Depth=1
	s_or_b64 exec, exec, s[42:43]
.LBB262_322:                            ;   in Loop: Header=BB262_12 Depth=1
	s_or_b64 exec, exec, s[40:41]
.LBB262_323:                            ;   in Loop: Header=BB262_12 Depth=1
	s_or_b64 exec, exec, s[28:29]
	v_cmp_lt_u32_e32 vcc, s47, v5
	s_and_saveexec_b64 s[28:29], vcc
	s_cbranch_execz .LBB262_329
; %bb.324:                              ;   in Loop: Header=BB262_12 Depth=1
	v_lshrrev_b32_e32 v3, 24, v5
	v_cmp_ne_u32_e32 vcc, s44, v3
	v_bfrev_b32_e32 v1, 1
	buffer_store_dword v1, off, s[0:3], s32 offset:312 ; 4-byte Folded Spill
	s_and_saveexec_b64 s[40:41], vcc
	s_cbranch_execz .LBB262_328
; %bb.325:                              ;   in Loop: Header=BB262_12 Depth=1
	v_and_b32_e32 v1, 0x7f, v3
	v_cmp_ne_u32_e32 vcc, s45, v1
	v_mov_b32_e32 v2, 0x7c010000
	buffer_store_dword v2, off, s[0:3], s32 offset:312 ; 4-byte Folded Spill
	s_and_saveexec_b64 s[42:43], vcc
	s_cbranch_execz .LBB262_327
; %bb.326:                              ;   in Loop: Header=BB262_12 Depth=1
	v_and_b32_e32 v5, 7, v3
	v_lshrrev_b32_e32 v6, 3, v1
	v_cmp_gt_u32_e32 vcc, 8, v1
	v_ffbh_u32_e32 v1, v5
	v_min_u32_e32 v7, 32, v1
	v_subrev_u32_e32 v1, 28, v7
	v_lshlrev_b64 v[1:2], v1, v[3:4]
	v_sub_u32_e32 v2, 29, v7
	v_cndmask_b32_e32 v2, v6, v2, vcc
	v_mov_b32_e32 v6, 0x2000
	v_lshlrev_b32_e32 v3, 8, v3
	v_lshl_add_u32 v2, v2, 10, v6
	v_and_b32_e32 v1, 7, v1
	v_and_or_b32 v2, v3, s46, v2
	v_cndmask_b32_e32 v1, v5, v1, vcc
	v_lshlrev_b32_e32 v2, 16, v2
	v_lshl_or_b32 v1, v1, 23, v2
	buffer_store_dword v1, off, s[0:3], s32 offset:312 ; 4-byte Folded Spill
.LBB262_327:                            ;   in Loop: Header=BB262_12 Depth=1
	s_or_b64 exec, exec, s[42:43]
.LBB262_328:                            ;   in Loop: Header=BB262_12 Depth=1
	s_or_b64 exec, exec, s[40:41]
.LBB262_329:                            ;   in Loop: Header=BB262_12 Depth=1
	s_or_b64 exec, exec, s[28:29]
	flat_load_dword v5, v[27:28] offset:3080
	v_mov_b32_e32 v1, 0
	buffer_store_dword v1, off, s[0:3], s32 offset:320 ; 4-byte Folded Spill
	v_mov_b32_e32 v1, 0
	buffer_store_dword v1, off, s[0:3], s32 offset:324 ; 4-byte Folded Spill
	s_waitcnt vmcnt(0) lgkmcnt(0)
	v_cmp_ne_u16_sdwa s[40:41], v5, v4 src0_sel:BYTE_0 src1_sel:DWORD
	s_and_saveexec_b64 s[28:29], s[40:41]
	s_cbranch_execz .LBB262_335
; %bb.330:                              ;   in Loop: Header=BB262_12 Depth=1
	v_cmp_ne_u16_sdwa s[42:43], v5, s44 src0_sel:BYTE_0 src1_sel:DWORD
	v_mov_b32_e32 v1, 0x8000
	buffer_store_dword v1, off, s[0:3], s32 offset:324 ; 4-byte Folded Spill
	s_and_saveexec_b64 s[40:41], s[42:43]
	s_cbranch_execz .LBB262_334
; %bb.331:                              ;   in Loop: Header=BB262_12 Depth=1
	v_and_b32_e32 v1, 0x7f, v5
	v_cmp_ne_u32_e32 vcc, s45, v1
	v_mov_b32_e32 v2, 0x7c01
	buffer_store_dword v2, off, s[0:3], s32 offset:324 ; 4-byte Folded Spill
	s_and_saveexec_b64 s[42:43], vcc
	s_cbranch_execz .LBB262_333
; %bb.332:                              ;   in Loop: Header=BB262_12 Depth=1
	v_and_b32_e32 v3, 7, v5
	v_lshrrev_b32_e32 v6, 3, v1
	v_cmp_gt_u32_e32 vcc, 8, v1
	v_ffbh_u32_e32 v1, v3
	v_min_u32_e32 v7, 32, v1
	v_subrev_u32_e32 v1, 28, v7
	v_lshlrev_b64 v[1:2], v1, v[5:6]
	v_sub_u32_e32 v2, 29, v7
	v_cndmask_b32_e32 v2, v6, v2, vcc
	v_mov_b32_e32 v7, 0x2000
	v_lshl_add_u32 v2, v2, 10, v7
	v_lshlrev_b32_e32 v6, 8, v5
	v_and_b32_e32 v1, 7, v1
	v_and_b32_e32 v2, 0xfc00, v2
	v_cndmask_b32_e32 v1, v3, v1, vcc
	v_and_or_b32 v2, v6, s46, v2
	v_lshl_or_b32 v1, v1, 7, v2
	buffer_store_dword v1, off, s[0:3], s32 offset:324 ; 4-byte Folded Spill
.LBB262_333:                            ;   in Loop: Header=BB262_12 Depth=1
	s_or_b64 exec, exec, s[42:43]
.LBB262_334:                            ;   in Loop: Header=BB262_12 Depth=1
	s_or_b64 exec, exec, s[40:41]
.LBB262_335:                            ;   in Loop: Header=BB262_12 Depth=1
	s_or_b64 exec, exec, s[28:29]
	v_lshrrev_b16_e32 v3, 8, v5
	v_cmp_ne_u16_e32 vcc, 0, v3
	s_and_saveexec_b64 s[28:29], vcc
	s_cbranch_execz .LBB262_341
; %bb.336:                              ;   in Loop: Header=BB262_12 Depth=1
	v_cmp_ne_u16_e32 vcc, s44, v3
	v_bfrev_b32_e32 v1, 1
	buffer_store_dword v1, off, s[0:3], s32 offset:320 ; 4-byte Folded Spill
	s_and_saveexec_b64 s[40:41], vcc
	s_cbranch_execz .LBB262_340
; %bb.337:                              ;   in Loop: Header=BB262_12 Depth=1
	v_and_b32_e32 v1, 0x7f, v3
	v_cmp_ne_u32_e32 vcc, s45, v1
	v_mov_b32_e32 v2, 0x7c010000
	buffer_store_dword v2, off, s[0:3], s32 offset:320 ; 4-byte Folded Spill
	s_and_saveexec_b64 s[42:43], vcc
	s_cbranch_execz .LBB262_339
; %bb.338:                              ;   in Loop: Header=BB262_12 Depth=1
	v_and_b32_e32 v6, 7, v3
	v_lshrrev_b32_e32 v7, 3, v1
	v_cmp_gt_u32_e32 vcc, 8, v1
	v_ffbh_u32_e32 v1, v6
	v_min_u32_e32 v8, 32, v1
	v_subrev_u32_e32 v1, 28, v8
	v_lshlrev_b64 v[1:2], v1, v[3:4]
	v_sub_u32_e32 v2, 29, v8
	v_cndmask_b32_e32 v2, v7, v2, vcc
	v_mov_b32_e32 v7, 0x2000
	v_lshlrev_b32_e32 v3, 8, v3
	v_lshl_add_u32 v2, v2, 10, v7
	v_and_b32_e32 v1, 7, v1
	v_and_or_b32 v2, v3, s46, v2
	v_cndmask_b32_e32 v1, v6, v1, vcc
	v_lshlrev_b32_e32 v2, 16, v2
	v_lshl_or_b32 v1, v1, 23, v2
	buffer_store_dword v1, off, s[0:3], s32 offset:320 ; 4-byte Folded Spill
.LBB262_339:                            ;   in Loop: Header=BB262_12 Depth=1
	s_or_b64 exec, exec, s[42:43]
.LBB262_340:                            ;   in Loop: Header=BB262_12 Depth=1
	s_or_b64 exec, exec, s[40:41]
.LBB262_341:                            ;   in Loop: Header=BB262_12 Depth=1
	s_or_b64 exec, exec, s[28:29]
	v_lshrrev_b32_e32 v3, 16, v5
	v_mov_b32_e32 v1, 0
	v_cmp_ne_u16_sdwa s[40:41], v3, v4 src0_sel:BYTE_0 src1_sel:DWORD
	buffer_store_dword v1, off, s[0:3], s32 offset:328 ; 4-byte Folded Spill
	v_mov_b32_e32 v1, 0
	buffer_store_dword v1, off, s[0:3], s32 offset:332 ; 4-byte Folded Spill
	s_and_saveexec_b64 s[28:29], s[40:41]
	s_cbranch_execz .LBB262_347
; %bb.342:                              ;   in Loop: Header=BB262_12 Depth=1
	v_cmp_ne_u16_sdwa s[42:43], v3, s44 src0_sel:BYTE_0 src1_sel:DWORD
	v_mov_b32_e32 v1, 0x8000
	buffer_store_dword v1, off, s[0:3], s32 offset:332 ; 4-byte Folded Spill
	s_and_saveexec_b64 s[40:41], s[42:43]
	s_cbranch_execz .LBB262_346
; %bb.343:                              ;   in Loop: Header=BB262_12 Depth=1
	v_bfe_u32 v1, v5, 16, 7
	v_cmp_ne_u32_e32 vcc, s45, v1
	v_mov_b32_e32 v2, 0x7c01
	buffer_store_dword v2, off, s[0:3], s32 offset:332 ; 4-byte Folded Spill
	s_and_saveexec_b64 s[42:43], vcc
	s_cbranch_execz .LBB262_345
; %bb.344:                              ;   in Loop: Header=BB262_12 Depth=1
	v_and_b32_e32 v6, 7, v3
	v_lshrrev_b32_e32 v7, 3, v1
	v_cmp_gt_u32_e32 vcc, 8, v1
	v_ffbh_u32_e32 v1, v6
	v_min_u32_e32 v8, 32, v1
	v_subrev_u32_e32 v1, 28, v8
	v_lshlrev_b64 v[1:2], v1, v[3:4]
	v_sub_u32_e32 v2, 29, v8
	v_cndmask_b32_e32 v2, v7, v2, vcc
	v_mov_b32_e32 v7, 0x2000
	v_lshl_add_u32 v2, v2, 10, v7
	v_lshlrev_b32_e32 v3, 8, v3
	v_and_b32_e32 v1, 7, v1
	v_and_b32_e32 v2, 0xfc00, v2
	v_cndmask_b32_e32 v1, v6, v1, vcc
	v_and_or_b32 v2, v3, s46, v2
	v_lshl_or_b32 v1, v1, 7, v2
	buffer_store_dword v1, off, s[0:3], s32 offset:332 ; 4-byte Folded Spill
.LBB262_345:                            ;   in Loop: Header=BB262_12 Depth=1
	s_or_b64 exec, exec, s[42:43]
.LBB262_346:                            ;   in Loop: Header=BB262_12 Depth=1
	s_or_b64 exec, exec, s[40:41]
.LBB262_347:                            ;   in Loop: Header=BB262_12 Depth=1
	s_or_b64 exec, exec, s[28:29]
	v_cmp_lt_u32_e32 vcc, s47, v5
	s_and_saveexec_b64 s[28:29], vcc
	s_cbranch_execz .LBB262_353
; %bb.348:                              ;   in Loop: Header=BB262_12 Depth=1
	v_lshrrev_b32_e32 v3, 24, v5
	v_cmp_ne_u32_e32 vcc, s44, v3
	v_bfrev_b32_e32 v1, 1
	buffer_store_dword v1, off, s[0:3], s32 offset:328 ; 4-byte Folded Spill
	s_and_saveexec_b64 s[40:41], vcc
	s_cbranch_execz .LBB262_352
; %bb.349:                              ;   in Loop: Header=BB262_12 Depth=1
	v_and_b32_e32 v1, 0x7f, v3
	v_cmp_ne_u32_e32 vcc, s45, v1
	v_mov_b32_e32 v2, 0x7c010000
	buffer_store_dword v2, off, s[0:3], s32 offset:328 ; 4-byte Folded Spill
	s_and_saveexec_b64 s[42:43], vcc
	s_cbranch_execz .LBB262_351
; %bb.350:                              ;   in Loop: Header=BB262_12 Depth=1
	v_and_b32_e32 v5, 7, v3
	v_lshrrev_b32_e32 v6, 3, v1
	v_cmp_gt_u32_e32 vcc, 8, v1
	v_ffbh_u32_e32 v1, v5
	v_min_u32_e32 v7, 32, v1
	v_subrev_u32_e32 v1, 28, v7
	v_lshlrev_b64 v[1:2], v1, v[3:4]
	v_sub_u32_e32 v2, 29, v7
	v_cndmask_b32_e32 v2, v6, v2, vcc
	v_mov_b32_e32 v6, 0x2000
	v_lshlrev_b32_e32 v3, 8, v3
	v_lshl_add_u32 v2, v2, 10, v6
	v_and_b32_e32 v1, 7, v1
	v_and_or_b32 v2, v3, s46, v2
	v_cndmask_b32_e32 v1, v5, v1, vcc
	v_lshlrev_b32_e32 v2, 16, v2
	v_lshl_or_b32 v1, v1, 23, v2
	buffer_store_dword v1, off, s[0:3], s32 offset:328 ; 4-byte Folded Spill
.LBB262_351:                            ;   in Loop: Header=BB262_12 Depth=1
	s_or_b64 exec, exec, s[42:43]
.LBB262_352:                            ;   in Loop: Header=BB262_12 Depth=1
	s_or_b64 exec, exec, s[40:41]
.LBB262_353:                            ;   in Loop: Header=BB262_12 Depth=1
	s_or_b64 exec, exec, s[28:29]
	flat_load_dword v5, v[27:28] offset:3584
	v_mov_b32_e32 v1, 0
	buffer_store_dword v1, off, s[0:3], s32 offset:336 ; 4-byte Folded Spill
	v_mov_b32_e32 v1, 0
	buffer_store_dword v1, off, s[0:3], s32 offset:340 ; 4-byte Folded Spill
	s_waitcnt vmcnt(0) lgkmcnt(0)
	v_cmp_ne_u16_sdwa s[40:41], v5, v4 src0_sel:BYTE_0 src1_sel:DWORD
	s_and_saveexec_b64 s[28:29], s[40:41]
	s_cbranch_execz .LBB262_359
; %bb.354:                              ;   in Loop: Header=BB262_12 Depth=1
	v_cmp_ne_u16_sdwa s[42:43], v5, s44 src0_sel:BYTE_0 src1_sel:DWORD
	v_mov_b32_e32 v1, 0x8000
	buffer_store_dword v1, off, s[0:3], s32 offset:340 ; 4-byte Folded Spill
	s_and_saveexec_b64 s[40:41], s[42:43]
	s_cbranch_execz .LBB262_358
; %bb.355:                              ;   in Loop: Header=BB262_12 Depth=1
	v_and_b32_e32 v1, 0x7f, v5
	v_cmp_ne_u32_e32 vcc, s45, v1
	v_mov_b32_e32 v2, 0x7c01
	buffer_store_dword v2, off, s[0:3], s32 offset:340 ; 4-byte Folded Spill
	s_and_saveexec_b64 s[42:43], vcc
	s_cbranch_execz .LBB262_357
; %bb.356:                              ;   in Loop: Header=BB262_12 Depth=1
	v_and_b32_e32 v3, 7, v5
	v_lshrrev_b32_e32 v6, 3, v1
	v_cmp_gt_u32_e32 vcc, 8, v1
	v_ffbh_u32_e32 v1, v3
	v_min_u32_e32 v7, 32, v1
	v_subrev_u32_e32 v1, 28, v7
	v_lshlrev_b64 v[1:2], v1, v[5:6]
	v_sub_u32_e32 v2, 29, v7
	v_cndmask_b32_e32 v2, v6, v2, vcc
	v_mov_b32_e32 v7, 0x2000
	v_lshl_add_u32 v2, v2, 10, v7
	v_lshlrev_b32_e32 v6, 8, v5
	v_and_b32_e32 v1, 7, v1
	v_and_b32_e32 v2, 0xfc00, v2
	v_cndmask_b32_e32 v1, v3, v1, vcc
	v_and_or_b32 v2, v6, s46, v2
	v_lshl_or_b32 v1, v1, 7, v2
	buffer_store_dword v1, off, s[0:3], s32 offset:340 ; 4-byte Folded Spill
.LBB262_357:                            ;   in Loop: Header=BB262_12 Depth=1
	s_or_b64 exec, exec, s[42:43]
.LBB262_358:                            ;   in Loop: Header=BB262_12 Depth=1
	s_or_b64 exec, exec, s[40:41]
.LBB262_359:                            ;   in Loop: Header=BB262_12 Depth=1
	s_or_b64 exec, exec, s[28:29]
	v_lshrrev_b16_e32 v3, 8, v5
	v_cmp_ne_u16_e32 vcc, 0, v3
	s_and_saveexec_b64 s[28:29], vcc
	s_cbranch_execz .LBB262_365
; %bb.360:                              ;   in Loop: Header=BB262_12 Depth=1
	v_cmp_ne_u16_e32 vcc, s44, v3
	v_bfrev_b32_e32 v1, 1
	buffer_store_dword v1, off, s[0:3], s32 offset:336 ; 4-byte Folded Spill
	s_and_saveexec_b64 s[40:41], vcc
	s_cbranch_execz .LBB262_364
; %bb.361:                              ;   in Loop: Header=BB262_12 Depth=1
	v_and_b32_e32 v1, 0x7f, v3
	v_cmp_ne_u32_e32 vcc, s45, v1
	v_mov_b32_e32 v2, 0x7c010000
	buffer_store_dword v2, off, s[0:3], s32 offset:336 ; 4-byte Folded Spill
	s_and_saveexec_b64 s[42:43], vcc
	s_cbranch_execz .LBB262_363
; %bb.362:                              ;   in Loop: Header=BB262_12 Depth=1
	v_and_b32_e32 v6, 7, v3
	v_lshrrev_b32_e32 v7, 3, v1
	v_cmp_gt_u32_e32 vcc, 8, v1
	v_ffbh_u32_e32 v1, v6
	v_min_u32_e32 v8, 32, v1
	v_subrev_u32_e32 v1, 28, v8
	v_lshlrev_b64 v[1:2], v1, v[3:4]
	v_sub_u32_e32 v2, 29, v8
	v_cndmask_b32_e32 v2, v7, v2, vcc
	v_mov_b32_e32 v7, 0x2000
	v_lshlrev_b32_e32 v3, 8, v3
	v_lshl_add_u32 v2, v2, 10, v7
	v_and_b32_e32 v1, 7, v1
	v_and_or_b32 v2, v3, s46, v2
	v_cndmask_b32_e32 v1, v6, v1, vcc
	v_lshlrev_b32_e32 v2, 16, v2
	v_lshl_or_b32 v1, v1, 23, v2
	buffer_store_dword v1, off, s[0:3], s32 offset:336 ; 4-byte Folded Spill
.LBB262_363:                            ;   in Loop: Header=BB262_12 Depth=1
	s_or_b64 exec, exec, s[42:43]
.LBB262_364:                            ;   in Loop: Header=BB262_12 Depth=1
	s_or_b64 exec, exec, s[40:41]
.LBB262_365:                            ;   in Loop: Header=BB262_12 Depth=1
	s_or_b64 exec, exec, s[28:29]
	v_lshrrev_b32_e32 v3, 16, v5
	v_mov_b32_e32 v1, 0
	v_cmp_ne_u16_sdwa s[40:41], v3, v4 src0_sel:BYTE_0 src1_sel:DWORD
	buffer_store_dword v1, off, s[0:3], s32 offset:344 ; 4-byte Folded Spill
	v_mov_b32_e32 v1, 0
	buffer_store_dword v1, off, s[0:3], s32 offset:348 ; 4-byte Folded Spill
	s_and_saveexec_b64 s[28:29], s[40:41]
	s_cbranch_execz .LBB262_371
; %bb.366:                              ;   in Loop: Header=BB262_12 Depth=1
	v_cmp_ne_u16_sdwa s[42:43], v3, s44 src0_sel:BYTE_0 src1_sel:DWORD
	v_mov_b32_e32 v1, 0x8000
	buffer_store_dword v1, off, s[0:3], s32 offset:348 ; 4-byte Folded Spill
	s_and_saveexec_b64 s[40:41], s[42:43]
	s_cbranch_execz .LBB262_370
; %bb.367:                              ;   in Loop: Header=BB262_12 Depth=1
	v_bfe_u32 v1, v5, 16, 7
	v_cmp_ne_u32_e32 vcc, s45, v1
	v_mov_b32_e32 v2, 0x7c01
	buffer_store_dword v2, off, s[0:3], s32 offset:348 ; 4-byte Folded Spill
	s_and_saveexec_b64 s[42:43], vcc
	s_cbranch_execz .LBB262_369
; %bb.368:                              ;   in Loop: Header=BB262_12 Depth=1
	v_and_b32_e32 v6, 7, v3
	v_lshrrev_b32_e32 v7, 3, v1
	v_cmp_gt_u32_e32 vcc, 8, v1
	v_ffbh_u32_e32 v1, v6
	v_min_u32_e32 v8, 32, v1
	v_subrev_u32_e32 v1, 28, v8
	v_lshlrev_b64 v[1:2], v1, v[3:4]
	v_sub_u32_e32 v2, 29, v8
	v_cndmask_b32_e32 v2, v7, v2, vcc
	v_mov_b32_e32 v7, 0x2000
	v_lshl_add_u32 v2, v2, 10, v7
	v_lshlrev_b32_e32 v3, 8, v3
	v_and_b32_e32 v1, 7, v1
	v_and_b32_e32 v2, 0xfc00, v2
	v_cndmask_b32_e32 v1, v6, v1, vcc
	v_and_or_b32 v2, v3, s46, v2
	v_lshl_or_b32 v1, v1, 7, v2
	buffer_store_dword v1, off, s[0:3], s32 offset:348 ; 4-byte Folded Spill
.LBB262_369:                            ;   in Loop: Header=BB262_12 Depth=1
	s_or_b64 exec, exec, s[42:43]
.LBB262_370:                            ;   in Loop: Header=BB262_12 Depth=1
	s_or_b64 exec, exec, s[40:41]
.LBB262_371:                            ;   in Loop: Header=BB262_12 Depth=1
	s_or_b64 exec, exec, s[28:29]
	v_cmp_lt_u32_e32 vcc, s47, v5
	s_and_saveexec_b64 s[28:29], vcc
	s_cbranch_execz .LBB262_377
; %bb.372:                              ;   in Loop: Header=BB262_12 Depth=1
	v_lshrrev_b32_e32 v3, 24, v5
	v_cmp_ne_u32_e32 vcc, s44, v3
	v_bfrev_b32_e32 v1, 1
	buffer_store_dword v1, off, s[0:3], s32 offset:344 ; 4-byte Folded Spill
	s_and_saveexec_b64 s[40:41], vcc
	s_cbranch_execz .LBB262_376
; %bb.373:                              ;   in Loop: Header=BB262_12 Depth=1
	v_and_b32_e32 v1, 0x7f, v3
	v_cmp_ne_u32_e32 vcc, s45, v1
	v_mov_b32_e32 v2, 0x7c010000
	buffer_store_dword v2, off, s[0:3], s32 offset:344 ; 4-byte Folded Spill
	s_and_saveexec_b64 s[42:43], vcc
	s_cbranch_execz .LBB262_375
; %bb.374:                              ;   in Loop: Header=BB262_12 Depth=1
	v_and_b32_e32 v5, 7, v3
	v_lshrrev_b32_e32 v6, 3, v1
	v_cmp_gt_u32_e32 vcc, 8, v1
	v_ffbh_u32_e32 v1, v5
	v_min_u32_e32 v7, 32, v1
	v_subrev_u32_e32 v1, 28, v7
	v_lshlrev_b64 v[1:2], v1, v[3:4]
	v_sub_u32_e32 v2, 29, v7
	v_cndmask_b32_e32 v2, v6, v2, vcc
	v_mov_b32_e32 v6, 0x2000
	v_lshlrev_b32_e32 v3, 8, v3
	v_lshl_add_u32 v2, v2, 10, v6
	v_and_b32_e32 v1, 7, v1
	v_and_or_b32 v2, v3, s46, v2
	v_cndmask_b32_e32 v1, v5, v1, vcc
	v_lshlrev_b32_e32 v2, 16, v2
	v_lshl_or_b32 v1, v1, 23, v2
	buffer_store_dword v1, off, s[0:3], s32 offset:344 ; 4-byte Folded Spill
.LBB262_375:                            ;   in Loop: Header=BB262_12 Depth=1
	s_or_b64 exec, exec, s[42:43]
.LBB262_376:                            ;   in Loop: Header=BB262_12 Depth=1
	s_or_b64 exec, exec, s[40:41]
.LBB262_377:                            ;   in Loop: Header=BB262_12 Depth=1
	s_or_b64 exec, exec, s[28:29]
	flat_load_dword v5, v[27:28] offset:3592
	v_mov_b32_e32 v1, 0
	buffer_store_dword v1, off, s[0:3], s32 offset:352 ; 4-byte Folded Spill
	v_mov_b32_e32 v1, 0
	buffer_store_dword v1, off, s[0:3], s32 offset:356 ; 4-byte Folded Spill
	s_waitcnt vmcnt(0) lgkmcnt(0)
	v_cmp_ne_u16_sdwa s[40:41], v5, v4 src0_sel:BYTE_0 src1_sel:DWORD
	s_and_saveexec_b64 s[28:29], s[40:41]
	s_cbranch_execz .LBB262_383
; %bb.378:                              ;   in Loop: Header=BB262_12 Depth=1
	v_cmp_ne_u16_sdwa s[42:43], v5, s44 src0_sel:BYTE_0 src1_sel:DWORD
	v_mov_b32_e32 v1, 0x8000
	buffer_store_dword v1, off, s[0:3], s32 offset:356 ; 4-byte Folded Spill
	s_and_saveexec_b64 s[40:41], s[42:43]
	s_cbranch_execz .LBB262_382
; %bb.379:                              ;   in Loop: Header=BB262_12 Depth=1
	v_and_b32_e32 v1, 0x7f, v5
	v_cmp_ne_u32_e32 vcc, s45, v1
	v_mov_b32_e32 v2, 0x7c01
	buffer_store_dword v2, off, s[0:3], s32 offset:356 ; 4-byte Folded Spill
	s_and_saveexec_b64 s[42:43], vcc
	s_cbranch_execz .LBB262_381
; %bb.380:                              ;   in Loop: Header=BB262_12 Depth=1
	v_and_b32_e32 v3, 7, v5
	v_lshrrev_b32_e32 v6, 3, v1
	v_cmp_gt_u32_e32 vcc, 8, v1
	v_ffbh_u32_e32 v1, v3
	v_min_u32_e32 v7, 32, v1
	v_subrev_u32_e32 v1, 28, v7
	v_lshlrev_b64 v[1:2], v1, v[5:6]
	v_sub_u32_e32 v2, 29, v7
	v_cndmask_b32_e32 v2, v6, v2, vcc
	v_mov_b32_e32 v7, 0x2000
	v_lshl_add_u32 v2, v2, 10, v7
	v_lshlrev_b32_e32 v6, 8, v5
	v_and_b32_e32 v1, 7, v1
	v_and_b32_e32 v2, 0xfc00, v2
	v_cndmask_b32_e32 v1, v3, v1, vcc
	v_and_or_b32 v2, v6, s46, v2
	v_lshl_or_b32 v1, v1, 7, v2
	buffer_store_dword v1, off, s[0:3], s32 offset:356 ; 4-byte Folded Spill
.LBB262_381:                            ;   in Loop: Header=BB262_12 Depth=1
	s_or_b64 exec, exec, s[42:43]
.LBB262_382:                            ;   in Loop: Header=BB262_12 Depth=1
	s_or_b64 exec, exec, s[40:41]
.LBB262_383:                            ;   in Loop: Header=BB262_12 Depth=1
	s_or_b64 exec, exec, s[28:29]
	v_lshrrev_b16_e32 v3, 8, v5
	v_cmp_ne_u16_e32 vcc, 0, v3
	s_and_saveexec_b64 s[28:29], vcc
	s_cbranch_execz .LBB262_389
; %bb.384:                              ;   in Loop: Header=BB262_12 Depth=1
	v_cmp_ne_u16_e32 vcc, s44, v3
	v_bfrev_b32_e32 v1, 1
	buffer_store_dword v1, off, s[0:3], s32 offset:352 ; 4-byte Folded Spill
	s_and_saveexec_b64 s[40:41], vcc
	s_cbranch_execz .LBB262_388
; %bb.385:                              ;   in Loop: Header=BB262_12 Depth=1
	v_and_b32_e32 v1, 0x7f, v3
	v_cmp_ne_u32_e32 vcc, s45, v1
	v_mov_b32_e32 v2, 0x7c010000
	buffer_store_dword v2, off, s[0:3], s32 offset:352 ; 4-byte Folded Spill
	s_and_saveexec_b64 s[42:43], vcc
	s_cbranch_execz .LBB262_387
; %bb.386:                              ;   in Loop: Header=BB262_12 Depth=1
	v_and_b32_e32 v6, 7, v3
	v_lshrrev_b32_e32 v7, 3, v1
	v_cmp_gt_u32_e32 vcc, 8, v1
	v_ffbh_u32_e32 v1, v6
	v_min_u32_e32 v8, 32, v1
	v_subrev_u32_e32 v1, 28, v8
	v_lshlrev_b64 v[1:2], v1, v[3:4]
	v_sub_u32_e32 v2, 29, v8
	v_cndmask_b32_e32 v2, v7, v2, vcc
	v_mov_b32_e32 v7, 0x2000
	v_lshlrev_b32_e32 v3, 8, v3
	v_lshl_add_u32 v2, v2, 10, v7
	v_and_b32_e32 v1, 7, v1
	v_and_or_b32 v2, v3, s46, v2
	v_cndmask_b32_e32 v1, v6, v1, vcc
	v_lshlrev_b32_e32 v2, 16, v2
	v_lshl_or_b32 v1, v1, 23, v2
	buffer_store_dword v1, off, s[0:3], s32 offset:352 ; 4-byte Folded Spill
.LBB262_387:                            ;   in Loop: Header=BB262_12 Depth=1
	s_or_b64 exec, exec, s[42:43]
.LBB262_388:                            ;   in Loop: Header=BB262_12 Depth=1
	s_or_b64 exec, exec, s[40:41]
.LBB262_389:                            ;   in Loop: Header=BB262_12 Depth=1
	s_or_b64 exec, exec, s[28:29]
	v_lshrrev_b32_e32 v3, 16, v5
	v_mov_b32_e32 v1, 0
	v_cmp_ne_u16_sdwa s[40:41], v3, v4 src0_sel:BYTE_0 src1_sel:DWORD
	buffer_store_dword v1, off, s[0:3], s32 offset:360 ; 4-byte Folded Spill
	v_mov_b32_e32 v1, 0
	buffer_store_dword v1, off, s[0:3], s32 offset:364 ; 4-byte Folded Spill
	s_and_saveexec_b64 s[28:29], s[40:41]
	s_cbranch_execz .LBB262_395
; %bb.390:                              ;   in Loop: Header=BB262_12 Depth=1
	v_cmp_ne_u16_sdwa s[42:43], v3, s44 src0_sel:BYTE_0 src1_sel:DWORD
	v_mov_b32_e32 v1, 0x8000
	buffer_store_dword v1, off, s[0:3], s32 offset:364 ; 4-byte Folded Spill
	s_and_saveexec_b64 s[40:41], s[42:43]
	s_cbranch_execz .LBB262_394
; %bb.391:                              ;   in Loop: Header=BB262_12 Depth=1
	v_bfe_u32 v1, v5, 16, 7
	v_cmp_ne_u32_e32 vcc, s45, v1
	v_mov_b32_e32 v2, 0x7c01
	buffer_store_dword v2, off, s[0:3], s32 offset:364 ; 4-byte Folded Spill
	s_and_saveexec_b64 s[42:43], vcc
	s_cbranch_execz .LBB262_393
; %bb.392:                              ;   in Loop: Header=BB262_12 Depth=1
	v_and_b32_e32 v6, 7, v3
	v_lshrrev_b32_e32 v7, 3, v1
	v_cmp_gt_u32_e32 vcc, 8, v1
	v_ffbh_u32_e32 v1, v6
	v_min_u32_e32 v8, 32, v1
	v_subrev_u32_e32 v1, 28, v8
	v_lshlrev_b64 v[1:2], v1, v[3:4]
	v_sub_u32_e32 v2, 29, v8
	v_cndmask_b32_e32 v2, v7, v2, vcc
	v_mov_b32_e32 v7, 0x2000
	v_lshl_add_u32 v2, v2, 10, v7
	v_lshlrev_b32_e32 v3, 8, v3
	v_and_b32_e32 v1, 7, v1
	v_and_b32_e32 v2, 0xfc00, v2
	v_cndmask_b32_e32 v1, v6, v1, vcc
	v_and_or_b32 v2, v3, s46, v2
	v_lshl_or_b32 v1, v1, 7, v2
	buffer_store_dword v1, off, s[0:3], s32 offset:364 ; 4-byte Folded Spill
.LBB262_393:                            ;   in Loop: Header=BB262_12 Depth=1
	s_or_b64 exec, exec, s[42:43]
.LBB262_394:                            ;   in Loop: Header=BB262_12 Depth=1
	s_or_b64 exec, exec, s[40:41]
.LBB262_395:                            ;   in Loop: Header=BB262_12 Depth=1
	s_or_b64 exec, exec, s[28:29]
	v_cmp_lt_u32_e32 vcc, s47, v5
	s_and_saveexec_b64 s[28:29], vcc
	s_cbranch_execz .LBB262_401
; %bb.396:                              ;   in Loop: Header=BB262_12 Depth=1
	v_lshrrev_b32_e32 v3, 24, v5
	v_cmp_ne_u32_e32 vcc, s44, v3
	v_bfrev_b32_e32 v1, 1
	buffer_store_dword v1, off, s[0:3], s32 offset:360 ; 4-byte Folded Spill
	s_and_saveexec_b64 s[40:41], vcc
	s_cbranch_execz .LBB262_400
; %bb.397:                              ;   in Loop: Header=BB262_12 Depth=1
	v_and_b32_e32 v1, 0x7f, v3
	v_cmp_ne_u32_e32 vcc, s45, v1
	v_mov_b32_e32 v2, 0x7c010000
	buffer_store_dword v2, off, s[0:3], s32 offset:360 ; 4-byte Folded Spill
	s_and_saveexec_b64 s[42:43], vcc
	s_cbranch_execz .LBB262_399
; %bb.398:                              ;   in Loop: Header=BB262_12 Depth=1
	v_and_b32_e32 v5, 7, v3
	v_lshrrev_b32_e32 v6, 3, v1
	v_cmp_gt_u32_e32 vcc, 8, v1
	v_ffbh_u32_e32 v1, v5
	v_min_u32_e32 v7, 32, v1
	v_subrev_u32_e32 v1, 28, v7
	v_lshlrev_b64 v[1:2], v1, v[3:4]
	v_sub_u32_e32 v2, 29, v7
	v_cndmask_b32_e32 v2, v6, v2, vcc
	v_mov_b32_e32 v6, 0x2000
	v_lshlrev_b32_e32 v3, 8, v3
	v_lshl_add_u32 v2, v2, 10, v6
	v_and_b32_e32 v1, 7, v1
	v_and_or_b32 v2, v3, s46, v2
	v_cndmask_b32_e32 v1, v5, v1, vcc
	v_lshlrev_b32_e32 v2, 16, v2
	v_lshl_or_b32 v1, v1, 23, v2
	buffer_store_dword v1, off, s[0:3], s32 offset:360 ; 4-byte Folded Spill
.LBB262_399:                            ;   in Loop: Header=BB262_12 Depth=1
	s_or_b64 exec, exec, s[42:43]
.LBB262_400:                            ;   in Loop: Header=BB262_12 Depth=1
	s_or_b64 exec, exec, s[40:41]
.LBB262_401:                            ;   in Loop: Header=BB262_12 Depth=1
	s_or_b64 exec, exec, s[28:29]
	buffer_load_dword v3, off, s[0:3], s32 offset:72 ; 4-byte Folded Reload
	v_add_co_u32_e32 v1, vcc, 0x1000, v24
	v_addc_co_u32_e32 v2, vcc, 0, v25, vcc
	s_waitcnt vmcnt(0)
	v_add_co_u32_e32 v5, vcc, v1, v3
	v_addc_co_u32_e32 v6, vcc, 0, v2, vcc
	flat_load_dword v5, v[5:6]
	v_mov_b32_e32 v3, 0
	buffer_store_dword v3, off, s[0:3], s32 offset:368 ; 4-byte Folded Spill
	v_mov_b32_e32 v3, 0
	buffer_store_dword v3, off, s[0:3], s32 offset:372 ; 4-byte Folded Spill
	s_waitcnt vmcnt(0) lgkmcnt(0)
	v_cmp_ne_u16_sdwa s[40:41], v5, v4 src0_sel:BYTE_0 src1_sel:DWORD
	s_and_saveexec_b64 s[28:29], s[40:41]
	s_cbranch_execz .LBB262_407
; %bb.402:                              ;   in Loop: Header=BB262_12 Depth=1
	v_cmp_ne_u16_sdwa s[42:43], v5, s44 src0_sel:BYTE_0 src1_sel:DWORD
	v_mov_b32_e32 v3, 0x8000
	buffer_store_dword v3, off, s[0:3], s32 offset:372 ; 4-byte Folded Spill
	s_and_saveexec_b64 s[40:41], s[42:43]
	s_cbranch_execz .LBB262_406
; %bb.403:                              ;   in Loop: Header=BB262_12 Depth=1
	v_and_b32_e32 v3, 0x7f, v5
	v_cmp_ne_u32_e32 vcc, s45, v3
	v_mov_b32_e32 v6, 0x7c01
	buffer_store_dword v6, off, s[0:3], s32 offset:372 ; 4-byte Folded Spill
	s_and_saveexec_b64 s[42:43], vcc
	s_cbranch_execz .LBB262_405
; %bb.404:                              ;   in Loop: Header=BB262_12 Depth=1
	v_and_b32_e32 v8, 7, v5
	v_lshrrev_b32_e32 v9, 3, v3
	v_cmp_gt_u32_e32 vcc, 8, v3
	v_ffbh_u32_e32 v3, v8
	v_min_u32_e32 v3, 32, v3
	v_subrev_u32_e32 v6, 28, v3
	v_sub_u32_e32 v3, 29, v3
	v_lshlrev_b64 v[6:7], v6, v[5:6]
	v_cndmask_b32_e32 v3, v9, v3, vcc
	v_mov_b32_e32 v9, 0x2000
	v_lshl_add_u32 v3, v3, 10, v9
	v_lshlrev_b32_e32 v7, 8, v5
	v_and_b32_e32 v6, 7, v6
	v_and_b32_e32 v3, 0xfc00, v3
	v_cndmask_b32_e32 v6, v8, v6, vcc
	v_and_or_b32 v3, v7, s46, v3
	v_lshl_or_b32 v3, v6, 7, v3
	buffer_store_dword v3, off, s[0:3], s32 offset:372 ; 4-byte Folded Spill
.LBB262_405:                            ;   in Loop: Header=BB262_12 Depth=1
	s_or_b64 exec, exec, s[42:43]
.LBB262_406:                            ;   in Loop: Header=BB262_12 Depth=1
	s_or_b64 exec, exec, s[40:41]
.LBB262_407:                            ;   in Loop: Header=BB262_12 Depth=1
	s_or_b64 exec, exec, s[28:29]
	v_lshrrev_b16_e32 v3, 8, v5
	v_cmp_ne_u16_e32 vcc, 0, v3
	s_and_saveexec_b64 s[28:29], vcc
	s_cbranch_execz .LBB262_413
; %bb.408:                              ;   in Loop: Header=BB262_12 Depth=1
	v_cmp_ne_u16_e32 vcc, s44, v3
	v_bfrev_b32_e32 v6, 1
	buffer_store_dword v6, off, s[0:3], s32 offset:368 ; 4-byte Folded Spill
	s_and_saveexec_b64 s[40:41], vcc
	s_cbranch_execz .LBB262_412
; %bb.409:                              ;   in Loop: Header=BB262_12 Depth=1
	v_and_b32_e32 v6, 0x7f, v3
	v_cmp_ne_u32_e32 vcc, s45, v6
	v_mov_b32_e32 v7, 0x7c010000
	buffer_store_dword v7, off, s[0:3], s32 offset:368 ; 4-byte Folded Spill
	s_and_saveexec_b64 s[42:43], vcc
	s_cbranch_execz .LBB262_411
; %bb.410:                              ;   in Loop: Header=BB262_12 Depth=1
	v_and_b32_e32 v8, 7, v3
	v_lshrrev_b32_e32 v9, 3, v6
	v_cmp_gt_u32_e32 vcc, 8, v6
	v_ffbh_u32_e32 v6, v8
	v_min_u32_e32 v10, 32, v6
	v_subrev_u32_e32 v6, 28, v10
	v_lshlrev_b64 v[6:7], v6, v[3:4]
	v_sub_u32_e32 v7, 29, v10
	v_cndmask_b32_e32 v7, v9, v7, vcc
	v_mov_b32_e32 v9, 0x2000
	v_lshlrev_b32_e32 v3, 8, v3
	v_lshl_add_u32 v7, v7, 10, v9
	v_and_b32_e32 v6, 7, v6
	v_and_or_b32 v3, v3, s46, v7
	v_cndmask_b32_e32 v6, v8, v6, vcc
	v_lshlrev_b32_e32 v3, 16, v3
	v_lshl_or_b32 v3, v6, 23, v3
	buffer_store_dword v3, off, s[0:3], s32 offset:368 ; 4-byte Folded Spill
.LBB262_411:                            ;   in Loop: Header=BB262_12 Depth=1
	s_or_b64 exec, exec, s[42:43]
.LBB262_412:                            ;   in Loop: Header=BB262_12 Depth=1
	s_or_b64 exec, exec, s[40:41]
.LBB262_413:                            ;   in Loop: Header=BB262_12 Depth=1
	s_or_b64 exec, exec, s[28:29]
	v_lshrrev_b32_e32 v3, 16, v5
	v_mov_b32_e32 v6, 0
	v_cmp_ne_u16_sdwa s[40:41], v3, v4 src0_sel:BYTE_0 src1_sel:DWORD
	buffer_store_dword v6, off, s[0:3], s32 offset:376 ; 4-byte Folded Spill
	v_mov_b32_e32 v6, 0
	buffer_store_dword v6, off, s[0:3], s32 offset:380 ; 4-byte Folded Spill
	s_and_saveexec_b64 s[28:29], s[40:41]
	s_cbranch_execz .LBB262_419
; %bb.414:                              ;   in Loop: Header=BB262_12 Depth=1
	v_cmp_ne_u16_sdwa s[42:43], v3, s44 src0_sel:BYTE_0 src1_sel:DWORD
	v_mov_b32_e32 v6, 0x8000
	buffer_store_dword v6, off, s[0:3], s32 offset:380 ; 4-byte Folded Spill
	s_and_saveexec_b64 s[40:41], s[42:43]
	s_cbranch_execz .LBB262_418
; %bb.415:                              ;   in Loop: Header=BB262_12 Depth=1
	v_bfe_u32 v6, v5, 16, 7
	v_cmp_ne_u32_e32 vcc, s45, v6
	v_mov_b32_e32 v7, 0x7c01
	buffer_store_dword v7, off, s[0:3], s32 offset:380 ; 4-byte Folded Spill
	s_and_saveexec_b64 s[42:43], vcc
	s_cbranch_execz .LBB262_417
; %bb.416:                              ;   in Loop: Header=BB262_12 Depth=1
	v_and_b32_e32 v8, 7, v3
	v_lshrrev_b32_e32 v9, 3, v6
	v_cmp_gt_u32_e32 vcc, 8, v6
	v_ffbh_u32_e32 v6, v8
	v_min_u32_e32 v10, 32, v6
	v_subrev_u32_e32 v6, 28, v10
	v_lshlrev_b64 v[6:7], v6, v[3:4]
	v_sub_u32_e32 v7, 29, v10
	v_cndmask_b32_e32 v7, v9, v7, vcc
	v_mov_b32_e32 v9, 0x2000
	v_lshl_add_u32 v7, v7, 10, v9
	v_lshlrev_b32_e32 v3, 8, v3
	v_and_b32_e32 v6, 7, v6
	v_and_b32_e32 v7, 0xfc00, v7
	v_cndmask_b32_e32 v6, v8, v6, vcc
	v_and_or_b32 v3, v3, s46, v7
	v_lshl_or_b32 v3, v6, 7, v3
	buffer_store_dword v3, off, s[0:3], s32 offset:380 ; 4-byte Folded Spill
.LBB262_417:                            ;   in Loop: Header=BB262_12 Depth=1
	s_or_b64 exec, exec, s[42:43]
.LBB262_418:                            ;   in Loop: Header=BB262_12 Depth=1
	s_or_b64 exec, exec, s[40:41]
.LBB262_419:                            ;   in Loop: Header=BB262_12 Depth=1
	s_or_b64 exec, exec, s[28:29]
	v_cmp_lt_u32_e32 vcc, s47, v5
	s_and_saveexec_b64 s[28:29], vcc
	s_cbranch_execz .LBB262_425
; %bb.420:                              ;   in Loop: Header=BB262_12 Depth=1
	v_lshrrev_b32_e32 v3, 24, v5
	v_cmp_ne_u32_e32 vcc, s44, v3
	v_bfrev_b32_e32 v5, 1
	buffer_store_dword v5, off, s[0:3], s32 offset:376 ; 4-byte Folded Spill
	s_and_saveexec_b64 s[40:41], vcc
	s_cbranch_execz .LBB262_424
; %bb.421:                              ;   in Loop: Header=BB262_12 Depth=1
	v_and_b32_e32 v5, 0x7f, v3
	v_cmp_ne_u32_e32 vcc, s45, v5
	v_mov_b32_e32 v6, 0x7c010000
	buffer_store_dword v6, off, s[0:3], s32 offset:376 ; 4-byte Folded Spill
	s_and_saveexec_b64 s[42:43], vcc
	s_cbranch_execz .LBB262_423
; %bb.422:                              ;   in Loop: Header=BB262_12 Depth=1
	v_and_b32_e32 v7, 7, v3
	v_lshrrev_b32_e32 v8, 3, v5
	v_cmp_gt_u32_e32 vcc, 8, v5
	v_ffbh_u32_e32 v5, v7
	v_min_u32_e32 v9, 32, v5
	v_subrev_u32_e32 v5, 28, v9
	v_lshlrev_b64 v[5:6], v5, v[3:4]
	v_sub_u32_e32 v6, 29, v9
	v_cndmask_b32_e32 v6, v8, v6, vcc
	v_mov_b32_e32 v8, 0x2000
	v_lshlrev_b32_e32 v3, 8, v3
	v_lshl_add_u32 v6, v6, 10, v8
	v_and_b32_e32 v5, 7, v5
	v_and_or_b32 v3, v3, s46, v6
	v_cndmask_b32_e32 v5, v7, v5, vcc
	v_lshlrev_b32_e32 v3, 16, v3
	v_lshl_or_b32 v3, v5, 23, v3
	buffer_store_dword v3, off, s[0:3], s32 offset:376 ; 4-byte Folded Spill
.LBB262_423:                            ;   in Loop: Header=BB262_12 Depth=1
	s_or_b64 exec, exec, s[42:43]
.LBB262_424:                            ;   in Loop: Header=BB262_12 Depth=1
	s_or_b64 exec, exec, s[40:41]
.LBB262_425:                            ;   in Loop: Header=BB262_12 Depth=1
	s_or_b64 exec, exec, s[28:29]
	buffer_load_dword v3, off, s[0:3], s32 offset:76 ; 4-byte Folded Reload
	s_waitcnt vmcnt(0)
	v_add_co_u32_e32 v1, vcc, v1, v3
	v_addc_co_u32_e32 v2, vcc, 0, v2, vcc
	flat_load_dword v5, v[1:2]
	v_mov_b32_e32 v1, 0
	buffer_store_dword v1, off, s[0:3], s32 offset:384 ; 4-byte Folded Spill
	v_mov_b32_e32 v1, 0
	buffer_store_dword v1, off, s[0:3], s32 offset:388 ; 4-byte Folded Spill
	s_waitcnt vmcnt(0) lgkmcnt(0)
	v_cmp_ne_u16_sdwa s[40:41], v5, v4 src0_sel:BYTE_0 src1_sel:DWORD
	s_and_saveexec_b64 s[28:29], s[40:41]
	s_cbranch_execz .LBB262_431
; %bb.426:                              ;   in Loop: Header=BB262_12 Depth=1
	v_cmp_ne_u16_sdwa s[42:43], v5, s44 src0_sel:BYTE_0 src1_sel:DWORD
	v_mov_b32_e32 v1, 0x8000
	buffer_store_dword v1, off, s[0:3], s32 offset:388 ; 4-byte Folded Spill
	s_and_saveexec_b64 s[40:41], s[42:43]
	s_cbranch_execz .LBB262_430
; %bb.427:                              ;   in Loop: Header=BB262_12 Depth=1
	v_and_b32_e32 v1, 0x7f, v5
	v_cmp_ne_u32_e32 vcc, s45, v1
	v_mov_b32_e32 v2, 0x7c01
	buffer_store_dword v2, off, s[0:3], s32 offset:388 ; 4-byte Folded Spill
	s_and_saveexec_b64 s[42:43], vcc
	s_cbranch_execz .LBB262_429
; %bb.428:                              ;   in Loop: Header=BB262_12 Depth=1
	v_and_b32_e32 v3, 7, v5
	v_lshrrev_b32_e32 v6, 3, v1
	v_cmp_gt_u32_e32 vcc, 8, v1
	v_ffbh_u32_e32 v1, v3
	v_min_u32_e32 v7, 32, v1
	v_subrev_u32_e32 v1, 28, v7
	v_lshlrev_b64 v[1:2], v1, v[5:6]
	v_sub_u32_e32 v2, 29, v7
	v_cndmask_b32_e32 v2, v6, v2, vcc
	v_mov_b32_e32 v7, 0x2000
	v_lshl_add_u32 v2, v2, 10, v7
	v_lshlrev_b32_e32 v6, 8, v5
	v_and_b32_e32 v1, 7, v1
	v_and_b32_e32 v2, 0xfc00, v2
	v_cndmask_b32_e32 v1, v3, v1, vcc
	v_and_or_b32 v2, v6, s46, v2
	v_lshl_or_b32 v1, v1, 7, v2
	buffer_store_dword v1, off, s[0:3], s32 offset:388 ; 4-byte Folded Spill
.LBB262_429:                            ;   in Loop: Header=BB262_12 Depth=1
	s_or_b64 exec, exec, s[42:43]
.LBB262_430:                            ;   in Loop: Header=BB262_12 Depth=1
	s_or_b64 exec, exec, s[40:41]
.LBB262_431:                            ;   in Loop: Header=BB262_12 Depth=1
	s_or_b64 exec, exec, s[28:29]
	v_lshrrev_b16_e32 v3, 8, v5
	v_cmp_ne_u16_e32 vcc, 0, v3
	s_and_saveexec_b64 s[28:29], vcc
	s_cbranch_execz .LBB262_437
; %bb.432:                              ;   in Loop: Header=BB262_12 Depth=1
	v_cmp_ne_u16_e32 vcc, s44, v3
	v_bfrev_b32_e32 v1, 1
	buffer_store_dword v1, off, s[0:3], s32 offset:384 ; 4-byte Folded Spill
	s_and_saveexec_b64 s[40:41], vcc
	s_cbranch_execz .LBB262_436
; %bb.433:                              ;   in Loop: Header=BB262_12 Depth=1
	v_and_b32_e32 v1, 0x7f, v3
	v_cmp_ne_u32_e32 vcc, s45, v1
	v_mov_b32_e32 v2, 0x7c010000
	buffer_store_dword v2, off, s[0:3], s32 offset:384 ; 4-byte Folded Spill
	s_and_saveexec_b64 s[42:43], vcc
	s_cbranch_execz .LBB262_435
; %bb.434:                              ;   in Loop: Header=BB262_12 Depth=1
	v_and_b32_e32 v6, 7, v3
	v_lshrrev_b32_e32 v7, 3, v1
	v_cmp_gt_u32_e32 vcc, 8, v1
	v_ffbh_u32_e32 v1, v6
	v_min_u32_e32 v8, 32, v1
	v_subrev_u32_e32 v1, 28, v8
	v_lshlrev_b64 v[1:2], v1, v[3:4]
	v_sub_u32_e32 v2, 29, v8
	v_cndmask_b32_e32 v2, v7, v2, vcc
	v_mov_b32_e32 v7, 0x2000
	v_lshlrev_b32_e32 v3, 8, v3
	v_lshl_add_u32 v2, v2, 10, v7
	v_and_b32_e32 v1, 7, v1
	v_and_or_b32 v2, v3, s46, v2
	v_cndmask_b32_e32 v1, v6, v1, vcc
	v_lshlrev_b32_e32 v2, 16, v2
	v_lshl_or_b32 v1, v1, 23, v2
	buffer_store_dword v1, off, s[0:3], s32 offset:384 ; 4-byte Folded Spill
.LBB262_435:                            ;   in Loop: Header=BB262_12 Depth=1
	s_or_b64 exec, exec, s[42:43]
.LBB262_436:                            ;   in Loop: Header=BB262_12 Depth=1
	s_or_b64 exec, exec, s[40:41]
.LBB262_437:                            ;   in Loop: Header=BB262_12 Depth=1
	s_or_b64 exec, exec, s[28:29]
	v_lshrrev_b32_e32 v3, 16, v5
	v_mov_b32_e32 v1, 0
	v_cmp_ne_u16_sdwa s[40:41], v3, v4 src0_sel:BYTE_0 src1_sel:DWORD
	buffer_store_dword v1, off, s[0:3], s32 offset:392 ; 4-byte Folded Spill
	v_mov_b32_e32 v1, 0
	buffer_store_dword v1, off, s[0:3], s32 offset:396 ; 4-byte Folded Spill
	s_and_saveexec_b64 s[28:29], s[40:41]
	s_cbranch_execz .LBB262_443
; %bb.438:                              ;   in Loop: Header=BB262_12 Depth=1
	v_cmp_ne_u16_sdwa s[42:43], v3, s44 src0_sel:BYTE_0 src1_sel:DWORD
	v_mov_b32_e32 v1, 0x8000
	buffer_store_dword v1, off, s[0:3], s32 offset:396 ; 4-byte Folded Spill
	s_and_saveexec_b64 s[40:41], s[42:43]
	s_cbranch_execz .LBB262_442
; %bb.439:                              ;   in Loop: Header=BB262_12 Depth=1
	v_bfe_u32 v1, v5, 16, 7
	v_cmp_ne_u32_e32 vcc, s45, v1
	v_mov_b32_e32 v2, 0x7c01
	buffer_store_dword v2, off, s[0:3], s32 offset:396 ; 4-byte Folded Spill
	s_and_saveexec_b64 s[42:43], vcc
	s_cbranch_execz .LBB262_441
; %bb.440:                              ;   in Loop: Header=BB262_12 Depth=1
	v_and_b32_e32 v6, 7, v3
	v_lshrrev_b32_e32 v7, 3, v1
	v_cmp_gt_u32_e32 vcc, 8, v1
	v_ffbh_u32_e32 v1, v6
	v_min_u32_e32 v8, 32, v1
	v_subrev_u32_e32 v1, 28, v8
	v_lshlrev_b64 v[1:2], v1, v[3:4]
	v_sub_u32_e32 v2, 29, v8
	v_cndmask_b32_e32 v2, v7, v2, vcc
	v_mov_b32_e32 v7, 0x2000
	v_lshl_add_u32 v2, v2, 10, v7
	v_lshlrev_b32_e32 v3, 8, v3
	v_and_b32_e32 v1, 7, v1
	v_and_b32_e32 v2, 0xfc00, v2
	v_cndmask_b32_e32 v1, v6, v1, vcc
	v_and_or_b32 v2, v3, s46, v2
	v_lshl_or_b32 v1, v1, 7, v2
	buffer_store_dword v1, off, s[0:3], s32 offset:396 ; 4-byte Folded Spill
.LBB262_441:                            ;   in Loop: Header=BB262_12 Depth=1
	s_or_b64 exec, exec, s[42:43]
.LBB262_442:                            ;   in Loop: Header=BB262_12 Depth=1
	s_or_b64 exec, exec, s[40:41]
.LBB262_443:                            ;   in Loop: Header=BB262_12 Depth=1
	s_or_b64 exec, exec, s[28:29]
	v_cmp_lt_u32_e32 vcc, s47, v5
	s_and_saveexec_b64 s[28:29], vcc
	s_cbranch_execz .LBB262_449
; %bb.444:                              ;   in Loop: Header=BB262_12 Depth=1
	v_lshrrev_b32_e32 v3, 24, v5
	v_cmp_ne_u32_e32 vcc, s44, v3
	v_bfrev_b32_e32 v1, 1
	buffer_store_dword v1, off, s[0:3], s32 offset:392 ; 4-byte Folded Spill
	s_and_saveexec_b64 s[40:41], vcc
	s_cbranch_execz .LBB262_448
; %bb.445:                              ;   in Loop: Header=BB262_12 Depth=1
	v_and_b32_e32 v1, 0x7f, v3
	v_cmp_ne_u32_e32 vcc, s45, v1
	v_mov_b32_e32 v2, 0x7c010000
	buffer_store_dword v2, off, s[0:3], s32 offset:392 ; 4-byte Folded Spill
	s_and_saveexec_b64 s[42:43], vcc
	s_cbranch_execz .LBB262_447
; %bb.446:                              ;   in Loop: Header=BB262_12 Depth=1
	v_and_b32_e32 v5, 7, v3
	v_lshrrev_b32_e32 v6, 3, v1
	v_cmp_gt_u32_e32 vcc, 8, v1
	v_ffbh_u32_e32 v1, v5
	v_min_u32_e32 v7, 32, v1
	v_subrev_u32_e32 v1, 28, v7
	v_lshlrev_b64 v[1:2], v1, v[3:4]
	v_sub_u32_e32 v2, 29, v7
	v_cndmask_b32_e32 v2, v6, v2, vcc
	v_mov_b32_e32 v6, 0x2000
	v_lshlrev_b32_e32 v3, 8, v3
	v_lshl_add_u32 v2, v2, 10, v6
	v_and_b32_e32 v1, 7, v1
	v_and_or_b32 v2, v3, s46, v2
	v_cndmask_b32_e32 v1, v5, v1, vcc
	v_lshlrev_b32_e32 v2, 16, v2
	v_lshl_or_b32 v1, v1, 23, v2
	buffer_store_dword v1, off, s[0:3], s32 offset:392 ; 4-byte Folded Spill
.LBB262_447:                            ;   in Loop: Header=BB262_12 Depth=1
	s_or_b64 exec, exec, s[42:43]
.LBB262_448:                            ;   in Loop: Header=BB262_12 Depth=1
	s_or_b64 exec, exec, s[40:41]
.LBB262_449:                            ;   in Loop: Header=BB262_12 Depth=1
	s_or_b64 exec, exec, s[28:29]
	buffer_load_dword v3, off, s[0:3], s32 offset:72 ; 4-byte Folded Reload
	v_add_co_u32_e32 v1, vcc, 0x1200, v24
	v_addc_co_u32_e32 v2, vcc, 0, v25, vcc
	v_mov_b32_e32 v11, 0
	s_waitcnt vmcnt(0)
	v_add_co_u32_e32 v5, vcc, v1, v3
	v_addc_co_u32_e32 v6, vcc, 0, v2, vcc
	flat_load_dword v5, v[5:6]
	v_mov_b32_e32 v3, 0
	buffer_store_dword v3, off, s[0:3], s32 offset:400 ; 4-byte Folded Spill
	s_waitcnt vmcnt(0) lgkmcnt(0)
	v_cmp_ne_u16_sdwa s[40:41], v5, v4 src0_sel:BYTE_0 src1_sel:DWORD
	s_and_saveexec_b64 s[28:29], s[40:41]
	s_cbranch_execz .LBB262_455
; %bb.450:                              ;   in Loop: Header=BB262_12 Depth=1
	v_cmp_ne_u16_sdwa s[42:43], v5, s44 src0_sel:BYTE_0 src1_sel:DWORD
	v_mov_b32_e32 v3, 0x8000
	buffer_store_dword v3, off, s[0:3], s32 offset:400 ; 4-byte Folded Spill
	s_and_saveexec_b64 s[40:41], s[42:43]
	s_cbranch_execz .LBB262_454
; %bb.451:                              ;   in Loop: Header=BB262_12 Depth=1
	v_and_b32_e32 v3, 0x7f, v5
	v_cmp_ne_u32_e32 vcc, s45, v3
	v_mov_b32_e32 v6, 0x7c01
	buffer_store_dword v6, off, s[0:3], s32 offset:400 ; 4-byte Folded Spill
	s_and_saveexec_b64 s[42:43], vcc
	s_cbranch_execz .LBB262_453
; %bb.452:                              ;   in Loop: Header=BB262_12 Depth=1
	v_and_b32_e32 v8, 7, v5
	v_lshrrev_b32_e32 v9, 3, v3
	v_cmp_gt_u32_e32 vcc, 8, v3
	v_ffbh_u32_e32 v3, v8
	v_min_u32_e32 v3, 32, v3
	v_subrev_u32_e32 v6, 28, v3
	v_sub_u32_e32 v3, 29, v3
	v_lshlrev_b64 v[6:7], v6, v[5:6]
	v_cndmask_b32_e32 v3, v9, v3, vcc
	v_mov_b32_e32 v9, 0x2000
	v_lshl_add_u32 v3, v3, 10, v9
	v_lshlrev_b32_e32 v7, 8, v5
	v_and_b32_e32 v6, 7, v6
	v_and_b32_e32 v3, 0xfc00, v3
	v_cndmask_b32_e32 v6, v8, v6, vcc
	v_and_or_b32 v3, v7, s46, v3
	v_lshl_or_b32 v3, v6, 7, v3
	buffer_store_dword v3, off, s[0:3], s32 offset:400 ; 4-byte Folded Spill
.LBB262_453:                            ;   in Loop: Header=BB262_12 Depth=1
	s_or_b64 exec, exec, s[42:43]
.LBB262_454:                            ;   in Loop: Header=BB262_12 Depth=1
	s_or_b64 exec, exec, s[40:41]
.LBB262_455:                            ;   in Loop: Header=BB262_12 Depth=1
	s_or_b64 exec, exec, s[28:29]
	v_lshrrev_b16_e32 v3, 8, v5
	v_cmp_ne_u16_e32 vcc, 0, v3
	s_and_saveexec_b64 s[28:29], vcc
	s_cbranch_execz .LBB262_461
; %bb.456:                              ;   in Loop: Header=BB262_12 Depth=1
	v_cmp_ne_u16_e32 vcc, s44, v3
	v_bfrev_b32_e32 v11, 1
	s_and_saveexec_b64 s[40:41], vcc
	s_cbranch_execz .LBB262_460
; %bb.457:                              ;   in Loop: Header=BB262_12 Depth=1
	v_and_b32_e32 v6, 0x7f, v3
	v_cmp_ne_u32_e32 vcc, s45, v6
	v_mov_b32_e32 v11, 0x7c010000
	s_and_saveexec_b64 s[42:43], vcc
	s_cbranch_execz .LBB262_459
; %bb.458:                              ;   in Loop: Header=BB262_12 Depth=1
	v_and_b32_e32 v8, 7, v3
	v_lshrrev_b32_e32 v9, 3, v6
	v_cmp_gt_u32_e32 vcc, 8, v6
	v_ffbh_u32_e32 v6, v8
	v_min_u32_e32 v10, 32, v6
	v_subrev_u32_e32 v6, 28, v10
	v_lshlrev_b64 v[6:7], v6, v[3:4]
	v_sub_u32_e32 v7, 29, v10
	v_cndmask_b32_e32 v7, v9, v7, vcc
	v_mov_b32_e32 v9, 0x2000
	v_lshlrev_b32_e32 v3, 8, v3
	v_lshl_add_u32 v7, v7, 10, v9
	v_and_b32_e32 v6, 7, v6
	v_and_or_b32 v3, v3, s46, v7
	v_cndmask_b32_e32 v6, v8, v6, vcc
	v_lshlrev_b32_e32 v3, 16, v3
	v_lshl_or_b32 v11, v6, 23, v3
.LBB262_459:                            ;   in Loop: Header=BB262_12 Depth=1
	s_or_b64 exec, exec, s[42:43]
.LBB262_460:                            ;   in Loop: Header=BB262_12 Depth=1
	s_or_b64 exec, exec, s[40:41]
.LBB262_461:                            ;   in Loop: Header=BB262_12 Depth=1
	s_or_b64 exec, exec, s[28:29]
	v_lshrrev_b32_e32 v3, 16, v5
	v_cmp_ne_u16_sdwa s[40:41], v3, v4 src0_sel:BYTE_0 src1_sel:DWORD
	v_mov_b32_e32 v12, 0
	v_mov_b32_e32 v6, 0
	buffer_store_dword v6, off, s[0:3], s32 offset:404 ; 4-byte Folded Spill
	s_and_saveexec_b64 s[28:29], s[40:41]
	s_cbranch_execz .LBB262_467
; %bb.462:                              ;   in Loop: Header=BB262_12 Depth=1
	v_cmp_ne_u16_sdwa s[42:43], v3, s44 src0_sel:BYTE_0 src1_sel:DWORD
	v_mov_b32_e32 v6, 0x8000
	buffer_store_dword v6, off, s[0:3], s32 offset:404 ; 4-byte Folded Spill
	s_and_saveexec_b64 s[40:41], s[42:43]
	s_cbranch_execz .LBB262_466
; %bb.463:                              ;   in Loop: Header=BB262_12 Depth=1
	v_bfe_u32 v6, v5, 16, 7
	v_cmp_ne_u32_e32 vcc, s45, v6
	v_mov_b32_e32 v7, 0x7c01
	buffer_store_dword v7, off, s[0:3], s32 offset:404 ; 4-byte Folded Spill
	s_and_saveexec_b64 s[42:43], vcc
	s_cbranch_execz .LBB262_465
; %bb.464:                              ;   in Loop: Header=BB262_12 Depth=1
	v_and_b32_e32 v8, 7, v3
	v_lshrrev_b32_e32 v9, 3, v6
	v_cmp_gt_u32_e32 vcc, 8, v6
	v_ffbh_u32_e32 v6, v8
	v_min_u32_e32 v10, 32, v6
	v_subrev_u32_e32 v6, 28, v10
	v_lshlrev_b64 v[6:7], v6, v[3:4]
	v_sub_u32_e32 v7, 29, v10
	v_cndmask_b32_e32 v7, v9, v7, vcc
	v_mov_b32_e32 v9, 0x2000
	v_lshl_add_u32 v7, v7, 10, v9
	v_lshlrev_b32_e32 v3, 8, v3
	v_and_b32_e32 v6, 7, v6
	v_and_b32_e32 v7, 0xfc00, v7
	v_cndmask_b32_e32 v6, v8, v6, vcc
	v_and_or_b32 v3, v3, s46, v7
	v_lshl_or_b32 v3, v6, 7, v3
	buffer_store_dword v3, off, s[0:3], s32 offset:404 ; 4-byte Folded Spill
.LBB262_465:                            ;   in Loop: Header=BB262_12 Depth=1
	s_or_b64 exec, exec, s[42:43]
.LBB262_466:                            ;   in Loop: Header=BB262_12 Depth=1
	s_or_b64 exec, exec, s[40:41]
.LBB262_467:                            ;   in Loop: Header=BB262_12 Depth=1
	s_or_b64 exec, exec, s[28:29]
	v_cmp_lt_u32_e32 vcc, s47, v5
	s_and_saveexec_b64 s[28:29], vcc
	s_cbranch_execz .LBB262_473
; %bb.468:                              ;   in Loop: Header=BB262_12 Depth=1
	v_lshrrev_b32_e32 v3, 24, v5
	v_cmp_ne_u32_e32 vcc, s44, v3
	v_bfrev_b32_e32 v12, 1
	s_and_saveexec_b64 s[40:41], vcc
	s_cbranch_execz .LBB262_472
; %bb.469:                              ;   in Loop: Header=BB262_12 Depth=1
	v_and_b32_e32 v5, 0x7f, v3
	v_cmp_ne_u32_e32 vcc, s45, v5
	v_mov_b32_e32 v12, 0x7c010000
	s_and_saveexec_b64 s[42:43], vcc
	s_cbranch_execz .LBB262_471
; %bb.470:                              ;   in Loop: Header=BB262_12 Depth=1
	v_and_b32_e32 v7, 7, v3
	v_lshrrev_b32_e32 v8, 3, v5
	v_cmp_gt_u32_e32 vcc, 8, v5
	v_ffbh_u32_e32 v5, v7
	v_min_u32_e32 v9, 32, v5
	v_subrev_u32_e32 v5, 28, v9
	v_lshlrev_b64 v[5:6], v5, v[3:4]
	v_sub_u32_e32 v6, 29, v9
	v_cndmask_b32_e32 v6, v8, v6, vcc
	v_mov_b32_e32 v8, 0x2000
	v_lshlrev_b32_e32 v3, 8, v3
	v_lshl_add_u32 v6, v6, 10, v8
	v_and_b32_e32 v5, 7, v5
	v_and_or_b32 v3, v3, s46, v6
	v_cndmask_b32_e32 v5, v7, v5, vcc
	v_lshlrev_b32_e32 v3, 16, v3
	v_lshl_or_b32 v12, v5, 23, v3
.LBB262_471:                            ;   in Loop: Header=BB262_12 Depth=1
	s_or_b64 exec, exec, s[42:43]
.LBB262_472:                            ;   in Loop: Header=BB262_12 Depth=1
	s_or_b64 exec, exec, s[40:41]
.LBB262_473:                            ;   in Loop: Header=BB262_12 Depth=1
	s_or_b64 exec, exec, s[28:29]
	buffer_load_dword v3, off, s[0:3], s32 offset:76 ; 4-byte Folded Reload
	v_mov_b32_e32 v46, 0
	s_waitcnt vmcnt(0)
	v_add_co_u32_e32 v1, vcc, v1, v3
	v_addc_co_u32_e32 v2, vcc, 0, v2, vcc
	flat_load_dword v5, v[1:2]
	v_mov_b32_e32 v1, 0
	buffer_store_dword v1, off, s[0:3], s32 offset:408 ; 4-byte Folded Spill
	s_waitcnt vmcnt(0) lgkmcnt(0)
	v_cmp_ne_u16_sdwa s[40:41], v5, v4 src0_sel:BYTE_0 src1_sel:DWORD
	s_and_saveexec_b64 s[28:29], s[40:41]
	s_cbranch_execz .LBB262_479
; %bb.474:                              ;   in Loop: Header=BB262_12 Depth=1
	v_cmp_ne_u16_sdwa s[42:43], v5, s44 src0_sel:BYTE_0 src1_sel:DWORD
	v_mov_b32_e32 v1, 0x8000
	buffer_store_dword v1, off, s[0:3], s32 offset:408 ; 4-byte Folded Spill
	s_and_saveexec_b64 s[40:41], s[42:43]
	s_cbranch_execz .LBB262_478
; %bb.475:                              ;   in Loop: Header=BB262_12 Depth=1
	v_and_b32_e32 v1, 0x7f, v5
	v_cmp_ne_u32_e32 vcc, s45, v1
	v_mov_b32_e32 v2, 0x7c01
	buffer_store_dword v2, off, s[0:3], s32 offset:408 ; 4-byte Folded Spill
	s_and_saveexec_b64 s[42:43], vcc
	s_cbranch_execz .LBB262_477
; %bb.476:                              ;   in Loop: Header=BB262_12 Depth=1
	v_and_b32_e32 v3, 7, v5
	v_lshrrev_b32_e32 v6, 3, v1
	v_cmp_gt_u32_e32 vcc, 8, v1
	v_ffbh_u32_e32 v1, v3
	v_min_u32_e32 v7, 32, v1
	v_subrev_u32_e32 v1, 28, v7
	v_lshlrev_b64 v[1:2], v1, v[5:6]
	v_sub_u32_e32 v2, 29, v7
	v_cndmask_b32_e32 v2, v6, v2, vcc
	v_mov_b32_e32 v7, 0x2000
	v_lshl_add_u32 v2, v2, 10, v7
	v_lshlrev_b32_e32 v6, 8, v5
	v_and_b32_e32 v1, 7, v1
	v_and_b32_e32 v2, 0xfc00, v2
	v_cndmask_b32_e32 v1, v3, v1, vcc
	v_and_or_b32 v2, v6, s46, v2
	v_lshl_or_b32 v1, v1, 7, v2
	buffer_store_dword v1, off, s[0:3], s32 offset:408 ; 4-byte Folded Spill
.LBB262_477:                            ;   in Loop: Header=BB262_12 Depth=1
	s_or_b64 exec, exec, s[42:43]
.LBB262_478:                            ;   in Loop: Header=BB262_12 Depth=1
	s_or_b64 exec, exec, s[40:41]
.LBB262_479:                            ;   in Loop: Header=BB262_12 Depth=1
	s_or_b64 exec, exec, s[28:29]
	v_lshrrev_b16_e32 v3, 8, v5
	v_cmp_ne_u16_e32 vcc, 0, v3
	s_and_saveexec_b64 s[28:29], vcc
	s_cbranch_execz .LBB262_485
; %bb.480:                              ;   in Loop: Header=BB262_12 Depth=1
	v_cmp_ne_u16_e32 vcc, s44, v3
	v_bfrev_b32_e32 v46, 1
	s_and_saveexec_b64 s[40:41], vcc
	s_cbranch_execz .LBB262_484
; %bb.481:                              ;   in Loop: Header=BB262_12 Depth=1
	v_and_b32_e32 v1, 0x7f, v3
	v_cmp_ne_u32_e32 vcc, s45, v1
	v_mov_b32_e32 v46, 0x7c010000
	s_and_saveexec_b64 s[42:43], vcc
	s_cbranch_execz .LBB262_483
; %bb.482:                              ;   in Loop: Header=BB262_12 Depth=1
	v_and_b32_e32 v6, 7, v3
	v_lshrrev_b32_e32 v7, 3, v1
	v_cmp_gt_u32_e32 vcc, 8, v1
	v_ffbh_u32_e32 v1, v6
	v_min_u32_e32 v8, 32, v1
	v_subrev_u32_e32 v1, 28, v8
	v_lshlrev_b64 v[1:2], v1, v[3:4]
	v_sub_u32_e32 v2, 29, v8
	v_cndmask_b32_e32 v2, v7, v2, vcc
	v_mov_b32_e32 v7, 0x2000
	v_lshlrev_b32_e32 v3, 8, v3
	v_lshl_add_u32 v2, v2, 10, v7
	v_and_b32_e32 v1, 7, v1
	v_and_or_b32 v2, v3, s46, v2
	v_cndmask_b32_e32 v1, v6, v1, vcc
	v_lshlrev_b32_e32 v2, 16, v2
	v_lshl_or_b32 v46, v1, 23, v2
.LBB262_483:                            ;   in Loop: Header=BB262_12 Depth=1
	s_or_b64 exec, exec, s[42:43]
.LBB262_484:                            ;   in Loop: Header=BB262_12 Depth=1
	s_or_b64 exec, exec, s[40:41]
.LBB262_485:                            ;   in Loop: Header=BB262_12 Depth=1
	s_or_b64 exec, exec, s[28:29]
	v_lshrrev_b32_e32 v3, 16, v5
	v_cmp_ne_u16_sdwa s[40:41], v3, v4 src0_sel:BYTE_0 src1_sel:DWORD
	v_mov_b32_e32 v61, 0
	v_mov_b32_e32 v1, 0
	buffer_store_dword v1, off, s[0:3], s32 offset:412 ; 4-byte Folded Spill
	s_and_saveexec_b64 s[28:29], s[40:41]
	s_cbranch_execz .LBB262_491
; %bb.486:                              ;   in Loop: Header=BB262_12 Depth=1
	v_cmp_ne_u16_sdwa s[42:43], v3, s44 src0_sel:BYTE_0 src1_sel:DWORD
	v_mov_b32_e32 v1, 0x8000
	buffer_store_dword v1, off, s[0:3], s32 offset:412 ; 4-byte Folded Spill
	s_and_saveexec_b64 s[40:41], s[42:43]
	s_cbranch_execz .LBB262_490
; %bb.487:                              ;   in Loop: Header=BB262_12 Depth=1
	v_bfe_u32 v1, v5, 16, 7
	v_cmp_ne_u32_e32 vcc, s45, v1
	v_mov_b32_e32 v2, 0x7c01
	buffer_store_dword v2, off, s[0:3], s32 offset:412 ; 4-byte Folded Spill
	s_and_saveexec_b64 s[42:43], vcc
	s_cbranch_execz .LBB262_489
; %bb.488:                              ;   in Loop: Header=BB262_12 Depth=1
	v_and_b32_e32 v6, 7, v3
	v_lshrrev_b32_e32 v7, 3, v1
	v_cmp_gt_u32_e32 vcc, 8, v1
	v_ffbh_u32_e32 v1, v6
	v_min_u32_e32 v8, 32, v1
	v_subrev_u32_e32 v1, 28, v8
	v_lshlrev_b64 v[1:2], v1, v[3:4]
	v_sub_u32_e32 v2, 29, v8
	v_cndmask_b32_e32 v2, v7, v2, vcc
	v_mov_b32_e32 v7, 0x2000
	v_lshl_add_u32 v2, v2, 10, v7
	v_lshlrev_b32_e32 v3, 8, v3
	v_and_b32_e32 v1, 7, v1
	v_and_b32_e32 v2, 0xfc00, v2
	v_cndmask_b32_e32 v1, v6, v1, vcc
	v_and_or_b32 v2, v3, s46, v2
	v_lshl_or_b32 v1, v1, 7, v2
	buffer_store_dword v1, off, s[0:3], s32 offset:412 ; 4-byte Folded Spill
.LBB262_489:                            ;   in Loop: Header=BB262_12 Depth=1
	s_or_b64 exec, exec, s[42:43]
.LBB262_490:                            ;   in Loop: Header=BB262_12 Depth=1
	s_or_b64 exec, exec, s[40:41]
.LBB262_491:                            ;   in Loop: Header=BB262_12 Depth=1
	s_or_b64 exec, exec, s[28:29]
	v_cmp_lt_u32_e32 vcc, s47, v5
	s_and_saveexec_b64 s[28:29], vcc
	s_cbranch_execz .LBB262_497
; %bb.492:                              ;   in Loop: Header=BB262_12 Depth=1
	v_lshrrev_b32_e32 v3, 24, v5
	v_cmp_ne_u32_e32 vcc, s44, v3
	v_bfrev_b32_e32 v61, 1
	s_and_saveexec_b64 s[40:41], vcc
	s_cbranch_execz .LBB262_496
; %bb.493:                              ;   in Loop: Header=BB262_12 Depth=1
	v_and_b32_e32 v1, 0x7f, v3
	v_cmp_ne_u32_e32 vcc, s45, v1
	v_mov_b32_e32 v61, 0x7c010000
	s_and_saveexec_b64 s[42:43], vcc
	s_cbranch_execz .LBB262_495
; %bb.494:                              ;   in Loop: Header=BB262_12 Depth=1
	v_and_b32_e32 v5, 7, v3
	v_lshrrev_b32_e32 v6, 3, v1
	v_cmp_gt_u32_e32 vcc, 8, v1
	v_ffbh_u32_e32 v1, v5
	v_min_u32_e32 v7, 32, v1
	v_subrev_u32_e32 v1, 28, v7
	v_lshlrev_b64 v[1:2], v1, v[3:4]
	v_sub_u32_e32 v2, 29, v7
	v_cndmask_b32_e32 v2, v6, v2, vcc
	v_mov_b32_e32 v6, 0x2000
	v_lshlrev_b32_e32 v3, 8, v3
	v_lshl_add_u32 v2, v2, 10, v6
	v_and_b32_e32 v1, 7, v1
	v_and_or_b32 v2, v3, s46, v2
	v_cndmask_b32_e32 v1, v5, v1, vcc
	v_lshlrev_b32_e32 v2, 16, v2
	v_lshl_or_b32 v61, v1, 23, v2
.LBB262_495:                            ;   in Loop: Header=BB262_12 Depth=1
	s_or_b64 exec, exec, s[42:43]
.LBB262_496:                            ;   in Loop: Header=BB262_12 Depth=1
	s_or_b64 exec, exec, s[40:41]
.LBB262_497:                            ;   in Loop: Header=BB262_12 Depth=1
	s_or_b64 exec, exec, s[28:29]
	buffer_load_dword v3, off, s[0:3], s32 offset:72 ; 4-byte Folded Reload
	v_add_co_u32_e32 v1, vcc, 0x1400, v24
	v_addc_co_u32_e32 v2, vcc, 0, v25, vcc
	v_mov_b32_e32 v19, 0
	s_waitcnt vmcnt(0)
	v_add_co_u32_e32 v5, vcc, v1, v3
	v_addc_co_u32_e32 v6, vcc, 0, v2, vcc
	flat_load_dword v5, v[5:6]
	v_mov_b32_e32 v3, 0
	buffer_store_dword v3, off, s[0:3], s32 offset:416 ; 4-byte Folded Spill
	s_waitcnt vmcnt(0) lgkmcnt(0)
	v_cmp_ne_u16_sdwa s[40:41], v5, v4 src0_sel:BYTE_0 src1_sel:DWORD
	s_and_saveexec_b64 s[28:29], s[40:41]
	s_cbranch_execz .LBB262_503
; %bb.498:                              ;   in Loop: Header=BB262_12 Depth=1
	v_cmp_ne_u16_sdwa s[42:43], v5, s44 src0_sel:BYTE_0 src1_sel:DWORD
	v_mov_b32_e32 v3, 0x8000
	buffer_store_dword v3, off, s[0:3], s32 offset:416 ; 4-byte Folded Spill
	s_and_saveexec_b64 s[40:41], s[42:43]
	s_cbranch_execz .LBB262_502
; %bb.499:                              ;   in Loop: Header=BB262_12 Depth=1
	v_and_b32_e32 v3, 0x7f, v5
	v_cmp_ne_u32_e32 vcc, s45, v3
	v_mov_b32_e32 v6, 0x7c01
	buffer_store_dword v6, off, s[0:3], s32 offset:416 ; 4-byte Folded Spill
	s_and_saveexec_b64 s[42:43], vcc
	s_cbranch_execz .LBB262_501
; %bb.500:                              ;   in Loop: Header=BB262_12 Depth=1
	v_and_b32_e32 v8, 7, v5
	v_lshrrev_b32_e32 v9, 3, v3
	v_cmp_gt_u32_e32 vcc, 8, v3
	v_ffbh_u32_e32 v3, v8
	v_min_u32_e32 v3, 32, v3
	v_subrev_u32_e32 v6, 28, v3
	v_sub_u32_e32 v3, 29, v3
	v_lshlrev_b64 v[6:7], v6, v[5:6]
	v_cndmask_b32_e32 v3, v9, v3, vcc
	v_mov_b32_e32 v9, 0x2000
	v_lshl_add_u32 v3, v3, 10, v9
	v_lshlrev_b32_e32 v7, 8, v5
	v_and_b32_e32 v6, 7, v6
	v_and_b32_e32 v3, 0xfc00, v3
	v_cndmask_b32_e32 v6, v8, v6, vcc
	v_and_or_b32 v3, v7, s46, v3
	v_lshl_or_b32 v3, v6, 7, v3
	buffer_store_dword v3, off, s[0:3], s32 offset:416 ; 4-byte Folded Spill
.LBB262_501:                            ;   in Loop: Header=BB262_12 Depth=1
	s_or_b64 exec, exec, s[42:43]
.LBB262_502:                            ;   in Loop: Header=BB262_12 Depth=1
	s_or_b64 exec, exec, s[40:41]
.LBB262_503:                            ;   in Loop: Header=BB262_12 Depth=1
	s_or_b64 exec, exec, s[28:29]
	v_lshrrev_b16_e32 v3, 8, v5
	v_cmp_ne_u16_e32 vcc, 0, v3
	s_and_saveexec_b64 s[28:29], vcc
	s_cbranch_execz .LBB262_509
; %bb.504:                              ;   in Loop: Header=BB262_12 Depth=1
	v_cmp_ne_u16_e32 vcc, s44, v3
	v_bfrev_b32_e32 v19, 1
	s_and_saveexec_b64 s[40:41], vcc
	s_cbranch_execz .LBB262_508
; %bb.505:                              ;   in Loop: Header=BB262_12 Depth=1
	v_and_b32_e32 v6, 0x7f, v3
	v_cmp_ne_u32_e32 vcc, s45, v6
	v_mov_b32_e32 v19, 0x7c010000
	s_and_saveexec_b64 s[42:43], vcc
	s_cbranch_execz .LBB262_507
; %bb.506:                              ;   in Loop: Header=BB262_12 Depth=1
	v_and_b32_e32 v8, 7, v3
	v_lshrrev_b32_e32 v9, 3, v6
	v_cmp_gt_u32_e32 vcc, 8, v6
	v_ffbh_u32_e32 v6, v8
	v_min_u32_e32 v10, 32, v6
	v_subrev_u32_e32 v6, 28, v10
	v_lshlrev_b64 v[6:7], v6, v[3:4]
	v_sub_u32_e32 v7, 29, v10
	v_cndmask_b32_e32 v7, v9, v7, vcc
	v_mov_b32_e32 v9, 0x2000
	v_lshlrev_b32_e32 v3, 8, v3
	v_lshl_add_u32 v7, v7, 10, v9
	v_and_b32_e32 v6, 7, v6
	v_and_or_b32 v3, v3, s46, v7
	v_cndmask_b32_e32 v6, v8, v6, vcc
	v_lshlrev_b32_e32 v3, 16, v3
	v_lshl_or_b32 v19, v6, 23, v3
.LBB262_507:                            ;   in Loop: Header=BB262_12 Depth=1
	s_or_b64 exec, exec, s[42:43]
.LBB262_508:                            ;   in Loop: Header=BB262_12 Depth=1
	s_or_b64 exec, exec, s[40:41]
.LBB262_509:                            ;   in Loop: Header=BB262_12 Depth=1
	s_or_b64 exec, exec, s[28:29]
	v_lshrrev_b32_e32 v3, 16, v5
	v_cmp_ne_u16_sdwa s[40:41], v3, v4 src0_sel:BYTE_0 src1_sel:DWORD
	v_mov_b32_e32 v63, 0
	v_mov_b32_e32 v6, 0
	buffer_store_dword v6, off, s[0:3], s32 offset:420 ; 4-byte Folded Spill
	s_and_saveexec_b64 s[28:29], s[40:41]
	s_cbranch_execz .LBB262_515
; %bb.510:                              ;   in Loop: Header=BB262_12 Depth=1
	v_cmp_ne_u16_sdwa s[42:43], v3, s44 src0_sel:BYTE_0 src1_sel:DWORD
	v_mov_b32_e32 v6, 0x8000
	buffer_store_dword v6, off, s[0:3], s32 offset:420 ; 4-byte Folded Spill
	s_and_saveexec_b64 s[40:41], s[42:43]
	s_cbranch_execz .LBB262_514
; %bb.511:                              ;   in Loop: Header=BB262_12 Depth=1
	v_bfe_u32 v6, v5, 16, 7
	v_cmp_ne_u32_e32 vcc, s45, v6
	v_mov_b32_e32 v7, 0x7c01
	buffer_store_dword v7, off, s[0:3], s32 offset:420 ; 4-byte Folded Spill
	s_and_saveexec_b64 s[42:43], vcc
	s_cbranch_execz .LBB262_513
; %bb.512:                              ;   in Loop: Header=BB262_12 Depth=1
	v_and_b32_e32 v8, 7, v3
	v_lshrrev_b32_e32 v9, 3, v6
	v_cmp_gt_u32_e32 vcc, 8, v6
	v_ffbh_u32_e32 v6, v8
	v_min_u32_e32 v10, 32, v6
	v_subrev_u32_e32 v6, 28, v10
	v_lshlrev_b64 v[6:7], v6, v[3:4]
	v_sub_u32_e32 v7, 29, v10
	v_cndmask_b32_e32 v7, v9, v7, vcc
	v_mov_b32_e32 v9, 0x2000
	v_lshl_add_u32 v7, v7, 10, v9
	v_lshlrev_b32_e32 v3, 8, v3
	v_and_b32_e32 v6, 7, v6
	v_and_b32_e32 v7, 0xfc00, v7
	v_cndmask_b32_e32 v6, v8, v6, vcc
	v_and_or_b32 v3, v3, s46, v7
	v_lshl_or_b32 v3, v6, 7, v3
	buffer_store_dword v3, off, s[0:3], s32 offset:420 ; 4-byte Folded Spill
.LBB262_513:                            ;   in Loop: Header=BB262_12 Depth=1
	s_or_b64 exec, exec, s[42:43]
.LBB262_514:                            ;   in Loop: Header=BB262_12 Depth=1
	s_or_b64 exec, exec, s[40:41]
.LBB262_515:                            ;   in Loop: Header=BB262_12 Depth=1
	s_or_b64 exec, exec, s[28:29]
	v_cmp_lt_u32_e32 vcc, s47, v5
	s_and_saveexec_b64 s[28:29], vcc
	s_cbranch_execz .LBB262_521
; %bb.516:                              ;   in Loop: Header=BB262_12 Depth=1
	v_lshrrev_b32_e32 v3, 24, v5
	v_cmp_ne_u32_e32 vcc, s44, v3
	v_bfrev_b32_e32 v63, 1
	s_and_saveexec_b64 s[40:41], vcc
	s_cbranch_execz .LBB262_520
; %bb.517:                              ;   in Loop: Header=BB262_12 Depth=1
	v_and_b32_e32 v5, 0x7f, v3
	v_cmp_ne_u32_e32 vcc, s45, v5
	v_mov_b32_e32 v63, 0x7c010000
	s_and_saveexec_b64 s[42:43], vcc
	s_cbranch_execz .LBB262_519
; %bb.518:                              ;   in Loop: Header=BB262_12 Depth=1
	v_and_b32_e32 v7, 7, v3
	v_lshrrev_b32_e32 v8, 3, v5
	v_cmp_gt_u32_e32 vcc, 8, v5
	v_ffbh_u32_e32 v5, v7
	v_min_u32_e32 v9, 32, v5
	v_subrev_u32_e32 v5, 28, v9
	v_lshlrev_b64 v[5:6], v5, v[3:4]
	v_sub_u32_e32 v6, 29, v9
	v_cndmask_b32_e32 v6, v8, v6, vcc
	v_mov_b32_e32 v8, 0x2000
	v_lshlrev_b32_e32 v3, 8, v3
	v_lshl_add_u32 v6, v6, 10, v8
	v_and_b32_e32 v5, 7, v5
	v_and_or_b32 v3, v3, s46, v6
	v_cndmask_b32_e32 v5, v7, v5, vcc
	v_lshlrev_b32_e32 v3, 16, v3
	v_lshl_or_b32 v63, v5, 23, v3
.LBB262_519:                            ;   in Loop: Header=BB262_12 Depth=1
	s_or_b64 exec, exec, s[42:43]
.LBB262_520:                            ;   in Loop: Header=BB262_12 Depth=1
	s_or_b64 exec, exec, s[40:41]
.LBB262_521:                            ;   in Loop: Header=BB262_12 Depth=1
	s_or_b64 exec, exec, s[28:29]
	buffer_load_dword v3, off, s[0:3], s32 offset:76 ; 4-byte Folded Reload
	s_waitcnt vmcnt(0)
	v_add_co_u32_e32 v1, vcc, v1, v3
	v_addc_co_u32_e32 v2, vcc, 0, v2, vcc
	flat_load_dword v5, v[1:2]
	v_mov_b32_e32 v2, 0
	v_mov_b32_e32 v1, 0
	buffer_store_dword v1, off, s[0:3], s32 offset:424 ; 4-byte Folded Spill
	s_waitcnt vmcnt(0) lgkmcnt(0)
	v_cmp_ne_u16_sdwa s[40:41], v5, v4 src0_sel:BYTE_0 src1_sel:DWORD
	s_and_saveexec_b64 s[28:29], s[40:41]
	s_cbranch_execz .LBB262_527
; %bb.522:                              ;   in Loop: Header=BB262_12 Depth=1
	v_cmp_ne_u16_sdwa s[42:43], v5, s44 src0_sel:BYTE_0 src1_sel:DWORD
	v_mov_b32_e32 v1, 0x8000
	buffer_store_dword v1, off, s[0:3], s32 offset:424 ; 4-byte Folded Spill
	s_and_saveexec_b64 s[40:41], s[42:43]
	s_cbranch_execz .LBB262_526
; %bb.523:                              ;   in Loop: Header=BB262_12 Depth=1
	v_and_b32_e32 v1, 0x7f, v5
	v_cmp_ne_u32_e32 vcc, s45, v1
	v_mov_b32_e32 v3, 0x7c01
	buffer_store_dword v3, off, s[0:3], s32 offset:424 ; 4-byte Folded Spill
	s_and_saveexec_b64 s[42:43], vcc
	s_cbranch_execz .LBB262_525
; %bb.524:                              ;   in Loop: Header=BB262_12 Depth=1
	v_and_b32_e32 v3, 7, v5
	v_lshrrev_b32_e32 v8, 3, v1
	v_cmp_gt_u32_e32 vcc, 8, v1
	v_ffbh_u32_e32 v1, v3
	v_min_u32_e32 v1, 32, v1
	v_subrev_u32_e32 v6, 28, v1
	v_sub_u32_e32 v1, 29, v1
	v_lshlrev_b64 v[6:7], v6, v[5:6]
	v_cndmask_b32_e32 v1, v8, v1, vcc
	v_mov_b32_e32 v8, 0x2000
	v_lshl_add_u32 v1, v1, 10, v8
	v_lshlrev_b32_e32 v7, 8, v5
	v_and_b32_e32 v6, 7, v6
	v_and_b32_e32 v1, 0xfc00, v1
	v_cndmask_b32_e32 v3, v3, v6, vcc
	v_and_or_b32 v1, v7, s46, v1
	v_lshl_or_b32 v1, v3, 7, v1
	buffer_store_dword v1, off, s[0:3], s32 offset:424 ; 4-byte Folded Spill
.LBB262_525:                            ;   in Loop: Header=BB262_12 Depth=1
	s_or_b64 exec, exec, s[42:43]
.LBB262_526:                            ;   in Loop: Header=BB262_12 Depth=1
	s_or_b64 exec, exec, s[40:41]
.LBB262_527:                            ;   in Loop: Header=BB262_12 Depth=1
	s_or_b64 exec, exec, s[28:29]
	v_lshrrev_b16_e32 v3, 8, v5
	v_cmp_ne_u16_e32 vcc, 0, v3
	s_and_saveexec_b64 s[28:29], vcc
	s_cbranch_execz .LBB262_533
; %bb.528:                              ;   in Loop: Header=BB262_12 Depth=1
	v_cmp_ne_u16_e32 vcc, s44, v3
	v_bfrev_b32_e32 v2, 1
	s_and_saveexec_b64 s[40:41], vcc
	s_cbranch_execz .LBB262_532
; %bb.529:                              ;   in Loop: Header=BB262_12 Depth=1
	v_and_b32_e32 v1, 0x7f, v3
	v_cmp_ne_u32_e32 vcc, s45, v1
	v_mov_b32_e32 v2, 0x7c010000
	s_and_saveexec_b64 s[42:43], vcc
	s_cbranch_execz .LBB262_531
; %bb.530:                              ;   in Loop: Header=BB262_12 Depth=1
	v_and_b32_e32 v6, 7, v3
	v_lshrrev_b32_e32 v7, 3, v1
	v_cmp_gt_u32_e32 vcc, 8, v1
	v_ffbh_u32_e32 v1, v6
	v_min_u32_e32 v8, 32, v1
	v_subrev_u32_e32 v1, 28, v8
	v_lshlrev_b64 v[1:2], v1, v[3:4]
	v_sub_u32_e32 v2, 29, v8
	v_cndmask_b32_e32 v2, v7, v2, vcc
	v_mov_b32_e32 v7, 0x2000
	v_lshlrev_b32_e32 v3, 8, v3
	v_lshl_add_u32 v2, v2, 10, v7
	v_and_b32_e32 v1, 7, v1
	v_and_or_b32 v2, v3, s46, v2
	v_cndmask_b32_e32 v1, v6, v1, vcc
	v_lshlrev_b32_e32 v2, 16, v2
	v_lshl_or_b32 v2, v1, 23, v2
.LBB262_531:                            ;   in Loop: Header=BB262_12 Depth=1
	s_or_b64 exec, exec, s[42:43]
.LBB262_532:                            ;   in Loop: Header=BB262_12 Depth=1
	s_or_b64 exec, exec, s[40:41]
.LBB262_533:                            ;   in Loop: Header=BB262_12 Depth=1
	s_or_b64 exec, exec, s[28:29]
	v_lshrrev_b32_e32 v3, 16, v5
	v_cmp_ne_u16_sdwa s[40:41], v3, v4 src0_sel:BYTE_0 src1_sel:DWORD
	v_mov_b32_e32 v52, 0
	v_mov_b32_e32 v1, 0
	buffer_store_dword v1, off, s[0:3], s32 offset:428 ; 4-byte Folded Spill
	s_and_saveexec_b64 s[28:29], s[40:41]
	s_cbranch_execz .LBB262_539
; %bb.534:                              ;   in Loop: Header=BB262_12 Depth=1
	v_cmp_ne_u16_sdwa s[42:43], v3, s44 src0_sel:BYTE_0 src1_sel:DWORD
	v_mov_b32_e32 v1, 0x8000
	buffer_store_dword v1, off, s[0:3], s32 offset:428 ; 4-byte Folded Spill
	s_and_saveexec_b64 s[40:41], s[42:43]
	s_cbranch_execz .LBB262_538
; %bb.535:                              ;   in Loop: Header=BB262_12 Depth=1
	v_bfe_u32 v1, v5, 16, 7
	v_cmp_ne_u32_e32 vcc, s45, v1
	v_mov_b32_e32 v6, 0x7c01
	buffer_store_dword v6, off, s[0:3], s32 offset:428 ; 4-byte Folded Spill
	s_and_saveexec_b64 s[42:43], vcc
	s_cbranch_execz .LBB262_537
; %bb.536:                              ;   in Loop: Header=BB262_12 Depth=1
	v_and_b32_e32 v8, 7, v3
	v_lshrrev_b32_e32 v9, 3, v1
	v_cmp_gt_u32_e32 vcc, 8, v1
	v_ffbh_u32_e32 v1, v8
	v_min_u32_e32 v1, 32, v1
	v_subrev_u32_e32 v6, 28, v1
	v_lshlrev_b64 v[6:7], v6, v[3:4]
	v_sub_u32_e32 v1, 29, v1
	v_cndmask_b32_e32 v1, v9, v1, vcc
	v_mov_b32_e32 v7, 0x2000
	v_lshl_add_u32 v1, v1, 10, v7
	v_lshlrev_b32_e32 v3, 8, v3
	v_and_b32_e32 v6, 7, v6
	v_and_b32_e32 v1, 0xfc00, v1
	v_cndmask_b32_e32 v6, v8, v6, vcc
	v_and_or_b32 v1, v3, s46, v1
	v_lshl_or_b32 v1, v6, 7, v1
	buffer_store_dword v1, off, s[0:3], s32 offset:428 ; 4-byte Folded Spill
.LBB262_537:                            ;   in Loop: Header=BB262_12 Depth=1
	s_or_b64 exec, exec, s[42:43]
.LBB262_538:                            ;   in Loop: Header=BB262_12 Depth=1
	s_or_b64 exec, exec, s[40:41]
.LBB262_539:                            ;   in Loop: Header=BB262_12 Depth=1
	s_or_b64 exec, exec, s[28:29]
	v_cmp_lt_u32_e32 vcc, s47, v5
	s_and_saveexec_b64 s[28:29], vcc
	s_cbranch_execz .LBB262_545
; %bb.540:                              ;   in Loop: Header=BB262_12 Depth=1
	v_lshrrev_b32_e32 v3, 24, v5
	v_cmp_ne_u32_e32 vcc, s44, v3
	v_bfrev_b32_e32 v52, 1
	s_and_saveexec_b64 s[40:41], vcc
	s_cbranch_execz .LBB262_544
; %bb.541:                              ;   in Loop: Header=BB262_12 Depth=1
	v_and_b32_e32 v1, 0x7f, v3
	v_cmp_ne_u32_e32 vcc, s45, v1
	v_mov_b32_e32 v52, 0x7c010000
	s_and_saveexec_b64 s[42:43], vcc
	s_cbranch_execz .LBB262_543
; %bb.542:                              ;   in Loop: Header=BB262_12 Depth=1
	v_and_b32_e32 v7, 7, v3
	v_lshrrev_b32_e32 v8, 3, v1
	v_cmp_gt_u32_e32 vcc, 8, v1
	v_ffbh_u32_e32 v1, v7
	v_min_u32_e32 v1, 32, v1
	v_subrev_u32_e32 v5, 28, v1
	v_lshlrev_b64 v[5:6], v5, v[3:4]
	v_sub_u32_e32 v1, 29, v1
	v_cndmask_b32_e32 v1, v8, v1, vcc
	v_mov_b32_e32 v6, 0x2000
	v_lshlrev_b32_e32 v3, 8, v3
	v_lshl_add_u32 v1, v1, 10, v6
	v_and_b32_e32 v5, 7, v5
	v_and_or_b32 v1, v3, s46, v1
	v_cndmask_b32_e32 v5, v7, v5, vcc
	v_lshlrev_b32_e32 v1, 16, v1
	v_lshl_or_b32 v52, v5, 23, v1
.LBB262_543:                            ;   in Loop: Header=BB262_12 Depth=1
	s_or_b64 exec, exec, s[42:43]
.LBB262_544:                            ;   in Loop: Header=BB262_12 Depth=1
	s_or_b64 exec, exec, s[40:41]
.LBB262_545:                            ;   in Loop: Header=BB262_12 Depth=1
	s_or_b64 exec, exec, s[28:29]
	buffer_load_dword v1, off, s[0:3], s32 offset:72 ; 4-byte Folded Reload
	v_add_co_u32_e32 v6, vcc, 0x1600, v24
	v_addc_co_u32_e32 v7, vcc, 0, v25, vcc
	v_mov_b32_e32 v21, 0
	v_mov_b32_e32 v22, 0
	s_waitcnt vmcnt(0)
	v_add_co_u32_e32 v14, vcc, v6, v1
	v_addc_co_u32_e32 v15, vcc, 0, v7, vcc
	flat_load_dword v5, v[14:15]
	s_waitcnt vmcnt(0) lgkmcnt(0)
	v_cmp_ne_u16_sdwa s[40:41], v5, v4 src0_sel:BYTE_0 src1_sel:DWORD
	s_and_saveexec_b64 s[28:29], s[40:41]
	s_cbranch_execz .LBB262_551
; %bb.546:                              ;   in Loop: Header=BB262_12 Depth=1
	v_cmp_ne_u16_sdwa s[42:43], v5, s44 src0_sel:BYTE_0 src1_sel:DWORD
	v_mov_b32_e32 v22, 0x8000
	s_and_saveexec_b64 s[40:41], s[42:43]
	s_cbranch_execz .LBB262_550
; %bb.547:                              ;   in Loop: Header=BB262_12 Depth=1
	v_and_b32_e32 v1, 0x7f, v5
	v_cmp_ne_u32_e32 vcc, s45, v1
	v_mov_b32_e32 v22, 0x7c01
	s_and_saveexec_b64 s[42:43], vcc
	s_cbranch_execz .LBB262_549
; %bb.548:                              ;   in Loop: Header=BB262_12 Depth=1
	v_and_b32_e32 v3, 7, v5
	v_lshrrev_b32_e32 v8, 3, v1
	v_cmp_gt_u32_e32 vcc, 8, v1
	v_ffbh_u32_e32 v1, v3
	v_min_u32_e32 v1, 32, v1
	v_subrev_u32_e32 v9, 28, v1
	v_sub_u32_e32 v1, 29, v1
	v_lshlrev_b64 v[14:15], v9, v[5:6]
	v_cndmask_b32_e32 v1, v8, v1, vcc
	v_mov_b32_e32 v9, 0x2000
	v_lshl_add_u32 v1, v1, 10, v9
	v_lshlrev_b32_e32 v8, 8, v5
	v_and_b32_e32 v9, 7, v14
	v_and_b32_e32 v1, 0xfc00, v1
	v_cndmask_b32_e32 v3, v3, v9, vcc
	v_and_or_b32 v1, v8, s46, v1
	v_lshl_or_b32 v22, v3, 7, v1
.LBB262_549:                            ;   in Loop: Header=BB262_12 Depth=1
	s_or_b64 exec, exec, s[42:43]
.LBB262_550:                            ;   in Loop: Header=BB262_12 Depth=1
	s_or_b64 exec, exec, s[40:41]
.LBB262_551:                            ;   in Loop: Header=BB262_12 Depth=1
	s_or_b64 exec, exec, s[28:29]
	v_lshrrev_b16_e32 v3, 8, v5
	v_cmp_ne_u16_e32 vcc, 0, v3
	s_and_saveexec_b64 s[28:29], vcc
	s_cbranch_execz .LBB262_557
; %bb.552:                              ;   in Loop: Header=BB262_12 Depth=1
	v_cmp_ne_u16_e32 vcc, s44, v3
	v_bfrev_b32_e32 v21, 1
	s_and_saveexec_b64 s[40:41], vcc
	s_cbranch_execz .LBB262_556
; %bb.553:                              ;   in Loop: Header=BB262_12 Depth=1
	v_and_b32_e32 v1, 0x7f, v3
	v_cmp_ne_u32_e32 vcc, s45, v1
	v_mov_b32_e32 v21, 0x7c010000
	s_and_saveexec_b64 s[42:43], vcc
	s_cbranch_execz .LBB262_555
; %bb.554:                              ;   in Loop: Header=BB262_12 Depth=1
	v_and_b32_e32 v8, 7, v3
	v_lshrrev_b32_e32 v9, 3, v1
	v_cmp_gt_u32_e32 vcc, 8, v1
	v_ffbh_u32_e32 v1, v8
	v_min_u32_e32 v1, 32, v1
	v_subrev_u32_e32 v10, 28, v1
	v_sub_u32_e32 v1, 29, v1
	v_lshlrev_b64 v[14:15], v10, v[3:4]
	v_cndmask_b32_e32 v1, v9, v1, vcc
	v_mov_b32_e32 v9, 0x2000
	v_lshlrev_b32_e32 v3, 8, v3
	v_lshl_add_u32 v1, v1, 10, v9
	v_and_b32_e32 v9, 7, v14
	v_and_or_b32 v1, v3, s46, v1
	v_cndmask_b32_e32 v8, v8, v9, vcc
	v_lshlrev_b32_e32 v1, 16, v1
	v_lshl_or_b32 v21, v8, 23, v1
.LBB262_555:                            ;   in Loop: Header=BB262_12 Depth=1
	s_or_b64 exec, exec, s[42:43]
.LBB262_556:                            ;   in Loop: Header=BB262_12 Depth=1
	s_or_b64 exec, exec, s[40:41]
.LBB262_557:                            ;   in Loop: Header=BB262_12 Depth=1
	s_or_b64 exec, exec, s[28:29]
	v_lshrrev_b32_e32 v3, 16, v5
	v_cmp_ne_u16_sdwa s[40:41], v3, v4 src0_sel:BYTE_0 src1_sel:DWORD
	v_mov_b32_e32 v1, 0
	v_mov_b32_e32 v38, 0
	s_and_saveexec_b64 s[28:29], s[40:41]
	s_cbranch_execz .LBB262_563
; %bb.558:                              ;   in Loop: Header=BB262_12 Depth=1
	v_cmp_ne_u16_sdwa s[42:43], v3, s44 src0_sel:BYTE_0 src1_sel:DWORD
	v_mov_b32_e32 v38, 0x8000
	s_and_saveexec_b64 s[40:41], s[42:43]
	s_cbranch_execz .LBB262_562
; %bb.559:                              ;   in Loop: Header=BB262_12 Depth=1
	v_bfe_u32 v10, v5, 16, 7
	v_cmp_ne_u32_e32 vcc, s45, v10
	v_mov_b32_e32 v38, 0x7c01
	s_and_saveexec_b64 s[42:43], vcc
	s_cbranch_execz .LBB262_561
; %bb.560:                              ;   in Loop: Header=BB262_12 Depth=1
	v_and_b32_e32 v8, 7, v3
	v_lshrrev_b32_e32 v9, 3, v10
	v_cmp_gt_u32_e32 vcc, 8, v10
	v_ffbh_u32_e32 v10, v8
	v_min_u32_e32 v10, 32, v10
	v_subrev_u32_e32 v14, 28, v10
	v_sub_u32_e32 v10, 29, v10
	v_lshlrev_b64 v[14:15], v14, v[3:4]
	v_cndmask_b32_e32 v9, v9, v10, vcc
	v_mov_b32_e32 v10, 0x2000
	v_lshl_add_u32 v9, v9, 10, v10
	v_lshlrev_b32_e32 v3, 8, v3
	v_and_b32_e32 v10, 7, v14
	v_and_b32_e32 v9, 0xfc00, v9
	v_cndmask_b32_e32 v8, v8, v10, vcc
	v_and_or_b32 v3, v3, s46, v9
	v_lshl_or_b32 v38, v8, 7, v3
.LBB262_561:                            ;   in Loop: Header=BB262_12 Depth=1
	s_or_b64 exec, exec, s[42:43]
.LBB262_562:                            ;   in Loop: Header=BB262_12 Depth=1
	s_or_b64 exec, exec, s[40:41]
.LBB262_563:                            ;   in Loop: Header=BB262_12 Depth=1
	s_or_b64 exec, exec, s[28:29]
	v_cmp_lt_u32_e32 vcc, s47, v5
	s_and_saveexec_b64 s[28:29], vcc
	s_cbranch_execz .LBB262_569
; %bb.564:                              ;   in Loop: Header=BB262_12 Depth=1
	v_lshrrev_b32_e32 v3, 24, v5
	v_cmp_ne_u32_e32 vcc, s44, v3
	v_bfrev_b32_e32 v1, 1
	s_and_saveexec_b64 s[40:41], vcc
	s_cbranch_execz .LBB262_568
; %bb.565:                              ;   in Loop: Header=BB262_12 Depth=1
	v_and_b32_e32 v5, 0x7f, v3
	v_cmp_ne_u32_e32 vcc, s45, v5
	v_mov_b32_e32 v1, 0x7c010000
	s_and_saveexec_b64 s[42:43], vcc
	s_cbranch_execz .LBB262_567
; %bb.566:                              ;   in Loop: Header=BB262_12 Depth=1
	v_and_b32_e32 v1, 7, v3
	v_lshrrev_b32_e32 v8, 3, v5
	v_cmp_gt_u32_e32 vcc, 8, v5
	v_ffbh_u32_e32 v5, v1
	v_min_u32_e32 v5, 32, v5
	v_subrev_u32_e32 v9, 28, v5
	v_sub_u32_e32 v5, 29, v5
	v_lshlrev_b64 v[14:15], v9, v[3:4]
	v_cndmask_b32_e32 v5, v8, v5, vcc
	v_mov_b32_e32 v8, 0x2000
	v_lshlrev_b32_e32 v3, 8, v3
	v_lshl_add_u32 v5, v5, 10, v8
	v_and_b32_e32 v8, 7, v14
	v_and_or_b32 v3, v3, s46, v5
	v_cndmask_b32_e32 v1, v1, v8, vcc
	v_lshlrev_b32_e32 v3, 16, v3
	v_lshl_or_b32 v1, v1, 23, v3
.LBB262_567:                            ;   in Loop: Header=BB262_12 Depth=1
	s_or_b64 exec, exec, s[42:43]
.LBB262_568:                            ;   in Loop: Header=BB262_12 Depth=1
	s_or_b64 exec, exec, s[40:41]
.LBB262_569:                            ;   in Loop: Header=BB262_12 Depth=1
	s_or_b64 exec, exec, s[28:29]
	buffer_load_dword v3, off, s[0:3], s32 offset:76 ; 4-byte Folded Reload
	v_mov_b32_e32 v28, 0
	v_mov_b32_e32 v59, 0
	s_waitcnt vmcnt(0)
	v_add_co_u32_e32 v5, vcc, v6, v3
	v_addc_co_u32_e32 v6, vcc, 0, v7, vcc
	flat_load_dword v5, v[5:6]
	s_waitcnt vmcnt(0) lgkmcnt(0)
	v_cmp_ne_u16_sdwa s[40:41], v5, v4 src0_sel:BYTE_0 src1_sel:DWORD
	s_and_saveexec_b64 s[28:29], s[40:41]
	s_cbranch_execz .LBB262_575
; %bb.570:                              ;   in Loop: Header=BB262_12 Depth=1
	v_cmp_ne_u16_sdwa s[42:43], v5, s44 src0_sel:BYTE_0 src1_sel:DWORD
	v_mov_b32_e32 v59, 0x8000
	s_and_saveexec_b64 s[40:41], s[42:43]
	s_cbranch_execz .LBB262_574
; %bb.571:                              ;   in Loop: Header=BB262_12 Depth=1
	v_and_b32_e32 v3, 0x7f, v5
	v_cmp_ne_u32_e32 vcc, s45, v3
	v_mov_b32_e32 v59, 0x7c01
	s_and_saveexec_b64 s[42:43], vcc
	s_cbranch_execz .LBB262_573
; %bb.572:                              ;   in Loop: Header=BB262_12 Depth=1
	v_and_b32_e32 v8, 7, v5
	v_lshrrev_b32_e32 v9, 3, v3
	v_cmp_gt_u32_e32 vcc, 8, v3
	v_ffbh_u32_e32 v3, v8
	v_min_u32_e32 v3, 32, v3
	v_subrev_u32_e32 v6, 28, v3
	v_sub_u32_e32 v3, 29, v3
	v_lshlrev_b64 v[6:7], v6, v[5:6]
	v_cndmask_b32_e32 v3, v9, v3, vcc
	v_mov_b32_e32 v9, 0x2000
	v_lshl_add_u32 v3, v3, 10, v9
	v_lshlrev_b32_e32 v7, 8, v5
	v_and_b32_e32 v6, 7, v6
	v_and_b32_e32 v3, 0xfc00, v3
	v_cndmask_b32_e32 v6, v8, v6, vcc
	v_and_or_b32 v3, v7, s46, v3
	v_lshl_or_b32 v59, v6, 7, v3
.LBB262_573:                            ;   in Loop: Header=BB262_12 Depth=1
	s_or_b64 exec, exec, s[42:43]
.LBB262_574:                            ;   in Loop: Header=BB262_12 Depth=1
	s_or_b64 exec, exec, s[40:41]
.LBB262_575:                            ;   in Loop: Header=BB262_12 Depth=1
	s_or_b64 exec, exec, s[28:29]
	v_lshrrev_b16_e32 v3, 8, v5
	v_cmp_ne_u16_e32 vcc, 0, v3
	s_and_saveexec_b64 s[28:29], vcc
	s_cbranch_execz .LBB262_581
; %bb.576:                              ;   in Loop: Header=BB262_12 Depth=1
	v_cmp_ne_u16_e32 vcc, s44, v3
	v_bfrev_b32_e32 v28, 1
	s_and_saveexec_b64 s[40:41], vcc
	s_cbranch_execz .LBB262_580
; %bb.577:                              ;   in Loop: Header=BB262_12 Depth=1
	v_and_b32_e32 v6, 0x7f, v3
	v_cmp_ne_u32_e32 vcc, s45, v6
	v_mov_b32_e32 v28, 0x7c010000
	s_and_saveexec_b64 s[42:43], vcc
	s_cbranch_execz .LBB262_579
; %bb.578:                              ;   in Loop: Header=BB262_12 Depth=1
	v_and_b32_e32 v8, 7, v3
	v_lshrrev_b32_e32 v9, 3, v6
	v_cmp_gt_u32_e32 vcc, 8, v6
	v_ffbh_u32_e32 v6, v8
	v_min_u32_e32 v10, 32, v6
	v_subrev_u32_e32 v6, 28, v10
	v_lshlrev_b64 v[6:7], v6, v[3:4]
	v_sub_u32_e32 v7, 29, v10
	v_cndmask_b32_e32 v7, v9, v7, vcc
	v_mov_b32_e32 v9, 0x2000
	v_lshlrev_b32_e32 v3, 8, v3
	v_lshl_add_u32 v7, v7, 10, v9
	v_and_b32_e32 v6, 7, v6
	v_and_or_b32 v3, v3, s46, v7
	v_cndmask_b32_e32 v6, v8, v6, vcc
	v_lshlrev_b32_e32 v3, 16, v3
	v_lshl_or_b32 v28, v6, 23, v3
.LBB262_579:                            ;   in Loop: Header=BB262_12 Depth=1
	s_or_b64 exec, exec, s[42:43]
.LBB262_580:                            ;   in Loop: Header=BB262_12 Depth=1
	s_or_b64 exec, exec, s[40:41]
.LBB262_581:                            ;   in Loop: Header=BB262_12 Depth=1
	s_or_b64 exec, exec, s[28:29]
	v_lshrrev_b32_e32 v3, 16, v5
	v_cmp_ne_u16_sdwa s[40:41], v3, v4 src0_sel:BYTE_0 src1_sel:DWORD
	v_mov_b32_e32 v45, 0
	v_mov_b32_e32 v20, 0
	s_and_saveexec_b64 s[28:29], s[40:41]
	s_cbranch_execz .LBB262_587
; %bb.582:                              ;   in Loop: Header=BB262_12 Depth=1
	v_cmp_ne_u16_sdwa s[42:43], v3, s44 src0_sel:BYTE_0 src1_sel:DWORD
	v_mov_b32_e32 v20, 0x8000
	s_and_saveexec_b64 s[40:41], s[42:43]
	s_cbranch_execz .LBB262_586
; %bb.583:                              ;   in Loop: Header=BB262_12 Depth=1
	v_bfe_u32 v6, v5, 16, 7
	v_cmp_ne_u32_e32 vcc, s45, v6
	v_mov_b32_e32 v20, 0x7c01
	s_and_saveexec_b64 s[42:43], vcc
	s_cbranch_execz .LBB262_585
; %bb.584:                              ;   in Loop: Header=BB262_12 Depth=1
	v_and_b32_e32 v8, 7, v3
	v_lshrrev_b32_e32 v9, 3, v6
	v_cmp_gt_u32_e32 vcc, 8, v6
	v_ffbh_u32_e32 v6, v8
	v_min_u32_e32 v10, 32, v6
	v_subrev_u32_e32 v6, 28, v10
	v_lshlrev_b64 v[6:7], v6, v[3:4]
	v_sub_u32_e32 v7, 29, v10
	v_cndmask_b32_e32 v7, v9, v7, vcc
	v_mov_b32_e32 v9, 0x2000
	v_lshl_add_u32 v7, v7, 10, v9
	v_lshlrev_b32_e32 v3, 8, v3
	v_and_b32_e32 v6, 7, v6
	v_and_b32_e32 v7, 0xfc00, v7
	v_cndmask_b32_e32 v6, v8, v6, vcc
	v_and_or_b32 v3, v3, s46, v7
	v_lshl_or_b32 v20, v6, 7, v3
.LBB262_585:                            ;   in Loop: Header=BB262_12 Depth=1
	s_or_b64 exec, exec, s[42:43]
.LBB262_586:                            ;   in Loop: Header=BB262_12 Depth=1
	s_or_b64 exec, exec, s[40:41]
.LBB262_587:                            ;   in Loop: Header=BB262_12 Depth=1
	s_or_b64 exec, exec, s[28:29]
	v_cmp_lt_u32_e32 vcc, s47, v5
	s_and_saveexec_b64 s[28:29], vcc
	s_cbranch_execz .LBB262_593
; %bb.588:                              ;   in Loop: Header=BB262_12 Depth=1
	v_lshrrev_b32_e32 v3, 24, v5
	v_cmp_ne_u32_e32 vcc, s44, v3
	v_bfrev_b32_e32 v45, 1
	s_and_saveexec_b64 s[40:41], vcc
	s_cbranch_execz .LBB262_592
; %bb.589:                              ;   in Loop: Header=BB262_12 Depth=1
	v_and_b32_e32 v5, 0x7f, v3
	v_cmp_ne_u32_e32 vcc, s45, v5
	v_mov_b32_e32 v45, 0x7c010000
	s_and_saveexec_b64 s[42:43], vcc
	s_cbranch_execz .LBB262_591
; %bb.590:                              ;   in Loop: Header=BB262_12 Depth=1
	v_and_b32_e32 v7, 7, v3
	v_lshrrev_b32_e32 v8, 3, v5
	v_cmp_gt_u32_e32 vcc, 8, v5
	v_ffbh_u32_e32 v5, v7
	v_min_u32_e32 v9, 32, v5
	v_subrev_u32_e32 v5, 28, v9
	v_lshlrev_b64 v[5:6], v5, v[3:4]
	v_sub_u32_e32 v6, 29, v9
	v_cndmask_b32_e32 v6, v8, v6, vcc
	v_mov_b32_e32 v8, 0x2000
	v_lshlrev_b32_e32 v3, 8, v3
	v_lshl_add_u32 v6, v6, 10, v8
	v_and_b32_e32 v5, 7, v5
	v_and_or_b32 v3, v3, s46, v6
	v_cndmask_b32_e32 v5, v7, v5, vcc
	v_lshlrev_b32_e32 v3, 16, v3
	v_lshl_or_b32 v45, v5, 23, v3
.LBB262_591:                            ;   in Loop: Header=BB262_12 Depth=1
	s_or_b64 exec, exec, s[42:43]
.LBB262_592:                            ;   in Loop: Header=BB262_12 Depth=1
	s_or_b64 exec, exec, s[40:41]
.LBB262_593:                            ;   in Loop: Header=BB262_12 Depth=1
	s_or_b64 exec, exec, s[28:29]
	buffer_load_dword v3, off, s[0:3], s32 offset:72 ; 4-byte Folded Reload
	v_add_co_u32_e32 v6, vcc, 0x1800, v24
	v_addc_co_u32_e32 v7, vcc, 0, v25, vcc
	v_mov_b32_e32 v18, 0
	v_mov_b32_e32 v41, 0
	s_waitcnt vmcnt(0)
	v_add_co_u32_e32 v14, vcc, v6, v3
	v_addc_co_u32_e32 v15, vcc, 0, v7, vcc
	flat_load_dword v5, v[14:15]
	s_waitcnt vmcnt(0) lgkmcnt(0)
	v_cmp_ne_u16_sdwa s[40:41], v5, v4 src0_sel:BYTE_0 src1_sel:DWORD
	s_and_saveexec_b64 s[28:29], s[40:41]
	s_cbranch_execz .LBB262_599
; %bb.594:                              ;   in Loop: Header=BB262_12 Depth=1
	v_cmp_ne_u16_sdwa s[42:43], v5, s44 src0_sel:BYTE_0 src1_sel:DWORD
	v_mov_b32_e32 v41, 0x8000
	s_and_saveexec_b64 s[40:41], s[42:43]
	s_cbranch_execz .LBB262_598
; %bb.595:                              ;   in Loop: Header=BB262_12 Depth=1
	v_and_b32_e32 v3, 0x7f, v5
	v_cmp_ne_u32_e32 vcc, s45, v3
	v_mov_b32_e32 v41, 0x7c01
	s_and_saveexec_b64 s[42:43], vcc
	s_cbranch_execz .LBB262_597
; %bb.596:                              ;   in Loop: Header=BB262_12 Depth=1
	v_and_b32_e32 v8, 7, v5
	v_lshrrev_b32_e32 v9, 3, v3
	v_cmp_gt_u32_e32 vcc, 8, v3
	v_ffbh_u32_e32 v3, v8
	v_min_u32_e32 v3, 32, v3
	v_subrev_u32_e32 v10, 28, v3
	v_sub_u32_e32 v3, 29, v3
	v_lshlrev_b64 v[14:15], v10, v[5:6]
	v_cndmask_b32_e32 v3, v9, v3, vcc
	v_mov_b32_e32 v10, 0x2000
	v_lshl_add_u32 v3, v3, 10, v10
	v_lshlrev_b32_e32 v9, 8, v5
	v_and_b32_e32 v10, 7, v14
	v_and_b32_e32 v3, 0xfc00, v3
	v_cndmask_b32_e32 v8, v8, v10, vcc
	v_and_or_b32 v3, v9, s46, v3
	v_lshl_or_b32 v41, v8, 7, v3
.LBB262_597:                            ;   in Loop: Header=BB262_12 Depth=1
	s_or_b64 exec, exec, s[42:43]
.LBB262_598:                            ;   in Loop: Header=BB262_12 Depth=1
	s_or_b64 exec, exec, s[40:41]
.LBB262_599:                            ;   in Loop: Header=BB262_12 Depth=1
	s_or_b64 exec, exec, s[28:29]
	v_lshrrev_b16_e32 v3, 8, v5
	v_cmp_ne_u16_e32 vcc, 0, v3
	s_and_saveexec_b64 s[28:29], vcc
	s_cbranch_execz .LBB262_605
; %bb.600:                              ;   in Loop: Header=BB262_12 Depth=1
	v_cmp_ne_u16_e32 vcc, s44, v3
	v_bfrev_b32_e32 v18, 1
	s_and_saveexec_b64 s[40:41], vcc
	s_cbranch_execz .LBB262_604
; %bb.601:                              ;   in Loop: Header=BB262_12 Depth=1
	v_and_b32_e32 v10, 0x7f, v3
	v_cmp_ne_u32_e32 vcc, s45, v10
	v_mov_b32_e32 v18, 0x7c010000
	s_and_saveexec_b64 s[42:43], vcc
	s_cbranch_execz .LBB262_603
; %bb.602:                              ;   in Loop: Header=BB262_12 Depth=1
	v_and_b32_e32 v8, 7, v3
	v_lshrrev_b32_e32 v9, 3, v10
	v_cmp_gt_u32_e32 vcc, 8, v10
	v_ffbh_u32_e32 v10, v8
	v_min_u32_e32 v10, 32, v10
	v_subrev_u32_e32 v14, 28, v10
	v_sub_u32_e32 v10, 29, v10
	v_lshlrev_b64 v[14:15], v14, v[3:4]
	v_cndmask_b32_e32 v9, v9, v10, vcc
	v_mov_b32_e32 v10, 0x2000
	v_lshlrev_b32_e32 v3, 8, v3
	v_lshl_add_u32 v9, v9, 10, v10
	v_and_b32_e32 v10, 7, v14
	v_and_or_b32 v3, v3, s46, v9
	v_cndmask_b32_e32 v8, v8, v10, vcc
	v_lshlrev_b32_e32 v3, 16, v3
	v_lshl_or_b32 v18, v8, 23, v3
.LBB262_603:                            ;   in Loop: Header=BB262_12 Depth=1
	s_or_b64 exec, exec, s[42:43]
.LBB262_604:                            ;   in Loop: Header=BB262_12 Depth=1
	s_or_b64 exec, exec, s[40:41]
.LBB262_605:                            ;   in Loop: Header=BB262_12 Depth=1
	s_or_b64 exec, exec, s[28:29]
	v_lshrrev_b32_e32 v3, 16, v5
	v_cmp_ne_u16_sdwa s[40:41], v3, v4 src0_sel:BYTE_0 src1_sel:DWORD
	v_mov_b32_e32 v33, 0
	v_mov_b32_e32 v58, 0
	s_and_saveexec_b64 s[28:29], s[40:41]
	s_cbranch_execz .LBB262_611
; %bb.606:                              ;   in Loop: Header=BB262_12 Depth=1
	v_cmp_ne_u16_sdwa s[42:43], v3, s44 src0_sel:BYTE_0 src1_sel:DWORD
	v_mov_b32_e32 v58, 0x8000
	s_and_saveexec_b64 s[40:41], s[42:43]
	s_cbranch_execz .LBB262_610
; %bb.607:                              ;   in Loop: Header=BB262_12 Depth=1
	v_bfe_u32 v10, v5, 16, 7
	v_cmp_ne_u32_e32 vcc, s45, v10
	v_mov_b32_e32 v58, 0x7c01
	s_and_saveexec_b64 s[42:43], vcc
	s_cbranch_execz .LBB262_609
; %bb.608:                              ;   in Loop: Header=BB262_12 Depth=1
	v_and_b32_e32 v8, 7, v3
	v_lshrrev_b32_e32 v9, 3, v10
	v_cmp_gt_u32_e32 vcc, 8, v10
	v_ffbh_u32_e32 v10, v8
	v_min_u32_e32 v10, 32, v10
	v_subrev_u32_e32 v14, 28, v10
	v_sub_u32_e32 v10, 29, v10
	v_lshlrev_b64 v[14:15], v14, v[3:4]
	v_cndmask_b32_e32 v9, v9, v10, vcc
	v_mov_b32_e32 v10, 0x2000
	v_lshl_add_u32 v9, v9, 10, v10
	v_lshlrev_b32_e32 v3, 8, v3
	v_and_b32_e32 v10, 7, v14
	v_and_b32_e32 v9, 0xfc00, v9
	v_cndmask_b32_e32 v8, v8, v10, vcc
	v_and_or_b32 v3, v3, s46, v9
	v_lshl_or_b32 v58, v8, 7, v3
.LBB262_609:                            ;   in Loop: Header=BB262_12 Depth=1
	s_or_b64 exec, exec, s[42:43]
.LBB262_610:                            ;   in Loop: Header=BB262_12 Depth=1
	s_or_b64 exec, exec, s[40:41]
.LBB262_611:                            ;   in Loop: Header=BB262_12 Depth=1
	s_or_b64 exec, exec, s[28:29]
	v_cmp_lt_u32_e32 vcc, s47, v5
	s_and_saveexec_b64 s[28:29], vcc
	s_cbranch_execz .LBB262_617
; %bb.612:                              ;   in Loop: Header=BB262_12 Depth=1
	v_lshrrev_b32_e32 v3, 24, v5
	v_cmp_ne_u32_e32 vcc, s44, v3
	v_bfrev_b32_e32 v33, 1
	s_and_saveexec_b64 s[40:41], vcc
	s_cbranch_execz .LBB262_616
; %bb.613:                              ;   in Loop: Header=BB262_12 Depth=1
	v_and_b32_e32 v5, 0x7f, v3
	v_cmp_ne_u32_e32 vcc, s45, v5
	v_mov_b32_e32 v33, 0x7c010000
	s_and_saveexec_b64 s[42:43], vcc
	s_cbranch_execz .LBB262_615
; %bb.614:                              ;   in Loop: Header=BB262_12 Depth=1
	v_and_b32_e32 v8, 7, v3
	v_lshrrev_b32_e32 v9, 3, v5
	v_cmp_gt_u32_e32 vcc, 8, v5
	v_ffbh_u32_e32 v5, v8
	v_min_u32_e32 v5, 32, v5
	v_subrev_u32_e32 v10, 28, v5
	v_sub_u32_e32 v5, 29, v5
	v_lshlrev_b64 v[14:15], v10, v[3:4]
	v_cndmask_b32_e32 v5, v9, v5, vcc
	v_mov_b32_e32 v9, 0x2000
	v_lshlrev_b32_e32 v3, 8, v3
	v_lshl_add_u32 v5, v5, 10, v9
	v_and_b32_e32 v9, 7, v14
	v_and_or_b32 v3, v3, s46, v5
	v_cndmask_b32_e32 v8, v8, v9, vcc
	v_lshlrev_b32_e32 v3, 16, v3
	v_lshl_or_b32 v33, v8, 23, v3
.LBB262_615:                            ;   in Loop: Header=BB262_12 Depth=1
	s_or_b64 exec, exec, s[42:43]
.LBB262_616:                            ;   in Loop: Header=BB262_12 Depth=1
	s_or_b64 exec, exec, s[40:41]
.LBB262_617:                            ;   in Loop: Header=BB262_12 Depth=1
	s_or_b64 exec, exec, s[28:29]
	buffer_load_dword v3, off, s[0:3], s32 offset:76 ; 4-byte Folded Reload
	v_mov_b32_e32 v23, 0
	v_mov_b32_e32 v31, 0
	s_waitcnt vmcnt(0)
	v_add_co_u32_e32 v5, vcc, v6, v3
	v_addc_co_u32_e32 v6, vcc, 0, v7, vcc
	flat_load_dword v5, v[5:6]
	s_waitcnt vmcnt(0) lgkmcnt(0)
	v_cmp_ne_u16_sdwa s[40:41], v5, v4 src0_sel:BYTE_0 src1_sel:DWORD
	s_and_saveexec_b64 s[28:29], s[40:41]
	s_cbranch_execz .LBB262_623
; %bb.618:                              ;   in Loop: Header=BB262_12 Depth=1
	v_cmp_ne_u16_sdwa s[42:43], v5, s44 src0_sel:BYTE_0 src1_sel:DWORD
	v_mov_b32_e32 v31, 0x8000
	s_and_saveexec_b64 s[40:41], s[42:43]
	s_cbranch_execz .LBB262_622
; %bb.619:                              ;   in Loop: Header=BB262_12 Depth=1
	v_and_b32_e32 v3, 0x7f, v5
	v_cmp_ne_u32_e32 vcc, s45, v3
	v_mov_b32_e32 v31, 0x7c01
	s_and_saveexec_b64 s[42:43], vcc
	s_cbranch_execz .LBB262_621
; %bb.620:                              ;   in Loop: Header=BB262_12 Depth=1
	v_and_b32_e32 v8, 7, v5
	v_lshrrev_b32_e32 v9, 3, v3
	v_cmp_gt_u32_e32 vcc, 8, v3
	v_ffbh_u32_e32 v3, v8
	v_min_u32_e32 v3, 32, v3
	v_subrev_u32_e32 v6, 28, v3
	v_sub_u32_e32 v3, 29, v3
	v_lshlrev_b64 v[6:7], v6, v[5:6]
	v_cndmask_b32_e32 v3, v9, v3, vcc
	v_mov_b32_e32 v9, 0x2000
	v_lshl_add_u32 v3, v3, 10, v9
	v_lshlrev_b32_e32 v7, 8, v5
	v_and_b32_e32 v6, 7, v6
	v_and_b32_e32 v3, 0xfc00, v3
	v_cndmask_b32_e32 v6, v8, v6, vcc
	v_and_or_b32 v3, v7, s46, v3
	v_lshl_or_b32 v31, v6, 7, v3
.LBB262_621:                            ;   in Loop: Header=BB262_12 Depth=1
	s_or_b64 exec, exec, s[42:43]
.LBB262_622:                            ;   in Loop: Header=BB262_12 Depth=1
	s_or_b64 exec, exec, s[40:41]
.LBB262_623:                            ;   in Loop: Header=BB262_12 Depth=1
	s_or_b64 exec, exec, s[28:29]
	v_lshrrev_b16_e32 v3, 8, v5
	v_cmp_ne_u16_e32 vcc, 0, v3
	s_and_saveexec_b64 s[28:29], vcc
	s_cbranch_execz .LBB262_629
; %bb.624:                              ;   in Loop: Header=BB262_12 Depth=1
	v_cmp_ne_u16_e32 vcc, s44, v3
	v_bfrev_b32_e32 v23, 1
	s_and_saveexec_b64 s[40:41], vcc
	s_cbranch_execz .LBB262_628
; %bb.625:                              ;   in Loop: Header=BB262_12 Depth=1
	v_and_b32_e32 v6, 0x7f, v3
	v_cmp_ne_u32_e32 vcc, s45, v6
	v_mov_b32_e32 v23, 0x7c010000
	s_and_saveexec_b64 s[42:43], vcc
	s_cbranch_execz .LBB262_627
; %bb.626:                              ;   in Loop: Header=BB262_12 Depth=1
	v_and_b32_e32 v8, 7, v3
	v_lshrrev_b32_e32 v9, 3, v6
	v_cmp_gt_u32_e32 vcc, 8, v6
	v_ffbh_u32_e32 v6, v8
	v_min_u32_e32 v10, 32, v6
	v_subrev_u32_e32 v6, 28, v10
	v_lshlrev_b64 v[6:7], v6, v[3:4]
	v_sub_u32_e32 v7, 29, v10
	v_cndmask_b32_e32 v7, v9, v7, vcc
	v_mov_b32_e32 v9, 0x2000
	v_lshlrev_b32_e32 v3, 8, v3
	v_lshl_add_u32 v7, v7, 10, v9
	v_and_b32_e32 v6, 7, v6
	v_and_or_b32 v3, v3, s46, v7
	v_cndmask_b32_e32 v6, v8, v6, vcc
	v_lshlrev_b32_e32 v3, 16, v3
	v_lshl_or_b32 v23, v6, 23, v3
.LBB262_627:                            ;   in Loop: Header=BB262_12 Depth=1
	s_or_b64 exec, exec, s[42:43]
.LBB262_628:                            ;   in Loop: Header=BB262_12 Depth=1
	s_or_b64 exec, exec, s[40:41]
.LBB262_629:                            ;   in Loop: Header=BB262_12 Depth=1
	s_or_b64 exec, exec, s[28:29]
	v_lshrrev_b32_e32 v3, 16, v5
	v_cmp_ne_u16_sdwa s[40:41], v3, v4 src0_sel:BYTE_0 src1_sel:DWORD
	v_mov_b32_e32 v37, 0
	v_mov_b32_e32 v50, 0
	s_and_saveexec_b64 s[28:29], s[40:41]
	s_cbranch_execz .LBB262_635
; %bb.630:                              ;   in Loop: Header=BB262_12 Depth=1
	v_cmp_ne_u16_sdwa s[42:43], v3, s44 src0_sel:BYTE_0 src1_sel:DWORD
	v_mov_b32_e32 v50, 0x8000
	s_and_saveexec_b64 s[40:41], s[42:43]
	s_cbranch_execz .LBB262_634
; %bb.631:                              ;   in Loop: Header=BB262_12 Depth=1
	v_bfe_u32 v6, v5, 16, 7
	v_cmp_ne_u32_e32 vcc, s45, v6
	v_mov_b32_e32 v50, 0x7c01
	s_and_saveexec_b64 s[42:43], vcc
	s_cbranch_execz .LBB262_633
; %bb.632:                              ;   in Loop: Header=BB262_12 Depth=1
	v_and_b32_e32 v8, 7, v3
	v_lshrrev_b32_e32 v9, 3, v6
	v_cmp_gt_u32_e32 vcc, 8, v6
	v_ffbh_u32_e32 v6, v8
	v_min_u32_e32 v10, 32, v6
	v_subrev_u32_e32 v6, 28, v10
	v_lshlrev_b64 v[6:7], v6, v[3:4]
	v_sub_u32_e32 v7, 29, v10
	v_cndmask_b32_e32 v7, v9, v7, vcc
	v_mov_b32_e32 v9, 0x2000
	v_lshl_add_u32 v7, v7, 10, v9
	v_lshlrev_b32_e32 v3, 8, v3
	v_and_b32_e32 v6, 7, v6
	v_and_b32_e32 v7, 0xfc00, v7
	v_cndmask_b32_e32 v6, v8, v6, vcc
	v_and_or_b32 v3, v3, s46, v7
	v_lshl_or_b32 v50, v6, 7, v3
.LBB262_633:                            ;   in Loop: Header=BB262_12 Depth=1
	s_or_b64 exec, exec, s[42:43]
.LBB262_634:                            ;   in Loop: Header=BB262_12 Depth=1
	s_or_b64 exec, exec, s[40:41]
.LBB262_635:                            ;   in Loop: Header=BB262_12 Depth=1
	s_or_b64 exec, exec, s[28:29]
	v_cmp_lt_u32_e32 vcc, s47, v5
	s_and_saveexec_b64 s[28:29], vcc
	s_cbranch_execz .LBB262_641
; %bb.636:                              ;   in Loop: Header=BB262_12 Depth=1
	v_lshrrev_b32_e32 v3, 24, v5
	v_cmp_ne_u32_e32 vcc, s44, v3
	v_bfrev_b32_e32 v37, 1
	s_and_saveexec_b64 s[40:41], vcc
	s_cbranch_execz .LBB262_640
; %bb.637:                              ;   in Loop: Header=BB262_12 Depth=1
	v_and_b32_e32 v5, 0x7f, v3
	v_cmp_ne_u32_e32 vcc, s45, v5
	v_mov_b32_e32 v37, 0x7c010000
	s_and_saveexec_b64 s[42:43], vcc
	s_cbranch_execz .LBB262_639
; %bb.638:                              ;   in Loop: Header=BB262_12 Depth=1
	v_and_b32_e32 v7, 7, v3
	v_lshrrev_b32_e32 v8, 3, v5
	v_cmp_gt_u32_e32 vcc, 8, v5
	v_ffbh_u32_e32 v5, v7
	v_min_u32_e32 v9, 32, v5
	v_subrev_u32_e32 v5, 28, v9
	v_lshlrev_b64 v[5:6], v5, v[3:4]
	v_sub_u32_e32 v6, 29, v9
	v_cndmask_b32_e32 v6, v8, v6, vcc
	v_mov_b32_e32 v8, 0x2000
	v_lshlrev_b32_e32 v3, 8, v3
	v_lshl_add_u32 v6, v6, 10, v8
	v_and_b32_e32 v5, 7, v5
	v_and_or_b32 v3, v3, s46, v6
	v_cndmask_b32_e32 v5, v7, v5, vcc
	v_lshlrev_b32_e32 v3, 16, v3
	v_lshl_or_b32 v37, v5, 23, v3
.LBB262_639:                            ;   in Loop: Header=BB262_12 Depth=1
	s_or_b64 exec, exec, s[42:43]
.LBB262_640:                            ;   in Loop: Header=BB262_12 Depth=1
	s_or_b64 exec, exec, s[40:41]
.LBB262_641:                            ;   in Loop: Header=BB262_12 Depth=1
	s_or_b64 exec, exec, s[28:29]
	buffer_load_dword v3, off, s[0:3], s32 offset:72 ; 4-byte Folded Reload
	v_add_co_u32_e32 v6, vcc, 0x1a00, v24
	v_addc_co_u32_e32 v7, vcc, 0, v25, vcc
	v_mov_b32_e32 v62, 0
	v_mov_b32_e32 v48, 0
	s_waitcnt vmcnt(0)
	v_add_co_u32_e32 v14, vcc, v6, v3
	v_addc_co_u32_e32 v15, vcc, 0, v7, vcc
	flat_load_dword v5, v[14:15]
	s_waitcnt vmcnt(0) lgkmcnt(0)
	v_cmp_ne_u16_sdwa s[40:41], v5, v4 src0_sel:BYTE_0 src1_sel:DWORD
	s_and_saveexec_b64 s[28:29], s[40:41]
	s_cbranch_execz .LBB262_647
; %bb.642:                              ;   in Loop: Header=BB262_12 Depth=1
	v_cmp_ne_u16_sdwa s[42:43], v5, s44 src0_sel:BYTE_0 src1_sel:DWORD
	v_mov_b32_e32 v48, 0x8000
	s_and_saveexec_b64 s[40:41], s[42:43]
	s_cbranch_execz .LBB262_646
; %bb.643:                              ;   in Loop: Header=BB262_12 Depth=1
	v_and_b32_e32 v3, 0x7f, v5
	v_cmp_ne_u32_e32 vcc, s45, v3
	v_mov_b32_e32 v48, 0x7c01
	s_and_saveexec_b64 s[42:43], vcc
	s_cbranch_execz .LBB262_645
; %bb.644:                              ;   in Loop: Header=BB262_12 Depth=1
	v_and_b32_e32 v8, 7, v5
	v_lshrrev_b32_e32 v9, 3, v3
	v_cmp_gt_u32_e32 vcc, 8, v3
	v_ffbh_u32_e32 v3, v8
	v_min_u32_e32 v3, 32, v3
	v_subrev_u32_e32 v10, 28, v3
	v_sub_u32_e32 v3, 29, v3
	v_lshlrev_b64 v[14:15], v10, v[5:6]
	v_cndmask_b32_e32 v3, v9, v3, vcc
	v_mov_b32_e32 v10, 0x2000
	v_lshl_add_u32 v3, v3, 10, v10
	v_lshlrev_b32_e32 v9, 8, v5
	v_and_b32_e32 v10, 7, v14
	v_and_b32_e32 v3, 0xfc00, v3
	v_cndmask_b32_e32 v8, v8, v10, vcc
	v_and_or_b32 v3, v9, s46, v3
	v_lshl_or_b32 v48, v8, 7, v3
.LBB262_645:                            ;   in Loop: Header=BB262_12 Depth=1
	s_or_b64 exec, exec, s[42:43]
.LBB262_646:                            ;   in Loop: Header=BB262_12 Depth=1
	s_or_b64 exec, exec, s[40:41]
.LBB262_647:                            ;   in Loop: Header=BB262_12 Depth=1
	s_or_b64 exec, exec, s[28:29]
	v_lshrrev_b16_e32 v3, 8, v5
	v_cmp_ne_u16_e32 vcc, 0, v3
	s_and_saveexec_b64 s[28:29], vcc
	s_cbranch_execz .LBB262_653
; %bb.648:                              ;   in Loop: Header=BB262_12 Depth=1
	v_cmp_ne_u16_e32 vcc, s44, v3
	v_bfrev_b32_e32 v62, 1
	s_and_saveexec_b64 s[40:41], vcc
	s_cbranch_execz .LBB262_652
; %bb.649:                              ;   in Loop: Header=BB262_12 Depth=1
	v_and_b32_e32 v10, 0x7f, v3
	v_cmp_ne_u32_e32 vcc, s45, v10
	v_mov_b32_e32 v62, 0x7c010000
	s_and_saveexec_b64 s[42:43], vcc
	s_cbranch_execz .LBB262_651
; %bb.650:                              ;   in Loop: Header=BB262_12 Depth=1
	v_and_b32_e32 v8, 7, v3
	v_lshrrev_b32_e32 v9, 3, v10
	v_cmp_gt_u32_e32 vcc, 8, v10
	v_ffbh_u32_e32 v10, v8
	v_min_u32_e32 v10, 32, v10
	v_subrev_u32_e32 v14, 28, v10
	v_sub_u32_e32 v10, 29, v10
	v_lshlrev_b64 v[14:15], v14, v[3:4]
	v_cndmask_b32_e32 v9, v9, v10, vcc
	v_mov_b32_e32 v10, 0x2000
	v_lshlrev_b32_e32 v3, 8, v3
	v_lshl_add_u32 v9, v9, 10, v10
	v_and_b32_e32 v10, 7, v14
	v_and_or_b32 v3, v3, s46, v9
	v_cndmask_b32_e32 v8, v8, v10, vcc
	v_lshlrev_b32_e32 v3, 16, v3
	v_lshl_or_b32 v62, v8, 23, v3
.LBB262_651:                            ;   in Loop: Header=BB262_12 Depth=1
	s_or_b64 exec, exec, s[42:43]
.LBB262_652:                            ;   in Loop: Header=BB262_12 Depth=1
	s_or_b64 exec, exec, s[40:41]
.LBB262_653:                            ;   in Loop: Header=BB262_12 Depth=1
	s_or_b64 exec, exec, s[28:29]
	v_lshrrev_b32_e32 v3, 16, v5
	v_cmp_ne_u16_sdwa s[40:41], v3, v4 src0_sel:BYTE_0 src1_sel:DWORD
	v_mov_b32_e32 v54, 0
	v_mov_b32_e32 v60, 0
	s_and_saveexec_b64 s[28:29], s[40:41]
	s_cbranch_execz .LBB262_659
; %bb.654:                              ;   in Loop: Header=BB262_12 Depth=1
	v_cmp_ne_u16_sdwa s[42:43], v3, s44 src0_sel:BYTE_0 src1_sel:DWORD
	v_mov_b32_e32 v60, 0x8000
	s_and_saveexec_b64 s[40:41], s[42:43]
	s_cbranch_execz .LBB262_658
; %bb.655:                              ;   in Loop: Header=BB262_12 Depth=1
	v_bfe_u32 v10, v5, 16, 7
	v_cmp_ne_u32_e32 vcc, s45, v10
	v_mov_b32_e32 v60, 0x7c01
	s_and_saveexec_b64 s[42:43], vcc
	s_cbranch_execz .LBB262_657
; %bb.656:                              ;   in Loop: Header=BB262_12 Depth=1
	v_and_b32_e32 v8, 7, v3
	v_lshrrev_b32_e32 v9, 3, v10
	v_cmp_gt_u32_e32 vcc, 8, v10
	v_ffbh_u32_e32 v10, v8
	v_min_u32_e32 v10, 32, v10
	v_subrev_u32_e32 v14, 28, v10
	v_sub_u32_e32 v10, 29, v10
	v_lshlrev_b64 v[14:15], v14, v[3:4]
	v_cndmask_b32_e32 v9, v9, v10, vcc
	v_mov_b32_e32 v10, 0x2000
	v_lshl_add_u32 v9, v9, 10, v10
	v_lshlrev_b32_e32 v3, 8, v3
	v_and_b32_e32 v10, 7, v14
	v_and_b32_e32 v9, 0xfc00, v9
	v_cndmask_b32_e32 v8, v8, v10, vcc
	v_and_or_b32 v3, v3, s46, v9
	v_lshl_or_b32 v60, v8, 7, v3
.LBB262_657:                            ;   in Loop: Header=BB262_12 Depth=1
	s_or_b64 exec, exec, s[42:43]
.LBB262_658:                            ;   in Loop: Header=BB262_12 Depth=1
	s_or_b64 exec, exec, s[40:41]
.LBB262_659:                            ;   in Loop: Header=BB262_12 Depth=1
	s_or_b64 exec, exec, s[28:29]
	v_cmp_lt_u32_e32 vcc, s47, v5
	s_and_saveexec_b64 s[28:29], vcc
	s_cbranch_execz .LBB262_665
; %bb.660:                              ;   in Loop: Header=BB262_12 Depth=1
	v_lshrrev_b32_e32 v3, 24, v5
	v_cmp_ne_u32_e32 vcc, s44, v3
	v_bfrev_b32_e32 v54, 1
	s_and_saveexec_b64 s[40:41], vcc
	s_cbranch_execz .LBB262_664
; %bb.661:                              ;   in Loop: Header=BB262_12 Depth=1
	v_and_b32_e32 v5, 0x7f, v3
	v_cmp_ne_u32_e32 vcc, s45, v5
	v_mov_b32_e32 v54, 0x7c010000
	s_and_saveexec_b64 s[42:43], vcc
	s_cbranch_execz .LBB262_663
; %bb.662:                              ;   in Loop: Header=BB262_12 Depth=1
	v_and_b32_e32 v8, 7, v3
	v_lshrrev_b32_e32 v9, 3, v5
	v_cmp_gt_u32_e32 vcc, 8, v5
	v_ffbh_u32_e32 v5, v8
	v_min_u32_e32 v5, 32, v5
	v_subrev_u32_e32 v10, 28, v5
	v_sub_u32_e32 v5, 29, v5
	v_lshlrev_b64 v[14:15], v10, v[3:4]
	v_cndmask_b32_e32 v5, v9, v5, vcc
	v_mov_b32_e32 v9, 0x2000
	v_lshlrev_b32_e32 v3, 8, v3
	v_lshl_add_u32 v5, v5, 10, v9
	v_and_b32_e32 v9, 7, v14
	v_and_or_b32 v3, v3, s46, v5
	v_cndmask_b32_e32 v8, v8, v9, vcc
	v_lshlrev_b32_e32 v3, 16, v3
	v_lshl_or_b32 v54, v8, 23, v3
.LBB262_663:                            ;   in Loop: Header=BB262_12 Depth=1
	s_or_b64 exec, exec, s[42:43]
.LBB262_664:                            ;   in Loop: Header=BB262_12 Depth=1
	s_or_b64 exec, exec, s[40:41]
.LBB262_665:                            ;   in Loop: Header=BB262_12 Depth=1
	s_or_b64 exec, exec, s[28:29]
	buffer_load_dword v3, off, s[0:3], s32 offset:76 ; 4-byte Folded Reload
	v_mov_b32_e32 v35, 0
	v_mov_b32_e32 v36, 0
	s_waitcnt vmcnt(0)
	v_add_co_u32_e32 v5, vcc, v6, v3
	v_addc_co_u32_e32 v6, vcc, 0, v7, vcc
	flat_load_dword v5, v[5:6]
	s_waitcnt vmcnt(0) lgkmcnt(0)
	v_cmp_ne_u16_sdwa s[40:41], v5, v4 src0_sel:BYTE_0 src1_sel:DWORD
	s_and_saveexec_b64 s[28:29], s[40:41]
	s_cbranch_execz .LBB262_671
; %bb.666:                              ;   in Loop: Header=BB262_12 Depth=1
	v_cmp_ne_u16_sdwa s[42:43], v5, s44 src0_sel:BYTE_0 src1_sel:DWORD
	v_mov_b32_e32 v36, 0x8000
	s_and_saveexec_b64 s[40:41], s[42:43]
	s_cbranch_execz .LBB262_670
; %bb.667:                              ;   in Loop: Header=BB262_12 Depth=1
	v_and_b32_e32 v3, 0x7f, v5
	v_cmp_ne_u32_e32 vcc, s45, v3
	v_mov_b32_e32 v36, 0x7c01
	s_and_saveexec_b64 s[42:43], vcc
	s_cbranch_execz .LBB262_669
; %bb.668:                              ;   in Loop: Header=BB262_12 Depth=1
	v_and_b32_e32 v8, 7, v5
	v_lshrrev_b32_e32 v9, 3, v3
	v_cmp_gt_u32_e32 vcc, 8, v3
	v_ffbh_u32_e32 v3, v8
	v_min_u32_e32 v3, 32, v3
	v_subrev_u32_e32 v6, 28, v3
	v_sub_u32_e32 v3, 29, v3
	v_lshlrev_b64 v[6:7], v6, v[5:6]
	v_cndmask_b32_e32 v3, v9, v3, vcc
	v_mov_b32_e32 v9, 0x2000
	v_lshl_add_u32 v3, v3, 10, v9
	v_lshlrev_b32_e32 v7, 8, v5
	v_and_b32_e32 v6, 7, v6
	v_and_b32_e32 v3, 0xfc00, v3
	v_cndmask_b32_e32 v6, v8, v6, vcc
	v_and_or_b32 v3, v7, s46, v3
	v_lshl_or_b32 v36, v6, 7, v3
.LBB262_669:                            ;   in Loop: Header=BB262_12 Depth=1
	s_or_b64 exec, exec, s[42:43]
.LBB262_670:                            ;   in Loop: Header=BB262_12 Depth=1
	s_or_b64 exec, exec, s[40:41]
.LBB262_671:                            ;   in Loop: Header=BB262_12 Depth=1
	s_or_b64 exec, exec, s[28:29]
	v_lshrrev_b16_e32 v3, 8, v5
	v_cmp_ne_u16_e32 vcc, 0, v3
	s_and_saveexec_b64 s[28:29], vcc
	s_cbranch_execz .LBB262_677
; %bb.672:                              ;   in Loop: Header=BB262_12 Depth=1
	v_cmp_ne_u16_e32 vcc, s44, v3
	v_bfrev_b32_e32 v35, 1
	s_and_saveexec_b64 s[40:41], vcc
	s_cbranch_execz .LBB262_676
; %bb.673:                              ;   in Loop: Header=BB262_12 Depth=1
	v_and_b32_e32 v6, 0x7f, v3
	v_cmp_ne_u32_e32 vcc, s45, v6
	v_mov_b32_e32 v35, 0x7c010000
	s_and_saveexec_b64 s[42:43], vcc
	s_cbranch_execz .LBB262_675
; %bb.674:                              ;   in Loop: Header=BB262_12 Depth=1
	v_and_b32_e32 v8, 7, v3
	v_lshrrev_b32_e32 v9, 3, v6
	v_cmp_gt_u32_e32 vcc, 8, v6
	v_ffbh_u32_e32 v6, v8
	v_min_u32_e32 v10, 32, v6
	v_subrev_u32_e32 v6, 28, v10
	v_lshlrev_b64 v[6:7], v6, v[3:4]
	v_sub_u32_e32 v7, 29, v10
	v_cndmask_b32_e32 v7, v9, v7, vcc
	v_mov_b32_e32 v9, 0x2000
	v_lshlrev_b32_e32 v3, 8, v3
	v_lshl_add_u32 v7, v7, 10, v9
	v_and_b32_e32 v6, 7, v6
	v_and_or_b32 v3, v3, s46, v7
	v_cndmask_b32_e32 v6, v8, v6, vcc
	v_lshlrev_b32_e32 v3, 16, v3
	v_lshl_or_b32 v35, v6, 23, v3
.LBB262_675:                            ;   in Loop: Header=BB262_12 Depth=1
	s_or_b64 exec, exec, s[42:43]
.LBB262_676:                            ;   in Loop: Header=BB262_12 Depth=1
	s_or_b64 exec, exec, s[40:41]
.LBB262_677:                            ;   in Loop: Header=BB262_12 Depth=1
	s_or_b64 exec, exec, s[28:29]
	v_lshrrev_b32_e32 v3, 16, v5
	v_cmp_ne_u16_sdwa s[40:41], v3, v4 src0_sel:BYTE_0 src1_sel:DWORD
	v_mov_b32_e32 v39, 0
	v_mov_b32_e32 v10, 0
	s_and_saveexec_b64 s[28:29], s[40:41]
	s_cbranch_execz .LBB262_683
; %bb.678:                              ;   in Loop: Header=BB262_12 Depth=1
	v_cmp_ne_u16_sdwa s[42:43], v3, s44 src0_sel:BYTE_0 src1_sel:DWORD
	v_mov_b32_e32 v10, 0x8000
	s_and_saveexec_b64 s[40:41], s[42:43]
	s_cbranch_execz .LBB262_682
; %bb.679:                              ;   in Loop: Header=BB262_12 Depth=1
	v_bfe_u32 v6, v5, 16, 7
	v_cmp_ne_u32_e32 vcc, s45, v6
	v_mov_b32_e32 v10, 0x7c01
	s_and_saveexec_b64 s[42:43], vcc
	s_cbranch_execz .LBB262_681
; %bb.680:                              ;   in Loop: Header=BB262_12 Depth=1
	v_and_b32_e32 v8, 7, v3
	v_lshrrev_b32_e32 v9, 3, v6
	v_cmp_gt_u32_e32 vcc, 8, v6
	v_ffbh_u32_e32 v6, v8
	v_min_u32_e32 v10, 32, v6
	v_subrev_u32_e32 v6, 28, v10
	v_lshlrev_b64 v[6:7], v6, v[3:4]
	v_sub_u32_e32 v7, 29, v10
	v_cndmask_b32_e32 v7, v9, v7, vcc
	v_mov_b32_e32 v9, 0x2000
	v_lshl_add_u32 v7, v7, 10, v9
	v_lshlrev_b32_e32 v3, 8, v3
	v_and_b32_e32 v6, 7, v6
	v_and_b32_e32 v7, 0xfc00, v7
	v_cndmask_b32_e32 v6, v8, v6, vcc
	v_and_or_b32 v3, v3, s46, v7
	v_lshl_or_b32 v10, v6, 7, v3
.LBB262_681:                            ;   in Loop: Header=BB262_12 Depth=1
	s_or_b64 exec, exec, s[42:43]
.LBB262_682:                            ;   in Loop: Header=BB262_12 Depth=1
	s_or_b64 exec, exec, s[40:41]
.LBB262_683:                            ;   in Loop: Header=BB262_12 Depth=1
	s_or_b64 exec, exec, s[28:29]
	v_cmp_lt_u32_e32 vcc, s47, v5
	s_and_saveexec_b64 s[28:29], vcc
	s_cbranch_execz .LBB262_689
; %bb.684:                              ;   in Loop: Header=BB262_12 Depth=1
	v_lshrrev_b32_e32 v3, 24, v5
	v_cmp_ne_u32_e32 vcc, s44, v3
	v_bfrev_b32_e32 v39, 1
	s_and_saveexec_b64 s[40:41], vcc
	s_cbranch_execz .LBB262_688
; %bb.685:                              ;   in Loop: Header=BB262_12 Depth=1
	v_and_b32_e32 v5, 0x7f, v3
	v_cmp_ne_u32_e32 vcc, s45, v5
	v_mov_b32_e32 v39, 0x7c010000
	s_and_saveexec_b64 s[42:43], vcc
	s_cbranch_execz .LBB262_687
; %bb.686:                              ;   in Loop: Header=BB262_12 Depth=1
	v_and_b32_e32 v7, 7, v3
	v_lshrrev_b32_e32 v8, 3, v5
	v_cmp_gt_u32_e32 vcc, 8, v5
	v_ffbh_u32_e32 v5, v7
	v_min_u32_e32 v9, 32, v5
	v_subrev_u32_e32 v5, 28, v9
	v_lshlrev_b64 v[5:6], v5, v[3:4]
	v_sub_u32_e32 v6, 29, v9
	v_cndmask_b32_e32 v6, v8, v6, vcc
	v_mov_b32_e32 v8, 0x2000
	v_lshlrev_b32_e32 v3, 8, v3
	v_lshl_add_u32 v6, v6, 10, v8
	v_and_b32_e32 v5, 7, v5
	v_and_or_b32 v3, v3, s46, v6
	v_cndmask_b32_e32 v5, v7, v5, vcc
	v_lshlrev_b32_e32 v3, 16, v3
	v_lshl_or_b32 v39, v5, 23, v3
.LBB262_687:                            ;   in Loop: Header=BB262_12 Depth=1
	s_or_b64 exec, exec, s[42:43]
.LBB262_688:                            ;   in Loop: Header=BB262_12 Depth=1
	s_or_b64 exec, exec, s[40:41]
.LBB262_689:                            ;   in Loop: Header=BB262_12 Depth=1
	s_or_b64 exec, exec, s[28:29]
	buffer_load_dword v3, off, s[0:3], s32 offset:72 ; 4-byte Folded Reload
	v_add_co_u32_e32 v6, vcc, 0x1c00, v24
	v_addc_co_u32_e32 v7, vcc, 0, v25, vcc
	v_mov_b32_e32 v53, 0
	v_mov_b32_e32 v47, 0
	s_waitcnt vmcnt(0)
	v_add_co_u32_e32 v14, vcc, v6, v3
	v_addc_co_u32_e32 v15, vcc, 0, v7, vcc
	flat_load_dword v5, v[14:15]
	s_waitcnt vmcnt(0) lgkmcnt(0)
	v_cmp_ne_u16_sdwa s[40:41], v5, v4 src0_sel:BYTE_0 src1_sel:DWORD
	s_and_saveexec_b64 s[28:29], s[40:41]
	s_cbranch_execz .LBB262_695
; %bb.690:                              ;   in Loop: Header=BB262_12 Depth=1
	v_cmp_ne_u16_sdwa s[42:43], v5, s44 src0_sel:BYTE_0 src1_sel:DWORD
	v_mov_b32_e32 v47, 0x8000
	s_and_saveexec_b64 s[40:41], s[42:43]
	s_cbranch_execz .LBB262_694
; %bb.691:                              ;   in Loop: Header=BB262_12 Depth=1
	v_and_b32_e32 v3, 0x7f, v5
	v_cmp_ne_u32_e32 vcc, s45, v3
	v_mov_b32_e32 v47, 0x7c01
	s_and_saveexec_b64 s[42:43], vcc
	s_cbranch_execz .LBB262_693
; %bb.692:                              ;   in Loop: Header=BB262_12 Depth=1
	v_and_b32_e32 v8, 7, v5
	v_lshrrev_b32_e32 v9, 3, v3
	v_cmp_gt_u32_e32 vcc, 8, v3
	v_ffbh_u32_e32 v3, v8
	v_min_u32_e32 v3, 32, v3
	v_subrev_u32_e32 v14, 28, v3
	v_lshlrev_b64 v[14:15], v14, v[5:6]
	v_sub_u32_e32 v3, 29, v3
	v_cndmask_b32_e32 v3, v9, v3, vcc
	v_mov_b32_e32 v15, 0x2000
	v_lshl_add_u32 v3, v3, 10, v15
	v_lshlrev_b32_e32 v9, 8, v5
	v_and_b32_e32 v14, 7, v14
	v_and_b32_e32 v3, 0xfc00, v3
	v_cndmask_b32_e32 v8, v8, v14, vcc
	v_and_or_b32 v3, v9, s46, v3
	v_lshl_or_b32 v47, v8, 7, v3
.LBB262_693:                            ;   in Loop: Header=BB262_12 Depth=1
	s_or_b64 exec, exec, s[42:43]
.LBB262_694:                            ;   in Loop: Header=BB262_12 Depth=1
	s_or_b64 exec, exec, s[40:41]
.LBB262_695:                            ;   in Loop: Header=BB262_12 Depth=1
	s_or_b64 exec, exec, s[28:29]
	v_lshrrev_b16_e32 v3, 8, v5
	v_cmp_ne_u16_e32 vcc, 0, v3
	s_and_saveexec_b64 s[28:29], vcc
	s_cbranch_execz .LBB262_701
; %bb.696:                              ;   in Loop: Header=BB262_12 Depth=1
	v_cmp_ne_u16_e32 vcc, s44, v3
	v_bfrev_b32_e32 v53, 1
	s_and_saveexec_b64 s[40:41], vcc
	s_cbranch_execz .LBB262_700
; %bb.697:                              ;   in Loop: Header=BB262_12 Depth=1
	v_and_b32_e32 v14, 0x7f, v3
	v_cmp_ne_u32_e32 vcc, s45, v14
	v_mov_b32_e32 v53, 0x7c010000
	s_and_saveexec_b64 s[42:43], vcc
	s_cbranch_execz .LBB262_699
; %bb.698:                              ;   in Loop: Header=BB262_12 Depth=1
	v_and_b32_e32 v8, 7, v3
	v_lshrrev_b32_e32 v9, 3, v14
	v_cmp_gt_u32_e32 vcc, 8, v14
	v_ffbh_u32_e32 v14, v8
	v_min_u32_e32 v26, 32, v14
	v_subrev_u32_e32 v14, 28, v26
	v_lshlrev_b64 v[14:15], v14, v[3:4]
	v_sub_u32_e32 v15, 29, v26
	v_cndmask_b32_e32 v9, v9, v15, vcc
	v_mov_b32_e32 v15, 0x2000
	v_lshlrev_b32_e32 v3, 8, v3
	v_lshl_add_u32 v9, v9, 10, v15
	v_and_b32_e32 v14, 7, v14
	v_and_or_b32 v3, v3, s46, v9
	v_cndmask_b32_e32 v8, v8, v14, vcc
	v_lshlrev_b32_e32 v3, 16, v3
	v_lshl_or_b32 v53, v8, 23, v3
.LBB262_699:                            ;   in Loop: Header=BB262_12 Depth=1
	s_or_b64 exec, exec, s[42:43]
.LBB262_700:                            ;   in Loop: Header=BB262_12 Depth=1
	s_or_b64 exec, exec, s[40:41]
.LBB262_701:                            ;   in Loop: Header=BB262_12 Depth=1
	s_or_b64 exec, exec, s[28:29]
	v_lshrrev_b32_e32 v3, 16, v5
	v_cmp_ne_u16_sdwa s[40:41], v3, v4 src0_sel:BYTE_0 src1_sel:DWORD
	v_mov_b32_e32 v29, 0
	v_mov_b32_e32 v49, 0
	s_and_saveexec_b64 s[28:29], s[40:41]
	s_cbranch_execz .LBB262_707
; %bb.702:                              ;   in Loop: Header=BB262_12 Depth=1
	v_cmp_ne_u16_sdwa s[42:43], v3, s44 src0_sel:BYTE_0 src1_sel:DWORD
	v_mov_b32_e32 v49, 0x8000
	s_and_saveexec_b64 s[40:41], s[42:43]
	s_cbranch_execz .LBB262_706
; %bb.703:                              ;   in Loop: Header=BB262_12 Depth=1
	v_bfe_u32 v14, v5, 16, 7
	v_cmp_ne_u32_e32 vcc, s45, v14
	v_mov_b32_e32 v49, 0x7c01
	s_and_saveexec_b64 s[42:43], vcc
	s_cbranch_execz .LBB262_705
; %bb.704:                              ;   in Loop: Header=BB262_12 Depth=1
	v_and_b32_e32 v8, 7, v3
	v_lshrrev_b32_e32 v9, 3, v14
	v_cmp_gt_u32_e32 vcc, 8, v14
	v_ffbh_u32_e32 v14, v8
	v_min_u32_e32 v26, 32, v14
	v_subrev_u32_e32 v14, 28, v26
	v_lshlrev_b64 v[14:15], v14, v[3:4]
	v_sub_u32_e32 v15, 29, v26
	v_cndmask_b32_e32 v9, v9, v15, vcc
	v_mov_b32_e32 v15, 0x2000
	v_lshl_add_u32 v9, v9, 10, v15
	v_lshlrev_b32_e32 v3, 8, v3
	v_and_b32_e32 v14, 7, v14
	v_and_b32_e32 v9, 0xfc00, v9
	v_cndmask_b32_e32 v8, v8, v14, vcc
	v_and_or_b32 v3, v3, s46, v9
	v_lshl_or_b32 v49, v8, 7, v3
.LBB262_705:                            ;   in Loop: Header=BB262_12 Depth=1
	s_or_b64 exec, exec, s[42:43]
.LBB262_706:                            ;   in Loop: Header=BB262_12 Depth=1
	s_or_b64 exec, exec, s[40:41]
.LBB262_707:                            ;   in Loop: Header=BB262_12 Depth=1
	s_or_b64 exec, exec, s[28:29]
	v_cmp_lt_u32_e32 vcc, s47, v5
	s_and_saveexec_b64 s[28:29], vcc
	s_cbranch_execz .LBB262_713
; %bb.708:                              ;   in Loop: Header=BB262_12 Depth=1
	v_lshrrev_b32_e32 v3, 24, v5
	v_cmp_ne_u32_e32 vcc, s44, v3
	v_bfrev_b32_e32 v29, 1
	s_and_saveexec_b64 s[40:41], vcc
	s_cbranch_execz .LBB262_712
; %bb.709:                              ;   in Loop: Header=BB262_12 Depth=1
	v_and_b32_e32 v5, 0x7f, v3
	v_cmp_ne_u32_e32 vcc, s45, v5
	v_mov_b32_e32 v29, 0x7c010000
	s_and_saveexec_b64 s[42:43], vcc
	s_cbranch_execz .LBB262_711
; %bb.710:                              ;   in Loop: Header=BB262_12 Depth=1
	v_and_b32_e32 v8, 7, v3
	v_lshrrev_b32_e32 v9, 3, v5
	v_cmp_gt_u32_e32 vcc, 8, v5
	v_ffbh_u32_e32 v5, v8
	v_min_u32_e32 v5, 32, v5
	v_subrev_u32_e32 v14, 28, v5
	v_sub_u32_e32 v5, 29, v5
	v_lshlrev_b64 v[14:15], v14, v[3:4]
	v_cndmask_b32_e32 v5, v9, v5, vcc
	v_mov_b32_e32 v9, 0x2000
	v_lshlrev_b32_e32 v3, 8, v3
	v_lshl_add_u32 v5, v5, 10, v9
	v_and_b32_e32 v9, 7, v14
	v_and_or_b32 v3, v3, s46, v5
	v_cndmask_b32_e32 v8, v8, v9, vcc
	v_lshlrev_b32_e32 v3, 16, v3
	v_lshl_or_b32 v29, v8, 23, v3
.LBB262_711:                            ;   in Loop: Header=BB262_12 Depth=1
	s_or_b64 exec, exec, s[42:43]
.LBB262_712:                            ;   in Loop: Header=BB262_12 Depth=1
	s_or_b64 exec, exec, s[40:41]
.LBB262_713:                            ;   in Loop: Header=BB262_12 Depth=1
	s_or_b64 exec, exec, s[28:29]
	buffer_load_dword v3, off, s[0:3], s32 offset:76 ; 4-byte Folded Reload
	v_mov_b32_e32 v44, 0
	s_waitcnt vmcnt(0)
	v_add_co_u32_e32 v5, vcc, v6, v3
	v_addc_co_u32_e32 v6, vcc, 0, v7, vcc
	flat_load_dword v5, v[5:6]
	v_mov_b32_e32 v6, 0
	s_waitcnt vmcnt(0) lgkmcnt(0)
	v_cmp_ne_u16_sdwa s[40:41], v5, v4 src0_sel:BYTE_0 src1_sel:DWORD
	s_and_saveexec_b64 s[28:29], s[40:41]
	s_cbranch_execz .LBB262_719
; %bb.714:                              ;   in Loop: Header=BB262_12 Depth=1
	v_cmp_ne_u16_sdwa s[42:43], v5, s44 src0_sel:BYTE_0 src1_sel:DWORD
	v_mov_b32_e32 v6, 0x8000
	s_and_saveexec_b64 s[40:41], s[42:43]
	s_cbranch_execz .LBB262_718
; %bb.715:                              ;   in Loop: Header=BB262_12 Depth=1
	v_and_b32_e32 v3, 0x7f, v5
	v_cmp_ne_u32_e32 vcc, s45, v3
	v_mov_b32_e32 v6, 0x7c01
	s_and_saveexec_b64 s[42:43], vcc
	s_cbranch_execz .LBB262_717
; %bb.716:                              ;   in Loop: Header=BB262_12 Depth=1
	v_and_b32_e32 v8, 7, v5
	v_lshrrev_b32_e32 v9, 3, v3
	v_cmp_gt_u32_e32 vcc, 8, v3
	v_ffbh_u32_e32 v3, v8
	v_min_u32_e32 v3, 32, v3
	v_subrev_u32_e32 v6, 28, v3
	v_sub_u32_e32 v3, 29, v3
	v_lshlrev_b64 v[6:7], v6, v[5:6]
	v_cndmask_b32_e32 v3, v9, v3, vcc
	v_mov_b32_e32 v9, 0x2000
	v_lshl_add_u32 v3, v3, 10, v9
	v_lshlrev_b32_e32 v7, 8, v5
	v_and_b32_e32 v6, 7, v6
	v_and_b32_e32 v3, 0xfc00, v3
	v_cndmask_b32_e32 v6, v8, v6, vcc
	v_and_or_b32 v3, v7, s46, v3
	v_lshl_or_b32 v6, v6, 7, v3
.LBB262_717:                            ;   in Loop: Header=BB262_12 Depth=1
	s_or_b64 exec, exec, s[42:43]
.LBB262_718:                            ;   in Loop: Header=BB262_12 Depth=1
	s_or_b64 exec, exec, s[40:41]
.LBB262_719:                            ;   in Loop: Header=BB262_12 Depth=1
	s_or_b64 exec, exec, s[28:29]
	v_lshrrev_b16_e32 v3, 8, v5
	v_cmp_ne_u16_e32 vcc, 0, v3
	s_and_saveexec_b64 s[28:29], vcc
	s_cbranch_execz .LBB262_725
; %bb.720:                              ;   in Loop: Header=BB262_12 Depth=1
	v_cmp_ne_u16_e32 vcc, s44, v3
	v_bfrev_b32_e32 v44, 1
	s_and_saveexec_b64 s[40:41], vcc
	s_cbranch_execz .LBB262_724
; %bb.721:                              ;   in Loop: Header=BB262_12 Depth=1
	v_and_b32_e32 v7, 0x7f, v3
	v_cmp_ne_u32_e32 vcc, s45, v7
	v_mov_b32_e32 v44, 0x7c010000
	s_and_saveexec_b64 s[42:43], vcc
	s_cbranch_execz .LBB262_723
; %bb.722:                              ;   in Loop: Header=BB262_12 Depth=1
	v_and_b32_e32 v8, 7, v3
	v_lshrrev_b32_e32 v9, 3, v7
	v_cmp_gt_u32_e32 vcc, 8, v7
	v_ffbh_u32_e32 v7, v8
	v_min_u32_e32 v7, 32, v7
	v_subrev_u32_e32 v14, 28, v7
	v_sub_u32_e32 v7, 29, v7
	v_lshlrev_b64 v[14:15], v14, v[3:4]
	v_cndmask_b32_e32 v7, v9, v7, vcc
	v_mov_b32_e32 v9, 0x2000
	v_lshlrev_b32_e32 v3, 8, v3
	v_lshl_add_u32 v7, v7, 10, v9
	v_and_b32_e32 v9, 7, v14
	v_and_or_b32 v3, v3, s46, v7
	v_cndmask_b32_e32 v8, v8, v9, vcc
	v_lshlrev_b32_e32 v3, 16, v3
	v_lshl_or_b32 v44, v8, 23, v3
.LBB262_723:                            ;   in Loop: Header=BB262_12 Depth=1
	s_or_b64 exec, exec, s[42:43]
.LBB262_724:                            ;   in Loop: Header=BB262_12 Depth=1
	s_or_b64 exec, exec, s[40:41]
.LBB262_725:                            ;   in Loop: Header=BB262_12 Depth=1
	s_or_b64 exec, exec, s[28:29]
	v_lshrrev_b32_e32 v3, 16, v5
	v_cmp_ne_u16_sdwa s[40:41], v3, v4 src0_sel:BYTE_0 src1_sel:DWORD
	v_mov_b32_e32 v43, 0
	v_mov_b32_e32 v15, 0
	s_and_saveexec_b64 s[28:29], s[40:41]
	s_cbranch_execz .LBB262_731
; %bb.726:                              ;   in Loop: Header=BB262_12 Depth=1
	v_cmp_ne_u16_sdwa s[42:43], v3, s44 src0_sel:BYTE_0 src1_sel:DWORD
	v_mov_b32_e32 v15, 0x8000
	s_and_saveexec_b64 s[40:41], s[42:43]
	s_cbranch_execz .LBB262_730
; %bb.727:                              ;   in Loop: Header=BB262_12 Depth=1
	v_bfe_u32 v7, v5, 16, 7
	v_cmp_ne_u32_e32 vcc, s45, v7
	v_mov_b32_e32 v15, 0x7c01
	s_and_saveexec_b64 s[42:43], vcc
	s_cbranch_execz .LBB262_729
; %bb.728:                              ;   in Loop: Header=BB262_12 Depth=1
	v_and_b32_e32 v8, 7, v3
	v_lshrrev_b32_e32 v9, 3, v7
	v_cmp_gt_u32_e32 vcc, 8, v7
	v_ffbh_u32_e32 v7, v8
	v_min_u32_e32 v7, 32, v7
	v_subrev_u32_e32 v14, 28, v7
	v_sub_u32_e32 v7, 29, v7
	v_lshlrev_b64 v[14:15], v14, v[3:4]
	v_cndmask_b32_e32 v7, v9, v7, vcc
	v_mov_b32_e32 v9, 0x2000
	v_lshl_add_u32 v7, v7, 10, v9
	v_lshlrev_b32_e32 v3, 8, v3
	v_and_b32_e32 v9, 7, v14
	v_and_b32_e32 v7, 0xfc00, v7
	v_cndmask_b32_e32 v8, v8, v9, vcc
	v_and_or_b32 v3, v3, s46, v7
	v_lshl_or_b32 v15, v8, 7, v3
.LBB262_729:                            ;   in Loop: Header=BB262_12 Depth=1
	s_or_b64 exec, exec, s[42:43]
.LBB262_730:                            ;   in Loop: Header=BB262_12 Depth=1
	s_or_b64 exec, exec, s[40:41]
.LBB262_731:                            ;   in Loop: Header=BB262_12 Depth=1
	s_or_b64 exec, exec, s[28:29]
	v_cmp_lt_u32_e32 vcc, s47, v5
	s_and_saveexec_b64 s[28:29], vcc
	s_cbranch_execz .LBB262_737
; %bb.732:                              ;   in Loop: Header=BB262_12 Depth=1
	v_lshrrev_b32_e32 v3, 24, v5
	v_cmp_ne_u32_e32 vcc, s44, v3
	v_bfrev_b32_e32 v43, 1
	s_and_saveexec_b64 s[40:41], vcc
	s_cbranch_execz .LBB262_736
; %bb.733:                              ;   in Loop: Header=BB262_12 Depth=1
	v_and_b32_e32 v5, 0x7f, v3
	v_cmp_ne_u32_e32 vcc, s45, v5
	v_mov_b32_e32 v43, 0x7c010000
	s_and_saveexec_b64 s[42:43], vcc
	s_cbranch_execz .LBB262_735
; %bb.734:                              ;   in Loop: Header=BB262_12 Depth=1
	v_and_b32_e32 v7, 7, v3
	v_lshrrev_b32_e32 v8, 3, v5
	v_cmp_gt_u32_e32 vcc, 8, v5
	v_ffbh_u32_e32 v5, v7
	v_min_u32_e32 v5, 32, v5
	v_subrev_u32_e32 v9, 28, v5
	v_sub_u32_e32 v5, 29, v5
	v_lshlrev_b64 v[26:27], v9, v[3:4]
	v_cndmask_b32_e32 v5, v8, v5, vcc
	v_mov_b32_e32 v8, 0x2000
	v_lshlrev_b32_e32 v3, 8, v3
	v_lshl_add_u32 v5, v5, 10, v8
	v_and_b32_e32 v8, 7, v26
	v_and_or_b32 v3, v3, s46, v5
	v_cndmask_b32_e32 v7, v7, v8, vcc
	v_lshlrev_b32_e32 v3, 16, v3
	v_lshl_or_b32 v43, v7, 23, v3
.LBB262_735:                            ;   in Loop: Header=BB262_12 Depth=1
	s_or_b64 exec, exec, s[42:43]
.LBB262_736:                            ;   in Loop: Header=BB262_12 Depth=1
	s_or_b64 exec, exec, s[40:41]
.LBB262_737:                            ;   in Loop: Header=BB262_12 Depth=1
	s_or_b64 exec, exec, s[28:29]
	buffer_load_dword v3, off, s[0:3], s32 offset:72 ; 4-byte Folded Reload
	v_add_co_u32_e32 v14, vcc, 0x1e00, v24
	v_addc_co_u32_e32 v27, vcc, 0, v25, vcc
	s_waitcnt vmcnt(0)
	v_add_co_u32_e32 v24, vcc, v14, v3
	v_addc_co_u32_e32 v25, vcc, 0, v27, vcc
	flat_load_dword v5, v[24:25]
	v_mov_b32_e32 v24, 0
	v_mov_b32_e32 v25, 0
	s_waitcnt vmcnt(0) lgkmcnt(0)
	v_cmp_ne_u16_sdwa s[40:41], v5, v4 src0_sel:BYTE_0 src1_sel:DWORD
	s_and_saveexec_b64 s[28:29], s[40:41]
	s_cbranch_execz .LBB262_743
; %bb.738:                              ;   in Loop: Header=BB262_12 Depth=1
	v_cmp_ne_u16_sdwa s[42:43], v5, s44 src0_sel:BYTE_0 src1_sel:DWORD
	v_mov_b32_e32 v25, 0x8000
	s_and_saveexec_b64 s[40:41], s[42:43]
	s_cbranch_execz .LBB262_742
; %bb.739:                              ;   in Loop: Header=BB262_12 Depth=1
	v_and_b32_e32 v3, 0x7f, v5
	v_cmp_ne_u32_e32 vcc, s45, v3
	v_mov_b32_e32 v25, 0x7c01
	s_and_saveexec_b64 s[42:43], vcc
	s_cbranch_execz .LBB262_741
; %bb.740:                              ;   in Loop: Header=BB262_12 Depth=1
	v_and_b32_e32 v7, 7, v5
	v_lshrrev_b32_e32 v8, 3, v3
	v_cmp_gt_u32_e32 vcc, 8, v3
	v_ffbh_u32_e32 v3, v7
	v_min_u32_e32 v3, 32, v3
	v_subrev_u32_e32 v9, 28, v3
	v_sub_u32_e32 v3, 29, v3
	v_lshlrev_b64 v[25:26], v9, v[5:6]
	v_cndmask_b32_e32 v3, v8, v3, vcc
	v_mov_b32_e32 v9, 0x2000
	v_lshl_add_u32 v3, v3, 10, v9
	v_lshlrev_b32_e32 v8, 8, v5
	v_and_b32_e32 v9, 7, v25
	v_and_b32_e32 v3, 0xfc00, v3
	v_cndmask_b32_e32 v7, v7, v9, vcc
	v_and_or_b32 v3, v8, s46, v3
	v_lshl_or_b32 v25, v7, 7, v3
.LBB262_741:                            ;   in Loop: Header=BB262_12 Depth=1
	s_or_b64 exec, exec, s[42:43]
.LBB262_742:                            ;   in Loop: Header=BB262_12 Depth=1
	s_or_b64 exec, exec, s[40:41]
.LBB262_743:                            ;   in Loop: Header=BB262_12 Depth=1
	s_or_b64 exec, exec, s[28:29]
	v_lshrrev_b16_e32 v3, 8, v5
	v_cmp_ne_u16_e32 vcc, 0, v3
	s_and_saveexec_b64 s[28:29], vcc
	s_cbranch_execz .LBB262_749
; %bb.744:                              ;   in Loop: Header=BB262_12 Depth=1
	v_cmp_ne_u16_e32 vcc, s44, v3
	v_bfrev_b32_e32 v24, 1
	s_and_saveexec_b64 s[40:41], vcc
	s_cbranch_execz .LBB262_748
; %bb.745:                              ;   in Loop: Header=BB262_12 Depth=1
	v_and_b32_e32 v7, 0x7f, v3
	v_cmp_ne_u32_e32 vcc, s45, v7
	v_mov_b32_e32 v24, 0x7c010000
	s_and_saveexec_b64 s[42:43], vcc
	s_cbranch_execz .LBB262_747
; %bb.746:                              ;   in Loop: Header=BB262_12 Depth=1
	v_and_b32_e32 v9, 7, v3
	v_lshrrev_b32_e32 v24, 3, v7
	v_cmp_gt_u32_e32 vcc, 8, v7
	v_ffbh_u32_e32 v7, v9
	v_min_u32_e32 v26, 32, v7
	v_subrev_u32_e32 v7, 28, v26
	v_lshlrev_b64 v[7:8], v7, v[3:4]
	v_sub_u32_e32 v8, 29, v26
	v_cndmask_b32_e32 v8, v24, v8, vcc
	v_mov_b32_e32 v24, 0x2000
	v_lshlrev_b32_e32 v3, 8, v3
	v_lshl_add_u32 v8, v8, 10, v24
	v_and_b32_e32 v7, 7, v7
	v_and_or_b32 v3, v3, s46, v8
	v_cndmask_b32_e32 v7, v9, v7, vcc
	v_lshlrev_b32_e32 v3, 16, v3
	v_lshl_or_b32 v24, v7, 23, v3
.LBB262_747:                            ;   in Loop: Header=BB262_12 Depth=1
	s_or_b64 exec, exec, s[42:43]
.LBB262_748:                            ;   in Loop: Header=BB262_12 Depth=1
	s_or_b64 exec, exec, s[40:41]
.LBB262_749:                            ;   in Loop: Header=BB262_12 Depth=1
	s_or_b64 exec, exec, s[28:29]
	v_lshrrev_b32_e32 v3, 16, v5
	v_cmp_ne_u16_sdwa s[40:41], v3, v4 src0_sel:BYTE_0 src1_sel:DWORD
	v_mov_b32_e32 v7, 0
	v_mov_b32_e32 v26, 0
	s_and_saveexec_b64 s[28:29], s[40:41]
	s_cbranch_execz .LBB262_755
; %bb.750:                              ;   in Loop: Header=BB262_12 Depth=1
	v_cmp_ne_u16_sdwa s[42:43], v3, s44 src0_sel:BYTE_0 src1_sel:DWORD
	v_mov_b32_e32 v26, 0x8000
	s_and_saveexec_b64 s[40:41], s[42:43]
	s_cbranch_execz .LBB262_754
; %bb.751:                              ;   in Loop: Header=BB262_12 Depth=1
	v_bfe_u32 v34, v5, 16, 7
	v_cmp_ne_u32_e32 vcc, s45, v34
	v_mov_b32_e32 v26, 0x7c01
	s_and_saveexec_b64 s[42:43], vcc
	s_cbranch_execz .LBB262_753
; %bb.752:                              ;   in Loop: Header=BB262_12 Depth=1
	v_and_b32_e32 v26, 7, v3
	v_ffbh_u32_e32 v8, v26
	v_lshrrev_b32_e32 v51, 3, v34
	v_cmp_gt_u32_e32 vcc, 8, v34
	v_min_u32_e32 v34, 32, v8
	v_subrev_u32_e32 v8, 28, v34
	v_lshlrev_b64 v[8:9], v8, v[3:4]
	v_sub_u32_e32 v9, 29, v34
	v_cndmask_b32_e32 v9, v51, v9, vcc
	v_mov_b32_e32 v32, 0x2000
	v_lshl_add_u32 v9, v9, 10, v32
	v_lshlrev_b32_e32 v3, 8, v3
	v_and_b32_e32 v8, 7, v8
	v_and_b32_e32 v9, 0xfc00, v9
	v_cndmask_b32_e32 v8, v26, v8, vcc
	v_and_or_b32 v3, v3, s46, v9
	v_lshl_or_b32 v26, v8, 7, v3
.LBB262_753:                            ;   in Loop: Header=BB262_12 Depth=1
	s_or_b64 exec, exec, s[42:43]
.LBB262_754:                            ;   in Loop: Header=BB262_12 Depth=1
	s_or_b64 exec, exec, s[40:41]
.LBB262_755:                            ;   in Loop: Header=BB262_12 Depth=1
	s_or_b64 exec, exec, s[28:29]
	v_cmp_lt_u32_e32 vcc, s47, v5
	s_and_saveexec_b64 s[28:29], vcc
	s_cbranch_execz .LBB262_761
; %bb.756:                              ;   in Loop: Header=BB262_12 Depth=1
	v_lshrrev_b32_e32 v3, 24, v5
	v_cmp_ne_u32_e32 vcc, s44, v3
	v_bfrev_b32_e32 v7, 1
	s_and_saveexec_b64 s[40:41], vcc
	s_cbranch_execz .LBB262_760
; %bb.757:                              ;   in Loop: Header=BB262_12 Depth=1
	v_and_b32_e32 v5, 0x7f, v3
	v_cmp_ne_u32_e32 vcc, s45, v5
	v_mov_b32_e32 v7, 0x7c010000
	s_and_saveexec_b64 s[42:43], vcc
	s_cbranch_execz .LBB262_759
; %bb.758:                              ;   in Loop: Header=BB262_12 Depth=1
	v_and_b32_e32 v9, 7, v3
	v_lshrrev_b32_e32 v34, 3, v5
	v_cmp_gt_u32_e32 vcc, 8, v5
	v_ffbh_u32_e32 v5, v9
	v_min_u32_e32 v5, 32, v5
	v_subrev_u32_e32 v7, 28, v5
	v_lshlrev_b64 v[7:8], v7, v[3:4]
	v_sub_u32_e32 v5, 29, v5
	v_cndmask_b32_e32 v5, v34, v5, vcc
	v_mov_b32_e32 v8, 0x2000
	v_lshlrev_b32_e32 v3, 8, v3
	v_lshl_add_u32 v5, v5, 10, v8
	v_and_b32_e32 v7, 7, v7
	v_and_or_b32 v3, v3, s46, v5
	v_cndmask_b32_e32 v7, v9, v7, vcc
	v_lshlrev_b32_e32 v3, 16, v3
	v_lshl_or_b32 v7, v7, 23, v3
.LBB262_759:                            ;   in Loop: Header=BB262_12 Depth=1
	s_or_b64 exec, exec, s[42:43]
.LBB262_760:                            ;   in Loop: Header=BB262_12 Depth=1
	s_or_b64 exec, exec, s[40:41]
.LBB262_761:                            ;   in Loop: Header=BB262_12 Depth=1
	s_or_b64 exec, exec, s[28:29]
	buffer_load_dword v3, off, s[0:3], s32 offset:76 ; 4-byte Folded Reload
	v_mov_b32_e32 v40, 0
	s_waitcnt vmcnt(0)
	v_add_co_u32_e32 v8, vcc, v14, v3
	v_addc_co_u32_e32 v9, vcc, 0, v27, vcc
	flat_load_dword v5, v[8:9]
	v_mov_b32_e32 v27, 0
	s_waitcnt vmcnt(0) lgkmcnt(0)
	v_cmp_ne_u16_sdwa s[40:41], v5, v4 src0_sel:BYTE_0 src1_sel:DWORD
	s_and_saveexec_b64 s[28:29], s[40:41]
	s_cbranch_execz .LBB262_767
; %bb.762:                              ;   in Loop: Header=BB262_12 Depth=1
	v_cmp_ne_u16_sdwa s[42:43], v5, s44 src0_sel:BYTE_0 src1_sel:DWORD
	v_mov_b32_e32 v40, 0x8000
	s_and_saveexec_b64 s[40:41], s[42:43]
	s_cbranch_execz .LBB262_766
; %bb.763:                              ;   in Loop: Header=BB262_12 Depth=1
	v_and_b32_e32 v3, 0x7f, v5
	v_cmp_ne_u32_e32 vcc, s45, v3
	v_mov_b32_e32 v40, 0x7c01
	s_and_saveexec_b64 s[42:43], vcc
	s_cbranch_execz .LBB262_765
; %bb.764:                              ;   in Loop: Header=BB262_12 Depth=1
	v_and_b32_e32 v14, 7, v5
	v_lshrrev_b32_e32 v34, 3, v3
	v_cmp_gt_u32_e32 vcc, 8, v3
	v_ffbh_u32_e32 v3, v14
	v_min_u32_e32 v3, 32, v3
	v_subrev_u32_e32 v8, 28, v3
	v_sub_u32_e32 v3, 29, v3
	v_lshlrev_b64 v[8:9], v8, v[5:6]
	v_cndmask_b32_e32 v3, v34, v3, vcc
	v_mov_b32_e32 v32, 0x2000
	v_lshl_add_u32 v3, v3, 10, v32
	v_lshlrev_b32_e32 v9, 8, v5
	v_and_b32_e32 v8, 7, v8
	v_and_b32_e32 v3, 0xfc00, v3
	v_cndmask_b32_e32 v8, v14, v8, vcc
	v_and_or_b32 v3, v9, s46, v3
	v_lshl_or_b32 v40, v8, 7, v3
.LBB262_765:                            ;   in Loop: Header=BB262_12 Depth=1
	s_or_b64 exec, exec, s[42:43]
.LBB262_766:                            ;   in Loop: Header=BB262_12 Depth=1
	s_or_b64 exec, exec, s[40:41]
.LBB262_767:                            ;   in Loop: Header=BB262_12 Depth=1
	s_or_b64 exec, exec, s[28:29]
	v_lshrrev_b16_e32 v3, 8, v5
	v_cmp_ne_u16_e32 vcc, 0, v3
	s_and_saveexec_b64 s[28:29], vcc
	s_cbranch_execz .LBB262_773
; %bb.768:                              ;   in Loop: Header=BB262_12 Depth=1
	v_cmp_ne_u16_e32 vcc, s44, v3
	v_bfrev_b32_e32 v27, 1
	s_and_saveexec_b64 s[40:41], vcc
	s_cbranch_execz .LBB262_772
; %bb.769:                              ;   in Loop: Header=BB262_12 Depth=1
	v_and_b32_e32 v14, 0x7f, v3
	v_cmp_ne_u32_e32 vcc, s45, v14
	v_mov_b32_e32 v27, 0x7c010000
	s_and_saveexec_b64 s[42:43], vcc
	s_cbranch_execz .LBB262_771
; %bb.770:                              ;   in Loop: Header=BB262_12 Depth=1
	v_and_b32_e32 v27, 7, v3
	v_ffbh_u32_e32 v8, v27
	v_lshrrev_b32_e32 v34, 3, v14
	v_cmp_gt_u32_e32 vcc, 8, v14
	v_min_u32_e32 v14, 32, v8
	v_subrev_u32_e32 v8, 28, v14
	v_lshlrev_b64 v[8:9], v8, v[3:4]
	v_sub_u32_e32 v9, 29, v14
	v_cndmask_b32_e32 v9, v34, v9, vcc
	v_mov_b32_e32 v14, 0x2000
	v_lshlrev_b32_e32 v3, 8, v3
	v_lshl_add_u32 v9, v9, 10, v14
	v_and_b32_e32 v8, 7, v8
	v_and_or_b32 v3, v3, s46, v9
	v_cndmask_b32_e32 v8, v27, v8, vcc
	v_lshlrev_b32_e32 v3, 16, v3
	v_lshl_or_b32 v27, v8, 23, v3
.LBB262_771:                            ;   in Loop: Header=BB262_12 Depth=1
	s_or_b64 exec, exec, s[42:43]
.LBB262_772:                            ;   in Loop: Header=BB262_12 Depth=1
	s_or_b64 exec, exec, s[40:41]
.LBB262_773:                            ;   in Loop: Header=BB262_12 Depth=1
	s_or_b64 exec, exec, s[28:29]
	v_lshrrev_b32_e32 v3, 16, v5
	v_cmp_ne_u16_sdwa s[40:41], v3, v4 src0_sel:BYTE_0 src1_sel:DWORD
	v_mov_b32_e32 v14, 0
	v_mov_b32_e32 v34, 0
	s_and_saveexec_b64 s[28:29], s[40:41]
	s_cbranch_execz .LBB262_779
; %bb.774:                              ;   in Loop: Header=BB262_12 Depth=1
	v_cmp_ne_u16_sdwa s[42:43], v3, s44 src0_sel:BYTE_0 src1_sel:DWORD
	v_mov_b32_e32 v34, 0x8000
	s_and_saveexec_b64 s[40:41], s[42:43]
	s_cbranch_execz .LBB262_778
; %bb.775:                              ;   in Loop: Header=BB262_12 Depth=1
	v_bfe_u32 v51, v5, 16, 7
	v_cmp_ne_u32_e32 vcc, s45, v51
	v_mov_b32_e32 v34, 0x7c01
	s_and_saveexec_b64 s[42:43], vcc
	s_cbranch_execz .LBB262_777
; %bb.776:                              ;   in Loop: Header=BB262_12 Depth=1
	v_and_b32_e32 v34, 7, v3
	v_ffbh_u32_e32 v8, v34
	v_lshrrev_b32_e32 v32, 3, v51
	v_cmp_gt_u32_e32 vcc, 8, v51
	v_min_u32_e32 v51, 32, v8
	v_subrev_u32_e32 v8, 28, v51
	v_lshlrev_b64 v[8:9], v8, v[3:4]
	v_sub_u32_e32 v9, 29, v51
	v_cndmask_b32_e32 v9, v32, v9, vcc
	v_mov_b32_e32 v32, 0x2000
	v_lshl_add_u32 v9, v9, 10, v32
	v_lshlrev_b32_e32 v3, 8, v3
	v_and_b32_e32 v8, 7, v8
	v_and_b32_e32 v9, 0xfc00, v9
	v_cndmask_b32_e32 v8, v34, v8, vcc
	v_and_or_b32 v3, v3, s46, v9
	v_lshl_or_b32 v34, v8, 7, v3
.LBB262_777:                            ;   in Loop: Header=BB262_12 Depth=1
	s_or_b64 exec, exec, s[42:43]
.LBB262_778:                            ;   in Loop: Header=BB262_12 Depth=1
	s_or_b64 exec, exec, s[40:41]
.LBB262_779:                            ;   in Loop: Header=BB262_12 Depth=1
	s_or_b64 exec, exec, s[28:29]
	v_cmp_lt_u32_e32 vcc, s47, v5
	s_and_saveexec_b64 s[28:29], vcc
	s_cbranch_execz .LBB262_785
; %bb.780:                              ;   in Loop: Header=BB262_12 Depth=1
	v_lshrrev_b32_e32 v3, 24, v5
	v_cmp_ne_u32_e32 vcc, s44, v3
	v_bfrev_b32_e32 v14, 1
	s_and_saveexec_b64 s[40:41], vcc
	s_cbranch_execz .LBB262_784
; %bb.781:                              ;   in Loop: Header=BB262_12 Depth=1
	v_and_b32_e32 v5, 0x7f, v3
	v_cmp_ne_u32_e32 vcc, s45, v5
	v_mov_b32_e32 v14, 0x7c010000
	s_and_saveexec_b64 s[42:43], vcc
	s_cbranch_execz .LBB262_783
; %bb.782:                              ;   in Loop: Header=BB262_12 Depth=1
	v_and_b32_e32 v14, 7, v3
	v_lshrrev_b32_e32 v32, 3, v5
	v_cmp_gt_u32_e32 vcc, 8, v5
	v_ffbh_u32_e32 v5, v14
	v_min_u32_e32 v5, 32, v5
	v_subrev_u32_e32 v8, 28, v5
	v_lshlrev_b64 v[8:9], v8, v[3:4]
	v_sub_u32_e32 v5, 29, v5
	v_cndmask_b32_e32 v5, v32, v5, vcc
	v_mov_b32_e32 v9, 0x2000
	v_lshlrev_b32_e32 v3, 8, v3
	v_lshl_add_u32 v5, v5, 10, v9
	v_and_b32_e32 v8, 7, v8
	v_and_or_b32 v3, v3, s46, v5
	v_cndmask_b32_e32 v8, v14, v8, vcc
	v_lshlrev_b32_e32 v3, 16, v3
	v_lshl_or_b32 v14, v8, 23, v3
.LBB262_783:                            ;   in Loop: Header=BB262_12 Depth=1
	s_or_b64 exec, exec, s[42:43]
.LBB262_784:                            ;   in Loop: Header=BB262_12 Depth=1
	s_or_b64 exec, exec, s[40:41]
.LBB262_785:                            ;   in Loop: Header=BB262_12 Depth=1
	s_or_b64 exec, exec, s[28:29]
	v_or_b32_e32 v3, v24, v25
	v_fma_mixlo_f16 v3, v0, v3, 0 op_sel_hi:[0,1,0]
	buffer_store_dword v3, off, s[0:3], s32 offset:456 ; 4-byte Folded Spill
	v_or_b32_e32 v3, v7, v26
	v_fma_mixlo_f16 v3, v0, v3, 0 op_sel_hi:[0,1,0]
	buffer_store_dword v3, off, s[0:3], s32 offset:448 ; 4-byte Folded Spill
	v_fma_mixlo_f16 v3, v0, v7, 0 op_sel:[0,1,0] op_sel_hi:[0,1,0]
	buffer_store_dword v3, off, s[0:3], s32 offset:444 ; 4-byte Folded Spill
	v_or_b32_e32 v3, v44, v6
	v_fma_mixlo_f16 v3, v0, v3, 0 op_sel_hi:[0,1,0]
	buffer_store_dword v3, off, s[0:3], s32 offset:472 ; 4-byte Folded Spill
	v_or_b32_e32 v3, v43, v15
	v_fma_mixlo_f16 v3, v0, v3, 0 op_sel_hi:[0,1,0]
	buffer_store_dword v3, off, s[0:3], s32 offset:464 ; 4-byte Folded Spill
	v_fma_mixlo_f16 v3, v0, v43, 0 op_sel:[0,1,0] op_sel_hi:[0,1,0]
	buffer_store_dword v3, off, s[0:3], s32 offset:460 ; 4-byte Folded Spill
	;; [unrolled: 8-line block ×8, first 2 shown]
	v_or_b32_e32 v3, v21, v22
	v_fma_mixlo_f16 v3, v0, v3, 0 op_sel_hi:[0,1,0]
	buffer_store_dword v3, off, s[0:3], s32 offset:584 ; 4-byte Folded Spill
	v_or_b32_e32 v3, v1, v38
	v_fma_mixlo_f16 v1, v0, v1, 0 op_sel:[0,1,0] op_sel_hi:[0,1,0]
	buffer_store_dword v1, off, s[0:3], s32 offset:572 ; 4-byte Folded Spill
	buffer_load_dword v1, off, s[0:3], s32 offset:424 ; 4-byte Folded Reload
	v_fma_mixlo_f16 v5, v0, v24, 0 op_sel:[0,1,0] op_sel_hi:[0,1,0]
	buffer_store_dword v5, off, s[0:3], s32 offset:452 ; 4-byte Folded Spill
	v_fma_mixlo_f16 v5, v0, v44, 0 op_sel:[0,1,0] op_sel_hi:[0,1,0]
	buffer_store_dword v5, off, s[0:3], s32 offset:468 ; 4-byte Folded Spill
	v_fma_mixlo_f16 v5, v0, v53, 0 op_sel:[0,1,0] op_sel_hi:[0,1,0]
	buffer_store_dword v5, off, s[0:3], s32 offset:484 ; 4-byte Folded Spill
	v_fma_mixlo_f16 v5, v0, v35, 0 op_sel:[0,1,0] op_sel_hi:[0,1,0]
	buffer_store_dword v5, off, s[0:3], s32 offset:500 ; 4-byte Folded Spill
	v_fma_mixlo_f16 v5, v0, v62, 0 op_sel:[0,1,0] op_sel_hi:[0,1,0]
	buffer_store_dword v5, off, s[0:3], s32 offset:516 ; 4-byte Folded Spill
	v_fma_mixlo_f16 v5, v0, v23, 0 op_sel:[0,1,0] op_sel_hi:[0,1,0]
	buffer_store_dword v5, off, s[0:3], s32 offset:532 ; 4-byte Folded Spill
	v_fma_mixlo_f16 v5, v0, v18, 0 op_sel:[0,1,0] op_sel_hi:[0,1,0]
	buffer_store_dword v5, off, s[0:3], s32 offset:548 ; 4-byte Folded Spill
	v_fma_mixlo_f16 v5, v0, v28, 0 op_sel:[0,1,0] op_sel_hi:[0,1,0]
	buffer_store_dword v5, off, s[0:3], s32 offset:564 ; 4-byte Folded Spill
	v_fma_mixlo_f16 v5, v0, v21, 0 op_sel:[0,1,0] op_sel_hi:[0,1,0]
	v_fma_mixlo_f16 v3, v0, v3, 0 op_sel_hi:[0,1,0]
	buffer_store_dword v5, off, s[0:3], s32 offset:580 ; 4-byte Folded Spill
	buffer_store_dword v3, off, s[0:3], s32 offset:576 ; 4-byte Folded Spill
	s_waitcnt vmcnt(10)
	v_or_b32_e32 v1, v2, v1
	v_fma_mixlo_f16 v1, v0, v1, 0 op_sel_hi:[0,1,0]
	buffer_store_dword v1, off, s[0:3], s32 offset:592 ; 4-byte Folded Spill
	buffer_load_dword v1, off, s[0:3], s32 offset:428 ; 4-byte Folded Reload
	v_fma_mixlo_f16 v2, v0, v2, 0 op_sel:[0,1,0] op_sel_hi:[0,1,0]
	buffer_store_dword v2, off, s[0:3], s32 offset:588 ; 4-byte Folded Spill
	v_fma_mixlo_f16 v2, v0, v19, 0 op_sel:[0,1,0] op_sel_hi:[0,1,0]
	buffer_store_dword v2, off, s[0:3], s32 offset:596 ; 4-byte Folded Spill
	;; [unrolled: 2-line block ×4, first 2 shown]
	s_waitcnt vmcnt(4)
	v_or_b32_e32 v1, v52, v1
	v_fma_mixlo_f16 v1, v0, v1, 0 op_sel_hi:[0,1,0]
	buffer_store_dword v1, off, s[0:3], s32 offset:428 ; 4-byte Folded Spill
	v_fma_mixlo_f16 v1, v0, v52, 0 op_sel:[0,1,0] op_sel_hi:[0,1,0]
	buffer_store_dword v1, off, s[0:3], s32 offset:424 ; 4-byte Folded Spill
	buffer_load_dword v1, off, s[0:3], s32 offset:416 ; 4-byte Folded Reload
	s_waitcnt vmcnt(0)
	v_or_b32_e32 v1, v19, v1
	v_fma_mixlo_f16 v1, v0, v1, 0 op_sel_hi:[0,1,0]
	buffer_store_dword v1, off, s[0:3], s32 offset:600 ; 4-byte Folded Spill
	buffer_load_dword v1, off, s[0:3], s32 offset:420 ; 4-byte Folded Reload
	s_waitcnt vmcnt(0)
	v_or_b32_e32 v1, v63, v1
	v_fma_mixlo_f16 v1, v0, v1, 0 op_sel_hi:[0,1,0]
	buffer_store_dword v1, off, s[0:3], s32 offset:420 ; 4-byte Folded Spill
	v_fma_mixlo_f16 v1, v0, v63, 0 op_sel:[0,1,0] op_sel_hi:[0,1,0]
	buffer_store_dword v1, off, s[0:3], s32 offset:416 ; 4-byte Folded Spill
	buffer_load_dword v1, off, s[0:3], s32 offset:408 ; 4-byte Folded Reload
	s_waitcnt vmcnt(0)
	v_or_b32_e32 v1, v46, v1
	v_fma_mixlo_f16 v1, v0, v1, 0 op_sel_hi:[0,1,0]
	buffer_store_dword v1, off, s[0:3], s32 offset:608 ; 4-byte Folded Spill
	buffer_load_dword v1, off, s[0:3], s32 offset:412 ; 4-byte Folded Reload
	;; [unrolled: 12-line block ×3, first 2 shown]
	s_waitcnt vmcnt(0)
	v_or_b32_e32 v1, v12, v1
	v_fma_mixlo_f16 v1, v0, v1, 0 op_sel_hi:[0,1,0]
	buffer_store_dword v1, off, s[0:3], s32 offset:404 ; 4-byte Folded Spill
	v_fma_mixlo_f16 v1, v0, v12, 0 op_sel:[0,1,0] op_sel_hi:[0,1,0]
	buffer_store_dword v1, off, s[0:3], s32 offset:400 ; 4-byte Folded Spill
	buffer_load_dword v2, off, s[0:3], s32 offset:384 ; 4-byte Folded Reload
	s_nop 0
	buffer_load_dword v1, off, s[0:3], s32 offset:388 ; 4-byte Folded Reload
	s_waitcnt vmcnt(0)
	v_or_b32_e32 v1, v2, v1
	v_fma_mixlo_f16 v2, v0, v2, 0 op_sel:[0,1,0] op_sel_hi:[0,1,0]
	v_fma_mixlo_f16 v1, v0, v1, 0 op_sel_hi:[0,1,0]
	buffer_store_dword v2, off, s[0:3], s32 offset:620 ; 4-byte Folded Spill
	buffer_store_dword v1, off, s[0:3], s32 offset:624 ; 4-byte Folded Spill
	buffer_load_dword v2, off, s[0:3], s32 offset:392 ; 4-byte Folded Reload
	s_nop 0
	buffer_load_dword v1, off, s[0:3], s32 offset:396 ; 4-byte Folded Reload
	s_waitcnt vmcnt(0)
	v_or_b32_e32 v1, v2, v1
	v_fma_mixlo_f16 v1, v0, v1, 0 op_sel_hi:[0,1,0]
	buffer_store_dword v1, off, s[0:3], s32 offset:388 ; 4-byte Folded Spill
	v_fma_mixlo_f16 v1, v0, v2, 0 op_sel:[0,1,0] op_sel_hi:[0,1,0]
	buffer_store_dword v1, off, s[0:3], s32 offset:384 ; 4-byte Folded Spill
	buffer_load_dword v2, off, s[0:3], s32 offset:368 ; 4-byte Folded Reload
	s_nop 0
	buffer_load_dword v1, off, s[0:3], s32 offset:372 ; 4-byte Folded Reload
	s_waitcnt vmcnt(0)
	v_or_b32_e32 v1, v2, v1
	v_fma_mixlo_f16 v2, v0, v2, 0 op_sel:[0,1,0] op_sel_hi:[0,1,0]
	v_fma_mixlo_f16 v1, v0, v1, 0 op_sel_hi:[0,1,0]
	buffer_store_dword v2, off, s[0:3], s32 offset:392 ; 4-byte Folded Spill
	buffer_store_dword v1, off, s[0:3], s32 offset:396 ; 4-byte Folded Spill
	buffer_load_dword v2, off, s[0:3], s32 offset:376 ; 4-byte Folded Reload
	s_nop 0
	buffer_load_dword v1, off, s[0:3], s32 offset:380 ; 4-byte Folded Reload
	;; [unrolled: 18-line block ×5, first 2 shown]
	s_waitcnt vmcnt(0)
	v_or_b32_e32 v1, v2, v1
	v_fma_mixlo_f16 v1, v0, v1, 0 op_sel_hi:[0,1,0]
	buffer_store_dword v1, off, s[0:3], s32 offset:324 ; 4-byte Folded Spill
	v_fma_mixlo_f16 v1, v0, v2, 0 op_sel:[0,1,0] op_sel_hi:[0,1,0]
	buffer_store_dword v1, off, s[0:3], s32 offset:320 ; 4-byte Folded Spill
	buffer_load_dword v2, off, s[0:3], s32 offset:304 ; 4-byte Folded Reload
	s_nop 0
	buffer_load_dword v1, off, s[0:3], s32 offset:308 ; 4-byte Folded Reload
	s_waitcnt vmcnt(0)
	v_or_b32_e32 v1, v2, v1
	v_fma_mixlo_f16 v2, v0, v2, 0 op_sel:[0,1,0] op_sel_hi:[0,1,0]
	buffer_store_dword v2, off, s[0:3], s32 offset:328 ; 4-byte Folded Spill
	v_fma_mixlo_f16 v58, v0, v1, 0 op_sel_hi:[0,1,0]
	buffer_load_dword v2, off, s[0:3], s32 offset:312 ; 4-byte Folded Reload
	buffer_load_dword v1, off, s[0:3], s32 offset:316 ; 4-byte Folded Reload
	s_waitcnt vmcnt(0)
	v_or_b32_e32 v1, v2, v1
	v_fma_mixlo_f16 v1, v0, v1, 0 op_sel_hi:[0,1,0]
	buffer_store_dword v1, off, s[0:3], s32 offset:308 ; 4-byte Folded Spill
	v_fma_mixlo_f16 v1, v0, v2, 0 op_sel:[0,1,0] op_sel_hi:[0,1,0]
	buffer_store_dword v1, off, s[0:3], s32 offset:304 ; 4-byte Folded Spill
	buffer_load_dword v2, off, s[0:3], s32 offset:288 ; 4-byte Folded Reload
	s_nop 0
	buffer_load_dword v1, off, s[0:3], s32 offset:292 ; 4-byte Folded Reload
	s_waitcnt vmcnt(1)
	v_fma_mixlo_f16 v54, v0, v2, 0 op_sel:[0,1,0] op_sel_hi:[0,1,0]
	s_waitcnt vmcnt(0)
	v_or_b32_e32 v1, v2, v1
	v_fma_mixlo_f16 v50, v0, v1, 0 op_sel_hi:[0,1,0]
	buffer_load_dword v2, off, s[0:3], s32 offset:296 ; 4-byte Folded Reload
	buffer_load_dword v1, off, s[0:3], s32 offset:300 ; 4-byte Folded Reload
	s_waitcnt vmcnt(1)
	v_fma_mixlo_f16 v45, v0, v2, 0 op_sel:[0,1,0] op_sel_hi:[0,1,0]
	s_waitcnt vmcnt(0)
	v_or_b32_e32 v1, v2, v1
	v_fma_mixlo_f16 v52, v0, v1, 0 op_sel_hi:[0,1,0]
	buffer_load_dword v2, off, s[0:3], s32 offset:272 ; 4-byte Folded Reload
	;; [unrolled: 7-line block ×9, first 2 shown]
	buffer_load_dword v1, off, s[0:3], s32 offset:236 ; 4-byte Folded Reload
	v_and_b32_e32 v3, 0xffff, v3
	v_and_b32_e32 v5, 0xffff, v5
	s_waitcnt vmcnt(1)
	v_fma_mixlo_f16 v21, v0, v2, 0 op_sel:[0,1,0] op_sel_hi:[0,1,0]
	s_waitcnt vmcnt(0)
	v_or_b32_e32 v1, v2, v1
	v_fma_mixlo_f16 v7, v0, v1, 0 op_sel_hi:[0,1,0]
	buffer_load_dword v2, off, s[0:3], s32 offset:208 ; 4-byte Folded Reload
	buffer_load_dword v1, off, s[0:3], s32 offset:212 ; 4-byte Folded Reload
	s_waitcnt vmcnt(1)
	v_fma_mixlo_f16 v32, v0, v2, 0 op_sel:[0,1,0] op_sel_hi:[0,1,0]
	s_waitcnt vmcnt(0)
	v_or_b32_e32 v1, v2, v1
	v_fma_mixlo_f16 v59, v0, v1, 0 op_sel_hi:[0,1,0]
	buffer_load_dword v2, off, s[0:3], s32 offset:216 ; 4-byte Folded Reload
	buffer_load_dword v1, off, s[0:3], s32 offset:220 ; 4-byte Folded Reload
	;; [unrolled: 7-line block ×4, first 2 shown]
	v_and_b32_e32 v8, 0xffff, v8
	s_waitcnt vmcnt(1)
	v_fma_mixlo_f16 v6, v0, v2, 0 op_sel:[0,1,0] op_sel_hi:[0,1,0]
	s_waitcnt vmcnt(0)
	v_or_b32_e32 v1, v2, v1
	v_fma_mixlo_f16 v44, v0, v1, 0 op_sel_hi:[0,1,0]
	buffer_load_dword v2, off, s[0:3], s32 offset:172 ; 4-byte Folded Reload
	buffer_load_dword v1, off, s[0:3], s32 offset:176 ; 4-byte Folded Reload
	v_and_b32_e32 v6, 0xffff, v6
	s_waitcnt vmcnt(1)
	v_fma_mixlo_f16 v11, v0, v2, 0 op_sel:[0,1,0] op_sel_hi:[0,1,0]
	s_waitcnt vmcnt(0)
	v_or_b32_e32 v1, v2, v1
	v_fma_mixlo_f16 v39, v0, v1, 0 op_sel_hi:[0,1,0]
	buffer_load_dword v2, off, s[0:3], s32 offset:180 ; 4-byte Folded Reload
	buffer_load_dword v1, off, s[0:3], s32 offset:188 ; 4-byte Folded Reload
	;; [unrolled: 8-line block ×4, first 2 shown]
	s_waitcnt vmcnt(0)
	v_or_b32_e32 v1, v2, v1
	v_fma_mixlo_f16 v47, v0, v1, 0 op_sel_hi:[0,1,0]
	buffer_load_dword v10, off, s[0:3], s32 offset:140 ; 4-byte Folded Reload
	buffer_load_dword v1, off, s[0:3], s32 offset:144 ; 4-byte Folded Reload
	v_fma_mixlo_f16 v2, v0, v2, 0 op_sel:[0,1,0] op_sel_hi:[0,1,0]
	v_and_b32_e32 v2, 0xffff, v2
	s_waitcnt vmcnt(1)
	v_fma_mixlo_f16 v43, v0, v10, 0 op_sel:[0,1,0] op_sel_hi:[0,1,0]
	s_waitcnt vmcnt(0)
	v_or_b32_e32 v1, v10, v1
	v_fma_mixlo_f16 v29, v0, v1, 0 op_sel_hi:[0,1,0]
	buffer_load_dword v10, off, s[0:3], s32 offset:148 ; 4-byte Folded Reload
	buffer_load_dword v1, off, s[0:3], s32 offset:152 ; 4-byte Folded Reload
	s_waitcnt vmcnt(1)
	v_fma_mixlo_f16 v38, v0, v10, 0 op_sel:[0,1,0] op_sel_hi:[0,1,0]
	s_waitcnt vmcnt(0)
	v_or_b32_e32 v1, v10, v1
	v_fma_mixlo_f16 v53, v0, v1, 0 op_sel_hi:[0,1,0]
	buffer_load_dword v10, off, s[0:3], s32 offset:124 ; 4-byte Folded Reload
	buffer_load_dword v1, off, s[0:3], s32 offset:128 ; 4-byte Folded Reload
	s_waitcnt vmcnt(0)
	v_or_b32_e32 v1, v10, v1
	v_fma_mixlo_f16 v12, v0, v1, 0 op_sel_hi:[0,1,0]
	buffer_load_dword v15, off, s[0:3], s32 offset:132 ; 4-byte Folded Reload
	buffer_load_dword v1, off, s[0:3], s32 offset:136 ; 4-byte Folded Reload
	v_fma_mixlo_f16 v10, v0, v10, 0 op_sel:[0,1,0] op_sel_hi:[0,1,0]
	v_and_b32_e32 v12, 0xffff, v12
	v_and_b32_e32 v10, 0xffff, v10
	s_waitcnt vmcnt(0)
	v_or_b32_e32 v1, v15, v1
	v_fma_mixlo_f16 v18, v0, v1, 0 op_sel_hi:[0,1,0]
	v_or_b32_e32 v1, v42, v57
	v_fma_mixlo_f16 v19, v0, v1, 0 op_sel_hi:[0,1,0]
	buffer_load_dword v1, off, s[0:3], s32 offset:120 ; 4-byte Folded Reload
	v_fma_mixlo_f16 v15, v0, v15, 0 op_sel:[0,1,0] op_sel_hi:[0,1,0]
	v_fma_mixlo_f16 v57, v0, v42, 0 op_sel:[0,1,0] op_sel_hi:[0,1,0]
	;; [unrolled: 1-line block ×3, first 2 shown]
	v_and_b32_e32 v15, 0xffff, v15
	s_waitcnt vmcnt(0)
	v_or_b32_e32 v1, v13, v1
	v_fma_mixlo_f16 v26, v0, v1, 0 op_sel_hi:[0,1,0]
	v_or_b32_e32 v1, v27, v40
	v_fma_mixlo_f16 v1, v0, v1, 0 op_sel_hi:[0,1,0]
	buffer_store_dword v1, off, s[0:3], s32 offset:128 ; 4-byte Folded Spill
	v_or_b32_e32 v1, v14, v34
	v_fma_mixlo_f16 v1, v0, v1, 0 op_sel_hi:[0,1,0]
	v_fma_mixlo_f16 v13, v0, v27, 0 op_sel:[0,1,0] op_sel_hi:[0,1,0]
	buffer_store_dword v1, off, s[0:3], s32 offset:120 ; 4-byte Folded Spill
	v_fma_mixlo_f16 v40, v0, v14, 0 op_sel:[0,1,0] op_sel_hi:[0,1,0]
	ds_read_b64 v[0:1], v55
	buffer_store_dword v13, off, s[0:3], s32 offset:124 ; 4-byte Folded Spill
	s_waitcnt lgkmcnt(0)
	v_lshrrev_b32_e32 v13, 16, v0
	v_and_b32_e32 v0, 0xffff, v0
	;;#ASMSTART
	v_cvt_f32_f16 v27, v0;
	;;#ASMEND
	v_and_b32_e32 v0, 0xffff, v19
	;;#ASMSTART
	v_cvt_f32_f16 v14, v13;
	;;#ASMEND
	;;#ASMSTART
	v_cvt_f32_f16 v34, v0;
	;;#ASMEND
	v_and_b32_e32 v0, 0xffff, v57
	;;#ASMSTART
	v_cvt_f32_f16 v19, v0;
	;;#ASMEND
	v_lshrrev_b32_e32 v0, 16, v1
	v_and_b32_e32 v1, 0xffff, v1
	;;#ASMSTART
	v_cvt_f32_f16 v57, v1;
	;;#ASMEND
	;;#ASMSTART
	v_cvt_f32_f16 v13, v0;
	;;#ASMEND
	v_and_b32_e32 v0, 0xffff, v26
	;;#ASMSTART
	v_cvt_f32_f16 v26, v0;
	;;#ASMEND
	v_and_b32_e32 v0, 0xffff, v42
	;;#ASMSTART
	v_cvt_f32_f16 v42, v0;
	;;#ASMEND
	ds_read_b64 v[0:1], v55 offset:8
	s_waitcnt lgkmcnt(0)
	v_lshrrev_b32_e32 v20, 16, v0
	v_and_b32_e32 v0, 0xffff, v0
	;;#ASMSTART
	v_cvt_f32_f16 v0, v0;
	;;#ASMEND
	;;#ASMSTART
	v_cvt_f32_f16 v20, v20;
	;;#ASMEND
	;; [unrolled: 3-line block ×4, first 2 shown]
	v_mul_f32_e32 v10, v0, v12
	v_mul_f32_e32 v12, v20, v41
	v_fmac_f32_e32 v12, v14, v19
	v_lshrrev_b32_e32 v14, 16, v1
	v_and_b32_e32 v0, 0xffff, v1
	;;#ASMSTART
	v_cvt_f32_f16 v0, v0;
	;;#ASMEND
	;;#ASMSTART
	v_cvt_f32_f16 v1, v14;
	;;#ASMEND
	v_and_b32_e32 v14, 0xffff, v18
	;;#ASMSTART
	v_cvt_f32_f16 v14, v14;
	;;#ASMEND
	;;#ASMSTART
	v_cvt_f32_f16 v18, v15;
	;;#ASMEND
	v_mul_f32_e32 v15, v0, v14
	v_mul_f32_e32 v18, v1, v18
	ds_read_b64 v[0:1], v55 offset:16
	v_fmac_f32_e32 v18, v13, v42
	v_fmac_f32_e32 v10, v27, v34
	v_and_b32_e32 v14, 0xffff, v29
	v_and_b32_e32 v19, 0xffff, v43
	s_waitcnt lgkmcnt(0)
	v_lshrrev_b32_e32 v13, 16, v0
	v_and_b32_e32 v0, 0xffff, v0
	;;#ASMSTART
	v_cvt_f32_f16 v0, v0;
	;;#ASMEND
	;;#ASMSTART
	v_cvt_f32_f16 v13, v13;
	;;#ASMEND
	;; [unrolled: 3-line block ×4, first 2 shown]
	v_fmac_f32_e32 v10, v0, v14
	v_fmac_f32_e32 v12, v13, v19
	v_lshrrev_b32_e32 v13, 16, v1
	v_and_b32_e32 v0, 0xffff, v1
	v_fmac_f32_e32 v15, v57, v26
	;;#ASMSTART
	v_cvt_f32_f16 v0, v0;
	;;#ASMEND
	;;#ASMSTART
	v_cvt_f32_f16 v1, v13;
	;;#ASMEND
	v_and_b32_e32 v13, 0xffff, v53
	v_and_b32_e32 v14, 0xffff, v38
	;;#ASMSTART
	v_cvt_f32_f16 v13, v13;
	;;#ASMEND
	;;#ASMSTART
	v_cvt_f32_f16 v14, v14;
	;;#ASMEND
	v_fmac_f32_e32 v15, v0, v13
	v_fmac_f32_e32 v18, v1, v14
	ds_read_b64 v[0:1], v55 offset:24
	v_and_b32_e32 v14, 0xffff, v46
	v_and_b32_e32 v19, 0xffff, v22
	s_waitcnt lgkmcnt(0)
	v_lshrrev_b32_e32 v13, 16, v0
	v_and_b32_e32 v0, 0xffff, v0
	;;#ASMSTART
	v_cvt_f32_f16 v0, v0;
	;;#ASMEND
	;;#ASMSTART
	v_cvt_f32_f16 v13, v13;
	;;#ASMEND
	;;#ASMSTART
	v_cvt_f32_f16 v14, v14;
	;;#ASMEND
	;;#ASMSTART
	v_cvt_f32_f16 v19, v19;
	;;#ASMEND
	v_fmac_f32_e32 v10, v0, v14
	v_fmac_f32_e32 v12, v13, v19
	v_lshrrev_b32_e32 v13, 16, v1
	v_and_b32_e32 v0, 0xffff, v1
	;;#ASMSTART
	v_cvt_f32_f16 v0, v0;
	;;#ASMEND
	;;#ASMSTART
	v_cvt_f32_f16 v1, v13;
	;;#ASMEND
	v_and_b32_e32 v13, 0xffff, v47
	;;#ASMSTART
	v_cvt_f32_f16 v13, v13;
	;;#ASMEND
	;;#ASMSTART
	v_cvt_f32_f16 v2, v2;
	;;#ASMEND
	v_fmac_f32_e32 v15, v0, v13
	v_fmac_f32_e32 v18, v1, v2
	ds_read_b64 v[0:1], v55 offset:32
	v_and_b32_e32 v13, 0xffff, v39
	s_waitcnt lgkmcnt(0)
	v_lshrrev_b32_e32 v2, 16, v0
	v_and_b32_e32 v0, 0xffff, v0
	;;#ASMSTART
	v_cvt_f32_f16 v0, v0;
	;;#ASMEND
	;;#ASMSTART
	v_cvt_f32_f16 v2, v2;
	;;#ASMEND
	;;#ASMSTART
	v_cvt_f32_f16 v13, v13;
	;;#ASMEND
	;;#ASMSTART
	v_cvt_f32_f16 v11, v11;
	;;#ASMEND
	v_fmac_f32_e32 v10, v0, v13
	v_fmac_f32_e32 v12, v2, v11
	v_lshrrev_b32_e32 v2, 16, v1
	v_and_b32_e32 v0, 0xffff, v1
	;;#ASMSTART
	v_cvt_f32_f16 v0, v0;
	;;#ASMEND
	;;#ASMSTART
	v_cvt_f32_f16 v1, v2;
	;;#ASMEND
	v_and_b32_e32 v2, 0xffff, v63
	;;#ASMSTART
	v_cvt_f32_f16 v2, v2;
	;;#ASMEND
	;;#ASMSTART
	v_cvt_f32_f16 v9, v9;
	;;#ASMEND
	v_fmac_f32_e32 v15, v0, v2
	v_fmac_f32_e32 v18, v1, v9
	ds_read_b64 v[0:1], v55 offset:40
	;; [unrolled: 36-line block ×3, first 2 shown]
	v_and_b32_e32 v6, 0xffff, v59
	v_and_b32_e32 v8, 0xffff, v32
	s_waitcnt lgkmcnt(0)
	v_lshrrev_b32_e32 v2, 16, v0
	v_and_b32_e32 v0, 0xffff, v0
	;;#ASMSTART
	v_cvt_f32_f16 v0, v0;
	;;#ASMEND
	;;#ASMSTART
	v_cvt_f32_f16 v2, v2;
	;;#ASMEND
	;;#ASMSTART
	v_cvt_f32_f16 v6, v6;
	;;#ASMEND
	;;#ASMSTART
	v_cvt_f32_f16 v8, v8;
	;;#ASMEND
	v_fmac_f32_e32 v10, v0, v6
	v_fmac_f32_e32 v12, v2, v8
	v_lshrrev_b32_e32 v2, 16, v1
	v_and_b32_e32 v0, 0xffff, v1
	;;#ASMSTART
	v_cvt_f32_f16 v0, v0;
	;;#ASMEND
	;;#ASMSTART
	v_cvt_f32_f16 v1, v2;
	;;#ASMEND
	v_and_b32_e32 v2, 0xffff, v51
	v_and_b32_e32 v6, 0xffff, v49
	;;#ASMSTART
	v_cvt_f32_f16 v2, v2;
	;;#ASMEND
	;;#ASMSTART
	v_cvt_f32_f16 v6, v6;
	;;#ASMEND
	v_fmac_f32_e32 v15, v0, v2
	v_fmac_f32_e32 v18, v1, v6
	ds_read_b64 v[0:1], v55 offset:56
	s_waitcnt lgkmcnt(0)
	v_lshrrev_b32_e32 v2, 16, v0
	v_and_b32_e32 v0, 0xffff, v0
	;;#ASMSTART
	v_cvt_f32_f16 v0, v0;
	;;#ASMEND
	;;#ASMSTART
	v_cvt_f32_f16 v2, v2;
	;;#ASMEND
	;;#ASMSTART
	v_cvt_f32_f16 v3, v3;
	;;#ASMEND
	;;#ASMSTART
	v_cvt_f32_f16 v5, v5;
	;;#ASMEND
	v_fmac_f32_e32 v10, v0, v3
	v_fmac_f32_e32 v12, v2, v5
	v_lshrrev_b32_e32 v2, 16, v1
	v_and_b32_e32 v0, 0xffff, v1
	;;#ASMSTART
	v_cvt_f32_f16 v0, v0;
	;;#ASMEND
	;;#ASMSTART
	v_cvt_f32_f16 v1, v2;
	;;#ASMEND
	v_and_b32_e32 v2, 0xffff, v7
	v_and_b32_e32 v3, 0xffff, v21
	;;#ASMSTART
	v_cvt_f32_f16 v2, v2;
	;;#ASMEND
	;;#ASMSTART
	v_cvt_f32_f16 v3, v3;
	;;#ASMEND
	v_fmac_f32_e32 v15, v0, v2
	v_fmac_f32_e32 v18, v1, v3
	ds_read_b64 v[0:1], v55 offset:64
	v_and_b32_e32 v3, 0xffff, v62
	v_and_b32_e32 v5, 0xffff, v60
	s_waitcnt lgkmcnt(0)
	v_lshrrev_b32_e32 v2, 16, v0
	v_and_b32_e32 v0, 0xffff, v0
	;;#ASMSTART
	v_cvt_f32_f16 v0, v0;
	;;#ASMEND
	;;#ASMSTART
	v_cvt_f32_f16 v2, v2;
	;;#ASMEND
	;;#ASMSTART
	v_cvt_f32_f16 v3, v3;
	;;#ASMEND
	;;#ASMSTART
	v_cvt_f32_f16 v5, v5;
	;;#ASMEND
	v_fmac_f32_e32 v10, v0, v3
	v_fmac_f32_e32 v12, v2, v5
	v_lshrrev_b32_e32 v2, 16, v1
	v_and_b32_e32 v0, 0xffff, v1
	;;#ASMSTART
	v_cvt_f32_f16 v0, v0;
	;;#ASMEND
	;;#ASMSTART
	v_cvt_f32_f16 v1, v2;
	;;#ASMEND
	v_and_b32_e32 v2, 0xffff, v23
	v_and_b32_e32 v3, 0xffff, v48
	;;#ASMSTART
	v_cvt_f32_f16 v2, v2;
	;;#ASMEND
	;;#ASMSTART
	v_cvt_f32_f16 v3, v3;
	;;#ASMEND
	v_fmac_f32_e32 v15, v0, v2
	v_fmac_f32_e32 v18, v1, v3
	ds_read_b64 v[0:1], v55 offset:72
	v_and_b32_e32 v3, 0xffff, v24
	v_and_b32_e32 v5, 0xffff, v25
	;; [unrolled: 38-line block ×4, first 2 shown]
	s_waitcnt lgkmcnt(0)
	v_lshrrev_b32_e32 v2, 16, v0
	v_and_b32_e32 v0, 0xffff, v0
	;;#ASMSTART
	v_cvt_f32_f16 v0, v0;
	;;#ASMEND
	;;#ASMSTART
	v_cvt_f32_f16 v2, v2;
	;;#ASMEND
	;; [unrolled: 3-line block ×4, first 2 shown]
	v_fmac_f32_e32 v10, v0, v3
	v_fmac_f32_e32 v12, v2, v5
	v_lshrrev_b32_e32 v2, 16, v1
	v_and_b32_e32 v0, 0xffff, v1
	;;#ASMSTART
	v_cvt_f32_f16 v0, v0;
	;;#ASMEND
	;;#ASMSTART
	v_cvt_f32_f16 v1, v2;
	;;#ASMEND
	v_and_b32_e32 v2, 0xffff, v52
	v_and_b32_e32 v3, 0xffff, v45
	;;#ASMSTART
	v_cvt_f32_f16 v2, v2;
	;;#ASMEND
	;;#ASMSTART
	v_cvt_f32_f16 v3, v3;
	;;#ASMEND
	v_fmac_f32_e32 v15, v0, v2
	v_fmac_f32_e32 v18, v1, v3
	ds_read_b64 v[0:1], v55 offset:96
	v_and_b32_e32 v3, 0xffff, v58
	s_waitcnt lgkmcnt(0)
	v_lshrrev_b32_e32 v2, 16, v0
	v_and_b32_e32 v0, 0xffff, v0
	;;#ASMSTART
	v_cvt_f32_f16 v0, v0;
	;;#ASMEND
	;;#ASMSTART
	v_cvt_f32_f16 v2, v2;
	;;#ASMEND
	;; [unrolled: 3-line block ×3, first 2 shown]
	buffer_load_dword v5, off, s[0:3], s32 offset:328 ; 4-byte Folded Reload
	v_fmac_f32_e32 v10, v0, v3
	v_and_b32_e32 v0, 0xffff, v1
	s_waitcnt vmcnt(0)
	v_and_b32_e32 v5, 0xffff, v5
	;;#ASMSTART
	v_cvt_f32_f16 v5, v5;
	;;#ASMEND
	v_fmac_f32_e32 v12, v2, v5
	v_lshrrev_b32_e32 v2, 16, v1
	;;#ASMSTART
	v_cvt_f32_f16 v0, v0;
	;;#ASMEND
	;;#ASMSTART
	v_cvt_f32_f16 v1, v2;
	;;#ASMEND
	buffer_load_dword v2, off, s[0:3], s32 offset:308 ; 4-byte Folded Reload
	s_waitcnt vmcnt(0)
	v_and_b32_e32 v2, 0xffff, v2
	;;#ASMSTART
	v_cvt_f32_f16 v2, v2;
	;;#ASMEND
	buffer_load_dword v3, off, s[0:3], s32 offset:304 ; 4-byte Folded Reload
	v_fmac_f32_e32 v15, v0, v2
	s_waitcnt vmcnt(0)
	v_and_b32_e32 v3, 0xffff, v3
	;;#ASMSTART
	v_cvt_f32_f16 v3, v3;
	;;#ASMEND
	v_fmac_f32_e32 v18, v1, v3
	ds_read_b64 v[0:1], v55 offset:104
	s_waitcnt lgkmcnt(0)
	v_lshrrev_b32_e32 v2, 16, v0
	v_and_b32_e32 v0, 0xffff, v0
	;;#ASMSTART
	v_cvt_f32_f16 v0, v0;
	;;#ASMEND
	;;#ASMSTART
	v_cvt_f32_f16 v2, v2;
	;;#ASMEND
	buffer_load_dword v3, off, s[0:3], s32 offset:348 ; 4-byte Folded Reload
	s_waitcnt vmcnt(0)
	v_and_b32_e32 v3, 0xffff, v3
	;;#ASMSTART
	v_cvt_f32_f16 v3, v3;
	;;#ASMEND
	buffer_load_dword v5, off, s[0:3], s32 offset:344 ; 4-byte Folded Reload
	v_fmac_f32_e32 v10, v0, v3
	v_and_b32_e32 v0, 0xffff, v1
	s_waitcnt vmcnt(0)
	v_and_b32_e32 v5, 0xffff, v5
	;;#ASMSTART
	v_cvt_f32_f16 v5, v5;
	;;#ASMEND
	v_fmac_f32_e32 v12, v2, v5
	v_lshrrev_b32_e32 v2, 16, v1
	;;#ASMSTART
	v_cvt_f32_f16 v0, v0;
	;;#ASMEND
	;;#ASMSTART
	v_cvt_f32_f16 v1, v2;
	;;#ASMEND
	buffer_load_dword v2, off, s[0:3], s32 offset:324 ; 4-byte Folded Reload
	s_waitcnt vmcnt(0)
	v_and_b32_e32 v2, 0xffff, v2
	;;#ASMSTART
	v_cvt_f32_f16 v2, v2;
	;;#ASMEND
	buffer_load_dword v3, off, s[0:3], s32 offset:320 ; 4-byte Folded Reload
	v_fmac_f32_e32 v15, v0, v2
	s_waitcnt vmcnt(0)
	v_and_b32_e32 v3, 0xffff, v3
	;;#ASMSTART
	v_cvt_f32_f16 v3, v3;
	;;#ASMEND
	v_fmac_f32_e32 v18, v1, v3
	ds_read_b64 v[0:1], v55 offset:112
	s_waitcnt lgkmcnt(0)
	v_lshrrev_b32_e32 v2, 16, v0
	v_and_b32_e32 v0, 0xffff, v0
	;;#ASMSTART
	v_cvt_f32_f16 v0, v0;
	;;#ASMEND
	;;#ASMSTART
	v_cvt_f32_f16 v2, v2;
	;;#ASMEND
	buffer_load_dword v3, off, s[0:3], s32 offset:364 ; 4-byte Folded Reload
	s_waitcnt vmcnt(0)
	v_and_b32_e32 v3, 0xffff, v3
	;;#ASMSTART
	v_cvt_f32_f16 v3, v3;
	;;#ASMEND
	;; [unrolled: 46-line block ×6, first 2 shown]
	buffer_load_dword v5, off, s[0:3], s32 offset:612 ; 4-byte Folded Reload
	v_fmac_f32_e32 v10, v0, v3
	v_and_b32_e32 v0, 0xffff, v1
	s_waitcnt vmcnt(0)
	v_and_b32_e32 v5, 0xffff, v5
	;;#ASMSTART
	v_cvt_f32_f16 v5, v5;
	;;#ASMEND
	v_fmac_f32_e32 v12, v2, v5
	v_lshrrev_b32_e32 v2, 16, v1
	;;#ASMSTART
	v_cvt_f32_f16 v0, v0;
	;;#ASMEND
	;;#ASMSTART
	v_cvt_f32_f16 v1, v2;
	;;#ASMEND
	buffer_load_dword v2, off, s[0:3], s32 offset:404 ; 4-byte Folded Reload
	s_waitcnt vmcnt(0)
	v_and_b32_e32 v2, 0xffff, v2
	;;#ASMSTART
	v_cvt_f32_f16 v2, v2;
	;;#ASMEND
	buffer_load_dword v3, off, s[0:3], s32 offset:400 ; 4-byte Folded Reload
	v_fmac_f32_e32 v15, v0, v2
	s_waitcnt vmcnt(0)
	v_and_b32_e32 v3, 0xffff, v3
	;;#ASMSTART
	v_cvt_f32_f16 v3, v3;
	;;#ASMEND
	ds_read_b64 v[24:25], v55 offset:152
	v_fmac_f32_e32 v18, v1, v3
	s_waitcnt lgkmcnt(0)
	v_lshrrev_b32_e32 v1, 16, v24
	v_and_b32_e32 v0, 0xffff, v24
	;;#ASMSTART
	v_cvt_f32_f16 v0, v0;
	;;#ASMEND
	;;#ASMSTART
	v_cvt_f32_f16 v1, v1;
	;;#ASMEND
	buffer_load_dword v2, off, s[0:3], s32 offset:608 ; 4-byte Folded Reload
	s_waitcnt vmcnt(0)
	v_and_b32_e32 v2, 0xffff, v2
	;;#ASMSTART
	v_cvt_f32_f16 v3, v2;
	;;#ASMEND
	buffer_load_dword v2, off, s[0:3], s32 offset:604 ; 4-byte Folded Reload
	v_fmac_f32_e32 v10, v0, v3
	v_and_b32_e32 v0, 0xffff, v25
	s_waitcnt vmcnt(0)
	v_and_b32_e32 v2, 0xffff, v2
	;;#ASMSTART
	v_cvt_f32_f16 v2, v2;
	;;#ASMEND
	v_fmac_f32_e32 v12, v1, v2
	v_lshrrev_b32_e32 v1, 16, v25
	;;#ASMSTART
	v_cvt_f32_f16 v0, v0;
	;;#ASMEND
	;;#ASMSTART
	v_cvt_f32_f16 v1, v1;
	;;#ASMEND
	buffer_load_dword v2, off, s[0:3], s32 offset:412 ; 4-byte Folded Reload
	s_waitcnt vmcnt(0)
	v_and_b32_e32 v2, 0xffff, v2
	;;#ASMSTART
	v_cvt_f32_f16 v2, v2;
	;;#ASMEND
	buffer_load_dword v3, off, s[0:3], s32 offset:408 ; 4-byte Folded Reload
	v_fmac_f32_e32 v15, v0, v2
	s_waitcnt vmcnt(0)
	v_and_b32_e32 v3, 0xffff, v3
	;;#ASMSTART
	v_cvt_f32_f16 v3, v3;
	;;#ASMEND
	v_fmac_f32_e32 v18, v1, v3
	ds_read_b64 v[0:1], v55 offset:160
	s_waitcnt lgkmcnt(0)
	v_lshrrev_b32_e32 v2, 16, v0
	v_and_b32_e32 v0, 0xffff, v0
	;;#ASMSTART
	v_cvt_f32_f16 v0, v0;
	;;#ASMEND
	;;#ASMSTART
	v_cvt_f32_f16 v2, v2;
	;;#ASMEND
	buffer_load_dword v3, off, s[0:3], s32 offset:600 ; 4-byte Folded Reload
	s_waitcnt vmcnt(0)
	v_and_b32_e32 v3, 0xffff, v3
	;;#ASMSTART
	v_cvt_f32_f16 v3, v3;
	;;#ASMEND
	buffer_load_dword v5, off, s[0:3], s32 offset:596 ; 4-byte Folded Reload
	v_fmac_f32_e32 v10, v0, v3
	v_and_b32_e32 v0, 0xffff, v1
	s_waitcnt vmcnt(0)
	v_and_b32_e32 v5, 0xffff, v5
	;;#ASMSTART
	v_cvt_f32_f16 v5, v5;
	;;#ASMEND
	v_fmac_f32_e32 v12, v2, v5
	v_lshrrev_b32_e32 v2, 16, v1
	;;#ASMSTART
	v_cvt_f32_f16 v0, v0;
	;;#ASMEND
	;;#ASMSTART
	v_cvt_f32_f16 v1, v2;
	;;#ASMEND
	buffer_load_dword v2, off, s[0:3], s32 offset:420 ; 4-byte Folded Reload
	s_waitcnt vmcnt(0)
	v_and_b32_e32 v2, 0xffff, v2
	;;#ASMSTART
	v_cvt_f32_f16 v2, v2;
	;;#ASMEND
	buffer_load_dword v3, off, s[0:3], s32 offset:416 ; 4-byte Folded Reload
	v_fmac_f32_e32 v15, v0, v2
	s_waitcnt vmcnt(0)
	v_and_b32_e32 v3, 0xffff, v3
	;;#ASMSTART
	v_cvt_f32_f16 v3, v3;
	;;#ASMEND
	v_fmac_f32_e32 v18, v1, v3
	ds_read_b64 v[0:1], v55 offset:168
	;; [unrolled: 46-line block ×12, first 2 shown]
	s_waitcnt lgkmcnt(0)
	v_lshrrev_b32_e32 v2, 16, v0
	v_and_b32_e32 v0, 0xffff, v0
	;;#ASMSTART
	v_cvt_f32_f16 v0, v0;
	;;#ASMEND
	;;#ASMSTART
	v_cvt_f32_f16 v2, v2;
	;;#ASMEND
	buffer_load_dword v3, off, s[0:3], s32 offset:128 ; 4-byte Folded Reload
	s_waitcnt vmcnt(0)
	v_and_b32_e32 v3, 0xffff, v3
	;;#ASMSTART
	v_cvt_f32_f16 v3, v3;
	;;#ASMEND
	buffer_load_dword v5, off, s[0:3], s32 offset:124 ; 4-byte Folded Reload
	v_fmac_f32_e32 v10, v0, v3
	v_and_b32_e32 v0, 0xffff, v1
	v_and_b32_e32 v3, 0xffff, v40
	s_waitcnt vmcnt(0)
	v_and_b32_e32 v5, 0xffff, v5
	;;#ASMSTART
	v_cvt_f32_f16 v5, v5;
	;;#ASMEND
	v_fmac_f32_e32 v12, v2, v5
	v_lshrrev_b32_e32 v2, 16, v1
	;;#ASMSTART
	v_cvt_f32_f16 v0, v0;
	;;#ASMEND
	;;#ASMSTART
	v_cvt_f32_f16 v1, v2;
	;;#ASMEND
	buffer_load_dword v2, off, s[0:3], s32 offset:120 ; 4-byte Folded Reload
	s_waitcnt vmcnt(0)
	v_and_b32_e32 v2, 0xffff, v2
	;;#ASMSTART
	v_cvt_f32_f16 v2, v2;
	;;#ASMEND
	;;#ASMSTART
	v_cvt_f32_f16 v3, v3;
	;;#ASMEND
	v_fmac_f32_e32 v18, v1, v3
	buffer_load_dword v3, off, s[0:3], s32 offset:652 ; 4-byte Folded Reload
	v_fmac_f32_e32 v15, v0, v2
	v_add_f32_e32 v0, v10, v12
	v_add_f32_e32 v0, v0, v15
	;; [unrolled: 1-line block ×3, first 2 shown]
	s_waitcnt vmcnt(0)
	v_and_b32_e32 v2, 64, v3
	v_xor_b32_e32 v1, 1, v3
	v_add_u32_e32 v2, 64, v2
	v_cmp_lt_i32_e32 vcc, v1, v2
	v_cndmask_b32_e32 v1, v3, v1, vcc
	v_lshlrev_b32_e32 v1, 2, v1
	ds_bpermute_b32 v1, v1, v0
	s_and_saveexec_b64 s[28:29], s[8:9]
	s_cbranch_execz .LBB262_10
; %bb.786:                              ;   in Loop: Header=BB262_12 Depth=1
	buffer_load_dword v2, off, s[0:3], s32 offset:668 ; 4-byte Folded Reload
	buffer_load_dword v5, off, s[0:3], s32 offset:656 ; 4-byte Folded Reload
	s_waitcnt lgkmcnt(0)
	v_add_f32_e32 v0, v0, v1
	buffer_load_dword v1, off, s[0:3], s32 offset:660 ; 4-byte Folded Reload
	buffer_load_dword v3, off, s[0:3], s32 offset:664 ; 4-byte Folded Reload
	s_load_dword s40, s[24:25], 0x0
	s_waitcnt vmcnt(3)
	v_add_u32_e32 v2, v2, v56
	v_cvt_f32_i32_e32 v2, v2
	s_waitcnt vmcnt(2)
	v_mul_f32_e32 v2, v5, v2
	buffer_load_dword v5, off, s[0:3], s32 offset:88 ; 4-byte Folded Reload
	v_cndmask_b32_e64 v2, 0, v2, s[10:11]
	s_waitcnt vmcnt(2)
	v_fmac_f32_e32 v2, v1, v0
	buffer_load_dword v1, off, s[0:3], s32 offset:640 ; 4-byte Folded Reload
	s_waitcnt vmcnt(2)
	v_add_u32_e32 v3, v3, v56
	v_cmp_lt_i32_e32 vcc, v3, v30
	v_cndmask_b32_e32 v0, 0, v2, vcc
	s_waitcnt vmcnt(1) lgkmcnt(0)
	v_add_u32_e32 v5, s40, v5
	ds_write_b32 v5, v0
	s_waitcnt vmcnt(0)
	v_max_f32_e32 v0, v1, v1
	v_max_f32_e32 v0, v0, v2
	v_cndmask_b32_e32 v1, v1, v0, vcc
	buffer_store_dword v1, off, s[0:3], s32 offset:640 ; 4-byte Folded Spill
	s_branch .LBB262_10
.LBB262_787:
	s_or_b64 exec, exec, s[26:27]
	buffer_load_dword v55, off, s[0:3], s32 offset:688 ; 4-byte Folded Reload
	buffer_load_dword v26, off, s[0:3], s32 offset:692 ; 4-byte Folded Reload
	;; [unrolled: 1-line block ×12, first 2 shown]
	v_mbcnt_lo_u32_b32 v3, -1, 0
.LBB262_788:
	s_or_b64 exec, exec, s[22:23]
	v_mbcnt_hi_u32_b32 v0, -1, v3
	s_waitcnt lgkmcnt(0)
	v_and_b32_e32 v1, 64, v0
	v_add_u32_e32 v8, 64, v1
	v_xor_b32_e32 v2, 32, v0
	v_cmp_lt_i32_e32 vcc, v2, v8
	v_cndmask_b32_e32 v2, v0, v2, vcc
	v_lshlrev_b32_e32 v2, 2, v2
	s_waitcnt vmcnt(0)
	ds_bpermute_b32 v3, v2, v9
	v_xor_b32_e32 v5, 16, v0
	v_max_f32_e32 v4, v9, v9
	v_cmp_lt_i32_e32 vcc, v5, v8
	v_xor_b32_e32 v6, 8, v0
	s_waitcnt lgkmcnt(0)
	v_max_f32_e32 v3, v3, v3
	v_max_f32_e32 v4, v4, v3
	v_cndmask_b32_e32 v3, v0, v5, vcc
	v_lshlrev_b32_e32 v3, 2, v3
	ds_bpermute_b32 v5, v3, v4
	v_cmp_lt_i32_e32 vcc, v6, v8
	v_xor_b32_e32 v7, 4, v0
	v_xor_b32_e32 v9, 2, v0
	s_lshr_b32 s19, s19, 16
	s_waitcnt lgkmcnt(0)
	v_max_f32_e32 v5, v5, v5
	v_max_f32_e32 v5, v4, v5
	v_cndmask_b32_e32 v4, v0, v6, vcc
	v_lshlrev_b32_e32 v4, 2, v4
	ds_bpermute_b32 v6, v4, v5
	v_cmp_lt_i32_e32 vcc, v7, v8
	s_waitcnt lgkmcnt(0)
	v_max_f32_e32 v6, v6, v6
	v_max_f32_e32 v6, v5, v6
	v_cndmask_b32_e32 v5, v0, v7, vcc
	v_lshlrev_b32_e32 v5, 2, v5
	ds_bpermute_b32 v7, v5, v6
	v_cmp_lt_i32_e32 vcc, v9, v8
	s_waitcnt lgkmcnt(0)
	v_max_f32_e32 v7, v7, v7
	v_max_f32_e32 v7, v6, v7
	v_cndmask_b32_e32 v6, v0, v9, vcc
	v_lshlrev_b32_e32 v21, 2, v6
	buffer_load_dword v6, off, s[0:3], s32 offset:628 ; 4-byte Folded Reload
	ds_bpermute_b32 v9, v21, v7
	s_waitcnt vmcnt(0)
	v_and_b32_e32 v24, 63, v6
	v_cmp_eq_u32_e32 vcc, 0, v24
	v_lshlrev_b32_e32 v6, 2, v55
	s_and_saveexec_b64 s[8:9], vcc
	s_cbranch_execz .LBB262_790
; %bb.789:
	s_waitcnt lgkmcnt(0)
	v_max_f32_e32 v9, v9, v9
	v_max_f32_e32 v7, v7, v7
	;; [unrolled: 1-line block ×3, first 2 shown]
	ds_write_b32 v6, v7 offset:512
.LBB262_790:
	s_or_b64 exec, exec, s[8:9]
	v_cmp_gt_u32_e64 s[8:9], 2, v24
	s_waitcnt lgkmcnt(0)
	v_mov_b32_e32 v9, 0xff7fffff
	v_lshlrev_b32_e32 v7, 2, v24
	s_barrier
	s_and_saveexec_b64 s[10:11], s[8:9]
; %bb.791:
	ds_read_b32 v9, v7 offset:512
; %bb.792:
	s_or_b64 exec, exec, s[10:11]
	v_xor_b32_e32 v10, 1, v0
	v_cmp_lt_i32_e64 s[10:11], v10, v8
	v_cndmask_b32_e64 v8, v0, v10, s[10:11]
	v_lshlrev_b32_e32 v23, 2, v8
	s_waitcnt lgkmcnt(0)
	ds_bpermute_b32 v8, v23, v9
	v_max_f32_e32 v9, v9, v9
	v_lshlrev_b32_e32 v1, 2, v1
	s_waitcnt lgkmcnt(0)
	v_max_f32_e32 v8, v8, v8
	v_max_f32_e32 v8, v9, v8
	ds_bpermute_b32 v8, v1, v8
	buffer_load_dword v1, off, s[0:3], s32 offset:80 ; 4-byte Folded Reload
	buffer_load_dword v9, off, s[0:3], s32 offset:628 ; 4-byte Folded Reload
	s_waitcnt vmcnt(1)
	v_lshlrev_b32_e32 v1, 5, v1
	v_min_i32_e32 v1, v1, v30
	s_waitcnt vmcnt(0)
	v_cmp_lt_i32_e64 s[10:11], v9, v1
	v_mov_b32_e32 v9, 0
	s_and_saveexec_b64 s[22:23], s[10:11]
	s_cbranch_execz .LBB262_796
; %bb.793:
	buffer_load_dword v11, off, s[0:3], s32 offset:628 ; 4-byte Folded Reload
	s_ashr_i32 s21, s20, 31
	s_lshl_b64 s[12:13], s[20:21], 2
	s_getpc_b64 s[24:25]
	s_add_u32 s24, s24, llvm.amdgcn.dynlds.offset.table@rel32@lo+4
	s_addc_u32 s25, s25, llvm.amdgcn.dynlds.offset.table@rel32@hi+12
	s_add_u32 s12, s24, s12
	s_addc_u32 s13, s25, s13
	s_load_dword s12, s[12:13], 0x0
	v_mov_b32_e32 v9, 0
	s_mov_b64 s[24:25], 0
	s_waitcnt vmcnt(0) lgkmcnt(0)
	v_lshl_add_u32 v10, v11, 2, s12
.LBB262_794:                            ; =>This Inner Loop Header: Depth=1
	ds_read_b32 v12, v10
	v_add_u32_e32 v11, 0x80, v11
	v_cmp_ge_i32_e64 s[12:13], v11, v1
	s_or_b64 s[24:25], s[12:13], s[24:25]
	s_waitcnt lgkmcnt(0)
	v_sub_f32_e32 v12, v12, v8
	v_mul_f32_e32 v12, 0x3fb8aa3b, v12
	v_exp_f32_e32 v12, v12
	ds_write_b32 v10, v12
	v_add_f32_e32 v9, v9, v12
	v_add_u32_e32 v10, 0x200, v10
	s_andn2_b64 exec, exec, s[24:25]
	s_cbranch_execnz .LBB262_794
; %bb.795:
	s_or_b64 exec, exec, s[24:25]
.LBB262_796:
	s_or_b64 exec, exec, s[22:23]
	ds_bpermute_b32 v2, v2, v9
	s_waitcnt lgkmcnt(0)
	v_add_f32_e32 v2, v9, v2
	ds_bpermute_b32 v3, v3, v2
	s_waitcnt lgkmcnt(0)
	v_add_f32_e32 v2, v2, v3
	;; [unrolled: 3-line block ×6, first 2 shown]
	s_and_saveexec_b64 s[12:13], vcc
; %bb.797:
	ds_write_b32 v6, v2 offset:520
; %bb.798:
	s_or_b64 exec, exec, s[12:13]
	s_waitcnt lgkmcnt(0)
	s_barrier
	s_and_saveexec_b64 s[12:13], s[8:9]
; %bb.799:
	ds_read_b32 v2, v7 offset:520
; %bb.800:
	s_or_b64 exec, exec, s[12:13]
	s_waitcnt lgkmcnt(0)
	ds_bpermute_b32 v3, v23, v2
	v_lshlrev_b32_e32 v0, 2, v0
	v_and_b32_e32 v0, 0x100, v0
	s_waitcnt lgkmcnt(0)
	v_add_f32_e32 v2, v2, v3
	ds_bpermute_b32 v0, v0, v2
	s_and_saveexec_b64 s[8:9], s[10:11]
	s_cbranch_execz .LBB262_803
; %bb.801:
	s_waitcnt lgkmcnt(0)
	v_add_f32_e32 v2, 0x358637bd, v0
	v_div_scale_f32 v0, s[10:11], v2, v2, 1.0
	v_div_scale_f32 v3, vcc, 1.0, v2, 1.0
	s_ashr_i32 s21, s20, 31
	s_getpc_b64 s[10:11]
	s_add_u32 s10, s10, llvm.amdgcn.dynlds.offset.table@rel32@lo+4
	s_addc_u32 s11, s11, llvm.amdgcn.dynlds.offset.table@rel32@hi+12
	s_lshl_b64 s[12:13], s[20:21], 2
	s_add_u32 s10, s10, s12
	s_addc_u32 s11, s11, s13
	s_load_dword s12, s[10:11], 0x0
	s_mov_b64 s[10:11], 0
	v_rcp_f32_e32 v4, v0
	v_fma_f32 v5, -v0, v4, 1.0
	v_fmac_f32_e32 v4, v5, v4
	v_mul_f32_e32 v5, v3, v4
	v_fma_f32 v6, -v0, v5, v3
	v_fmac_f32_e32 v5, v6, v4
	v_fma_f32 v0, -v0, v5, v3
	v_div_fmas_f32 v3, v0, v4, v5
	buffer_load_dword v4, off, s[0:3], s32 offset:628 ; 4-byte Folded Reload
	v_div_fixup_f32 v2, v3, v2, 1.0
	s_waitcnt vmcnt(0) lgkmcnt(0)
	v_lshl_add_u32 v0, v4, 2, s12
	v_mov_b32_e32 v3, v4
.LBB262_802:                            ; =>This Inner Loop Header: Depth=1
	ds_read_b32 v4, v0
	v_add_u32_e32 v3, 0x80, v3
	v_cmp_ge_i32_e32 vcc, v3, v1
	s_or_b64 s[10:11], vcc, s[10:11]
	s_waitcnt lgkmcnt(0)
	v_mul_f32_e32 v4, v2, v4
	ds_write_b32 v0, v4
	v_add_u32_e32 v0, 0x200, v0
	s_andn2_b64 exec, exec, s[10:11]
	s_cbranch_execnz .LBB262_802
.LBB262_803:
	s_or_b64 exec, exec, s[8:9]
	s_waitcnt lgkmcnt(0)
	s_barrier
	s_and_saveexec_b64 s[8:9], s[6:7]
	s_xor_b64 s[6:7], exec, s[8:9]
	s_cbranch_execz .LBB262_805
; %bb.804:
                                        ; implicit-def: $vgpr0
                                        ; kill: killed $vgpr0
	s_ashr_i32 s21, s20, 31
                                        ; implicit-def: $vgpr0
                                        ; kill: killed $vgpr0
                                        ; implicit-def: $vgpr30
                                        ; implicit-def: $vgpr55
                                        ; implicit-def: $vgpr29
                                        ; implicit-def: $vgpr18
                                        ; implicit-def: $vgpr26
                                        ; implicit-def: $vgpr16
                                        ; implicit-def: $vgpr17
                                        ; implicit-def: $vgpr19
                                        ; implicit-def: $vgpr13
                                        ; implicit-def: $vgpr14_vgpr15
                                        ; implicit-def: $vgpr20
                                        ; implicit-def: $vgpr0
	buffer_store_dword v0, off, s[0:3], s32 offset:92 ; 4-byte Folded Spill
	s_nop 0
	buffer_store_dword v1, off, s[0:3], s32 offset:96 ; 4-byte Folded Spill
                                        ; implicit-def: $vgpr0
                                        ; kill: killed $vgpr0
                                        ; implicit-def: $vgpr0
                                        ; kill: killed $vgpr0
	;; [unrolled: 2-line block ×5, first 2 shown]
                                        ; implicit-def: $vgpr0_vgpr1
                                        ; kill: killed $vgpr0_vgpr1
                                        ; implicit-def: $vgpr0
                                        ; kill: killed $vgpr0
                                        ; implicit-def: $vgpr0
                                        ; kill: killed $vgpr0
.LBB262_805:
	s_or_saveexec_b64 s[8:9], s[6:7]
	buffer_load_dword v0, off, s[0:3], s32 offset:628 ; 4-byte Folded Reload
	v_mov_b32_e32 v3, s20
	v_mov_b32_e32 v5, 0
	;; [unrolled: 1-line block ×18, first 2 shown]
	s_waitcnt vmcnt(0)
	v_and_b32_e32 v25, 3, v0
	s_xor_b64 exec, exec, s[8:9]
	s_cbranch_execz .LBB262_1611
; %bb.806:
	v_max_i32_e32 v26, v26, v19
	v_cvt_f32_u32_e32 v0, v26
	v_and_b32_e32 v1, 24, v20
	buffer_store_dword v23, off, s[0:3], s32 offset:204 ; 4-byte Folded Spill
	buffer_store_dword v21, off, s[0:3], s32 offset:200 ; 4-byte Folded Spill
	;; [unrolled: 1-line block ×4, first 2 shown]
	v_rcp_iflag_f32_e32 v0, v0
	v_add_co_u32_e32 v1, vcc, v29, v16
	v_addc_co_u32_e32 v2, vcc, v18, v17, vcc
	v_mul_f32_e32 v0, 0x4f7ffffe, v0
	v_cvt_u32_f32_e32 v0, v0
	buffer_store_dword v1, off, s[0:3], s32 offset:180 ; 4-byte Folded Spill
	s_nop 0
	buffer_store_dword v2, off, s[0:3], s32 offset:184 ; 4-byte Folded Spill
	v_and_b32_e32 v1, 0x1f8, v20
	buffer_store_dword v1, off, s[0:3], s32 offset:188 ; 4-byte Folded Spill
	v_sub_u32_e32 v1, 0, v26
	v_mul_lo_u32 v1, v1, v0
	v_or_b32_e32 v2, 0x1e00, v20
	buffer_store_dword v2, off, s[0:3], s32 offset:192 ; 4-byte Folded Spill
	s_ashr_i32 s21, s20, 31
	v_mul_hi_u32 v1, v0, v1
	s_getpc_b64 s[6:7]
	s_add_u32 s6, s6, llvm.amdgcn.dynlds.offset.table@rel32@lo+4
	s_addc_u32 s7, s7, llvm.amdgcn.dynlds.offset.table@rel32@hi+12
	s_lshl_b64 s[12:13], s[20:21], 2
	s_mov_b32 s10, -1
	v_add_u32_e32 v0, v0, v1
	buffer_store_dword v0, off, s[0:3], s32 offset:148 ; 4-byte Folded Spill
	buffer_store_dword v25, off, s[0:3], s32 offset:208 ; 4-byte Folded Spill
	buffer_load_dword v2, off, s[0:3], s32 offset:676 ; 4-byte Folded Reload
	v_lshlrev_b32_e32 v0, 5, v25
	v_lshl_or_b32 v44, v55, 7, v0
	v_and_b32_e32 v0, 60, v13
	v_add_co_u32_e32 v0, vcc, v0, v14
	v_addc_co_u32_e32 v1, vcc, 0, v15, vcc
	s_add_u32 s12, s6, s12
	s_mov_b32 s11, 0xffffff
	v_mov_b32_e32 v6, 0
	s_addc_u32 s13, s7, s13
	s_mov_b64 s[22:23], 0
	s_movk_i32 s42, 0x80
	s_movk_i32 s43, 0x7f
	s_mov_b32 s44, 0x8000
	v_mov_b32_e32 v45, 0x2000
	v_mov_b32_e32 v42, 0
	;; [unrolled: 1-line block ×6, first 2 shown]
	buffer_load_dword v41, off, s[0:3], s32 offset:84 ; 4-byte Folded Reload
	s_waitcnt vmcnt(1)
	v_add_co_u32_e32 v7, vcc, v2, v0
	buffer_load_dword v0, off, s[0:3], s32 offset:672 ; 4-byte Folded Reload
	s_waitcnt vmcnt(0)
	v_addc_co_u32_e32 v8, vcc, v0, v1, vcc
	v_mov_b32_e32 v0, 0
	buffer_store_dword v0, off, s[0:3], s32 offset:72 ; 4-byte Folded Spill
	v_mov_b32_e32 v0, 0
	buffer_store_dword v0, off, s[0:3], s32 offset:76 ; 4-byte Folded Spill
	;; [unrolled: 2-line block ×11, first 2 shown]
	s_branch .LBB262_809
.LBB262_807:                            ;   in Loop: Header=BB262_809 Depth=1
	s_or_b64 exec, exec, s[26:27]
	v_add_f32_e32 v1, v11, v12
	buffer_load_dword v11, off, s[0:3], s32 offset:72 ; 4-byte Folded Reload
	buffer_load_dword v12, off, s[0:3], s32 offset:152 ; 4-byte Folded Reload
	v_add_f32_e32 v40, v40, v1
	v_add_f32_e32 v1, v13, v14
	;; [unrolled: 1-line block ×5, first 2 shown]
	s_waitcnt vmcnt(1)
	v_add_f32_e32 v11, v11, v1
	buffer_store_dword v11, off, s[0:3], s32 offset:72 ; 4-byte Folded Spill
	buffer_load_dword v11, off, s[0:3], s32 offset:76 ; 4-byte Folded Reload
	v_add_f32_e32 v1, v24, v25
	s_waitcnt vmcnt(0)
	v_add_f32_e32 v11, v11, v1
	buffer_store_dword v11, off, s[0:3], s32 offset:76 ; 4-byte Folded Spill
	buffer_load_dword v11, off, s[0:3], s32 offset:88 ; 4-byte Folded Reload
	v_add_f32_e32 v1, v17, v21
	v_add_f32_e32 v12, v12, v1
	;; [unrolled: 1-line block ×3, first 2 shown]
	s_waitcnt vmcnt(0)
	v_add_f32_e32 v11, v11, v1
	buffer_store_dword v11, off, s[0:3], s32 offset:88 ; 4-byte Folded Spill
	buffer_load_dword v11, off, s[0:3], s32 offset:116 ; 4-byte Folded Reload
	v_add_f32_e32 v1, v15, v41
	s_waitcnt vmcnt(0)
	v_add_f32_e32 v11, v11, v1
	buffer_store_dword v11, off, s[0:3], s32 offset:116 ; 4-byte Folded Spill
	buffer_load_dword v11, off, s[0:3], s32 offset:156 ; 4-byte Folded Reload
	s_nop 0
	buffer_load_dword v1, off, s[0:3], s32 offset:120 ; 4-byte Folded Reload
	s_waitcnt vmcnt(1)
	v_add_f32_e32 v11, v11, v0
	v_add_f32_e32 v0, v35, v34
	s_waitcnt vmcnt(0)
	v_add_f32_e32 v1, v1, v0
	buffer_store_dword v1, off, s[0:3], s32 offset:120 ; 4-byte Folded Spill
	buffer_load_dword v1, off, s[0:3], s32 offset:124 ; 4-byte Folded Reload
	v_add_f32_e32 v0, v19, v32
	s_waitcnt vmcnt(0)
	v_add_f32_e32 v1, v1, v0
	buffer_store_dword v1, off, s[0:3], s32 offset:124 ; 4-byte Folded Spill
	buffer_load_dword v1, off, s[0:3], s32 offset:128 ; 4-byte Folded Reload
	;; [unrolled: 5-line block ×5, first 2 shown]
	s_nop 0
	buffer_load_dword v1, off, s[0:3], s32 offset:172 ; 4-byte Folded Reload
	s_waitcnt vmcnt(0)
	v_add_f32_e32 v0, v0, v1
	buffer_load_dword v1, off, s[0:3], s32 offset:144 ; 4-byte Folded Reload
	s_waitcnt vmcnt(0)
	v_add_f32_e32 v1, v1, v0
	buffer_store_dword v1, off, s[0:3], s32 offset:144 ; 4-byte Folded Spill
	buffer_load_dword v0, off, s[0:3], s32 offset:160 ; 4-byte Folded Reload
	s_nop 0
	buffer_load_dword v1, off, s[0:3], s32 offset:164 ; 4-byte Folded Reload
	s_waitcnt vmcnt(0)
	v_add_f32_e32 v0, v0, v1
	buffer_load_dword v1, off, s[0:3], s32 offset:140 ; 4-byte Folded Reload
	s_waitcnt vmcnt(0)
	v_add_f32_e32 v1, v1, v0
	buffer_store_dword v1, off, s[0:3], s32 offset:140 ; 4-byte Folded Spill
	;;#ASMSTART
	v_pk_mul_f16 v0, v58, v9;

	;;#ASMEND
	;;#ASMSTART
	v_pk_mul_f16 v1, v57, v5;

	;;#ASMEND
	;; [unrolled: 4-line block ×4, first 2 shown]
	;;#ASMSTART
	v_pk_add_f16 v0, v0, v1;

	;;#ASMEND
	;;#ASMSTART
	v_pk_add_f16 v0, v0, v2;

	;;#ASMEND
	;; [unrolled: 4-line block ×3, first 2 shown]
	v_lshrrev_b32_e32 v1, 16, v0
	v_and_b32_e32 v0, 0xffff, v0
	;;#ASMSTART
	v_cvt_f32_f16 v0, v0;
	;;#ASMEND
	;;#ASMSTART
	v_cvt_f32_f16 v1, v1;
	;;#ASMEND
	v_add_f32_e32 v0, v0, v1
	v_add_f32_e32 v42, v42, v0
.LBB262_808:                            ;   in Loop: Header=BB262_809 Depth=1
	s_or_b64 exec, exec, s[24:25]
	buffer_load_dword v41, off, s[0:3], s32 offset:84 ; 4-byte Folded Reload
	buffer_load_dword v0, off, s[0:3], s32 offset:80 ; 4-byte Folded Reload
	v_add_u32_e32 v55, 2, v55
	v_add_u32_e32 v44, 0x100, v44
	s_waitcnt vmcnt(1)
	v_add_u32_e32 v41, 64, v41
	s_waitcnt vmcnt(0)
	v_cmp_ge_i32_e32 vcc, v55, v0
	s_or_b64 s[22:23], vcc, s[22:23]
	v_add_co_u32_e32 v7, vcc, 8, v7
	v_addc_co_u32_e32 v8, vcc, 0, v8, vcc
	s_andn2_b64 exec, exec, s[22:23]
	s_cbranch_execz .LBB262_1610
.LBB262_809:                            ; =>This Inner Loop Header: Depth=1
	buffer_load_dword v0, off, s[0:3], s32 offset:108 ; 4-byte Folded Reload
	buffer_load_dword v3, off, s[0:3], s32 offset:100 ; 4-byte Folded Reload
	v_mov_b32_e32 v4, v41
	buffer_store_dword v4, off, s[0:3], s32 offset:84 ; 4-byte Folded Spill
	s_waitcnt vmcnt(2)
	v_mul_hi_u32 v0, v41, v0
	s_waitcnt vmcnt(1)
	v_mul_lo_u32 v1, v0, v3
	v_add_u32_e32 v2, 1, v0
	v_sub_u32_e32 v1, v4, v1
	v_cmp_ge_u32_e32 vcc, v1, v3
	v_cndmask_b32_e32 v0, v0, v2, vcc
	v_sub_u32_e32 v2, v1, v3
	v_cndmask_b32_e32 v1, v1, v2, vcc
	v_cmp_ge_u32_e32 vcc, v1, v3
	buffer_load_dword v1, off, s[0:3], s32 offset:104 ; 4-byte Folded Reload
	v_add_u32_e32 v2, 1, v0
	v_cndmask_b32_e32 v0, v0, v2, vcc
	s_waitcnt vmcnt(0)
	v_xor_b32_e32 v0, v0, v1
	v_sub_u32_e32 v0, v0, v1
	buffer_load_dword v1, off, s[0:3], s32 offset:92 ; 4-byte Folded Reload
	buffer_load_dword v2, off, s[0:3], s32 offset:96 ; 4-byte Folded Reload
	;; [unrolled: 1-line block ×3, first 2 shown]
	s_waitcnt vmcnt(2)
	v_add_u32_e32 v1, v0, v1
	s_waitcnt vmcnt(1)
	v_sub_u32_e32 v2, 0, v1
	v_max_i32_e32 v2, v1, v2
	s_waitcnt vmcnt(0)
	v_mul_hi_u32 v3, v2, v3
	v_ashrrev_i32_e32 v1, 31, v1
	v_mul_lo_u32 v3, v3, v26
	v_sub_u32_e32 v2, v2, v3
	v_sub_u32_e32 v3, v2, v26
	v_cmp_ge_u32_e32 vcc, v2, v26
	v_cndmask_b32_e32 v2, v2, v3, vcc
	v_sub_u32_e32 v3, v2, v26
	v_cmp_ge_u32_e32 vcc, v2, v26
	v_cndmask_b32_e32 v2, v2, v3, vcc
	v_xor_b32_e32 v2, v2, v1
	v_sub_u32_e32 v1, v2, v1
	v_cmp_eq_u32_e32 vcc, 0, v1
	buffer_load_dword v1, off, s[0:3], s32 offset:112 ; 4-byte Folded Reload
	s_waitcnt vmcnt(0)
	v_cmp_gt_i32_e64 s[6:7], v0, v1
	s_or_b64 s[6:7], vcc, s[6:7]
	s_and_saveexec_b64 s[24:25], s[6:7]
	s_cbranch_execz .LBB262_808
; %bb.810:                              ;   in Loop: Header=BB262_809 Depth=1
	buffer_store_dword v11, off, s[0:3], s32 offset:156 ; 4-byte Folded Spill
	buffer_store_dword v12, off, s[0:3], s32 offset:152 ; 4-byte Folded Spill
	s_load_dword s6, s[12:13], 0x0
	flat_load_dword v5, v[7:8]
	s_waitcnt lgkmcnt(0)
	v_add_u32_e32 v0, s6, v44
	ds_read2_b64 v[1:4], v0 offset1:1
	ds_read2_b64 v[9:12], v0 offset0:2 offset1:3
	s_waitcnt lgkmcnt(0)
	;;#ASMSTART
	v_cvt_f16_f32 v0, v1;

	;;#ASMEND
	;;#ASMSTART
	v_cvt_f16_f32 v2, v2;

	;;#ASMEND
	;; [unrolled: 4-line block ×6, first 2 shown]
	buffer_load_dword v1, off, s[0:3], s32 offset:432 ; 4-byte Folded Reload
	buffer_load_dword v9, off, s[0:3], s32 offset:180 ; 4-byte Folded Reload
	;; [unrolled: 1-line block ×3, first 2 shown]
	;;#ASMSTART
	v_cvt_f16_f32 v17, v11;

	;;#ASMEND
	;;#ASMSTART
	v_cvt_f16_f32 v18, v12;

	;;#ASMEND
	s_waitcnt vmcnt(0)
	v_mad_i64_i32 v[9:10], s[6:7], v5, v1, v[9:10]
	buffer_load_dword v1, off, s[0:3], s32 offset:188 ; 4-byte Folded Reload
	s_waitcnt vmcnt(0)
	v_add_co_u32_e32 v11, vcc, v9, v1
	v_addc_co_u32_e32 v12, vcc, 0, v10, vcc
	flat_load_dwordx2 v[13:14], v[11:12]
	buffer_load_dword v19, off, s[0:3], s32 offset:64 ; 4-byte Folded Reload
	buffer_load_dword v20, off, s[0:3], s32 offset:68 ; 4-byte Folded Reload
	s_waitcnt vmcnt(0) lgkmcnt(0)
	v_cmp_ne_u16_sdwa s[26:27], v13, v6 src0_sel:BYTE_0 src1_sel:DWORD
	flat_load_dword v1, v[19:20]
	v_mov_b32_e32 v19, 0
	v_mov_b32_e32 v20, 0
	s_and_saveexec_b64 s[6:7], s[26:27]
	s_cbranch_execz .LBB262_816
; %bb.811:                              ;   in Loop: Header=BB262_809 Depth=1
	v_cmp_ne_u16_sdwa s[28:29], v13, s42 src0_sel:BYTE_0 src1_sel:DWORD
	v_mov_b32_e32 v20, 0x8000
	s_and_saveexec_b64 s[26:27], s[28:29]
	s_cbranch_execz .LBB262_815
; %bb.812:                              ;   in Loop: Header=BB262_809 Depth=1
	v_and_b32_e32 v5, 0x7f, v13
	v_cmp_ne_u32_e32 vcc, s43, v5
	v_mov_b32_e32 v20, 0x7c01
	s_and_saveexec_b64 s[28:29], vcc
	s_cbranch_execz .LBB262_814
; %bb.813:                              ;   in Loop: Header=BB262_809 Depth=1
	v_and_b32_e32 v22, 7, v13
	v_lshrrev_b32_e32 v23, 3, v5
	v_cmp_gt_u32_e32 vcc, 8, v5
	v_ffbh_u32_e32 v5, v22
	v_min_u32_e32 v5, 32, v5
	v_subrev_u32_e32 v20, 28, v5
	v_sub_u32_e32 v5, 29, v5
	v_lshlrev_b64 v[20:21], v20, v[13:14]
	v_cndmask_b32_e32 v5, v23, v5, vcc
	v_lshl_add_u32 v5, v5, 10, v45
	v_lshlrev_b32_e32 v21, 8, v13
	v_and_b32_e32 v20, 7, v20
	v_and_b32_e32 v5, 0xfc00, v5
	v_cndmask_b32_e32 v20, v22, v20, vcc
	v_and_or_b32 v5, v21, s44, v5
	v_lshl_or_b32 v20, v20, 7, v5
.LBB262_814:                            ;   in Loop: Header=BB262_809 Depth=1
	s_or_b64 exec, exec, s[28:29]
.LBB262_815:                            ;   in Loop: Header=BB262_809 Depth=1
	s_or_b64 exec, exec, s[26:27]
.LBB262_816:                            ;   in Loop: Header=BB262_809 Depth=1
	s_or_b64 exec, exec, s[6:7]
	v_lshrrev_b16_e32 v5, 8, v13
	v_cmp_ne_u16_e32 vcc, 0, v5
	s_and_saveexec_b64 s[6:7], vcc
	s_cbranch_execz .LBB262_822
; %bb.817:                              ;   in Loop: Header=BB262_809 Depth=1
	v_cmp_ne_u16_e32 vcc, s42, v5
	v_bfrev_b32_e32 v19, 1
	s_and_saveexec_b64 s[26:27], vcc
	s_cbranch_execz .LBB262_821
; %bb.818:                              ;   in Loop: Header=BB262_809 Depth=1
	v_and_b32_e32 v21, 0x7f, v5
	v_cmp_ne_u32_e32 vcc, s43, v21
	v_mov_b32_e32 v19, 0x7c010000
	s_and_saveexec_b64 s[28:29], vcc
	s_cbranch_execz .LBB262_820
; %bb.819:                              ;   in Loop: Header=BB262_809 Depth=1
	v_and_b32_e32 v19, 7, v5
	v_lshrrev_b32_e32 v23, 3, v21
	v_cmp_gt_u32_e32 vcc, 8, v21
	v_ffbh_u32_e32 v21, v19
	v_min_u32_e32 v24, 32, v21
	v_subrev_u32_e32 v21, 28, v24
	v_lshlrev_b64 v[21:22], v21, v[5:6]
	v_sub_u32_e32 v22, 29, v24
	v_cndmask_b32_e32 v22, v23, v22, vcc
	v_lshlrev_b32_e32 v5, 8, v5
	v_lshl_add_u32 v22, v22, 10, v45
	v_and_b32_e32 v21, 7, v21
	v_and_or_b32 v5, v5, s44, v22
	v_cndmask_b32_e32 v19, v19, v21, vcc
	v_lshlrev_b32_e32 v5, 16, v5
	v_lshl_or_b32 v19, v19, 23, v5
.LBB262_820:                            ;   in Loop: Header=BB262_809 Depth=1
	s_or_b64 exec, exec, s[28:29]
.LBB262_821:                            ;   in Loop: Header=BB262_809 Depth=1
	s_or_b64 exec, exec, s[26:27]
.LBB262_822:                            ;   in Loop: Header=BB262_809 Depth=1
	s_or_b64 exec, exec, s[6:7]
	v_lshrrev_b32_e32 v5, 16, v13
	v_cmp_ne_u16_sdwa s[26:27], v5, v6 src0_sel:BYTE_0 src1_sel:DWORD
	v_mov_b32_e32 v21, 0
	v_mov_b32_e32 v22, 0
	s_and_saveexec_b64 s[6:7], s[26:27]
	s_cbranch_execz .LBB262_828
; %bb.823:                              ;   in Loop: Header=BB262_809 Depth=1
	v_cmp_ne_u16_sdwa s[28:29], v5, s42 src0_sel:BYTE_0 src1_sel:DWORD
	v_mov_b32_e32 v22, 0x8000
	s_and_saveexec_b64 s[26:27], s[28:29]
	s_cbranch_execz .LBB262_827
; %bb.824:                              ;   in Loop: Header=BB262_809 Depth=1
	v_bfe_u32 v23, v13, 16, 7
	v_cmp_ne_u32_e32 vcc, s43, v23
	v_mov_b32_e32 v22, 0x7c01
	s_and_saveexec_b64 s[28:29], vcc
	s_cbranch_execz .LBB262_826
; %bb.825:                              ;   in Loop: Header=BB262_809 Depth=1
	v_and_b32_e32 v24, 7, v5
	v_ffbh_u32_e32 v22, v24
	v_min_u32_e32 v27, 32, v22
	v_subrev_u32_e32 v22, 28, v27
	v_lshrrev_b32_e32 v25, 3, v23
	v_cmp_gt_u32_e32 vcc, 8, v23
	v_lshlrev_b64 v[22:23], v22, v[5:6]
	v_sub_u32_e32 v23, 29, v27
	v_cndmask_b32_e32 v23, v25, v23, vcc
	v_lshl_add_u32 v23, v23, 10, v45
	v_lshlrev_b32_e32 v5, 8, v5
	v_and_b32_e32 v22, 7, v22
	v_and_b32_e32 v23, 0xfc00, v23
	v_cndmask_b32_e32 v22, v24, v22, vcc
	v_and_or_b32 v5, v5, s44, v23
	v_lshl_or_b32 v22, v22, 7, v5
.LBB262_826:                            ;   in Loop: Header=BB262_809 Depth=1
	s_or_b64 exec, exec, s[28:29]
.LBB262_827:                            ;   in Loop: Header=BB262_809 Depth=1
	s_or_b64 exec, exec, s[26:27]
.LBB262_828:                            ;   in Loop: Header=BB262_809 Depth=1
	s_or_b64 exec, exec, s[6:7]
	v_cmp_lt_u32_e32 vcc, s11, v13
	s_and_saveexec_b64 s[6:7], vcc
	s_cbranch_execz .LBB262_834
; %bb.829:                              ;   in Loop: Header=BB262_809 Depth=1
	v_lshrrev_b32_e32 v5, 24, v13
	v_cmp_ne_u32_e32 vcc, s42, v5
	v_bfrev_b32_e32 v21, 1
	s_and_saveexec_b64 s[26:27], vcc
	s_cbranch_execz .LBB262_833
; %bb.830:                              ;   in Loop: Header=BB262_809 Depth=1
	v_and_b32_e32 v23, 0x7f, v5
	v_cmp_ne_u32_e32 vcc, s43, v23
	v_mov_b32_e32 v21, 0x7c010000
	s_and_saveexec_b64 s[28:29], vcc
	s_cbranch_execz .LBB262_832
; %bb.831:                              ;   in Loop: Header=BB262_809 Depth=1
	v_and_b32_e32 v21, 7, v5
	v_lshrrev_b32_e32 v25, 3, v23
	v_cmp_gt_u32_e32 vcc, 8, v23
	v_ffbh_u32_e32 v23, v21
	v_min_u32_e32 v27, 32, v23
	v_subrev_u32_e32 v23, 28, v27
	v_lshlrev_b64 v[23:24], v23, v[5:6]
	v_sub_u32_e32 v24, 29, v27
	v_cndmask_b32_e32 v24, v25, v24, vcc
	v_lshlrev_b32_e32 v5, 8, v5
	v_lshl_add_u32 v24, v24, 10, v45
	v_and_b32_e32 v23, 7, v23
	v_and_or_b32 v5, v5, s44, v24
	v_cndmask_b32_e32 v21, v21, v23, vcc
	v_lshlrev_b32_e32 v5, 16, v5
	v_lshl_or_b32 v21, v21, 23, v5
.LBB262_832:                            ;   in Loop: Header=BB262_809 Depth=1
	s_or_b64 exec, exec, s[28:29]
.LBB262_833:                            ;   in Loop: Header=BB262_809 Depth=1
	s_or_b64 exec, exec, s[26:27]
.LBB262_834:                            ;   in Loop: Header=BB262_809 Depth=1
	s_or_b64 exec, exec, s[6:7]
	v_mov_b32_e32 v5, v14
	v_cmp_ne_u16_sdwa s[26:27], v14, v6 src0_sel:BYTE_0 src1_sel:DWORD
	v_mov_b32_e32 v23, 0
	v_mov_b32_e32 v24, 0
	s_and_saveexec_b64 s[6:7], s[26:27]
	s_cbranch_execz .LBB262_840
; %bb.835:                              ;   in Loop: Header=BB262_809 Depth=1
	v_cmp_ne_u16_sdwa s[28:29], v14, s42 src0_sel:BYTE_0 src1_sel:DWORD
	v_mov_b32_e32 v24, 0x8000
	s_and_saveexec_b64 s[26:27], s[28:29]
	s_cbranch_execz .LBB262_839
; %bb.836:                              ;   in Loop: Header=BB262_809 Depth=1
	v_and_b32_e32 v25, 0x7f, v14
	v_cmp_ne_u32_e32 vcc, s43, v25
	v_mov_b32_e32 v24, 0x7c01
	s_and_saveexec_b64 s[28:29], vcc
	s_cbranch_execz .LBB262_838
; %bb.837:                              ;   in Loop: Header=BB262_809 Depth=1
	v_and_b32_e32 v27, 7, v14
	v_ffbh_u32_e32 v24, v27
	v_min_u32_e32 v29, 32, v24
	v_subrev_u32_e32 v24, 28, v29
	v_lshrrev_b32_e32 v28, 3, v25
	v_cmp_gt_u32_e32 vcc, 8, v25
	v_lshlrev_b64 v[24:25], v24, v[5:6]
	v_sub_u32_e32 v25, 29, v29
	v_cndmask_b32_e32 v25, v28, v25, vcc
	v_lshl_add_u32 v25, v25, 10, v45
	v_lshlrev_b32_e32 v28, 8, v14
	v_and_b32_e32 v24, 7, v24
	v_and_b32_e32 v25, 0xfc00, v25
	v_cndmask_b32_e32 v24, v27, v24, vcc
	v_and_or_b32 v25, v28, s44, v25
	v_lshl_or_b32 v24, v24, 7, v25
.LBB262_838:                            ;   in Loop: Header=BB262_809 Depth=1
	s_or_b64 exec, exec, s[28:29]
.LBB262_839:                            ;   in Loop: Header=BB262_809 Depth=1
	s_or_b64 exec, exec, s[26:27]
.LBB262_840:                            ;   in Loop: Header=BB262_809 Depth=1
	s_or_b64 exec, exec, s[6:7]
	v_lshrrev_b16_e32 v5, 8, v5
	v_cmp_ne_u16_e32 vcc, 0, v5
	v_mov_b32_e32 v25, 0
	s_and_saveexec_b64 s[6:7], vcc
	s_cbranch_execz .LBB262_846
; %bb.841:                              ;   in Loop: Header=BB262_809 Depth=1
	v_cmp_ne_u16_e32 vcc, s42, v5
	v_bfrev_b32_e32 v25, 1
	s_and_saveexec_b64 s[26:27], vcc
	s_cbranch_execz .LBB262_845
; %bb.842:                              ;   in Loop: Header=BB262_809 Depth=1
	v_and_b32_e32 v27, 0x7f, v5
	v_cmp_ne_u32_e32 vcc, s43, v27
	v_mov_b32_e32 v25, 0x7c010000
	s_and_saveexec_b64 s[28:29], vcc
	s_cbranch_execz .LBB262_844
; %bb.843:                              ;   in Loop: Header=BB262_809 Depth=1
	v_and_b32_e32 v25, 7, v5
	v_lshrrev_b32_e32 v29, 3, v27
	v_cmp_gt_u32_e32 vcc, 8, v27
	v_ffbh_u32_e32 v27, v25
	v_min_u32_e32 v31, 32, v27
	v_subrev_u32_e32 v27, 28, v31
	v_lshlrev_b64 v[27:28], v27, v[5:6]
	v_sub_u32_e32 v28, 29, v31
	v_cndmask_b32_e32 v28, v29, v28, vcc
	v_lshlrev_b32_e32 v5, 8, v5
	v_lshl_add_u32 v28, v28, 10, v45
	v_and_b32_e32 v27, 7, v27
	v_and_or_b32 v5, v5, s44, v28
	v_cndmask_b32_e32 v25, v25, v27, vcc
	v_lshlrev_b32_e32 v5, 16, v5
	v_lshl_or_b32 v25, v25, 23, v5
.LBB262_844:                            ;   in Loop: Header=BB262_809 Depth=1
	s_or_b64 exec, exec, s[28:29]
.LBB262_845:                            ;   in Loop: Header=BB262_809 Depth=1
	s_or_b64 exec, exec, s[26:27]
.LBB262_846:                            ;   in Loop: Header=BB262_809 Depth=1
	s_or_b64 exec, exec, s[6:7]
	v_lshrrev_b32_e32 v5, 16, v14
	v_cmp_ne_u16_sdwa s[26:27], v5, v6 src0_sel:BYTE_0 src1_sel:DWORD
	s_and_saveexec_b64 s[6:7], s[26:27]
	s_cbranch_execz .LBB262_852
; %bb.847:                              ;   in Loop: Header=BB262_809 Depth=1
	v_cmp_ne_u16_sdwa s[28:29], v5, s42 src0_sel:BYTE_0 src1_sel:DWORD
	v_mov_b32_e32 v23, 0x8000
	s_and_saveexec_b64 s[26:27], s[28:29]
	s_cbranch_execz .LBB262_851
; %bb.848:                              ;   in Loop: Header=BB262_809 Depth=1
	v_bfe_u32 v27, v14, 16, 7
	v_cmp_ne_u32_e32 vcc, s43, v27
	v_mov_b32_e32 v23, 0x7c01
	s_and_saveexec_b64 s[28:29], vcc
	s_cbranch_execz .LBB262_850
; %bb.849:                              ;   in Loop: Header=BB262_809 Depth=1
	v_and_b32_e32 v23, 7, v5
	v_lshrrev_b32_e32 v29, 3, v27
	v_cmp_gt_u32_e32 vcc, 8, v27
	v_ffbh_u32_e32 v27, v23
	v_min_u32_e32 v31, 32, v27
	v_subrev_u32_e32 v27, 28, v31
	v_lshlrev_b64 v[27:28], v27, v[5:6]
	v_sub_u32_e32 v28, 29, v31
	v_cndmask_b32_e32 v28, v29, v28, vcc
	v_lshl_add_u32 v28, v28, 10, v45
	v_and_b32_e32 v27, 7, v27
	v_lshlrev_b32_e32 v5, 8, v5
	v_cndmask_b32_e32 v23, v23, v27, vcc
	v_and_b32_e32 v27, 0xfc00, v28
	v_and_or_b32 v5, v5, s44, v27
	v_lshl_or_b32 v23, v23, 7, v5
.LBB262_850:                            ;   in Loop: Header=BB262_809 Depth=1
	s_or_b64 exec, exec, s[28:29]
.LBB262_851:                            ;   in Loop: Header=BB262_809 Depth=1
	s_or_b64 exec, exec, s[26:27]
.LBB262_852:                            ;   in Loop: Header=BB262_809 Depth=1
	s_or_b64 exec, exec, s[6:7]
	v_cmp_lt_u64_e32 vcc, s[10:11], v[13:14]
	v_mov_b32_e32 v27, 0
	s_and_saveexec_b64 s[6:7], vcc
	s_cbranch_execz .LBB262_858
; %bb.853:                              ;   in Loop: Header=BB262_809 Depth=1
	v_lshrrev_b32_e32 v5, 24, v14
	v_cmp_ne_u32_e32 vcc, s42, v5
	v_bfrev_b32_e32 v27, 1
	s_and_saveexec_b64 s[26:27], vcc
	s_cbranch_execz .LBB262_857
; %bb.854:                              ;   in Loop: Header=BB262_809 Depth=1
	v_and_b32_e32 v13, 0x7f, v5
	v_cmp_ne_u32_e32 vcc, s43, v13
	v_mov_b32_e32 v27, 0x7c010000
	s_and_saveexec_b64 s[28:29], vcc
	s_cbranch_execz .LBB262_856
; %bb.855:                              ;   in Loop: Header=BB262_809 Depth=1
	v_and_b32_e32 v27, 7, v5
	v_lshrrev_b32_e32 v28, 3, v13
	v_cmp_gt_u32_e32 vcc, 8, v13
	v_ffbh_u32_e32 v13, v27
	v_min_u32_e32 v29, 32, v13
	v_subrev_u32_e32 v13, 28, v29
	v_lshlrev_b64 v[13:14], v13, v[5:6]
	v_sub_u32_e32 v14, 29, v29
	v_cndmask_b32_e32 v14, v28, v14, vcc
	v_lshlrev_b32_e32 v5, 8, v5
	v_lshl_add_u32 v14, v14, 10, v45
	v_and_b32_e32 v13, 7, v13
	v_and_or_b32 v5, v5, s44, v14
	v_cndmask_b32_e32 v13, v27, v13, vcc
	v_lshlrev_b32_e32 v5, 16, v5
	v_lshl_or_b32 v27, v13, 23, v5
.LBB262_856:                            ;   in Loop: Header=BB262_809 Depth=1
	s_or_b64 exec, exec, s[28:29]
.LBB262_857:                            ;   in Loop: Header=BB262_809 Depth=1
	s_or_b64 exec, exec, s[26:27]
.LBB262_858:                            ;   in Loop: Header=BB262_809 Depth=1
	s_or_b64 exec, exec, s[6:7]
	buffer_load_dword v5, off, s[0:3], s32 offset:176 ; 4-byte Folded Reload
	buffer_load_dword v13, off, s[0:3], s32 offset:84 ; 4-byte Folded Reload
	s_waitcnt vmcnt(0) lgkmcnt(0)
	v_fma_mixlo_f16 v14, v1, v19, 0 op_sel:[0,1,0] op_sel_hi:[0,1,0]
	v_lshlrev_b32_e32 v28, 16, v14
	v_or_b32_e32 v14, v25, v24
	v_fma_mixlo_f16 v14, v1, v14, 0 op_sel_hi:[0,1,0]
	v_add_u32_e32 v46, v5, v13
	buffer_load_dword v5, off, s[0:3], s32 offset:80 ; 4-byte Folded Reload
	v_fma_mixlo_f16 v13, v1, v21, 0 op_sel:[0,1,0] op_sel_hi:[0,1,0]
	v_add_u32_e32 v63, 3, v46
	v_add_u32_e32 v62, 4, v46
	v_add_u32_e32 v61, 5, v46
	v_add_u32_e32 v60, 6, v46
	v_add_u32_e32 v59, 7, v46
	s_waitcnt vmcnt(0)
	v_add_u32_e32 v5, -1, v5
	v_cmp_eq_u32_e64 s[6:7], v5, v55
	v_or_b32_e32 v5, v21, v22
	v_lshlrev_b32_e32 v21, 16, v13
	v_or_b32_e32 v13, v19, v20
	v_or_b32_e32 v20, v27, v23
	v_fma_mixlo_f16 v5, v1, v5, 0 op_sel_hi:[0,1,0]
	v_fma_mixlo_f16 v13, v1, v13, 0 op_sel_hi:[0,1,0]
	v_fma_mixlo_f16 v19, v1, v25, 0 op_sel:[0,1,0] op_sel_hi:[0,1,0]
	v_fma_mixlo_f16 v20, v1, v20, 0 op_sel_hi:[0,1,0]
	v_fma_mixlo_f16 v1, v1, v27, 0 op_sel:[0,1,0] op_sel_hi:[0,1,0]
	v_and_b32_e32 v22, 0xffff, v5
	v_and_b32_e32 v29, 0xffff, v13
	v_lshlrev_b32_e32 v19, 16, v19
	v_and_b32_e32 v25, 0xffff, v14
	v_lshlrev_b32_e32 v24, 16, v1
	v_and_b32_e32 v27, 0xffff, v20
	v_or_b32_e32 v5, v21, v22
	v_or_b32_e32 v13, v28, v29
	v_or_b32_e32 v14, v19, v25
	v_or_b32_e32 v23, v24, v27
	v_add_u32_e32 v1, 1, v46
	v_add_u32_e32 v20, 2, v46
	s_and_saveexec_b64 s[26:27], s[6:7]
	s_cbranch_execz .LBB262_860
; %bb.859:                              ;   in Loop: Header=BB262_809 Depth=1
	v_cmp_lt_i32_e32 vcc, v46, v30
	v_cndmask_b32_e32 v5, 0, v29, vcc
	v_cmp_lt_i32_e32 vcc, v1, v30
	v_cndmask_b32_e32 v13, 0, v28, vcc
	v_cmp_lt_i32_e32 vcc, v20, v30
	v_or_b32_e32 v13, v5, v13
	v_cndmask_b32_e32 v5, 0, v22, vcc
	v_cmp_lt_i32_e32 vcc, v63, v30
	v_cndmask_b32_e32 v14, 0, v21, vcc
	v_cmp_lt_i32_e32 vcc, v62, v30
	v_or_b32_e32 v5, v5, v14
	;; [unrolled: 5-line block ×3, first 2 shown]
	v_cndmask_b32_e32 v19, 0, v27, vcc
	v_cmp_lt_i32_e32 vcc, v59, v30
	v_cndmask_b32_e32 v21, 0, v24, vcc
	v_or_b32_e32 v23, v19, v21
.LBB262_860:                            ;   in Loop: Header=BB262_809 Depth=1
	s_or_b64 exec, exec, s[26:27]
	v_and_b32_e32 v0, 0xffff, v0
	v_lshl_or_b32 v58, v2, 16, v0
	v_and_b32_e32 v0, 0xffff, v3
	v_lshl_or_b32 v57, v4, 16, v0
	;; [unrolled: 2-line block ×4, first 2 shown]
	;;#ASMSTART
	v_pk_mul_f16 v0, v58, v13;

	;;#ASMEND
	;;#ASMSTART
	v_pk_mul_f16 v2, v57, v5;

	;;#ASMEND
	;; [unrolled: 4-line block ×4, first 2 shown]
	;;#ASMSTART
	v_pk_add_f16 v0, v0, v2;

	;;#ASMEND
	;;#ASMSTART
	v_pk_add_f16 v0, v0, v3;

	;;#ASMEND
	;; [unrolled: 4-line block ×3, first 2 shown]
	v_lshrrev_b32_e32 v2, 16, v0
	v_and_b32_e32 v0, 0xffff, v0
	;;#ASMSTART
	v_cvt_f32_f16 v0, v0;
	;;#ASMEND
	buffer_store_dword v0, off, s[0:3], s32 offset:160 ; 4-byte Folded Spill
	;;#ASMSTART
	v_cvt_f32_f16 v0, v2;
	;;#ASMEND
	buffer_store_dword v0, off, s[0:3], s32 offset:164 ; 4-byte Folded Spill
	flat_load_dwordx2 v[13:14], v[11:12] offset:512
	buffer_load_dword v2, off, s[0:3], s32 offset:64 ; 4-byte Folded Reload
	buffer_load_dword v3, off, s[0:3], s32 offset:68 ; 4-byte Folded Reload
	s_waitcnt vmcnt(0) lgkmcnt(0)
	v_cmp_ne_u16_sdwa s[28:29], v13, v6 src0_sel:BYTE_0 src1_sel:DWORD
	flat_load_dword v0, v[2:3]
	v_mov_b32_e32 v2, 0
	v_mov_b32_e32 v3, 0
	s_and_saveexec_b64 s[26:27], s[28:29]
	s_cbranch_execz .LBB262_866
; %bb.861:                              ;   in Loop: Header=BB262_809 Depth=1
	v_cmp_ne_u16_sdwa s[40:41], v13, s42 src0_sel:BYTE_0 src1_sel:DWORD
	v_mov_b32_e32 v3, 0x8000
	s_and_saveexec_b64 s[28:29], s[40:41]
	s_cbranch_execz .LBB262_865
; %bb.862:                              ;   in Loop: Header=BB262_809 Depth=1
	v_and_b32_e32 v4, 0x7f, v13
	v_cmp_ne_u32_e32 vcc, s43, v4
	v_mov_b32_e32 v3, 0x7c01
	s_and_saveexec_b64 s[40:41], vcc
	s_cbranch_execz .LBB262_864
; %bb.863:                              ;   in Loop: Header=BB262_809 Depth=1
	v_and_b32_e32 v5, 7, v13
	v_ffbh_u32_e32 v3, v5
	v_min_u32_e32 v16, 32, v3
	v_subrev_u32_e32 v3, 28, v16
	v_lshrrev_b32_e32 v15, 3, v4
	v_cmp_gt_u32_e32 vcc, 8, v4
	v_lshlrev_b64 v[3:4], v3, v[13:14]
	v_sub_u32_e32 v4, 29, v16
	v_cndmask_b32_e32 v4, v15, v4, vcc
	v_lshl_add_u32 v4, v4, 10, v45
	v_lshlrev_b32_e32 v15, 8, v13
	v_and_b32_e32 v3, 7, v3
	v_and_b32_e32 v4, 0xfc00, v4
	v_cndmask_b32_e32 v3, v5, v3, vcc
	v_and_or_b32 v4, v15, s44, v4
	v_lshl_or_b32 v3, v3, 7, v4
.LBB262_864:                            ;   in Loop: Header=BB262_809 Depth=1
	s_or_b64 exec, exec, s[40:41]
.LBB262_865:                            ;   in Loop: Header=BB262_809 Depth=1
	s_or_b64 exec, exec, s[28:29]
.LBB262_866:                            ;   in Loop: Header=BB262_809 Depth=1
	s_or_b64 exec, exec, s[26:27]
	v_lshrrev_b16_e32 v5, 8, v13
	v_cmp_ne_u16_e32 vcc, 0, v5
	s_and_saveexec_b64 s[26:27], vcc
	s_cbranch_execz .LBB262_872
; %bb.867:                              ;   in Loop: Header=BB262_809 Depth=1
	v_cmp_ne_u16_e32 vcc, s42, v5
	v_bfrev_b32_e32 v2, 1
	s_and_saveexec_b64 s[28:29], vcc
	s_cbranch_execz .LBB262_871
; %bb.868:                              ;   in Loop: Header=BB262_809 Depth=1
	v_and_b32_e32 v4, 0x7f, v5
	v_cmp_ne_u32_e32 vcc, s43, v4
	v_mov_b32_e32 v2, 0x7c010000
	s_and_saveexec_b64 s[40:41], vcc
	s_cbranch_execz .LBB262_870
; %bb.869:                              ;   in Loop: Header=BB262_809 Depth=1
	v_and_b32_e32 v2, 7, v5
	v_lshrrev_b32_e32 v17, 3, v4
	v_cmp_gt_u32_e32 vcc, 8, v4
	v_ffbh_u32_e32 v4, v2
	v_min_u32_e32 v4, 32, v4
	v_subrev_u32_e32 v15, 28, v4
	v_sub_u32_e32 v4, 29, v4
	v_lshlrev_b64 v[15:16], v15, v[5:6]
	v_cndmask_b32_e32 v4, v17, v4, vcc
	v_lshlrev_b32_e32 v5, 8, v5
	v_lshl_add_u32 v4, v4, 10, v45
	v_and_b32_e32 v15, 7, v15
	v_and_or_b32 v4, v5, s44, v4
	v_cndmask_b32_e32 v2, v2, v15, vcc
	v_lshlrev_b32_e32 v4, 16, v4
	v_lshl_or_b32 v2, v2, 23, v4
.LBB262_870:                            ;   in Loop: Header=BB262_809 Depth=1
	s_or_b64 exec, exec, s[40:41]
.LBB262_871:                            ;   in Loop: Header=BB262_809 Depth=1
	s_or_b64 exec, exec, s[28:29]
.LBB262_872:                            ;   in Loop: Header=BB262_809 Depth=1
	s_or_b64 exec, exec, s[26:27]
	v_lshrrev_b32_e32 v5, 16, v13
	v_cmp_ne_u16_sdwa s[28:29], v5, v6 src0_sel:BYTE_0 src1_sel:DWORD
	v_mov_b32_e32 v4, 0
	v_mov_b32_e32 v15, 0
	s_and_saveexec_b64 s[26:27], s[28:29]
	s_cbranch_execz .LBB262_878
; %bb.873:                              ;   in Loop: Header=BB262_809 Depth=1
	v_cmp_ne_u16_sdwa s[40:41], v5, s42 src0_sel:BYTE_0 src1_sel:DWORD
	v_mov_b32_e32 v15, 0x8000
	s_and_saveexec_b64 s[28:29], s[40:41]
	s_cbranch_execz .LBB262_877
; %bb.874:                              ;   in Loop: Header=BB262_809 Depth=1
	v_bfe_u32 v16, v13, 16, 7
	v_cmp_ne_u32_e32 vcc, s43, v16
	v_mov_b32_e32 v15, 0x7c01
	s_and_saveexec_b64 s[40:41], vcc
	s_cbranch_execz .LBB262_876
; %bb.875:                              ;   in Loop: Header=BB262_809 Depth=1
	v_and_b32_e32 v17, 7, v5
	v_ffbh_u32_e32 v15, v17
	v_min_u32_e32 v19, 32, v15
	v_subrev_u32_e32 v15, 28, v19
	v_lshrrev_b32_e32 v18, 3, v16
	v_cmp_gt_u32_e32 vcc, 8, v16
	v_lshlrev_b64 v[15:16], v15, v[5:6]
	v_sub_u32_e32 v16, 29, v19
	v_cndmask_b32_e32 v16, v18, v16, vcc
	v_lshl_add_u32 v16, v16, 10, v45
	v_lshlrev_b32_e32 v5, 8, v5
	v_and_b32_e32 v15, 7, v15
	v_and_b32_e32 v16, 0xfc00, v16
	v_cndmask_b32_e32 v15, v17, v15, vcc
	v_and_or_b32 v5, v5, s44, v16
	v_lshl_or_b32 v15, v15, 7, v5
.LBB262_876:                            ;   in Loop: Header=BB262_809 Depth=1
	s_or_b64 exec, exec, s[40:41]
.LBB262_877:                            ;   in Loop: Header=BB262_809 Depth=1
	s_or_b64 exec, exec, s[28:29]
.LBB262_878:                            ;   in Loop: Header=BB262_809 Depth=1
	s_or_b64 exec, exec, s[26:27]
	v_cmp_lt_u32_e32 vcc, s11, v13
	s_and_saveexec_b64 s[26:27], vcc
	s_cbranch_execz .LBB262_884
; %bb.879:                              ;   in Loop: Header=BB262_809 Depth=1
	v_lshrrev_b32_e32 v5, 24, v13
	v_cmp_ne_u32_e32 vcc, s42, v5
	v_bfrev_b32_e32 v4, 1
	s_and_saveexec_b64 s[28:29], vcc
	s_cbranch_execz .LBB262_883
; %bb.880:                              ;   in Loop: Header=BB262_809 Depth=1
	v_and_b32_e32 v16, 0x7f, v5
	v_cmp_ne_u32_e32 vcc, s43, v16
	v_mov_b32_e32 v4, 0x7c010000
	s_and_saveexec_b64 s[40:41], vcc
	s_cbranch_execz .LBB262_882
; %bb.881:                              ;   in Loop: Header=BB262_809 Depth=1
	v_and_b32_e32 v4, 7, v5
	v_lshrrev_b32_e32 v18, 3, v16
	v_cmp_gt_u32_e32 vcc, 8, v16
	v_ffbh_u32_e32 v16, v4
	v_min_u32_e32 v19, 32, v16
	v_subrev_u32_e32 v16, 28, v19
	v_lshlrev_b64 v[16:17], v16, v[5:6]
	v_sub_u32_e32 v17, 29, v19
	v_cndmask_b32_e32 v17, v18, v17, vcc
	v_lshlrev_b32_e32 v5, 8, v5
	v_lshl_add_u32 v17, v17, 10, v45
	v_and_b32_e32 v16, 7, v16
	v_and_or_b32 v5, v5, s44, v17
	v_cndmask_b32_e32 v4, v4, v16, vcc
	v_lshlrev_b32_e32 v5, 16, v5
	v_lshl_or_b32 v4, v4, 23, v5
.LBB262_882:                            ;   in Loop: Header=BB262_809 Depth=1
	s_or_b64 exec, exec, s[40:41]
.LBB262_883:                            ;   in Loop: Header=BB262_809 Depth=1
	s_or_b64 exec, exec, s[28:29]
.LBB262_884:                            ;   in Loop: Header=BB262_809 Depth=1
	s_or_b64 exec, exec, s[26:27]
	v_mov_b32_e32 v5, v14
	v_cmp_ne_u16_sdwa s[28:29], v14, v6 src0_sel:BYTE_0 src1_sel:DWORD
	v_mov_b32_e32 v16, 0
	v_mov_b32_e32 v17, 0
	s_and_saveexec_b64 s[26:27], s[28:29]
	s_cbranch_execz .LBB262_890
; %bb.885:                              ;   in Loop: Header=BB262_809 Depth=1
	v_cmp_ne_u16_sdwa s[40:41], v14, s42 src0_sel:BYTE_0 src1_sel:DWORD
	v_mov_b32_e32 v17, 0x8000
	s_and_saveexec_b64 s[28:29], s[40:41]
	s_cbranch_execz .LBB262_889
; %bb.886:                              ;   in Loop: Header=BB262_809 Depth=1
	v_and_b32_e32 v18, 0x7f, v14
	v_cmp_ne_u32_e32 vcc, s43, v18
	v_mov_b32_e32 v17, 0x7c01
	s_and_saveexec_b64 s[40:41], vcc
	s_cbranch_execz .LBB262_888
; %bb.887:                              ;   in Loop: Header=BB262_809 Depth=1
	v_and_b32_e32 v19, 7, v14
	v_ffbh_u32_e32 v17, v19
	v_min_u32_e32 v22, 32, v17
	v_subrev_u32_e32 v17, 28, v22
	v_lshrrev_b32_e32 v21, 3, v18
	v_cmp_gt_u32_e32 vcc, 8, v18
	v_lshlrev_b64 v[17:18], v17, v[5:6]
	v_sub_u32_e32 v18, 29, v22
	v_cndmask_b32_e32 v18, v21, v18, vcc
	v_lshl_add_u32 v18, v18, 10, v45
	v_lshlrev_b32_e32 v21, 8, v14
	v_and_b32_e32 v17, 7, v17
	v_and_b32_e32 v18, 0xfc00, v18
	v_cndmask_b32_e32 v17, v19, v17, vcc
	v_and_or_b32 v18, v21, s44, v18
	v_lshl_or_b32 v17, v17, 7, v18
.LBB262_888:                            ;   in Loop: Header=BB262_809 Depth=1
	s_or_b64 exec, exec, s[40:41]
.LBB262_889:                            ;   in Loop: Header=BB262_809 Depth=1
	s_or_b64 exec, exec, s[28:29]
.LBB262_890:                            ;   in Loop: Header=BB262_809 Depth=1
	s_or_b64 exec, exec, s[26:27]
	v_lshrrev_b16_e32 v5, 8, v5
	v_cmp_ne_u16_e32 vcc, 0, v5
	v_mov_b32_e32 v18, 0
	s_and_saveexec_b64 s[26:27], vcc
	s_cbranch_execz .LBB262_896
; %bb.891:                              ;   in Loop: Header=BB262_809 Depth=1
	v_cmp_ne_u16_e32 vcc, s42, v5
	v_bfrev_b32_e32 v18, 1
	s_and_saveexec_b64 s[28:29], vcc
	s_cbranch_execz .LBB262_895
; %bb.892:                              ;   in Loop: Header=BB262_809 Depth=1
	v_and_b32_e32 v19, 0x7f, v5
	v_cmp_ne_u32_e32 vcc, s43, v19
	v_mov_b32_e32 v18, 0x7c010000
	s_and_saveexec_b64 s[40:41], vcc
	s_cbranch_execz .LBB262_894
; %bb.893:                              ;   in Loop: Header=BB262_809 Depth=1
	v_and_b32_e32 v21, 7, v5
	v_ffbh_u32_e32 v18, v21
	v_min_u32_e32 v23, 32, v18
	v_subrev_u32_e32 v18, 28, v23
	v_lshrrev_b32_e32 v22, 3, v19
	v_cmp_gt_u32_e32 vcc, 8, v19
	v_lshlrev_b64 v[18:19], v18, v[5:6]
	v_sub_u32_e32 v19, 29, v23
	v_cndmask_b32_e32 v19, v22, v19, vcc
	v_lshlrev_b32_e32 v5, 8, v5
	v_lshl_add_u32 v19, v19, 10, v45
	v_and_b32_e32 v18, 7, v18
	v_and_or_b32 v5, v5, s44, v19
	v_cndmask_b32_e32 v18, v21, v18, vcc
	v_lshlrev_b32_e32 v5, 16, v5
	v_lshl_or_b32 v18, v18, 23, v5
.LBB262_894:                            ;   in Loop: Header=BB262_809 Depth=1
	s_or_b64 exec, exec, s[40:41]
.LBB262_895:                            ;   in Loop: Header=BB262_809 Depth=1
	s_or_b64 exec, exec, s[28:29]
.LBB262_896:                            ;   in Loop: Header=BB262_809 Depth=1
	s_or_b64 exec, exec, s[26:27]
	v_lshrrev_b32_e32 v5, 16, v14
	v_cmp_ne_u16_sdwa s[28:29], v5, v6 src0_sel:BYTE_0 src1_sel:DWORD
	s_and_saveexec_b64 s[26:27], s[28:29]
	s_cbranch_execz .LBB262_902
; %bb.897:                              ;   in Loop: Header=BB262_809 Depth=1
	v_cmp_ne_u16_sdwa s[40:41], v5, s42 src0_sel:BYTE_0 src1_sel:DWORD
	v_mov_b32_e32 v16, 0x8000
	s_and_saveexec_b64 s[28:29], s[40:41]
	s_cbranch_execz .LBB262_901
; %bb.898:                              ;   in Loop: Header=BB262_809 Depth=1
	v_bfe_u32 v19, v14, 16, 7
	v_cmp_ne_u32_e32 vcc, s43, v19
	v_mov_b32_e32 v16, 0x7c01
	s_and_saveexec_b64 s[40:41], vcc
	s_cbranch_execz .LBB262_900
; %bb.899:                              ;   in Loop: Header=BB262_809 Depth=1
	v_and_b32_e32 v16, 7, v5
	v_lshrrev_b32_e32 v23, 3, v19
	v_cmp_gt_u32_e32 vcc, 8, v19
	v_ffbh_u32_e32 v19, v16
	v_min_u32_e32 v19, 32, v19
	v_subrev_u32_e32 v21, 28, v19
	v_sub_u32_e32 v19, 29, v19
	v_lshlrev_b64 v[21:22], v21, v[5:6]
	v_cndmask_b32_e32 v19, v23, v19, vcc
	v_lshl_add_u32 v19, v19, 10, v45
	v_lshlrev_b32_e32 v5, 8, v5
	v_and_b32_e32 v21, 7, v21
	v_and_b32_e32 v19, 0xfc00, v19
	v_cndmask_b32_e32 v16, v16, v21, vcc
	v_and_or_b32 v5, v5, s44, v19
	v_lshl_or_b32 v16, v16, 7, v5
.LBB262_900:                            ;   in Loop: Header=BB262_809 Depth=1
	s_or_b64 exec, exec, s[40:41]
.LBB262_901:                            ;   in Loop: Header=BB262_809 Depth=1
	s_or_b64 exec, exec, s[28:29]
.LBB262_902:                            ;   in Loop: Header=BB262_809 Depth=1
	s_or_b64 exec, exec, s[26:27]
	v_cmp_lt_u64_e32 vcc, s[10:11], v[13:14]
	v_mov_b32_e32 v13, 0
	s_and_saveexec_b64 s[26:27], vcc
	s_cbranch_execz .LBB262_908
; %bb.903:                              ;   in Loop: Header=BB262_809 Depth=1
	v_lshrrev_b32_e32 v5, 24, v14
	v_cmp_ne_u32_e32 vcc, s42, v5
	v_bfrev_b32_e32 v13, 1
	s_and_saveexec_b64 s[28:29], vcc
	s_cbranch_execz .LBB262_907
; %bb.904:                              ;   in Loop: Header=BB262_809 Depth=1
	v_and_b32_e32 v14, 0x7f, v5
	v_cmp_ne_u32_e32 vcc, s43, v14
	v_mov_b32_e32 v13, 0x7c010000
	s_and_saveexec_b64 s[40:41], vcc
	s_cbranch_execz .LBB262_906
; %bb.905:                              ;   in Loop: Header=BB262_809 Depth=1
	v_and_b32_e32 v19, 7, v5
	v_ffbh_u32_e32 v13, v19
	v_min_u32_e32 v22, 32, v13
	v_subrev_u32_e32 v13, 28, v22
	v_lshrrev_b32_e32 v21, 3, v14
	v_cmp_gt_u32_e32 vcc, 8, v14
	v_lshlrev_b64 v[13:14], v13, v[5:6]
	v_sub_u32_e32 v14, 29, v22
	v_cndmask_b32_e32 v14, v21, v14, vcc
	v_lshlrev_b32_e32 v5, 8, v5
	v_lshl_add_u32 v14, v14, 10, v45
	v_and_b32_e32 v13, 7, v13
	v_and_or_b32 v5, v5, s44, v14
	v_cndmask_b32_e32 v13, v19, v13, vcc
	v_lshlrev_b32_e32 v5, 16, v5
	v_lshl_or_b32 v13, v13, 23, v5
.LBB262_906:                            ;   in Loop: Header=BB262_809 Depth=1
	s_or_b64 exec, exec, s[40:41]
.LBB262_907:                            ;   in Loop: Header=BB262_809 Depth=1
	s_or_b64 exec, exec, s[28:29]
.LBB262_908:                            ;   in Loop: Header=BB262_809 Depth=1
	s_or_b64 exec, exec, s[26:27]
	v_or_b32_e32 v3, v2, v3
	s_waitcnt vmcnt(0) lgkmcnt(0)
	v_fma_mixlo_f16 v2, v0, v2, 0 op_sel:[0,1,0] op_sel_hi:[0,1,0]
	v_or_b32_e32 v14, v4, v15
	v_fma_mixlo_f16 v4, v0, v4, 0 op_sel:[0,1,0] op_sel_hi:[0,1,0]
	v_lshlrev_b32_e32 v19, 16, v2
	v_fma_mixlo_f16 v2, v0, v3, 0 op_sel_hi:[0,1,0]
	v_or_b32_e32 v3, v18, v17
	v_or_b32_e32 v16, v13, v16
	v_lshlrev_b32_e32 v5, 16, v4
	v_fma_mixlo_f16 v4, v0, v14, 0 op_sel_hi:[0,1,0]
	v_fma_mixlo_f16 v15, v0, v18, 0 op_sel:[0,1,0] op_sel_hi:[0,1,0]
	v_fma_mixlo_f16 v3, v0, v3, 0 op_sel_hi:[0,1,0]
	v_fma_mixlo_f16 v16, v0, v16, 0 op_sel_hi:[0,1,0]
	v_fma_mixlo_f16 v0, v0, v13, 0 op_sel:[0,1,0] op_sel_hi:[0,1,0]
	v_and_b32_e32 v14, 0xffff, v4
	v_and_b32_e32 v21, 0xffff, v2
	v_lshlrev_b32_e32 v15, 16, v15
	v_and_b32_e32 v17, 0xffff, v3
	v_lshlrev_b32_e32 v0, 16, v0
	v_and_b32_e32 v13, 0xffff, v16
	v_or_b32_e32 v4, v5, v14
	v_or_b32_e32 v2, v19, v21
	;; [unrolled: 1-line block ×4, first 2 shown]
	s_and_saveexec_b64 s[26:27], s[6:7]
	s_cbranch_execz .LBB262_910
; %bb.909:                              ;   in Loop: Header=BB262_809 Depth=1
	v_cmp_lt_i32_e32 vcc, v46, v30
	v_cndmask_b32_e32 v2, 0, v21, vcc
	v_cmp_lt_i32_e32 vcc, v1, v30
	v_cndmask_b32_e32 v3, 0, v19, vcc
	v_cmp_lt_i32_e32 vcc, v20, v30
	v_or_b32_e32 v2, v2, v3
	v_cndmask_b32_e32 v3, 0, v14, vcc
	v_cmp_lt_i32_e32 vcc, v63, v30
	v_cndmask_b32_e32 v4, 0, v5, vcc
	v_cmp_lt_i32_e32 vcc, v62, v30
	v_or_b32_e32 v4, v3, v4
	;; [unrolled: 5-line block ×3, first 2 shown]
	v_cndmask_b32_e32 v5, 0, v13, vcc
	v_cmp_lt_i32_e32 vcc, v59, v30
	v_cndmask_b32_e32 v0, 0, v0, vcc
	v_or_b32_e32 v16, v5, v0
.LBB262_910:                            ;   in Loop: Header=BB262_809 Depth=1
	s_or_b64 exec, exec, s[26:27]
	;;#ASMSTART
	v_pk_mul_f16 v0, v58, v2;

	;;#ASMEND
	;;#ASMSTART
	v_pk_mul_f16 v2, v57, v4;

	;;#ASMEND
	;; [unrolled: 4-line block ×4, first 2 shown]
	;;#ASMSTART
	v_pk_add_f16 v0, v0, v2;

	;;#ASMEND
	;;#ASMSTART
	v_pk_add_f16 v0, v0, v3;

	;;#ASMEND
	;; [unrolled: 4-line block ×3, first 2 shown]
	v_lshrrev_b32_e32 v2, 16, v0
	v_and_b32_e32 v0, 0xffff, v0
	;;#ASMSTART
	v_cvt_f32_f16 v0, v0;
	;;#ASMEND
	buffer_store_dword v0, off, s[0:3], s32 offset:168 ; 4-byte Folded Spill
	;;#ASMSTART
	v_cvt_f32_f16 v0, v2;
	;;#ASMEND
	buffer_store_dword v0, off, s[0:3], s32 offset:172 ; 4-byte Folded Spill
	flat_load_dwordx2 v[13:14], v[11:12] offset:1024
	buffer_load_dword v2, off, s[0:3], s32 offset:64 ; 4-byte Folded Reload
	buffer_load_dword v3, off, s[0:3], s32 offset:68 ; 4-byte Folded Reload
	s_waitcnt vmcnt(0) lgkmcnt(0)
	v_cmp_ne_u16_sdwa s[28:29], v13, v6 src0_sel:BYTE_0 src1_sel:DWORD
	flat_load_dword v0, v[2:3]
	v_mov_b32_e32 v2, 0
	v_mov_b32_e32 v3, 0
	s_and_saveexec_b64 s[26:27], s[28:29]
	s_cbranch_execz .LBB262_916
; %bb.911:                              ;   in Loop: Header=BB262_809 Depth=1
	v_cmp_ne_u16_sdwa s[40:41], v13, s42 src0_sel:BYTE_0 src1_sel:DWORD
	v_mov_b32_e32 v3, 0x8000
	s_and_saveexec_b64 s[28:29], s[40:41]
	s_cbranch_execz .LBB262_915
; %bb.912:                              ;   in Loop: Header=BB262_809 Depth=1
	v_and_b32_e32 v4, 0x7f, v13
	v_cmp_ne_u32_e32 vcc, s43, v4
	v_mov_b32_e32 v3, 0x7c01
	s_and_saveexec_b64 s[40:41], vcc
	s_cbranch_execz .LBB262_914
; %bb.913:                              ;   in Loop: Header=BB262_809 Depth=1
	v_and_b32_e32 v5, 7, v13
	v_ffbh_u32_e32 v3, v5
	v_min_u32_e32 v16, 32, v3
	v_subrev_u32_e32 v3, 28, v16
	v_lshrrev_b32_e32 v15, 3, v4
	v_cmp_gt_u32_e32 vcc, 8, v4
	v_lshlrev_b64 v[3:4], v3, v[13:14]
	v_sub_u32_e32 v4, 29, v16
	v_cndmask_b32_e32 v4, v15, v4, vcc
	v_lshl_add_u32 v4, v4, 10, v45
	v_lshlrev_b32_e32 v15, 8, v13
	v_and_b32_e32 v3, 7, v3
	v_and_b32_e32 v4, 0xfc00, v4
	v_cndmask_b32_e32 v3, v5, v3, vcc
	v_and_or_b32 v4, v15, s44, v4
	v_lshl_or_b32 v3, v3, 7, v4
.LBB262_914:                            ;   in Loop: Header=BB262_809 Depth=1
	s_or_b64 exec, exec, s[40:41]
.LBB262_915:                            ;   in Loop: Header=BB262_809 Depth=1
	s_or_b64 exec, exec, s[28:29]
.LBB262_916:                            ;   in Loop: Header=BB262_809 Depth=1
	s_or_b64 exec, exec, s[26:27]
	v_lshrrev_b16_e32 v5, 8, v13
	v_cmp_ne_u16_e32 vcc, 0, v5
	s_and_saveexec_b64 s[26:27], vcc
	s_cbranch_execz .LBB262_922
; %bb.917:                              ;   in Loop: Header=BB262_809 Depth=1
	v_cmp_ne_u16_e32 vcc, s42, v5
	v_bfrev_b32_e32 v2, 1
	s_and_saveexec_b64 s[28:29], vcc
	s_cbranch_execz .LBB262_921
; %bb.918:                              ;   in Loop: Header=BB262_809 Depth=1
	v_and_b32_e32 v4, 0x7f, v5
	v_cmp_ne_u32_e32 vcc, s43, v4
	v_mov_b32_e32 v2, 0x7c010000
	s_and_saveexec_b64 s[40:41], vcc
	s_cbranch_execz .LBB262_920
; %bb.919:                              ;   in Loop: Header=BB262_809 Depth=1
	v_and_b32_e32 v2, 7, v5
	v_lshrrev_b32_e32 v17, 3, v4
	v_cmp_gt_u32_e32 vcc, 8, v4
	v_ffbh_u32_e32 v4, v2
	v_min_u32_e32 v4, 32, v4
	v_subrev_u32_e32 v15, 28, v4
	v_sub_u32_e32 v4, 29, v4
	v_lshlrev_b64 v[15:16], v15, v[5:6]
	v_cndmask_b32_e32 v4, v17, v4, vcc
	v_lshlrev_b32_e32 v5, 8, v5
	v_lshl_add_u32 v4, v4, 10, v45
	v_and_b32_e32 v15, 7, v15
	v_and_or_b32 v4, v5, s44, v4
	v_cndmask_b32_e32 v2, v2, v15, vcc
	v_lshlrev_b32_e32 v4, 16, v4
	v_lshl_or_b32 v2, v2, 23, v4
.LBB262_920:                            ;   in Loop: Header=BB262_809 Depth=1
	s_or_b64 exec, exec, s[40:41]
.LBB262_921:                            ;   in Loop: Header=BB262_809 Depth=1
	s_or_b64 exec, exec, s[28:29]
.LBB262_922:                            ;   in Loop: Header=BB262_809 Depth=1
	s_or_b64 exec, exec, s[26:27]
	v_lshrrev_b32_e32 v5, 16, v13
	v_cmp_ne_u16_sdwa s[28:29], v5, v6 src0_sel:BYTE_0 src1_sel:DWORD
	v_mov_b32_e32 v4, 0
	v_mov_b32_e32 v15, 0
	s_and_saveexec_b64 s[26:27], s[28:29]
	s_cbranch_execz .LBB262_928
; %bb.923:                              ;   in Loop: Header=BB262_809 Depth=1
	v_cmp_ne_u16_sdwa s[40:41], v5, s42 src0_sel:BYTE_0 src1_sel:DWORD
	v_mov_b32_e32 v15, 0x8000
	s_and_saveexec_b64 s[28:29], s[40:41]
	s_cbranch_execz .LBB262_927
; %bb.924:                              ;   in Loop: Header=BB262_809 Depth=1
	v_bfe_u32 v16, v13, 16, 7
	v_cmp_ne_u32_e32 vcc, s43, v16
	v_mov_b32_e32 v15, 0x7c01
	s_and_saveexec_b64 s[40:41], vcc
	s_cbranch_execz .LBB262_926
; %bb.925:                              ;   in Loop: Header=BB262_809 Depth=1
	v_and_b32_e32 v17, 7, v5
	v_ffbh_u32_e32 v15, v17
	v_min_u32_e32 v19, 32, v15
	v_subrev_u32_e32 v15, 28, v19
	v_lshrrev_b32_e32 v18, 3, v16
	v_cmp_gt_u32_e32 vcc, 8, v16
	v_lshlrev_b64 v[15:16], v15, v[5:6]
	v_sub_u32_e32 v16, 29, v19
	v_cndmask_b32_e32 v16, v18, v16, vcc
	v_lshl_add_u32 v16, v16, 10, v45
	v_lshlrev_b32_e32 v5, 8, v5
	v_and_b32_e32 v15, 7, v15
	v_and_b32_e32 v16, 0xfc00, v16
	v_cndmask_b32_e32 v15, v17, v15, vcc
	v_and_or_b32 v5, v5, s44, v16
	v_lshl_or_b32 v15, v15, 7, v5
.LBB262_926:                            ;   in Loop: Header=BB262_809 Depth=1
	s_or_b64 exec, exec, s[40:41]
.LBB262_927:                            ;   in Loop: Header=BB262_809 Depth=1
	s_or_b64 exec, exec, s[28:29]
.LBB262_928:                            ;   in Loop: Header=BB262_809 Depth=1
	s_or_b64 exec, exec, s[26:27]
	v_cmp_lt_u32_e32 vcc, s11, v13
	s_and_saveexec_b64 s[26:27], vcc
	s_cbranch_execz .LBB262_934
; %bb.929:                              ;   in Loop: Header=BB262_809 Depth=1
	v_lshrrev_b32_e32 v5, 24, v13
	v_cmp_ne_u32_e32 vcc, s42, v5
	v_bfrev_b32_e32 v4, 1
	s_and_saveexec_b64 s[28:29], vcc
	s_cbranch_execz .LBB262_933
; %bb.930:                              ;   in Loop: Header=BB262_809 Depth=1
	v_and_b32_e32 v16, 0x7f, v5
	v_cmp_ne_u32_e32 vcc, s43, v16
	v_mov_b32_e32 v4, 0x7c010000
	s_and_saveexec_b64 s[40:41], vcc
	s_cbranch_execz .LBB262_932
; %bb.931:                              ;   in Loop: Header=BB262_809 Depth=1
	v_and_b32_e32 v4, 7, v5
	v_lshrrev_b32_e32 v18, 3, v16
	v_cmp_gt_u32_e32 vcc, 8, v16
	v_ffbh_u32_e32 v16, v4
	v_min_u32_e32 v19, 32, v16
	v_subrev_u32_e32 v16, 28, v19
	v_lshlrev_b64 v[16:17], v16, v[5:6]
	v_sub_u32_e32 v17, 29, v19
	v_cndmask_b32_e32 v17, v18, v17, vcc
	v_lshlrev_b32_e32 v5, 8, v5
	v_lshl_add_u32 v17, v17, 10, v45
	v_and_b32_e32 v16, 7, v16
	v_and_or_b32 v5, v5, s44, v17
	v_cndmask_b32_e32 v4, v4, v16, vcc
	v_lshlrev_b32_e32 v5, 16, v5
	v_lshl_or_b32 v4, v4, 23, v5
.LBB262_932:                            ;   in Loop: Header=BB262_809 Depth=1
	s_or_b64 exec, exec, s[40:41]
.LBB262_933:                            ;   in Loop: Header=BB262_809 Depth=1
	s_or_b64 exec, exec, s[28:29]
.LBB262_934:                            ;   in Loop: Header=BB262_809 Depth=1
	s_or_b64 exec, exec, s[26:27]
	v_mov_b32_e32 v5, v14
	v_cmp_ne_u16_sdwa s[28:29], v14, v6 src0_sel:BYTE_0 src1_sel:DWORD
	v_mov_b32_e32 v16, 0
	v_mov_b32_e32 v17, 0
	s_and_saveexec_b64 s[26:27], s[28:29]
	s_cbranch_execz .LBB262_940
; %bb.935:                              ;   in Loop: Header=BB262_809 Depth=1
	v_cmp_ne_u16_sdwa s[40:41], v14, s42 src0_sel:BYTE_0 src1_sel:DWORD
	v_mov_b32_e32 v17, 0x8000
	s_and_saveexec_b64 s[28:29], s[40:41]
	s_cbranch_execz .LBB262_939
; %bb.936:                              ;   in Loop: Header=BB262_809 Depth=1
	v_and_b32_e32 v18, 0x7f, v14
	v_cmp_ne_u32_e32 vcc, s43, v18
	v_mov_b32_e32 v17, 0x7c01
	s_and_saveexec_b64 s[40:41], vcc
	s_cbranch_execz .LBB262_938
; %bb.937:                              ;   in Loop: Header=BB262_809 Depth=1
	v_and_b32_e32 v19, 7, v14
	v_ffbh_u32_e32 v17, v19
	v_min_u32_e32 v22, 32, v17
	v_subrev_u32_e32 v17, 28, v22
	v_lshrrev_b32_e32 v21, 3, v18
	v_cmp_gt_u32_e32 vcc, 8, v18
	v_lshlrev_b64 v[17:18], v17, v[5:6]
	v_sub_u32_e32 v18, 29, v22
	v_cndmask_b32_e32 v18, v21, v18, vcc
	v_lshl_add_u32 v18, v18, 10, v45
	v_lshlrev_b32_e32 v21, 8, v14
	v_and_b32_e32 v17, 7, v17
	v_and_b32_e32 v18, 0xfc00, v18
	v_cndmask_b32_e32 v17, v19, v17, vcc
	v_and_or_b32 v18, v21, s44, v18
	v_lshl_or_b32 v17, v17, 7, v18
.LBB262_938:                            ;   in Loop: Header=BB262_809 Depth=1
	s_or_b64 exec, exec, s[40:41]
.LBB262_939:                            ;   in Loop: Header=BB262_809 Depth=1
	s_or_b64 exec, exec, s[28:29]
.LBB262_940:                            ;   in Loop: Header=BB262_809 Depth=1
	s_or_b64 exec, exec, s[26:27]
	v_lshrrev_b16_e32 v5, 8, v5
	v_cmp_ne_u16_e32 vcc, 0, v5
	v_mov_b32_e32 v18, 0
	s_and_saveexec_b64 s[26:27], vcc
	s_cbranch_execz .LBB262_946
; %bb.941:                              ;   in Loop: Header=BB262_809 Depth=1
	v_cmp_ne_u16_e32 vcc, s42, v5
	v_bfrev_b32_e32 v18, 1
	s_and_saveexec_b64 s[28:29], vcc
	s_cbranch_execz .LBB262_945
; %bb.942:                              ;   in Loop: Header=BB262_809 Depth=1
	v_and_b32_e32 v19, 0x7f, v5
	v_cmp_ne_u32_e32 vcc, s43, v19
	v_mov_b32_e32 v18, 0x7c010000
	s_and_saveexec_b64 s[40:41], vcc
	s_cbranch_execz .LBB262_944
; %bb.943:                              ;   in Loop: Header=BB262_809 Depth=1
	v_and_b32_e32 v21, 7, v5
	v_ffbh_u32_e32 v18, v21
	v_min_u32_e32 v23, 32, v18
	v_subrev_u32_e32 v18, 28, v23
	v_lshrrev_b32_e32 v22, 3, v19
	v_cmp_gt_u32_e32 vcc, 8, v19
	v_lshlrev_b64 v[18:19], v18, v[5:6]
	v_sub_u32_e32 v19, 29, v23
	v_cndmask_b32_e32 v19, v22, v19, vcc
	v_lshlrev_b32_e32 v5, 8, v5
	v_lshl_add_u32 v19, v19, 10, v45
	v_and_b32_e32 v18, 7, v18
	v_and_or_b32 v5, v5, s44, v19
	v_cndmask_b32_e32 v18, v21, v18, vcc
	v_lshlrev_b32_e32 v5, 16, v5
	v_lshl_or_b32 v18, v18, 23, v5
.LBB262_944:                            ;   in Loop: Header=BB262_809 Depth=1
	s_or_b64 exec, exec, s[40:41]
.LBB262_945:                            ;   in Loop: Header=BB262_809 Depth=1
	s_or_b64 exec, exec, s[28:29]
.LBB262_946:                            ;   in Loop: Header=BB262_809 Depth=1
	s_or_b64 exec, exec, s[26:27]
	v_lshrrev_b32_e32 v5, 16, v14
	v_cmp_ne_u16_sdwa s[28:29], v5, v6 src0_sel:BYTE_0 src1_sel:DWORD
	s_and_saveexec_b64 s[26:27], s[28:29]
	s_cbranch_execz .LBB262_952
; %bb.947:                              ;   in Loop: Header=BB262_809 Depth=1
	v_cmp_ne_u16_sdwa s[40:41], v5, s42 src0_sel:BYTE_0 src1_sel:DWORD
	v_mov_b32_e32 v16, 0x8000
	s_and_saveexec_b64 s[28:29], s[40:41]
	s_cbranch_execz .LBB262_951
; %bb.948:                              ;   in Loop: Header=BB262_809 Depth=1
	v_bfe_u32 v19, v14, 16, 7
	v_cmp_ne_u32_e32 vcc, s43, v19
	v_mov_b32_e32 v16, 0x7c01
	s_and_saveexec_b64 s[40:41], vcc
	s_cbranch_execz .LBB262_950
; %bb.949:                              ;   in Loop: Header=BB262_809 Depth=1
	v_and_b32_e32 v16, 7, v5
	v_lshrrev_b32_e32 v23, 3, v19
	v_cmp_gt_u32_e32 vcc, 8, v19
	v_ffbh_u32_e32 v19, v16
	v_min_u32_e32 v19, 32, v19
	v_subrev_u32_e32 v21, 28, v19
	v_sub_u32_e32 v19, 29, v19
	v_lshlrev_b64 v[21:22], v21, v[5:6]
	v_cndmask_b32_e32 v19, v23, v19, vcc
	v_lshl_add_u32 v19, v19, 10, v45
	v_lshlrev_b32_e32 v5, 8, v5
	v_and_b32_e32 v21, 7, v21
	v_and_b32_e32 v19, 0xfc00, v19
	v_cndmask_b32_e32 v16, v16, v21, vcc
	v_and_or_b32 v5, v5, s44, v19
	v_lshl_or_b32 v16, v16, 7, v5
.LBB262_950:                            ;   in Loop: Header=BB262_809 Depth=1
	s_or_b64 exec, exec, s[40:41]
.LBB262_951:                            ;   in Loop: Header=BB262_809 Depth=1
	s_or_b64 exec, exec, s[28:29]
.LBB262_952:                            ;   in Loop: Header=BB262_809 Depth=1
	s_or_b64 exec, exec, s[26:27]
	v_cmp_lt_u64_e32 vcc, s[10:11], v[13:14]
	v_mov_b32_e32 v13, 0
	s_and_saveexec_b64 s[26:27], vcc
	s_cbranch_execz .LBB262_958
; %bb.953:                              ;   in Loop: Header=BB262_809 Depth=1
	v_lshrrev_b32_e32 v5, 24, v14
	v_cmp_ne_u32_e32 vcc, s42, v5
	v_bfrev_b32_e32 v13, 1
	s_and_saveexec_b64 s[28:29], vcc
	s_cbranch_execz .LBB262_957
; %bb.954:                              ;   in Loop: Header=BB262_809 Depth=1
	v_and_b32_e32 v14, 0x7f, v5
	v_cmp_ne_u32_e32 vcc, s43, v14
	v_mov_b32_e32 v13, 0x7c010000
	s_and_saveexec_b64 s[40:41], vcc
	s_cbranch_execz .LBB262_956
; %bb.955:                              ;   in Loop: Header=BB262_809 Depth=1
	v_and_b32_e32 v19, 7, v5
	v_ffbh_u32_e32 v13, v19
	v_min_u32_e32 v22, 32, v13
	v_subrev_u32_e32 v13, 28, v22
	v_lshrrev_b32_e32 v21, 3, v14
	v_cmp_gt_u32_e32 vcc, 8, v14
	v_lshlrev_b64 v[13:14], v13, v[5:6]
	v_sub_u32_e32 v14, 29, v22
	v_cndmask_b32_e32 v14, v21, v14, vcc
	v_lshlrev_b32_e32 v5, 8, v5
	v_lshl_add_u32 v14, v14, 10, v45
	v_and_b32_e32 v13, 7, v13
	v_and_or_b32 v5, v5, s44, v14
	v_cndmask_b32_e32 v13, v19, v13, vcc
	v_lshlrev_b32_e32 v5, 16, v5
	v_lshl_or_b32 v13, v13, 23, v5
.LBB262_956:                            ;   in Loop: Header=BB262_809 Depth=1
	s_or_b64 exec, exec, s[40:41]
.LBB262_957:                            ;   in Loop: Header=BB262_809 Depth=1
	s_or_b64 exec, exec, s[28:29]
.LBB262_958:                            ;   in Loop: Header=BB262_809 Depth=1
	s_or_b64 exec, exec, s[26:27]
	v_or_b32_e32 v3, v2, v3
	s_waitcnt vmcnt(0) lgkmcnt(0)
	v_fma_mixlo_f16 v2, v0, v2, 0 op_sel:[0,1,0] op_sel_hi:[0,1,0]
	v_or_b32_e32 v14, v4, v15
	v_fma_mixlo_f16 v4, v0, v4, 0 op_sel:[0,1,0] op_sel_hi:[0,1,0]
	v_lshlrev_b32_e32 v19, 16, v2
	v_fma_mixlo_f16 v2, v0, v3, 0 op_sel_hi:[0,1,0]
	v_or_b32_e32 v3, v18, v17
	v_or_b32_e32 v16, v13, v16
	v_lshlrev_b32_e32 v5, 16, v4
	v_fma_mixlo_f16 v4, v0, v14, 0 op_sel_hi:[0,1,0]
	v_fma_mixlo_f16 v15, v0, v18, 0 op_sel:[0,1,0] op_sel_hi:[0,1,0]
	v_fma_mixlo_f16 v3, v0, v3, 0 op_sel_hi:[0,1,0]
	v_fma_mixlo_f16 v16, v0, v16, 0 op_sel_hi:[0,1,0]
	v_fma_mixlo_f16 v0, v0, v13, 0 op_sel:[0,1,0] op_sel_hi:[0,1,0]
	v_and_b32_e32 v14, 0xffff, v4
	v_and_b32_e32 v21, 0xffff, v2
	v_lshlrev_b32_e32 v15, 16, v15
	v_and_b32_e32 v17, 0xffff, v3
	v_lshlrev_b32_e32 v0, 16, v0
	v_and_b32_e32 v13, 0xffff, v16
	v_or_b32_e32 v4, v5, v14
	v_or_b32_e32 v2, v19, v21
	;; [unrolled: 1-line block ×4, first 2 shown]
	s_and_saveexec_b64 s[26:27], s[6:7]
	s_cbranch_execz .LBB262_960
; %bb.959:                              ;   in Loop: Header=BB262_809 Depth=1
	v_cmp_lt_i32_e32 vcc, v46, v30
	v_cndmask_b32_e32 v2, 0, v21, vcc
	v_cmp_lt_i32_e32 vcc, v1, v30
	v_cndmask_b32_e32 v3, 0, v19, vcc
	v_cmp_lt_i32_e32 vcc, v20, v30
	v_or_b32_e32 v2, v2, v3
	v_cndmask_b32_e32 v3, 0, v14, vcc
	v_cmp_lt_i32_e32 vcc, v63, v30
	v_cndmask_b32_e32 v4, 0, v5, vcc
	v_cmp_lt_i32_e32 vcc, v62, v30
	v_or_b32_e32 v4, v3, v4
	;; [unrolled: 5-line block ×3, first 2 shown]
	v_cndmask_b32_e32 v5, 0, v13, vcc
	v_cmp_lt_i32_e32 vcc, v59, v30
	v_cndmask_b32_e32 v0, 0, v0, vcc
	v_or_b32_e32 v16, v5, v0
.LBB262_960:                            ;   in Loop: Header=BB262_809 Depth=1
	s_or_b64 exec, exec, s[26:27]
	;;#ASMSTART
	v_pk_mul_f16 v0, v58, v2;

	;;#ASMEND
	;;#ASMSTART
	v_pk_mul_f16 v2, v57, v4;

	;;#ASMEND
	;; [unrolled: 4-line block ×4, first 2 shown]
	;;#ASMSTART
	v_pk_add_f16 v0, v0, v2;

	;;#ASMEND
	;;#ASMSTART
	v_pk_add_f16 v0, v0, v3;

	;;#ASMEND
	;; [unrolled: 4-line block ×3, first 2 shown]
	v_lshrrev_b32_e32 v2, 16, v0
	v_and_b32_e32 v0, 0xffff, v0
	;;#ASMSTART
	v_cvt_f32_f16 v18, v0;
	;;#ASMEND
	;;#ASMSTART
	v_cvt_f32_f16 v38, v2;
	;;#ASMEND
	flat_load_dwordx2 v[13:14], v[11:12] offset:1536
	buffer_load_dword v2, off, s[0:3], s32 offset:64 ; 4-byte Folded Reload
	buffer_load_dword v3, off, s[0:3], s32 offset:68 ; 4-byte Folded Reload
	s_waitcnt vmcnt(0) lgkmcnt(0)
	v_cmp_ne_u16_sdwa s[28:29], v13, v6 src0_sel:BYTE_0 src1_sel:DWORD
	flat_load_dword v0, v[2:3]
	v_mov_b32_e32 v2, 0
	v_mov_b32_e32 v3, 0
	s_and_saveexec_b64 s[26:27], s[28:29]
	s_cbranch_execz .LBB262_966
; %bb.961:                              ;   in Loop: Header=BB262_809 Depth=1
	v_cmp_ne_u16_sdwa s[40:41], v13, s42 src0_sel:BYTE_0 src1_sel:DWORD
	v_mov_b32_e32 v3, 0x8000
	s_and_saveexec_b64 s[28:29], s[40:41]
	s_cbranch_execz .LBB262_965
; %bb.962:                              ;   in Loop: Header=BB262_809 Depth=1
	v_and_b32_e32 v4, 0x7f, v13
	v_cmp_ne_u32_e32 vcc, s43, v4
	v_mov_b32_e32 v3, 0x7c01
	s_and_saveexec_b64 s[40:41], vcc
	s_cbranch_execz .LBB262_964
; %bb.963:                              ;   in Loop: Header=BB262_809 Depth=1
	v_and_b32_e32 v5, 7, v13
	v_ffbh_u32_e32 v3, v5
	v_min_u32_e32 v16, 32, v3
	v_subrev_u32_e32 v3, 28, v16
	v_lshrrev_b32_e32 v15, 3, v4
	v_cmp_gt_u32_e32 vcc, 8, v4
	v_lshlrev_b64 v[3:4], v3, v[13:14]
	v_sub_u32_e32 v4, 29, v16
	v_cndmask_b32_e32 v4, v15, v4, vcc
	v_lshl_add_u32 v4, v4, 10, v45
	v_lshlrev_b32_e32 v15, 8, v13
	v_and_b32_e32 v3, 7, v3
	v_and_b32_e32 v4, 0xfc00, v4
	v_cndmask_b32_e32 v3, v5, v3, vcc
	v_and_or_b32 v4, v15, s44, v4
	v_lshl_or_b32 v3, v3, 7, v4
.LBB262_964:                            ;   in Loop: Header=BB262_809 Depth=1
	s_or_b64 exec, exec, s[40:41]
.LBB262_965:                            ;   in Loop: Header=BB262_809 Depth=1
	s_or_b64 exec, exec, s[28:29]
.LBB262_966:                            ;   in Loop: Header=BB262_809 Depth=1
	s_or_b64 exec, exec, s[26:27]
	v_lshrrev_b16_e32 v5, 8, v13
	v_cmp_ne_u16_e32 vcc, 0, v5
	s_and_saveexec_b64 s[26:27], vcc
	s_cbranch_execz .LBB262_972
; %bb.967:                              ;   in Loop: Header=BB262_809 Depth=1
	v_cmp_ne_u16_e32 vcc, s42, v5
	v_bfrev_b32_e32 v2, 1
	s_and_saveexec_b64 s[28:29], vcc
	s_cbranch_execz .LBB262_971
; %bb.968:                              ;   in Loop: Header=BB262_809 Depth=1
	v_and_b32_e32 v4, 0x7f, v5
	v_cmp_ne_u32_e32 vcc, s43, v4
	v_mov_b32_e32 v2, 0x7c010000
	s_and_saveexec_b64 s[40:41], vcc
	s_cbranch_execz .LBB262_970
; %bb.969:                              ;   in Loop: Header=BB262_809 Depth=1
	v_and_b32_e32 v2, 7, v5
	v_lshrrev_b32_e32 v17, 3, v4
	v_cmp_gt_u32_e32 vcc, 8, v4
	v_ffbh_u32_e32 v4, v2
	v_min_u32_e32 v4, 32, v4
	v_subrev_u32_e32 v15, 28, v4
	v_sub_u32_e32 v4, 29, v4
	v_lshlrev_b64 v[15:16], v15, v[5:6]
	v_cndmask_b32_e32 v4, v17, v4, vcc
	v_lshlrev_b32_e32 v5, 8, v5
	v_lshl_add_u32 v4, v4, 10, v45
	v_and_b32_e32 v15, 7, v15
	v_and_or_b32 v4, v5, s44, v4
	v_cndmask_b32_e32 v2, v2, v15, vcc
	v_lshlrev_b32_e32 v4, 16, v4
	v_lshl_or_b32 v2, v2, 23, v4
.LBB262_970:                            ;   in Loop: Header=BB262_809 Depth=1
	s_or_b64 exec, exec, s[40:41]
.LBB262_971:                            ;   in Loop: Header=BB262_809 Depth=1
	s_or_b64 exec, exec, s[28:29]
.LBB262_972:                            ;   in Loop: Header=BB262_809 Depth=1
	s_or_b64 exec, exec, s[26:27]
	v_lshrrev_b32_e32 v5, 16, v13
	v_cmp_ne_u16_sdwa s[28:29], v5, v6 src0_sel:BYTE_0 src1_sel:DWORD
	v_mov_b32_e32 v4, 0
	v_mov_b32_e32 v15, 0
	s_and_saveexec_b64 s[26:27], s[28:29]
	s_cbranch_execz .LBB262_978
; %bb.973:                              ;   in Loop: Header=BB262_809 Depth=1
	v_cmp_ne_u16_sdwa s[40:41], v5, s42 src0_sel:BYTE_0 src1_sel:DWORD
	v_mov_b32_e32 v15, 0x8000
	s_and_saveexec_b64 s[28:29], s[40:41]
	s_cbranch_execz .LBB262_977
; %bb.974:                              ;   in Loop: Header=BB262_809 Depth=1
	v_bfe_u32 v16, v13, 16, 7
	v_cmp_ne_u32_e32 vcc, s43, v16
	v_mov_b32_e32 v15, 0x7c01
	s_and_saveexec_b64 s[40:41], vcc
	s_cbranch_execz .LBB262_976
; %bb.975:                              ;   in Loop: Header=BB262_809 Depth=1
	v_and_b32_e32 v17, 7, v5
	v_ffbh_u32_e32 v15, v17
	v_min_u32_e32 v21, 32, v15
	v_subrev_u32_e32 v15, 28, v21
	v_lshrrev_b32_e32 v19, 3, v16
	v_cmp_gt_u32_e32 vcc, 8, v16
	v_lshlrev_b64 v[15:16], v15, v[5:6]
	v_sub_u32_e32 v16, 29, v21
	v_cndmask_b32_e32 v16, v19, v16, vcc
	v_lshl_add_u32 v16, v16, 10, v45
	v_lshlrev_b32_e32 v5, 8, v5
	v_and_b32_e32 v15, 7, v15
	v_and_b32_e32 v16, 0xfc00, v16
	v_cndmask_b32_e32 v15, v17, v15, vcc
	v_and_or_b32 v5, v5, s44, v16
	v_lshl_or_b32 v15, v15, 7, v5
.LBB262_976:                            ;   in Loop: Header=BB262_809 Depth=1
	s_or_b64 exec, exec, s[40:41]
.LBB262_977:                            ;   in Loop: Header=BB262_809 Depth=1
	s_or_b64 exec, exec, s[28:29]
.LBB262_978:                            ;   in Loop: Header=BB262_809 Depth=1
	s_or_b64 exec, exec, s[26:27]
	v_cmp_lt_u32_e32 vcc, s11, v13
	s_and_saveexec_b64 s[26:27], vcc
	s_cbranch_execz .LBB262_984
; %bb.979:                              ;   in Loop: Header=BB262_809 Depth=1
	v_lshrrev_b32_e32 v5, 24, v13
	v_cmp_ne_u32_e32 vcc, s42, v5
	v_bfrev_b32_e32 v4, 1
	s_and_saveexec_b64 s[28:29], vcc
	s_cbranch_execz .LBB262_983
; %bb.980:                              ;   in Loop: Header=BB262_809 Depth=1
	v_and_b32_e32 v16, 0x7f, v5
	v_cmp_ne_u32_e32 vcc, s43, v16
	v_mov_b32_e32 v4, 0x7c010000
	s_and_saveexec_b64 s[40:41], vcc
	s_cbranch_execz .LBB262_982
; %bb.981:                              ;   in Loop: Header=BB262_809 Depth=1
	v_and_b32_e32 v4, 7, v5
	v_lshrrev_b32_e32 v19, 3, v16
	v_cmp_gt_u32_e32 vcc, 8, v16
	v_ffbh_u32_e32 v16, v4
	v_min_u32_e32 v21, 32, v16
	v_subrev_u32_e32 v16, 28, v21
	v_lshlrev_b64 v[16:17], v16, v[5:6]
	v_sub_u32_e32 v17, 29, v21
	v_cndmask_b32_e32 v17, v19, v17, vcc
	v_lshlrev_b32_e32 v5, 8, v5
	v_lshl_add_u32 v17, v17, 10, v45
	v_and_b32_e32 v16, 7, v16
	v_and_or_b32 v5, v5, s44, v17
	v_cndmask_b32_e32 v4, v4, v16, vcc
	v_lshlrev_b32_e32 v5, 16, v5
	v_lshl_or_b32 v4, v4, 23, v5
.LBB262_982:                            ;   in Loop: Header=BB262_809 Depth=1
	s_or_b64 exec, exec, s[40:41]
.LBB262_983:                            ;   in Loop: Header=BB262_809 Depth=1
	s_or_b64 exec, exec, s[28:29]
.LBB262_984:                            ;   in Loop: Header=BB262_809 Depth=1
	s_or_b64 exec, exec, s[26:27]
	v_mov_b32_e32 v5, v14
	v_cmp_ne_u16_sdwa s[28:29], v14, v6 src0_sel:BYTE_0 src1_sel:DWORD
	v_mov_b32_e32 v16, 0
	v_mov_b32_e32 v17, 0
	s_and_saveexec_b64 s[26:27], s[28:29]
	s_cbranch_execz .LBB262_990
; %bb.985:                              ;   in Loop: Header=BB262_809 Depth=1
	v_cmp_ne_u16_sdwa s[40:41], v14, s42 src0_sel:BYTE_0 src1_sel:DWORD
	v_mov_b32_e32 v17, 0x8000
	s_and_saveexec_b64 s[28:29], s[40:41]
	s_cbranch_execz .LBB262_989
; %bb.986:                              ;   in Loop: Header=BB262_809 Depth=1
	v_and_b32_e32 v19, 0x7f, v14
	v_cmp_ne_u32_e32 vcc, s43, v19
	v_mov_b32_e32 v17, 0x7c01
	s_and_saveexec_b64 s[40:41], vcc
	s_cbranch_execz .LBB262_988
; %bb.987:                              ;   in Loop: Header=BB262_809 Depth=1
	v_and_b32_e32 v17, 7, v14
	v_lshrrev_b32_e32 v23, 3, v19
	v_cmp_gt_u32_e32 vcc, 8, v19
	v_ffbh_u32_e32 v19, v17
	v_min_u32_e32 v19, 32, v19
	v_subrev_u32_e32 v21, 28, v19
	v_sub_u32_e32 v19, 29, v19
	v_lshlrev_b64 v[21:22], v21, v[5:6]
	v_cndmask_b32_e32 v19, v23, v19, vcc
	v_lshl_add_u32 v19, v19, 10, v45
	v_lshlrev_b32_e32 v22, 8, v14
	v_and_b32_e32 v21, 7, v21
	v_and_b32_e32 v19, 0xfc00, v19
	v_cndmask_b32_e32 v17, v17, v21, vcc
	v_and_or_b32 v19, v22, s44, v19
	v_lshl_or_b32 v17, v17, 7, v19
.LBB262_988:                            ;   in Loop: Header=BB262_809 Depth=1
	s_or_b64 exec, exec, s[40:41]
.LBB262_989:                            ;   in Loop: Header=BB262_809 Depth=1
	s_or_b64 exec, exec, s[28:29]
.LBB262_990:                            ;   in Loop: Header=BB262_809 Depth=1
	s_or_b64 exec, exec, s[26:27]
	v_lshrrev_b16_e32 v5, 8, v5
	v_cmp_ne_u16_e32 vcc, 0, v5
	v_mov_b32_e32 v19, 0
	s_and_saveexec_b64 s[26:27], vcc
	s_cbranch_execz .LBB262_996
; %bb.991:                              ;   in Loop: Header=BB262_809 Depth=1
	v_cmp_ne_u16_e32 vcc, s42, v5
	v_bfrev_b32_e32 v19, 1
	s_and_saveexec_b64 s[28:29], vcc
	s_cbranch_execz .LBB262_995
; %bb.992:                              ;   in Loop: Header=BB262_809 Depth=1
	v_and_b32_e32 v21, 0x7f, v5
	v_cmp_ne_u32_e32 vcc, s43, v21
	v_mov_b32_e32 v19, 0x7c010000
	s_and_saveexec_b64 s[40:41], vcc
	s_cbranch_execz .LBB262_994
; %bb.993:                              ;   in Loop: Header=BB262_809 Depth=1
	v_and_b32_e32 v19, 7, v5
	v_lshrrev_b32_e32 v23, 3, v21
	v_cmp_gt_u32_e32 vcc, 8, v21
	v_ffbh_u32_e32 v21, v19
	v_min_u32_e32 v24, 32, v21
	v_subrev_u32_e32 v21, 28, v24
	v_lshlrev_b64 v[21:22], v21, v[5:6]
	v_sub_u32_e32 v22, 29, v24
	v_cndmask_b32_e32 v22, v23, v22, vcc
	v_lshlrev_b32_e32 v5, 8, v5
	v_lshl_add_u32 v22, v22, 10, v45
	v_and_b32_e32 v21, 7, v21
	v_and_or_b32 v5, v5, s44, v22
	v_cndmask_b32_e32 v19, v19, v21, vcc
	v_lshlrev_b32_e32 v5, 16, v5
	v_lshl_or_b32 v19, v19, 23, v5
.LBB262_994:                            ;   in Loop: Header=BB262_809 Depth=1
	s_or_b64 exec, exec, s[40:41]
.LBB262_995:                            ;   in Loop: Header=BB262_809 Depth=1
	s_or_b64 exec, exec, s[28:29]
.LBB262_996:                            ;   in Loop: Header=BB262_809 Depth=1
	s_or_b64 exec, exec, s[26:27]
	v_lshrrev_b32_e32 v5, 16, v14
	v_cmp_ne_u16_sdwa s[28:29], v5, v6 src0_sel:BYTE_0 src1_sel:DWORD
	s_and_saveexec_b64 s[26:27], s[28:29]
	s_cbranch_execz .LBB262_1002
; %bb.997:                              ;   in Loop: Header=BB262_809 Depth=1
	v_cmp_ne_u16_sdwa s[40:41], v5, s42 src0_sel:BYTE_0 src1_sel:DWORD
	v_mov_b32_e32 v16, 0x8000
	s_and_saveexec_b64 s[28:29], s[40:41]
	s_cbranch_execz .LBB262_1001
; %bb.998:                              ;   in Loop: Header=BB262_809 Depth=1
	v_bfe_u32 v21, v14, 16, 7
	v_cmp_ne_u32_e32 vcc, s43, v21
	v_mov_b32_e32 v16, 0x7c01
	s_and_saveexec_b64 s[40:41], vcc
	s_cbranch_execz .LBB262_1000
; %bb.999:                              ;   in Loop: Header=BB262_809 Depth=1
	v_and_b32_e32 v16, 7, v5
	v_lshrrev_b32_e32 v23, 3, v21
	v_cmp_gt_u32_e32 vcc, 8, v21
	v_ffbh_u32_e32 v21, v16
	v_min_u32_e32 v24, 32, v21
	v_subrev_u32_e32 v21, 28, v24
	v_lshlrev_b64 v[21:22], v21, v[5:6]
	v_sub_u32_e32 v22, 29, v24
	v_cndmask_b32_e32 v22, v23, v22, vcc
	v_lshl_add_u32 v22, v22, 10, v45
	v_and_b32_e32 v21, 7, v21
	v_lshlrev_b32_e32 v5, 8, v5
	v_cndmask_b32_e32 v16, v16, v21, vcc
	v_and_b32_e32 v21, 0xfc00, v22
	v_and_or_b32 v5, v5, s44, v21
	v_lshl_or_b32 v16, v16, 7, v5
.LBB262_1000:                           ;   in Loop: Header=BB262_809 Depth=1
	s_or_b64 exec, exec, s[40:41]
.LBB262_1001:                           ;   in Loop: Header=BB262_809 Depth=1
	s_or_b64 exec, exec, s[28:29]
.LBB262_1002:                           ;   in Loop: Header=BB262_809 Depth=1
	s_or_b64 exec, exec, s[26:27]
	v_cmp_lt_u64_e32 vcc, s[10:11], v[13:14]
	v_mov_b32_e32 v13, 0
	s_and_saveexec_b64 s[26:27], vcc
	s_cbranch_execz .LBB262_1008
; %bb.1003:                             ;   in Loop: Header=BB262_809 Depth=1
	v_lshrrev_b32_e32 v5, 24, v14
	v_cmp_ne_u32_e32 vcc, s42, v5
	v_bfrev_b32_e32 v13, 1
	s_and_saveexec_b64 s[28:29], vcc
	s_cbranch_execz .LBB262_1007
; %bb.1004:                             ;   in Loop: Header=BB262_809 Depth=1
	v_and_b32_e32 v14, 0x7f, v5
	v_cmp_ne_u32_e32 vcc, s43, v14
	v_mov_b32_e32 v13, 0x7c010000
	s_and_saveexec_b64 s[40:41], vcc
	s_cbranch_execz .LBB262_1006
; %bb.1005:                             ;   in Loop: Header=BB262_809 Depth=1
	v_and_b32_e32 v21, 7, v5
	v_ffbh_u32_e32 v13, v21
	v_min_u32_e32 v23, 32, v13
	v_subrev_u32_e32 v13, 28, v23
	v_lshrrev_b32_e32 v22, 3, v14
	v_cmp_gt_u32_e32 vcc, 8, v14
	v_lshlrev_b64 v[13:14], v13, v[5:6]
	v_sub_u32_e32 v14, 29, v23
	v_cndmask_b32_e32 v14, v22, v14, vcc
	v_lshlrev_b32_e32 v5, 8, v5
	v_lshl_add_u32 v14, v14, 10, v45
	v_and_b32_e32 v13, 7, v13
	v_and_or_b32 v5, v5, s44, v14
	v_cndmask_b32_e32 v13, v21, v13, vcc
	v_lshlrev_b32_e32 v5, 16, v5
	v_lshl_or_b32 v13, v13, 23, v5
.LBB262_1006:                           ;   in Loop: Header=BB262_809 Depth=1
	s_or_b64 exec, exec, s[40:41]
.LBB262_1007:                           ;   in Loop: Header=BB262_809 Depth=1
	s_or_b64 exec, exec, s[28:29]
.LBB262_1008:                           ;   in Loop: Header=BB262_809 Depth=1
	s_or_b64 exec, exec, s[26:27]
	v_or_b32_e32 v3, v2, v3
	s_waitcnt vmcnt(0) lgkmcnt(0)
	v_fma_mixlo_f16 v2, v0, v2, 0 op_sel:[0,1,0] op_sel_hi:[0,1,0]
	v_or_b32_e32 v14, v4, v15
	v_fma_mixlo_f16 v4, v0, v4, 0 op_sel:[0,1,0] op_sel_hi:[0,1,0]
	v_lshlrev_b32_e32 v21, 16, v2
	v_fma_mixlo_f16 v2, v0, v3, 0 op_sel_hi:[0,1,0]
	v_or_b32_e32 v3, v19, v17
	v_or_b32_e32 v16, v13, v16
	v_lshlrev_b32_e32 v5, 16, v4
	v_fma_mixlo_f16 v4, v0, v14, 0 op_sel_hi:[0,1,0]
	v_fma_mixlo_f16 v15, v0, v19, 0 op_sel:[0,1,0] op_sel_hi:[0,1,0]
	v_fma_mixlo_f16 v3, v0, v3, 0 op_sel_hi:[0,1,0]
	v_fma_mixlo_f16 v16, v0, v16, 0 op_sel_hi:[0,1,0]
	v_fma_mixlo_f16 v0, v0, v13, 0 op_sel:[0,1,0] op_sel_hi:[0,1,0]
	v_and_b32_e32 v14, 0xffff, v4
	v_and_b32_e32 v22, 0xffff, v2
	v_lshlrev_b32_e32 v15, 16, v15
	v_and_b32_e32 v17, 0xffff, v3
	v_lshlrev_b32_e32 v0, 16, v0
	v_and_b32_e32 v13, 0xffff, v16
	v_or_b32_e32 v4, v5, v14
	v_or_b32_e32 v2, v21, v22
	;; [unrolled: 1-line block ×4, first 2 shown]
	s_and_saveexec_b64 s[26:27], s[6:7]
	s_cbranch_execz .LBB262_1010
; %bb.1009:                             ;   in Loop: Header=BB262_809 Depth=1
	v_cmp_lt_i32_e32 vcc, v46, v30
	v_cndmask_b32_e32 v2, 0, v22, vcc
	v_cmp_lt_i32_e32 vcc, v1, v30
	v_cndmask_b32_e32 v3, 0, v21, vcc
	v_cmp_lt_i32_e32 vcc, v20, v30
	v_or_b32_e32 v2, v2, v3
	v_cndmask_b32_e32 v3, 0, v14, vcc
	v_cmp_lt_i32_e32 vcc, v63, v30
	v_cndmask_b32_e32 v4, 0, v5, vcc
	v_cmp_lt_i32_e32 vcc, v62, v30
	v_or_b32_e32 v4, v3, v4
	;; [unrolled: 5-line block ×3, first 2 shown]
	v_cndmask_b32_e32 v5, 0, v13, vcc
	v_cmp_lt_i32_e32 vcc, v59, v30
	v_cndmask_b32_e32 v0, 0, v0, vcc
	v_or_b32_e32 v16, v5, v0
.LBB262_1010:                           ;   in Loop: Header=BB262_809 Depth=1
	s_or_b64 exec, exec, s[26:27]
	;;#ASMSTART
	v_pk_mul_f16 v0, v58, v2;

	;;#ASMEND
	;;#ASMSTART
	v_pk_mul_f16 v2, v57, v4;

	;;#ASMEND
	;; [unrolled: 4-line block ×4, first 2 shown]
	;;#ASMSTART
	v_pk_add_f16 v0, v0, v2;

	;;#ASMEND
	;;#ASMSTART
	v_pk_add_f16 v0, v0, v3;

	;;#ASMEND
	;; [unrolled: 4-line block ×3, first 2 shown]
	v_lshrrev_b32_e32 v2, 16, v0
	v_and_b32_e32 v0, 0xffff, v0
	;;#ASMSTART
	v_cvt_f32_f16 v22, v0;
	;;#ASMEND
	;;#ASMSTART
	v_cvt_f32_f16 v3, v2;
	;;#ASMEND
	flat_load_dwordx2 v[13:14], v[11:12] offset:2048
	buffer_load_dword v4, off, s[0:3], s32 offset:64 ; 4-byte Folded Reload
	buffer_load_dword v5, off, s[0:3], s32 offset:68 ; 4-byte Folded Reload
	v_mov_b32_e32 v2, 0
	s_waitcnt vmcnt(0) lgkmcnt(0)
	v_cmp_ne_u16_sdwa s[28:29], v13, v6 src0_sel:BYTE_0 src1_sel:DWORD
	flat_load_dword v0, v[4:5]
	v_mov_b32_e32 v4, 0
	s_and_saveexec_b64 s[26:27], s[28:29]
	s_cbranch_execz .LBB262_1016
; %bb.1011:                             ;   in Loop: Header=BB262_809 Depth=1
	v_cmp_ne_u16_sdwa s[40:41], v13, s42 src0_sel:BYTE_0 src1_sel:DWORD
	v_mov_b32_e32 v4, 0x8000
	s_and_saveexec_b64 s[28:29], s[40:41]
	s_cbranch_execz .LBB262_1015
; %bb.1012:                             ;   in Loop: Header=BB262_809 Depth=1
	v_and_b32_e32 v5, 0x7f, v13
	v_cmp_ne_u32_e32 vcc, s43, v5
	v_mov_b32_e32 v4, 0x7c01
	s_and_saveexec_b64 s[40:41], vcc
	s_cbranch_execz .LBB262_1014
; %bb.1013:                             ;   in Loop: Header=BB262_809 Depth=1
	v_and_b32_e32 v15, 7, v13
	v_ffbh_u32_e32 v4, v15
	v_min_u32_e32 v17, 32, v4
	v_subrev_u32_e32 v4, 28, v17
	v_lshrrev_b32_e32 v16, 3, v5
	v_cmp_gt_u32_e32 vcc, 8, v5
	v_lshlrev_b64 v[4:5], v4, v[13:14]
	v_sub_u32_e32 v5, 29, v17
	v_cndmask_b32_e32 v5, v16, v5, vcc
	v_lshl_add_u32 v5, v5, 10, v45
	v_lshlrev_b32_e32 v16, 8, v13
	v_and_b32_e32 v4, 7, v4
	v_and_b32_e32 v5, 0xfc00, v5
	v_cndmask_b32_e32 v4, v15, v4, vcc
	v_and_or_b32 v5, v16, s44, v5
	v_lshl_or_b32 v4, v4, 7, v5
.LBB262_1014:                           ;   in Loop: Header=BB262_809 Depth=1
	s_or_b64 exec, exec, s[40:41]
.LBB262_1015:                           ;   in Loop: Header=BB262_809 Depth=1
	s_or_b64 exec, exec, s[28:29]
.LBB262_1016:                           ;   in Loop: Header=BB262_809 Depth=1
	s_or_b64 exec, exec, s[26:27]
	v_lshrrev_b16_e32 v5, 8, v13
	v_cmp_ne_u16_e32 vcc, 0, v5
	s_and_saveexec_b64 s[26:27], vcc
	s_cbranch_execz .LBB262_1022
; %bb.1017:                             ;   in Loop: Header=BB262_809 Depth=1
	v_cmp_ne_u16_e32 vcc, s42, v5
	v_bfrev_b32_e32 v2, 1
	s_and_saveexec_b64 s[28:29], vcc
	s_cbranch_execz .LBB262_1021
; %bb.1018:                             ;   in Loop: Header=BB262_809 Depth=1
	v_and_b32_e32 v15, 0x7f, v5
	v_cmp_ne_u32_e32 vcc, s43, v15
	v_mov_b32_e32 v2, 0x7c010000
	s_and_saveexec_b64 s[40:41], vcc
	s_cbranch_execz .LBB262_1020
; %bb.1019:                             ;   in Loop: Header=BB262_809 Depth=1
	v_and_b32_e32 v2, 7, v5
	v_lshrrev_b32_e32 v17, 3, v15
	v_cmp_gt_u32_e32 vcc, 8, v15
	v_ffbh_u32_e32 v15, v2
	v_min_u32_e32 v19, 32, v15
	v_subrev_u32_e32 v15, 28, v19
	v_lshlrev_b64 v[15:16], v15, v[5:6]
	v_sub_u32_e32 v16, 29, v19
	v_cndmask_b32_e32 v16, v17, v16, vcc
	v_lshlrev_b32_e32 v5, 8, v5
	v_lshl_add_u32 v16, v16, 10, v45
	v_and_b32_e32 v15, 7, v15
	v_and_or_b32 v5, v5, s44, v16
	v_cndmask_b32_e32 v2, v2, v15, vcc
	v_lshlrev_b32_e32 v5, 16, v5
	v_lshl_or_b32 v2, v2, 23, v5
.LBB262_1020:                           ;   in Loop: Header=BB262_809 Depth=1
	s_or_b64 exec, exec, s[40:41]
.LBB262_1021:                           ;   in Loop: Header=BB262_809 Depth=1
	s_or_b64 exec, exec, s[28:29]
.LBB262_1022:                           ;   in Loop: Header=BB262_809 Depth=1
	s_or_b64 exec, exec, s[26:27]
	v_lshrrev_b32_e32 v5, 16, v13
	v_cmp_ne_u16_sdwa s[28:29], v5, v6 src0_sel:BYTE_0 src1_sel:DWORD
	v_mov_b32_e32 v15, 0
	v_mov_b32_e32 v16, 0
	s_and_saveexec_b64 s[26:27], s[28:29]
	s_cbranch_execz .LBB262_1028
; %bb.1023:                             ;   in Loop: Header=BB262_809 Depth=1
	v_cmp_ne_u16_sdwa s[40:41], v5, s42 src0_sel:BYTE_0 src1_sel:DWORD
	v_mov_b32_e32 v16, 0x8000
	s_and_saveexec_b64 s[28:29], s[40:41]
	s_cbranch_execz .LBB262_1027
; %bb.1024:                             ;   in Loop: Header=BB262_809 Depth=1
	v_bfe_u32 v17, v13, 16, 7
	v_cmp_ne_u32_e32 vcc, s43, v17
	v_mov_b32_e32 v16, 0x7c01
	s_and_saveexec_b64 s[40:41], vcc
	s_cbranch_execz .LBB262_1026
; %bb.1025:                             ;   in Loop: Header=BB262_809 Depth=1
	v_and_b32_e32 v19, 7, v5
	v_ffbh_u32_e32 v16, v19
	v_min_u32_e32 v23, 32, v16
	v_subrev_u32_e32 v16, 28, v23
	v_lshrrev_b32_e32 v21, 3, v17
	v_cmp_gt_u32_e32 vcc, 8, v17
	v_lshlrev_b64 v[16:17], v16, v[5:6]
	v_sub_u32_e32 v17, 29, v23
	v_cndmask_b32_e32 v17, v21, v17, vcc
	v_lshl_add_u32 v17, v17, 10, v45
	v_lshlrev_b32_e32 v5, 8, v5
	v_and_b32_e32 v16, 7, v16
	v_and_b32_e32 v17, 0xfc00, v17
	v_cndmask_b32_e32 v16, v19, v16, vcc
	v_and_or_b32 v5, v5, s44, v17
	v_lshl_or_b32 v16, v16, 7, v5
.LBB262_1026:                           ;   in Loop: Header=BB262_809 Depth=1
	s_or_b64 exec, exec, s[40:41]
.LBB262_1027:                           ;   in Loop: Header=BB262_809 Depth=1
	s_or_b64 exec, exec, s[28:29]
.LBB262_1028:                           ;   in Loop: Header=BB262_809 Depth=1
	s_or_b64 exec, exec, s[26:27]
	v_cmp_lt_u32_e32 vcc, s11, v13
	s_and_saveexec_b64 s[26:27], vcc
	s_cbranch_execz .LBB262_1034
; %bb.1029:                             ;   in Loop: Header=BB262_809 Depth=1
	v_lshrrev_b32_e32 v5, 24, v13
	v_cmp_ne_u32_e32 vcc, s42, v5
	v_bfrev_b32_e32 v15, 1
	s_and_saveexec_b64 s[28:29], vcc
	s_cbranch_execz .LBB262_1033
; %bb.1030:                             ;   in Loop: Header=BB262_809 Depth=1
	v_and_b32_e32 v17, 0x7f, v5
	v_cmp_ne_u32_e32 vcc, s43, v17
	v_mov_b32_e32 v15, 0x7c010000
	s_and_saveexec_b64 s[40:41], vcc
	s_cbranch_execz .LBB262_1032
; %bb.1031:                             ;   in Loop: Header=BB262_809 Depth=1
	v_and_b32_e32 v15, 7, v5
	v_lshrrev_b32_e32 v19, 3, v17
	v_cmp_gt_u32_e32 vcc, 8, v17
	v_ffbh_u32_e32 v17, v15
	v_min_u32_e32 v17, 32, v17
	v_subrev_u32_e32 v21, 28, v17
	v_sub_u32_e32 v17, 29, v17
	v_lshlrev_b64 v[23:24], v21, v[5:6]
	v_cndmask_b32_e32 v17, v19, v17, vcc
	v_lshlrev_b32_e32 v5, 8, v5
	v_lshl_add_u32 v17, v17, 10, v45
	v_and_b32_e32 v19, 7, v23
	v_and_or_b32 v5, v5, s44, v17
	v_cndmask_b32_e32 v15, v15, v19, vcc
	v_lshlrev_b32_e32 v5, 16, v5
	v_lshl_or_b32 v15, v15, 23, v5
.LBB262_1032:                           ;   in Loop: Header=BB262_809 Depth=1
	s_or_b64 exec, exec, s[40:41]
.LBB262_1033:                           ;   in Loop: Header=BB262_809 Depth=1
	s_or_b64 exec, exec, s[28:29]
.LBB262_1034:                           ;   in Loop: Header=BB262_809 Depth=1
	s_or_b64 exec, exec, s[26:27]
	v_mov_b32_e32 v5, v14
	v_cmp_ne_u16_sdwa s[28:29], v14, v6 src0_sel:BYTE_0 src1_sel:DWORD
	v_mov_b32_e32 v17, 0
	v_mov_b32_e32 v19, 0
	s_and_saveexec_b64 s[26:27], s[28:29]
	s_cbranch_execz .LBB262_1040
; %bb.1035:                             ;   in Loop: Header=BB262_809 Depth=1
	v_cmp_ne_u16_sdwa s[40:41], v14, s42 src0_sel:BYTE_0 src1_sel:DWORD
	v_mov_b32_e32 v19, 0x8000
	s_and_saveexec_b64 s[28:29], s[40:41]
	s_cbranch_execz .LBB262_1039
; %bb.1036:                             ;   in Loop: Header=BB262_809 Depth=1
	v_and_b32_e32 v21, 0x7f, v14
	v_cmp_ne_u32_e32 vcc, s43, v21
	v_mov_b32_e32 v19, 0x7c01
	s_and_saveexec_b64 s[40:41], vcc
	s_cbranch_execz .LBB262_1038
; %bb.1037:                             ;   in Loop: Header=BB262_809 Depth=1
	v_and_b32_e32 v19, 7, v14
	v_lshrrev_b32_e32 v25, 3, v21
	v_cmp_gt_u32_e32 vcc, 8, v21
	v_ffbh_u32_e32 v21, v19
	v_min_u32_e32 v21, 32, v21
	v_subrev_u32_e32 v23, 28, v21
	v_sub_u32_e32 v21, 29, v21
	v_lshlrev_b64 v[23:24], v23, v[5:6]
	v_cndmask_b32_e32 v21, v25, v21, vcc
	v_lshl_add_u32 v21, v21, 10, v45
	v_lshlrev_b32_e32 v24, 8, v14
	v_and_b32_e32 v23, 7, v23
	v_and_b32_e32 v21, 0xfc00, v21
	v_cndmask_b32_e32 v19, v19, v23, vcc
	v_and_or_b32 v21, v24, s44, v21
	v_lshl_or_b32 v19, v19, 7, v21
.LBB262_1038:                           ;   in Loop: Header=BB262_809 Depth=1
	s_or_b64 exec, exec, s[40:41]
.LBB262_1039:                           ;   in Loop: Header=BB262_809 Depth=1
	s_or_b64 exec, exec, s[28:29]
.LBB262_1040:                           ;   in Loop: Header=BB262_809 Depth=1
	s_or_b64 exec, exec, s[26:27]
	v_lshrrev_b16_e32 v5, 8, v5
	v_cmp_ne_u16_e32 vcc, 0, v5
	v_mov_b32_e32 v21, 0
	s_and_saveexec_b64 s[26:27], vcc
	s_cbranch_execz .LBB262_1046
; %bb.1041:                             ;   in Loop: Header=BB262_809 Depth=1
	v_cmp_ne_u16_e32 vcc, s42, v5
	v_bfrev_b32_e32 v21, 1
	s_and_saveexec_b64 s[28:29], vcc
	s_cbranch_execz .LBB262_1045
; %bb.1042:                             ;   in Loop: Header=BB262_809 Depth=1
	v_and_b32_e32 v23, 0x7f, v5
	v_cmp_ne_u32_e32 vcc, s43, v23
	v_mov_b32_e32 v21, 0x7c010000
	s_and_saveexec_b64 s[40:41], vcc
	s_cbranch_execz .LBB262_1044
; %bb.1043:                             ;   in Loop: Header=BB262_809 Depth=1
	v_and_b32_e32 v21, 7, v5
	v_lshrrev_b32_e32 v25, 3, v23
	v_cmp_gt_u32_e32 vcc, 8, v23
	v_ffbh_u32_e32 v23, v21
	v_min_u32_e32 v27, 32, v23
	v_subrev_u32_e32 v23, 28, v27
	v_lshlrev_b64 v[23:24], v23, v[5:6]
	v_sub_u32_e32 v24, 29, v27
	v_cndmask_b32_e32 v24, v25, v24, vcc
	v_lshlrev_b32_e32 v5, 8, v5
	v_lshl_add_u32 v24, v24, 10, v45
	v_and_b32_e32 v23, 7, v23
	v_and_or_b32 v5, v5, s44, v24
	v_cndmask_b32_e32 v21, v21, v23, vcc
	v_lshlrev_b32_e32 v5, 16, v5
	v_lshl_or_b32 v21, v21, 23, v5
.LBB262_1044:                           ;   in Loop: Header=BB262_809 Depth=1
	s_or_b64 exec, exec, s[40:41]
.LBB262_1045:                           ;   in Loop: Header=BB262_809 Depth=1
	s_or_b64 exec, exec, s[28:29]
.LBB262_1046:                           ;   in Loop: Header=BB262_809 Depth=1
	s_or_b64 exec, exec, s[26:27]
	v_lshrrev_b32_e32 v5, 16, v14
	v_cmp_ne_u16_sdwa s[28:29], v5, v6 src0_sel:BYTE_0 src1_sel:DWORD
	s_and_saveexec_b64 s[26:27], s[28:29]
	s_cbranch_execz .LBB262_1052
; %bb.1047:                             ;   in Loop: Header=BB262_809 Depth=1
	v_cmp_ne_u16_sdwa s[40:41], v5, s42 src0_sel:BYTE_0 src1_sel:DWORD
	v_mov_b32_e32 v17, 0x8000
	s_and_saveexec_b64 s[28:29], s[40:41]
	s_cbranch_execz .LBB262_1051
; %bb.1048:                             ;   in Loop: Header=BB262_809 Depth=1
	v_bfe_u32 v23, v14, 16, 7
	v_cmp_ne_u32_e32 vcc, s43, v23
	v_mov_b32_e32 v17, 0x7c01
	s_and_saveexec_b64 s[40:41], vcc
	s_cbranch_execz .LBB262_1050
; %bb.1049:                             ;   in Loop: Header=BB262_809 Depth=1
	v_and_b32_e32 v17, 7, v5
	v_lshrrev_b32_e32 v25, 3, v23
	v_cmp_gt_u32_e32 vcc, 8, v23
	v_ffbh_u32_e32 v23, v17
	v_min_u32_e32 v27, 32, v23
	v_subrev_u32_e32 v23, 28, v27
	v_lshlrev_b64 v[23:24], v23, v[5:6]
	v_sub_u32_e32 v24, 29, v27
	v_cndmask_b32_e32 v24, v25, v24, vcc
	v_lshl_add_u32 v24, v24, 10, v45
	v_and_b32_e32 v23, 7, v23
	v_lshlrev_b32_e32 v5, 8, v5
	v_cndmask_b32_e32 v17, v17, v23, vcc
	v_and_b32_e32 v23, 0xfc00, v24
	v_and_or_b32 v5, v5, s44, v23
	v_lshl_or_b32 v17, v17, 7, v5
.LBB262_1050:                           ;   in Loop: Header=BB262_809 Depth=1
	s_or_b64 exec, exec, s[40:41]
.LBB262_1051:                           ;   in Loop: Header=BB262_809 Depth=1
	s_or_b64 exec, exec, s[28:29]
.LBB262_1052:                           ;   in Loop: Header=BB262_809 Depth=1
	s_or_b64 exec, exec, s[26:27]
	v_cmp_lt_u64_e32 vcc, s[10:11], v[13:14]
	v_mov_b32_e32 v13, 0
	s_and_saveexec_b64 s[26:27], vcc
	s_cbranch_execz .LBB262_1058
; %bb.1053:                             ;   in Loop: Header=BB262_809 Depth=1
	v_lshrrev_b32_e32 v5, 24, v14
	v_cmp_ne_u32_e32 vcc, s42, v5
	v_bfrev_b32_e32 v13, 1
	s_and_saveexec_b64 s[28:29], vcc
	s_cbranch_execz .LBB262_1057
; %bb.1054:                             ;   in Loop: Header=BB262_809 Depth=1
	v_and_b32_e32 v14, 0x7f, v5
	v_cmp_ne_u32_e32 vcc, s43, v14
	v_mov_b32_e32 v13, 0x7c010000
	s_and_saveexec_b64 s[40:41], vcc
	s_cbranch_execz .LBB262_1056
; %bb.1055:                             ;   in Loop: Header=BB262_809 Depth=1
	v_and_b32_e32 v23, 7, v5
	v_ffbh_u32_e32 v13, v23
	v_min_u32_e32 v25, 32, v13
	v_subrev_u32_e32 v13, 28, v25
	v_lshrrev_b32_e32 v24, 3, v14
	v_cmp_gt_u32_e32 vcc, 8, v14
	v_lshlrev_b64 v[13:14], v13, v[5:6]
	v_sub_u32_e32 v14, 29, v25
	v_cndmask_b32_e32 v14, v24, v14, vcc
	v_lshlrev_b32_e32 v5, 8, v5
	v_lshl_add_u32 v14, v14, 10, v45
	v_and_b32_e32 v13, 7, v13
	v_and_or_b32 v5, v5, s44, v14
	v_cndmask_b32_e32 v13, v23, v13, vcc
	v_lshlrev_b32_e32 v5, 16, v5
	v_lshl_or_b32 v13, v13, 23, v5
.LBB262_1056:                           ;   in Loop: Header=BB262_809 Depth=1
	s_or_b64 exec, exec, s[40:41]
.LBB262_1057:                           ;   in Loop: Header=BB262_809 Depth=1
	s_or_b64 exec, exec, s[28:29]
.LBB262_1058:                           ;   in Loop: Header=BB262_809 Depth=1
	s_or_b64 exec, exec, s[26:27]
	v_or_b32_e32 v4, v2, v4
	s_waitcnt vmcnt(0) lgkmcnt(0)
	v_fma_mixlo_f16 v2, v0, v2, 0 op_sel:[0,1,0] op_sel_hi:[0,1,0]
	v_or_b32_e32 v5, v15, v16
	v_lshlrev_b32_e32 v23, 16, v2
	v_fma_mixlo_f16 v2, v0, v4, 0 op_sel_hi:[0,1,0]
	v_or_b32_e32 v4, v21, v19
	v_or_b32_e32 v17, v13, v17
	v_fma_mixlo_f16 v14, v0, v15, 0 op_sel:[0,1,0] op_sel_hi:[0,1,0]
	v_fma_mixlo_f16 v5, v0, v5, 0 op_sel_hi:[0,1,0]
	v_fma_mixlo_f16 v16, v0, v21, 0 op_sel:[0,1,0] op_sel_hi:[0,1,0]
	v_fma_mixlo_f16 v4, v0, v4, 0 op_sel_hi:[0,1,0]
	v_fma_mixlo_f16 v17, v0, v17, 0 op_sel_hi:[0,1,0]
	v_fma_mixlo_f16 v0, v0, v13, 0 op_sel:[0,1,0] op_sel_hi:[0,1,0]
	v_lshlrev_b32_e32 v14, 16, v14
	v_and_b32_e32 v15, 0xffff, v5
	v_and_b32_e32 v24, 0xffff, v2
	v_lshlrev_b32_e32 v16, 16, v16
	v_and_b32_e32 v19, 0xffff, v4
	v_lshlrev_b32_e32 v0, 16, v0
	v_and_b32_e32 v13, 0xffff, v17
	v_or_b32_e32 v5, v14, v15
	v_or_b32_e32 v2, v23, v24
	;; [unrolled: 1-line block ×4, first 2 shown]
	s_and_saveexec_b64 s[26:27], s[6:7]
	s_cbranch_execz .LBB262_1060
; %bb.1059:                             ;   in Loop: Header=BB262_809 Depth=1
	v_cmp_lt_i32_e32 vcc, v46, v30
	v_cndmask_b32_e32 v2, 0, v24, vcc
	v_cmp_lt_i32_e32 vcc, v1, v30
	v_cndmask_b32_e32 v4, 0, v23, vcc
	v_cmp_lt_i32_e32 vcc, v20, v30
	v_or_b32_e32 v2, v2, v4
	v_cndmask_b32_e32 v4, 0, v15, vcc
	v_cmp_lt_i32_e32 vcc, v63, v30
	v_cndmask_b32_e32 v5, 0, v14, vcc
	v_cmp_lt_i32_e32 vcc, v62, v30
	v_or_b32_e32 v5, v4, v5
	v_cndmask_b32_e32 v4, 0, v19, vcc
	v_cmp_lt_i32_e32 vcc, v61, v30
	v_cndmask_b32_e32 v14, 0, v16, vcc
	v_cmp_lt_i32_e32 vcc, v60, v30
	;; [unrolled: 2-line block ×3, first 2 shown]
	v_cndmask_b32_e32 v0, 0, v0, vcc
	v_or_b32_e32 v4, v4, v14
	v_or_b32_e32 v17, v13, v0
.LBB262_1060:                           ;   in Loop: Header=BB262_809 Depth=1
	s_or_b64 exec, exec, s[26:27]
	;;#ASMSTART
	v_pk_mul_f16 v0, v58, v2;

	;;#ASMEND
	;;#ASMSTART
	v_pk_mul_f16 v2, v57, v5;

	;;#ASMEND
	;; [unrolled: 4-line block ×4, first 2 shown]
	;;#ASMSTART
	v_pk_add_f16 v0, v0, v2;

	;;#ASMEND
	;;#ASMSTART
	v_pk_add_f16 v0, v0, v4;

	;;#ASMEND
	;; [unrolled: 4-line block ×3, first 2 shown]
	v_lshrrev_b32_e32 v2, 16, v0
	v_and_b32_e32 v0, 0xffff, v0
	;;#ASMSTART
	v_cvt_f32_f16 v4, v0;
	;;#ASMEND
	;;#ASMSTART
	v_cvt_f32_f16 v2, v2;
	;;#ASMEND
	flat_load_dwordx2 v[13:14], v[11:12] offset:2560
	buffer_load_dword v15, off, s[0:3], s32 offset:64 ; 4-byte Folded Reload
	buffer_load_dword v16, off, s[0:3], s32 offset:68 ; 4-byte Folded Reload
	s_waitcnt vmcnt(0) lgkmcnt(0)
	v_cmp_ne_u16_sdwa s[28:29], v13, v6 src0_sel:BYTE_0 src1_sel:DWORD
	flat_load_dword v0, v[15:16]
	v_mov_b32_e32 v15, 0
	v_mov_b32_e32 v16, 0
	s_and_saveexec_b64 s[26:27], s[28:29]
	s_cbranch_execz .LBB262_1066
; %bb.1061:                             ;   in Loop: Header=BB262_809 Depth=1
	v_cmp_ne_u16_sdwa s[40:41], v13, s42 src0_sel:BYTE_0 src1_sel:DWORD
	v_mov_b32_e32 v16, 0x8000
	s_and_saveexec_b64 s[28:29], s[40:41]
	s_cbranch_execz .LBB262_1065
; %bb.1062:                             ;   in Loop: Header=BB262_809 Depth=1
	v_and_b32_e32 v5, 0x7f, v13
	v_cmp_ne_u32_e32 vcc, s43, v5
	v_mov_b32_e32 v16, 0x7c01
	s_and_saveexec_b64 s[40:41], vcc
	s_cbranch_execz .LBB262_1064
; %bb.1063:                             ;   in Loop: Header=BB262_809 Depth=1
	v_and_b32_e32 v19, 7, v13
	v_lshrrev_b32_e32 v21, 3, v5
	v_cmp_gt_u32_e32 vcc, 8, v5
	v_ffbh_u32_e32 v5, v19
	v_min_u32_e32 v5, 32, v5
	v_subrev_u32_e32 v16, 28, v5
	v_sub_u32_e32 v5, 29, v5
	v_lshlrev_b64 v[16:17], v16, v[13:14]
	v_cndmask_b32_e32 v5, v21, v5, vcc
	v_lshl_add_u32 v5, v5, 10, v45
	v_lshlrev_b32_e32 v17, 8, v13
	v_and_b32_e32 v16, 7, v16
	v_and_b32_e32 v5, 0xfc00, v5
	v_cndmask_b32_e32 v16, v19, v16, vcc
	v_and_or_b32 v5, v17, s44, v5
	v_lshl_or_b32 v16, v16, 7, v5
.LBB262_1064:                           ;   in Loop: Header=BB262_809 Depth=1
	s_or_b64 exec, exec, s[40:41]
.LBB262_1065:                           ;   in Loop: Header=BB262_809 Depth=1
	s_or_b64 exec, exec, s[28:29]
.LBB262_1066:                           ;   in Loop: Header=BB262_809 Depth=1
	s_or_b64 exec, exec, s[26:27]
	v_lshrrev_b16_e32 v5, 8, v13
	v_cmp_ne_u16_e32 vcc, 0, v5
	s_and_saveexec_b64 s[26:27], vcc
	s_cbranch_execz .LBB262_1072
; %bb.1067:                             ;   in Loop: Header=BB262_809 Depth=1
	v_cmp_ne_u16_e32 vcc, s42, v5
	v_bfrev_b32_e32 v15, 1
	s_and_saveexec_b64 s[28:29], vcc
	s_cbranch_execz .LBB262_1071
; %bb.1068:                             ;   in Loop: Header=BB262_809 Depth=1
	v_and_b32_e32 v17, 0x7f, v5
	v_cmp_ne_u32_e32 vcc, s43, v17
	v_mov_b32_e32 v15, 0x7c010000
	s_and_saveexec_b64 s[40:41], vcc
	s_cbranch_execz .LBB262_1070
; %bb.1069:                             ;   in Loop: Header=BB262_809 Depth=1
	v_and_b32_e32 v15, 7, v5
	v_lshrrev_b32_e32 v19, 3, v17
	v_cmp_gt_u32_e32 vcc, 8, v17
	v_ffbh_u32_e32 v17, v15
	v_min_u32_e32 v17, 32, v17
	v_subrev_u32_e32 v21, 28, v17
	v_sub_u32_e32 v17, 29, v17
	v_lshlrev_b64 v[23:24], v21, v[5:6]
	v_cndmask_b32_e32 v17, v19, v17, vcc
	v_lshlrev_b32_e32 v5, 8, v5
	v_lshl_add_u32 v17, v17, 10, v45
	v_and_b32_e32 v19, 7, v23
	v_and_or_b32 v5, v5, s44, v17
	v_cndmask_b32_e32 v15, v15, v19, vcc
	v_lshlrev_b32_e32 v5, 16, v5
	v_lshl_or_b32 v15, v15, 23, v5
.LBB262_1070:                           ;   in Loop: Header=BB262_809 Depth=1
	s_or_b64 exec, exec, s[40:41]
.LBB262_1071:                           ;   in Loop: Header=BB262_809 Depth=1
	s_or_b64 exec, exec, s[28:29]
.LBB262_1072:                           ;   in Loop: Header=BB262_809 Depth=1
	s_or_b64 exec, exec, s[26:27]
	v_lshrrev_b32_e32 v5, 16, v13
	v_cmp_ne_u16_sdwa s[28:29], v5, v6 src0_sel:BYTE_0 src1_sel:DWORD
	v_mov_b32_e32 v17, 0
	v_mov_b32_e32 v19, 0
	s_and_saveexec_b64 s[26:27], s[28:29]
	s_cbranch_execz .LBB262_1078
; %bb.1073:                             ;   in Loop: Header=BB262_809 Depth=1
	v_cmp_ne_u16_sdwa s[40:41], v5, s42 src0_sel:BYTE_0 src1_sel:DWORD
	v_mov_b32_e32 v19, 0x8000
	s_and_saveexec_b64 s[28:29], s[40:41]
	s_cbranch_execz .LBB262_1077
; %bb.1074:                             ;   in Loop: Header=BB262_809 Depth=1
	v_bfe_u32 v21, v13, 16, 7
	v_cmp_ne_u32_e32 vcc, s43, v21
	v_mov_b32_e32 v19, 0x7c01
	s_and_saveexec_b64 s[40:41], vcc
	s_cbranch_execz .LBB262_1076
; %bb.1075:                             ;   in Loop: Header=BB262_809 Depth=1
	v_and_b32_e32 v19, 7, v5
	v_lshrrev_b32_e32 v25, 3, v21
	v_cmp_gt_u32_e32 vcc, 8, v21
	v_ffbh_u32_e32 v21, v19
	v_min_u32_e32 v21, 32, v21
	v_subrev_u32_e32 v23, 28, v21
	v_sub_u32_e32 v21, 29, v21
	v_lshlrev_b64 v[23:24], v23, v[5:6]
	v_cndmask_b32_e32 v21, v25, v21, vcc
	v_lshl_add_u32 v21, v21, 10, v45
	v_lshlrev_b32_e32 v5, 8, v5
	v_and_b32_e32 v23, 7, v23
	v_and_b32_e32 v21, 0xfc00, v21
	v_cndmask_b32_e32 v19, v19, v23, vcc
	v_and_or_b32 v5, v5, s44, v21
	v_lshl_or_b32 v19, v19, 7, v5
.LBB262_1076:                           ;   in Loop: Header=BB262_809 Depth=1
	s_or_b64 exec, exec, s[40:41]
.LBB262_1077:                           ;   in Loop: Header=BB262_809 Depth=1
	s_or_b64 exec, exec, s[28:29]
.LBB262_1078:                           ;   in Loop: Header=BB262_809 Depth=1
	s_or_b64 exec, exec, s[26:27]
	v_cmp_lt_u32_e32 vcc, s11, v13
	s_and_saveexec_b64 s[26:27], vcc
	s_cbranch_execz .LBB262_1084
; %bb.1079:                             ;   in Loop: Header=BB262_809 Depth=1
	v_lshrrev_b32_e32 v5, 24, v13
	v_cmp_ne_u32_e32 vcc, s42, v5
	v_bfrev_b32_e32 v17, 1
	s_and_saveexec_b64 s[28:29], vcc
	s_cbranch_execz .LBB262_1083
; %bb.1080:                             ;   in Loop: Header=BB262_809 Depth=1
	v_and_b32_e32 v21, 0x7f, v5
	v_cmp_ne_u32_e32 vcc, s43, v21
	v_mov_b32_e32 v17, 0x7c010000
	s_and_saveexec_b64 s[40:41], vcc
	s_cbranch_execz .LBB262_1082
; %bb.1081:                             ;   in Loop: Header=BB262_809 Depth=1
	v_and_b32_e32 v17, 7, v5
	v_lshrrev_b32_e32 v25, 3, v21
	v_cmp_gt_u32_e32 vcc, 8, v21
	v_ffbh_u32_e32 v21, v17
	v_min_u32_e32 v21, 32, v21
	v_subrev_u32_e32 v23, 28, v21
	v_sub_u32_e32 v21, 29, v21
	v_lshlrev_b64 v[23:24], v23, v[5:6]
	v_cndmask_b32_e32 v21, v25, v21, vcc
	v_lshlrev_b32_e32 v5, 8, v5
	v_lshl_add_u32 v21, v21, 10, v45
	v_and_b32_e32 v23, 7, v23
	v_and_or_b32 v5, v5, s44, v21
	v_cndmask_b32_e32 v17, v17, v23, vcc
	v_lshlrev_b32_e32 v5, 16, v5
	v_lshl_or_b32 v17, v17, 23, v5
.LBB262_1082:                           ;   in Loop: Header=BB262_809 Depth=1
	s_or_b64 exec, exec, s[40:41]
.LBB262_1083:                           ;   in Loop: Header=BB262_809 Depth=1
	s_or_b64 exec, exec, s[28:29]
.LBB262_1084:                           ;   in Loop: Header=BB262_809 Depth=1
	s_or_b64 exec, exec, s[26:27]
	v_mov_b32_e32 v5, v14
	v_cmp_ne_u16_sdwa s[28:29], v14, v6 src0_sel:BYTE_0 src1_sel:DWORD
	v_mov_b32_e32 v21, 0
	v_mov_b32_e32 v23, 0
	s_and_saveexec_b64 s[26:27], s[28:29]
	s_cbranch_execz .LBB262_1090
; %bb.1085:                             ;   in Loop: Header=BB262_809 Depth=1
	v_cmp_ne_u16_sdwa s[40:41], v14, s42 src0_sel:BYTE_0 src1_sel:DWORD
	v_mov_b32_e32 v23, 0x8000
	s_and_saveexec_b64 s[28:29], s[40:41]
	s_cbranch_execz .LBB262_1089
; %bb.1086:                             ;   in Loop: Header=BB262_809 Depth=1
	v_and_b32_e32 v24, 0x7f, v14
	v_cmp_ne_u32_e32 vcc, s43, v24
	v_mov_b32_e32 v23, 0x7c01
	s_and_saveexec_b64 s[40:41], vcc
	s_cbranch_execz .LBB262_1088
; %bb.1087:                             ;   in Loop: Header=BB262_809 Depth=1
	v_and_b32_e32 v25, 7, v14
	v_ffbh_u32_e32 v23, v25
	v_min_u32_e32 v28, 32, v23
	v_subrev_u32_e32 v23, 28, v28
	v_lshrrev_b32_e32 v27, 3, v24
	v_cmp_gt_u32_e32 vcc, 8, v24
	v_lshlrev_b64 v[23:24], v23, v[5:6]
	v_sub_u32_e32 v24, 29, v28
	v_cndmask_b32_e32 v24, v27, v24, vcc
	v_lshl_add_u32 v24, v24, 10, v45
	v_lshlrev_b32_e32 v27, 8, v14
	v_and_b32_e32 v23, 7, v23
	v_and_b32_e32 v24, 0xfc00, v24
	v_cndmask_b32_e32 v23, v25, v23, vcc
	v_and_or_b32 v24, v27, s44, v24
	v_lshl_or_b32 v23, v23, 7, v24
.LBB262_1088:                           ;   in Loop: Header=BB262_809 Depth=1
	s_or_b64 exec, exec, s[40:41]
.LBB262_1089:                           ;   in Loop: Header=BB262_809 Depth=1
	s_or_b64 exec, exec, s[28:29]
.LBB262_1090:                           ;   in Loop: Header=BB262_809 Depth=1
	s_or_b64 exec, exec, s[26:27]
	v_lshrrev_b16_e32 v5, 8, v5
	v_cmp_ne_u16_e32 vcc, 0, v5
	v_mov_b32_e32 v24, 0
	s_and_saveexec_b64 s[26:27], vcc
	s_cbranch_execz .LBB262_1096
; %bb.1091:                             ;   in Loop: Header=BB262_809 Depth=1
	v_cmp_ne_u16_e32 vcc, s42, v5
	v_bfrev_b32_e32 v24, 1
	s_and_saveexec_b64 s[28:29], vcc
	s_cbranch_execz .LBB262_1095
; %bb.1092:                             ;   in Loop: Header=BB262_809 Depth=1
	v_and_b32_e32 v25, 0x7f, v5
	v_cmp_ne_u32_e32 vcc, s43, v25
	v_mov_b32_e32 v24, 0x7c010000
	s_and_saveexec_b64 s[40:41], vcc
	s_cbranch_execz .LBB262_1094
; %bb.1093:                             ;   in Loop: Header=BB262_809 Depth=1
	v_and_b32_e32 v27, 7, v5
	v_ffbh_u32_e32 v24, v27
	v_min_u32_e32 v29, 32, v24
	v_subrev_u32_e32 v24, 28, v29
	v_lshrrev_b32_e32 v28, 3, v25
	v_cmp_gt_u32_e32 vcc, 8, v25
	v_lshlrev_b64 v[24:25], v24, v[5:6]
	v_sub_u32_e32 v25, 29, v29
	v_cndmask_b32_e32 v25, v28, v25, vcc
	v_lshlrev_b32_e32 v5, 8, v5
	v_lshl_add_u32 v25, v25, 10, v45
	v_and_b32_e32 v24, 7, v24
	v_and_or_b32 v5, v5, s44, v25
	v_cndmask_b32_e32 v24, v27, v24, vcc
	v_lshlrev_b32_e32 v5, 16, v5
	v_lshl_or_b32 v24, v24, 23, v5
.LBB262_1094:                           ;   in Loop: Header=BB262_809 Depth=1
	s_or_b64 exec, exec, s[40:41]
.LBB262_1095:                           ;   in Loop: Header=BB262_809 Depth=1
	s_or_b64 exec, exec, s[28:29]
.LBB262_1096:                           ;   in Loop: Header=BB262_809 Depth=1
	s_or_b64 exec, exec, s[26:27]
	v_lshrrev_b32_e32 v5, 16, v14
	v_cmp_ne_u16_sdwa s[28:29], v5, v6 src0_sel:BYTE_0 src1_sel:DWORD
	s_and_saveexec_b64 s[26:27], s[28:29]
	s_cbranch_execz .LBB262_1102
; %bb.1097:                             ;   in Loop: Header=BB262_809 Depth=1
	v_cmp_ne_u16_sdwa s[40:41], v5, s42 src0_sel:BYTE_0 src1_sel:DWORD
	v_mov_b32_e32 v21, 0x8000
	s_and_saveexec_b64 s[28:29], s[40:41]
	s_cbranch_execz .LBB262_1101
; %bb.1098:                             ;   in Loop: Header=BB262_809 Depth=1
	v_bfe_u32 v25, v14, 16, 7
	v_cmp_ne_u32_e32 vcc, s43, v25
	v_mov_b32_e32 v21, 0x7c01
	s_and_saveexec_b64 s[40:41], vcc
	s_cbranch_execz .LBB262_1100
; %bb.1099:                             ;   in Loop: Header=BB262_809 Depth=1
	v_and_b32_e32 v21, 7, v5
	v_lshrrev_b32_e32 v29, 3, v25
	v_cmp_gt_u32_e32 vcc, 8, v25
	v_ffbh_u32_e32 v25, v21
	v_min_u32_e32 v25, 32, v25
	v_subrev_u32_e32 v27, 28, v25
	v_sub_u32_e32 v25, 29, v25
	v_lshlrev_b64 v[27:28], v27, v[5:6]
	v_cndmask_b32_e32 v25, v29, v25, vcc
	v_lshl_add_u32 v25, v25, 10, v45
	v_lshlrev_b32_e32 v5, 8, v5
	v_and_b32_e32 v27, 7, v27
	v_and_b32_e32 v25, 0xfc00, v25
	v_cndmask_b32_e32 v21, v21, v27, vcc
	v_and_or_b32 v5, v5, s44, v25
	v_lshl_or_b32 v21, v21, 7, v5
.LBB262_1100:                           ;   in Loop: Header=BB262_809 Depth=1
	s_or_b64 exec, exec, s[40:41]
.LBB262_1101:                           ;   in Loop: Header=BB262_809 Depth=1
	s_or_b64 exec, exec, s[28:29]
.LBB262_1102:                           ;   in Loop: Header=BB262_809 Depth=1
	s_or_b64 exec, exec, s[26:27]
	v_cmp_lt_u64_e32 vcc, s[10:11], v[13:14]
	v_mov_b32_e32 v13, 0
	s_and_saveexec_b64 s[26:27], vcc
	s_cbranch_execz .LBB262_1108
; %bb.1103:                             ;   in Loop: Header=BB262_809 Depth=1
	v_lshrrev_b32_e32 v5, 24, v14
	v_cmp_ne_u32_e32 vcc, s42, v5
	v_bfrev_b32_e32 v13, 1
	s_and_saveexec_b64 s[28:29], vcc
	s_cbranch_execz .LBB262_1107
; %bb.1104:                             ;   in Loop: Header=BB262_809 Depth=1
	v_and_b32_e32 v14, 0x7f, v5
	v_cmp_ne_u32_e32 vcc, s43, v14
	v_mov_b32_e32 v13, 0x7c010000
	s_and_saveexec_b64 s[40:41], vcc
	s_cbranch_execz .LBB262_1106
; %bb.1105:                             ;   in Loop: Header=BB262_809 Depth=1
	v_and_b32_e32 v25, 7, v5
	v_ffbh_u32_e32 v13, v25
	v_min_u32_e32 v28, 32, v13
	v_subrev_u32_e32 v13, 28, v28
	v_lshrrev_b32_e32 v27, 3, v14
	v_cmp_gt_u32_e32 vcc, 8, v14
	v_lshlrev_b64 v[13:14], v13, v[5:6]
	v_sub_u32_e32 v14, 29, v28
	v_cndmask_b32_e32 v14, v27, v14, vcc
	v_lshlrev_b32_e32 v5, 8, v5
	v_lshl_add_u32 v14, v14, 10, v45
	v_and_b32_e32 v13, 7, v13
	v_and_or_b32 v5, v5, s44, v14
	v_cndmask_b32_e32 v13, v25, v13, vcc
	v_lshlrev_b32_e32 v5, 16, v5
	v_lshl_or_b32 v13, v13, 23, v5
.LBB262_1106:                           ;   in Loop: Header=BB262_809 Depth=1
	s_or_b64 exec, exec, s[40:41]
.LBB262_1107:                           ;   in Loop: Header=BB262_809 Depth=1
	s_or_b64 exec, exec, s[28:29]
.LBB262_1108:                           ;   in Loop: Header=BB262_809 Depth=1
	s_or_b64 exec, exec, s[26:27]
	s_waitcnt vmcnt(0) lgkmcnt(0)
	v_fma_mixlo_f16 v14, v0, v17, 0 op_sel:[0,1,0] op_sel_hi:[0,1,0]
	v_or_b32_e32 v5, v17, v19
	v_lshlrev_b32_e32 v17, 16, v14
	v_or_b32_e32 v14, v15, v16
	v_fma_mixlo_f16 v15, v0, v15, 0 op_sel:[0,1,0] op_sel_hi:[0,1,0]
	v_lshlrev_b32_e32 v25, 16, v15
	v_or_b32_e32 v15, v24, v23
	v_or_b32_e32 v21, v13, v21
	v_fma_mixlo_f16 v5, v0, v5, 0 op_sel_hi:[0,1,0]
	v_fma_mixlo_f16 v14, v0, v14, 0 op_sel_hi:[0,1,0]
	v_fma_mixlo_f16 v16, v0, v24, 0 op_sel:[0,1,0] op_sel_hi:[0,1,0]
	v_fma_mixlo_f16 v15, v0, v15, 0 op_sel_hi:[0,1,0]
	v_fma_mixlo_f16 v21, v0, v21, 0 op_sel_hi:[0,1,0]
	v_fma_mixlo_f16 v0, v0, v13, 0 op_sel:[0,1,0] op_sel_hi:[0,1,0]
	v_and_b32_e32 v19, 0xffff, v5
	v_and_b32_e32 v27, 0xffff, v14
	v_lshlrev_b32_e32 v16, 16, v16
	v_and_b32_e32 v23, 0xffff, v15
	v_lshlrev_b32_e32 v0, 16, v0
	v_and_b32_e32 v13, 0xffff, v21
	v_or_b32_e32 v5, v17, v19
	v_or_b32_e32 v14, v25, v27
	;; [unrolled: 1-line block ×4, first 2 shown]
	s_and_saveexec_b64 s[26:27], s[6:7]
	s_cbranch_execz .LBB262_1110
; %bb.1109:                             ;   in Loop: Header=BB262_809 Depth=1
	v_cmp_lt_i32_e32 vcc, v46, v30
	v_cndmask_b32_e32 v5, 0, v27, vcc
	v_cmp_lt_i32_e32 vcc, v1, v30
	v_cndmask_b32_e32 v14, 0, v25, vcc
	v_cmp_lt_i32_e32 vcc, v20, v30
	v_or_b32_e32 v14, v5, v14
	v_cndmask_b32_e32 v5, 0, v19, vcc
	v_cmp_lt_i32_e32 vcc, v63, v30
	v_cndmask_b32_e32 v15, 0, v17, vcc
	v_cmp_lt_i32_e32 vcc, v62, v30
	v_or_b32_e32 v5, v5, v15
	v_cndmask_b32_e32 v15, 0, v23, vcc
	v_cmp_lt_i32_e32 vcc, v61, v30
	v_cndmask_b32_e32 v16, 0, v16, vcc
	v_cmp_lt_i32_e32 vcc, v60, v30
	;; [unrolled: 2-line block ×3, first 2 shown]
	v_cndmask_b32_e32 v0, 0, v0, vcc
	v_or_b32_e32 v15, v15, v16
	v_or_b32_e32 v21, v13, v0
.LBB262_1110:                           ;   in Loop: Header=BB262_809 Depth=1
	s_or_b64 exec, exec, s[26:27]
	;;#ASMSTART
	v_pk_mul_f16 v0, v58, v14;

	;;#ASMEND
	;;#ASMSTART
	v_pk_mul_f16 v5, v57, v5;

	;;#ASMEND
	;; [unrolled: 4-line block ×4, first 2 shown]
	;;#ASMSTART
	v_pk_add_f16 v0, v0, v5;

	;;#ASMEND
	;;#ASMSTART
	v_pk_add_f16 v0, v0, v13;

	;;#ASMEND
	;; [unrolled: 4-line block ×3, first 2 shown]
	v_lshrrev_b32_e32 v5, 16, v0
	v_and_b32_e32 v0, 0xffff, v0
	;;#ASMSTART
	v_cvt_f32_f16 v19, v0;
	;;#ASMEND
	;;#ASMSTART
	v_cvt_f32_f16 v32, v5;
	;;#ASMEND
	flat_load_dwordx2 v[13:14], v[11:12] offset:3072
	buffer_load_dword v15, off, s[0:3], s32 offset:64 ; 4-byte Folded Reload
	buffer_load_dword v16, off, s[0:3], s32 offset:68 ; 4-byte Folded Reload
	s_waitcnt vmcnt(0) lgkmcnt(0)
	v_cmp_ne_u16_sdwa s[28:29], v13, v6 src0_sel:BYTE_0 src1_sel:DWORD
	flat_load_dword v0, v[15:16]
	v_mov_b32_e32 v15, 0
	v_mov_b32_e32 v16, 0
	s_and_saveexec_b64 s[26:27], s[28:29]
	s_cbranch_execz .LBB262_1116
; %bb.1111:                             ;   in Loop: Header=BB262_809 Depth=1
	v_cmp_ne_u16_sdwa s[40:41], v13, s42 src0_sel:BYTE_0 src1_sel:DWORD
	v_mov_b32_e32 v16, 0x8000
	s_and_saveexec_b64 s[28:29], s[40:41]
	s_cbranch_execz .LBB262_1115
; %bb.1112:                             ;   in Loop: Header=BB262_809 Depth=1
	v_and_b32_e32 v5, 0x7f, v13
	v_cmp_ne_u32_e32 vcc, s43, v5
	v_mov_b32_e32 v16, 0x7c01
	s_and_saveexec_b64 s[40:41], vcc
	s_cbranch_execz .LBB262_1114
; %bb.1113:                             ;   in Loop: Header=BB262_809 Depth=1
	v_and_b32_e32 v21, 7, v13
	v_lshrrev_b32_e32 v23, 3, v5
	v_cmp_gt_u32_e32 vcc, 8, v5
	v_ffbh_u32_e32 v5, v21
	v_min_u32_e32 v5, 32, v5
	v_subrev_u32_e32 v16, 28, v5
	v_sub_u32_e32 v5, 29, v5
	v_lshlrev_b64 v[16:17], v16, v[13:14]
	v_cndmask_b32_e32 v5, v23, v5, vcc
	v_lshl_add_u32 v5, v5, 10, v45
	v_lshlrev_b32_e32 v17, 8, v13
	v_and_b32_e32 v16, 7, v16
	v_and_b32_e32 v5, 0xfc00, v5
	v_cndmask_b32_e32 v16, v21, v16, vcc
	v_and_or_b32 v5, v17, s44, v5
	v_lshl_or_b32 v16, v16, 7, v5
.LBB262_1114:                           ;   in Loop: Header=BB262_809 Depth=1
	s_or_b64 exec, exec, s[40:41]
.LBB262_1115:                           ;   in Loop: Header=BB262_809 Depth=1
	s_or_b64 exec, exec, s[28:29]
.LBB262_1116:                           ;   in Loop: Header=BB262_809 Depth=1
	s_or_b64 exec, exec, s[26:27]
	v_lshrrev_b16_e32 v5, 8, v13
	v_cmp_ne_u16_e32 vcc, 0, v5
	s_and_saveexec_b64 s[26:27], vcc
	s_cbranch_execz .LBB262_1122
; %bb.1117:                             ;   in Loop: Header=BB262_809 Depth=1
	v_cmp_ne_u16_e32 vcc, s42, v5
	v_bfrev_b32_e32 v15, 1
	s_and_saveexec_b64 s[28:29], vcc
	s_cbranch_execz .LBB262_1121
; %bb.1118:                             ;   in Loop: Header=BB262_809 Depth=1
	v_and_b32_e32 v17, 0x7f, v5
	v_cmp_ne_u32_e32 vcc, s43, v17
	v_mov_b32_e32 v15, 0x7c010000
	s_and_saveexec_b64 s[40:41], vcc
	s_cbranch_execz .LBB262_1120
; %bb.1119:                             ;   in Loop: Header=BB262_809 Depth=1
	v_and_b32_e32 v15, 7, v5
	v_lshrrev_b32_e32 v21, 3, v17
	v_cmp_gt_u32_e32 vcc, 8, v17
	v_ffbh_u32_e32 v17, v15
	v_min_u32_e32 v17, 32, v17
	v_subrev_u32_e32 v23, 28, v17
	v_sub_u32_e32 v17, 29, v17
	v_lshlrev_b64 v[23:24], v23, v[5:6]
	v_cndmask_b32_e32 v17, v21, v17, vcc
	v_lshlrev_b32_e32 v5, 8, v5
	v_lshl_add_u32 v17, v17, 10, v45
	v_and_b32_e32 v21, 7, v23
	v_and_or_b32 v5, v5, s44, v17
	v_cndmask_b32_e32 v15, v15, v21, vcc
	v_lshlrev_b32_e32 v5, 16, v5
	v_lshl_or_b32 v15, v15, 23, v5
.LBB262_1120:                           ;   in Loop: Header=BB262_809 Depth=1
	s_or_b64 exec, exec, s[40:41]
.LBB262_1121:                           ;   in Loop: Header=BB262_809 Depth=1
	s_or_b64 exec, exec, s[28:29]
.LBB262_1122:                           ;   in Loop: Header=BB262_809 Depth=1
	s_or_b64 exec, exec, s[26:27]
	v_lshrrev_b32_e32 v5, 16, v13
	v_cmp_ne_u16_sdwa s[28:29], v5, v6 src0_sel:BYTE_0 src1_sel:DWORD
	v_mov_b32_e32 v17, 0
	v_mov_b32_e32 v21, 0
	s_and_saveexec_b64 s[26:27], s[28:29]
	s_cbranch_execz .LBB262_1128
; %bb.1123:                             ;   in Loop: Header=BB262_809 Depth=1
	v_cmp_ne_u16_sdwa s[40:41], v5, s42 src0_sel:BYTE_0 src1_sel:DWORD
	v_mov_b32_e32 v21, 0x8000
	s_and_saveexec_b64 s[28:29], s[40:41]
	s_cbranch_execz .LBB262_1127
; %bb.1124:                             ;   in Loop: Header=BB262_809 Depth=1
	v_bfe_u32 v23, v13, 16, 7
	v_cmp_ne_u32_e32 vcc, s43, v23
	v_mov_b32_e32 v21, 0x7c01
	s_and_saveexec_b64 s[40:41], vcc
	s_cbranch_execz .LBB262_1126
; %bb.1125:                             ;   in Loop: Header=BB262_809 Depth=1
	v_and_b32_e32 v21, 7, v5
	v_lshrrev_b32_e32 v25, 3, v23
	v_cmp_gt_u32_e32 vcc, 8, v23
	v_ffbh_u32_e32 v23, v21
	v_min_u32_e32 v27, 32, v23
	v_subrev_u32_e32 v23, 28, v27
	v_lshlrev_b64 v[23:24], v23, v[5:6]
	v_sub_u32_e32 v24, 29, v27
	v_cndmask_b32_e32 v24, v25, v24, vcc
	v_lshl_add_u32 v24, v24, 10, v45
	v_and_b32_e32 v23, 7, v23
	v_lshlrev_b32_e32 v5, 8, v5
	v_cndmask_b32_e32 v21, v21, v23, vcc
	v_and_b32_e32 v23, 0xfc00, v24
	v_and_or_b32 v5, v5, s44, v23
	v_lshl_or_b32 v21, v21, 7, v5
.LBB262_1126:                           ;   in Loop: Header=BB262_809 Depth=1
	s_or_b64 exec, exec, s[40:41]
.LBB262_1127:                           ;   in Loop: Header=BB262_809 Depth=1
	s_or_b64 exec, exec, s[28:29]
.LBB262_1128:                           ;   in Loop: Header=BB262_809 Depth=1
	s_or_b64 exec, exec, s[26:27]
	v_cmp_lt_u32_e32 vcc, s11, v13
	s_and_saveexec_b64 s[26:27], vcc
	s_cbranch_execz .LBB262_1134
; %bb.1129:                             ;   in Loop: Header=BB262_809 Depth=1
	v_lshrrev_b32_e32 v5, 24, v13
	v_cmp_ne_u32_e32 vcc, s42, v5
	v_bfrev_b32_e32 v17, 1
	s_and_saveexec_b64 s[28:29], vcc
	s_cbranch_execz .LBB262_1133
; %bb.1130:                             ;   in Loop: Header=BB262_809 Depth=1
	v_and_b32_e32 v23, 0x7f, v5
	v_cmp_ne_u32_e32 vcc, s43, v23
	v_mov_b32_e32 v17, 0x7c010000
	s_and_saveexec_b64 s[40:41], vcc
	s_cbranch_execz .LBB262_1132
; %bb.1131:                             ;   in Loop: Header=BB262_809 Depth=1
	v_and_b32_e32 v17, 7, v5
	v_lshrrev_b32_e32 v25, 3, v23
	v_cmp_gt_u32_e32 vcc, 8, v23
	v_ffbh_u32_e32 v23, v17
	v_min_u32_e32 v27, 32, v23
	v_subrev_u32_e32 v23, 28, v27
	v_lshlrev_b64 v[23:24], v23, v[5:6]
	v_sub_u32_e32 v24, 29, v27
	v_cndmask_b32_e32 v24, v25, v24, vcc
	v_lshlrev_b32_e32 v5, 8, v5
	v_lshl_add_u32 v24, v24, 10, v45
	v_and_b32_e32 v23, 7, v23
	v_and_or_b32 v5, v5, s44, v24
	v_cndmask_b32_e32 v17, v17, v23, vcc
	v_lshlrev_b32_e32 v5, 16, v5
	v_lshl_or_b32 v17, v17, 23, v5
.LBB262_1132:                           ;   in Loop: Header=BB262_809 Depth=1
	s_or_b64 exec, exec, s[40:41]
.LBB262_1133:                           ;   in Loop: Header=BB262_809 Depth=1
	s_or_b64 exec, exec, s[28:29]
.LBB262_1134:                           ;   in Loop: Header=BB262_809 Depth=1
	s_or_b64 exec, exec, s[26:27]
	v_mov_b32_e32 v5, v14
	v_cmp_ne_u16_sdwa s[28:29], v14, v6 src0_sel:BYTE_0 src1_sel:DWORD
	v_mov_b32_e32 v23, 0
	v_mov_b32_e32 v24, 0
	s_and_saveexec_b64 s[26:27], s[28:29]
	s_cbranch_execz .LBB262_1140
; %bb.1135:                             ;   in Loop: Header=BB262_809 Depth=1
	v_cmp_ne_u16_sdwa s[40:41], v14, s42 src0_sel:BYTE_0 src1_sel:DWORD
	v_mov_b32_e32 v24, 0x8000
	s_and_saveexec_b64 s[28:29], s[40:41]
	s_cbranch_execz .LBB262_1139
; %bb.1136:                             ;   in Loop: Header=BB262_809 Depth=1
	v_and_b32_e32 v25, 0x7f, v14
	v_cmp_ne_u32_e32 vcc, s43, v25
	v_mov_b32_e32 v24, 0x7c01
	s_and_saveexec_b64 s[40:41], vcc
	s_cbranch_execz .LBB262_1138
; %bb.1137:                             ;   in Loop: Header=BB262_809 Depth=1
	v_and_b32_e32 v27, 7, v14
	v_ffbh_u32_e32 v24, v27
	v_min_u32_e32 v29, 32, v24
	v_subrev_u32_e32 v24, 28, v29
	v_lshrrev_b32_e32 v28, 3, v25
	v_cmp_gt_u32_e32 vcc, 8, v25
	v_lshlrev_b64 v[24:25], v24, v[5:6]
	v_sub_u32_e32 v25, 29, v29
	v_cndmask_b32_e32 v25, v28, v25, vcc
	v_lshl_add_u32 v25, v25, 10, v45
	v_lshlrev_b32_e32 v28, 8, v14
	v_and_b32_e32 v24, 7, v24
	v_and_b32_e32 v25, 0xfc00, v25
	v_cndmask_b32_e32 v24, v27, v24, vcc
	v_and_or_b32 v25, v28, s44, v25
	v_lshl_or_b32 v24, v24, 7, v25
.LBB262_1138:                           ;   in Loop: Header=BB262_809 Depth=1
	s_or_b64 exec, exec, s[40:41]
.LBB262_1139:                           ;   in Loop: Header=BB262_809 Depth=1
	s_or_b64 exec, exec, s[28:29]
.LBB262_1140:                           ;   in Loop: Header=BB262_809 Depth=1
	s_or_b64 exec, exec, s[26:27]
	v_lshrrev_b16_e32 v5, 8, v5
	v_cmp_ne_u16_e32 vcc, 0, v5
	v_mov_b32_e32 v25, 0
	s_and_saveexec_b64 s[26:27], vcc
	s_cbranch_execz .LBB262_1146
; %bb.1141:                             ;   in Loop: Header=BB262_809 Depth=1
	v_cmp_ne_u16_e32 vcc, s42, v5
	v_bfrev_b32_e32 v25, 1
	s_and_saveexec_b64 s[28:29], vcc
	s_cbranch_execz .LBB262_1145
; %bb.1142:                             ;   in Loop: Header=BB262_809 Depth=1
	v_and_b32_e32 v27, 0x7f, v5
	v_cmp_ne_u32_e32 vcc, s43, v27
	v_mov_b32_e32 v25, 0x7c010000
	s_and_saveexec_b64 s[40:41], vcc
	s_cbranch_execz .LBB262_1144
; %bb.1143:                             ;   in Loop: Header=BB262_809 Depth=1
	v_and_b32_e32 v25, 7, v5
	v_lshrrev_b32_e32 v29, 3, v27
	v_cmp_gt_u32_e32 vcc, 8, v27
	v_ffbh_u32_e32 v27, v25
	v_min_u32_e32 v31, 32, v27
	v_subrev_u32_e32 v27, 28, v31
	v_lshlrev_b64 v[27:28], v27, v[5:6]
	v_sub_u32_e32 v28, 29, v31
	v_cndmask_b32_e32 v28, v29, v28, vcc
	v_lshlrev_b32_e32 v5, 8, v5
	v_lshl_add_u32 v28, v28, 10, v45
	v_and_b32_e32 v27, 7, v27
	v_and_or_b32 v5, v5, s44, v28
	v_cndmask_b32_e32 v25, v25, v27, vcc
	v_lshlrev_b32_e32 v5, 16, v5
	v_lshl_or_b32 v25, v25, 23, v5
.LBB262_1144:                           ;   in Loop: Header=BB262_809 Depth=1
	s_or_b64 exec, exec, s[40:41]
.LBB262_1145:                           ;   in Loop: Header=BB262_809 Depth=1
	s_or_b64 exec, exec, s[28:29]
.LBB262_1146:                           ;   in Loop: Header=BB262_809 Depth=1
	s_or_b64 exec, exec, s[26:27]
	v_lshrrev_b32_e32 v5, 16, v14
	v_cmp_ne_u16_sdwa s[28:29], v5, v6 src0_sel:BYTE_0 src1_sel:DWORD
	s_and_saveexec_b64 s[26:27], s[28:29]
	s_cbranch_execz .LBB262_1152
; %bb.1147:                             ;   in Loop: Header=BB262_809 Depth=1
	v_cmp_ne_u16_sdwa s[40:41], v5, s42 src0_sel:BYTE_0 src1_sel:DWORD
	v_mov_b32_e32 v23, 0x8000
	s_and_saveexec_b64 s[28:29], s[40:41]
	s_cbranch_execz .LBB262_1151
; %bb.1148:                             ;   in Loop: Header=BB262_809 Depth=1
	v_bfe_u32 v27, v14, 16, 7
	v_cmp_ne_u32_e32 vcc, s43, v27
	v_mov_b32_e32 v23, 0x7c01
	s_and_saveexec_b64 s[40:41], vcc
	s_cbranch_execz .LBB262_1150
; %bb.1149:                             ;   in Loop: Header=BB262_809 Depth=1
	v_and_b32_e32 v23, 7, v5
	v_lshrrev_b32_e32 v29, 3, v27
	v_cmp_gt_u32_e32 vcc, 8, v27
	v_ffbh_u32_e32 v27, v23
	v_min_u32_e32 v31, 32, v27
	v_subrev_u32_e32 v27, 28, v31
	v_lshlrev_b64 v[27:28], v27, v[5:6]
	v_sub_u32_e32 v28, 29, v31
	v_cndmask_b32_e32 v28, v29, v28, vcc
	v_lshl_add_u32 v28, v28, 10, v45
	v_and_b32_e32 v27, 7, v27
	v_lshlrev_b32_e32 v5, 8, v5
	v_cndmask_b32_e32 v23, v23, v27, vcc
	v_and_b32_e32 v27, 0xfc00, v28
	v_and_or_b32 v5, v5, s44, v27
	v_lshl_or_b32 v23, v23, 7, v5
.LBB262_1150:                           ;   in Loop: Header=BB262_809 Depth=1
	s_or_b64 exec, exec, s[40:41]
.LBB262_1151:                           ;   in Loop: Header=BB262_809 Depth=1
	s_or_b64 exec, exec, s[28:29]
.LBB262_1152:                           ;   in Loop: Header=BB262_809 Depth=1
	s_or_b64 exec, exec, s[26:27]
	v_cmp_lt_u64_e32 vcc, s[10:11], v[13:14]
	v_mov_b32_e32 v13, 0
	s_and_saveexec_b64 s[26:27], vcc
	s_cbranch_execz .LBB262_1158
; %bb.1153:                             ;   in Loop: Header=BB262_809 Depth=1
	v_lshrrev_b32_e32 v5, 24, v14
	v_cmp_ne_u32_e32 vcc, s42, v5
	v_bfrev_b32_e32 v13, 1
	s_and_saveexec_b64 s[28:29], vcc
	s_cbranch_execz .LBB262_1157
; %bb.1154:                             ;   in Loop: Header=BB262_809 Depth=1
	v_and_b32_e32 v14, 0x7f, v5
	v_cmp_ne_u32_e32 vcc, s43, v14
	v_mov_b32_e32 v13, 0x7c010000
	s_and_saveexec_b64 s[40:41], vcc
	s_cbranch_execz .LBB262_1156
; %bb.1155:                             ;   in Loop: Header=BB262_809 Depth=1
	v_and_b32_e32 v27, 7, v5
	v_ffbh_u32_e32 v13, v27
	v_min_u32_e32 v29, 32, v13
	v_subrev_u32_e32 v13, 28, v29
	v_lshrrev_b32_e32 v28, 3, v14
	v_cmp_gt_u32_e32 vcc, 8, v14
	v_lshlrev_b64 v[13:14], v13, v[5:6]
	v_sub_u32_e32 v14, 29, v29
	v_cndmask_b32_e32 v14, v28, v14, vcc
	v_lshlrev_b32_e32 v5, 8, v5
	v_lshl_add_u32 v14, v14, 10, v45
	v_and_b32_e32 v13, 7, v13
	v_and_or_b32 v5, v5, s44, v14
	v_cndmask_b32_e32 v13, v27, v13, vcc
	v_lshlrev_b32_e32 v5, 16, v5
	v_lshl_or_b32 v13, v13, 23, v5
.LBB262_1156:                           ;   in Loop: Header=BB262_809 Depth=1
	s_or_b64 exec, exec, s[40:41]
.LBB262_1157:                           ;   in Loop: Header=BB262_809 Depth=1
	s_or_b64 exec, exec, s[28:29]
.LBB262_1158:                           ;   in Loop: Header=BB262_809 Depth=1
	s_or_b64 exec, exec, s[26:27]
	s_waitcnt vmcnt(0) lgkmcnt(0)
	v_fma_mixlo_f16 v14, v0, v17, 0 op_sel:[0,1,0] op_sel_hi:[0,1,0]
	v_or_b32_e32 v5, v17, v21
	v_lshlrev_b32_e32 v17, 16, v14
	v_or_b32_e32 v14, v15, v16
	v_fma_mixlo_f16 v15, v0, v15, 0 op_sel:[0,1,0] op_sel_hi:[0,1,0]
	v_lshlrev_b32_e32 v27, 16, v15
	v_or_b32_e32 v15, v25, v24
	v_or_b32_e32 v23, v13, v23
	v_fma_mixlo_f16 v5, v0, v5, 0 op_sel_hi:[0,1,0]
	v_fma_mixlo_f16 v14, v0, v14, 0 op_sel_hi:[0,1,0]
	v_fma_mixlo_f16 v16, v0, v25, 0 op_sel:[0,1,0] op_sel_hi:[0,1,0]
	v_fma_mixlo_f16 v15, v0, v15, 0 op_sel_hi:[0,1,0]
	v_fma_mixlo_f16 v23, v0, v23, 0 op_sel_hi:[0,1,0]
	v_fma_mixlo_f16 v0, v0, v13, 0 op_sel:[0,1,0] op_sel_hi:[0,1,0]
	v_and_b32_e32 v21, 0xffff, v5
	v_and_b32_e32 v28, 0xffff, v14
	v_lshlrev_b32_e32 v16, 16, v16
	v_and_b32_e32 v24, 0xffff, v15
	v_lshlrev_b32_e32 v0, 16, v0
	v_and_b32_e32 v13, 0xffff, v23
	v_or_b32_e32 v5, v17, v21
	v_or_b32_e32 v14, v27, v28
	v_or_b32_e32 v15, v16, v24
	v_or_b32_e32 v23, v0, v13
	s_and_saveexec_b64 s[26:27], s[6:7]
	s_cbranch_execz .LBB262_1160
; %bb.1159:                             ;   in Loop: Header=BB262_809 Depth=1
	v_cmp_lt_i32_e32 vcc, v46, v30
	v_cndmask_b32_e32 v5, 0, v28, vcc
	v_cmp_lt_i32_e32 vcc, v1, v30
	v_cndmask_b32_e32 v14, 0, v27, vcc
	v_cmp_lt_i32_e32 vcc, v20, v30
	v_or_b32_e32 v14, v5, v14
	v_cndmask_b32_e32 v5, 0, v21, vcc
	v_cmp_lt_i32_e32 vcc, v63, v30
	v_cndmask_b32_e32 v15, 0, v17, vcc
	v_cmp_lt_i32_e32 vcc, v62, v30
	v_or_b32_e32 v5, v5, v15
	v_cndmask_b32_e32 v15, 0, v24, vcc
	v_cmp_lt_i32_e32 vcc, v61, v30
	v_cndmask_b32_e32 v16, 0, v16, vcc
	v_cmp_lt_i32_e32 vcc, v60, v30
	;; [unrolled: 2-line block ×3, first 2 shown]
	v_cndmask_b32_e32 v0, 0, v0, vcc
	v_or_b32_e32 v15, v15, v16
	v_or_b32_e32 v23, v13, v0
.LBB262_1160:                           ;   in Loop: Header=BB262_809 Depth=1
	s_or_b64 exec, exec, s[26:27]
	;;#ASMSTART
	v_pk_mul_f16 v0, v58, v14;

	;;#ASMEND
	;;#ASMSTART
	v_pk_mul_f16 v5, v57, v5;

	;;#ASMEND
	;; [unrolled: 4-line block ×4, first 2 shown]
	;;#ASMSTART
	v_pk_add_f16 v0, v0, v5;

	;;#ASMEND
	;;#ASMSTART
	v_pk_add_f16 v0, v0, v13;

	;;#ASMEND
	;;#ASMSTART
	v_pk_add_f16 v0, v0, v14;

	;;#ASMEND
	v_lshrrev_b32_e32 v5, 16, v0
	v_and_b32_e32 v0, 0xffff, v0
	;;#ASMSTART
	v_cvt_f32_f16 v35, v0;
	;;#ASMEND
	;;#ASMSTART
	v_cvt_f32_f16 v34, v5;
	;;#ASMEND
	flat_load_dwordx2 v[13:14], v[11:12] offset:3584
	buffer_load_dword v15, off, s[0:3], s32 offset:64 ; 4-byte Folded Reload
	buffer_load_dword v16, off, s[0:3], s32 offset:68 ; 4-byte Folded Reload
	s_waitcnt vmcnt(0) lgkmcnt(0)
	v_cmp_ne_u16_sdwa s[28:29], v13, v6 src0_sel:BYTE_0 src1_sel:DWORD
	flat_load_dword v0, v[15:16]
	v_mov_b32_e32 v15, 0
	v_mov_b32_e32 v16, 0
	s_and_saveexec_b64 s[26:27], s[28:29]
	s_cbranch_execz .LBB262_1166
; %bb.1161:                             ;   in Loop: Header=BB262_809 Depth=1
	v_cmp_ne_u16_sdwa s[40:41], v13, s42 src0_sel:BYTE_0 src1_sel:DWORD
	v_mov_b32_e32 v16, 0x8000
	s_and_saveexec_b64 s[28:29], s[40:41]
	s_cbranch_execz .LBB262_1165
; %bb.1162:                             ;   in Loop: Header=BB262_809 Depth=1
	v_and_b32_e32 v5, 0x7f, v13
	v_cmp_ne_u32_e32 vcc, s43, v5
	v_mov_b32_e32 v16, 0x7c01
	s_and_saveexec_b64 s[40:41], vcc
	s_cbranch_execz .LBB262_1164
; %bb.1163:                             ;   in Loop: Header=BB262_809 Depth=1
	v_and_b32_e32 v21, 7, v13
	v_lshrrev_b32_e32 v23, 3, v5
	v_cmp_gt_u32_e32 vcc, 8, v5
	v_ffbh_u32_e32 v5, v21
	v_min_u32_e32 v5, 32, v5
	v_subrev_u32_e32 v16, 28, v5
	v_sub_u32_e32 v5, 29, v5
	v_lshlrev_b64 v[16:17], v16, v[13:14]
	v_cndmask_b32_e32 v5, v23, v5, vcc
	v_lshl_add_u32 v5, v5, 10, v45
	v_lshlrev_b32_e32 v17, 8, v13
	v_and_b32_e32 v16, 7, v16
	v_and_b32_e32 v5, 0xfc00, v5
	v_cndmask_b32_e32 v16, v21, v16, vcc
	v_and_or_b32 v5, v17, s44, v5
	v_lshl_or_b32 v16, v16, 7, v5
.LBB262_1164:                           ;   in Loop: Header=BB262_809 Depth=1
	s_or_b64 exec, exec, s[40:41]
.LBB262_1165:                           ;   in Loop: Header=BB262_809 Depth=1
	s_or_b64 exec, exec, s[28:29]
.LBB262_1166:                           ;   in Loop: Header=BB262_809 Depth=1
	s_or_b64 exec, exec, s[26:27]
	v_lshrrev_b16_e32 v5, 8, v13
	v_cmp_ne_u16_e32 vcc, 0, v5
	s_and_saveexec_b64 s[26:27], vcc
	s_cbranch_execz .LBB262_1172
; %bb.1167:                             ;   in Loop: Header=BB262_809 Depth=1
	v_cmp_ne_u16_e32 vcc, s42, v5
	v_bfrev_b32_e32 v15, 1
	s_and_saveexec_b64 s[28:29], vcc
	s_cbranch_execz .LBB262_1171
; %bb.1168:                             ;   in Loop: Header=BB262_809 Depth=1
	v_and_b32_e32 v17, 0x7f, v5
	v_cmp_ne_u32_e32 vcc, s43, v17
	v_mov_b32_e32 v15, 0x7c010000
	s_and_saveexec_b64 s[40:41], vcc
	s_cbranch_execz .LBB262_1170
; %bb.1169:                             ;   in Loop: Header=BB262_809 Depth=1
	v_and_b32_e32 v15, 7, v5
	v_lshrrev_b32_e32 v21, 3, v17
	v_cmp_gt_u32_e32 vcc, 8, v17
	v_ffbh_u32_e32 v17, v15
	v_min_u32_e32 v17, 32, v17
	v_subrev_u32_e32 v23, 28, v17
	v_sub_u32_e32 v17, 29, v17
	v_lshlrev_b64 v[23:24], v23, v[5:6]
	v_cndmask_b32_e32 v17, v21, v17, vcc
	v_lshlrev_b32_e32 v5, 8, v5
	v_lshl_add_u32 v17, v17, 10, v45
	v_and_b32_e32 v21, 7, v23
	v_and_or_b32 v5, v5, s44, v17
	v_cndmask_b32_e32 v15, v15, v21, vcc
	v_lshlrev_b32_e32 v5, 16, v5
	v_lshl_or_b32 v15, v15, 23, v5
.LBB262_1170:                           ;   in Loop: Header=BB262_809 Depth=1
	s_or_b64 exec, exec, s[40:41]
.LBB262_1171:                           ;   in Loop: Header=BB262_809 Depth=1
	s_or_b64 exec, exec, s[28:29]
.LBB262_1172:                           ;   in Loop: Header=BB262_809 Depth=1
	s_or_b64 exec, exec, s[26:27]
	v_lshrrev_b32_e32 v5, 16, v13
	v_cmp_ne_u16_sdwa s[28:29], v5, v6 src0_sel:BYTE_0 src1_sel:DWORD
	v_mov_b32_e32 v17, 0
	v_mov_b32_e32 v21, 0
	s_and_saveexec_b64 s[26:27], s[28:29]
	s_cbranch_execz .LBB262_1178
; %bb.1173:                             ;   in Loop: Header=BB262_809 Depth=1
	v_cmp_ne_u16_sdwa s[40:41], v5, s42 src0_sel:BYTE_0 src1_sel:DWORD
	v_mov_b32_e32 v21, 0x8000
	s_and_saveexec_b64 s[28:29], s[40:41]
	s_cbranch_execz .LBB262_1177
; %bb.1174:                             ;   in Loop: Header=BB262_809 Depth=1
	v_bfe_u32 v23, v13, 16, 7
	v_cmp_ne_u32_e32 vcc, s43, v23
	v_mov_b32_e32 v21, 0x7c01
	s_and_saveexec_b64 s[40:41], vcc
	s_cbranch_execz .LBB262_1176
; %bb.1175:                             ;   in Loop: Header=BB262_809 Depth=1
	v_and_b32_e32 v21, 7, v5
	v_lshrrev_b32_e32 v25, 3, v23
	v_cmp_gt_u32_e32 vcc, 8, v23
	v_ffbh_u32_e32 v23, v21
	v_min_u32_e32 v27, 32, v23
	v_subrev_u32_e32 v23, 28, v27
	v_lshlrev_b64 v[23:24], v23, v[5:6]
	v_sub_u32_e32 v24, 29, v27
	v_cndmask_b32_e32 v24, v25, v24, vcc
	v_lshl_add_u32 v24, v24, 10, v45
	v_and_b32_e32 v23, 7, v23
	v_lshlrev_b32_e32 v5, 8, v5
	v_cndmask_b32_e32 v21, v21, v23, vcc
	v_and_b32_e32 v23, 0xfc00, v24
	v_and_or_b32 v5, v5, s44, v23
	v_lshl_or_b32 v21, v21, 7, v5
.LBB262_1176:                           ;   in Loop: Header=BB262_809 Depth=1
	s_or_b64 exec, exec, s[40:41]
.LBB262_1177:                           ;   in Loop: Header=BB262_809 Depth=1
	s_or_b64 exec, exec, s[28:29]
.LBB262_1178:                           ;   in Loop: Header=BB262_809 Depth=1
	s_or_b64 exec, exec, s[26:27]
	v_cmp_lt_u32_e32 vcc, s11, v13
	s_and_saveexec_b64 s[26:27], vcc
	s_cbranch_execz .LBB262_1184
; %bb.1179:                             ;   in Loop: Header=BB262_809 Depth=1
	v_lshrrev_b32_e32 v5, 24, v13
	v_cmp_ne_u32_e32 vcc, s42, v5
	v_bfrev_b32_e32 v17, 1
	s_and_saveexec_b64 s[28:29], vcc
	s_cbranch_execz .LBB262_1183
; %bb.1180:                             ;   in Loop: Header=BB262_809 Depth=1
	v_and_b32_e32 v23, 0x7f, v5
	v_cmp_ne_u32_e32 vcc, s43, v23
	v_mov_b32_e32 v17, 0x7c010000
	s_and_saveexec_b64 s[40:41], vcc
	s_cbranch_execz .LBB262_1182
; %bb.1181:                             ;   in Loop: Header=BB262_809 Depth=1
	v_and_b32_e32 v17, 7, v5
	v_lshrrev_b32_e32 v25, 3, v23
	v_cmp_gt_u32_e32 vcc, 8, v23
	v_ffbh_u32_e32 v23, v17
	v_min_u32_e32 v27, 32, v23
	v_subrev_u32_e32 v23, 28, v27
	v_lshlrev_b64 v[23:24], v23, v[5:6]
	v_sub_u32_e32 v24, 29, v27
	v_cndmask_b32_e32 v24, v25, v24, vcc
	v_lshlrev_b32_e32 v5, 8, v5
	v_lshl_add_u32 v24, v24, 10, v45
	v_and_b32_e32 v23, 7, v23
	v_and_or_b32 v5, v5, s44, v24
	v_cndmask_b32_e32 v17, v17, v23, vcc
	v_lshlrev_b32_e32 v5, 16, v5
	v_lshl_or_b32 v17, v17, 23, v5
.LBB262_1182:                           ;   in Loop: Header=BB262_809 Depth=1
	s_or_b64 exec, exec, s[40:41]
.LBB262_1183:                           ;   in Loop: Header=BB262_809 Depth=1
	s_or_b64 exec, exec, s[28:29]
.LBB262_1184:                           ;   in Loop: Header=BB262_809 Depth=1
	s_or_b64 exec, exec, s[26:27]
	v_mov_b32_e32 v5, v14
	v_cmp_ne_u16_sdwa s[28:29], v14, v6 src0_sel:BYTE_0 src1_sel:DWORD
	v_mov_b32_e32 v23, 0
	v_mov_b32_e32 v24, 0
	s_and_saveexec_b64 s[26:27], s[28:29]
	s_cbranch_execz .LBB262_1190
; %bb.1185:                             ;   in Loop: Header=BB262_809 Depth=1
	v_cmp_ne_u16_sdwa s[40:41], v14, s42 src0_sel:BYTE_0 src1_sel:DWORD
	v_mov_b32_e32 v24, 0x8000
	s_and_saveexec_b64 s[28:29], s[40:41]
	s_cbranch_execz .LBB262_1189
; %bb.1186:                             ;   in Loop: Header=BB262_809 Depth=1
	v_and_b32_e32 v25, 0x7f, v14
	v_cmp_ne_u32_e32 vcc, s43, v25
	v_mov_b32_e32 v24, 0x7c01
	s_and_saveexec_b64 s[40:41], vcc
	s_cbranch_execz .LBB262_1188
; %bb.1187:                             ;   in Loop: Header=BB262_809 Depth=1
	v_and_b32_e32 v27, 7, v14
	v_ffbh_u32_e32 v24, v27
	v_min_u32_e32 v29, 32, v24
	v_subrev_u32_e32 v24, 28, v29
	v_lshrrev_b32_e32 v28, 3, v25
	v_cmp_gt_u32_e32 vcc, 8, v25
	v_lshlrev_b64 v[24:25], v24, v[5:6]
	v_sub_u32_e32 v25, 29, v29
	v_cndmask_b32_e32 v25, v28, v25, vcc
	v_lshl_add_u32 v25, v25, 10, v45
	v_lshlrev_b32_e32 v28, 8, v14
	v_and_b32_e32 v24, 7, v24
	v_and_b32_e32 v25, 0xfc00, v25
	v_cndmask_b32_e32 v24, v27, v24, vcc
	v_and_or_b32 v25, v28, s44, v25
	v_lshl_or_b32 v24, v24, 7, v25
.LBB262_1188:                           ;   in Loop: Header=BB262_809 Depth=1
	s_or_b64 exec, exec, s[40:41]
.LBB262_1189:                           ;   in Loop: Header=BB262_809 Depth=1
	s_or_b64 exec, exec, s[28:29]
.LBB262_1190:                           ;   in Loop: Header=BB262_809 Depth=1
	s_or_b64 exec, exec, s[26:27]
	v_lshrrev_b16_e32 v5, 8, v5
	v_cmp_ne_u16_e32 vcc, 0, v5
	v_mov_b32_e32 v25, 0
	s_and_saveexec_b64 s[26:27], vcc
	s_cbranch_execz .LBB262_1196
; %bb.1191:                             ;   in Loop: Header=BB262_809 Depth=1
	v_cmp_ne_u16_e32 vcc, s42, v5
	v_bfrev_b32_e32 v25, 1
	s_and_saveexec_b64 s[28:29], vcc
	s_cbranch_execz .LBB262_1195
; %bb.1192:                             ;   in Loop: Header=BB262_809 Depth=1
	v_and_b32_e32 v27, 0x7f, v5
	v_cmp_ne_u32_e32 vcc, s43, v27
	v_mov_b32_e32 v25, 0x7c010000
	s_and_saveexec_b64 s[40:41], vcc
	s_cbranch_execz .LBB262_1194
; %bb.1193:                             ;   in Loop: Header=BB262_809 Depth=1
	v_and_b32_e32 v25, 7, v5
	v_lshrrev_b32_e32 v29, 3, v27
	v_cmp_gt_u32_e32 vcc, 8, v27
	v_ffbh_u32_e32 v27, v25
	v_min_u32_e32 v31, 32, v27
	v_subrev_u32_e32 v27, 28, v31
	v_lshlrev_b64 v[27:28], v27, v[5:6]
	v_sub_u32_e32 v28, 29, v31
	v_cndmask_b32_e32 v28, v29, v28, vcc
	v_lshlrev_b32_e32 v5, 8, v5
	v_lshl_add_u32 v28, v28, 10, v45
	v_and_b32_e32 v27, 7, v27
	v_and_or_b32 v5, v5, s44, v28
	v_cndmask_b32_e32 v25, v25, v27, vcc
	v_lshlrev_b32_e32 v5, 16, v5
	v_lshl_or_b32 v25, v25, 23, v5
.LBB262_1194:                           ;   in Loop: Header=BB262_809 Depth=1
	s_or_b64 exec, exec, s[40:41]
.LBB262_1195:                           ;   in Loop: Header=BB262_809 Depth=1
	s_or_b64 exec, exec, s[28:29]
.LBB262_1196:                           ;   in Loop: Header=BB262_809 Depth=1
	s_or_b64 exec, exec, s[26:27]
	v_lshrrev_b32_e32 v5, 16, v14
	v_cmp_ne_u16_sdwa s[28:29], v5, v6 src0_sel:BYTE_0 src1_sel:DWORD
	s_and_saveexec_b64 s[26:27], s[28:29]
	s_cbranch_execz .LBB262_1202
; %bb.1197:                             ;   in Loop: Header=BB262_809 Depth=1
	v_cmp_ne_u16_sdwa s[40:41], v5, s42 src0_sel:BYTE_0 src1_sel:DWORD
	v_mov_b32_e32 v23, 0x8000
	s_and_saveexec_b64 s[28:29], s[40:41]
	s_cbranch_execz .LBB262_1201
; %bb.1198:                             ;   in Loop: Header=BB262_809 Depth=1
	v_bfe_u32 v27, v14, 16, 7
	v_cmp_ne_u32_e32 vcc, s43, v27
	v_mov_b32_e32 v23, 0x7c01
	s_and_saveexec_b64 s[40:41], vcc
	s_cbranch_execz .LBB262_1200
; %bb.1199:                             ;   in Loop: Header=BB262_809 Depth=1
	v_and_b32_e32 v23, 7, v5
	v_lshrrev_b32_e32 v29, 3, v27
	v_cmp_gt_u32_e32 vcc, 8, v27
	v_ffbh_u32_e32 v27, v23
	v_min_u32_e32 v31, 32, v27
	v_subrev_u32_e32 v27, 28, v31
	v_lshlrev_b64 v[27:28], v27, v[5:6]
	v_sub_u32_e32 v28, 29, v31
	v_cndmask_b32_e32 v28, v29, v28, vcc
	v_lshl_add_u32 v28, v28, 10, v45
	v_and_b32_e32 v27, 7, v27
	v_lshlrev_b32_e32 v5, 8, v5
	v_cndmask_b32_e32 v23, v23, v27, vcc
	v_and_b32_e32 v27, 0xfc00, v28
	v_and_or_b32 v5, v5, s44, v27
	v_lshl_or_b32 v23, v23, 7, v5
.LBB262_1200:                           ;   in Loop: Header=BB262_809 Depth=1
	s_or_b64 exec, exec, s[40:41]
.LBB262_1201:                           ;   in Loop: Header=BB262_809 Depth=1
	s_or_b64 exec, exec, s[28:29]
.LBB262_1202:                           ;   in Loop: Header=BB262_809 Depth=1
	s_or_b64 exec, exec, s[26:27]
	v_cmp_lt_u64_e32 vcc, s[10:11], v[13:14]
	v_mov_b32_e32 v13, 0
	s_and_saveexec_b64 s[26:27], vcc
	s_cbranch_execz .LBB262_1208
; %bb.1203:                             ;   in Loop: Header=BB262_809 Depth=1
	v_lshrrev_b32_e32 v5, 24, v14
	v_cmp_ne_u32_e32 vcc, s42, v5
	v_bfrev_b32_e32 v13, 1
	s_and_saveexec_b64 s[28:29], vcc
	s_cbranch_execz .LBB262_1207
; %bb.1204:                             ;   in Loop: Header=BB262_809 Depth=1
	v_and_b32_e32 v14, 0x7f, v5
	v_cmp_ne_u32_e32 vcc, s43, v14
	v_mov_b32_e32 v13, 0x7c010000
	s_and_saveexec_b64 s[40:41], vcc
	s_cbranch_execz .LBB262_1206
; %bb.1205:                             ;   in Loop: Header=BB262_809 Depth=1
	v_and_b32_e32 v27, 7, v5
	v_ffbh_u32_e32 v13, v27
	v_min_u32_e32 v29, 32, v13
	v_subrev_u32_e32 v13, 28, v29
	v_lshrrev_b32_e32 v28, 3, v14
	v_cmp_gt_u32_e32 vcc, 8, v14
	v_lshlrev_b64 v[13:14], v13, v[5:6]
	v_sub_u32_e32 v14, 29, v29
	v_cndmask_b32_e32 v14, v28, v14, vcc
	v_lshlrev_b32_e32 v5, 8, v5
	v_lshl_add_u32 v14, v14, 10, v45
	v_and_b32_e32 v13, 7, v13
	v_and_or_b32 v5, v5, s44, v14
	v_cndmask_b32_e32 v13, v27, v13, vcc
	v_lshlrev_b32_e32 v5, 16, v5
	v_lshl_or_b32 v13, v13, 23, v5
.LBB262_1206:                           ;   in Loop: Header=BB262_809 Depth=1
	s_or_b64 exec, exec, s[40:41]
.LBB262_1207:                           ;   in Loop: Header=BB262_809 Depth=1
	s_or_b64 exec, exec, s[28:29]
.LBB262_1208:                           ;   in Loop: Header=BB262_809 Depth=1
	s_or_b64 exec, exec, s[26:27]
	s_waitcnt vmcnt(0) lgkmcnt(0)
	v_fma_mixlo_f16 v14, v0, v17, 0 op_sel:[0,1,0] op_sel_hi:[0,1,0]
	v_or_b32_e32 v5, v17, v21
	v_lshlrev_b32_e32 v17, 16, v14
	v_or_b32_e32 v14, v15, v16
	v_fma_mixlo_f16 v15, v0, v15, 0 op_sel:[0,1,0] op_sel_hi:[0,1,0]
	v_lshlrev_b32_e32 v27, 16, v15
	v_or_b32_e32 v15, v25, v24
	v_or_b32_e32 v23, v13, v23
	v_fma_mixlo_f16 v5, v0, v5, 0 op_sel_hi:[0,1,0]
	v_fma_mixlo_f16 v14, v0, v14, 0 op_sel_hi:[0,1,0]
	v_fma_mixlo_f16 v16, v0, v25, 0 op_sel:[0,1,0] op_sel_hi:[0,1,0]
	v_fma_mixlo_f16 v15, v0, v15, 0 op_sel_hi:[0,1,0]
	v_fma_mixlo_f16 v23, v0, v23, 0 op_sel_hi:[0,1,0]
	v_fma_mixlo_f16 v0, v0, v13, 0 op_sel:[0,1,0] op_sel_hi:[0,1,0]
	v_and_b32_e32 v21, 0xffff, v5
	v_and_b32_e32 v28, 0xffff, v14
	v_lshlrev_b32_e32 v16, 16, v16
	v_and_b32_e32 v24, 0xffff, v15
	v_lshlrev_b32_e32 v0, 16, v0
	v_and_b32_e32 v13, 0xffff, v23
	v_or_b32_e32 v5, v17, v21
	v_or_b32_e32 v14, v27, v28
	;; [unrolled: 1-line block ×4, first 2 shown]
	s_and_saveexec_b64 s[26:27], s[6:7]
	s_cbranch_execz .LBB262_1210
; %bb.1209:                             ;   in Loop: Header=BB262_809 Depth=1
	v_cmp_lt_i32_e32 vcc, v46, v30
	v_cndmask_b32_e32 v5, 0, v28, vcc
	v_cmp_lt_i32_e32 vcc, v1, v30
	v_cndmask_b32_e32 v14, 0, v27, vcc
	v_cmp_lt_i32_e32 vcc, v20, v30
	v_or_b32_e32 v14, v5, v14
	v_cndmask_b32_e32 v5, 0, v21, vcc
	v_cmp_lt_i32_e32 vcc, v63, v30
	v_cndmask_b32_e32 v15, 0, v17, vcc
	v_cmp_lt_i32_e32 vcc, v62, v30
	v_or_b32_e32 v5, v5, v15
	v_cndmask_b32_e32 v15, 0, v24, vcc
	v_cmp_lt_i32_e32 vcc, v61, v30
	v_cndmask_b32_e32 v16, 0, v16, vcc
	v_cmp_lt_i32_e32 vcc, v60, v30
	;; [unrolled: 2-line block ×3, first 2 shown]
	v_cndmask_b32_e32 v0, 0, v0, vcc
	v_or_b32_e32 v15, v15, v16
	v_or_b32_e32 v23, v13, v0
.LBB262_1210:                           ;   in Loop: Header=BB262_809 Depth=1
	s_or_b64 exec, exec, s[26:27]
	;;#ASMSTART
	v_pk_mul_f16 v0, v58, v14;

	;;#ASMEND
	;;#ASMSTART
	v_pk_mul_f16 v5, v57, v5;

	;;#ASMEND
	;; [unrolled: 4-line block ×4, first 2 shown]
	;;#ASMSTART
	v_pk_add_f16 v0, v0, v5;

	;;#ASMEND
	;;#ASMSTART
	v_pk_add_f16 v0, v0, v13;

	;;#ASMEND
	;; [unrolled: 4-line block ×3, first 2 shown]
	v_add_co_u32_e32 v13, vcc, 0x1000, v11
	v_lshrrev_b32_e32 v5, 16, v0
	v_and_b32_e32 v0, 0xffff, v0
	v_addc_co_u32_e32 v14, vcc, 0, v12, vcc
	;;#ASMSTART
	v_cvt_f32_f16 v39, v0;
	;;#ASMEND
	;;#ASMSTART
	v_cvt_f32_f16 v0, v5;
	;;#ASMEND
	flat_load_dwordx2 v[13:14], v[13:14]
	s_nop 0
	buffer_load_dword v15, off, s[0:3], s32 offset:64 ; 4-byte Folded Reload
	buffer_load_dword v16, off, s[0:3], s32 offset:68 ; 4-byte Folded Reload
	v_mov_b32_e32 v17, 0
	s_waitcnt vmcnt(0) lgkmcnt(0)
	v_cmp_ne_u16_sdwa s[28:29], v13, v6 src0_sel:BYTE_0 src1_sel:DWORD
	flat_load_dword v15, v[15:16]
	v_mov_b32_e32 v16, 0
	s_and_saveexec_b64 s[26:27], s[28:29]
	s_cbranch_execz .LBB262_1216
; %bb.1211:                             ;   in Loop: Header=BB262_809 Depth=1
	v_cmp_ne_u16_sdwa s[40:41], v13, s42 src0_sel:BYTE_0 src1_sel:DWORD
	v_mov_b32_e32 v17, 0x8000
	s_and_saveexec_b64 s[28:29], s[40:41]
	s_cbranch_execz .LBB262_1215
; %bb.1212:                             ;   in Loop: Header=BB262_809 Depth=1
	v_and_b32_e32 v5, 0x7f, v13
	v_cmp_ne_u32_e32 vcc, s43, v5
	v_mov_b32_e32 v17, 0x7c01
	s_and_saveexec_b64 s[40:41], vcc
	s_cbranch_execz .LBB262_1214
; %bb.1213:                             ;   in Loop: Header=BB262_809 Depth=1
	v_and_b32_e32 v17, 7, v13
	v_lshrrev_b32_e32 v21, 3, v5
	v_cmp_gt_u32_e32 vcc, 8, v5
	v_ffbh_u32_e32 v5, v17
	v_min_u32_e32 v5, 32, v5
	v_subrev_u32_e32 v23, 28, v5
	v_sub_u32_e32 v5, 29, v5
	v_lshlrev_b64 v[23:24], v23, v[13:14]
	v_cndmask_b32_e32 v5, v21, v5, vcc
	v_lshl_add_u32 v5, v5, 10, v45
	v_lshlrev_b32_e32 v21, 8, v13
	v_and_b32_e32 v23, 7, v23
	v_and_b32_e32 v5, 0xfc00, v5
	v_cndmask_b32_e32 v17, v17, v23, vcc
	v_and_or_b32 v5, v21, s44, v5
	v_lshl_or_b32 v17, v17, 7, v5
.LBB262_1214:                           ;   in Loop: Header=BB262_809 Depth=1
	s_or_b64 exec, exec, s[40:41]
.LBB262_1215:                           ;   in Loop: Header=BB262_809 Depth=1
	s_or_b64 exec, exec, s[28:29]
.LBB262_1216:                           ;   in Loop: Header=BB262_809 Depth=1
	s_or_b64 exec, exec, s[26:27]
	v_lshrrev_b16_e32 v5, 8, v13
	v_cmp_ne_u16_e32 vcc, 0, v5
	s_and_saveexec_b64 s[26:27], vcc
	s_cbranch_execz .LBB262_1222
; %bb.1217:                             ;   in Loop: Header=BB262_809 Depth=1
	v_cmp_ne_u16_e32 vcc, s42, v5
	v_bfrev_b32_e32 v16, 1
	s_and_saveexec_b64 s[28:29], vcc
	s_cbranch_execz .LBB262_1221
; %bb.1218:                             ;   in Loop: Header=BB262_809 Depth=1
	v_and_b32_e32 v21, 0x7f, v5
	v_cmp_ne_u32_e32 vcc, s43, v21
	v_mov_b32_e32 v16, 0x7c010000
	s_and_saveexec_b64 s[40:41], vcc
	s_cbranch_execz .LBB262_1220
; %bb.1219:                             ;   in Loop: Header=BB262_809 Depth=1
	v_and_b32_e32 v16, 7, v5
	v_lshrrev_b32_e32 v25, 3, v21
	v_cmp_gt_u32_e32 vcc, 8, v21
	v_ffbh_u32_e32 v21, v16
	v_min_u32_e32 v21, 32, v21
	v_subrev_u32_e32 v23, 28, v21
	v_sub_u32_e32 v21, 29, v21
	v_lshlrev_b64 v[23:24], v23, v[5:6]
	v_cndmask_b32_e32 v21, v25, v21, vcc
	v_lshlrev_b32_e32 v5, 8, v5
	v_lshl_add_u32 v21, v21, 10, v45
	v_and_b32_e32 v23, 7, v23
	v_and_or_b32 v5, v5, s44, v21
	v_cndmask_b32_e32 v16, v16, v23, vcc
	v_lshlrev_b32_e32 v5, 16, v5
	v_lshl_or_b32 v16, v16, 23, v5
.LBB262_1220:                           ;   in Loop: Header=BB262_809 Depth=1
	s_or_b64 exec, exec, s[40:41]
.LBB262_1221:                           ;   in Loop: Header=BB262_809 Depth=1
	s_or_b64 exec, exec, s[28:29]
.LBB262_1222:                           ;   in Loop: Header=BB262_809 Depth=1
	s_or_b64 exec, exec, s[26:27]
	v_lshrrev_b32_e32 v5, 16, v13
	v_cmp_ne_u16_sdwa s[28:29], v5, v6 src0_sel:BYTE_0 src1_sel:DWORD
	v_mov_b32_e32 v21, 0
	v_mov_b32_e32 v23, 0
	s_and_saveexec_b64 s[26:27], s[28:29]
	s_cbranch_execz .LBB262_1228
; %bb.1223:                             ;   in Loop: Header=BB262_809 Depth=1
	v_cmp_ne_u16_sdwa s[40:41], v5, s42 src0_sel:BYTE_0 src1_sel:DWORD
	v_mov_b32_e32 v23, 0x8000
	s_and_saveexec_b64 s[28:29], s[40:41]
	s_cbranch_execz .LBB262_1227
; %bb.1224:                             ;   in Loop: Header=BB262_809 Depth=1
	v_bfe_u32 v24, v13, 16, 7
	v_cmp_ne_u32_e32 vcc, s43, v24
	v_mov_b32_e32 v23, 0x7c01
	s_and_saveexec_b64 s[40:41], vcc
	s_cbranch_execz .LBB262_1226
; %bb.1225:                             ;   in Loop: Header=BB262_809 Depth=1
	v_and_b32_e32 v25, 7, v5
	v_ffbh_u32_e32 v23, v25
	v_min_u32_e32 v28, 32, v23
	v_subrev_u32_e32 v23, 28, v28
	v_lshrrev_b32_e32 v27, 3, v24
	v_cmp_gt_u32_e32 vcc, 8, v24
	v_lshlrev_b64 v[23:24], v23, v[5:6]
	v_sub_u32_e32 v24, 29, v28
	v_cndmask_b32_e32 v24, v27, v24, vcc
	v_lshl_add_u32 v24, v24, 10, v45
	v_lshlrev_b32_e32 v5, 8, v5
	v_and_b32_e32 v23, 7, v23
	v_and_b32_e32 v24, 0xfc00, v24
	v_cndmask_b32_e32 v23, v25, v23, vcc
	v_and_or_b32 v5, v5, s44, v24
	v_lshl_or_b32 v23, v23, 7, v5
.LBB262_1226:                           ;   in Loop: Header=BB262_809 Depth=1
	s_or_b64 exec, exec, s[40:41]
.LBB262_1227:                           ;   in Loop: Header=BB262_809 Depth=1
	s_or_b64 exec, exec, s[28:29]
.LBB262_1228:                           ;   in Loop: Header=BB262_809 Depth=1
	s_or_b64 exec, exec, s[26:27]
	v_cmp_lt_u32_e32 vcc, s11, v13
	s_and_saveexec_b64 s[26:27], vcc
	s_cbranch_execz .LBB262_1234
; %bb.1229:                             ;   in Loop: Header=BB262_809 Depth=1
	v_lshrrev_b32_e32 v5, 24, v13
	v_cmp_ne_u32_e32 vcc, s42, v5
	v_bfrev_b32_e32 v21, 1
	s_and_saveexec_b64 s[28:29], vcc
	s_cbranch_execz .LBB262_1233
; %bb.1230:                             ;   in Loop: Header=BB262_809 Depth=1
	v_and_b32_e32 v24, 0x7f, v5
	v_cmp_ne_u32_e32 vcc, s43, v24
	v_mov_b32_e32 v21, 0x7c010000
	s_and_saveexec_b64 s[40:41], vcc
	s_cbranch_execz .LBB262_1232
; %bb.1231:                             ;   in Loop: Header=BB262_809 Depth=1
	v_and_b32_e32 v21, 7, v5
	v_lshrrev_b32_e32 v27, 3, v24
	v_cmp_gt_u32_e32 vcc, 8, v24
	v_ffbh_u32_e32 v24, v21
	v_min_u32_e32 v28, 32, v24
	v_subrev_u32_e32 v24, 28, v28
	v_lshlrev_b64 v[24:25], v24, v[5:6]
	v_sub_u32_e32 v25, 29, v28
	v_cndmask_b32_e32 v25, v27, v25, vcc
	v_lshlrev_b32_e32 v5, 8, v5
	v_lshl_add_u32 v25, v25, 10, v45
	v_and_b32_e32 v24, 7, v24
	v_and_or_b32 v5, v5, s44, v25
	v_cndmask_b32_e32 v21, v21, v24, vcc
	v_lshlrev_b32_e32 v5, 16, v5
	v_lshl_or_b32 v21, v21, 23, v5
.LBB262_1232:                           ;   in Loop: Header=BB262_809 Depth=1
	s_or_b64 exec, exec, s[40:41]
.LBB262_1233:                           ;   in Loop: Header=BB262_809 Depth=1
	s_or_b64 exec, exec, s[28:29]
.LBB262_1234:                           ;   in Loop: Header=BB262_809 Depth=1
	s_or_b64 exec, exec, s[26:27]
	v_mov_b32_e32 v5, v14
	v_cmp_ne_u16_sdwa s[28:29], v14, v6 src0_sel:BYTE_0 src1_sel:DWORD
	v_mov_b32_e32 v24, 0
	v_mov_b32_e32 v25, 0
	s_and_saveexec_b64 s[26:27], s[28:29]
	s_cbranch_execz .LBB262_1240
; %bb.1235:                             ;   in Loop: Header=BB262_809 Depth=1
	v_cmp_ne_u16_sdwa s[40:41], v14, s42 src0_sel:BYTE_0 src1_sel:DWORD
	v_mov_b32_e32 v25, 0x8000
	s_and_saveexec_b64 s[28:29], s[40:41]
	s_cbranch_execz .LBB262_1239
; %bb.1236:                             ;   in Loop: Header=BB262_809 Depth=1
	v_and_b32_e32 v27, 0x7f, v14
	v_cmp_ne_u32_e32 vcc, s43, v27
	v_mov_b32_e32 v25, 0x7c01
	s_and_saveexec_b64 s[40:41], vcc
	s_cbranch_execz .LBB262_1238
; %bb.1237:                             ;   in Loop: Header=BB262_809 Depth=1
	v_and_b32_e32 v25, 7, v14
	v_lshrrev_b32_e32 v29, 3, v27
	v_cmp_gt_u32_e32 vcc, 8, v27
	v_ffbh_u32_e32 v27, v25
	v_min_u32_e32 v31, 32, v27
	v_subrev_u32_e32 v27, 28, v31
	v_lshlrev_b64 v[27:28], v27, v[5:6]
	v_sub_u32_e32 v28, 29, v31
	v_cndmask_b32_e32 v28, v29, v28, vcc
	v_lshl_add_u32 v28, v28, 10, v45
	v_and_b32_e32 v27, 7, v27
	v_lshlrev_b32_e32 v29, 8, v14
	v_cndmask_b32_e32 v25, v25, v27, vcc
	v_and_b32_e32 v27, 0xfc00, v28
	v_and_or_b32 v27, v29, s44, v27
	v_lshl_or_b32 v25, v25, 7, v27
.LBB262_1238:                           ;   in Loop: Header=BB262_809 Depth=1
	s_or_b64 exec, exec, s[40:41]
.LBB262_1239:                           ;   in Loop: Header=BB262_809 Depth=1
	s_or_b64 exec, exec, s[28:29]
.LBB262_1240:                           ;   in Loop: Header=BB262_809 Depth=1
	s_or_b64 exec, exec, s[26:27]
	v_lshrrev_b16_e32 v5, 8, v5
	v_cmp_ne_u16_e32 vcc, 0, v5
	v_mov_b32_e32 v27, 0
	s_and_saveexec_b64 s[26:27], vcc
	s_cbranch_execz .LBB262_1246
; %bb.1241:                             ;   in Loop: Header=BB262_809 Depth=1
	v_cmp_ne_u16_e32 vcc, s42, v5
	v_bfrev_b32_e32 v27, 1
	s_and_saveexec_b64 s[28:29], vcc
	s_cbranch_execz .LBB262_1245
; %bb.1242:                             ;   in Loop: Header=BB262_809 Depth=1
	v_and_b32_e32 v28, 0x7f, v5
	v_cmp_ne_u32_e32 vcc, s43, v28
	v_mov_b32_e32 v27, 0x7c010000
	s_and_saveexec_b64 s[40:41], vcc
	s_cbranch_execz .LBB262_1244
; %bb.1243:                             ;   in Loop: Header=BB262_809 Depth=1
	v_and_b32_e32 v29, 7, v5
	v_ffbh_u32_e32 v27, v29
	v_min_u32_e32 v33, 32, v27
	v_subrev_u32_e32 v27, 28, v33
	v_lshrrev_b32_e32 v31, 3, v28
	v_cmp_gt_u32_e32 vcc, 8, v28
	v_lshlrev_b64 v[27:28], v27, v[5:6]
	v_sub_u32_e32 v28, 29, v33
	v_cndmask_b32_e32 v28, v31, v28, vcc
	v_lshlrev_b32_e32 v5, 8, v5
	v_lshl_add_u32 v28, v28, 10, v45
	v_and_b32_e32 v27, 7, v27
	v_and_or_b32 v5, v5, s44, v28
	v_cndmask_b32_e32 v27, v29, v27, vcc
	v_lshlrev_b32_e32 v5, 16, v5
	v_lshl_or_b32 v27, v27, 23, v5
.LBB262_1244:                           ;   in Loop: Header=BB262_809 Depth=1
	s_or_b64 exec, exec, s[40:41]
.LBB262_1245:                           ;   in Loop: Header=BB262_809 Depth=1
	s_or_b64 exec, exec, s[28:29]
.LBB262_1246:                           ;   in Loop: Header=BB262_809 Depth=1
	s_or_b64 exec, exec, s[26:27]
	v_lshrrev_b32_e32 v5, 16, v14
	v_cmp_ne_u16_sdwa s[28:29], v5, v6 src0_sel:BYTE_0 src1_sel:DWORD
	s_and_saveexec_b64 s[26:27], s[28:29]
	s_cbranch_execz .LBB262_1252
; %bb.1247:                             ;   in Loop: Header=BB262_809 Depth=1
	v_cmp_ne_u16_sdwa s[40:41], v5, s42 src0_sel:BYTE_0 src1_sel:DWORD
	v_mov_b32_e32 v24, 0x8000
	s_and_saveexec_b64 s[28:29], s[40:41]
	s_cbranch_execz .LBB262_1251
; %bb.1248:                             ;   in Loop: Header=BB262_809 Depth=1
	v_bfe_u32 v28, v14, 16, 7
	v_cmp_ne_u32_e32 vcc, s43, v28
	v_mov_b32_e32 v24, 0x7c01
	s_and_saveexec_b64 s[40:41], vcc
	s_cbranch_execz .LBB262_1250
; %bb.1249:                             ;   in Loop: Header=BB262_809 Depth=1
	v_and_b32_e32 v24, 7, v5
	v_lshrrev_b32_e32 v31, 3, v28
	v_cmp_gt_u32_e32 vcc, 8, v28
	v_ffbh_u32_e32 v28, v24
	v_min_u32_e32 v33, 32, v28
	v_subrev_u32_e32 v28, 28, v33
	v_lshlrev_b64 v[28:29], v28, v[5:6]
	v_sub_u32_e32 v29, 29, v33
	v_cndmask_b32_e32 v29, v31, v29, vcc
	v_lshl_add_u32 v29, v29, 10, v45
	v_and_b32_e32 v28, 7, v28
	v_lshlrev_b32_e32 v5, 8, v5
	v_cndmask_b32_e32 v24, v24, v28, vcc
	v_and_b32_e32 v28, 0xfc00, v29
	v_and_or_b32 v5, v5, s44, v28
	v_lshl_or_b32 v24, v24, 7, v5
.LBB262_1250:                           ;   in Loop: Header=BB262_809 Depth=1
	s_or_b64 exec, exec, s[40:41]
.LBB262_1251:                           ;   in Loop: Header=BB262_809 Depth=1
	s_or_b64 exec, exec, s[28:29]
.LBB262_1252:                           ;   in Loop: Header=BB262_809 Depth=1
	s_or_b64 exec, exec, s[26:27]
	v_cmp_lt_u64_e32 vcc, s[10:11], v[13:14]
	v_mov_b32_e32 v13, 0
	s_and_saveexec_b64 s[26:27], vcc
	s_cbranch_execz .LBB262_1258
; %bb.1253:                             ;   in Loop: Header=BB262_809 Depth=1
	v_lshrrev_b32_e32 v5, 24, v14
	v_cmp_ne_u32_e32 vcc, s42, v5
	v_bfrev_b32_e32 v13, 1
	s_and_saveexec_b64 s[28:29], vcc
	s_cbranch_execz .LBB262_1257
; %bb.1254:                             ;   in Loop: Header=BB262_809 Depth=1
	v_and_b32_e32 v14, 0x7f, v5
	v_cmp_ne_u32_e32 vcc, s43, v14
	v_mov_b32_e32 v13, 0x7c010000
	s_and_saveexec_b64 s[40:41], vcc
	s_cbranch_execz .LBB262_1256
; %bb.1255:                             ;   in Loop: Header=BB262_809 Depth=1
	v_and_b32_e32 v28, 7, v5
	v_ffbh_u32_e32 v13, v28
	v_min_u32_e32 v31, 32, v13
	v_subrev_u32_e32 v13, 28, v31
	v_lshrrev_b32_e32 v29, 3, v14
	v_cmp_gt_u32_e32 vcc, 8, v14
	v_lshlrev_b64 v[13:14], v13, v[5:6]
	v_sub_u32_e32 v14, 29, v31
	v_cndmask_b32_e32 v14, v29, v14, vcc
	v_lshlrev_b32_e32 v5, 8, v5
	v_lshl_add_u32 v14, v14, 10, v45
	v_and_b32_e32 v13, 7, v13
	v_and_or_b32 v5, v5, s44, v14
	v_cndmask_b32_e32 v13, v28, v13, vcc
	v_lshlrev_b32_e32 v5, 16, v5
	v_lshl_or_b32 v13, v13, 23, v5
.LBB262_1256:                           ;   in Loop: Header=BB262_809 Depth=1
	s_or_b64 exec, exec, s[40:41]
.LBB262_1257:                           ;   in Loop: Header=BB262_809 Depth=1
	s_or_b64 exec, exec, s[28:29]
.LBB262_1258:                           ;   in Loop: Header=BB262_809 Depth=1
	s_or_b64 exec, exec, s[26:27]
	s_waitcnt vmcnt(0) lgkmcnt(0)
	v_fma_mixlo_f16 v14, v15, v21, 0 op_sel:[0,1,0] op_sel_hi:[0,1,0]
	v_or_b32_e32 v5, v21, v23
	v_lshlrev_b32_e32 v21, 16, v14
	v_or_b32_e32 v14, v16, v17
	v_fma_mixlo_f16 v16, v15, v16, 0 op_sel:[0,1,0] op_sel_hi:[0,1,0]
	v_lshlrev_b32_e32 v28, 16, v16
	v_or_b32_e32 v16, v27, v25
	v_or_b32_e32 v24, v13, v24
	v_fma_mixlo_f16 v5, v15, v5, 0 op_sel_hi:[0,1,0]
	v_fma_mixlo_f16 v14, v15, v14, 0 op_sel_hi:[0,1,0]
	v_fma_mixlo_f16 v17, v15, v27, 0 op_sel:[0,1,0] op_sel_hi:[0,1,0]
	v_fma_mixlo_f16 v16, v15, v16, 0 op_sel_hi:[0,1,0]
	v_fma_mixlo_f16 v24, v15, v24, 0 op_sel_hi:[0,1,0]
	v_fma_mixlo_f16 v13, v15, v13, 0 op_sel:[0,1,0] op_sel_hi:[0,1,0]
	v_and_b32_e32 v23, 0xffff, v5
	v_and_b32_e32 v29, 0xffff, v14
	v_lshlrev_b32_e32 v17, 16, v17
	v_and_b32_e32 v25, 0xffff, v16
	v_lshlrev_b32_e32 v13, 16, v13
	v_and_b32_e32 v15, 0xffff, v24
	v_or_b32_e32 v5, v21, v23
	v_or_b32_e32 v14, v28, v29
	;; [unrolled: 1-line block ×4, first 2 shown]
	s_and_saveexec_b64 s[26:27], s[6:7]
	s_cbranch_execz .LBB262_1260
; %bb.1259:                             ;   in Loop: Header=BB262_809 Depth=1
	v_cmp_lt_i32_e32 vcc, v46, v30
	v_cndmask_b32_e32 v5, 0, v29, vcc
	v_cmp_lt_i32_e32 vcc, v1, v30
	v_cndmask_b32_e32 v14, 0, v28, vcc
	v_cmp_lt_i32_e32 vcc, v20, v30
	v_or_b32_e32 v14, v5, v14
	v_cndmask_b32_e32 v5, 0, v23, vcc
	v_cmp_lt_i32_e32 vcc, v63, v30
	v_cndmask_b32_e32 v16, 0, v21, vcc
	v_cmp_lt_i32_e32 vcc, v62, v30
	v_or_b32_e32 v5, v5, v16
	v_cndmask_b32_e32 v16, 0, v25, vcc
	v_cmp_lt_i32_e32 vcc, v61, v30
	v_cndmask_b32_e32 v17, 0, v17, vcc
	v_cmp_lt_i32_e32 vcc, v60, v30
	v_cndmask_b32_e32 v15, 0, v15, vcc
	v_cmp_lt_i32_e32 vcc, v59, v30
	v_cndmask_b32_e32 v13, 0, v13, vcc
	v_or_b32_e32 v16, v16, v17
	v_or_b32_e32 v24, v15, v13
.LBB262_1260:                           ;   in Loop: Header=BB262_809 Depth=1
	s_or_b64 exec, exec, s[26:27]
	;;#ASMSTART
	v_pk_mul_f16 v13, v58, v14;

	;;#ASMEND
	;;#ASMSTART
	v_pk_mul_f16 v5, v57, v5;

	;;#ASMEND
	;; [unrolled: 4-line block ×4, first 2 shown]
	;;#ASMSTART
	v_pk_add_f16 v5, v13, v5;

	;;#ASMEND
	;;#ASMSTART
	v_pk_add_f16 v5, v5, v14;

	;;#ASMEND
	;; [unrolled: 4-line block ×3, first 2 shown]
	v_lshrrev_b32_e32 v13, 16, v5
	v_and_b32_e32 v5, 0xffff, v5
	;;#ASMSTART
	v_cvt_f32_f16 v15, v5;
	;;#ASMEND
	;;#ASMSTART
	v_cvt_f32_f16 v41, v13;
	;;#ASMEND
	v_add_co_u32_e32 v13, vcc, 0x1000, v11
	v_addc_co_u32_e32 v14, vcc, 0, v12, vcc
	flat_load_dwordx2 v[13:14], v[13:14] offset:512
	s_nop 0
	buffer_load_dword v23, off, s[0:3], s32 offset:64 ; 4-byte Folded Reload
	buffer_load_dword v24, off, s[0:3], s32 offset:68 ; 4-byte Folded Reload
	v_mov_b32_e32 v21, 0
	s_waitcnt vmcnt(0) lgkmcnt(0)
	v_cmp_ne_u16_sdwa s[28:29], v13, v6 src0_sel:BYTE_0 src1_sel:DWORD
	flat_load_dword v17, v[23:24]
	v_mov_b32_e32 v23, 0
	s_and_saveexec_b64 s[26:27], s[28:29]
	s_cbranch_execz .LBB262_1266
; %bb.1261:                             ;   in Loop: Header=BB262_809 Depth=1
	v_cmp_ne_u16_sdwa s[40:41], v13, s42 src0_sel:BYTE_0 src1_sel:DWORD
	v_mov_b32_e32 v23, 0x8000
	s_and_saveexec_b64 s[28:29], s[40:41]
	s_cbranch_execz .LBB262_1265
; %bb.1262:                             ;   in Loop: Header=BB262_809 Depth=1
	v_and_b32_e32 v5, 0x7f, v13
	v_cmp_ne_u32_e32 vcc, s43, v5
	v_mov_b32_e32 v23, 0x7c01
	s_and_saveexec_b64 s[40:41], vcc
	s_cbranch_execz .LBB262_1264
; %bb.1263:                             ;   in Loop: Header=BB262_809 Depth=1
	v_and_b32_e32 v25, 7, v13
	v_lshrrev_b32_e32 v27, 3, v5
	v_cmp_gt_u32_e32 vcc, 8, v5
	v_ffbh_u32_e32 v5, v25
	v_min_u32_e32 v5, 32, v5
	v_subrev_u32_e32 v23, 28, v5
	v_sub_u32_e32 v5, 29, v5
	v_lshlrev_b64 v[23:24], v23, v[13:14]
	v_cndmask_b32_e32 v5, v27, v5, vcc
	v_lshl_add_u32 v5, v5, 10, v45
	v_lshlrev_b32_e32 v24, 8, v13
	v_and_b32_e32 v23, 7, v23
	v_and_b32_e32 v5, 0xfc00, v5
	v_cndmask_b32_e32 v23, v25, v23, vcc
	v_and_or_b32 v5, v24, s44, v5
	v_lshl_or_b32 v23, v23, 7, v5
.LBB262_1264:                           ;   in Loop: Header=BB262_809 Depth=1
	s_or_b64 exec, exec, s[40:41]
.LBB262_1265:                           ;   in Loop: Header=BB262_809 Depth=1
	s_or_b64 exec, exec, s[28:29]
.LBB262_1266:                           ;   in Loop: Header=BB262_809 Depth=1
	s_or_b64 exec, exec, s[26:27]
	v_lshrrev_b16_e32 v5, 8, v13
	v_cmp_ne_u16_e32 vcc, 0, v5
	s_and_saveexec_b64 s[26:27], vcc
	s_cbranch_execz .LBB262_1272
; %bb.1267:                             ;   in Loop: Header=BB262_809 Depth=1
	v_cmp_ne_u16_e32 vcc, s42, v5
	v_bfrev_b32_e32 v21, 1
	s_and_saveexec_b64 s[28:29], vcc
	s_cbranch_execz .LBB262_1271
; %bb.1268:                             ;   in Loop: Header=BB262_809 Depth=1
	v_and_b32_e32 v24, 0x7f, v5
	v_cmp_ne_u32_e32 vcc, s43, v24
	v_mov_b32_e32 v21, 0x7c010000
	s_and_saveexec_b64 s[40:41], vcc
	s_cbranch_execz .LBB262_1270
; %bb.1269:                             ;   in Loop: Header=BB262_809 Depth=1
	v_and_b32_e32 v21, 7, v5
	v_lshrrev_b32_e32 v27, 3, v24
	v_cmp_gt_u32_e32 vcc, 8, v24
	v_ffbh_u32_e32 v24, v21
	v_min_u32_e32 v28, 32, v24
	v_subrev_u32_e32 v24, 28, v28
	v_lshlrev_b64 v[24:25], v24, v[5:6]
	v_sub_u32_e32 v25, 29, v28
	v_cndmask_b32_e32 v25, v27, v25, vcc
	v_lshlrev_b32_e32 v5, 8, v5
	v_lshl_add_u32 v25, v25, 10, v45
	v_and_b32_e32 v24, 7, v24
	v_and_or_b32 v5, v5, s44, v25
	v_cndmask_b32_e32 v21, v21, v24, vcc
	v_lshlrev_b32_e32 v5, 16, v5
	v_lshl_or_b32 v21, v21, 23, v5
.LBB262_1270:                           ;   in Loop: Header=BB262_809 Depth=1
	s_or_b64 exec, exec, s[40:41]
.LBB262_1271:                           ;   in Loop: Header=BB262_809 Depth=1
	s_or_b64 exec, exec, s[28:29]
.LBB262_1272:                           ;   in Loop: Header=BB262_809 Depth=1
	s_or_b64 exec, exec, s[26:27]
	v_lshrrev_b32_e32 v5, 16, v13
	v_cmp_ne_u16_sdwa s[28:29], v5, v6 src0_sel:BYTE_0 src1_sel:DWORD
	v_mov_b32_e32 v24, 0
	v_mov_b32_e32 v25, 0
	s_and_saveexec_b64 s[26:27], s[28:29]
	s_cbranch_execz .LBB262_1278
; %bb.1273:                             ;   in Loop: Header=BB262_809 Depth=1
	v_cmp_ne_u16_sdwa s[40:41], v5, s42 src0_sel:BYTE_0 src1_sel:DWORD
	v_mov_b32_e32 v25, 0x8000
	s_and_saveexec_b64 s[28:29], s[40:41]
	s_cbranch_execz .LBB262_1277
; %bb.1274:                             ;   in Loop: Header=BB262_809 Depth=1
	v_bfe_u32 v27, v13, 16, 7
	v_cmp_ne_u32_e32 vcc, s43, v27
	v_mov_b32_e32 v25, 0x7c01
	s_and_saveexec_b64 s[40:41], vcc
	s_cbranch_execz .LBB262_1276
; %bb.1275:                             ;   in Loop: Header=BB262_809 Depth=1
	v_and_b32_e32 v25, 7, v5
	v_lshrrev_b32_e32 v29, 3, v27
	v_cmp_gt_u32_e32 vcc, 8, v27
	v_ffbh_u32_e32 v27, v25
	v_min_u32_e32 v31, 32, v27
	v_subrev_u32_e32 v27, 28, v31
	v_lshlrev_b64 v[27:28], v27, v[5:6]
	v_sub_u32_e32 v28, 29, v31
	v_cndmask_b32_e32 v28, v29, v28, vcc
	v_lshl_add_u32 v28, v28, 10, v45
	v_and_b32_e32 v27, 7, v27
	v_lshlrev_b32_e32 v5, 8, v5
	v_cndmask_b32_e32 v25, v25, v27, vcc
	v_and_b32_e32 v27, 0xfc00, v28
	v_and_or_b32 v5, v5, s44, v27
	v_lshl_or_b32 v25, v25, 7, v5
.LBB262_1276:                           ;   in Loop: Header=BB262_809 Depth=1
	s_or_b64 exec, exec, s[40:41]
.LBB262_1277:                           ;   in Loop: Header=BB262_809 Depth=1
	s_or_b64 exec, exec, s[28:29]
.LBB262_1278:                           ;   in Loop: Header=BB262_809 Depth=1
	s_or_b64 exec, exec, s[26:27]
	v_cmp_lt_u32_e32 vcc, s11, v13
	s_and_saveexec_b64 s[26:27], vcc
	s_cbranch_execz .LBB262_1284
; %bb.1279:                             ;   in Loop: Header=BB262_809 Depth=1
	v_lshrrev_b32_e32 v5, 24, v13
	v_cmp_ne_u32_e32 vcc, s42, v5
	v_bfrev_b32_e32 v24, 1
	s_and_saveexec_b64 s[28:29], vcc
	s_cbranch_execz .LBB262_1283
; %bb.1280:                             ;   in Loop: Header=BB262_809 Depth=1
	v_and_b32_e32 v27, 0x7f, v5
	v_cmp_ne_u32_e32 vcc, s43, v27
	v_mov_b32_e32 v24, 0x7c010000
	s_and_saveexec_b64 s[40:41], vcc
	s_cbranch_execz .LBB262_1282
; %bb.1281:                             ;   in Loop: Header=BB262_809 Depth=1
	v_and_b32_e32 v24, 7, v5
	v_lshrrev_b32_e32 v29, 3, v27
	v_cmp_gt_u32_e32 vcc, 8, v27
	v_ffbh_u32_e32 v27, v24
	v_min_u32_e32 v31, 32, v27
	v_subrev_u32_e32 v27, 28, v31
	v_lshlrev_b64 v[27:28], v27, v[5:6]
	v_sub_u32_e32 v28, 29, v31
	v_cndmask_b32_e32 v28, v29, v28, vcc
	v_lshlrev_b32_e32 v5, 8, v5
	v_lshl_add_u32 v28, v28, 10, v45
	v_and_b32_e32 v27, 7, v27
	v_and_or_b32 v5, v5, s44, v28
	v_cndmask_b32_e32 v24, v24, v27, vcc
	v_lshlrev_b32_e32 v5, 16, v5
	v_lshl_or_b32 v24, v24, 23, v5
.LBB262_1282:                           ;   in Loop: Header=BB262_809 Depth=1
	s_or_b64 exec, exec, s[40:41]
.LBB262_1283:                           ;   in Loop: Header=BB262_809 Depth=1
	s_or_b64 exec, exec, s[28:29]
.LBB262_1284:                           ;   in Loop: Header=BB262_809 Depth=1
	s_or_b64 exec, exec, s[26:27]
	v_mov_b32_e32 v5, v14
	v_cmp_ne_u16_sdwa s[28:29], v14, v6 src0_sel:BYTE_0 src1_sel:DWORD
	v_mov_b32_e32 v27, 0
	v_mov_b32_e32 v28, 0
	s_and_saveexec_b64 s[26:27], s[28:29]
	s_cbranch_execz .LBB262_1290
; %bb.1285:                             ;   in Loop: Header=BB262_809 Depth=1
	v_cmp_ne_u16_sdwa s[40:41], v14, s42 src0_sel:BYTE_0 src1_sel:DWORD
	v_mov_b32_e32 v28, 0x8000
	s_and_saveexec_b64 s[28:29], s[40:41]
	s_cbranch_execz .LBB262_1289
; %bb.1286:                             ;   in Loop: Header=BB262_809 Depth=1
	v_and_b32_e32 v29, 0x7f, v14
	v_cmp_ne_u32_e32 vcc, s43, v29
	v_mov_b32_e32 v28, 0x7c01
	s_and_saveexec_b64 s[40:41], vcc
	s_cbranch_execz .LBB262_1288
; %bb.1287:                             ;   in Loop: Header=BB262_809 Depth=1
	v_and_b32_e32 v31, 7, v14
	v_ffbh_u32_e32 v28, v31
	v_min_u32_e32 v36, 32, v28
	v_subrev_u32_e32 v28, 28, v36
	v_lshrrev_b32_e32 v33, 3, v29
	v_cmp_gt_u32_e32 vcc, 8, v29
	v_lshlrev_b64 v[28:29], v28, v[5:6]
	v_sub_u32_e32 v29, 29, v36
	v_cndmask_b32_e32 v29, v33, v29, vcc
	v_lshl_add_u32 v29, v29, 10, v45
	v_lshlrev_b32_e32 v33, 8, v14
	v_and_b32_e32 v28, 7, v28
	v_and_b32_e32 v29, 0xfc00, v29
	v_cndmask_b32_e32 v28, v31, v28, vcc
	v_and_or_b32 v29, v33, s44, v29
	v_lshl_or_b32 v28, v28, 7, v29
.LBB262_1288:                           ;   in Loop: Header=BB262_809 Depth=1
	s_or_b64 exec, exec, s[40:41]
.LBB262_1289:                           ;   in Loop: Header=BB262_809 Depth=1
	s_or_b64 exec, exec, s[28:29]
.LBB262_1290:                           ;   in Loop: Header=BB262_809 Depth=1
	s_or_b64 exec, exec, s[26:27]
	v_lshrrev_b16_e32 v5, 8, v5
	v_cmp_ne_u16_e32 vcc, 0, v5
	v_mov_b32_e32 v29, 0
	s_and_saveexec_b64 s[26:27], vcc
	s_cbranch_execz .LBB262_1296
; %bb.1291:                             ;   in Loop: Header=BB262_809 Depth=1
	v_cmp_ne_u16_e32 vcc, s42, v5
	v_bfrev_b32_e32 v29, 1
	s_and_saveexec_b64 s[28:29], vcc
	s_cbranch_execz .LBB262_1295
; %bb.1292:                             ;   in Loop: Header=BB262_809 Depth=1
	v_and_b32_e32 v31, 0x7f, v5
	v_cmp_ne_u32_e32 vcc, s43, v31
	v_mov_b32_e32 v29, 0x7c010000
	s_and_saveexec_b64 s[40:41], vcc
	s_cbranch_execz .LBB262_1294
; %bb.1293:                             ;   in Loop: Header=BB262_809 Depth=1
	v_and_b32_e32 v29, 7, v5
	v_lshrrev_b32_e32 v33, 3, v31
	v_cmp_gt_u32_e32 vcc, 8, v31
	v_ffbh_u32_e32 v31, v29
	v_min_u32_e32 v31, 32, v31
	v_subrev_u32_e32 v36, 28, v31
	v_sub_u32_e32 v31, 29, v31
	v_lshlrev_b64 v[36:37], v36, v[5:6]
	v_cndmask_b32_e32 v31, v33, v31, vcc
	v_lshlrev_b32_e32 v5, 8, v5
	v_lshl_add_u32 v31, v31, 10, v45
	v_and_b32_e32 v33, 7, v36
	v_and_or_b32 v5, v5, s44, v31
	v_cndmask_b32_e32 v29, v29, v33, vcc
	v_lshlrev_b32_e32 v5, 16, v5
	v_lshl_or_b32 v29, v29, 23, v5
.LBB262_1294:                           ;   in Loop: Header=BB262_809 Depth=1
	s_or_b64 exec, exec, s[40:41]
.LBB262_1295:                           ;   in Loop: Header=BB262_809 Depth=1
	s_or_b64 exec, exec, s[28:29]
.LBB262_1296:                           ;   in Loop: Header=BB262_809 Depth=1
	s_or_b64 exec, exec, s[26:27]
	v_lshrrev_b32_e32 v5, 16, v14
	v_cmp_ne_u16_sdwa s[28:29], v5, v6 src0_sel:BYTE_0 src1_sel:DWORD
	s_and_saveexec_b64 s[26:27], s[28:29]
	s_cbranch_execz .LBB262_1302
; %bb.1297:                             ;   in Loop: Header=BB262_809 Depth=1
	v_cmp_ne_u16_sdwa s[40:41], v5, s42 src0_sel:BYTE_0 src1_sel:DWORD
	v_mov_b32_e32 v27, 0x8000
	s_and_saveexec_b64 s[28:29], s[40:41]
	s_cbranch_execz .LBB262_1301
; %bb.1298:                             ;   in Loop: Header=BB262_809 Depth=1
	v_bfe_u32 v31, v14, 16, 7
	v_cmp_ne_u32_e32 vcc, s43, v31
	v_mov_b32_e32 v27, 0x7c01
	s_and_saveexec_b64 s[40:41], vcc
	s_cbranch_execz .LBB262_1300
; %bb.1299:                             ;   in Loop: Header=BB262_809 Depth=1
	v_and_b32_e32 v27, 7, v5
	v_lshrrev_b32_e32 v33, 3, v31
	v_cmp_gt_u32_e32 vcc, 8, v31
	v_ffbh_u32_e32 v31, v27
	v_min_u32_e32 v31, 32, v31
	v_subrev_u32_e32 v36, 28, v31
	v_sub_u32_e32 v31, 29, v31
	v_lshlrev_b64 v[36:37], v36, v[5:6]
	v_cndmask_b32_e32 v31, v33, v31, vcc
	v_lshl_add_u32 v31, v31, 10, v45
	v_lshlrev_b32_e32 v5, 8, v5
	v_and_b32_e32 v33, 7, v36
	v_and_b32_e32 v31, 0xfc00, v31
	v_cndmask_b32_e32 v27, v27, v33, vcc
	v_and_or_b32 v5, v5, s44, v31
	v_lshl_or_b32 v27, v27, 7, v5
.LBB262_1300:                           ;   in Loop: Header=BB262_809 Depth=1
	s_or_b64 exec, exec, s[40:41]
.LBB262_1301:                           ;   in Loop: Header=BB262_809 Depth=1
	s_or_b64 exec, exec, s[28:29]
.LBB262_1302:                           ;   in Loop: Header=BB262_809 Depth=1
	s_or_b64 exec, exec, s[26:27]
	v_cmp_lt_u64_e32 vcc, s[10:11], v[13:14]
	v_mov_b32_e32 v13, 0
	s_and_saveexec_b64 s[26:27], vcc
	s_cbranch_execz .LBB262_1308
; %bb.1303:                             ;   in Loop: Header=BB262_809 Depth=1
	v_lshrrev_b32_e32 v5, 24, v14
	v_cmp_ne_u32_e32 vcc, s42, v5
	v_bfrev_b32_e32 v13, 1
	s_and_saveexec_b64 s[28:29], vcc
	s_cbranch_execz .LBB262_1307
; %bb.1304:                             ;   in Loop: Header=BB262_809 Depth=1
	v_and_b32_e32 v14, 0x7f, v5
	v_cmp_ne_u32_e32 vcc, s43, v14
	v_mov_b32_e32 v13, 0x7c010000
	s_and_saveexec_b64 s[40:41], vcc
	s_cbranch_execz .LBB262_1306
; %bb.1305:                             ;   in Loop: Header=BB262_809 Depth=1
	v_and_b32_e32 v31, 7, v5
	v_ffbh_u32_e32 v13, v31
	v_min_u32_e32 v36, 32, v13
	v_subrev_u32_e32 v13, 28, v36
	v_lshrrev_b32_e32 v33, 3, v14
	v_cmp_gt_u32_e32 vcc, 8, v14
	v_lshlrev_b64 v[13:14], v13, v[5:6]
	v_sub_u32_e32 v14, 29, v36
	v_cndmask_b32_e32 v14, v33, v14, vcc
	v_lshlrev_b32_e32 v5, 8, v5
	v_lshl_add_u32 v14, v14, 10, v45
	v_and_b32_e32 v13, 7, v13
	v_and_or_b32 v5, v5, s44, v14
	v_cndmask_b32_e32 v13, v31, v13, vcc
	v_lshlrev_b32_e32 v5, 16, v5
	v_lshl_or_b32 v13, v13, 23, v5
.LBB262_1306:                           ;   in Loop: Header=BB262_809 Depth=1
	s_or_b64 exec, exec, s[40:41]
.LBB262_1307:                           ;   in Loop: Header=BB262_809 Depth=1
	s_or_b64 exec, exec, s[28:29]
.LBB262_1308:                           ;   in Loop: Header=BB262_809 Depth=1
	s_or_b64 exec, exec, s[26:27]
	s_waitcnt vmcnt(0) lgkmcnt(0)
	v_fma_mixlo_f16 v14, v17, v24, 0 op_sel:[0,1,0] op_sel_hi:[0,1,0]
	v_or_b32_e32 v5, v24, v25
	v_lshlrev_b32_e32 v24, 16, v14
	v_or_b32_e32 v14, v21, v23
	v_fma_mixlo_f16 v21, v17, v21, 0 op_sel:[0,1,0] op_sel_hi:[0,1,0]
	v_lshlrev_b32_e32 v31, 16, v21
	v_or_b32_e32 v21, v29, v28
	v_or_b32_e32 v27, v13, v27
	v_fma_mixlo_f16 v5, v17, v5, 0 op_sel_hi:[0,1,0]
	v_fma_mixlo_f16 v14, v17, v14, 0 op_sel_hi:[0,1,0]
	v_fma_mixlo_f16 v23, v17, v29, 0 op_sel:[0,1,0] op_sel_hi:[0,1,0]
	v_fma_mixlo_f16 v21, v17, v21, 0 op_sel_hi:[0,1,0]
	v_fma_mixlo_f16 v27, v17, v27, 0 op_sel_hi:[0,1,0]
	v_fma_mixlo_f16 v13, v17, v13, 0 op_sel:[0,1,0] op_sel_hi:[0,1,0]
	v_and_b32_e32 v25, 0xffff, v5
	v_and_b32_e32 v33, 0xffff, v14
	v_lshlrev_b32_e32 v23, 16, v23
	v_and_b32_e32 v28, 0xffff, v21
	v_lshlrev_b32_e32 v13, 16, v13
	v_and_b32_e32 v17, 0xffff, v27
	v_or_b32_e32 v5, v24, v25
	v_or_b32_e32 v14, v31, v33
	;; [unrolled: 1-line block ×4, first 2 shown]
	s_and_saveexec_b64 s[26:27], s[6:7]
	s_cbranch_execz .LBB262_1310
; %bb.1309:                             ;   in Loop: Header=BB262_809 Depth=1
	v_cmp_lt_i32_e32 vcc, v46, v30
	v_cndmask_b32_e32 v5, 0, v33, vcc
	v_cmp_lt_i32_e32 vcc, v1, v30
	v_cndmask_b32_e32 v14, 0, v31, vcc
	v_cmp_lt_i32_e32 vcc, v20, v30
	v_or_b32_e32 v14, v5, v14
	v_cndmask_b32_e32 v5, 0, v25, vcc
	v_cmp_lt_i32_e32 vcc, v63, v30
	v_cndmask_b32_e32 v21, 0, v24, vcc
	v_cmp_lt_i32_e32 vcc, v62, v30
	v_or_b32_e32 v5, v5, v21
	v_cndmask_b32_e32 v21, 0, v28, vcc
	v_cmp_lt_i32_e32 vcc, v61, v30
	v_cndmask_b32_e32 v23, 0, v23, vcc
	v_cmp_lt_i32_e32 vcc, v60, v30
	;; [unrolled: 2-line block ×3, first 2 shown]
	v_cndmask_b32_e32 v13, 0, v13, vcc
	v_or_b32_e32 v21, v21, v23
	v_or_b32_e32 v27, v17, v13
.LBB262_1310:                           ;   in Loop: Header=BB262_809 Depth=1
	s_or_b64 exec, exec, s[26:27]
	;;#ASMSTART
	v_pk_mul_f16 v13, v58, v14;

	;;#ASMEND
	;;#ASMSTART
	v_pk_mul_f16 v5, v57, v5;

	;;#ASMEND
	;; [unrolled: 4-line block ×4, first 2 shown]
	;;#ASMSTART
	v_pk_add_f16 v5, v13, v5;

	;;#ASMEND
	;;#ASMSTART
	v_pk_add_f16 v5, v5, v14;

	;;#ASMEND
	;; [unrolled: 4-line block ×3, first 2 shown]
	v_lshrrev_b32_e32 v13, 16, v5
	v_and_b32_e32 v5, 0xffff, v5
	;;#ASMSTART
	v_cvt_f32_f16 v29, v5;
	;;#ASMEND
	;;#ASMSTART
	v_cvt_f32_f16 v48, v13;
	;;#ASMEND
	v_add_co_u32_e32 v13, vcc, 0x1000, v11
	v_addc_co_u32_e32 v14, vcc, 0, v12, vcc
	flat_load_dwordx2 v[13:14], v[13:14] offset:1024
	s_nop 0
	buffer_load_dword v23, off, s[0:3], s32 offset:64 ; 4-byte Folded Reload
	buffer_load_dword v24, off, s[0:3], s32 offset:68 ; 4-byte Folded Reload
	v_mov_b32_e32 v21, 0
	s_waitcnt vmcnt(0) lgkmcnt(0)
	v_cmp_ne_u16_sdwa s[28:29], v13, v6 src0_sel:BYTE_0 src1_sel:DWORD
	flat_load_dword v17, v[23:24]
	v_mov_b32_e32 v23, 0
	s_and_saveexec_b64 s[26:27], s[28:29]
	s_cbranch_execz .LBB262_1316
; %bb.1311:                             ;   in Loop: Header=BB262_809 Depth=1
	v_cmp_ne_u16_sdwa s[40:41], v13, s42 src0_sel:BYTE_0 src1_sel:DWORD
	v_mov_b32_e32 v23, 0x8000
	s_and_saveexec_b64 s[28:29], s[40:41]
	s_cbranch_execz .LBB262_1315
; %bb.1312:                             ;   in Loop: Header=BB262_809 Depth=1
	v_and_b32_e32 v5, 0x7f, v13
	v_cmp_ne_u32_e32 vcc, s43, v5
	v_mov_b32_e32 v23, 0x7c01
	s_and_saveexec_b64 s[40:41], vcc
	s_cbranch_execz .LBB262_1314
; %bb.1313:                             ;   in Loop: Header=BB262_809 Depth=1
	v_and_b32_e32 v25, 7, v13
	v_lshrrev_b32_e32 v27, 3, v5
	v_cmp_gt_u32_e32 vcc, 8, v5
	v_ffbh_u32_e32 v5, v25
	v_min_u32_e32 v5, 32, v5
	v_subrev_u32_e32 v23, 28, v5
	v_sub_u32_e32 v5, 29, v5
	v_lshlrev_b64 v[23:24], v23, v[13:14]
	v_cndmask_b32_e32 v5, v27, v5, vcc
	v_lshl_add_u32 v5, v5, 10, v45
	v_lshlrev_b32_e32 v24, 8, v13
	v_and_b32_e32 v23, 7, v23
	v_and_b32_e32 v5, 0xfc00, v5
	v_cndmask_b32_e32 v23, v25, v23, vcc
	v_and_or_b32 v5, v24, s44, v5
	v_lshl_or_b32 v23, v23, 7, v5
.LBB262_1314:                           ;   in Loop: Header=BB262_809 Depth=1
	s_or_b64 exec, exec, s[40:41]
.LBB262_1315:                           ;   in Loop: Header=BB262_809 Depth=1
	s_or_b64 exec, exec, s[28:29]
.LBB262_1316:                           ;   in Loop: Header=BB262_809 Depth=1
	s_or_b64 exec, exec, s[26:27]
	v_lshrrev_b16_e32 v5, 8, v13
	v_cmp_ne_u16_e32 vcc, 0, v5
	s_and_saveexec_b64 s[26:27], vcc
	s_cbranch_execz .LBB262_1322
; %bb.1317:                             ;   in Loop: Header=BB262_809 Depth=1
	v_cmp_ne_u16_e32 vcc, s42, v5
	v_bfrev_b32_e32 v21, 1
	s_and_saveexec_b64 s[28:29], vcc
	s_cbranch_execz .LBB262_1321
; %bb.1318:                             ;   in Loop: Header=BB262_809 Depth=1
	v_and_b32_e32 v24, 0x7f, v5
	v_cmp_ne_u32_e32 vcc, s43, v24
	v_mov_b32_e32 v21, 0x7c010000
	s_and_saveexec_b64 s[40:41], vcc
	s_cbranch_execz .LBB262_1320
; %bb.1319:                             ;   in Loop: Header=BB262_809 Depth=1
	v_and_b32_e32 v21, 7, v5
	v_lshrrev_b32_e32 v27, 3, v24
	v_cmp_gt_u32_e32 vcc, 8, v24
	v_ffbh_u32_e32 v24, v21
	v_min_u32_e32 v28, 32, v24
	v_subrev_u32_e32 v24, 28, v28
	v_lshlrev_b64 v[24:25], v24, v[5:6]
	v_sub_u32_e32 v25, 29, v28
	v_cndmask_b32_e32 v25, v27, v25, vcc
	v_lshlrev_b32_e32 v5, 8, v5
	v_lshl_add_u32 v25, v25, 10, v45
	v_and_b32_e32 v24, 7, v24
	v_and_or_b32 v5, v5, s44, v25
	v_cndmask_b32_e32 v21, v21, v24, vcc
	v_lshlrev_b32_e32 v5, 16, v5
	v_lshl_or_b32 v21, v21, 23, v5
.LBB262_1320:                           ;   in Loop: Header=BB262_809 Depth=1
	s_or_b64 exec, exec, s[40:41]
.LBB262_1321:                           ;   in Loop: Header=BB262_809 Depth=1
	s_or_b64 exec, exec, s[28:29]
.LBB262_1322:                           ;   in Loop: Header=BB262_809 Depth=1
	s_or_b64 exec, exec, s[26:27]
	v_lshrrev_b32_e32 v5, 16, v13
	v_cmp_ne_u16_sdwa s[28:29], v5, v6 src0_sel:BYTE_0 src1_sel:DWORD
	v_mov_b32_e32 v24, 0
	v_mov_b32_e32 v25, 0
	s_and_saveexec_b64 s[26:27], s[28:29]
	s_cbranch_execz .LBB262_1328
; %bb.1323:                             ;   in Loop: Header=BB262_809 Depth=1
	v_cmp_ne_u16_sdwa s[40:41], v5, s42 src0_sel:BYTE_0 src1_sel:DWORD
	v_mov_b32_e32 v25, 0x8000
	s_and_saveexec_b64 s[28:29], s[40:41]
	s_cbranch_execz .LBB262_1327
; %bb.1324:                             ;   in Loop: Header=BB262_809 Depth=1
	v_bfe_u32 v27, v13, 16, 7
	v_cmp_ne_u32_e32 vcc, s43, v27
	v_mov_b32_e32 v25, 0x7c01
	s_and_saveexec_b64 s[40:41], vcc
	s_cbranch_execz .LBB262_1326
; %bb.1325:                             ;   in Loop: Header=BB262_809 Depth=1
	v_and_b32_e32 v25, 7, v5
	v_lshrrev_b32_e32 v31, 3, v27
	v_cmp_gt_u32_e32 vcc, 8, v27
	v_ffbh_u32_e32 v27, v25
	v_min_u32_e32 v33, 32, v27
	v_subrev_u32_e32 v27, 28, v33
	v_lshlrev_b64 v[27:28], v27, v[5:6]
	v_sub_u32_e32 v28, 29, v33
	v_cndmask_b32_e32 v28, v31, v28, vcc
	v_lshl_add_u32 v28, v28, 10, v45
	v_and_b32_e32 v27, 7, v27
	v_lshlrev_b32_e32 v5, 8, v5
	v_cndmask_b32_e32 v25, v25, v27, vcc
	v_and_b32_e32 v27, 0xfc00, v28
	v_and_or_b32 v5, v5, s44, v27
	v_lshl_or_b32 v25, v25, 7, v5
.LBB262_1326:                           ;   in Loop: Header=BB262_809 Depth=1
	s_or_b64 exec, exec, s[40:41]
.LBB262_1327:                           ;   in Loop: Header=BB262_809 Depth=1
	s_or_b64 exec, exec, s[28:29]
.LBB262_1328:                           ;   in Loop: Header=BB262_809 Depth=1
	s_or_b64 exec, exec, s[26:27]
	v_cmp_lt_u32_e32 vcc, s11, v13
	s_and_saveexec_b64 s[26:27], vcc
	s_cbranch_execz .LBB262_1334
; %bb.1329:                             ;   in Loop: Header=BB262_809 Depth=1
	v_lshrrev_b32_e32 v5, 24, v13
	v_cmp_ne_u32_e32 vcc, s42, v5
	v_bfrev_b32_e32 v24, 1
	s_and_saveexec_b64 s[28:29], vcc
	s_cbranch_execz .LBB262_1333
; %bb.1330:                             ;   in Loop: Header=BB262_809 Depth=1
	v_and_b32_e32 v27, 0x7f, v5
	v_cmp_ne_u32_e32 vcc, s43, v27
	v_mov_b32_e32 v24, 0x7c010000
	s_and_saveexec_b64 s[40:41], vcc
	s_cbranch_execz .LBB262_1332
; %bb.1331:                             ;   in Loop: Header=BB262_809 Depth=1
	v_and_b32_e32 v24, 7, v5
	v_lshrrev_b32_e32 v31, 3, v27
	v_cmp_gt_u32_e32 vcc, 8, v27
	v_ffbh_u32_e32 v27, v24
	v_min_u32_e32 v33, 32, v27
	v_subrev_u32_e32 v27, 28, v33
	v_lshlrev_b64 v[27:28], v27, v[5:6]
	v_sub_u32_e32 v28, 29, v33
	v_cndmask_b32_e32 v28, v31, v28, vcc
	v_lshlrev_b32_e32 v5, 8, v5
	v_lshl_add_u32 v28, v28, 10, v45
	v_and_b32_e32 v27, 7, v27
	v_and_or_b32 v5, v5, s44, v28
	v_cndmask_b32_e32 v24, v24, v27, vcc
	v_lshlrev_b32_e32 v5, 16, v5
	v_lshl_or_b32 v24, v24, 23, v5
.LBB262_1332:                           ;   in Loop: Header=BB262_809 Depth=1
	s_or_b64 exec, exec, s[40:41]
.LBB262_1333:                           ;   in Loop: Header=BB262_809 Depth=1
	s_or_b64 exec, exec, s[28:29]
.LBB262_1334:                           ;   in Loop: Header=BB262_809 Depth=1
	s_or_b64 exec, exec, s[26:27]
	v_mov_b32_e32 v5, v14
	v_cmp_ne_u16_sdwa s[28:29], v14, v6 src0_sel:BYTE_0 src1_sel:DWORD
	v_mov_b32_e32 v27, 0
	v_mov_b32_e32 v28, 0
	s_and_saveexec_b64 s[26:27], s[28:29]
	s_cbranch_execz .LBB262_1340
; %bb.1335:                             ;   in Loop: Header=BB262_809 Depth=1
	v_cmp_ne_u16_sdwa s[40:41], v14, s42 src0_sel:BYTE_0 src1_sel:DWORD
	v_mov_b32_e32 v28, 0x8000
	s_and_saveexec_b64 s[28:29], s[40:41]
	s_cbranch_execz .LBB262_1339
; %bb.1336:                             ;   in Loop: Header=BB262_809 Depth=1
	v_and_b32_e32 v31, 0x7f, v14
	v_cmp_ne_u32_e32 vcc, s43, v31
	v_mov_b32_e32 v28, 0x7c01
	s_and_saveexec_b64 s[40:41], vcc
	s_cbranch_execz .LBB262_1338
; %bb.1337:                             ;   in Loop: Header=BB262_809 Depth=1
	v_and_b32_e32 v28, 7, v14
	v_lshrrev_b32_e32 v33, 3, v31
	v_cmp_gt_u32_e32 vcc, 8, v31
	v_ffbh_u32_e32 v31, v28
	v_min_u32_e32 v31, 32, v31
	v_subrev_u32_e32 v36, 28, v31
	v_sub_u32_e32 v31, 29, v31
	v_lshlrev_b64 v[36:37], v36, v[5:6]
	v_cndmask_b32_e32 v31, v33, v31, vcc
	v_lshl_add_u32 v31, v31, 10, v45
	v_lshlrev_b32_e32 v33, 8, v14
	v_and_b32_e32 v36, 7, v36
	v_and_b32_e32 v31, 0xfc00, v31
	v_cndmask_b32_e32 v28, v28, v36, vcc
	v_and_or_b32 v31, v33, s44, v31
	v_lshl_or_b32 v28, v28, 7, v31
.LBB262_1338:                           ;   in Loop: Header=BB262_809 Depth=1
	s_or_b64 exec, exec, s[40:41]
.LBB262_1339:                           ;   in Loop: Header=BB262_809 Depth=1
	s_or_b64 exec, exec, s[28:29]
.LBB262_1340:                           ;   in Loop: Header=BB262_809 Depth=1
	s_or_b64 exec, exec, s[26:27]
	v_lshrrev_b16_e32 v5, 8, v5
	v_cmp_ne_u16_e32 vcc, 0, v5
	v_mov_b32_e32 v31, 0
	s_and_saveexec_b64 s[26:27], vcc
	s_cbranch_execz .LBB262_1346
; %bb.1341:                             ;   in Loop: Header=BB262_809 Depth=1
	v_cmp_ne_u16_e32 vcc, s42, v5
	v_bfrev_b32_e32 v31, 1
	s_and_saveexec_b64 s[28:29], vcc
	s_cbranch_execz .LBB262_1345
; %bb.1342:                             ;   in Loop: Header=BB262_809 Depth=1
	v_and_b32_e32 v33, 0x7f, v5
	v_cmp_ne_u32_e32 vcc, s43, v33
	v_mov_b32_e32 v31, 0x7c010000
	s_and_saveexec_b64 s[40:41], vcc
	s_cbranch_execz .LBB262_1344
; %bb.1343:                             ;   in Loop: Header=BB262_809 Depth=1
	v_and_b32_e32 v31, 7, v5
	v_lshrrev_b32_e32 v49, 3, v33
	v_cmp_gt_u32_e32 vcc, 8, v33
	v_ffbh_u32_e32 v33, v31
	v_min_u32_e32 v33, 32, v33
	v_subrev_u32_e32 v36, 28, v33
	v_sub_u32_e32 v33, 29, v33
	v_lshlrev_b64 v[36:37], v36, v[5:6]
	v_cndmask_b32_e32 v33, v49, v33, vcc
	v_lshlrev_b32_e32 v5, 8, v5
	v_lshl_add_u32 v33, v33, 10, v45
	v_and_b32_e32 v36, 7, v36
	v_and_or_b32 v5, v5, s44, v33
	v_cndmask_b32_e32 v31, v31, v36, vcc
	v_lshlrev_b32_e32 v5, 16, v5
	v_lshl_or_b32 v31, v31, 23, v5
.LBB262_1344:                           ;   in Loop: Header=BB262_809 Depth=1
	s_or_b64 exec, exec, s[40:41]
.LBB262_1345:                           ;   in Loop: Header=BB262_809 Depth=1
	s_or_b64 exec, exec, s[28:29]
.LBB262_1346:                           ;   in Loop: Header=BB262_809 Depth=1
	s_or_b64 exec, exec, s[26:27]
	v_lshrrev_b32_e32 v5, 16, v14
	v_cmp_ne_u16_sdwa s[28:29], v5, v6 src0_sel:BYTE_0 src1_sel:DWORD
	s_and_saveexec_b64 s[26:27], s[28:29]
	s_cbranch_execz .LBB262_1352
; %bb.1347:                             ;   in Loop: Header=BB262_809 Depth=1
	v_cmp_ne_u16_sdwa s[40:41], v5, s42 src0_sel:BYTE_0 src1_sel:DWORD
	v_mov_b32_e32 v27, 0x8000
	s_and_saveexec_b64 s[28:29], s[40:41]
	s_cbranch_execz .LBB262_1351
; %bb.1348:                             ;   in Loop: Header=BB262_809 Depth=1
	v_bfe_u32 v33, v14, 16, 7
	v_cmp_ne_u32_e32 vcc, s43, v33
	v_mov_b32_e32 v27, 0x7c01
	s_and_saveexec_b64 s[40:41], vcc
	s_cbranch_execz .LBB262_1350
; %bb.1349:                             ;   in Loop: Header=BB262_809 Depth=1
	v_and_b32_e32 v27, 7, v5
	v_lshrrev_b32_e32 v49, 3, v33
	v_cmp_gt_u32_e32 vcc, 8, v33
	v_ffbh_u32_e32 v33, v27
	v_min_u32_e32 v33, 32, v33
	v_subrev_u32_e32 v36, 28, v33
	v_sub_u32_e32 v33, 29, v33
	v_lshlrev_b64 v[36:37], v36, v[5:6]
	v_cndmask_b32_e32 v33, v49, v33, vcc
	v_lshl_add_u32 v33, v33, 10, v45
	v_lshlrev_b32_e32 v5, 8, v5
	v_and_b32_e32 v36, 7, v36
	v_and_b32_e32 v33, 0xfc00, v33
	v_cndmask_b32_e32 v27, v27, v36, vcc
	v_and_or_b32 v5, v5, s44, v33
	v_lshl_or_b32 v27, v27, 7, v5
.LBB262_1350:                           ;   in Loop: Header=BB262_809 Depth=1
	s_or_b64 exec, exec, s[40:41]
.LBB262_1351:                           ;   in Loop: Header=BB262_809 Depth=1
	s_or_b64 exec, exec, s[28:29]
.LBB262_1352:                           ;   in Loop: Header=BB262_809 Depth=1
	s_or_b64 exec, exec, s[26:27]
	v_cmp_lt_u64_e32 vcc, s[10:11], v[13:14]
	v_mov_b32_e32 v13, 0
	s_and_saveexec_b64 s[26:27], vcc
	s_cbranch_execz .LBB262_1358
; %bb.1353:                             ;   in Loop: Header=BB262_809 Depth=1
	v_lshrrev_b32_e32 v5, 24, v14
	v_cmp_ne_u32_e32 vcc, s42, v5
	v_bfrev_b32_e32 v13, 1
	s_and_saveexec_b64 s[28:29], vcc
	s_cbranch_execz .LBB262_1357
; %bb.1354:                             ;   in Loop: Header=BB262_809 Depth=1
	v_and_b32_e32 v14, 0x7f, v5
	v_cmp_ne_u32_e32 vcc, s43, v14
	v_mov_b32_e32 v13, 0x7c010000
	s_and_saveexec_b64 s[40:41], vcc
	s_cbranch_execz .LBB262_1356
; %bb.1355:                             ;   in Loop: Header=BB262_809 Depth=1
	v_and_b32_e32 v33, 7, v5
	v_ffbh_u32_e32 v13, v33
	v_min_u32_e32 v37, 32, v13
	v_subrev_u32_e32 v13, 28, v37
	v_lshrrev_b32_e32 v36, 3, v14
	v_cmp_gt_u32_e32 vcc, 8, v14
	v_lshlrev_b64 v[13:14], v13, v[5:6]
	v_sub_u32_e32 v14, 29, v37
	v_cndmask_b32_e32 v14, v36, v14, vcc
	v_lshlrev_b32_e32 v5, 8, v5
	v_lshl_add_u32 v14, v14, 10, v45
	v_and_b32_e32 v13, 7, v13
	v_and_or_b32 v5, v5, s44, v14
	v_cndmask_b32_e32 v13, v33, v13, vcc
	v_lshlrev_b32_e32 v5, 16, v5
	v_lshl_or_b32 v13, v13, 23, v5
.LBB262_1356:                           ;   in Loop: Header=BB262_809 Depth=1
	s_or_b64 exec, exec, s[40:41]
.LBB262_1357:                           ;   in Loop: Header=BB262_809 Depth=1
	s_or_b64 exec, exec, s[28:29]
.LBB262_1358:                           ;   in Loop: Header=BB262_809 Depth=1
	s_or_b64 exec, exec, s[26:27]
	s_waitcnt vmcnt(0) lgkmcnt(0)
	v_fma_mixlo_f16 v14, v17, v24, 0 op_sel:[0,1,0] op_sel_hi:[0,1,0]
	v_or_b32_e32 v5, v24, v25
	v_lshlrev_b32_e32 v24, 16, v14
	v_or_b32_e32 v14, v21, v23
	v_fma_mixlo_f16 v21, v17, v21, 0 op_sel:[0,1,0] op_sel_hi:[0,1,0]
	v_lshlrev_b32_e32 v33, 16, v21
	v_or_b32_e32 v21, v31, v28
	v_or_b32_e32 v27, v13, v27
	v_fma_mixlo_f16 v5, v17, v5, 0 op_sel_hi:[0,1,0]
	v_fma_mixlo_f16 v14, v17, v14, 0 op_sel_hi:[0,1,0]
	v_fma_mixlo_f16 v23, v17, v31, 0 op_sel:[0,1,0] op_sel_hi:[0,1,0]
	v_fma_mixlo_f16 v21, v17, v21, 0 op_sel_hi:[0,1,0]
	v_fma_mixlo_f16 v27, v17, v27, 0 op_sel_hi:[0,1,0]
	v_fma_mixlo_f16 v13, v17, v13, 0 op_sel:[0,1,0] op_sel_hi:[0,1,0]
	v_and_b32_e32 v25, 0xffff, v5
	v_and_b32_e32 v36, 0xffff, v14
	v_lshlrev_b32_e32 v23, 16, v23
	v_and_b32_e32 v28, 0xffff, v21
	v_lshlrev_b32_e32 v13, 16, v13
	v_and_b32_e32 v17, 0xffff, v27
	v_or_b32_e32 v5, v24, v25
	v_or_b32_e32 v14, v33, v36
	;; [unrolled: 1-line block ×4, first 2 shown]
	s_and_saveexec_b64 s[26:27], s[6:7]
	s_cbranch_execz .LBB262_1360
; %bb.1359:                             ;   in Loop: Header=BB262_809 Depth=1
	v_cmp_lt_i32_e32 vcc, v46, v30
	v_cndmask_b32_e32 v5, 0, v36, vcc
	v_cmp_lt_i32_e32 vcc, v1, v30
	v_cndmask_b32_e32 v14, 0, v33, vcc
	v_cmp_lt_i32_e32 vcc, v20, v30
	v_or_b32_e32 v14, v5, v14
	v_cndmask_b32_e32 v5, 0, v25, vcc
	v_cmp_lt_i32_e32 vcc, v63, v30
	v_cndmask_b32_e32 v21, 0, v24, vcc
	v_cmp_lt_i32_e32 vcc, v62, v30
	v_or_b32_e32 v5, v5, v21
	v_cndmask_b32_e32 v21, 0, v28, vcc
	v_cmp_lt_i32_e32 vcc, v61, v30
	v_cndmask_b32_e32 v23, 0, v23, vcc
	v_cmp_lt_i32_e32 vcc, v60, v30
	v_cndmask_b32_e32 v17, 0, v17, vcc
	v_cmp_lt_i32_e32 vcc, v59, v30
	v_cndmask_b32_e32 v13, 0, v13, vcc
	v_or_b32_e32 v21, v21, v23
	v_or_b32_e32 v27, v17, v13
.LBB262_1360:                           ;   in Loop: Header=BB262_809 Depth=1
	s_or_b64 exec, exec, s[26:27]
	;;#ASMSTART
	v_pk_mul_f16 v13, v58, v14;

	;;#ASMEND
	;;#ASMSTART
	v_pk_mul_f16 v5, v57, v5;

	;;#ASMEND
	;; [unrolled: 4-line block ×4, first 2 shown]
	;;#ASMSTART
	v_pk_add_f16 v5, v13, v5;

	;;#ASMEND
	;;#ASMSTART
	v_pk_add_f16 v5, v5, v14;

	;;#ASMEND
	;; [unrolled: 4-line block ×3, first 2 shown]
	v_lshrrev_b32_e32 v13, 16, v5
	v_and_b32_e32 v5, 0xffff, v5
	;;#ASMSTART
	v_cvt_f32_f16 v17, v5;
	;;#ASMEND
	;;#ASMSTART
	v_cvt_f32_f16 v21, v13;
	;;#ASMEND
	v_add_co_u32_e32 v13, vcc, 0x1000, v11
	v_addc_co_u32_e32 v14, vcc, 0, v12, vcc
	flat_load_dwordx2 v[13:14], v[13:14] offset:1536
	s_nop 0
	buffer_load_dword v23, off, s[0:3], s32 offset:64 ; 4-byte Folded Reload
	buffer_load_dword v24, off, s[0:3], s32 offset:68 ; 4-byte Folded Reload
	v_mov_b32_e32 v25, 0
	s_waitcnt vmcnt(0) lgkmcnt(0)
	v_cmp_ne_u16_sdwa s[28:29], v13, v6 src0_sel:BYTE_0 src1_sel:DWORD
	flat_load_dword v23, v[23:24]
	v_mov_b32_e32 v24, 0
	s_and_saveexec_b64 s[26:27], s[28:29]
	s_cbranch_execz .LBB262_1366
; %bb.1361:                             ;   in Loop: Header=BB262_809 Depth=1
	v_cmp_ne_u16_sdwa s[40:41], v13, s42 src0_sel:BYTE_0 src1_sel:DWORD
	v_mov_b32_e32 v25, 0x8000
	s_and_saveexec_b64 s[28:29], s[40:41]
	s_cbranch_execz .LBB262_1365
; %bb.1362:                             ;   in Loop: Header=BB262_809 Depth=1
	v_and_b32_e32 v5, 0x7f, v13
	v_cmp_ne_u32_e32 vcc, s43, v5
	v_mov_b32_e32 v25, 0x7c01
	s_and_saveexec_b64 s[40:41], vcc
	s_cbranch_execz .LBB262_1364
; %bb.1363:                             ;   in Loop: Header=BB262_809 Depth=1
	v_and_b32_e32 v25, 7, v13
	v_lshrrev_b32_e32 v31, 3, v5
	v_cmp_gt_u32_e32 vcc, 8, v5
	v_ffbh_u32_e32 v5, v25
	v_min_u32_e32 v5, 32, v5
	v_subrev_u32_e32 v27, 28, v5
	v_sub_u32_e32 v5, 29, v5
	v_lshlrev_b64 v[27:28], v27, v[13:14]
	v_cndmask_b32_e32 v5, v31, v5, vcc
	v_lshl_add_u32 v5, v5, 10, v45
	v_lshlrev_b32_e32 v28, 8, v13
	v_and_b32_e32 v27, 7, v27
	v_and_b32_e32 v5, 0xfc00, v5
	v_cndmask_b32_e32 v25, v25, v27, vcc
	v_and_or_b32 v5, v28, s44, v5
	v_lshl_or_b32 v25, v25, 7, v5
.LBB262_1364:                           ;   in Loop: Header=BB262_809 Depth=1
	s_or_b64 exec, exec, s[40:41]
.LBB262_1365:                           ;   in Loop: Header=BB262_809 Depth=1
	s_or_b64 exec, exec, s[28:29]
.LBB262_1366:                           ;   in Loop: Header=BB262_809 Depth=1
	s_or_b64 exec, exec, s[26:27]
	v_lshrrev_b16_e32 v5, 8, v13
	v_cmp_ne_u16_e32 vcc, 0, v5
	s_and_saveexec_b64 s[26:27], vcc
	s_cbranch_execz .LBB262_1372
; %bb.1367:                             ;   in Loop: Header=BB262_809 Depth=1
	v_cmp_ne_u16_e32 vcc, s42, v5
	v_bfrev_b32_e32 v24, 1
	s_and_saveexec_b64 s[28:29], vcc
	s_cbranch_execz .LBB262_1371
; %bb.1368:                             ;   in Loop: Header=BB262_809 Depth=1
	v_and_b32_e32 v27, 0x7f, v5
	v_cmp_ne_u32_e32 vcc, s43, v27
	v_mov_b32_e32 v24, 0x7c010000
	s_and_saveexec_b64 s[40:41], vcc
	s_cbranch_execz .LBB262_1370
; %bb.1369:                             ;   in Loop: Header=BB262_809 Depth=1
	v_and_b32_e32 v24, 7, v5
	v_lshrrev_b32_e32 v31, 3, v27
	v_cmp_gt_u32_e32 vcc, 8, v27
	v_ffbh_u32_e32 v27, v24
	v_min_u32_e32 v33, 32, v27
	v_subrev_u32_e32 v27, 28, v33
	v_lshlrev_b64 v[27:28], v27, v[5:6]
	v_sub_u32_e32 v28, 29, v33
	v_cndmask_b32_e32 v28, v31, v28, vcc
	v_lshlrev_b32_e32 v5, 8, v5
	v_lshl_add_u32 v28, v28, 10, v45
	v_and_b32_e32 v27, 7, v27
	v_and_or_b32 v5, v5, s44, v28
	v_cndmask_b32_e32 v24, v24, v27, vcc
	v_lshlrev_b32_e32 v5, 16, v5
	v_lshl_or_b32 v24, v24, 23, v5
.LBB262_1370:                           ;   in Loop: Header=BB262_809 Depth=1
	s_or_b64 exec, exec, s[40:41]
.LBB262_1371:                           ;   in Loop: Header=BB262_809 Depth=1
	s_or_b64 exec, exec, s[28:29]
.LBB262_1372:                           ;   in Loop: Header=BB262_809 Depth=1
	s_or_b64 exec, exec, s[26:27]
	v_lshrrev_b32_e32 v5, 16, v13
	v_cmp_ne_u16_sdwa s[28:29], v5, v6 src0_sel:BYTE_0 src1_sel:DWORD
	v_mov_b32_e32 v31, 0
	v_mov_b32_e32 v27, 0
	s_and_saveexec_b64 s[26:27], s[28:29]
	s_cbranch_execz .LBB262_1378
; %bb.1373:                             ;   in Loop: Header=BB262_809 Depth=1
	v_cmp_ne_u16_sdwa s[40:41], v5, s42 src0_sel:BYTE_0 src1_sel:DWORD
	v_mov_b32_e32 v27, 0x8000
	s_and_saveexec_b64 s[28:29], s[40:41]
	s_cbranch_execz .LBB262_1377
; %bb.1374:                             ;   in Loop: Header=BB262_809 Depth=1
	v_bfe_u32 v28, v13, 16, 7
	v_cmp_ne_u32_e32 vcc, s43, v28
	v_mov_b32_e32 v27, 0x7c01
	s_and_saveexec_b64 s[40:41], vcc
	s_cbranch_execz .LBB262_1376
; %bb.1375:                             ;   in Loop: Header=BB262_809 Depth=1
	v_and_b32_e32 v33, 7, v5
	v_ffbh_u32_e32 v27, v33
	v_min_u32_e32 v37, 32, v27
	v_subrev_u32_e32 v27, 28, v37
	v_lshrrev_b32_e32 v36, 3, v28
	v_cmp_gt_u32_e32 vcc, 8, v28
	v_lshlrev_b64 v[27:28], v27, v[5:6]
	v_sub_u32_e32 v28, 29, v37
	v_cndmask_b32_e32 v28, v36, v28, vcc
	v_lshl_add_u32 v28, v28, 10, v45
	v_lshlrev_b32_e32 v5, 8, v5
	v_and_b32_e32 v27, 7, v27
	v_and_b32_e32 v28, 0xfc00, v28
	v_cndmask_b32_e32 v27, v33, v27, vcc
	v_and_or_b32 v5, v5, s44, v28
	v_lshl_or_b32 v27, v27, 7, v5
.LBB262_1376:                           ;   in Loop: Header=BB262_809 Depth=1
	s_or_b64 exec, exec, s[40:41]
.LBB262_1377:                           ;   in Loop: Header=BB262_809 Depth=1
	s_or_b64 exec, exec, s[28:29]
.LBB262_1378:                           ;   in Loop: Header=BB262_809 Depth=1
	s_or_b64 exec, exec, s[26:27]
	v_cmp_lt_u32_e32 vcc, s11, v13
	s_and_saveexec_b64 s[26:27], vcc
	s_cbranch_execz .LBB262_1384
; %bb.1379:                             ;   in Loop: Header=BB262_809 Depth=1
	v_lshrrev_b32_e32 v5, 24, v13
	v_cmp_ne_u32_e32 vcc, s42, v5
	v_bfrev_b32_e32 v31, 1
	s_and_saveexec_b64 s[28:29], vcc
	s_cbranch_execz .LBB262_1383
; %bb.1380:                             ;   in Loop: Header=BB262_809 Depth=1
	v_and_b32_e32 v28, 0x7f, v5
	v_cmp_ne_u32_e32 vcc, s43, v28
	v_mov_b32_e32 v31, 0x7c010000
	s_and_saveexec_b64 s[40:41], vcc
	s_cbranch_execz .LBB262_1382
; %bb.1381:                             ;   in Loop: Header=BB262_809 Depth=1
	v_and_b32_e32 v31, 7, v5
	v_lshrrev_b32_e32 v33, 3, v28
	v_cmp_gt_u32_e32 vcc, 8, v28
	v_ffbh_u32_e32 v28, v31
	v_min_u32_e32 v28, 32, v28
	v_subrev_u32_e32 v36, 28, v28
	v_sub_u32_e32 v28, 29, v28
	v_lshlrev_b64 v[36:37], v36, v[5:6]
	v_cndmask_b32_e32 v28, v33, v28, vcc
	v_lshlrev_b32_e32 v5, 8, v5
	v_lshl_add_u32 v28, v28, 10, v45
	v_and_b32_e32 v33, 7, v36
	v_and_or_b32 v5, v5, s44, v28
	v_cndmask_b32_e32 v31, v31, v33, vcc
	v_lshlrev_b32_e32 v5, 16, v5
	v_lshl_or_b32 v31, v31, 23, v5
.LBB262_1382:                           ;   in Loop: Header=BB262_809 Depth=1
	s_or_b64 exec, exec, s[40:41]
.LBB262_1383:                           ;   in Loop: Header=BB262_809 Depth=1
	s_or_b64 exec, exec, s[28:29]
.LBB262_1384:                           ;   in Loop: Header=BB262_809 Depth=1
	s_or_b64 exec, exec, s[26:27]
	v_mov_b32_e32 v5, v14
	v_cmp_ne_u16_sdwa s[28:29], v14, v6 src0_sel:BYTE_0 src1_sel:DWORD
	v_mov_b32_e32 v28, 0
	v_mov_b32_e32 v33, 0
	s_and_saveexec_b64 s[26:27], s[28:29]
	s_cbranch_execz .LBB262_1390
; %bb.1385:                             ;   in Loop: Header=BB262_809 Depth=1
	v_cmp_ne_u16_sdwa s[40:41], v14, s42 src0_sel:BYTE_0 src1_sel:DWORD
	v_mov_b32_e32 v33, 0x8000
	s_and_saveexec_b64 s[28:29], s[40:41]
	s_cbranch_execz .LBB262_1389
; %bb.1386:                             ;   in Loop: Header=BB262_809 Depth=1
	v_and_b32_e32 v36, 0x7f, v14
	v_cmp_ne_u32_e32 vcc, s43, v36
	v_mov_b32_e32 v33, 0x7c01
	s_and_saveexec_b64 s[40:41], vcc
	s_cbranch_execz .LBB262_1388
; %bb.1387:                             ;   in Loop: Header=BB262_809 Depth=1
	v_and_b32_e32 v33, 7, v14
	v_lshrrev_b32_e32 v49, 3, v36
	v_cmp_gt_u32_e32 vcc, 8, v36
	v_ffbh_u32_e32 v36, v33
	v_min_u32_e32 v50, 32, v36
	v_subrev_u32_e32 v36, 28, v50
	v_lshlrev_b64 v[36:37], v36, v[5:6]
	v_sub_u32_e32 v37, 29, v50
	v_cndmask_b32_e32 v37, v49, v37, vcc
	v_lshl_add_u32 v37, v37, 10, v45
	v_and_b32_e32 v36, 7, v36
	v_lshlrev_b32_e32 v49, 8, v14
	v_cndmask_b32_e32 v33, v33, v36, vcc
	v_and_b32_e32 v36, 0xfc00, v37
	v_and_or_b32 v36, v49, s44, v36
	v_lshl_or_b32 v33, v33, 7, v36
.LBB262_1388:                           ;   in Loop: Header=BB262_809 Depth=1
	s_or_b64 exec, exec, s[40:41]
.LBB262_1389:                           ;   in Loop: Header=BB262_809 Depth=1
	s_or_b64 exec, exec, s[28:29]
.LBB262_1390:                           ;   in Loop: Header=BB262_809 Depth=1
	s_or_b64 exec, exec, s[26:27]
	v_lshrrev_b16_e32 v5, 8, v5
	v_cmp_ne_u16_e32 vcc, 0, v5
	v_mov_b32_e32 v36, 0
	s_and_saveexec_b64 s[26:27], vcc
	s_cbranch_execz .LBB262_1396
; %bb.1391:                             ;   in Loop: Header=BB262_809 Depth=1
	v_cmp_ne_u16_e32 vcc, s42, v5
	v_bfrev_b32_e32 v36, 1
	s_and_saveexec_b64 s[28:29], vcc
	s_cbranch_execz .LBB262_1395
; %bb.1392:                             ;   in Loop: Header=BB262_809 Depth=1
	v_and_b32_e32 v37, 0x7f, v5
	v_cmp_ne_u32_e32 vcc, s43, v37
	v_mov_b32_e32 v36, 0x7c010000
	s_and_saveexec_b64 s[40:41], vcc
	s_cbranch_execz .LBB262_1394
; %bb.1393:                             ;   in Loop: Header=BB262_809 Depth=1
	v_and_b32_e32 v49, 7, v5
	v_ffbh_u32_e32 v36, v49
	v_min_u32_e32 v51, 32, v36
	v_subrev_u32_e32 v36, 28, v51
	v_lshrrev_b32_e32 v50, 3, v37
	v_cmp_gt_u32_e32 vcc, 8, v37
	v_lshlrev_b64 v[36:37], v36, v[5:6]
	v_sub_u32_e32 v37, 29, v51
	v_cndmask_b32_e32 v37, v50, v37, vcc
	v_lshlrev_b32_e32 v5, 8, v5
	v_lshl_add_u32 v37, v37, 10, v45
	v_and_b32_e32 v36, 7, v36
	v_and_or_b32 v5, v5, s44, v37
	v_cndmask_b32_e32 v36, v49, v36, vcc
	v_lshlrev_b32_e32 v5, 16, v5
	v_lshl_or_b32 v36, v36, 23, v5
.LBB262_1394:                           ;   in Loop: Header=BB262_809 Depth=1
	s_or_b64 exec, exec, s[40:41]
.LBB262_1395:                           ;   in Loop: Header=BB262_809 Depth=1
	s_or_b64 exec, exec, s[28:29]
.LBB262_1396:                           ;   in Loop: Header=BB262_809 Depth=1
	s_or_b64 exec, exec, s[26:27]
	v_lshrrev_b32_e32 v5, 16, v14
	v_cmp_ne_u16_sdwa s[28:29], v5, v6 src0_sel:BYTE_0 src1_sel:DWORD
	s_and_saveexec_b64 s[26:27], s[28:29]
	s_cbranch_execz .LBB262_1402
; %bb.1397:                             ;   in Loop: Header=BB262_809 Depth=1
	v_cmp_ne_u16_sdwa s[40:41], v5, s42 src0_sel:BYTE_0 src1_sel:DWORD
	v_mov_b32_e32 v28, 0x8000
	s_and_saveexec_b64 s[28:29], s[40:41]
	s_cbranch_execz .LBB262_1401
; %bb.1398:                             ;   in Loop: Header=BB262_809 Depth=1
	v_bfe_u32 v37, v14, 16, 7
	v_cmp_ne_u32_e32 vcc, s43, v37
	v_mov_b32_e32 v28, 0x7c01
	s_and_saveexec_b64 s[40:41], vcc
	s_cbranch_execz .LBB262_1400
; %bb.1399:                             ;   in Loop: Header=BB262_809 Depth=1
	v_and_b32_e32 v28, 7, v5
	v_lshrrev_b32_e32 v51, 3, v37
	v_cmp_gt_u32_e32 vcc, 8, v37
	v_ffbh_u32_e32 v37, v28
	v_min_u32_e32 v37, 32, v37
	v_subrev_u32_e32 v49, 28, v37
	v_sub_u32_e32 v37, 29, v37
	v_lshlrev_b64 v[49:50], v49, v[5:6]
	v_cndmask_b32_e32 v37, v51, v37, vcc
	v_lshl_add_u32 v37, v37, 10, v45
	v_lshlrev_b32_e32 v5, 8, v5
	v_and_b32_e32 v49, 7, v49
	v_and_b32_e32 v37, 0xfc00, v37
	v_cndmask_b32_e32 v28, v28, v49, vcc
	v_and_or_b32 v5, v5, s44, v37
	v_lshl_or_b32 v28, v28, 7, v5
.LBB262_1400:                           ;   in Loop: Header=BB262_809 Depth=1
	s_or_b64 exec, exec, s[40:41]
.LBB262_1401:                           ;   in Loop: Header=BB262_809 Depth=1
	s_or_b64 exec, exec, s[28:29]
.LBB262_1402:                           ;   in Loop: Header=BB262_809 Depth=1
	s_or_b64 exec, exec, s[26:27]
	v_cmp_lt_u64_e32 vcc, s[10:11], v[13:14]
	v_mov_b32_e32 v13, 0
	s_and_saveexec_b64 s[26:27], vcc
	s_cbranch_execz .LBB262_1408
; %bb.1403:                             ;   in Loop: Header=BB262_809 Depth=1
	v_lshrrev_b32_e32 v5, 24, v14
	v_cmp_ne_u32_e32 vcc, s42, v5
	v_bfrev_b32_e32 v13, 1
	s_and_saveexec_b64 s[28:29], vcc
	s_cbranch_execz .LBB262_1407
; %bb.1404:                             ;   in Loop: Header=BB262_809 Depth=1
	v_and_b32_e32 v14, 0x7f, v5
	v_cmp_ne_u32_e32 vcc, s43, v14
	v_mov_b32_e32 v13, 0x7c010000
	s_and_saveexec_b64 s[40:41], vcc
	s_cbranch_execz .LBB262_1406
; %bb.1405:                             ;   in Loop: Header=BB262_809 Depth=1
	v_and_b32_e32 v37, 7, v5
	v_ffbh_u32_e32 v13, v37
	v_min_u32_e32 v50, 32, v13
	v_subrev_u32_e32 v13, 28, v50
	v_lshrrev_b32_e32 v49, 3, v14
	v_cmp_gt_u32_e32 vcc, 8, v14
	v_lshlrev_b64 v[13:14], v13, v[5:6]
	v_sub_u32_e32 v14, 29, v50
	v_cndmask_b32_e32 v14, v49, v14, vcc
	v_lshlrev_b32_e32 v5, 8, v5
	v_lshl_add_u32 v14, v14, 10, v45
	v_and_b32_e32 v13, 7, v13
	v_and_or_b32 v5, v5, s44, v14
	v_cndmask_b32_e32 v13, v37, v13, vcc
	v_lshlrev_b32_e32 v5, 16, v5
	v_lshl_or_b32 v13, v13, 23, v5
.LBB262_1406:                           ;   in Loop: Header=BB262_809 Depth=1
	s_or_b64 exec, exec, s[40:41]
.LBB262_1407:                           ;   in Loop: Header=BB262_809 Depth=1
	s_or_b64 exec, exec, s[28:29]
.LBB262_1408:                           ;   in Loop: Header=BB262_809 Depth=1
	s_or_b64 exec, exec, s[26:27]
	s_waitcnt vmcnt(0) lgkmcnt(0)
	v_fma_mixlo_f16 v14, v23, v31, 0 op_sel:[0,1,0] op_sel_hi:[0,1,0]
	v_or_b32_e32 v5, v31, v27
	v_lshlrev_b32_e32 v27, 16, v14
	v_or_b32_e32 v14, v24, v25
	v_fma_mixlo_f16 v24, v23, v24, 0 op_sel:[0,1,0] op_sel_hi:[0,1,0]
	v_lshlrev_b32_e32 v37, 16, v24
	v_or_b32_e32 v24, v36, v33
	v_or_b32_e32 v28, v13, v28
	v_fma_mixlo_f16 v5, v23, v5, 0 op_sel_hi:[0,1,0]
	v_fma_mixlo_f16 v14, v23, v14, 0 op_sel_hi:[0,1,0]
	v_fma_mixlo_f16 v25, v23, v36, 0 op_sel:[0,1,0] op_sel_hi:[0,1,0]
	v_fma_mixlo_f16 v24, v23, v24, 0 op_sel_hi:[0,1,0]
	v_fma_mixlo_f16 v28, v23, v28, 0 op_sel_hi:[0,1,0]
	v_fma_mixlo_f16 v13, v23, v13, 0 op_sel:[0,1,0] op_sel_hi:[0,1,0]
	v_and_b32_e32 v31, 0xffff, v5
	v_and_b32_e32 v49, 0xffff, v14
	v_lshlrev_b32_e32 v25, 16, v25
	v_and_b32_e32 v33, 0xffff, v24
	v_lshlrev_b32_e32 v13, 16, v13
	v_and_b32_e32 v23, 0xffff, v28
	v_or_b32_e32 v5, v27, v31
	v_or_b32_e32 v14, v37, v49
	;; [unrolled: 1-line block ×4, first 2 shown]
	s_and_saveexec_b64 s[26:27], s[6:7]
	s_cbranch_execz .LBB262_1410
; %bb.1409:                             ;   in Loop: Header=BB262_809 Depth=1
	v_cmp_lt_i32_e32 vcc, v46, v30
	v_cndmask_b32_e32 v5, 0, v49, vcc
	v_cmp_lt_i32_e32 vcc, v1, v30
	v_cndmask_b32_e32 v14, 0, v37, vcc
	v_cmp_lt_i32_e32 vcc, v20, v30
	v_or_b32_e32 v14, v5, v14
	v_cndmask_b32_e32 v5, 0, v31, vcc
	v_cmp_lt_i32_e32 vcc, v63, v30
	v_cndmask_b32_e32 v24, 0, v27, vcc
	v_cmp_lt_i32_e32 vcc, v62, v30
	v_or_b32_e32 v5, v5, v24
	v_cndmask_b32_e32 v24, 0, v33, vcc
	v_cmp_lt_i32_e32 vcc, v61, v30
	v_cndmask_b32_e32 v25, 0, v25, vcc
	v_cmp_lt_i32_e32 vcc, v60, v30
	;; [unrolled: 2-line block ×3, first 2 shown]
	v_cndmask_b32_e32 v13, 0, v13, vcc
	v_or_b32_e32 v24, v24, v25
	v_or_b32_e32 v28, v23, v13
.LBB262_1410:                           ;   in Loop: Header=BB262_809 Depth=1
	s_or_b64 exec, exec, s[26:27]
	;;#ASMSTART
	v_pk_mul_f16 v13, v58, v14;

	;;#ASMEND
	;;#ASMSTART
	v_pk_mul_f16 v5, v57, v5;

	;;#ASMEND
	;;#ASMSTART
	v_pk_mul_f16 v14, v56, v24;

	;;#ASMEND
	;;#ASMSTART
	v_pk_mul_f16 v23, v47, v28;

	;;#ASMEND
	;;#ASMSTART
	v_pk_add_f16 v5, v13, v5;

	;;#ASMEND
	;;#ASMSTART
	v_pk_add_f16 v5, v5, v14;

	;;#ASMEND
	;; [unrolled: 4-line block ×3, first 2 shown]
	v_lshrrev_b32_e32 v13, 16, v5
	v_and_b32_e32 v5, 0xffff, v5
	;;#ASMSTART
	v_cvt_f32_f16 v24, v5;
	;;#ASMEND
	;;#ASMSTART
	v_cvt_f32_f16 v25, v13;
	;;#ASMEND
	v_add_co_u32_e32 v13, vcc, 0x1000, v11
	v_addc_co_u32_e32 v14, vcc, 0, v12, vcc
	flat_load_dwordx2 v[13:14], v[13:14] offset:2048
	s_nop 0
	buffer_load_dword v27, off, s[0:3], s32 offset:64 ; 4-byte Folded Reload
	buffer_load_dword v28, off, s[0:3], s32 offset:68 ; 4-byte Folded Reload
	v_mov_b32_e32 v31, 0
	v_mov_b32_e32 v33, 0
	s_waitcnt vmcnt(0) lgkmcnt(0)
	v_cmp_ne_u16_sdwa s[28:29], v13, v6 src0_sel:BYTE_0 src1_sel:DWORD
	flat_load_dword v23, v[27:28]
	s_and_saveexec_b64 s[26:27], s[28:29]
	s_cbranch_execz .LBB262_1416
; %bb.1411:                             ;   in Loop: Header=BB262_809 Depth=1
	v_cmp_ne_u16_sdwa s[40:41], v13, s42 src0_sel:BYTE_0 src1_sel:DWORD
	v_mov_b32_e32 v33, 0x8000
	s_and_saveexec_b64 s[28:29], s[40:41]
	s_cbranch_execz .LBB262_1415
; %bb.1412:                             ;   in Loop: Header=BB262_809 Depth=1
	v_and_b32_e32 v5, 0x7f, v13
	v_cmp_ne_u32_e32 vcc, s43, v5
	v_mov_b32_e32 v33, 0x7c01
	s_and_saveexec_b64 s[40:41], vcc
	s_cbranch_execz .LBB262_1414
; %bb.1413:                             ;   in Loop: Header=BB262_809 Depth=1
	v_and_b32_e32 v33, 7, v13
	v_lshrrev_b32_e32 v36, 3, v5
	v_cmp_gt_u32_e32 vcc, 8, v5
	v_ffbh_u32_e32 v5, v33
	v_min_u32_e32 v5, 32, v5
	v_subrev_u32_e32 v27, 28, v5
	v_sub_u32_e32 v5, 29, v5
	v_lshlrev_b64 v[27:28], v27, v[13:14]
	v_cndmask_b32_e32 v5, v36, v5, vcc
	v_lshl_add_u32 v5, v5, 10, v45
	v_lshlrev_b32_e32 v28, 8, v13
	v_and_b32_e32 v27, 7, v27
	v_and_b32_e32 v5, 0xfc00, v5
	v_cndmask_b32_e32 v27, v33, v27, vcc
	v_and_or_b32 v5, v28, s44, v5
	v_lshl_or_b32 v33, v27, 7, v5
.LBB262_1414:                           ;   in Loop: Header=BB262_809 Depth=1
	s_or_b64 exec, exec, s[40:41]
.LBB262_1415:                           ;   in Loop: Header=BB262_809 Depth=1
	s_or_b64 exec, exec, s[28:29]
.LBB262_1416:                           ;   in Loop: Header=BB262_809 Depth=1
	s_or_b64 exec, exec, s[26:27]
	v_lshrrev_b16_e32 v5, 8, v13
	v_cmp_ne_u16_e32 vcc, 0, v5
	s_and_saveexec_b64 s[26:27], vcc
	s_cbranch_execz .LBB262_1422
; %bb.1417:                             ;   in Loop: Header=BB262_809 Depth=1
	v_cmp_ne_u16_e32 vcc, s42, v5
	v_bfrev_b32_e32 v31, 1
	s_and_saveexec_b64 s[28:29], vcc
	s_cbranch_execz .LBB262_1421
; %bb.1418:                             ;   in Loop: Header=BB262_809 Depth=1
	v_and_b32_e32 v27, 0x7f, v5
	v_cmp_ne_u32_e32 vcc, s43, v27
	v_mov_b32_e32 v31, 0x7c010000
	s_and_saveexec_b64 s[40:41], vcc
	s_cbranch_execz .LBB262_1420
; %bb.1419:                             ;   in Loop: Header=BB262_809 Depth=1
	v_and_b32_e32 v31, 7, v5
	v_lshrrev_b32_e32 v36, 3, v27
	v_cmp_gt_u32_e32 vcc, 8, v27
	v_ffbh_u32_e32 v27, v31
	v_min_u32_e32 v37, 32, v27
	v_subrev_u32_e32 v27, 28, v37
	v_lshlrev_b64 v[27:28], v27, v[5:6]
	v_sub_u32_e32 v28, 29, v37
	v_cndmask_b32_e32 v28, v36, v28, vcc
	v_lshlrev_b32_e32 v5, 8, v5
	v_lshl_add_u32 v28, v28, 10, v45
	v_and_b32_e32 v27, 7, v27
	v_and_or_b32 v5, v5, s44, v28
	v_cndmask_b32_e32 v27, v31, v27, vcc
	v_lshlrev_b32_e32 v5, 16, v5
	v_lshl_or_b32 v31, v27, 23, v5
.LBB262_1420:                           ;   in Loop: Header=BB262_809 Depth=1
	s_or_b64 exec, exec, s[40:41]
.LBB262_1421:                           ;   in Loop: Header=BB262_809 Depth=1
	s_or_b64 exec, exec, s[28:29]
.LBB262_1422:                           ;   in Loop: Header=BB262_809 Depth=1
	s_or_b64 exec, exec, s[26:27]
	v_lshrrev_b32_e32 v5, 16, v13
	v_cmp_ne_u16_sdwa s[28:29], v5, v6 src0_sel:BYTE_0 src1_sel:DWORD
	v_mov_b32_e32 v36, 0
	v_mov_b32_e32 v27, 0
	s_and_saveexec_b64 s[26:27], s[28:29]
	s_cbranch_execz .LBB262_1428
; %bb.1423:                             ;   in Loop: Header=BB262_809 Depth=1
	v_cmp_ne_u16_sdwa s[40:41], v5, s42 src0_sel:BYTE_0 src1_sel:DWORD
	v_mov_b32_e32 v27, 0x8000
	s_and_saveexec_b64 s[28:29], s[40:41]
	s_cbranch_execz .LBB262_1427
; %bb.1424:                             ;   in Loop: Header=BB262_809 Depth=1
	v_bfe_u32 v28, v13, 16, 7
	v_cmp_ne_u32_e32 vcc, s43, v28
	v_mov_b32_e32 v27, 0x7c01
	s_and_saveexec_b64 s[40:41], vcc
	s_cbranch_execz .LBB262_1426
; %bb.1425:                             ;   in Loop: Header=BB262_809 Depth=1
	v_and_b32_e32 v37, 7, v5
	v_ffbh_u32_e32 v27, v37
	v_min_u32_e32 v50, 32, v27
	v_subrev_u32_e32 v27, 28, v50
	v_lshrrev_b32_e32 v49, 3, v28
	v_cmp_gt_u32_e32 vcc, 8, v28
	v_lshlrev_b64 v[27:28], v27, v[5:6]
	v_sub_u32_e32 v28, 29, v50
	v_cndmask_b32_e32 v28, v49, v28, vcc
	v_lshl_add_u32 v28, v28, 10, v45
	v_lshlrev_b32_e32 v5, 8, v5
	v_and_b32_e32 v27, 7, v27
	v_and_b32_e32 v28, 0xfc00, v28
	v_cndmask_b32_e32 v27, v37, v27, vcc
	v_and_or_b32 v5, v5, s44, v28
	v_lshl_or_b32 v27, v27, 7, v5
.LBB262_1426:                           ;   in Loop: Header=BB262_809 Depth=1
	s_or_b64 exec, exec, s[40:41]
.LBB262_1427:                           ;   in Loop: Header=BB262_809 Depth=1
	s_or_b64 exec, exec, s[28:29]
.LBB262_1428:                           ;   in Loop: Header=BB262_809 Depth=1
	s_or_b64 exec, exec, s[26:27]
	v_cmp_lt_u32_e32 vcc, s11, v13
	s_and_saveexec_b64 s[26:27], vcc
	s_cbranch_execz .LBB262_1434
; %bb.1429:                             ;   in Loop: Header=BB262_809 Depth=1
	v_lshrrev_b32_e32 v5, 24, v13
	v_cmp_ne_u32_e32 vcc, s42, v5
	v_bfrev_b32_e32 v36, 1
	s_and_saveexec_b64 s[28:29], vcc
	s_cbranch_execz .LBB262_1433
; %bb.1430:                             ;   in Loop: Header=BB262_809 Depth=1
	v_and_b32_e32 v28, 0x7f, v5
	v_cmp_ne_u32_e32 vcc, s43, v28
	v_mov_b32_e32 v36, 0x7c010000
	s_and_saveexec_b64 s[40:41], vcc
	s_cbranch_execz .LBB262_1432
; %bb.1431:                             ;   in Loop: Header=BB262_809 Depth=1
	v_and_b32_e32 v49, 7, v5
	v_lshrrev_b32_e32 v50, 3, v28
	v_cmp_gt_u32_e32 vcc, 8, v28
	v_ffbh_u32_e32 v28, v49
	v_min_u32_e32 v28, 32, v28
	v_subrev_u32_e32 v36, 28, v28
	v_sub_u32_e32 v28, 29, v28
	v_lshlrev_b64 v[36:37], v36, v[5:6]
	v_cndmask_b32_e32 v28, v50, v28, vcc
	v_lshlrev_b32_e32 v5, 8, v5
	v_lshl_add_u32 v28, v28, 10, v45
	v_and_b32_e32 v36, 7, v36
	v_and_or_b32 v5, v5, s44, v28
	v_cndmask_b32_e32 v36, v49, v36, vcc
	v_lshlrev_b32_e32 v5, 16, v5
	v_lshl_or_b32 v36, v36, 23, v5
.LBB262_1432:                           ;   in Loop: Header=BB262_809 Depth=1
	s_or_b64 exec, exec, s[40:41]
.LBB262_1433:                           ;   in Loop: Header=BB262_809 Depth=1
	s_or_b64 exec, exec, s[28:29]
.LBB262_1434:                           ;   in Loop: Header=BB262_809 Depth=1
	s_or_b64 exec, exec, s[26:27]
	v_mov_b32_e32 v5, v14
	v_cmp_ne_u16_sdwa s[28:29], v14, v6 src0_sel:BYTE_0 src1_sel:DWORD
	v_mov_b32_e32 v28, 0
	v_mov_b32_e32 v37, 0
	s_and_saveexec_b64 s[26:27], s[28:29]
	s_cbranch_execz .LBB262_1440
; %bb.1435:                             ;   in Loop: Header=BB262_809 Depth=1
	v_cmp_ne_u16_sdwa s[40:41], v14, s42 src0_sel:BYTE_0 src1_sel:DWORD
	v_mov_b32_e32 v37, 0x8000
	s_and_saveexec_b64 s[28:29], s[40:41]
	s_cbranch_execz .LBB262_1439
; %bb.1436:                             ;   in Loop: Header=BB262_809 Depth=1
	v_and_b32_e32 v49, 0x7f, v14
	v_cmp_ne_u32_e32 vcc, s43, v49
	v_mov_b32_e32 v37, 0x7c01
	s_and_saveexec_b64 s[40:41], vcc
	s_cbranch_execz .LBB262_1438
; %bb.1437:                             ;   in Loop: Header=BB262_809 Depth=1
	v_and_b32_e32 v37, 7, v14
	v_lshrrev_b32_e32 v51, 3, v49
	v_cmp_gt_u32_e32 vcc, 8, v49
	v_ffbh_u32_e32 v49, v37
	v_min_u32_e32 v52, 32, v49
	v_subrev_u32_e32 v49, 28, v52
	v_lshlrev_b64 v[49:50], v49, v[5:6]
	v_sub_u32_e32 v50, 29, v52
	v_cndmask_b32_e32 v50, v51, v50, vcc
	v_lshl_add_u32 v50, v50, 10, v45
	v_and_b32_e32 v49, 7, v49
	v_lshlrev_b32_e32 v51, 8, v14
	v_cndmask_b32_e32 v37, v37, v49, vcc
	v_and_b32_e32 v49, 0xfc00, v50
	v_and_or_b32 v49, v51, s44, v49
	v_lshl_or_b32 v37, v37, 7, v49
.LBB262_1438:                           ;   in Loop: Header=BB262_809 Depth=1
	s_or_b64 exec, exec, s[40:41]
.LBB262_1439:                           ;   in Loop: Header=BB262_809 Depth=1
	s_or_b64 exec, exec, s[28:29]
.LBB262_1440:                           ;   in Loop: Header=BB262_809 Depth=1
	s_or_b64 exec, exec, s[26:27]
	v_lshrrev_b16_e32 v5, 8, v5
	v_cmp_ne_u16_e32 vcc, 0, v5
	v_mov_b32_e32 v49, 0
	s_and_saveexec_b64 s[26:27], vcc
	s_cbranch_execz .LBB262_1446
; %bb.1441:                             ;   in Loop: Header=BB262_809 Depth=1
	v_cmp_ne_u16_e32 vcc, s42, v5
	v_bfrev_b32_e32 v49, 1
	s_and_saveexec_b64 s[28:29], vcc
	s_cbranch_execz .LBB262_1445
; %bb.1442:                             ;   in Loop: Header=BB262_809 Depth=1
	v_and_b32_e32 v50, 0x7f, v5
	v_cmp_ne_u32_e32 vcc, s43, v50
	v_mov_b32_e32 v49, 0x7c010000
	s_and_saveexec_b64 s[40:41], vcc
	s_cbranch_execz .LBB262_1444
; %bb.1443:                             ;   in Loop: Header=BB262_809 Depth=1
	v_and_b32_e32 v51, 7, v5
	v_ffbh_u32_e32 v49, v51
	v_min_u32_e32 v53, 32, v49
	v_subrev_u32_e32 v49, 28, v53
	v_lshrrev_b32_e32 v52, 3, v50
	v_cmp_gt_u32_e32 vcc, 8, v50
	v_lshlrev_b64 v[49:50], v49, v[5:6]
	v_sub_u32_e32 v50, 29, v53
	v_cndmask_b32_e32 v50, v52, v50, vcc
	v_lshlrev_b32_e32 v5, 8, v5
	v_lshl_add_u32 v50, v50, 10, v45
	v_and_b32_e32 v49, 7, v49
	v_and_or_b32 v5, v5, s44, v50
	v_cndmask_b32_e32 v49, v51, v49, vcc
	v_lshlrev_b32_e32 v5, 16, v5
	v_lshl_or_b32 v49, v49, 23, v5
.LBB262_1444:                           ;   in Loop: Header=BB262_809 Depth=1
	s_or_b64 exec, exec, s[40:41]
.LBB262_1445:                           ;   in Loop: Header=BB262_809 Depth=1
	s_or_b64 exec, exec, s[28:29]
.LBB262_1446:                           ;   in Loop: Header=BB262_809 Depth=1
	s_or_b64 exec, exec, s[26:27]
	v_lshrrev_b32_e32 v5, 16, v14
	v_cmp_ne_u16_sdwa s[28:29], v5, v6 src0_sel:BYTE_0 src1_sel:DWORD
	s_and_saveexec_b64 s[26:27], s[28:29]
	s_cbranch_execz .LBB262_1452
; %bb.1447:                             ;   in Loop: Header=BB262_809 Depth=1
	v_cmp_ne_u16_sdwa s[40:41], v5, s42 src0_sel:BYTE_0 src1_sel:DWORD
	v_mov_b32_e32 v28, 0x8000
	s_and_saveexec_b64 s[28:29], s[40:41]
	s_cbranch_execz .LBB262_1451
; %bb.1448:                             ;   in Loop: Header=BB262_809 Depth=1
	v_bfe_u32 v50, v14, 16, 7
	v_cmp_ne_u32_e32 vcc, s43, v50
	v_mov_b32_e32 v28, 0x7c01
	s_and_saveexec_b64 s[40:41], vcc
	s_cbranch_execz .LBB262_1450
; %bb.1449:                             ;   in Loop: Header=BB262_809 Depth=1
	v_and_b32_e32 v28, 7, v5
	v_lshrrev_b32_e32 v52, 3, v50
	v_cmp_gt_u32_e32 vcc, 8, v50
	v_ffbh_u32_e32 v50, v28
	v_min_u32_e32 v53, 32, v50
	v_subrev_u32_e32 v50, 28, v53
	v_lshlrev_b64 v[50:51], v50, v[5:6]
	v_sub_u32_e32 v51, 29, v53
	v_cndmask_b32_e32 v51, v52, v51, vcc
	v_lshl_add_u32 v51, v51, 10, v45
	v_and_b32_e32 v50, 7, v50
	v_lshlrev_b32_e32 v5, 8, v5
	v_cndmask_b32_e32 v28, v28, v50, vcc
	v_and_b32_e32 v50, 0xfc00, v51
	v_and_or_b32 v5, v5, s44, v50
	v_lshl_or_b32 v28, v28, 7, v5
.LBB262_1450:                           ;   in Loop: Header=BB262_809 Depth=1
	s_or_b64 exec, exec, s[40:41]
.LBB262_1451:                           ;   in Loop: Header=BB262_809 Depth=1
	s_or_b64 exec, exec, s[28:29]
.LBB262_1452:                           ;   in Loop: Header=BB262_809 Depth=1
	s_or_b64 exec, exec, s[26:27]
	v_cmp_lt_u64_e32 vcc, s[10:11], v[13:14]
	v_mov_b32_e32 v13, 0
	s_and_saveexec_b64 s[26:27], vcc
	s_cbranch_execz .LBB262_1458
; %bb.1453:                             ;   in Loop: Header=BB262_809 Depth=1
	v_lshrrev_b32_e32 v5, 24, v14
	v_cmp_ne_u32_e32 vcc, s42, v5
	v_bfrev_b32_e32 v13, 1
	s_and_saveexec_b64 s[28:29], vcc
	s_cbranch_execz .LBB262_1457
; %bb.1454:                             ;   in Loop: Header=BB262_809 Depth=1
	v_and_b32_e32 v14, 0x7f, v5
	v_cmp_ne_u32_e32 vcc, s43, v14
	v_mov_b32_e32 v13, 0x7c010000
	s_and_saveexec_b64 s[40:41], vcc
	s_cbranch_execz .LBB262_1456
; %bb.1455:                             ;   in Loop: Header=BB262_809 Depth=1
	v_and_b32_e32 v50, 7, v5
	v_ffbh_u32_e32 v13, v50
	v_min_u32_e32 v52, 32, v13
	v_subrev_u32_e32 v13, 28, v52
	v_lshrrev_b32_e32 v51, 3, v14
	v_cmp_gt_u32_e32 vcc, 8, v14
	v_lshlrev_b64 v[13:14], v13, v[5:6]
	v_sub_u32_e32 v14, 29, v52
	v_cndmask_b32_e32 v14, v51, v14, vcc
	v_lshlrev_b32_e32 v5, 8, v5
	v_lshl_add_u32 v14, v14, 10, v45
	v_and_b32_e32 v13, 7, v13
	v_and_or_b32 v5, v5, s44, v14
	v_cndmask_b32_e32 v13, v50, v13, vcc
	v_lshlrev_b32_e32 v5, 16, v5
	v_lshl_or_b32 v13, v13, 23, v5
.LBB262_1456:                           ;   in Loop: Header=BB262_809 Depth=1
	s_or_b64 exec, exec, s[40:41]
.LBB262_1457:                           ;   in Loop: Header=BB262_809 Depth=1
	s_or_b64 exec, exec, s[28:29]
.LBB262_1458:                           ;   in Loop: Header=BB262_809 Depth=1
	s_or_b64 exec, exec, s[26:27]
	s_waitcnt vmcnt(0) lgkmcnt(0)
	v_fma_mixlo_f16 v14, v23, v36, 0 op_sel:[0,1,0] op_sel_hi:[0,1,0]
	v_or_b32_e32 v5, v36, v27
	v_lshlrev_b32_e32 v27, 16, v14
	v_or_b32_e32 v14, v31, v33
	v_fma_mixlo_f16 v31, v23, v31, 0 op_sel:[0,1,0] op_sel_hi:[0,1,0]
	v_lshlrev_b32_e32 v50, 16, v31
	v_or_b32_e32 v31, v49, v37
	v_or_b32_e32 v28, v13, v28
	v_fma_mixlo_f16 v5, v23, v5, 0 op_sel_hi:[0,1,0]
	v_fma_mixlo_f16 v14, v23, v14, 0 op_sel_hi:[0,1,0]
	v_fma_mixlo_f16 v33, v23, v49, 0 op_sel:[0,1,0] op_sel_hi:[0,1,0]
	v_fma_mixlo_f16 v31, v23, v31, 0 op_sel_hi:[0,1,0]
	v_fma_mixlo_f16 v28, v23, v28, 0 op_sel_hi:[0,1,0]
	v_fma_mixlo_f16 v13, v23, v13, 0 op_sel:[0,1,0] op_sel_hi:[0,1,0]
	v_and_b32_e32 v36, 0xffff, v5
	v_and_b32_e32 v51, 0xffff, v14
	v_lshlrev_b32_e32 v33, 16, v33
	v_and_b32_e32 v37, 0xffff, v31
	v_lshlrev_b32_e32 v13, 16, v13
	v_and_b32_e32 v23, 0xffff, v28
	v_or_b32_e32 v5, v27, v36
	v_or_b32_e32 v14, v50, v51
	;; [unrolled: 1-line block ×4, first 2 shown]
	s_and_saveexec_b64 s[26:27], s[6:7]
	s_cbranch_execz .LBB262_1460
; %bb.1459:                             ;   in Loop: Header=BB262_809 Depth=1
	v_cmp_lt_i32_e32 vcc, v46, v30
	v_cndmask_b32_e32 v5, 0, v51, vcc
	v_cmp_lt_i32_e32 vcc, v1, v30
	v_cndmask_b32_e32 v14, 0, v50, vcc
	v_cmp_lt_i32_e32 vcc, v20, v30
	v_or_b32_e32 v14, v5, v14
	v_cndmask_b32_e32 v5, 0, v36, vcc
	v_cmp_lt_i32_e32 vcc, v63, v30
	v_cndmask_b32_e32 v27, 0, v27, vcc
	v_cmp_lt_i32_e32 vcc, v62, v30
	v_or_b32_e32 v5, v5, v27
	v_cndmask_b32_e32 v27, 0, v37, vcc
	v_cmp_lt_i32_e32 vcc, v61, v30
	v_cndmask_b32_e32 v28, 0, v33, vcc
	v_cmp_lt_i32_e32 vcc, v60, v30
	;; [unrolled: 2-line block ×3, first 2 shown]
	v_cndmask_b32_e32 v13, 0, v13, vcc
	v_or_b32_e32 v31, v27, v28
	v_or_b32_e32 v28, v23, v13
.LBB262_1460:                           ;   in Loop: Header=BB262_809 Depth=1
	s_or_b64 exec, exec, s[26:27]
	;;#ASMSTART
	v_pk_mul_f16 v13, v58, v14;

	;;#ASMEND
	;;#ASMSTART
	v_pk_mul_f16 v5, v57, v5;

	;;#ASMEND
	;; [unrolled: 4-line block ×4, first 2 shown]
	;;#ASMSTART
	v_pk_add_f16 v5, v13, v5;

	;;#ASMEND
	;;#ASMSTART
	v_pk_add_f16 v5, v5, v14;

	;;#ASMEND
	;; [unrolled: 4-line block ×3, first 2 shown]
	v_lshrrev_b32_e32 v13, 16, v5
	v_and_b32_e32 v5, 0xffff, v5
	;;#ASMSTART
	v_cvt_f32_f16 v23, v5;
	;;#ASMEND
	;;#ASMSTART
	v_cvt_f32_f16 v31, v13;
	;;#ASMEND
	v_add_co_u32_e32 v13, vcc, 0x1000, v11
	v_addc_co_u32_e32 v14, vcc, 0, v12, vcc
	flat_load_dwordx2 v[13:14], v[13:14] offset:2560
	s_nop 0
	buffer_load_dword v27, off, s[0:3], s32 offset:64 ; 4-byte Folded Reload
	buffer_load_dword v28, off, s[0:3], s32 offset:68 ; 4-byte Folded Reload
	v_mov_b32_e32 v36, 0
	v_mov_b32_e32 v37, 0
	s_waitcnt vmcnt(0) lgkmcnt(0)
	v_cmp_ne_u16_sdwa s[28:29], v13, v6 src0_sel:BYTE_0 src1_sel:DWORD
	flat_load_dword v33, v[27:28]
	s_and_saveexec_b64 s[26:27], s[28:29]
	s_cbranch_execz .LBB262_1466
; %bb.1461:                             ;   in Loop: Header=BB262_809 Depth=1
	v_cmp_ne_u16_sdwa s[40:41], v13, s42 src0_sel:BYTE_0 src1_sel:DWORD
	v_mov_b32_e32 v37, 0x8000
	s_and_saveexec_b64 s[28:29], s[40:41]
	s_cbranch_execz .LBB262_1465
; %bb.1462:                             ;   in Loop: Header=BB262_809 Depth=1
	v_and_b32_e32 v5, 0x7f, v13
	v_cmp_ne_u32_e32 vcc, s43, v5
	v_mov_b32_e32 v37, 0x7c01
	s_and_saveexec_b64 s[40:41], vcc
	s_cbranch_execz .LBB262_1464
; %bb.1463:                             ;   in Loop: Header=BB262_809 Depth=1
	v_and_b32_e32 v37, 7, v13
	v_lshrrev_b32_e32 v49, 3, v5
	v_cmp_gt_u32_e32 vcc, 8, v5
	v_ffbh_u32_e32 v5, v37
	v_min_u32_e32 v5, 32, v5
	v_subrev_u32_e32 v27, 28, v5
	v_sub_u32_e32 v5, 29, v5
	v_lshlrev_b64 v[27:28], v27, v[13:14]
	v_cndmask_b32_e32 v5, v49, v5, vcc
	v_lshl_add_u32 v5, v5, 10, v45
	v_lshlrev_b32_e32 v28, 8, v13
	v_and_b32_e32 v27, 7, v27
	v_and_b32_e32 v5, 0xfc00, v5
	v_cndmask_b32_e32 v27, v37, v27, vcc
	v_and_or_b32 v5, v28, s44, v5
	v_lshl_or_b32 v37, v27, 7, v5
.LBB262_1464:                           ;   in Loop: Header=BB262_809 Depth=1
	s_or_b64 exec, exec, s[40:41]
.LBB262_1465:                           ;   in Loop: Header=BB262_809 Depth=1
	s_or_b64 exec, exec, s[28:29]
.LBB262_1466:                           ;   in Loop: Header=BB262_809 Depth=1
	s_or_b64 exec, exec, s[26:27]
	v_lshrrev_b16_e32 v5, 8, v13
	v_cmp_ne_u16_e32 vcc, 0, v5
	s_and_saveexec_b64 s[26:27], vcc
	s_cbranch_execz .LBB262_1472
; %bb.1467:                             ;   in Loop: Header=BB262_809 Depth=1
	v_cmp_ne_u16_e32 vcc, s42, v5
	v_bfrev_b32_e32 v36, 1
	s_and_saveexec_b64 s[28:29], vcc
	s_cbranch_execz .LBB262_1471
; %bb.1468:                             ;   in Loop: Header=BB262_809 Depth=1
	v_and_b32_e32 v27, 0x7f, v5
	v_cmp_ne_u32_e32 vcc, s43, v27
	v_mov_b32_e32 v36, 0x7c010000
	s_and_saveexec_b64 s[40:41], vcc
	s_cbranch_execz .LBB262_1470
; %bb.1469:                             ;   in Loop: Header=BB262_809 Depth=1
	v_and_b32_e32 v36, 7, v5
	v_lshrrev_b32_e32 v49, 3, v27
	v_cmp_gt_u32_e32 vcc, 8, v27
	v_ffbh_u32_e32 v27, v36
	v_min_u32_e32 v50, 32, v27
	v_subrev_u32_e32 v27, 28, v50
	v_lshlrev_b64 v[27:28], v27, v[5:6]
	v_sub_u32_e32 v28, 29, v50
	v_cndmask_b32_e32 v28, v49, v28, vcc
	v_lshlrev_b32_e32 v5, 8, v5
	v_lshl_add_u32 v28, v28, 10, v45
	v_and_b32_e32 v27, 7, v27
	v_and_or_b32 v5, v5, s44, v28
	v_cndmask_b32_e32 v27, v36, v27, vcc
	v_lshlrev_b32_e32 v5, 16, v5
	v_lshl_or_b32 v36, v27, 23, v5
.LBB262_1470:                           ;   in Loop: Header=BB262_809 Depth=1
	s_or_b64 exec, exec, s[40:41]
.LBB262_1471:                           ;   in Loop: Header=BB262_809 Depth=1
	s_or_b64 exec, exec, s[28:29]
.LBB262_1472:                           ;   in Loop: Header=BB262_809 Depth=1
	s_or_b64 exec, exec, s[26:27]
	v_lshrrev_b32_e32 v5, 16, v13
	v_cmp_ne_u16_sdwa s[28:29], v5, v6 src0_sel:BYTE_0 src1_sel:DWORD
	v_mov_b32_e32 v27, 0
	v_mov_b32_e32 v28, 0
	s_and_saveexec_b64 s[26:27], s[28:29]
	s_cbranch_execz .LBB262_1478
; %bb.1473:                             ;   in Loop: Header=BB262_809 Depth=1
	v_cmp_ne_u16_sdwa s[40:41], v5, s42 src0_sel:BYTE_0 src1_sel:DWORD
	v_mov_b32_e32 v28, 0x8000
	s_and_saveexec_b64 s[28:29], s[40:41]
	s_cbranch_execz .LBB262_1477
; %bb.1474:                             ;   in Loop: Header=BB262_809 Depth=1
	v_bfe_u32 v49, v13, 16, 7
	v_cmp_ne_u32_e32 vcc, s43, v49
	v_mov_b32_e32 v28, 0x7c01
	s_and_saveexec_b64 s[40:41], vcc
	s_cbranch_execz .LBB262_1476
; %bb.1475:                             ;   in Loop: Header=BB262_809 Depth=1
	v_and_b32_e32 v28, 7, v5
	v_lshrrev_b32_e32 v51, 3, v49
	v_cmp_gt_u32_e32 vcc, 8, v49
	v_ffbh_u32_e32 v49, v28
	v_min_u32_e32 v52, 32, v49
	v_subrev_u32_e32 v49, 28, v52
	v_lshlrev_b64 v[49:50], v49, v[5:6]
	v_sub_u32_e32 v50, 29, v52
	v_cndmask_b32_e32 v50, v51, v50, vcc
	v_lshl_add_u32 v50, v50, 10, v45
	v_and_b32_e32 v49, 7, v49
	v_lshlrev_b32_e32 v5, 8, v5
	v_cndmask_b32_e32 v28, v28, v49, vcc
	v_and_b32_e32 v49, 0xfc00, v50
	v_and_or_b32 v5, v5, s44, v49
	v_lshl_or_b32 v28, v28, 7, v5
.LBB262_1476:                           ;   in Loop: Header=BB262_809 Depth=1
	s_or_b64 exec, exec, s[40:41]
.LBB262_1477:                           ;   in Loop: Header=BB262_809 Depth=1
	s_or_b64 exec, exec, s[28:29]
.LBB262_1478:                           ;   in Loop: Header=BB262_809 Depth=1
	s_or_b64 exec, exec, s[26:27]
	v_cmp_lt_u32_e32 vcc, s11, v13
	s_and_saveexec_b64 s[26:27], vcc
	s_cbranch_execz .LBB262_1484
; %bb.1479:                             ;   in Loop: Header=BB262_809 Depth=1
	v_lshrrev_b32_e32 v5, 24, v13
	v_cmp_ne_u32_e32 vcc, s42, v5
	v_bfrev_b32_e32 v27, 1
	s_and_saveexec_b64 s[28:29], vcc
	s_cbranch_execz .LBB262_1483
; %bb.1480:                             ;   in Loop: Header=BB262_809 Depth=1
	v_and_b32_e32 v49, 0x7f, v5
	v_cmp_ne_u32_e32 vcc, s43, v49
	v_mov_b32_e32 v27, 0x7c010000
	s_and_saveexec_b64 s[40:41], vcc
	s_cbranch_execz .LBB262_1482
; %bb.1481:                             ;   in Loop: Header=BB262_809 Depth=1
	v_and_b32_e32 v27, 7, v5
	v_lshrrev_b32_e32 v51, 3, v49
	v_cmp_gt_u32_e32 vcc, 8, v49
	v_ffbh_u32_e32 v49, v27
	v_min_u32_e32 v52, 32, v49
	v_subrev_u32_e32 v49, 28, v52
	v_lshlrev_b64 v[49:50], v49, v[5:6]
	v_sub_u32_e32 v50, 29, v52
	v_cndmask_b32_e32 v50, v51, v50, vcc
	v_lshlrev_b32_e32 v5, 8, v5
	v_lshl_add_u32 v50, v50, 10, v45
	v_and_b32_e32 v49, 7, v49
	v_and_or_b32 v5, v5, s44, v50
	v_cndmask_b32_e32 v27, v27, v49, vcc
	v_lshlrev_b32_e32 v5, 16, v5
	v_lshl_or_b32 v27, v27, 23, v5
.LBB262_1482:                           ;   in Loop: Header=BB262_809 Depth=1
	s_or_b64 exec, exec, s[40:41]
.LBB262_1483:                           ;   in Loop: Header=BB262_809 Depth=1
	s_or_b64 exec, exec, s[28:29]
.LBB262_1484:                           ;   in Loop: Header=BB262_809 Depth=1
	s_or_b64 exec, exec, s[26:27]
	v_mov_b32_e32 v5, v14
	v_cmp_ne_u16_sdwa s[28:29], v14, v6 src0_sel:BYTE_0 src1_sel:DWORD
	v_mov_b32_e32 v49, 0
	v_mov_b32_e32 v50, 0
	s_and_saveexec_b64 s[26:27], s[28:29]
	s_cbranch_execz .LBB262_1490
; %bb.1485:                             ;   in Loop: Header=BB262_809 Depth=1
	v_cmp_ne_u16_sdwa s[40:41], v14, s42 src0_sel:BYTE_0 src1_sel:DWORD
	v_mov_b32_e32 v50, 0x8000
	s_and_saveexec_b64 s[28:29], s[40:41]
	s_cbranch_execz .LBB262_1489
; %bb.1486:                             ;   in Loop: Header=BB262_809 Depth=1
	v_and_b32_e32 v51, 0x7f, v14
	v_cmp_ne_u32_e32 vcc, s43, v51
	v_mov_b32_e32 v50, 0x7c01
	s_and_saveexec_b64 s[40:41], vcc
	s_cbranch_execz .LBB262_1488
; %bb.1487:                             ;   in Loop: Header=BB262_809 Depth=1
	v_and_b32_e32 v52, 7, v14
	v_ffbh_u32_e32 v50, v52
	v_min_u32_e32 v54, 32, v50
	v_subrev_u32_e32 v50, 28, v54
	v_lshrrev_b32_e32 v53, 3, v51
	v_cmp_gt_u32_e32 vcc, 8, v51
	v_lshlrev_b64 v[50:51], v50, v[5:6]
	v_sub_u32_e32 v51, 29, v54
	v_cndmask_b32_e32 v51, v53, v51, vcc
	v_lshl_add_u32 v51, v51, 10, v45
	v_lshlrev_b32_e32 v53, 8, v14
	v_and_b32_e32 v50, 7, v50
	v_and_b32_e32 v51, 0xfc00, v51
	v_cndmask_b32_e32 v50, v52, v50, vcc
	v_and_or_b32 v51, v53, s44, v51
	v_lshl_or_b32 v50, v50, 7, v51
.LBB262_1488:                           ;   in Loop: Header=BB262_809 Depth=1
	s_or_b64 exec, exec, s[40:41]
.LBB262_1489:                           ;   in Loop: Header=BB262_809 Depth=1
	s_or_b64 exec, exec, s[28:29]
.LBB262_1490:                           ;   in Loop: Header=BB262_809 Depth=1
	s_or_b64 exec, exec, s[26:27]
	v_lshrrev_b16_e32 v5, 8, v5
	v_cmp_ne_u16_e32 vcc, 0, v5
	v_mov_b32_e32 v51, 0
	s_and_saveexec_b64 s[26:27], vcc
	s_cbranch_execz .LBB262_1496
; %bb.1491:                             ;   in Loop: Header=BB262_809 Depth=1
	v_cmp_ne_u16_e32 vcc, s42, v5
	v_bfrev_b32_e32 v51, 1
	s_and_saveexec_b64 s[28:29], vcc
	s_cbranch_execz .LBB262_1495
; %bb.1492:                             ;   in Loop: Header=BB262_809 Depth=1
	v_and_b32_e32 v52, 0x7f, v5
	v_cmp_ne_u32_e32 vcc, s43, v52
	v_mov_b32_e32 v51, 0x7c010000
	s_and_saveexec_b64 s[40:41], vcc
	s_cbranch_execz .LBB262_1494
; %bb.1493:                             ;   in Loop: Header=BB262_809 Depth=1
	v_and_b32_e32 v53, 7, v5
	v_ffbh_u32_e32 v51, v53
	v_mov_b32_e32 v16, v15
	v_mov_b32_e32 v15, v0
	;; [unrolled: 1-line block ×17, first 2 shown]
	v_min_u32_e32 v55, 32, v51
	v_subrev_u32_e32 v51, 28, v55
	v_lshrrev_b32_e32 v54, 3, v52
	v_cmp_gt_u32_e32 vcc, 8, v52
	v_lshlrev_b64 v[51:52], v51, v[5:6]
	v_sub_u32_e32 v52, 29, v55
	v_cndmask_b32_e32 v52, v54, v52, vcc
	v_lshlrev_b32_e32 v5, 8, v5
	v_lshl_add_u32 v52, v52, 10, v45
	v_and_b32_e32 v51, 7, v51
	v_and_or_b32 v5, v5, s44, v52
	v_cndmask_b32_e32 v51, v53, v51, vcc
	v_lshlrev_b32_e32 v5, 16, v5
	v_mov_b32_e32 v55, v40
	v_mov_b32_e32 v40, v42
	;; [unrolled: 1-line block ×17, first 2 shown]
	v_lshl_or_b32 v51, v51, 23, v5
.LBB262_1494:                           ;   in Loop: Header=BB262_809 Depth=1
	s_or_b64 exec, exec, s[40:41]
.LBB262_1495:                           ;   in Loop: Header=BB262_809 Depth=1
	s_or_b64 exec, exec, s[28:29]
.LBB262_1496:                           ;   in Loop: Header=BB262_809 Depth=1
	s_or_b64 exec, exec, s[26:27]
	v_lshrrev_b32_e32 v5, 16, v14
	v_cmp_ne_u16_sdwa s[28:29], v5, v6 src0_sel:BYTE_0 src1_sel:DWORD
	s_and_saveexec_b64 s[26:27], s[28:29]
	s_cbranch_execz .LBB262_1502
; %bb.1497:                             ;   in Loop: Header=BB262_809 Depth=1
	v_cmp_ne_u16_sdwa s[40:41], v5, s42 src0_sel:BYTE_0 src1_sel:DWORD
	v_mov_b32_e32 v49, 0x8000
	s_and_saveexec_b64 s[28:29], s[40:41]
	s_cbranch_execz .LBB262_1501
; %bb.1498:                             ;   in Loop: Header=BB262_809 Depth=1
	v_bfe_u32 v52, v14, 16, 7
	v_cmp_ne_u32_e32 vcc, s43, v52
	v_mov_b32_e32 v49, 0x7c01
	s_and_saveexec_b64 s[40:41], vcc
	s_cbranch_execz .LBB262_1500
; %bb.1499:                             ;   in Loop: Header=BB262_809 Depth=1
	v_and_b32_e32 v49, 7, v5
	v_lshrrev_b32_e32 v54, 3, v52
	v_cmp_gt_u32_e32 vcc, 8, v52
	v_ffbh_u32_e32 v52, v49
	v_mov_b32_e32 v16, v15
	v_mov_b32_e32 v15, v0
	;; [unrolled: 1-line block ×17, first 2 shown]
	v_min_u32_e32 v55, 32, v52
	v_subrev_u32_e32 v52, 28, v55
	v_lshlrev_b64 v[52:53], v52, v[5:6]
	v_sub_u32_e32 v53, 29, v55
	v_cndmask_b32_e32 v53, v54, v53, vcc
	v_lshl_add_u32 v53, v53, 10, v45
	v_and_b32_e32 v52, 7, v52
	v_lshlrev_b32_e32 v5, 8, v5
	v_cndmask_b32_e32 v49, v49, v52, vcc
	v_and_b32_e32 v52, 0xfc00, v53
	v_and_or_b32 v5, v5, s44, v52
	v_mov_b32_e32 v55, v40
	v_mov_b32_e32 v40, v42
	;; [unrolled: 1-line block ×17, first 2 shown]
	v_lshl_or_b32 v49, v49, 7, v5
.LBB262_1500:                           ;   in Loop: Header=BB262_809 Depth=1
	s_or_b64 exec, exec, s[40:41]
.LBB262_1501:                           ;   in Loop: Header=BB262_809 Depth=1
	s_or_b64 exec, exec, s[28:29]
.LBB262_1502:                           ;   in Loop: Header=BB262_809 Depth=1
	s_or_b64 exec, exec, s[26:27]
	v_cmp_lt_u64_e32 vcc, s[10:11], v[13:14]
	v_mov_b32_e32 v13, 0
	s_and_saveexec_b64 s[26:27], vcc
	s_cbranch_execz .LBB262_1508
; %bb.1503:                             ;   in Loop: Header=BB262_809 Depth=1
	v_lshrrev_b32_e32 v5, 24, v14
	v_cmp_ne_u32_e32 vcc, s42, v5
	v_bfrev_b32_e32 v13, 1
	s_and_saveexec_b64 s[28:29], vcc
	s_cbranch_execz .LBB262_1507
; %bb.1504:                             ;   in Loop: Header=BB262_809 Depth=1
	v_and_b32_e32 v14, 0x7f, v5
	v_cmp_ne_u32_e32 vcc, s43, v14
	v_mov_b32_e32 v13, 0x7c010000
	s_and_saveexec_b64 s[40:41], vcc
	s_cbranch_execz .LBB262_1506
; %bb.1505:                             ;   in Loop: Header=BB262_809 Depth=1
	v_and_b32_e32 v52, 7, v5
	v_ffbh_u32_e32 v13, v52
	v_min_u32_e32 v54, 32, v13
	v_subrev_u32_e32 v13, 28, v54
	v_lshrrev_b32_e32 v53, 3, v14
	v_cmp_gt_u32_e32 vcc, 8, v14
	v_lshlrev_b64 v[13:14], v13, v[5:6]
	v_sub_u32_e32 v14, 29, v54
	v_cndmask_b32_e32 v14, v53, v14, vcc
	v_lshlrev_b32_e32 v5, 8, v5
	v_lshl_add_u32 v14, v14, 10, v45
	v_and_b32_e32 v13, 7, v13
	v_and_or_b32 v5, v5, s44, v14
	v_cndmask_b32_e32 v13, v52, v13, vcc
	v_lshlrev_b32_e32 v5, 16, v5
	v_lshl_or_b32 v13, v13, 23, v5
.LBB262_1506:                           ;   in Loop: Header=BB262_809 Depth=1
	s_or_b64 exec, exec, s[40:41]
.LBB262_1507:                           ;   in Loop: Header=BB262_809 Depth=1
	s_or_b64 exec, exec, s[28:29]
.LBB262_1508:                           ;   in Loop: Header=BB262_809 Depth=1
	s_or_b64 exec, exec, s[26:27]
	v_or_b32_e32 v5, v27, v28
	s_waitcnt vmcnt(0) lgkmcnt(0)
	v_fma_mixlo_f16 v14, v33, v27, 0 op_sel:[0,1,0] op_sel_hi:[0,1,0]
	v_fma_mixlo_f16 v28, v33, v36, 0 op_sel:[0,1,0] op_sel_hi:[0,1,0]
	v_lshlrev_b32_e32 v27, 16, v14
	v_or_b32_e32 v14, v36, v37
	v_lshlrev_b32_e32 v37, 16, v28
	v_or_b32_e32 v28, v51, v50
	v_or_b32_e32 v49, v13, v49
	v_fma_mixlo_f16 v5, v33, v5, 0 op_sel_hi:[0,1,0]
	v_fma_mixlo_f16 v14, v33, v14, 0 op_sel_hi:[0,1,0]
	v_fma_mixlo_f16 v36, v33, v51, 0 op_sel:[0,1,0] op_sel_hi:[0,1,0]
	v_fma_mixlo_f16 v28, v33, v28, 0 op_sel_hi:[0,1,0]
	v_fma_mixlo_f16 v49, v33, v49, 0 op_sel_hi:[0,1,0]
	v_fma_mixlo_f16 v13, v33, v13, 0 op_sel:[0,1,0] op_sel_hi:[0,1,0]
	v_and_b32_e32 v52, 0xffff, v5
	v_and_b32_e32 v53, 0xffff, v14
	v_lshlrev_b32_e32 v36, 16, v36
	v_and_b32_e32 v50, 0xffff, v28
	v_lshlrev_b32_e32 v13, 16, v13
	v_and_b32_e32 v33, 0xffff, v49
	v_or_b32_e32 v5, v27, v52
	v_or_b32_e32 v14, v37, v53
	v_or_b32_e32 v28, v36, v50
	v_or_b32_e32 v49, v13, v33
	s_and_saveexec_b64 s[26:27], s[6:7]
	s_cbranch_execz .LBB262_1510
; %bb.1509:                             ;   in Loop: Header=BB262_809 Depth=1
	v_cmp_lt_i32_e32 vcc, v46, v30
	v_cndmask_b32_e32 v5, 0, v53, vcc
	v_cmp_lt_i32_e32 vcc, v1, v30
	v_cndmask_b32_e32 v14, 0, v37, vcc
	v_cmp_lt_i32_e32 vcc, v20, v30
	v_or_b32_e32 v14, v5, v14
	v_cndmask_b32_e32 v5, 0, v52, vcc
	v_cmp_lt_i32_e32 vcc, v63, v30
	v_cndmask_b32_e32 v27, 0, v27, vcc
	v_cmp_lt_i32_e32 vcc, v62, v30
	v_or_b32_e32 v5, v5, v27
	;; [unrolled: 5-line block ×3, first 2 shown]
	v_cndmask_b32_e32 v27, 0, v33, vcc
	v_cmp_lt_i32_e32 vcc, v59, v30
	v_cndmask_b32_e32 v13, 0, v13, vcc
	v_or_b32_e32 v49, v27, v13
.LBB262_1510:                           ;   in Loop: Header=BB262_809 Depth=1
	s_or_b64 exec, exec, s[26:27]
	;;#ASMSTART
	v_pk_mul_f16 v13, v58, v14;

	;;#ASMEND
	;;#ASMSTART
	v_pk_mul_f16 v5, v57, v5;

	;;#ASMEND
	;; [unrolled: 4-line block ×4, first 2 shown]
	;;#ASMSTART
	v_pk_add_f16 v5, v13, v5;

	;;#ASMEND
	;;#ASMSTART
	v_pk_add_f16 v5, v5, v14;

	;;#ASMEND
	v_add_co_u32_e32 v11, vcc, 0x1000, v11
	;;#ASMSTART
	v_pk_add_f16 v5, v5, v27;

	;;#ASMEND
	v_lshrrev_b32_e32 v14, 16, v5
	v_addc_co_u32_e32 v12, vcc, 0, v12, vcc
	v_and_b32_e32 v5, 0xffff, v5
	;;#ASMSTART
	v_cvt_f32_f16 v13, v5;
	;;#ASMEND
	;;#ASMSTART
	v_cvt_f32_f16 v14, v14;
	;;#ASMEND
	flat_load_dwordx2 v[11:12], v[11:12] offset:3072
	s_nop 0
	buffer_load_dword v27, off, s[0:3], s32 offset:64 ; 4-byte Folded Reload
	buffer_load_dword v28, off, s[0:3], s32 offset:68 ; 4-byte Folded Reload
	v_mov_b32_e32 v36, 0
	v_mov_b32_e32 v37, 0
	s_waitcnt vmcnt(0) lgkmcnt(0)
	v_cmp_ne_u16_sdwa s[28:29], v11, v6 src0_sel:BYTE_0 src1_sel:DWORD
	flat_load_dword v33, v[27:28]
	s_and_saveexec_b64 s[26:27], s[28:29]
	s_cbranch_execz .LBB262_1516
; %bb.1511:                             ;   in Loop: Header=BB262_809 Depth=1
	v_cmp_ne_u16_sdwa s[40:41], v11, s42 src0_sel:BYTE_0 src1_sel:DWORD
	v_mov_b32_e32 v37, 0x8000
	s_and_saveexec_b64 s[28:29], s[40:41]
	s_cbranch_execz .LBB262_1515
; %bb.1512:                             ;   in Loop: Header=BB262_809 Depth=1
	v_and_b32_e32 v5, 0x7f, v11
	v_cmp_ne_u32_e32 vcc, s43, v5
	v_mov_b32_e32 v37, 0x7c01
	s_and_saveexec_b64 s[40:41], vcc
	s_cbranch_execz .LBB262_1514
; %bb.1513:                             ;   in Loop: Header=BB262_809 Depth=1
	v_and_b32_e32 v37, 7, v11
	v_lshrrev_b32_e32 v49, 3, v5
	v_cmp_gt_u32_e32 vcc, 8, v5
	v_ffbh_u32_e32 v5, v37
	v_min_u32_e32 v5, 32, v5
	v_subrev_u32_e32 v27, 28, v5
	v_sub_u32_e32 v5, 29, v5
	v_lshlrev_b64 v[27:28], v27, v[11:12]
	v_cndmask_b32_e32 v5, v49, v5, vcc
	v_lshl_add_u32 v5, v5, 10, v45
	v_lshlrev_b32_e32 v28, 8, v11
	v_and_b32_e32 v27, 7, v27
	v_and_b32_e32 v5, 0xfc00, v5
	v_cndmask_b32_e32 v27, v37, v27, vcc
	v_and_or_b32 v5, v28, s44, v5
	v_lshl_or_b32 v37, v27, 7, v5
.LBB262_1514:                           ;   in Loop: Header=BB262_809 Depth=1
	s_or_b64 exec, exec, s[40:41]
.LBB262_1515:                           ;   in Loop: Header=BB262_809 Depth=1
	s_or_b64 exec, exec, s[28:29]
.LBB262_1516:                           ;   in Loop: Header=BB262_809 Depth=1
	s_or_b64 exec, exec, s[26:27]
	v_lshrrev_b16_e32 v5, 8, v11
	v_cmp_ne_u16_e32 vcc, 0, v5
	s_and_saveexec_b64 s[26:27], vcc
	s_cbranch_execz .LBB262_1522
; %bb.1517:                             ;   in Loop: Header=BB262_809 Depth=1
	v_cmp_ne_u16_e32 vcc, s42, v5
	v_bfrev_b32_e32 v36, 1
	s_and_saveexec_b64 s[28:29], vcc
	s_cbranch_execz .LBB262_1521
; %bb.1518:                             ;   in Loop: Header=BB262_809 Depth=1
	v_and_b32_e32 v27, 0x7f, v5
	v_cmp_ne_u32_e32 vcc, s43, v27
	v_mov_b32_e32 v36, 0x7c010000
	s_and_saveexec_b64 s[40:41], vcc
	s_cbranch_execz .LBB262_1520
; %bb.1519:                             ;   in Loop: Header=BB262_809 Depth=1
	v_and_b32_e32 v36, 7, v5
	v_lshrrev_b32_e32 v49, 3, v27
	v_cmp_gt_u32_e32 vcc, 8, v27
	v_ffbh_u32_e32 v27, v36
	v_min_u32_e32 v50, 32, v27
	v_subrev_u32_e32 v27, 28, v50
	v_lshlrev_b64 v[27:28], v27, v[5:6]
	v_sub_u32_e32 v28, 29, v50
	v_cndmask_b32_e32 v28, v49, v28, vcc
	v_lshlrev_b32_e32 v5, 8, v5
	v_lshl_add_u32 v28, v28, 10, v45
	v_and_b32_e32 v27, 7, v27
	v_and_or_b32 v5, v5, s44, v28
	v_cndmask_b32_e32 v27, v36, v27, vcc
	v_lshlrev_b32_e32 v5, 16, v5
	v_lshl_or_b32 v36, v27, 23, v5
.LBB262_1520:                           ;   in Loop: Header=BB262_809 Depth=1
	s_or_b64 exec, exec, s[40:41]
.LBB262_1521:                           ;   in Loop: Header=BB262_809 Depth=1
	s_or_b64 exec, exec, s[28:29]
.LBB262_1522:                           ;   in Loop: Header=BB262_809 Depth=1
	s_or_b64 exec, exec, s[26:27]
	v_lshrrev_b32_e32 v5, 16, v11
	v_cmp_ne_u16_sdwa s[28:29], v5, v6 src0_sel:BYTE_0 src1_sel:DWORD
	v_mov_b32_e32 v27, 0
	v_mov_b32_e32 v28, 0
	s_and_saveexec_b64 s[26:27], s[28:29]
	s_cbranch_execz .LBB262_1528
; %bb.1523:                             ;   in Loop: Header=BB262_809 Depth=1
	v_cmp_ne_u16_sdwa s[40:41], v5, s42 src0_sel:BYTE_0 src1_sel:DWORD
	v_mov_b32_e32 v28, 0x8000
	s_and_saveexec_b64 s[28:29], s[40:41]
	s_cbranch_execz .LBB262_1527
; %bb.1524:                             ;   in Loop: Header=BB262_809 Depth=1
	v_bfe_u32 v49, v11, 16, 7
	v_cmp_ne_u32_e32 vcc, s43, v49
	v_mov_b32_e32 v28, 0x7c01
	s_and_saveexec_b64 s[40:41], vcc
	s_cbranch_execz .LBB262_1526
; %bb.1525:                             ;   in Loop: Header=BB262_809 Depth=1
	v_and_b32_e32 v28, 7, v5
	v_lshrrev_b32_e32 v51, 3, v49
	v_cmp_gt_u32_e32 vcc, 8, v49
	v_ffbh_u32_e32 v49, v28
	v_min_u32_e32 v52, 32, v49
	v_subrev_u32_e32 v49, 28, v52
	v_lshlrev_b64 v[49:50], v49, v[5:6]
	v_sub_u32_e32 v50, 29, v52
	v_cndmask_b32_e32 v50, v51, v50, vcc
	v_lshl_add_u32 v50, v50, 10, v45
	v_and_b32_e32 v49, 7, v49
	v_lshlrev_b32_e32 v5, 8, v5
	v_cndmask_b32_e32 v28, v28, v49, vcc
	v_and_b32_e32 v49, 0xfc00, v50
	v_and_or_b32 v5, v5, s44, v49
	v_lshl_or_b32 v28, v28, 7, v5
.LBB262_1526:                           ;   in Loop: Header=BB262_809 Depth=1
	s_or_b64 exec, exec, s[40:41]
.LBB262_1527:                           ;   in Loop: Header=BB262_809 Depth=1
	s_or_b64 exec, exec, s[28:29]
.LBB262_1528:                           ;   in Loop: Header=BB262_809 Depth=1
	s_or_b64 exec, exec, s[26:27]
	v_cmp_lt_u32_e32 vcc, s11, v11
	s_and_saveexec_b64 s[26:27], vcc
	s_cbranch_execz .LBB262_1534
; %bb.1529:                             ;   in Loop: Header=BB262_809 Depth=1
	v_lshrrev_b32_e32 v5, 24, v11
	v_cmp_ne_u32_e32 vcc, s42, v5
	v_bfrev_b32_e32 v27, 1
	s_and_saveexec_b64 s[28:29], vcc
	s_cbranch_execz .LBB262_1533
; %bb.1530:                             ;   in Loop: Header=BB262_809 Depth=1
	v_and_b32_e32 v49, 0x7f, v5
	v_cmp_ne_u32_e32 vcc, s43, v49
	v_mov_b32_e32 v27, 0x7c010000
	s_and_saveexec_b64 s[40:41], vcc
	s_cbranch_execz .LBB262_1532
; %bb.1531:                             ;   in Loop: Header=BB262_809 Depth=1
	v_and_b32_e32 v27, 7, v5
	v_lshrrev_b32_e32 v51, 3, v49
	v_cmp_gt_u32_e32 vcc, 8, v49
	v_ffbh_u32_e32 v49, v27
	v_min_u32_e32 v52, 32, v49
	v_subrev_u32_e32 v49, 28, v52
	v_lshlrev_b64 v[49:50], v49, v[5:6]
	v_sub_u32_e32 v50, 29, v52
	v_cndmask_b32_e32 v50, v51, v50, vcc
	v_lshlrev_b32_e32 v5, 8, v5
	v_lshl_add_u32 v50, v50, 10, v45
	v_and_b32_e32 v49, 7, v49
	v_and_or_b32 v5, v5, s44, v50
	v_cndmask_b32_e32 v27, v27, v49, vcc
	v_lshlrev_b32_e32 v5, 16, v5
	v_lshl_or_b32 v27, v27, 23, v5
.LBB262_1532:                           ;   in Loop: Header=BB262_809 Depth=1
	s_or_b64 exec, exec, s[40:41]
.LBB262_1533:                           ;   in Loop: Header=BB262_809 Depth=1
	s_or_b64 exec, exec, s[28:29]
.LBB262_1534:                           ;   in Loop: Header=BB262_809 Depth=1
	s_or_b64 exec, exec, s[26:27]
	v_mov_b32_e32 v5, v12
	v_cmp_ne_u16_sdwa s[28:29], v12, v6 src0_sel:BYTE_0 src1_sel:DWORD
	v_mov_b32_e32 v49, 0
	v_mov_b32_e32 v50, 0
	s_and_saveexec_b64 s[26:27], s[28:29]
	s_cbranch_execz .LBB262_1540
; %bb.1535:                             ;   in Loop: Header=BB262_809 Depth=1
	v_cmp_ne_u16_sdwa s[40:41], v12, s42 src0_sel:BYTE_0 src1_sel:DWORD
	v_mov_b32_e32 v50, 0x8000
	s_and_saveexec_b64 s[28:29], s[40:41]
	s_cbranch_execz .LBB262_1539
; %bb.1536:                             ;   in Loop: Header=BB262_809 Depth=1
	v_and_b32_e32 v51, 0x7f, v12
	v_cmp_ne_u32_e32 vcc, s43, v51
	v_mov_b32_e32 v50, 0x7c01
	s_and_saveexec_b64 s[40:41], vcc
	s_cbranch_execz .LBB262_1538
; %bb.1537:                             ;   in Loop: Header=BB262_809 Depth=1
	v_and_b32_e32 v52, 7, v12
	v_ffbh_u32_e32 v50, v52
	v_min_u32_e32 v54, 32, v50
	v_subrev_u32_e32 v50, 28, v54
	v_lshrrev_b32_e32 v53, 3, v51
	v_cmp_gt_u32_e32 vcc, 8, v51
	v_lshlrev_b64 v[50:51], v50, v[5:6]
	v_sub_u32_e32 v51, 29, v54
	v_cndmask_b32_e32 v51, v53, v51, vcc
	v_lshl_add_u32 v51, v51, 10, v45
	v_lshlrev_b32_e32 v53, 8, v12
	v_and_b32_e32 v50, 7, v50
	v_and_b32_e32 v51, 0xfc00, v51
	v_cndmask_b32_e32 v50, v52, v50, vcc
	v_and_or_b32 v51, v53, s44, v51
	v_lshl_or_b32 v50, v50, 7, v51
.LBB262_1538:                           ;   in Loop: Header=BB262_809 Depth=1
	s_or_b64 exec, exec, s[40:41]
.LBB262_1539:                           ;   in Loop: Header=BB262_809 Depth=1
	s_or_b64 exec, exec, s[28:29]
.LBB262_1540:                           ;   in Loop: Header=BB262_809 Depth=1
	s_or_b64 exec, exec, s[26:27]
	v_lshrrev_b16_e32 v5, 8, v5
	v_cmp_ne_u16_e32 vcc, 0, v5
	v_mov_b32_e32 v51, 0
	s_and_saveexec_b64 s[26:27], vcc
	s_cbranch_execz .LBB262_1546
; %bb.1541:                             ;   in Loop: Header=BB262_809 Depth=1
	v_cmp_ne_u16_e32 vcc, s42, v5
	v_bfrev_b32_e32 v51, 1
	s_and_saveexec_b64 s[28:29], vcc
	s_cbranch_execz .LBB262_1545
; %bb.1542:                             ;   in Loop: Header=BB262_809 Depth=1
	v_and_b32_e32 v52, 0x7f, v5
	v_cmp_ne_u32_e32 vcc, s43, v52
	v_mov_b32_e32 v51, 0x7c010000
	s_and_saveexec_b64 s[40:41], vcc
	s_cbranch_execz .LBB262_1544
; %bb.1543:                             ;   in Loop: Header=BB262_809 Depth=1
	v_and_b32_e32 v53, 7, v5
	v_ffbh_u32_e32 v51, v53
	v_mov_b32_e32 v16, v15
	v_mov_b32_e32 v15, v0
	;; [unrolled: 1-line block ×17, first 2 shown]
	v_min_u32_e32 v55, 32, v51
	v_subrev_u32_e32 v51, 28, v55
	v_lshrrev_b32_e32 v54, 3, v52
	v_cmp_gt_u32_e32 vcc, 8, v52
	v_lshlrev_b64 v[51:52], v51, v[5:6]
	v_sub_u32_e32 v52, 29, v55
	v_cndmask_b32_e32 v52, v54, v52, vcc
	v_lshlrev_b32_e32 v5, 8, v5
	v_lshl_add_u32 v52, v52, 10, v45
	v_and_b32_e32 v51, 7, v51
	v_and_or_b32 v5, v5, s44, v52
	v_cndmask_b32_e32 v51, v53, v51, vcc
	v_lshlrev_b32_e32 v5, 16, v5
	v_mov_b32_e32 v55, v40
	v_mov_b32_e32 v40, v42
	;; [unrolled: 1-line block ×17, first 2 shown]
	v_lshl_or_b32 v51, v51, 23, v5
.LBB262_1544:                           ;   in Loop: Header=BB262_809 Depth=1
	s_or_b64 exec, exec, s[40:41]
.LBB262_1545:                           ;   in Loop: Header=BB262_809 Depth=1
	s_or_b64 exec, exec, s[28:29]
.LBB262_1546:                           ;   in Loop: Header=BB262_809 Depth=1
	s_or_b64 exec, exec, s[26:27]
	v_lshrrev_b32_e32 v5, 16, v12
	v_cmp_ne_u16_sdwa s[28:29], v5, v6 src0_sel:BYTE_0 src1_sel:DWORD
	s_and_saveexec_b64 s[26:27], s[28:29]
	s_cbranch_execz .LBB262_1552
; %bb.1547:                             ;   in Loop: Header=BB262_809 Depth=1
	v_cmp_ne_u16_sdwa s[40:41], v5, s42 src0_sel:BYTE_0 src1_sel:DWORD
	v_mov_b32_e32 v49, 0x8000
	s_and_saveexec_b64 s[28:29], s[40:41]
	s_cbranch_execz .LBB262_1551
; %bb.1548:                             ;   in Loop: Header=BB262_809 Depth=1
	v_bfe_u32 v52, v12, 16, 7
	v_cmp_ne_u32_e32 vcc, s43, v52
	v_mov_b32_e32 v49, 0x7c01
	s_and_saveexec_b64 s[40:41], vcc
	s_cbranch_execz .LBB262_1550
; %bb.1549:                             ;   in Loop: Header=BB262_809 Depth=1
	v_and_b32_e32 v49, 7, v5
	v_lshrrev_b32_e32 v54, 3, v52
	v_cmp_gt_u32_e32 vcc, 8, v52
	v_ffbh_u32_e32 v52, v49
	v_mov_b32_e32 v16, v15
	v_mov_b32_e32 v15, v0
	;; [unrolled: 1-line block ×17, first 2 shown]
	v_min_u32_e32 v55, 32, v52
	v_subrev_u32_e32 v52, 28, v55
	v_lshlrev_b64 v[52:53], v52, v[5:6]
	v_sub_u32_e32 v53, 29, v55
	v_cndmask_b32_e32 v53, v54, v53, vcc
	v_lshl_add_u32 v53, v53, 10, v45
	v_and_b32_e32 v52, 7, v52
	v_lshlrev_b32_e32 v5, 8, v5
	v_cndmask_b32_e32 v49, v49, v52, vcc
	v_and_b32_e32 v52, 0xfc00, v53
	v_and_or_b32 v5, v5, s44, v52
	v_mov_b32_e32 v55, v40
	v_mov_b32_e32 v40, v42
	v_mov_b32_e32 v42, v43
	v_mov_b32_e32 v43, v18
	v_mov_b32_e32 v18, v38
	v_mov_b32_e32 v38, v22
	v_mov_b32_e32 v22, v3
	v_mov_b32_e32 v3, v4
	v_mov_b32_e32 v4, v2
	v_mov_b32_e32 v2, v19
	v_mov_b32_e32 v19, v32
	v_mov_b32_e32 v32, v35
	v_mov_b32_e32 v35, v34
	v_mov_b32_e32 v34, v39
	v_mov_b32_e32 v39, v0
	v_mov_b32_e32 v0, v15
	v_mov_b32_e32 v15, v16
	v_lshl_or_b32 v49, v49, 7, v5
.LBB262_1550:                           ;   in Loop: Header=BB262_809 Depth=1
	s_or_b64 exec, exec, s[40:41]
.LBB262_1551:                           ;   in Loop: Header=BB262_809 Depth=1
	s_or_b64 exec, exec, s[28:29]
.LBB262_1552:                           ;   in Loop: Header=BB262_809 Depth=1
	s_or_b64 exec, exec, s[26:27]
	v_cmp_lt_u64_e32 vcc, s[10:11], v[11:12]
	v_mov_b32_e32 v11, 0
	s_and_saveexec_b64 s[26:27], vcc
	s_cbranch_execz .LBB262_1558
; %bb.1553:                             ;   in Loop: Header=BB262_809 Depth=1
	v_lshrrev_b32_e32 v5, 24, v12
	v_cmp_ne_u32_e32 vcc, s42, v5
	v_bfrev_b32_e32 v11, 1
	s_and_saveexec_b64 s[28:29], vcc
	s_cbranch_execz .LBB262_1557
; %bb.1554:                             ;   in Loop: Header=BB262_809 Depth=1
	v_and_b32_e32 v12, 0x7f, v5
	v_cmp_ne_u32_e32 vcc, s43, v12
	v_mov_b32_e32 v11, 0x7c010000
	s_and_saveexec_b64 s[40:41], vcc
	s_cbranch_execz .LBB262_1556
; %bb.1555:                             ;   in Loop: Header=BB262_809 Depth=1
	v_and_b32_e32 v52, 7, v5
	v_ffbh_u32_e32 v11, v52
	v_min_u32_e32 v54, 32, v11
	v_subrev_u32_e32 v11, 28, v54
	v_lshrrev_b32_e32 v53, 3, v12
	v_cmp_gt_u32_e32 vcc, 8, v12
	v_lshlrev_b64 v[11:12], v11, v[5:6]
	v_sub_u32_e32 v12, 29, v54
	v_cndmask_b32_e32 v12, v53, v12, vcc
	v_lshlrev_b32_e32 v5, 8, v5
	v_lshl_add_u32 v12, v12, 10, v45
	v_and_b32_e32 v11, 7, v11
	v_and_or_b32 v5, v5, s44, v12
	v_cndmask_b32_e32 v11, v52, v11, vcc
	v_lshlrev_b32_e32 v5, 16, v5
	v_lshl_or_b32 v11, v11, 23, v5
.LBB262_1556:                           ;   in Loop: Header=BB262_809 Depth=1
	s_or_b64 exec, exec, s[40:41]
.LBB262_1557:                           ;   in Loop: Header=BB262_809 Depth=1
	s_or_b64 exec, exec, s[28:29]
.LBB262_1558:                           ;   in Loop: Header=BB262_809 Depth=1
	s_or_b64 exec, exec, s[26:27]
	v_or_b32_e32 v5, v27, v28
	s_waitcnt vmcnt(0) lgkmcnt(0)
	v_fma_mixlo_f16 v12, v33, v27, 0 op_sel:[0,1,0] op_sel_hi:[0,1,0]
	v_fma_mixlo_f16 v28, v33, v36, 0 op_sel:[0,1,0] op_sel_hi:[0,1,0]
	v_lshlrev_b32_e32 v27, 16, v12
	v_or_b32_e32 v12, v36, v37
	v_lshlrev_b32_e32 v37, 16, v28
	v_or_b32_e32 v28, v51, v50
	v_or_b32_e32 v49, v11, v49
	v_fma_mixlo_f16 v5, v33, v5, 0 op_sel_hi:[0,1,0]
	v_fma_mixlo_f16 v12, v33, v12, 0 op_sel_hi:[0,1,0]
	v_fma_mixlo_f16 v36, v33, v51, 0 op_sel:[0,1,0] op_sel_hi:[0,1,0]
	v_fma_mixlo_f16 v28, v33, v28, 0 op_sel_hi:[0,1,0]
	v_fma_mixlo_f16 v49, v33, v49, 0 op_sel_hi:[0,1,0]
	v_fma_mixlo_f16 v11, v33, v11, 0 op_sel:[0,1,0] op_sel_hi:[0,1,0]
	v_and_b32_e32 v52, 0xffff, v5
	v_and_b32_e32 v53, 0xffff, v12
	v_lshlrev_b32_e32 v36, 16, v36
	v_and_b32_e32 v50, 0xffff, v28
	v_lshlrev_b32_e32 v11, 16, v11
	v_and_b32_e32 v33, 0xffff, v49
	v_or_b32_e32 v5, v27, v52
	v_or_b32_e32 v12, v37, v53
	v_or_b32_e32 v28, v36, v50
	v_or_b32_e32 v49, v11, v33
	s_and_saveexec_b64 s[26:27], s[6:7]
	s_cbranch_execz .LBB262_1560
; %bb.1559:                             ;   in Loop: Header=BB262_809 Depth=1
	v_cmp_lt_i32_e32 vcc, v46, v30
	v_cndmask_b32_e32 v5, 0, v53, vcc
	v_cmp_lt_i32_e32 vcc, v1, v30
	v_cndmask_b32_e32 v12, 0, v37, vcc
	v_cmp_lt_i32_e32 vcc, v20, v30
	v_or_b32_e32 v12, v5, v12
	v_cndmask_b32_e32 v5, 0, v52, vcc
	v_cmp_lt_i32_e32 vcc, v63, v30
	v_cndmask_b32_e32 v27, 0, v27, vcc
	v_cmp_lt_i32_e32 vcc, v62, v30
	v_or_b32_e32 v5, v5, v27
	;; [unrolled: 5-line block ×3, first 2 shown]
	v_cndmask_b32_e32 v27, 0, v33, vcc
	v_cmp_lt_i32_e32 vcc, v59, v30
	v_cndmask_b32_e32 v11, 0, v11, vcc
	v_or_b32_e32 v49, v27, v11
.LBB262_1560:                           ;   in Loop: Header=BB262_809 Depth=1
	s_or_b64 exec, exec, s[26:27]
	;;#ASMSTART
	v_pk_mul_f16 v11, v58, v12;

	;;#ASMEND
	;;#ASMSTART
	v_pk_mul_f16 v5, v57, v5;

	;;#ASMEND
	;;#ASMSTART
	v_pk_mul_f16 v12, v56, v28;

	;;#ASMEND
	;;#ASMSTART
	v_pk_mul_f16 v27, v47, v49;

	;;#ASMEND
	;;#ASMSTART
	v_pk_add_f16 v5, v11, v5;

	;;#ASMEND
	;;#ASMSTART
	v_pk_add_f16 v5, v5, v12;

	;;#ASMEND
	;; [unrolled: 4-line block ×3, first 2 shown]
	v_lshrrev_b32_e32 v12, 16, v5
	v_and_b32_e32 v5, 0xffff, v5
	;;#ASMSTART
	v_cvt_f32_f16 v11, v5;
	;;#ASMEND
	;;#ASMSTART
	v_cvt_f32_f16 v12, v12;
	;;#ASMEND
	buffer_load_dword v5, off, s[0:3], s32 offset:192 ; 4-byte Folded Reload
	v_mov_b32_e32 v36, 0
	v_mov_b32_e32 v37, 0
	s_waitcnt vmcnt(0)
	v_add_co_u32_e32 v9, vcc, v9, v5
	v_addc_co_u32_e32 v10, vcc, 0, v10, vcc
	flat_load_dwordx2 v[9:10], v[9:10]
	s_nop 0
	buffer_load_dword v27, off, s[0:3], s32 offset:64 ; 4-byte Folded Reload
	buffer_load_dword v28, off, s[0:3], s32 offset:68 ; 4-byte Folded Reload
	s_waitcnt vmcnt(0) lgkmcnt(0)
	v_cmp_ne_u16_sdwa s[28:29], v9, v6 src0_sel:BYTE_0 src1_sel:DWORD
	flat_load_dword v33, v[27:28]
	s_and_saveexec_b64 s[26:27], s[28:29]
	s_cbranch_execz .LBB262_1566
; %bb.1561:                             ;   in Loop: Header=BB262_809 Depth=1
	v_cmp_ne_u16_sdwa s[40:41], v9, s42 src0_sel:BYTE_0 src1_sel:DWORD
	v_mov_b32_e32 v37, 0x8000
	s_and_saveexec_b64 s[28:29], s[40:41]
	s_cbranch_execz .LBB262_1565
; %bb.1562:                             ;   in Loop: Header=BB262_809 Depth=1
	v_and_b32_e32 v5, 0x7f, v9
	v_cmp_ne_u32_e32 vcc, s43, v5
	v_mov_b32_e32 v37, 0x7c01
	s_and_saveexec_b64 s[40:41], vcc
	s_cbranch_execz .LBB262_1564
; %bb.1563:                             ;   in Loop: Header=BB262_809 Depth=1
	v_and_b32_e32 v37, 7, v9
	v_lshrrev_b32_e32 v49, 3, v5
	v_cmp_gt_u32_e32 vcc, 8, v5
	v_ffbh_u32_e32 v5, v37
	v_min_u32_e32 v5, 32, v5
	v_subrev_u32_e32 v27, 28, v5
	v_sub_u32_e32 v5, 29, v5
	v_lshlrev_b64 v[27:28], v27, v[9:10]
	v_cndmask_b32_e32 v5, v49, v5, vcc
	v_lshl_add_u32 v5, v5, 10, v45
	v_lshlrev_b32_e32 v28, 8, v9
	v_and_b32_e32 v27, 7, v27
	v_and_b32_e32 v5, 0xfc00, v5
	v_cndmask_b32_e32 v27, v37, v27, vcc
	v_and_or_b32 v5, v28, s44, v5
	v_lshl_or_b32 v37, v27, 7, v5
.LBB262_1564:                           ;   in Loop: Header=BB262_809 Depth=1
	s_or_b64 exec, exec, s[40:41]
.LBB262_1565:                           ;   in Loop: Header=BB262_809 Depth=1
	s_or_b64 exec, exec, s[28:29]
.LBB262_1566:                           ;   in Loop: Header=BB262_809 Depth=1
	s_or_b64 exec, exec, s[26:27]
	v_lshrrev_b16_e32 v5, 8, v9
	v_cmp_ne_u16_e32 vcc, 0, v5
	s_and_saveexec_b64 s[26:27], vcc
	s_cbranch_execz .LBB262_1572
; %bb.1567:                             ;   in Loop: Header=BB262_809 Depth=1
	v_cmp_ne_u16_e32 vcc, s42, v5
	v_bfrev_b32_e32 v36, 1
	s_and_saveexec_b64 s[28:29], vcc
	s_cbranch_execz .LBB262_1571
; %bb.1568:                             ;   in Loop: Header=BB262_809 Depth=1
	v_and_b32_e32 v27, 0x7f, v5
	v_cmp_ne_u32_e32 vcc, s43, v27
	v_mov_b32_e32 v36, 0x7c010000
	s_and_saveexec_b64 s[40:41], vcc
	s_cbranch_execz .LBB262_1570
; %bb.1569:                             ;   in Loop: Header=BB262_809 Depth=1
	v_and_b32_e32 v36, 7, v5
	v_lshrrev_b32_e32 v49, 3, v27
	v_cmp_gt_u32_e32 vcc, 8, v27
	v_ffbh_u32_e32 v27, v36
	v_min_u32_e32 v50, 32, v27
	v_subrev_u32_e32 v27, 28, v50
	v_lshlrev_b64 v[27:28], v27, v[5:6]
	v_sub_u32_e32 v28, 29, v50
	v_cndmask_b32_e32 v28, v49, v28, vcc
	v_lshlrev_b32_e32 v5, 8, v5
	v_lshl_add_u32 v28, v28, 10, v45
	v_and_b32_e32 v27, 7, v27
	v_and_or_b32 v5, v5, s44, v28
	v_cndmask_b32_e32 v27, v36, v27, vcc
	v_lshlrev_b32_e32 v5, 16, v5
	v_lshl_or_b32 v36, v27, 23, v5
.LBB262_1570:                           ;   in Loop: Header=BB262_809 Depth=1
	s_or_b64 exec, exec, s[40:41]
.LBB262_1571:                           ;   in Loop: Header=BB262_809 Depth=1
	s_or_b64 exec, exec, s[28:29]
.LBB262_1572:                           ;   in Loop: Header=BB262_809 Depth=1
	s_or_b64 exec, exec, s[26:27]
	v_lshrrev_b32_e32 v5, 16, v9
	v_cmp_ne_u16_sdwa s[28:29], v5, v6 src0_sel:BYTE_0 src1_sel:DWORD
	v_mov_b32_e32 v27, 0
	v_mov_b32_e32 v28, 0
	s_and_saveexec_b64 s[26:27], s[28:29]
	s_cbranch_execz .LBB262_1578
; %bb.1573:                             ;   in Loop: Header=BB262_809 Depth=1
	v_cmp_ne_u16_sdwa s[40:41], v5, s42 src0_sel:BYTE_0 src1_sel:DWORD
	v_mov_b32_e32 v28, 0x8000
	s_and_saveexec_b64 s[28:29], s[40:41]
	s_cbranch_execz .LBB262_1577
; %bb.1574:                             ;   in Loop: Header=BB262_809 Depth=1
	v_bfe_u32 v49, v9, 16, 7
	v_cmp_ne_u32_e32 vcc, s43, v49
	v_mov_b32_e32 v28, 0x7c01
	s_and_saveexec_b64 s[40:41], vcc
	s_cbranch_execz .LBB262_1576
; %bb.1575:                             ;   in Loop: Header=BB262_809 Depth=1
	v_and_b32_e32 v28, 7, v5
	v_lshrrev_b32_e32 v51, 3, v49
	v_cmp_gt_u32_e32 vcc, 8, v49
	v_ffbh_u32_e32 v49, v28
	v_min_u32_e32 v52, 32, v49
	v_subrev_u32_e32 v49, 28, v52
	v_lshlrev_b64 v[49:50], v49, v[5:6]
	v_sub_u32_e32 v50, 29, v52
	v_cndmask_b32_e32 v50, v51, v50, vcc
	v_lshl_add_u32 v50, v50, 10, v45
	v_and_b32_e32 v49, 7, v49
	v_lshlrev_b32_e32 v5, 8, v5
	v_cndmask_b32_e32 v28, v28, v49, vcc
	v_and_b32_e32 v49, 0xfc00, v50
	v_and_or_b32 v5, v5, s44, v49
	v_lshl_or_b32 v28, v28, 7, v5
.LBB262_1576:                           ;   in Loop: Header=BB262_809 Depth=1
	s_or_b64 exec, exec, s[40:41]
.LBB262_1577:                           ;   in Loop: Header=BB262_809 Depth=1
	s_or_b64 exec, exec, s[28:29]
.LBB262_1578:                           ;   in Loop: Header=BB262_809 Depth=1
	s_or_b64 exec, exec, s[26:27]
	v_cmp_lt_u32_e32 vcc, s11, v9
	s_and_saveexec_b64 s[26:27], vcc
	s_cbranch_execz .LBB262_1584
; %bb.1579:                             ;   in Loop: Header=BB262_809 Depth=1
	v_lshrrev_b32_e32 v5, 24, v9
	v_cmp_ne_u32_e32 vcc, s42, v5
	v_bfrev_b32_e32 v27, 1
	s_and_saveexec_b64 s[28:29], vcc
	s_cbranch_execz .LBB262_1583
; %bb.1580:                             ;   in Loop: Header=BB262_809 Depth=1
	v_and_b32_e32 v49, 0x7f, v5
	v_cmp_ne_u32_e32 vcc, s43, v49
	v_mov_b32_e32 v27, 0x7c010000
	s_and_saveexec_b64 s[40:41], vcc
	s_cbranch_execz .LBB262_1582
; %bb.1581:                             ;   in Loop: Header=BB262_809 Depth=1
	v_and_b32_e32 v27, 7, v5
	v_lshrrev_b32_e32 v51, 3, v49
	v_cmp_gt_u32_e32 vcc, 8, v49
	v_ffbh_u32_e32 v49, v27
	v_min_u32_e32 v52, 32, v49
	v_subrev_u32_e32 v49, 28, v52
	v_lshlrev_b64 v[49:50], v49, v[5:6]
	v_sub_u32_e32 v50, 29, v52
	v_cndmask_b32_e32 v50, v51, v50, vcc
	v_lshlrev_b32_e32 v5, 8, v5
	v_lshl_add_u32 v50, v50, 10, v45
	v_and_b32_e32 v49, 7, v49
	v_and_or_b32 v5, v5, s44, v50
	v_cndmask_b32_e32 v27, v27, v49, vcc
	v_lshlrev_b32_e32 v5, 16, v5
	v_lshl_or_b32 v27, v27, 23, v5
.LBB262_1582:                           ;   in Loop: Header=BB262_809 Depth=1
	s_or_b64 exec, exec, s[40:41]
.LBB262_1583:                           ;   in Loop: Header=BB262_809 Depth=1
	s_or_b64 exec, exec, s[28:29]
.LBB262_1584:                           ;   in Loop: Header=BB262_809 Depth=1
	s_or_b64 exec, exec, s[26:27]
	v_mov_b32_e32 v5, v10
	v_cmp_ne_u16_sdwa s[28:29], v10, v6 src0_sel:BYTE_0 src1_sel:DWORD
	v_mov_b32_e32 v49, 0
	v_mov_b32_e32 v50, 0
	s_and_saveexec_b64 s[26:27], s[28:29]
	s_cbranch_execz .LBB262_1590
; %bb.1585:                             ;   in Loop: Header=BB262_809 Depth=1
	v_cmp_ne_u16_sdwa s[40:41], v10, s42 src0_sel:BYTE_0 src1_sel:DWORD
	v_mov_b32_e32 v50, 0x8000
	s_and_saveexec_b64 s[28:29], s[40:41]
	s_cbranch_execz .LBB262_1589
; %bb.1586:                             ;   in Loop: Header=BB262_809 Depth=1
	v_and_b32_e32 v51, 0x7f, v10
	v_cmp_ne_u32_e32 vcc, s43, v51
	v_mov_b32_e32 v50, 0x7c01
	s_and_saveexec_b64 s[40:41], vcc
	s_cbranch_execz .LBB262_1588
; %bb.1587:                             ;   in Loop: Header=BB262_809 Depth=1
	v_and_b32_e32 v52, 7, v10
	v_ffbh_u32_e32 v50, v52
	v_min_u32_e32 v54, 32, v50
	v_subrev_u32_e32 v50, 28, v54
	v_lshrrev_b32_e32 v53, 3, v51
	v_cmp_gt_u32_e32 vcc, 8, v51
	v_lshlrev_b64 v[50:51], v50, v[5:6]
	v_sub_u32_e32 v51, 29, v54
	v_cndmask_b32_e32 v51, v53, v51, vcc
	v_lshl_add_u32 v51, v51, 10, v45
	v_lshlrev_b32_e32 v53, 8, v10
	v_and_b32_e32 v50, 7, v50
	v_and_b32_e32 v51, 0xfc00, v51
	v_cndmask_b32_e32 v50, v52, v50, vcc
	v_and_or_b32 v51, v53, s44, v51
	v_lshl_or_b32 v50, v50, 7, v51
.LBB262_1588:                           ;   in Loop: Header=BB262_809 Depth=1
	s_or_b64 exec, exec, s[40:41]
.LBB262_1589:                           ;   in Loop: Header=BB262_809 Depth=1
	s_or_b64 exec, exec, s[28:29]
.LBB262_1590:                           ;   in Loop: Header=BB262_809 Depth=1
	s_or_b64 exec, exec, s[26:27]
	v_lshrrev_b16_e32 v5, 8, v5
	v_cmp_ne_u16_e32 vcc, 0, v5
	v_mov_b32_e32 v51, 0
	s_and_saveexec_b64 s[26:27], vcc
	s_cbranch_execz .LBB262_1596
; %bb.1591:                             ;   in Loop: Header=BB262_809 Depth=1
	v_cmp_ne_u16_e32 vcc, s42, v5
	v_bfrev_b32_e32 v51, 1
	s_and_saveexec_b64 s[28:29], vcc
	s_cbranch_execz .LBB262_1595
; %bb.1592:                             ;   in Loop: Header=BB262_809 Depth=1
	v_and_b32_e32 v52, 0x7f, v5
	v_cmp_ne_u32_e32 vcc, s43, v52
	v_mov_b32_e32 v51, 0x7c010000
	s_and_saveexec_b64 s[40:41], vcc
	s_cbranch_execz .LBB262_1594
; %bb.1593:                             ;   in Loop: Header=BB262_809 Depth=1
	v_and_b32_e32 v53, 7, v5
	v_ffbh_u32_e32 v51, v53
	v_mov_b32_e32 v16, v15
	v_mov_b32_e32 v15, v0
	;; [unrolled: 1-line block ×17, first 2 shown]
	v_min_u32_e32 v55, 32, v51
	v_subrev_u32_e32 v51, 28, v55
	v_lshrrev_b32_e32 v54, 3, v52
	v_cmp_gt_u32_e32 vcc, 8, v52
	v_lshlrev_b64 v[51:52], v51, v[5:6]
	v_sub_u32_e32 v52, 29, v55
	v_cndmask_b32_e32 v52, v54, v52, vcc
	v_lshlrev_b32_e32 v5, 8, v5
	v_lshl_add_u32 v52, v52, 10, v45
	v_and_b32_e32 v51, 7, v51
	v_and_or_b32 v5, v5, s44, v52
	v_cndmask_b32_e32 v51, v53, v51, vcc
	v_lshlrev_b32_e32 v5, 16, v5
	v_mov_b32_e32 v55, v40
	v_mov_b32_e32 v40, v42
	;; [unrolled: 1-line block ×17, first 2 shown]
	v_lshl_or_b32 v51, v51, 23, v5
.LBB262_1594:                           ;   in Loop: Header=BB262_809 Depth=1
	s_or_b64 exec, exec, s[40:41]
.LBB262_1595:                           ;   in Loop: Header=BB262_809 Depth=1
	s_or_b64 exec, exec, s[28:29]
.LBB262_1596:                           ;   in Loop: Header=BB262_809 Depth=1
	s_or_b64 exec, exec, s[26:27]
	v_lshrrev_b32_e32 v5, 16, v10
	v_cmp_ne_u16_sdwa s[28:29], v5, v6 src0_sel:BYTE_0 src1_sel:DWORD
	s_and_saveexec_b64 s[26:27], s[28:29]
	s_cbranch_execz .LBB262_1602
; %bb.1597:                             ;   in Loop: Header=BB262_809 Depth=1
	v_cmp_ne_u16_sdwa s[40:41], v5, s42 src0_sel:BYTE_0 src1_sel:DWORD
	v_mov_b32_e32 v49, 0x8000
	s_and_saveexec_b64 s[28:29], s[40:41]
	s_cbranch_execz .LBB262_1601
; %bb.1598:                             ;   in Loop: Header=BB262_809 Depth=1
	v_bfe_u32 v52, v10, 16, 7
	v_cmp_ne_u32_e32 vcc, s43, v52
	v_mov_b32_e32 v49, 0x7c01
	s_and_saveexec_b64 s[40:41], vcc
	s_cbranch_execz .LBB262_1600
; %bb.1599:                             ;   in Loop: Header=BB262_809 Depth=1
	v_and_b32_e32 v49, 7, v5
	v_lshrrev_b32_e32 v54, 3, v52
	v_cmp_gt_u32_e32 vcc, 8, v52
	v_ffbh_u32_e32 v52, v49
	v_mov_b32_e32 v16, v15
	v_mov_b32_e32 v15, v0
	v_mov_b32_e32 v0, v39
	v_mov_b32_e32 v39, v34
	v_mov_b32_e32 v34, v35
	v_mov_b32_e32 v35, v32
	v_mov_b32_e32 v32, v19
	v_mov_b32_e32 v19, v2
	v_mov_b32_e32 v2, v4
	v_mov_b32_e32 v4, v3
	v_mov_b32_e32 v3, v22
	v_mov_b32_e32 v22, v38
	v_mov_b32_e32 v38, v18
	v_mov_b32_e32 v18, v43
	v_mov_b32_e32 v43, v42
	v_mov_b32_e32 v42, v40
	v_mov_b32_e32 v40, v55
	v_min_u32_e32 v55, 32, v52
	v_subrev_u32_e32 v52, 28, v55
	v_lshlrev_b64 v[52:53], v52, v[5:6]
	v_sub_u32_e32 v53, 29, v55
	v_cndmask_b32_e32 v53, v54, v53, vcc
	v_lshl_add_u32 v53, v53, 10, v45
	v_and_b32_e32 v52, 7, v52
	v_lshlrev_b32_e32 v5, 8, v5
	v_cndmask_b32_e32 v49, v49, v52, vcc
	v_and_b32_e32 v52, 0xfc00, v53
	v_and_or_b32 v5, v5, s44, v52
	v_mov_b32_e32 v55, v40
	v_mov_b32_e32 v40, v42
	;; [unrolled: 1-line block ×17, first 2 shown]
	v_lshl_or_b32 v49, v49, 7, v5
.LBB262_1600:                           ;   in Loop: Header=BB262_809 Depth=1
	s_or_b64 exec, exec, s[40:41]
.LBB262_1601:                           ;   in Loop: Header=BB262_809 Depth=1
	s_or_b64 exec, exec, s[28:29]
.LBB262_1602:                           ;   in Loop: Header=BB262_809 Depth=1
	s_or_b64 exec, exec, s[26:27]
	v_cmp_lt_u64_e32 vcc, s[10:11], v[9:10]
	v_mov_b32_e32 v52, 0
	s_and_saveexec_b64 s[26:27], vcc
	s_cbranch_execz .LBB262_1608
; %bb.1603:                             ;   in Loop: Header=BB262_809 Depth=1
	v_lshrrev_b32_e32 v5, 24, v10
	v_cmp_ne_u32_e32 vcc, s42, v5
	v_bfrev_b32_e32 v52, 1
	s_and_saveexec_b64 s[28:29], vcc
	s_cbranch_execz .LBB262_1607
; %bb.1604:                             ;   in Loop: Header=BB262_809 Depth=1
	v_and_b32_e32 v9, 0x7f, v5
	v_cmp_ne_u32_e32 vcc, s43, v9
	v_mov_b32_e32 v52, 0x7c010000
	s_and_saveexec_b64 s[40:41], vcc
	s_cbranch_execz .LBB262_1606
; %bb.1605:                             ;   in Loop: Header=BB262_809 Depth=1
	v_and_b32_e32 v52, 7, v5
	v_lshrrev_b32_e32 v53, 3, v9
	v_cmp_gt_u32_e32 vcc, 8, v9
	v_ffbh_u32_e32 v9, v52
	v_min_u32_e32 v54, 32, v9
	v_subrev_u32_e32 v9, 28, v54
	v_lshlrev_b64 v[9:10], v9, v[5:6]
	v_sub_u32_e32 v10, 29, v54
	v_cndmask_b32_e32 v10, v53, v10, vcc
	v_lshlrev_b32_e32 v5, 8, v5
	v_lshl_add_u32 v10, v10, 10, v45
	v_and_b32_e32 v9, 7, v9
	v_and_or_b32 v5, v5, s44, v10
	v_cndmask_b32_e32 v9, v52, v9, vcc
	v_lshlrev_b32_e32 v5, 16, v5
	v_lshl_or_b32 v52, v9, 23, v5
.LBB262_1606:                           ;   in Loop: Header=BB262_809 Depth=1
	s_or_b64 exec, exec, s[40:41]
.LBB262_1607:                           ;   in Loop: Header=BB262_809 Depth=1
	s_or_b64 exec, exec, s[28:29]
.LBB262_1608:                           ;   in Loop: Header=BB262_809 Depth=1
	s_or_b64 exec, exec, s[26:27]
	v_or_b32_e32 v5, v27, v28
	s_waitcnt vmcnt(0) lgkmcnt(0)
	v_fma_mixlo_f16 v9, v33, v27, 0 op_sel:[0,1,0] op_sel_hi:[0,1,0]
	v_fma_mixlo_f16 v10, v33, v36, 0 op_sel:[0,1,0] op_sel_hi:[0,1,0]
	;; [unrolled: 1-line block ×3, first 2 shown]
	v_lshlrev_b32_e32 v28, 16, v9
	v_or_b32_e32 v9, v36, v37
	v_lshlrev_b32_e32 v37, 16, v10
	v_or_b32_e32 v10, v51, v50
	;; [unrolled: 2-line block ×3, first 2 shown]
	v_fma_mixlo_f16 v5, v33, v5, 0 op_sel_hi:[0,1,0]
	v_fma_mixlo_f16 v9, v33, v9, 0 op_sel_hi:[0,1,0]
	;; [unrolled: 1-line block ×4, first 2 shown]
	v_fma_mixlo_f16 v33, v33, v52, 0 op_sel:[0,1,0] op_sel_hi:[0,1,0]
	v_and_b32_e32 v53, 0xffff, v5
	v_and_b32_e32 v54, 0xffff, v9
	;; [unrolled: 1-line block ×3, first 2 shown]
	v_lshlrev_b32_e32 v33, 16, v33
	v_and_b32_e32 v49, 0xffff, v27
	v_or_b32_e32 v5, v28, v53
	v_or_b32_e32 v9, v37, v54
	;; [unrolled: 1-line block ×4, first 2 shown]
	s_and_saveexec_b64 s[26:27], s[6:7]
	s_cbranch_execz .LBB262_807
; %bb.1609:                             ;   in Loop: Header=BB262_809 Depth=1
	v_cmp_lt_i32_e32 vcc, v46, v30
	v_cndmask_b32_e32 v5, 0, v54, vcc
	v_cmp_lt_i32_e32 vcc, v1, v30
	v_cndmask_b32_e32 v1, 0, v37, vcc
	v_cmp_lt_i32_e32 vcc, v20, v30
	v_or_b32_e32 v9, v5, v1
	v_cndmask_b32_e32 v1, 0, v53, vcc
	v_cmp_lt_i32_e32 vcc, v63, v30
	v_cndmask_b32_e32 v5, 0, v28, vcc
	v_cmp_lt_i32_e32 vcc, v62, v30
	v_or_b32_e32 v5, v1, v5
	;; [unrolled: 5-line block ×3, first 2 shown]
	v_cndmask_b32_e32 v1, 0, v49, vcc
	v_cmp_lt_i32_e32 vcc, v59, v30
	v_cndmask_b32_e32 v20, 0, v33, vcc
	v_or_b32_e32 v27, v1, v20
	s_branch .LBB262_807
.LBB262_1610:
	s_or_b64 exec, exec, s[22:23]
	buffer_load_dword v24, off, s[0:3], s32 offset:196 ; 4-byte Folded Reload
	buffer_load_dword v21, off, s[0:3], s32 offset:200 ; 4-byte Folded Reload
	;; [unrolled: 1-line block ×15, first 2 shown]
	v_mov_b32_e32 v3, s20
	v_mov_b32_e32 v4, s21
.LBB262_1611:
	s_or_b64 exec, exec, s[8:9]
	v_lshlrev_b64 v[0:1], 2, v[3:4]
	s_getpc_b64 s[6:7]
	s_add_u32 s6, s6, llvm.amdgcn.dynlds.offset.table@rel32@lo+4
	s_addc_u32 s7, s7, llvm.amdgcn.dynlds.offset.table@rel32@hi+12
	v_mov_b32_e32 v2, s7
	v_add_co_u32_e32 v0, vcc, s6, v0
	v_addc_co_u32_e32 v1, vcc, v2, v1, vcc
	s_waitcnt vmcnt(0)
	s_barrier
	global_load_dword v18, v[0:1], off
	ds_bpermute_b32 v0, v21, v5
	ds_bpermute_b32 v1, v21, v32
	v_mov_b32_e32 v13, v12
	ds_bpermute_b32 v15, v21, v27
	ds_bpermute_b32 v17, v21, v42
	s_waitcnt lgkmcnt(3)
	v_add_f32_e32 v0, v5, v0
	s_waitcnt lgkmcnt(2)
	v_add_f32_e32 v3, v32, v1
	ds_bpermute_b32 v2, v23, v0
	ds_bpermute_b32 v4, v23, v3
	;; [unrolled: 1-line block ×3, first 2 shown]
	s_waitcnt lgkmcnt(3)
	v_add_f32_e32 v17, v42, v17
	s_waitcnt lgkmcnt(2)
	v_add_f32_e32 v1, v0, v2
	;; [unrolled: 2-line block ×4, first 2 shown]
	ds_bpermute_b32 v2, v21, v6
	ds_bpermute_b32 v3, v21, v7
	;; [unrolled: 1-line block ×3, first 2 shown]
	s_waitcnt lgkmcnt(2)
	v_add_f32_e32 v2, v6, v2
	s_waitcnt lgkmcnt(1)
	v_add_f32_e32 v7, v7, v3
	;; [unrolled: 2-line block ×3, first 2 shown]
	ds_bpermute_b32 v5, v21, v10
	ds_bpermute_b32 v6, v23, v2
	;; [unrolled: 1-line block ×3, first 2 shown]
	s_waitcnt lgkmcnt(2)
	v_add_f32_e32 v5, v10, v5
	s_waitcnt lgkmcnt(1)
	v_add_f32_e32 v3, v2, v6
	s_waitcnt lgkmcnt(0)
	v_add_f32_e32 v2, v7, v8
	ds_bpermute_b32 v7, v21, v11
	ds_bpermute_b32 v8, v23, v5
	;; [unrolled: 1-line block ×3, first 2 shown]
	s_waitcnt lgkmcnt(2)
	v_add_f32_e32 v10, v11, v7
	s_waitcnt lgkmcnt(1)
	v_add_f32_e32 v7, v5, v8
	ds_bpermute_b32 v8, v21, v31
	ds_bpermute_b32 v11, v23, v10
	s_waitcnt lgkmcnt(2)
	v_add_f32_e32 v6, v9, v6
	ds_bpermute_b32 v9, v23, v6
	s_waitcnt lgkmcnt(2)
	v_add_f32_e32 v8, v31, v8
	s_waitcnt lgkmcnt(1)
	v_add_f32_e32 v5, v10, v11
	ds_bpermute_b32 v10, v21, v12
	ds_bpermute_b32 v11, v23, v8
	s_waitcnt lgkmcnt(2)
	v_add_f32_e32 v6, v6, v9
	ds_bpermute_b32 v9, v21, v28
	;; [unrolled: 9-line block ×3, first 2 shown]
	s_waitcnt lgkmcnt(2)
	v_add_f32_e32 v11, v22, v11
	s_waitcnt lgkmcnt(1)
	v_add_f32_e32 v8, v13, v14
	ds_bpermute_b32 v14, v21, v43
	ds_bpermute_b32 v16, v23, v11
	s_waitcnt lgkmcnt(2)
	v_add_f32_e32 v9, v9, v12
	v_add_f32_e32 v12, v27, v15
	ds_bpermute_b32 v15, v21, v40
	s_waitcnt lgkmcnt(2)
	v_add_f32_e32 v19, v43, v14
	s_waitcnt lgkmcnt(1)
	v_add_f32_e32 v14, v11, v16
	buffer_load_dword v16, off, s[0:3], s32 offset:628 ; 4-byte Folded Reload
	ds_bpermute_b32 v13, v23, v12
	s_waitcnt lgkmcnt(1)
	v_add_f32_e32 v21, v40, v15
	ds_bpermute_b32 v20, v23, v19
	ds_bpermute_b32 v22, v23, v21
	;; [unrolled: 1-line block ×3, first 2 shown]
	s_waitcnt lgkmcnt(3)
	v_add_f32_e32 v15, v12, v13
	s_waitcnt lgkmcnt(2)
	v_add_f32_e32 v13, v19, v20
	;; [unrolled: 2-line block ×4, first 2 shown]
	s_waitcnt vmcnt(0)
	v_and_b32_e32 v17, 0x3c3, v16
	v_cmp_eq_u32_e32 vcc, 64, v17
	s_and_saveexec_b64 s[6:7], vcc
	s_cbranch_execz .LBB262_1613
; %bb.1612:
	v_add_u32_e32 v16, v18, v24
	ds_write2_b32 v16, v1, v0 offset1:16
	ds_write2_b32 v16, v4, v3 offset0:32 offset1:48
	ds_write2_b32 v16, v2, v7 offset0:64 offset1:80
	;; [unrolled: 1-line block ×7, first 2 shown]
.LBB262_1613:
	s_or_b64 exec, exec, s[6:7]
	buffer_load_dword v16, off, s[0:3], s32 offset:628 ; 4-byte Folded Reload
	s_waitcnt vmcnt(0) lgkmcnt(0)
	s_barrier
	v_lshrrev_b32_e32 v16, 2, v16
	s_and_saveexec_b64 s[6:7], s[4:5]
	s_cbranch_execz .LBB262_1632
; %bb.1614:
	v_cmp_eq_u32_e32 vcc, 0, v25
	v_lshl_add_u32 v18, v16, 2, v18
	s_and_saveexec_b64 s[4:5], vcc
	s_cbranch_execnz .LBB262_1635
; %bb.1615:
	s_or_b64 exec, exec, s[4:5]
	s_and_saveexec_b64 s[4:5], vcc
	s_cbranch_execnz .LBB262_1636
.LBB262_1616:
	s_or_b64 exec, exec, s[4:5]
	s_and_saveexec_b64 s[4:5], vcc
	s_cbranch_execnz .LBB262_1637
.LBB262_1617:
	s_or_b64 exec, exec, s[4:5]
	s_and_saveexec_b64 s[4:5], vcc
	s_cbranch_execnz .LBB262_1638
.LBB262_1618:
	s_or_b64 exec, exec, s[4:5]
	s_and_saveexec_b64 s[4:5], vcc
	s_cbranch_execnz .LBB262_1639
.LBB262_1619:
	s_or_b64 exec, exec, s[4:5]
	s_and_saveexec_b64 s[4:5], vcc
	s_cbranch_execnz .LBB262_1640
.LBB262_1620:
	s_or_b64 exec, exec, s[4:5]
	s_and_saveexec_b64 s[4:5], vcc
	s_cbranch_execnz .LBB262_1641
.LBB262_1621:
	s_or_b64 exec, exec, s[4:5]
	s_and_saveexec_b64 s[4:5], vcc
	s_cbranch_execnz .LBB262_1642
.LBB262_1622:
	s_or_b64 exec, exec, s[4:5]
	s_and_saveexec_b64 s[4:5], vcc
	s_cbranch_execnz .LBB262_1643
.LBB262_1623:
	s_or_b64 exec, exec, s[4:5]
	s_and_saveexec_b64 s[4:5], vcc
	s_cbranch_execnz .LBB262_1644
.LBB262_1624:
	s_or_b64 exec, exec, s[4:5]
	s_and_saveexec_b64 s[4:5], vcc
	s_cbranch_execnz .LBB262_1645
.LBB262_1625:
	s_or_b64 exec, exec, s[4:5]
	s_and_saveexec_b64 s[4:5], vcc
	s_cbranch_execnz .LBB262_1646
.LBB262_1626:
	s_or_b64 exec, exec, s[4:5]
	s_and_saveexec_b64 s[4:5], vcc
	s_cbranch_execnz .LBB262_1647
.LBB262_1627:
	s_or_b64 exec, exec, s[4:5]
	s_and_saveexec_b64 s[4:5], vcc
	s_cbranch_execnz .LBB262_1648
.LBB262_1628:
	s_or_b64 exec, exec, s[4:5]
	s_and_saveexec_b64 s[4:5], vcc
	s_cbranch_execnz .LBB262_1649
.LBB262_1629:
	s_or_b64 exec, exec, s[4:5]
	s_and_saveexec_b64 s[4:5], vcc
	s_cbranch_execz .LBB262_1631
.LBB262_1630:
	ds_read_b32 v18, v18 offset:960
	s_waitcnt lgkmcnt(0)
	v_add_f32_e32 v11, v18, v11
.LBB262_1631:
	s_or_b64 exec, exec, s[4:5]
.LBB262_1632:
	s_or_b64 exec, exec, s[6:7]
	v_cmp_eq_u32_e32 vcc, 0, v17
	s_barrier
	s_and_saveexec_b64 s[4:5], vcc
	s_cbranch_execz .LBB262_1634
; %bb.1633:
	buffer_load_dword v18, off, s[0:3], s32 offset:684 ; 4-byte Folded Reload
	buffer_load_dword v19, off, s[0:3], s32 offset:680 ; 4-byte Folded Reload
	s_and_b32 s6, 0xffff, s19
	s_cmp_lg_u32 s6, 0
	s_cselect_b64 s[6:7], -1, 0
	s_cmp_lg_u64 s[6:7], 0
	s_addc_u32 s8, s17, 0
	s_mul_i32 s6, s16, s8
	s_mul_i32 s6, s6, s15
	s_lshl_b32 s6, s6, 8
	s_ashr_i32 s7, s6, 31
	s_lshl_b64 s[6:7], s[6:7], 1
	v_mov_b32_e32 v17, s7
	v_lshlrev_b32_e32 v16, 1, v16
	;;#ASMSTART
	v_cvt_f16_f32 v1, v1;

	;;#ASMEND
	s_waitcnt vmcnt(1)
	v_add_co_u32_e32 v18, vcc, s6, v18
	s_mul_i32 s6, s18, s8
	s_ashr_i32 s7, s6, 31
	s_waitcnt vmcnt(0)
	v_addc_co_u32_e32 v17, vcc, v19, v17, vcc
	s_lshl_b64 s[6:7], s[6:7], 1
	v_add_co_u32_e32 v18, vcc, s6, v18
	s_lshl_b32 s6, s14, 8
	v_mov_b32_e32 v19, s7
	s_ashr_i32 s7, s6, 31
	v_addc_co_u32_e32 v17, vcc, v17, v19, vcc
	s_lshl_b64 s[6:7], s[6:7], 1
	v_mov_b32_e32 v19, s7
	v_add_co_u32_e32 v18, vcc, s6, v18
	v_addc_co_u32_e32 v17, vcc, v17, v19, vcc
	v_add_co_u32_e32 v16, vcc, v18, v16
	v_addc_co_u32_e32 v17, vcc, 0, v17, vcc
	flat_store_short v[16:17], v1
	;;#ASMSTART
	v_cvt_f16_f32 v0, v0;

	;;#ASMEND
	flat_store_short v[16:17], v0 offset:32
	;;#ASMSTART
	v_cvt_f16_f32 v0, v4;

	;;#ASMEND
	flat_store_short v[16:17], v0 offset:64
	;; [unrolled: 5-line block ×15, first 2 shown]
.LBB262_1634:
	s_or_b64 exec, exec, s[4:5]
	buffer_load_dword v63, off, s[0:3], s32 ; 4-byte Folded Reload
	buffer_load_dword v62, off, s[0:3], s32 offset:4 ; 4-byte Folded Reload
	buffer_load_dword v61, off, s[0:3], s32 offset:8 ; 4-byte Folded Reload
	;; [unrolled: 1-line block ×15, first 2 shown]
	s_waitcnt vmcnt(0) lgkmcnt(0)
	s_setpc_b64 s[30:31]
.LBB262_1635:
	ds_read_b32 v19, v18
	s_waitcnt lgkmcnt(0)
	v_add_f32_e32 v1, v19, v1
	s_or_b64 exec, exec, s[4:5]
	s_and_saveexec_b64 s[4:5], vcc
	s_cbranch_execz .LBB262_1616
.LBB262_1636:
	ds_read_b32 v19, v18 offset:64
	s_waitcnt lgkmcnt(0)
	v_add_f32_e32 v0, v19, v0
	s_or_b64 exec, exec, s[4:5]
	s_and_saveexec_b64 s[4:5], vcc
	s_cbranch_execz .LBB262_1617
.LBB262_1637:
	ds_read_b32 v19, v18 offset:128
	s_waitcnt lgkmcnt(0)
	v_add_f32_e32 v4, v19, v4
	s_or_b64 exec, exec, s[4:5]
	s_and_saveexec_b64 s[4:5], vcc
	s_cbranch_execz .LBB262_1618
.LBB262_1638:
	ds_read_b32 v19, v18 offset:192
	s_waitcnt lgkmcnt(0)
	v_add_f32_e32 v3, v19, v3
	s_or_b64 exec, exec, s[4:5]
	s_and_saveexec_b64 s[4:5], vcc
	s_cbranch_execz .LBB262_1619
.LBB262_1639:
	ds_read_b32 v19, v18 offset:256
	s_waitcnt lgkmcnt(0)
	v_add_f32_e32 v2, v19, v2
	s_or_b64 exec, exec, s[4:5]
	s_and_saveexec_b64 s[4:5], vcc
	s_cbranch_execz .LBB262_1620
.LBB262_1640:
	ds_read_b32 v19, v18 offset:320
	s_waitcnt lgkmcnt(0)
	v_add_f32_e32 v7, v19, v7
	s_or_b64 exec, exec, s[4:5]
	s_and_saveexec_b64 s[4:5], vcc
	s_cbranch_execz .LBB262_1621
.LBB262_1641:
	ds_read_b32 v19, v18 offset:384
	s_waitcnt lgkmcnt(0)
	v_add_f32_e32 v6, v19, v6
	s_or_b64 exec, exec, s[4:5]
	s_and_saveexec_b64 s[4:5], vcc
	s_cbranch_execz .LBB262_1622
.LBB262_1642:
	ds_read_b32 v19, v18 offset:448
	s_waitcnt lgkmcnt(0)
	v_add_f32_e32 v5, v19, v5
	s_or_b64 exec, exec, s[4:5]
	s_and_saveexec_b64 s[4:5], vcc
	s_cbranch_execz .LBB262_1623
.LBB262_1643:
	ds_read_b32 v19, v18 offset:512
	s_waitcnt lgkmcnt(0)
	v_add_f32_e32 v10, v19, v10
	s_or_b64 exec, exec, s[4:5]
	s_and_saveexec_b64 s[4:5], vcc
	s_cbranch_execz .LBB262_1624
.LBB262_1644:
	ds_read_b32 v19, v18 offset:576
	s_waitcnt lgkmcnt(0)
	v_add_f32_e32 v9, v19, v9
	s_or_b64 exec, exec, s[4:5]
	s_and_saveexec_b64 s[4:5], vcc
	s_cbranch_execz .LBB262_1625
.LBB262_1645:
	ds_read_b32 v19, v18 offset:640
	s_waitcnt lgkmcnt(0)
	v_add_f32_e32 v8, v19, v8
	s_or_b64 exec, exec, s[4:5]
	s_and_saveexec_b64 s[4:5], vcc
	s_cbranch_execz .LBB262_1626
.LBB262_1646:
	ds_read_b32 v19, v18 offset:704
	s_waitcnt lgkmcnt(0)
	v_add_f32_e32 v15, v19, v15
	s_or_b64 exec, exec, s[4:5]
	s_and_saveexec_b64 s[4:5], vcc
	s_cbranch_execz .LBB262_1627
.LBB262_1647:
	ds_read_b32 v19, v18 offset:768
	s_waitcnt lgkmcnt(0)
	v_add_f32_e32 v14, v19, v14
	s_or_b64 exec, exec, s[4:5]
	s_and_saveexec_b64 s[4:5], vcc
	s_cbranch_execz .LBB262_1628
.LBB262_1648:
	ds_read_b32 v19, v18 offset:832
	s_waitcnt lgkmcnt(0)
	v_add_f32_e32 v13, v19, v13
	s_or_b64 exec, exec, s[4:5]
	s_and_saveexec_b64 s[4:5], vcc
	s_cbranch_execz .LBB262_1629
.LBB262_1649:
	ds_read_b32 v19, v18 offset:896
	s_waitcnt lgkmcnt(0)
	v_add_f32_e32 v12, v19, v12
	s_or_b64 exec, exec, s[4:5]
	s_and_saveexec_b64 s[4:5], vcc
	s_cbranch_execnz .LBB262_1630
	s_branch .LBB262_1631
.Lfunc_end262:
	.size	_ZN4vllm22paged_attention_kernelIthLi256ELi32ELi128ELNS_18Fp8KVCacheDataTypeE1ELb1ELi0EEEvPfS2_PT_PKS3_PKT0_S9_ifPKiSB_iPKfiiiSD_SD_iiiii, .Lfunc_end262-_ZN4vllm22paged_attention_kernelIthLi256ELi32ELi128ELNS_18Fp8KVCacheDataTypeE1ELb1ELi0EEEvPfS2_PT_PKS3_PKT0_S9_ifPKiSB_iPKfiiiSD_SD_iiiii
                                        ; -- End function
	.set .L_ZN4vllm22paged_attention_kernelIthLi256ELi32ELi128ELNS_18Fp8KVCacheDataTypeE1ELb1ELi0EEEvPfS2_PT_PKS3_PKT0_S9_ifPKiSB_iPKfiiiSD_SD_iiiii.num_vgpr, 64
	.set .L_ZN4vllm22paged_attention_kernelIthLi256ELi32ELi128ELNS_18Fp8KVCacheDataTypeE1ELb1ELi0EEEvPfS2_PT_PKS3_PKT0_S9_ifPKiSB_iPKfiiiSD_SD_iiiii.num_agpr, 0
	.set .L_ZN4vllm22paged_attention_kernelIthLi256ELi32ELi128ELNS_18Fp8KVCacheDataTypeE1ELb1ELi0EEEvPfS2_PT_PKS3_PKT0_S9_ifPKiSB_iPKfiiiSD_SD_iiiii.numbered_sgpr, 48
	.set .L_ZN4vllm22paged_attention_kernelIthLi256ELi32ELi128ELNS_18Fp8KVCacheDataTypeE1ELb1ELi0EEEvPfS2_PT_PKS3_PKT0_S9_ifPKiSB_iPKfiiiSD_SD_iiiii.num_named_barrier, 0
	.set .L_ZN4vllm22paged_attention_kernelIthLi256ELi32ELi128ELNS_18Fp8KVCacheDataTypeE1ELb1ELi0EEEvPfS2_PT_PKS3_PKT0_S9_ifPKiSB_iPKfiiiSD_SD_iiiii.private_seg_size, 736
	.set .L_ZN4vllm22paged_attention_kernelIthLi256ELi32ELi128ELNS_18Fp8KVCacheDataTypeE1ELb1ELi0EEEvPfS2_PT_PKS3_PKT0_S9_ifPKiSB_iPKfiiiSD_SD_iiiii.uses_vcc, 1
	.set .L_ZN4vllm22paged_attention_kernelIthLi256ELi32ELi128ELNS_18Fp8KVCacheDataTypeE1ELb1ELi0EEEvPfS2_PT_PKS3_PKT0_S9_ifPKiSB_iPKfiiiSD_SD_iiiii.uses_flat_scratch, 0
	.set .L_ZN4vllm22paged_attention_kernelIthLi256ELi32ELi128ELNS_18Fp8KVCacheDataTypeE1ELb1ELi0EEEvPfS2_PT_PKS3_PKT0_S9_ifPKiSB_iPKfiiiSD_SD_iiiii.has_dyn_sized_stack, 0
	.set .L_ZN4vllm22paged_attention_kernelIthLi256ELi32ELi128ELNS_18Fp8KVCacheDataTypeE1ELb1ELi0EEEvPfS2_PT_PKS3_PKT0_S9_ifPKiSB_iPKfiiiSD_SD_iiiii.has_recursion, 0
	.set .L_ZN4vllm22paged_attention_kernelIthLi256ELi32ELi128ELNS_18Fp8KVCacheDataTypeE1ELb1ELi0EEEvPfS2_PT_PKS3_PKT0_S9_ifPKiSB_iPKfiiiSD_SD_iiiii.has_indirect_call, 0
	.section	.AMDGPU.csdata,"",@progbits
; Function info:
; codeLenInByte = 68572
; TotalNumSgprs: 52
; NumVgprs: 64
; ScratchSize: 736
; MemoryBound: 0
	.section	.text._ZN4vllm25paged_attention_v1_kernelIthLi256ELi32ELi128ELNS_18Fp8KVCacheDataTypeE1ELb1EEEvPT_PKS2_PKT0_S8_ifPKiSA_iPKfiiiSC_SC_iiiii,"axG",@progbits,_ZN4vllm25paged_attention_v1_kernelIthLi256ELi32ELi128ELNS_18Fp8KVCacheDataTypeE1ELb1EEEvPT_PKS2_PKT0_S8_ifPKiSA_iPKfiiiSC_SC_iiiii,comdat
	.protected	_ZN4vllm25paged_attention_v1_kernelIthLi256ELi32ELi128ELNS_18Fp8KVCacheDataTypeE1ELb1EEEvPT_PKS2_PKT0_S8_ifPKiSA_iPKfiiiSC_SC_iiiii ; -- Begin function _ZN4vllm25paged_attention_v1_kernelIthLi256ELi32ELi128ELNS_18Fp8KVCacheDataTypeE1ELb1EEEvPT_PKS2_PKT0_S8_ifPKiSA_iPKfiiiSC_SC_iiiii
	.globl	_ZN4vllm25paged_attention_v1_kernelIthLi256ELi32ELi128ELNS_18Fp8KVCacheDataTypeE1ELb1EEEvPT_PKS2_PKT0_S8_ifPKiSA_iPKfiiiSC_SC_iiiii
	.p2align	8
	.type	_ZN4vllm25paged_attention_v1_kernelIthLi256ELi32ELi128ELNS_18Fp8KVCacheDataTypeE1ELb1EEEvPT_PKS2_PKT0_S8_ifPKiSA_iPKfiiiSC_SC_iiiii,@function
_ZN4vllm25paged_attention_v1_kernelIthLi256ELi32ELi128ELNS_18Fp8KVCacheDataTypeE1ELb1EEEvPT_PKS2_PKT0_S8_ifPKiSA_iPKfiiiSC_SC_iiiii: ; @_ZN4vllm25paged_attention_v1_kernelIthLi256ELi32ELi128ELNS_18Fp8KVCacheDataTypeE1ELb1EEEvPT_PKS2_PKT0_S8_ifPKiSA_iPKfiiiSC_SC_iiiii
; %bb.0:
	s_load_dwordx8 s[16:23], s[4:5], 0x0
	s_load_dwordx4 s[36:39], s[4:5], 0x20
	s_load_dwordx2 s[10:11], s[4:5], 0x30
	s_load_dword s33, s[4:5], 0x38
	s_load_dwordx2 s[34:35], s[4:5], 0x40
	s_load_dwordx8 s[24:31], s[4:5], 0x48
	s_waitcnt lgkmcnt(0)
	s_load_dword s27, s[4:5], 0x78
	s_load_dwordx4 s[40:43], s[4:5], 0x68
	s_add_u32 s0, s0, s9
	s_addc_u32 s1, s1, 0
	s_mov_b32 s14, s8
	s_add_u32 s8, s4, 0x80
	s_addc_u32 s9, s5, 0
	s_getpc_b64 s[4:5]
	s_add_u32 s4, s4, _ZN4vllm22paged_attention_kernelIthLi256ELi32ELi128ELNS_18Fp8KVCacheDataTypeE1ELb1ELi0EEEvPfS2_PT_PKS3_PKT0_S9_ifPKiSB_iPKfiiiSD_SD_iiiii@rel32@lo+4
	s_addc_u32 s5, s5, _ZN4vllm22paged_attention_kernelIthLi256ELi32ELi128ELNS_18Fp8KVCacheDataTypeE1ELb1ELi0EEEvPfS2_PT_PKS3_PKT0_S9_ifPKiSB_iPKfiiiSD_SD_iiiii@rel32@hi+12
	s_mov_b32 s12, s6
	s_mov_b32 s13, s7
	;; [unrolled: 1-line block ×3, first 2 shown]
	v_mov_b32_e32 v31, v0
	v_mov_b32_e32 v0, s16
	;; [unrolled: 1-line block ×25, first 2 shown]
	s_waitcnt lgkmcnt(0)
	v_mov_b32_e32 v24, s40
	v_mov_b32_e32 v25, s41
	v_mov_b32_e32 v26, s42
	v_mov_b32_e32 v27, s43
	v_mov_b32_e32 v28, s27
	s_mov_b32 s32, 0
	s_swappc_b64 s[30:31], s[4:5]
	s_endpgm
	.section	.rodata,"a",@progbits
	.p2align	6, 0x0
	.amdhsa_kernel _ZN4vllm25paged_attention_v1_kernelIthLi256ELi32ELi128ELNS_18Fp8KVCacheDataTypeE1ELb1EEEvPT_PKS2_PKT0_S8_ifPKiSA_iPKfiiiSC_SC_iiiii
		.amdhsa_group_segment_fixed_size 528
		.amdhsa_private_segment_fixed_size 736
		.amdhsa_kernarg_size 384
		.amdhsa_user_sgpr_count 6
		.amdhsa_user_sgpr_private_segment_buffer 1
		.amdhsa_user_sgpr_dispatch_ptr 0
		.amdhsa_user_sgpr_queue_ptr 0
		.amdhsa_user_sgpr_kernarg_segment_ptr 1
		.amdhsa_user_sgpr_dispatch_id 0
		.amdhsa_user_sgpr_flat_scratch_init 0
		.amdhsa_user_sgpr_private_segment_size 0
		.amdhsa_uses_dynamic_stack 0
		.amdhsa_system_sgpr_private_segment_wavefront_offset 1
		.amdhsa_system_sgpr_workgroup_id_x 1
		.amdhsa_system_sgpr_workgroup_id_y 1
		.amdhsa_system_sgpr_workgroup_id_z 1
		.amdhsa_system_sgpr_workgroup_info 0
		.amdhsa_system_vgpr_workitem_id 0
		.amdhsa_next_free_vgpr 64
		.amdhsa_next_free_sgpr 48
		.amdhsa_reserve_vcc 1
		.amdhsa_reserve_flat_scratch 0
		.amdhsa_float_round_mode_32 0
		.amdhsa_float_round_mode_16_64 0
		.amdhsa_float_denorm_mode_32 3
		.amdhsa_float_denorm_mode_16_64 3
		.amdhsa_dx10_clamp 1
		.amdhsa_ieee_mode 1
		.amdhsa_fp16_overflow 0
		.amdhsa_exception_fp_ieee_invalid_op 0
		.amdhsa_exception_fp_denorm_src 0
		.amdhsa_exception_fp_ieee_div_zero 0
		.amdhsa_exception_fp_ieee_overflow 0
		.amdhsa_exception_fp_ieee_underflow 0
		.amdhsa_exception_fp_ieee_inexact 0
		.amdhsa_exception_int_div_zero 0
	.end_amdhsa_kernel
	.section	.text._ZN4vllm25paged_attention_v1_kernelIthLi256ELi32ELi128ELNS_18Fp8KVCacheDataTypeE1ELb1EEEvPT_PKS2_PKT0_S8_ifPKiSA_iPKfiiiSC_SC_iiiii,"axG",@progbits,_ZN4vllm25paged_attention_v1_kernelIthLi256ELi32ELi128ELNS_18Fp8KVCacheDataTypeE1ELb1EEEvPT_PKS2_PKT0_S8_ifPKiSA_iPKfiiiSC_SC_iiiii,comdat
.Lfunc_end263:
	.size	_ZN4vllm25paged_attention_v1_kernelIthLi256ELi32ELi128ELNS_18Fp8KVCacheDataTypeE1ELb1EEEvPT_PKS2_PKT0_S8_ifPKiSA_iPKfiiiSC_SC_iiiii, .Lfunc_end263-_ZN4vllm25paged_attention_v1_kernelIthLi256ELi32ELi128ELNS_18Fp8KVCacheDataTypeE1ELb1EEEvPT_PKS2_PKT0_S8_ifPKiSA_iPKfiiiSC_SC_iiiii
                                        ; -- End function
	.set _ZN4vllm25paged_attention_v1_kernelIthLi256ELi32ELi128ELNS_18Fp8KVCacheDataTypeE1ELb1EEEvPT_PKS2_PKT0_S8_ifPKiSA_iPKfiiiSC_SC_iiiii.num_vgpr, max(32, .L_ZN4vllm22paged_attention_kernelIthLi256ELi32ELi128ELNS_18Fp8KVCacheDataTypeE1ELb1ELi0EEEvPfS2_PT_PKS3_PKT0_S9_ifPKiSB_iPKfiiiSD_SD_iiiii.num_vgpr)
	.set _ZN4vllm25paged_attention_v1_kernelIthLi256ELi32ELi128ELNS_18Fp8KVCacheDataTypeE1ELb1EEEvPT_PKS2_PKT0_S8_ifPKiSA_iPKfiiiSC_SC_iiiii.num_agpr, max(0, .L_ZN4vllm22paged_attention_kernelIthLi256ELi32ELi128ELNS_18Fp8KVCacheDataTypeE1ELb1ELi0EEEvPfS2_PT_PKS3_PKT0_S9_ifPKiSB_iPKfiiiSD_SD_iiiii.num_agpr)
	.set _ZN4vllm25paged_attention_v1_kernelIthLi256ELi32ELi128ELNS_18Fp8KVCacheDataTypeE1ELb1EEEvPT_PKS2_PKT0_S8_ifPKiSA_iPKfiiiSC_SC_iiiii.numbered_sgpr, max(44, .L_ZN4vllm22paged_attention_kernelIthLi256ELi32ELi128ELNS_18Fp8KVCacheDataTypeE1ELb1ELi0EEEvPfS2_PT_PKS3_PKT0_S9_ifPKiSB_iPKfiiiSD_SD_iiiii.numbered_sgpr)
	.set _ZN4vllm25paged_attention_v1_kernelIthLi256ELi32ELi128ELNS_18Fp8KVCacheDataTypeE1ELb1EEEvPT_PKS2_PKT0_S8_ifPKiSA_iPKfiiiSC_SC_iiiii.num_named_barrier, max(0, .L_ZN4vllm22paged_attention_kernelIthLi256ELi32ELi128ELNS_18Fp8KVCacheDataTypeE1ELb1ELi0EEEvPfS2_PT_PKS3_PKT0_S9_ifPKiSB_iPKfiiiSD_SD_iiiii.num_named_barrier)
	.set _ZN4vllm25paged_attention_v1_kernelIthLi256ELi32ELi128ELNS_18Fp8KVCacheDataTypeE1ELb1EEEvPT_PKS2_PKT0_S8_ifPKiSA_iPKfiiiSC_SC_iiiii.private_seg_size, 0+max(.L_ZN4vllm22paged_attention_kernelIthLi256ELi32ELi128ELNS_18Fp8KVCacheDataTypeE1ELb1ELi0EEEvPfS2_PT_PKS3_PKT0_S9_ifPKiSB_iPKfiiiSD_SD_iiiii.private_seg_size)
	.set _ZN4vllm25paged_attention_v1_kernelIthLi256ELi32ELi128ELNS_18Fp8KVCacheDataTypeE1ELb1EEEvPT_PKS2_PKT0_S8_ifPKiSA_iPKfiiiSC_SC_iiiii.uses_vcc, or(1, .L_ZN4vllm22paged_attention_kernelIthLi256ELi32ELi128ELNS_18Fp8KVCacheDataTypeE1ELb1ELi0EEEvPfS2_PT_PKS3_PKT0_S9_ifPKiSB_iPKfiiiSD_SD_iiiii.uses_vcc)
	.set _ZN4vllm25paged_attention_v1_kernelIthLi256ELi32ELi128ELNS_18Fp8KVCacheDataTypeE1ELb1EEEvPT_PKS2_PKT0_S8_ifPKiSA_iPKfiiiSC_SC_iiiii.uses_flat_scratch, or(0, .L_ZN4vllm22paged_attention_kernelIthLi256ELi32ELi128ELNS_18Fp8KVCacheDataTypeE1ELb1ELi0EEEvPfS2_PT_PKS3_PKT0_S9_ifPKiSB_iPKfiiiSD_SD_iiiii.uses_flat_scratch)
	.set _ZN4vllm25paged_attention_v1_kernelIthLi256ELi32ELi128ELNS_18Fp8KVCacheDataTypeE1ELb1EEEvPT_PKS2_PKT0_S8_ifPKiSA_iPKfiiiSC_SC_iiiii.has_dyn_sized_stack, or(0, .L_ZN4vllm22paged_attention_kernelIthLi256ELi32ELi128ELNS_18Fp8KVCacheDataTypeE1ELb1ELi0EEEvPfS2_PT_PKS3_PKT0_S9_ifPKiSB_iPKfiiiSD_SD_iiiii.has_dyn_sized_stack)
	.set _ZN4vllm25paged_attention_v1_kernelIthLi256ELi32ELi128ELNS_18Fp8KVCacheDataTypeE1ELb1EEEvPT_PKS2_PKT0_S8_ifPKiSA_iPKfiiiSC_SC_iiiii.has_recursion, or(0, .L_ZN4vllm22paged_attention_kernelIthLi256ELi32ELi128ELNS_18Fp8KVCacheDataTypeE1ELb1ELi0EEEvPfS2_PT_PKS3_PKT0_S9_ifPKiSB_iPKfiiiSD_SD_iiiii.has_recursion)
	.set _ZN4vllm25paged_attention_v1_kernelIthLi256ELi32ELi128ELNS_18Fp8KVCacheDataTypeE1ELb1EEEvPT_PKS2_PKT0_S8_ifPKiSA_iPKfiiiSC_SC_iiiii.has_indirect_call, or(0, .L_ZN4vllm22paged_attention_kernelIthLi256ELi32ELi128ELNS_18Fp8KVCacheDataTypeE1ELb1ELi0EEEvPfS2_PT_PKS3_PKT0_S9_ifPKiSB_iPKfiiiSD_SD_iiiii.has_indirect_call)
	.section	.AMDGPU.csdata,"",@progbits
; Kernel info:
; codeLenInByte = 260
; TotalNumSgprs: 52
; NumVgprs: 64
; ScratchSize: 736
; MemoryBound: 0
; FloatMode: 240
; IeeeMode: 1
; LDSByteSize: 528 bytes/workgroup (compile time only)
; SGPRBlocks: 6
; VGPRBlocks: 15
; NumSGPRsForWavesPerEU: 52
; NumVGPRsForWavesPerEU: 64
; Occupancy: 4
; WaveLimiterHint : 1
; COMPUTE_PGM_RSRC2:SCRATCH_EN: 1
; COMPUTE_PGM_RSRC2:USER_SGPR: 6
; COMPUTE_PGM_RSRC2:TRAP_HANDLER: 0
; COMPUTE_PGM_RSRC2:TGID_X_EN: 1
; COMPUTE_PGM_RSRC2:TGID_Y_EN: 1
; COMPUTE_PGM_RSRC2:TGID_Z_EN: 1
; COMPUTE_PGM_RSRC2:TIDIG_COMP_CNT: 0
	.section	.text._ZN4vllm25paged_attention_v1_kernelIthLi32ELi32ELi128ELNS_18Fp8KVCacheDataTypeE1ELb0EEEvPT_PKS2_PKT0_S8_ifPKiSA_iPKfiiiSC_SC_iiiii,"axG",@progbits,_ZN4vllm25paged_attention_v1_kernelIthLi32ELi32ELi128ELNS_18Fp8KVCacheDataTypeE1ELb0EEEvPT_PKS2_PKT0_S8_ifPKiSA_iPKfiiiSC_SC_iiiii,comdat
	.protected	_ZN4vllm25paged_attention_v1_kernelIthLi32ELi32ELi128ELNS_18Fp8KVCacheDataTypeE1ELb0EEEvPT_PKS2_PKT0_S8_ifPKiSA_iPKfiiiSC_SC_iiiii ; -- Begin function _ZN4vllm25paged_attention_v1_kernelIthLi32ELi32ELi128ELNS_18Fp8KVCacheDataTypeE1ELb0EEEvPT_PKS2_PKT0_S8_ifPKiSA_iPKfiiiSC_SC_iiiii
	.globl	_ZN4vllm25paged_attention_v1_kernelIthLi32ELi32ELi128ELNS_18Fp8KVCacheDataTypeE1ELb0EEEvPT_PKS2_PKT0_S8_ifPKiSA_iPKfiiiSC_SC_iiiii
	.p2align	8
	.type	_ZN4vllm25paged_attention_v1_kernelIthLi32ELi32ELi128ELNS_18Fp8KVCacheDataTypeE1ELb0EEEvPT_PKS2_PKT0_S8_ifPKiSA_iPKfiiiSC_SC_iiiii,@function
_ZN4vllm25paged_attention_v1_kernelIthLi32ELi32ELi128ELNS_18Fp8KVCacheDataTypeE1ELb0EEEvPT_PKS2_PKT0_S8_ifPKiSA_iPKfiiiSC_SC_iiiii: ; @_ZN4vllm25paged_attention_v1_kernelIthLi32ELi32ELi128ELNS_18Fp8KVCacheDataTypeE1ELb0EEEvPT_PKS2_PKT0_S8_ifPKiSA_iPKfiiiSC_SC_iiiii
; %bb.0:
	s_load_dword s9, s[4:5], 0x80
	s_load_dwordx2 s[0:1], s[4:5], 0x30
	s_load_dwordx2 s[30:31], s[4:5], 0x20
	s_mov_b32 s10, s7
	s_ashr_i32 s11, s7, 31
	s_lshl_b64 s[2:3], s[10:11], 2
	s_waitcnt lgkmcnt(0)
	s_add_u32 s0, s0, s2
	s_addc_u32 s1, s1, s3
	s_abs_i32 s2, s30
	v_cvt_f32_u32_e32 v1, s2
	s_sub_i32 s11, 0, s2
	s_abs_i32 s7, s9
	s_xor_b32 s3, s9, s30
	v_rcp_iflag_f32_e32 v1, v1
	s_ashr_i32 s3, s3, 31
	s_mov_b32 s33, 0
	v_mul_f32_e32 v1, 0x4f7ffffe, v1
	v_cvt_u32_f32_e32 v1, v1
	v_readfirstlane_b32 s12, v1
	s_mul_i32 s11, s11, s12
	s_mul_hi_u32 s11, s12, s11
	s_add_i32 s12, s12, s11
	s_mul_hi_u32 s11, s7, s12
	s_mul_i32 s12, s11, s2
	s_sub_i32 s7, s7, s12
	s_add_i32 s12, s11, 1
	s_sub_i32 s13, s7, s2
	s_cmp_ge_u32 s7, s2
	s_cselect_b32 s11, s12, s11
	s_cselect_b32 s7, s13, s7
	s_add_i32 s12, s11, 1
	s_cmp_ge_u32 s7, s2
	s_cselect_b32 s2, s12, s11
	s_xor_b32 s2, s2, s3
	s_sub_i32 s14, s2, s3
	s_abs_i32 s11, s14
	v_cvt_f32_u32_e32 v1, s11
	s_load_dwordx2 s[2:3], s[4:5], 0x40
	s_sub_i32 s7, 0, s11
	s_abs_i32 s12, s6
	v_rcp_iflag_f32_e32 v1, v1
	v_mul_f32_e32 v1, 0x4f7ffffe, v1
	v_cvt_u32_f32_e32 v1, v1
	v_readfirstlane_b32 s13, v1
	s_mul_i32 s7, s7, s13
	s_mul_hi_u32 s7, s13, s7
	s_add_i32 s13, s13, s7
	s_waitcnt lgkmcnt(0)
	s_cmp_eq_u64 s[2:3], 0
	s_mul_hi_u32 s13, s12, s13
	s_cbranch_scc1 .LBB264_2
; %bb.1:
	s_ashr_i32 s7, s6, 31
	s_lshl_b64 s[16:17], s[6:7], 2
	s_add_u32 s2, s2, s16
	s_addc_u32 s3, s3, s17
	s_load_dword s33, s[2:3], 0x0
.LBB264_2:
	s_load_dword s30, s[0:1], 0x0
	s_load_dwordx4 s[16:19], s[4:5], 0x48
	s_ashr_i32 s2, s6, 31
	s_ashr_i32 s3, s14, 31
	v_and_b32_e32 v3, 1, v0
	s_lshl_b32 s20, s6, 5
	v_cmp_gt_u32_e32 vcc, 8, v0
	v_lshlrev_b32_e32 v10, 3, v0
	s_and_saveexec_b64 s[0:1], vcc
	s_cbranch_execz .LBB264_4
; %bb.3:
	s_load_dwordx2 s[6:7], s[4:5], 0x8
	s_waitcnt lgkmcnt(0)
	s_mul_i32 s14, s16, s10
	s_ashr_i32 s15, s14, 31
	s_lshl_b64 s[14:15], s[14:15], 1
	v_lshlrev_b32_e32 v4, 2, v0
	s_add_u32 s14, s6, s14
	s_addc_u32 s15, s7, s15
	s_ashr_i32 s21, s20, 31
	s_lshl_b64 s[6:7], s[20:21], 1
	s_add_u32 s6, s14, s6
	s_addc_u32 s7, s15, s7
	global_load_dwordx2 v[1:2], v10, s[6:7]
	v_and_b32_e32 v4, 0xff8, v4
	v_lshl_add_u32 v4, v3, 5, v4
	s_waitcnt vmcnt(0)
	ds_write_b64 v4, v[1:2]
.LBB264_4:
	s_or_b64 exec, exec, s[0:1]
	s_waitcnt lgkmcnt(0)
	s_add_i32 s1, s30, 31
	s_ashr_i32 s6, s1, 31
	s_lshr_b32 s6, s6, 27
	s_add_i32 s1, s1, s6
	s_ashr_i32 s21, s1, 5
	s_xor_b32 s1, s2, s3
	s_mul_i32 s2, s13, s11
	s_sub_i32 s2, s12, s2
	s_add_i32 s3, s13, 1
	s_sub_i32 s6, s2, s11
	s_load_dwordx2 s[24:25], s[4:5], 0x28
	s_load_dword s0, s[4:5], 0x38
	s_cmp_ge_u32 s2, s11
	s_cselect_b32 s3, s3, s13
	s_cselect_b32 s2, s6, s2
	s_add_i32 s6, s3, 1
	s_cmp_ge_u32 s2, s11
	s_cselect_b32 s2, s6, s3
	v_lshrrev_b32_e32 v11, 6, v0
	s_xor_b32 s2, s2, s1
	s_waitcnt lgkmcnt(0)
	s_mul_i32 s26, s0, s10
	s_sub_i32 s16, s2, s1
	s_ashr_i32 s27, s26, 31
	v_cmp_gt_i32_e64 s[0:1], s21, v11
	v_cmp_le_i32_e32 vcc, s21, v11
	v_mbcnt_lo_u32_b32 v8, -1, 0
	s_barrier
                                        ; implicit-def: $vgpr15
                                        ; implicit-def: $vgpr1
                                        ; implicit-def: $vgpr7
	s_and_saveexec_b64 s[2:3], vcc
	s_xor_b64 s[2:3], exec, s[2:3]
; %bb.5:
	v_mbcnt_hi_u32_b32 v15, -1, v8
	v_and_b32_e32 v1, 64, v15
	v_add_u32_e32 v7, 64, v1
                                        ; implicit-def: $vgpr3
                                        ; implicit-def: $vgpr8
; %bb.6:
	s_or_saveexec_b64 s[6:7], s[2:3]
	s_load_dwordx2 s[22:23], s[4:5], 0x0
	s_load_dwordx2 s[28:29], s[4:5], 0x18
	s_load_dword s11, s[4:5], 0x88
	s_load_dwordx4 s[12:15], s[4:5], 0x58
	v_mov_b32_e32 v13, 0xff7fffff
	s_mul_i32 s16, s16, s18
	v_lshrrev_b32_e32 v12, 4, v0
	s_xor_b64 exec, exec, s[6:7]
	s_cbranch_execz .LBB264_108
; %bb.7:
	s_load_dwordx2 s[2:3], s[4:5], 0x10
	s_ashr_i32 s4, s16, 31
	v_bfe_u32 v1, v0, 1, 5
	v_lshlrev_b32_e32 v4, 4, v1
	v_lshlrev_b32_e32 v6, 2, v3
	s_waitcnt lgkmcnt(0)
	s_add_u32 s2, s2, s16
	s_addc_u32 s3, s3, s4
	v_mov_b32_e32 v5, s3
	v_add_co_u32_e32 v4, vcc, s2, v4
	v_addc_co_u32_e32 v5, vcc, 0, v5, vcc
	v_lshlrev_b32_e32 v14, 5, v3
	v_cmp_eq_u32_e32 vcc, 0, v3
	v_add_co_u32_e64 v3, s[4:5], v4, v6
	v_addc_co_u32_e64 v4, s[4:5], 0, v5, s[4:5]
	s_sub_i32 s41, 1, s30
	v_lshl_or_b32 v16, v11, 5, v1
	v_lshlrev_b32_e32 v1, 2, v1
	s_lshl_b64 s[4:5], s[26:27], 2
	v_lshl_or_b32 v1, v11, 7, v1
	s_add_u32 s4, s24, s4
	v_add_u32_e32 v17, 0x50, v1
	v_and_b32_e32 v1, 60, v12
	s_addc_u32 s5, s25, s5
	v_mov_b32_e32 v6, s5
	v_add_co_u32_e64 v5, s[4:5], s4, v1
	s_mov_b32 s40, s17
	v_mov_b32_e32 v2, 0
	v_cmp_neq_f32_e64 s[2:3], s33, 0
	v_addc_co_u32_e64 v6, s[4:5], 0, v6, s[4:5]
	v_mov_b32_e32 v13, 0xff7fffff
	s_mov_b64 s[18:19], 0
	s_movk_i32 s42, 0x80
	s_movk_i32 s43, 0x7f
	s_mov_b32 s44, 0x8000
	s_mov_b32 s45, 0xffffff
	v_mbcnt_hi_u32_b32 v15, -1, v8
	v_mov_b32_e32 v18, 0x2000
	v_mov_b32_e32 v19, v11
	s_branch .LBB264_9
.LBB264_8:                              ;   in Loop: Header=BB264_9 Depth=1
	s_or_b64 exec, exec, s[34:35]
	v_add_u32_e32 v19, 2, v19
	v_cmp_le_i32_e64 s[4:5], s21, v19
	s_or_b64 s[18:19], s[4:5], s[18:19]
	v_add_co_u32_e64 v5, s[4:5], 8, v5
	v_add_u32_e32 v16, 64, v16
	v_add_u32_e32 v17, 0x100, v17
	v_addc_co_u32_e64 v6, s[4:5], 0, v6, s[4:5]
	s_andn2_b64 exec, exec, s[18:19]
	s_cbranch_execz .LBB264_107
.LBB264_9:                              ; =>This Inner Loop Header: Depth=1
	global_load_dword v1, v[5:6], off
	v_mov_b32_e32 v21, 0
	s_waitcnt vmcnt(0)
	v_mad_i64_i32 v[7:8], s[4:5], v1, s40, v[3:4]
	s_waitcnt lgkmcnt(0)
	global_load_dword v9, v[7:8], off
	global_load_dword v20, v2, s[12:13]
	s_waitcnt vmcnt(1)
	v_cmp_ne_u16_sdwa s[4:5], v9, v2 src0_sel:BYTE_0 src1_sel:DWORD
	s_and_saveexec_b64 s[34:35], s[4:5]
	s_cbranch_execz .LBB264_15
; %bb.10:                               ;   in Loop: Header=BB264_9 Depth=1
	v_cmp_ne_u16_sdwa s[4:5], v9, s42 src0_sel:BYTE_0 src1_sel:DWORD
	v_mov_b32_e32 v21, 0x8000
	s_and_saveexec_b64 s[36:37], s[4:5]
	s_cbranch_execz .LBB264_14
; %bb.11:                               ;   in Loop: Header=BB264_9 Depth=1
	v_and_b32_e32 v1, 0x7f, v9
	v_cmp_ne_u32_e64 s[4:5], s43, v1
	v_mov_b32_e32 v21, 0x7c01
	s_and_saveexec_b64 s[38:39], s[4:5]
	s_cbranch_execz .LBB264_13
; %bb.12:                               ;   in Loop: Header=BB264_9 Depth=1
	v_and_b32_e32 v23, 7, v9
	v_ffbh_u32_e32 v21, v23
	v_min_u32_e32 v25, 32, v21
	v_subrev_u32_e32 v21, 28, v25
	v_lshlrev_b64 v[21:22], v21, v[9:10]
	v_lshrrev_b32_e32 v24, 3, v1
	v_sub_u32_e32 v22, 29, v25
	v_cmp_gt_u32_e64 s[4:5], 8, v1
	v_cndmask_b32_e64 v1, v24, v22, s[4:5]
	v_lshl_add_u32 v1, v1, 10, v18
	v_lshlrev_b32_e32 v22, 8, v9
	v_and_b32_e32 v21, 7, v21
	v_and_b32_e32 v1, 0xfc00, v1
	v_cndmask_b32_e64 v21, v23, v21, s[4:5]
	v_and_or_b32 v1, v22, s44, v1
	v_lshl_or_b32 v21, v21, 7, v1
.LBB264_13:                             ;   in Loop: Header=BB264_9 Depth=1
	s_or_b64 exec, exec, s[38:39]
.LBB264_14:                             ;   in Loop: Header=BB264_9 Depth=1
	s_or_b64 exec, exec, s[36:37]
.LBB264_15:                             ;   in Loop: Header=BB264_9 Depth=1
	s_or_b64 exec, exec, s[34:35]
	v_lshrrev_b16_e32 v1, 8, v9
	v_cmp_ne_u16_e64 s[4:5], 0, v1
	v_mov_b32_e32 v22, 0
	v_mov_b32_e32 v23, 0
	s_and_saveexec_b64 s[34:35], s[4:5]
	s_cbranch_execz .LBB264_21
; %bb.16:                               ;   in Loop: Header=BB264_9 Depth=1
	v_cmp_ne_u16_e64 s[4:5], s42, v1
	v_bfrev_b32_e32 v23, 1
	s_and_saveexec_b64 s[36:37], s[4:5]
	s_cbranch_execz .LBB264_20
; %bb.17:                               ;   in Loop: Header=BB264_9 Depth=1
	v_and_b32_e32 v24, 0x7f, v1
	v_cmp_ne_u32_e64 s[4:5], s43, v24
	v_mov_b32_e32 v23, 0x7c010000
	s_and_saveexec_b64 s[38:39], s[4:5]
	s_cbranch_execz .LBB264_19
; %bb.18:                               ;   in Loop: Header=BB264_9 Depth=1
	v_and_b32_e32 v23, 7, v1
	v_ffbh_u32_e32 v25, v23
	v_min_u32_e32 v28, 32, v25
	v_subrev_u32_e32 v25, 28, v28
	v_lshlrev_b64 v[25:26], v25, v[1:2]
	v_lshrrev_b32_e32 v27, 3, v24
	v_sub_u32_e32 v26, 29, v28
	v_cmp_gt_u32_e64 s[4:5], 8, v24
	v_cndmask_b32_e64 v24, v27, v26, s[4:5]
	v_lshlrev_b32_e32 v1, 8, v1
	v_lshl_add_u32 v24, v24, 10, v18
	v_and_b32_e32 v25, 7, v25
	v_and_or_b32 v1, v1, s44, v24
	v_cndmask_b32_e64 v23, v23, v25, s[4:5]
	v_lshlrev_b32_e32 v1, 16, v1
	v_lshl_or_b32 v23, v23, 23, v1
.LBB264_19:                             ;   in Loop: Header=BB264_9 Depth=1
	s_or_b64 exec, exec, s[38:39]
.LBB264_20:                             ;   in Loop: Header=BB264_9 Depth=1
	s_or_b64 exec, exec, s[36:37]
.LBB264_21:                             ;   in Loop: Header=BB264_9 Depth=1
	s_or_b64 exec, exec, s[34:35]
	v_lshrrev_b32_e32 v1, 16, v9
	v_cmp_ne_u16_sdwa s[4:5], v1, v2 src0_sel:BYTE_0 src1_sel:DWORD
	s_and_saveexec_b64 s[34:35], s[4:5]
	s_cbranch_execz .LBB264_27
; %bb.22:                               ;   in Loop: Header=BB264_9 Depth=1
	v_cmp_ne_u16_sdwa s[4:5], v1, s42 src0_sel:BYTE_0 src1_sel:DWORD
	v_mov_b32_e32 v22, 0x8000
	s_and_saveexec_b64 s[36:37], s[4:5]
	s_cbranch_execz .LBB264_26
; %bb.23:                               ;   in Loop: Header=BB264_9 Depth=1
	v_bfe_u32 v24, v9, 16, 7
	v_cmp_ne_u32_e64 s[4:5], s43, v24
	v_mov_b32_e32 v22, 0x7c01
	s_and_saveexec_b64 s[38:39], s[4:5]
	s_cbranch_execz .LBB264_25
; %bb.24:                               ;   in Loop: Header=BB264_9 Depth=1
	v_and_b32_e32 v22, 7, v1
	v_ffbh_u32_e32 v25, v22
	v_min_u32_e32 v28, 32, v25
	v_subrev_u32_e32 v25, 28, v28
	v_lshlrev_b64 v[25:26], v25, v[1:2]
	v_lshrrev_b32_e32 v27, 3, v24
	v_sub_u32_e32 v26, 29, v28
	v_cmp_gt_u32_e64 s[4:5], 8, v24
	v_cndmask_b32_e64 v24, v27, v26, s[4:5]
	v_lshl_add_u32 v24, v24, 10, v18
	v_lshlrev_b32_e32 v1, 8, v1
	v_and_b32_e32 v25, 7, v25
	v_and_b32_e32 v24, 0xfc00, v24
	v_cndmask_b32_e64 v22, v22, v25, s[4:5]
	v_and_or_b32 v1, v1, s44, v24
	v_lshl_or_b32 v22, v22, 7, v1
.LBB264_25:                             ;   in Loop: Header=BB264_9 Depth=1
	s_or_b64 exec, exec, s[38:39]
.LBB264_26:                             ;   in Loop: Header=BB264_9 Depth=1
	s_or_b64 exec, exec, s[36:37]
.LBB264_27:                             ;   in Loop: Header=BB264_9 Depth=1
	s_or_b64 exec, exec, s[34:35]
	v_cmp_lt_u32_e64 s[4:5], s45, v9
	v_mov_b32_e32 v25, 0
	v_mov_b32_e32 v24, 0
	s_and_saveexec_b64 s[34:35], s[4:5]
	s_cbranch_execz .LBB264_33
; %bb.28:                               ;   in Loop: Header=BB264_9 Depth=1
	v_lshrrev_b32_e32 v1, 24, v9
	v_cmp_ne_u32_e64 s[4:5], s42, v1
	v_bfrev_b32_e32 v24, 1
	s_and_saveexec_b64 s[36:37], s[4:5]
	s_cbranch_execz .LBB264_32
; %bb.29:                               ;   in Loop: Header=BB264_9 Depth=1
	v_and_b32_e32 v9, 0x7f, v1
	v_cmp_ne_u32_e64 s[4:5], s43, v9
	v_mov_b32_e32 v24, 0x7c010000
	s_and_saveexec_b64 s[38:39], s[4:5]
	s_cbranch_execz .LBB264_31
; %bb.30:                               ;   in Loop: Header=BB264_9 Depth=1
	v_and_b32_e32 v24, 7, v1
	v_ffbh_u32_e32 v26, v24
	v_min_u32_e32 v29, 32, v26
	v_subrev_u32_e32 v26, 28, v29
	v_lshlrev_b64 v[26:27], v26, v[1:2]
	v_lshrrev_b32_e32 v28, 3, v9
	v_sub_u32_e32 v27, 29, v29
	v_cmp_gt_u32_e64 s[4:5], 8, v9
	v_cndmask_b32_e64 v9, v28, v27, s[4:5]
	v_lshlrev_b32_e32 v1, 8, v1
	v_lshl_add_u32 v9, v9, 10, v18
	v_and_b32_e32 v26, 7, v26
	v_and_or_b32 v1, v1, s44, v9
	v_cndmask_b32_e64 v24, v24, v26, s[4:5]
	v_lshlrev_b32_e32 v1, 16, v1
	v_lshl_or_b32 v24, v24, 23, v1
.LBB264_31:                             ;   in Loop: Header=BB264_9 Depth=1
	s_or_b64 exec, exec, s[38:39]
.LBB264_32:                             ;   in Loop: Header=BB264_9 Depth=1
	s_or_b64 exec, exec, s[36:37]
.LBB264_33:                             ;   in Loop: Header=BB264_9 Depth=1
	s_or_b64 exec, exec, s[34:35]
	global_load_dword v9, v[7:8], off offset:8
	s_waitcnt vmcnt(0)
	v_cmp_ne_u16_sdwa s[4:5], v9, v2 src0_sel:BYTE_0 src1_sel:DWORD
	s_and_saveexec_b64 s[34:35], s[4:5]
	s_cbranch_execz .LBB264_39
; %bb.34:                               ;   in Loop: Header=BB264_9 Depth=1
	v_cmp_ne_u16_sdwa s[4:5], v9, s42 src0_sel:BYTE_0 src1_sel:DWORD
	v_mov_b32_e32 v25, 0x8000
	s_and_saveexec_b64 s[36:37], s[4:5]
	s_cbranch_execz .LBB264_38
; %bb.35:                               ;   in Loop: Header=BB264_9 Depth=1
	v_and_b32_e32 v1, 0x7f, v9
	v_cmp_ne_u32_e64 s[4:5], s43, v1
	v_mov_b32_e32 v25, 0x7c01
	s_and_saveexec_b64 s[38:39], s[4:5]
	s_cbranch_execz .LBB264_37
; %bb.36:                               ;   in Loop: Header=BB264_9 Depth=1
	v_and_b32_e32 v27, 7, v9
	v_ffbh_u32_e32 v25, v27
	v_min_u32_e32 v29, 32, v25
	v_subrev_u32_e32 v25, 28, v29
	v_lshlrev_b64 v[25:26], v25, v[9:10]
	v_lshrrev_b32_e32 v28, 3, v1
	v_sub_u32_e32 v26, 29, v29
	v_cmp_gt_u32_e64 s[4:5], 8, v1
	v_cndmask_b32_e64 v1, v28, v26, s[4:5]
	v_lshl_add_u32 v1, v1, 10, v18
	v_lshlrev_b32_e32 v26, 8, v9
	v_and_b32_e32 v25, 7, v25
	v_and_b32_e32 v1, 0xfc00, v1
	v_cndmask_b32_e64 v25, v27, v25, s[4:5]
	v_and_or_b32 v1, v26, s44, v1
	v_lshl_or_b32 v25, v25, 7, v1
.LBB264_37:                             ;   in Loop: Header=BB264_9 Depth=1
	s_or_b64 exec, exec, s[38:39]
.LBB264_38:                             ;   in Loop: Header=BB264_9 Depth=1
	s_or_b64 exec, exec, s[36:37]
.LBB264_39:                             ;   in Loop: Header=BB264_9 Depth=1
	s_or_b64 exec, exec, s[34:35]
	v_lshrrev_b16_e32 v1, 8, v9
	v_cmp_ne_u16_e64 s[4:5], 0, v1
	v_mov_b32_e32 v26, 0
	v_mov_b32_e32 v27, 0
	s_and_saveexec_b64 s[34:35], s[4:5]
	s_cbranch_execz .LBB264_45
; %bb.40:                               ;   in Loop: Header=BB264_9 Depth=1
	v_cmp_ne_u16_e64 s[4:5], s42, v1
	v_bfrev_b32_e32 v27, 1
	s_and_saveexec_b64 s[36:37], s[4:5]
	s_cbranch_execz .LBB264_44
; %bb.41:                               ;   in Loop: Header=BB264_9 Depth=1
	v_and_b32_e32 v28, 0x7f, v1
	v_cmp_ne_u32_e64 s[4:5], s43, v28
	v_mov_b32_e32 v27, 0x7c010000
	s_and_saveexec_b64 s[38:39], s[4:5]
	s_cbranch_execz .LBB264_43
; %bb.42:                               ;   in Loop: Header=BB264_9 Depth=1
	v_and_b32_e32 v27, 7, v1
	v_ffbh_u32_e32 v29, v27
	v_min_u32_e32 v32, 32, v29
	v_subrev_u32_e32 v29, 28, v32
	v_lshlrev_b64 v[29:30], v29, v[1:2]
	v_lshrrev_b32_e32 v31, 3, v28
	v_sub_u32_e32 v30, 29, v32
	v_cmp_gt_u32_e64 s[4:5], 8, v28
	v_cndmask_b32_e64 v28, v31, v30, s[4:5]
	v_lshlrev_b32_e32 v1, 8, v1
	v_lshl_add_u32 v28, v28, 10, v18
	v_and_b32_e32 v29, 7, v29
	v_and_or_b32 v1, v1, s44, v28
	v_cndmask_b32_e64 v27, v27, v29, s[4:5]
	v_lshlrev_b32_e32 v1, 16, v1
	v_lshl_or_b32 v27, v27, 23, v1
.LBB264_43:                             ;   in Loop: Header=BB264_9 Depth=1
	s_or_b64 exec, exec, s[38:39]
.LBB264_44:                             ;   in Loop: Header=BB264_9 Depth=1
	s_or_b64 exec, exec, s[36:37]
.LBB264_45:                             ;   in Loop: Header=BB264_9 Depth=1
	s_or_b64 exec, exec, s[34:35]
	v_lshrrev_b32_e32 v1, 16, v9
	v_cmp_ne_u16_sdwa s[4:5], v1, v2 src0_sel:BYTE_0 src1_sel:DWORD
	s_and_saveexec_b64 s[34:35], s[4:5]
	s_cbranch_execz .LBB264_51
; %bb.46:                               ;   in Loop: Header=BB264_9 Depth=1
	v_cmp_ne_u16_sdwa s[4:5], v1, s42 src0_sel:BYTE_0 src1_sel:DWORD
	v_mov_b32_e32 v26, 0x8000
	s_and_saveexec_b64 s[36:37], s[4:5]
	s_cbranch_execz .LBB264_50
; %bb.47:                               ;   in Loop: Header=BB264_9 Depth=1
	v_bfe_u32 v28, v9, 16, 7
	v_cmp_ne_u32_e64 s[4:5], s43, v28
	v_mov_b32_e32 v26, 0x7c01
	s_and_saveexec_b64 s[38:39], s[4:5]
	s_cbranch_execz .LBB264_49
; %bb.48:                               ;   in Loop: Header=BB264_9 Depth=1
	v_and_b32_e32 v26, 7, v1
	v_ffbh_u32_e32 v29, v26
	v_min_u32_e32 v32, 32, v29
	v_subrev_u32_e32 v29, 28, v32
	v_lshlrev_b64 v[29:30], v29, v[1:2]
	v_lshrrev_b32_e32 v31, 3, v28
	v_sub_u32_e32 v30, 29, v32
	v_cmp_gt_u32_e64 s[4:5], 8, v28
	v_cndmask_b32_e64 v28, v31, v30, s[4:5]
	v_lshl_add_u32 v28, v28, 10, v18
	v_lshlrev_b32_e32 v1, 8, v1
	v_and_b32_e32 v29, 7, v29
	v_and_b32_e32 v28, 0xfc00, v28
	v_cndmask_b32_e64 v26, v26, v29, s[4:5]
	v_and_or_b32 v1, v1, s44, v28
	v_lshl_or_b32 v26, v26, 7, v1
.LBB264_49:                             ;   in Loop: Header=BB264_9 Depth=1
	s_or_b64 exec, exec, s[38:39]
.LBB264_50:                             ;   in Loop: Header=BB264_9 Depth=1
	s_or_b64 exec, exec, s[36:37]
.LBB264_51:                             ;   in Loop: Header=BB264_9 Depth=1
	s_or_b64 exec, exec, s[34:35]
	v_cmp_lt_u32_e64 s[4:5], s45, v9
	v_mov_b32_e32 v29, 0
	v_mov_b32_e32 v28, 0
	s_and_saveexec_b64 s[34:35], s[4:5]
	s_cbranch_execz .LBB264_57
; %bb.52:                               ;   in Loop: Header=BB264_9 Depth=1
	v_lshrrev_b32_e32 v1, 24, v9
	v_cmp_ne_u32_e64 s[4:5], s42, v1
	v_bfrev_b32_e32 v28, 1
	s_and_saveexec_b64 s[36:37], s[4:5]
	s_cbranch_execz .LBB264_56
; %bb.53:                               ;   in Loop: Header=BB264_9 Depth=1
	v_and_b32_e32 v9, 0x7f, v1
	v_cmp_ne_u32_e64 s[4:5], s43, v9
	v_mov_b32_e32 v28, 0x7c010000
	s_and_saveexec_b64 s[38:39], s[4:5]
	s_cbranch_execz .LBB264_55
; %bb.54:                               ;   in Loop: Header=BB264_9 Depth=1
	v_and_b32_e32 v28, 7, v1
	v_ffbh_u32_e32 v30, v28
	v_min_u32_e32 v33, 32, v30
	v_subrev_u32_e32 v30, 28, v33
	v_lshlrev_b64 v[30:31], v30, v[1:2]
	v_lshrrev_b32_e32 v32, 3, v9
	v_sub_u32_e32 v31, 29, v33
	v_cmp_gt_u32_e64 s[4:5], 8, v9
	v_cndmask_b32_e64 v9, v32, v31, s[4:5]
	v_lshlrev_b32_e32 v1, 8, v1
	v_lshl_add_u32 v9, v9, 10, v18
	v_and_b32_e32 v30, 7, v30
	v_and_or_b32 v1, v1, s44, v9
	v_cndmask_b32_e64 v28, v28, v30, s[4:5]
	v_lshlrev_b32_e32 v1, 16, v1
	v_lshl_or_b32 v28, v28, 23, v1
.LBB264_55:                             ;   in Loop: Header=BB264_9 Depth=1
	s_or_b64 exec, exec, s[38:39]
.LBB264_56:                             ;   in Loop: Header=BB264_9 Depth=1
	s_or_b64 exec, exec, s[36:37]
.LBB264_57:                             ;   in Loop: Header=BB264_9 Depth=1
	s_or_b64 exec, exec, s[34:35]
	global_load_dword v9, v[7:8], off offset:512
	s_waitcnt vmcnt(0)
	v_cmp_ne_u16_sdwa s[4:5], v9, v2 src0_sel:BYTE_0 src1_sel:DWORD
	s_and_saveexec_b64 s[34:35], s[4:5]
	s_cbranch_execz .LBB264_63
; %bb.58:                               ;   in Loop: Header=BB264_9 Depth=1
	v_cmp_ne_u16_sdwa s[4:5], v9, s42 src0_sel:BYTE_0 src1_sel:DWORD
	v_mov_b32_e32 v29, 0x8000
	s_and_saveexec_b64 s[36:37], s[4:5]
	s_cbranch_execz .LBB264_62
; %bb.59:                               ;   in Loop: Header=BB264_9 Depth=1
	v_and_b32_e32 v1, 0x7f, v9
	v_cmp_ne_u32_e64 s[4:5], s43, v1
	v_mov_b32_e32 v29, 0x7c01
	s_and_saveexec_b64 s[38:39], s[4:5]
	s_cbranch_execz .LBB264_61
; %bb.60:                               ;   in Loop: Header=BB264_9 Depth=1
	v_and_b32_e32 v31, 7, v9
	v_ffbh_u32_e32 v29, v31
	v_min_u32_e32 v33, 32, v29
	v_subrev_u32_e32 v29, 28, v33
	v_lshlrev_b64 v[29:30], v29, v[9:10]
	v_lshrrev_b32_e32 v32, 3, v1
	v_sub_u32_e32 v30, 29, v33
	v_cmp_gt_u32_e64 s[4:5], 8, v1
	v_cndmask_b32_e64 v1, v32, v30, s[4:5]
	v_lshl_add_u32 v1, v1, 10, v18
	v_lshlrev_b32_e32 v30, 8, v9
	v_and_b32_e32 v29, 7, v29
	v_and_b32_e32 v1, 0xfc00, v1
	v_cndmask_b32_e64 v29, v31, v29, s[4:5]
	v_and_or_b32 v1, v30, s44, v1
	v_lshl_or_b32 v29, v29, 7, v1
.LBB264_61:                             ;   in Loop: Header=BB264_9 Depth=1
	s_or_b64 exec, exec, s[38:39]
.LBB264_62:                             ;   in Loop: Header=BB264_9 Depth=1
	s_or_b64 exec, exec, s[36:37]
.LBB264_63:                             ;   in Loop: Header=BB264_9 Depth=1
	s_or_b64 exec, exec, s[34:35]
	v_lshrrev_b16_e32 v1, 8, v9
	v_cmp_ne_u16_e64 s[4:5], 0, v1
	v_mov_b32_e32 v30, 0
	v_mov_b32_e32 v31, 0
	s_and_saveexec_b64 s[34:35], s[4:5]
	s_cbranch_execz .LBB264_69
; %bb.64:                               ;   in Loop: Header=BB264_9 Depth=1
	v_cmp_ne_u16_e64 s[4:5], s42, v1
	v_bfrev_b32_e32 v31, 1
	s_and_saveexec_b64 s[36:37], s[4:5]
	s_cbranch_execz .LBB264_68
; %bb.65:                               ;   in Loop: Header=BB264_9 Depth=1
	v_and_b32_e32 v32, 0x7f, v1
	v_cmp_ne_u32_e64 s[4:5], s43, v32
	v_mov_b32_e32 v31, 0x7c010000
	s_and_saveexec_b64 s[38:39], s[4:5]
	s_cbranch_execz .LBB264_67
; %bb.66:                               ;   in Loop: Header=BB264_9 Depth=1
	v_and_b32_e32 v31, 7, v1
	v_ffbh_u32_e32 v33, v31
	v_min_u32_e32 v36, 32, v33
	v_subrev_u32_e32 v33, 28, v36
	v_lshlrev_b64 v[33:34], v33, v[1:2]
	v_lshrrev_b32_e32 v35, 3, v32
	v_sub_u32_e32 v34, 29, v36
	v_cmp_gt_u32_e64 s[4:5], 8, v32
	v_cndmask_b32_e64 v32, v35, v34, s[4:5]
	v_lshlrev_b32_e32 v1, 8, v1
	v_lshl_add_u32 v32, v32, 10, v18
	v_and_b32_e32 v33, 7, v33
	v_and_or_b32 v1, v1, s44, v32
	v_cndmask_b32_e64 v31, v31, v33, s[4:5]
	v_lshlrev_b32_e32 v1, 16, v1
	v_lshl_or_b32 v31, v31, 23, v1
.LBB264_67:                             ;   in Loop: Header=BB264_9 Depth=1
	s_or_b64 exec, exec, s[38:39]
.LBB264_68:                             ;   in Loop: Header=BB264_9 Depth=1
	s_or_b64 exec, exec, s[36:37]
.LBB264_69:                             ;   in Loop: Header=BB264_9 Depth=1
	s_or_b64 exec, exec, s[34:35]
	v_lshrrev_b32_e32 v1, 16, v9
	v_cmp_ne_u16_sdwa s[4:5], v1, v2 src0_sel:BYTE_0 src1_sel:DWORD
	s_and_saveexec_b64 s[34:35], s[4:5]
	s_cbranch_execz .LBB264_75
; %bb.70:                               ;   in Loop: Header=BB264_9 Depth=1
	v_cmp_ne_u16_sdwa s[4:5], v1, s42 src0_sel:BYTE_0 src1_sel:DWORD
	v_mov_b32_e32 v30, 0x8000
	s_and_saveexec_b64 s[36:37], s[4:5]
	s_cbranch_execz .LBB264_74
; %bb.71:                               ;   in Loop: Header=BB264_9 Depth=1
	v_bfe_u32 v32, v9, 16, 7
	v_cmp_ne_u32_e64 s[4:5], s43, v32
	v_mov_b32_e32 v30, 0x7c01
	s_and_saveexec_b64 s[38:39], s[4:5]
	s_cbranch_execz .LBB264_73
; %bb.72:                               ;   in Loop: Header=BB264_9 Depth=1
	v_and_b32_e32 v30, 7, v1
	v_ffbh_u32_e32 v33, v30
	v_min_u32_e32 v36, 32, v33
	v_subrev_u32_e32 v33, 28, v36
	v_lshlrev_b64 v[33:34], v33, v[1:2]
	v_lshrrev_b32_e32 v35, 3, v32
	v_sub_u32_e32 v34, 29, v36
	v_cmp_gt_u32_e64 s[4:5], 8, v32
	v_cndmask_b32_e64 v32, v35, v34, s[4:5]
	v_lshl_add_u32 v32, v32, 10, v18
	v_lshlrev_b32_e32 v1, 8, v1
	v_and_b32_e32 v33, 7, v33
	v_and_b32_e32 v32, 0xfc00, v32
	v_cndmask_b32_e64 v30, v30, v33, s[4:5]
	v_and_or_b32 v1, v1, s44, v32
	v_lshl_or_b32 v30, v30, 7, v1
.LBB264_73:                             ;   in Loop: Header=BB264_9 Depth=1
	s_or_b64 exec, exec, s[38:39]
.LBB264_74:                             ;   in Loop: Header=BB264_9 Depth=1
	s_or_b64 exec, exec, s[36:37]
.LBB264_75:                             ;   in Loop: Header=BB264_9 Depth=1
	s_or_b64 exec, exec, s[34:35]
	v_cmp_lt_u32_e64 s[4:5], s45, v9
	v_mov_b32_e32 v32, 0
	v_mov_b32_e32 v33, 0
	s_and_saveexec_b64 s[34:35], s[4:5]
	s_cbranch_execz .LBB264_81
; %bb.76:                               ;   in Loop: Header=BB264_9 Depth=1
	v_lshrrev_b32_e32 v1, 24, v9
	v_cmp_ne_u32_e64 s[4:5], s42, v1
	v_bfrev_b32_e32 v33, 1
	s_and_saveexec_b64 s[36:37], s[4:5]
	s_cbranch_execz .LBB264_80
; %bb.77:                               ;   in Loop: Header=BB264_9 Depth=1
	v_and_b32_e32 v9, 0x7f, v1
	v_cmp_ne_u32_e64 s[4:5], s43, v9
	v_mov_b32_e32 v33, 0x7c010000
	s_and_saveexec_b64 s[38:39], s[4:5]
	s_cbranch_execz .LBB264_79
; %bb.78:                               ;   in Loop: Header=BB264_9 Depth=1
	v_and_b32_e32 v35, 7, v1
	v_ffbh_u32_e32 v33, v35
	v_min_u32_e32 v37, 32, v33
	v_subrev_u32_e32 v33, 28, v37
	v_lshlrev_b64 v[33:34], v33, v[1:2]
	v_lshrrev_b32_e32 v36, 3, v9
	v_sub_u32_e32 v34, 29, v37
	v_cmp_gt_u32_e64 s[4:5], 8, v9
	v_cndmask_b32_e64 v9, v36, v34, s[4:5]
	v_lshlrev_b32_e32 v1, 8, v1
	v_lshl_add_u32 v9, v9, 10, v18
	v_and_b32_e32 v33, 7, v33
	v_and_or_b32 v1, v1, s44, v9
	v_cndmask_b32_e64 v33, v35, v33, s[4:5]
	v_lshlrev_b32_e32 v1, 16, v1
	v_lshl_or_b32 v33, v33, 23, v1
.LBB264_79:                             ;   in Loop: Header=BB264_9 Depth=1
	s_or_b64 exec, exec, s[38:39]
.LBB264_80:                             ;   in Loop: Header=BB264_9 Depth=1
	s_or_b64 exec, exec, s[36:37]
.LBB264_81:                             ;   in Loop: Header=BB264_9 Depth=1
	s_or_b64 exec, exec, s[34:35]
	global_load_dword v7, v[7:8], off offset:520
	s_waitcnt vmcnt(0)
	v_cmp_ne_u16_sdwa s[4:5], v7, v2 src0_sel:BYTE_0 src1_sel:DWORD
	s_and_saveexec_b64 s[34:35], s[4:5]
	s_cbranch_execz .LBB264_87
; %bb.82:                               ;   in Loop: Header=BB264_9 Depth=1
	v_cmp_ne_u16_sdwa s[4:5], v7, s42 src0_sel:BYTE_0 src1_sel:DWORD
	v_mov_b32_e32 v32, 0x8000
	s_and_saveexec_b64 s[36:37], s[4:5]
	s_cbranch_execz .LBB264_86
; %bb.83:                               ;   in Loop: Header=BB264_9 Depth=1
	v_and_b32_e32 v1, 0x7f, v7
	v_cmp_ne_u32_e64 s[4:5], s43, v1
	v_mov_b32_e32 v32, 0x7c01
	s_and_saveexec_b64 s[38:39], s[4:5]
	s_cbranch_execz .LBB264_85
; %bb.84:                               ;   in Loop: Header=BB264_9 Depth=1
	v_and_b32_e32 v32, 7, v7
	v_ffbh_u32_e32 v8, v32
	v_min_u32_e32 v35, 32, v8
	v_subrev_u32_e32 v8, 28, v35
	v_lshlrev_b64 v[8:9], v8, v[7:8]
	v_lshrrev_b32_e32 v34, 3, v1
	v_sub_u32_e32 v9, 29, v35
	v_cmp_gt_u32_e64 s[4:5], 8, v1
	v_cndmask_b32_e64 v1, v34, v9, s[4:5]
	v_lshl_add_u32 v1, v1, 10, v18
	v_lshlrev_b32_e32 v9, 8, v7
	v_and_b32_e32 v8, 7, v8
	v_and_b32_e32 v1, 0xfc00, v1
	v_cndmask_b32_e64 v8, v32, v8, s[4:5]
	v_and_or_b32 v1, v9, s44, v1
	v_lshl_or_b32 v32, v8, 7, v1
.LBB264_85:                             ;   in Loop: Header=BB264_9 Depth=1
	s_or_b64 exec, exec, s[38:39]
.LBB264_86:                             ;   in Loop: Header=BB264_9 Depth=1
	s_or_b64 exec, exec, s[36:37]
.LBB264_87:                             ;   in Loop: Header=BB264_9 Depth=1
	s_or_b64 exec, exec, s[34:35]
	v_lshrrev_b16_e32 v1, 8, v7
	v_cmp_ne_u16_e64 s[4:5], 0, v1
	v_mov_b32_e32 v8, 0
	v_mov_b32_e32 v9, 0
	s_and_saveexec_b64 s[34:35], s[4:5]
	s_cbranch_execz .LBB264_93
; %bb.88:                               ;   in Loop: Header=BB264_9 Depth=1
	v_cmp_ne_u16_e64 s[4:5], s42, v1
	v_bfrev_b32_e32 v9, 1
	s_and_saveexec_b64 s[36:37], s[4:5]
	s_cbranch_execz .LBB264_92
; %bb.89:                               ;   in Loop: Header=BB264_9 Depth=1
	v_and_b32_e32 v34, 0x7f, v1
	v_cmp_ne_u32_e64 s[4:5], s43, v34
	v_mov_b32_e32 v9, 0x7c010000
	s_and_saveexec_b64 s[38:39], s[4:5]
	s_cbranch_execz .LBB264_91
; %bb.90:                               ;   in Loop: Header=BB264_9 Depth=1
	v_and_b32_e32 v9, 7, v1
	v_ffbh_u32_e32 v35, v9
	v_min_u32_e32 v38, 32, v35
	v_subrev_u32_e32 v35, 28, v38
	v_lshlrev_b64 v[35:36], v35, v[1:2]
	v_lshrrev_b32_e32 v37, 3, v34
	v_sub_u32_e32 v36, 29, v38
	v_cmp_gt_u32_e64 s[4:5], 8, v34
	v_cndmask_b32_e64 v34, v37, v36, s[4:5]
	v_lshlrev_b32_e32 v1, 8, v1
	v_lshl_add_u32 v34, v34, 10, v18
	v_and_b32_e32 v35, 7, v35
	v_and_or_b32 v1, v1, s44, v34
	v_cndmask_b32_e64 v9, v9, v35, s[4:5]
	v_lshlrev_b32_e32 v1, 16, v1
	v_lshl_or_b32 v9, v9, 23, v1
.LBB264_91:                             ;   in Loop: Header=BB264_9 Depth=1
	s_or_b64 exec, exec, s[38:39]
.LBB264_92:                             ;   in Loop: Header=BB264_9 Depth=1
	s_or_b64 exec, exec, s[36:37]
.LBB264_93:                             ;   in Loop: Header=BB264_9 Depth=1
	s_or_b64 exec, exec, s[34:35]
	v_lshrrev_b32_e32 v1, 16, v7
	v_cmp_ne_u16_sdwa s[4:5], v1, v2 src0_sel:BYTE_0 src1_sel:DWORD
	s_and_saveexec_b64 s[34:35], s[4:5]
	s_cbranch_execz .LBB264_99
; %bb.94:                               ;   in Loop: Header=BB264_9 Depth=1
	v_cmp_ne_u16_sdwa s[4:5], v1, s42 src0_sel:BYTE_0 src1_sel:DWORD
	v_mov_b32_e32 v8, 0x8000
	s_and_saveexec_b64 s[36:37], s[4:5]
	s_cbranch_execz .LBB264_98
; %bb.95:                               ;   in Loop: Header=BB264_9 Depth=1
	v_bfe_u32 v34, v7, 16, 7
	v_cmp_ne_u32_e64 s[4:5], s43, v34
	v_mov_b32_e32 v8, 0x7c01
	s_and_saveexec_b64 s[38:39], s[4:5]
	s_cbranch_execz .LBB264_97
; %bb.96:                               ;   in Loop: Header=BB264_9 Depth=1
	v_and_b32_e32 v8, 7, v1
	v_ffbh_u32_e32 v35, v8
	v_min_u32_e32 v38, 32, v35
	v_subrev_u32_e32 v35, 28, v38
	v_lshlrev_b64 v[35:36], v35, v[1:2]
	v_lshrrev_b32_e32 v37, 3, v34
	v_sub_u32_e32 v36, 29, v38
	v_cmp_gt_u32_e64 s[4:5], 8, v34
	v_cndmask_b32_e64 v34, v37, v36, s[4:5]
	v_lshl_add_u32 v34, v34, 10, v18
	v_lshlrev_b32_e32 v1, 8, v1
	v_and_b32_e32 v35, 7, v35
	v_and_b32_e32 v34, 0xfc00, v34
	v_cndmask_b32_e64 v8, v8, v35, s[4:5]
	v_and_or_b32 v1, v1, s44, v34
	v_lshl_or_b32 v8, v8, 7, v1
.LBB264_97:                             ;   in Loop: Header=BB264_9 Depth=1
	s_or_b64 exec, exec, s[38:39]
.LBB264_98:                             ;   in Loop: Header=BB264_9 Depth=1
	s_or_b64 exec, exec, s[36:37]
.LBB264_99:                             ;   in Loop: Header=BB264_9 Depth=1
	s_or_b64 exec, exec, s[34:35]
	v_cmp_lt_u32_e64 s[4:5], s45, v7
	v_mov_b32_e32 v34, 0
	s_and_saveexec_b64 s[34:35], s[4:5]
	s_cbranch_execz .LBB264_105
; %bb.100:                              ;   in Loop: Header=BB264_9 Depth=1
	v_lshrrev_b32_e32 v1, 24, v7
	v_cmp_ne_u32_e64 s[4:5], s42, v1
	v_bfrev_b32_e32 v34, 1
	s_and_saveexec_b64 s[36:37], s[4:5]
	s_cbranch_execz .LBB264_104
; %bb.101:                              ;   in Loop: Header=BB264_9 Depth=1
	v_and_b32_e32 v7, 0x7f, v1
	v_cmp_ne_u32_e64 s[4:5], s43, v7
	v_mov_b32_e32 v34, 0x7c010000
	s_and_saveexec_b64 s[38:39], s[4:5]
	s_cbranch_execz .LBB264_103
; %bb.102:                              ;   in Loop: Header=BB264_9 Depth=1
	v_and_b32_e32 v36, 7, v1
	v_ffbh_u32_e32 v34, v36
	v_min_u32_e32 v38, 32, v34
	v_subrev_u32_e32 v34, 28, v38
	v_lshlrev_b64 v[34:35], v34, v[1:2]
	v_lshrrev_b32_e32 v37, 3, v7
	v_sub_u32_e32 v35, 29, v38
	v_cmp_gt_u32_e64 s[4:5], 8, v7
	v_cndmask_b32_e64 v7, v37, v35, s[4:5]
	v_lshlrev_b32_e32 v1, 8, v1
	v_lshl_add_u32 v7, v7, 10, v18
	v_and_b32_e32 v34, 7, v34
	v_and_or_b32 v1, v1, s44, v7
	v_cndmask_b32_e64 v34, v36, v34, s[4:5]
	v_lshlrev_b32_e32 v1, 16, v1
	v_lshl_or_b32 v34, v34, 23, v1
.LBB264_103:                            ;   in Loop: Header=BB264_9 Depth=1
	s_or_b64 exec, exec, s[38:39]
.LBB264_104:                            ;   in Loop: Header=BB264_9 Depth=1
	s_or_b64 exec, exec, s[36:37]
.LBB264_105:                            ;   in Loop: Header=BB264_9 Depth=1
	s_or_b64 exec, exec, s[34:35]
	v_or_b32_e32 v7, v33, v30
	v_or_b32_e32 v21, v23, v21
	;; [unrolled: 1-line block ×3, first 2 shown]
	v_fma_mixlo_f16 v29, v20, v31, 0 op_sel:[0,1,0] op_sel_hi:[0,1,0]
	v_fma_mixlo_f16 v30, v20, v7, 0 op_sel_hi:[0,1,0]
	v_fma_mixlo_f16 v31, v20, v33, 0 op_sel:[0,1,0] op_sel_hi:[0,1,0]
	v_or_b32_e32 v7, v27, v25
	v_fma_mixlo_f16 v25, v20, v27, 0 op_sel:[0,1,0] op_sel_hi:[0,1,0]
	v_or_b32_e32 v26, v28, v26
	v_fma_mixlo_f16 v27, v20, v28, 0 op_sel:[0,1,0] op_sel_hi:[0,1,0]
	v_fma_mixlo_f16 v28, v20, v21, 0 op_sel_hi:[0,1,0]
	v_or_b32_e32 v33, v24, v22
	ds_read_b64 v[21:22], v14
	v_fma_mixlo_f16 v23, v20, v23, 0 op_sel:[0,1,0] op_sel_hi:[0,1,0]
	v_fma_mixlo_f16 v33, v20, v33, 0 op_sel_hi:[0,1,0]
	v_fma_mixlo_f16 v24, v20, v24, 0 op_sel:[0,1,0] op_sel_hi:[0,1,0]
	v_fma_mixlo_f16 v7, v20, v7, 0 op_sel_hi:[0,1,0]
	s_waitcnt lgkmcnt(0)
	v_lshrrev_b32_e32 v36, 16, v21
	v_and_b32_e32 v21, 0xffff, v21
	;;#ASMSTART
	v_cvt_f32_f16 v35, v21;
	;;#ASMEND
	v_and_b32_e32 v21, 0xffff, v28
	;;#ASMSTART
	v_cvt_f32_f16 v36, v36;
	;;#ASMEND
	;;#ASMSTART
	v_cvt_f32_f16 v28, v21;
	;;#ASMEND
	v_and_b32_e32 v21, 0xffff, v23
	;;#ASMSTART
	v_cvt_f32_f16 v23, v21;
	;;#ASMEND
	v_lshrrev_b32_e32 v21, 16, v22
	v_and_b32_e32 v22, 0xffff, v22
	;;#ASMSTART
	v_cvt_f32_f16 v37, v22;
	;;#ASMEND
	;;#ASMSTART
	v_cvt_f32_f16 v38, v21;
	;;#ASMEND
	v_and_b32_e32 v21, 0xffff, v33
	;;#ASMSTART
	v_cvt_f32_f16 v33, v21;
	;;#ASMEND
	v_and_b32_e32 v21, 0xffff, v24
	;;#ASMSTART
	v_cvt_f32_f16 v24, v21;
	;;#ASMEND
	ds_read_b64 v[21:22], v14 offset:8
	v_or_b32_e32 v8, v34, v8
	v_or_b32_e32 v32, v9, v32
	v_fma_mixlo_f16 v39, v20, v8, 0 op_sel_hi:[0,1,0]
	v_and_b32_e32 v7, 0xffff, v7
	s_waitcnt lgkmcnt(0)
	v_and_b32_e32 v8, 0xffff, v21
	v_fma_mixlo_f16 v1, v20, v1, 0 op_sel_hi:[0,1,0]
	v_fma_mixlo_f16 v26, v20, v26, 0 op_sel_hi:[0,1,0]
	v_fma_mixlo_f16 v9, v20, v9, 0 op_sel:[0,1,0] op_sel_hi:[0,1,0]
	v_fma_mixlo_f16 v32, v20, v32, 0 op_sel_hi:[0,1,0]
	v_fma_mixlo_f16 v20, v20, v34, 0 op_sel:[0,1,0] op_sel_hi:[0,1,0]
	v_lshrrev_b32_e32 v34, 16, v21
	;;#ASMSTART
	v_cvt_f32_f16 v8, v8;
	;;#ASMEND
	;;#ASMSTART
	v_cvt_f32_f16 v21, v34;
	;;#ASMEND
	;; [unrolled: 3-line block ×3, first 2 shown]
	v_and_b32_e32 v25, 0xffff, v25
	;;#ASMSTART
	v_cvt_f32_f16 v25, v25;
	;;#ASMEND
	v_mul_f32_e32 v34, v8, v7
	v_mul_f32_e32 v21, v21, v25
	v_lshrrev_b32_e32 v7, 16, v22
	v_fmac_f32_e32 v21, v36, v23
	v_and_b32_e32 v8, 0xffff, v22
	;;#ASMSTART
	v_cvt_f32_f16 v22, v8;
	;;#ASMEND
	;;#ASMSTART
	v_cvt_f32_f16 v23, v7;
	;;#ASMEND
	v_and_b32_e32 v7, 0xffff, v26
	;;#ASMSTART
	v_cvt_f32_f16 v25, v7;
	;;#ASMEND
	v_and_b32_e32 v7, 0xffff, v27
	;;#ASMSTART
	v_cvt_f32_f16 v26, v7;
	;;#ASMEND
	ds_read_b64 v[7:8], v14 offset:16
	v_mul_f32_e32 v22, v22, v25
	v_mul_f32_e32 v23, v23, v26
	v_fmac_f32_e32 v23, v38, v24
	v_and_b32_e32 v1, 0xffff, v1
	s_waitcnt lgkmcnt(0)
	v_lshrrev_b32_e32 v25, 16, v7
	v_and_b32_e32 v7, 0xffff, v7
	;;#ASMSTART
	v_cvt_f32_f16 v24, v7;
	;;#ASMEND
	v_and_b32_e32 v7, 0xffff, v29
	;;#ASMSTART
	v_cvt_f32_f16 v25, v25;
	;;#ASMEND
	;;#ASMSTART
	v_cvt_f32_f16 v1, v1;
	;;#ASMEND
	;;#ASMSTART
	v_cvt_f32_f16 v26, v7;
	;;#ASMEND
	v_lshrrev_b32_e32 v7, 16, v8
	v_fmac_f32_e32 v34, v35, v28
	v_and_b32_e32 v8, 0xffff, v8
	;;#ASMSTART
	v_cvt_f32_f16 v27, v8;
	;;#ASMEND
	;;#ASMSTART
	v_cvt_f32_f16 v28, v7;
	;;#ASMEND
	v_and_b32_e32 v7, 0xffff, v30
	;;#ASMSTART
	v_cvt_f32_f16 v29, v7;
	;;#ASMEND
	v_and_b32_e32 v7, 0xffff, v31
	;;#ASMSTART
	v_cvt_f32_f16 v30, v7;
	;;#ASMEND
	ds_read_b64 v[7:8], v14 offset:24
	v_fmac_f32_e32 v34, v24, v1
	v_fmac_f32_e32 v22, v37, v33
	;; [unrolled: 1-line block ×3, first 2 shown]
	v_and_b32_e32 v9, 0xffff, v9
	s_waitcnt lgkmcnt(0)
	v_lshrrev_b32_e32 v24, 16, v7
	v_and_b32_e32 v1, 0xffff, v7
	;;#ASMSTART
	v_cvt_f32_f16 v1, v1;
	;;#ASMEND
	;;#ASMSTART
	v_cvt_f32_f16 v7, v24;
	;;#ASMEND
	v_and_b32_e32 v24, 0xffff, v32
	;;#ASMSTART
	v_cvt_f32_f16 v24, v24;
	;;#ASMEND
	v_fmac_f32_e32 v34, v1, v24
	v_and_b32_e32 v1, 0xffff, v8
	v_fmac_f32_e32 v22, v27, v29
	;;#ASMSTART
	v_cvt_f32_f16 v9, v9;
	;;#ASMEND
	v_fmac_f32_e32 v21, v7, v9
	v_lshrrev_b32_e32 v7, 16, v8
	;;#ASMSTART
	v_cvt_f32_f16 v1, v1;
	;;#ASMEND
	v_and_b32_e32 v8, 0xffff, v39
	v_fmac_f32_e32 v23, v28, v30
	;;#ASMSTART
	v_cvt_f32_f16 v7, v7;
	;;#ASMEND
	;;#ASMSTART
	v_cvt_f32_f16 v8, v8;
	;;#ASMEND
	v_and_b32_e32 v9, 0xffff, v20
	v_fmac_f32_e32 v22, v1, v8
	v_add_f32_e32 v1, v34, v21
	;;#ASMSTART
	v_cvt_f32_f16 v9, v9;
	;;#ASMEND
	v_fmac_f32_e32 v23, v7, v9
	v_add_f32_e32 v1, v1, v22
	v_add_f32_e32 v8, v23, v1
	v_and_b32_e32 v1, 64, v15
	v_xor_b32_e32 v9, 1, v15
	v_add_u32_e32 v7, 64, v1
	v_cmp_lt_i32_e64 s[4:5], v9, v7
	v_cndmask_b32_e64 v9, v15, v9, s[4:5]
	v_lshlrev_b32_e32 v9, 2, v9
	ds_bpermute_b32 v9, v9, v8
	s_and_saveexec_b64 s[34:35], vcc
	s_cbranch_execz .LBB264_8
; %bb.106:                              ;   in Loop: Header=BB264_9 Depth=1
	v_add_u32_e32 v20, s41, v16
	v_cvt_f32_i32_e32 v20, v20
	s_waitcnt lgkmcnt(0)
	v_add_f32_e32 v8, v8, v9
	v_cmp_gt_i32_e64 s[4:5], s30, v16
	v_max_f32_e32 v9, v13, v13
	v_mul_f32_e32 v20, s33, v20
	v_cndmask_b32_e64 v20, 0, v20, s[2:3]
	v_fmac_f32_e32 v20, s31, v8
	v_cndmask_b32_e64 v8, 0, v20, s[4:5]
	ds_write_b32 v17, v8
	v_max_f32_e32 v8, v9, v20
	v_cndmask_b32_e64 v13, v13, v8, s[4:5]
	s_branch .LBB264_8
.LBB264_107:
	s_or_b64 exec, exec, s[18:19]
.LBB264_108:
	s_or_b64 exec, exec, s[6:7]
	v_xor_b32_e32 v2, 32, v15
	v_cmp_lt_i32_e32 vcc, v2, v7
	v_cndmask_b32_e32 v2, v15, v2, vcc
	v_lshlrev_b32_e32 v2, 2, v2
	ds_bpermute_b32 v3, v2, v13
	v_xor_b32_e32 v5, 16, v15
	v_max_f32_e32 v4, v13, v13
	v_cmp_lt_i32_e32 vcc, v5, v7
	v_xor_b32_e32 v6, 8, v15
	s_waitcnt lgkmcnt(0)
	v_max_f32_e32 v3, v3, v3
	v_max_f32_e32 v4, v4, v3
	v_cndmask_b32_e32 v3, v15, v5, vcc
	v_lshlrev_b32_e32 v3, 2, v3
	ds_bpermute_b32 v5, v3, v4
	v_cmp_lt_i32_e32 vcc, v6, v7
	v_xor_b32_e32 v8, 4, v15
	v_xor_b32_e32 v9, 2, v15
	v_and_b32_e32 v13, 63, v0
	s_waitcnt lgkmcnt(0)
	v_max_f32_e32 v5, v5, v5
	v_max_f32_e32 v5, v4, v5
	v_cndmask_b32_e32 v4, v15, v6, vcc
	v_lshlrev_b32_e32 v4, 2, v4
	ds_bpermute_b32 v6, v4, v5
	v_cmp_lt_i32_e32 vcc, v8, v7
	s_waitcnt lgkmcnt(0)
	v_max_f32_e32 v6, v6, v6
	v_max_f32_e32 v6, v5, v6
	v_cndmask_b32_e32 v5, v15, v8, vcc
	v_lshlrev_b32_e32 v5, 2, v5
	ds_bpermute_b32 v8, v5, v6
	v_cmp_lt_i32_e32 vcc, v9, v7
	s_waitcnt lgkmcnt(0)
	v_max_f32_e32 v8, v8, v8
	v_max_f32_e32 v8, v6, v8
	v_cndmask_b32_e32 v6, v15, v9, vcc
	v_lshlrev_b32_e32 v14, 2, v6
	ds_bpermute_b32 v9, v14, v8
	v_cmp_eq_u32_e32 vcc, 0, v13
	v_lshlrev_b32_e32 v6, 2, v11
	s_and_saveexec_b64 s[2:3], vcc
	s_cbranch_execz .LBB264_110
; %bb.109:
	s_waitcnt lgkmcnt(0)
	v_max_f32_e32 v9, v9, v9
	v_max_f32_e32 v8, v8, v8
	v_max_f32_e32 v8, v8, v9
	ds_write_b32 v6, v8 offset:64
.LBB264_110:
	s_or_b64 exec, exec, s[2:3]
	v_cmp_gt_u32_e64 s[2:3], 2, v13
	s_waitcnt lgkmcnt(0)
	v_mov_b32_e32 v9, 0xff7fffff
	v_lshlrev_b32_e32 v8, 2, v13
	s_barrier
	s_and_saveexec_b64 s[4:5], s[2:3]
; %bb.111:
	ds_read_b32 v9, v8 offset:64
; %bb.112:
	s_or_b64 exec, exec, s[4:5]
	v_xor_b32_e32 v16, 1, v15
	v_cmp_lt_i32_e64 s[4:5], v16, v7
	v_cndmask_b32_e64 v7, v15, v16, s[4:5]
	v_lshlrev_b32_e32 v16, 2, v7
	s_waitcnt lgkmcnt(0)
	ds_bpermute_b32 v7, v16, v9
	v_max_f32_e32 v9, v9, v9
	v_lshlrev_b32_e32 v1, 2, v1
	s_lshl_b32 s4, s21, 5
	s_min_i32 s31, s4, s30
	s_waitcnt lgkmcnt(0)
	v_max_f32_e32 v7, v7, v7
	v_max_f32_e32 v7, v9, v7
	ds_bpermute_b32 v7, v1, v7
	v_cmp_gt_i32_e64 s[4:5], s31, v0
	v_mov_b32_e32 v1, 0
	s_and_saveexec_b64 s[12:13], s[4:5]
	s_cbranch_execz .LBB264_116
; %bb.113:
	v_mov_b32_e32 v1, 0x50
	v_lshl_add_u32 v9, v0, 2, v1
	v_mov_b32_e32 v1, 0
	s_mov_b64 s[18:19], 0
	v_mov_b32_e32 v17, v0
.LBB264_114:                            ; =>This Inner Loop Header: Depth=1
	ds_read_b32 v18, v9
	v_add_u32_e32 v17, 0x80, v17
	v_cmp_le_i32_e64 s[6:7], s31, v17
	s_or_b64 s[18:19], s[6:7], s[18:19]
	s_waitcnt lgkmcnt(0)
	v_sub_f32_e32 v18, v18, v7
	v_mul_f32_e32 v18, 0x3fb8aa3b, v18
	v_exp_f32_e32 v18, v18
	ds_write_b32 v9, v18
	v_add_f32_e32 v1, v1, v18
	v_add_u32_e32 v9, 0x200, v9
	s_andn2_b64 exec, exec, s[18:19]
	s_cbranch_execnz .LBB264_114
; %bb.115:
	s_or_b64 exec, exec, s[18:19]
.LBB264_116:
	s_or_b64 exec, exec, s[12:13]
	ds_bpermute_b32 v2, v2, v1
	s_waitcnt lgkmcnt(0)
	v_add_f32_e32 v1, v1, v2
	ds_bpermute_b32 v2, v3, v1
	s_waitcnt lgkmcnt(0)
	v_add_f32_e32 v1, v1, v2
	;; [unrolled: 3-line block ×6, first 2 shown]
	s_and_saveexec_b64 s[6:7], vcc
; %bb.117:
	ds_write_b32 v6, v1 offset:72
; %bb.118:
	s_or_b64 exec, exec, s[6:7]
	s_waitcnt lgkmcnt(0)
	s_barrier
	s_and_saveexec_b64 s[6:7], s[2:3]
; %bb.119:
	ds_read_b32 v1, v8 offset:72
; %bb.120:
	s_or_b64 exec, exec, s[6:7]
	s_waitcnt lgkmcnt(0)
	ds_bpermute_b32 v2, v16, v1
	v_lshlrev_b32_e32 v3, 2, v15
	s_waitcnt lgkmcnt(0)
	v_add_f32_e32 v1, v1, v2
	v_and_b32_e32 v2, 0xffffff00, v3
	ds_bpermute_b32 v1, v2, v1
	s_and_saveexec_b64 s[2:3], s[4:5]
	s_cbranch_execz .LBB264_123
; %bb.121:
	s_waitcnt lgkmcnt(0)
	v_add_f32_e32 v2, 0x358637bd, v1
	v_div_scale_f32 v1, s[4:5], v2, v2, 1.0
	v_div_scale_f32 v3, vcc, 1.0, v2, 1.0
	s_mov_b64 s[4:5], 0
	v_rcp_f32_e32 v4, v1
	v_fma_f32 v5, -v1, v4, 1.0
	v_fmac_f32_e32 v4, v5, v4
	v_mul_f32_e32 v5, v3, v4
	v_fma_f32 v6, -v1, v5, v3
	v_fmac_f32_e32 v5, v6, v4
	v_fma_f32 v1, -v1, v5, v3
	v_div_fmas_f32 v3, v1, v4, v5
	v_mov_b32_e32 v1, 0x50
	v_lshl_add_u32 v1, v0, 2, v1
	v_div_fixup_f32 v2, v3, v2, 1.0
	v_mov_b32_e32 v3, v0
.LBB264_122:                            ; =>This Inner Loop Header: Depth=1
	ds_read_b32 v4, v1
	v_add_u32_e32 v3, 0x80, v3
	v_cmp_le_i32_e32 vcc, s31, v3
	s_or_b64 s[4:5], vcc, s[4:5]
	s_waitcnt lgkmcnt(0)
	v_mul_f32_e32 v4, v2, v4
	ds_write_b32 v1, v4
	v_add_u32_e32 v1, 0x200, v1
	s_andn2_b64 exec, exec, s[4:5]
	s_cbranch_execnz .LBB264_122
.LBB264_123:
	s_or_b64 exec, exec, s[2:3]
	v_mov_b32_e32 v17, 0
	v_and_b32_e32 v15, 3, v0
	v_mov_b32_e32 v19, 0
	s_waitcnt lgkmcnt(0)
	s_barrier
	s_and_saveexec_b64 s[2:3], s[0:1]
	s_cbranch_execz .LBB264_227
; %bb.124:
	s_ashr_i32 s0, s16, 31
	s_add_u32 s1, s28, s16
	v_and_b32_e32 v1, 24, v10
	s_addc_u32 s0, s29, s0
	v_and_b32_e32 v3, 0x1f8, v10
	v_lshlrev_b32_e32 v5, 5, v11
	s_add_i32 s28, s21, -1
	v_mov_b32_e32 v4, s0
	v_add_co_u32_e32 v3, vcc, s1, v3
	v_or3_b32 v18, v5, v1, 7
	v_lshlrev_b32_e32 v1, 5, v15
	s_lshl_b64 s[0:1], s[26:27], 2
	v_lshl_or_b32 v1, v11, 7, v1
	s_add_u32 s0, s24, s0
	v_addc_co_u32_e32 v4, vcc, 0, v4, vcc
	v_add_u32_e32 v20, 0x50, v1
	v_and_b32_e32 v1, 60, v12
	s_addc_u32 s1, s25, s1
	s_mov_b32 s4, -1
	v_mov_b32_e32 v6, s1
	v_add_co_u32_e32 v5, vcc, s0, v1
	s_mov_b32 s31, s17
	s_mov_b32 s5, 0xffffff
	v_mov_b32_e32 v2, 0
	v_addc_co_u32_e32 v6, vcc, 0, v6, vcc
	s_mov_b64 s[6:7], 0
	s_movk_i32 s24, 0x80
	s_movk_i32 s25, 0x7f
	s_mov_b32 s26, 0x8000
	v_mov_b32_e32 v12, 0x2000
	v_mov_b32_e32 v19, 0
	;; [unrolled: 1-line block ×3, first 2 shown]
	s_branch .LBB264_126
.LBB264_125:                            ;   in Loop: Header=BB264_126 Depth=1
	s_or_b64 exec, exec, s[0:1]
	v_add_f32_e32 v7, v30, v31
	v_add_f32_e32 v19, v19, v7
	;;#ASMSTART
	v_pk_mul_f16 v7, v26, v8;

	;;#ASMEND
	;;#ASMSTART
	v_pk_mul_f16 v1, v27, v1;

	;;#ASMEND
	;; [unrolled: 4-line block ×4, first 2 shown]
	;;#ASMSTART
	v_pk_add_f16 v1, v7, v1;

	;;#ASMEND
	;;#ASMSTART
	v_pk_add_f16 v1, v1, v8;

	;;#ASMEND
	;; [unrolled: 4-line block ×3, first 2 shown]
	v_lshrrev_b32_e32 v7, 16, v1
	v_and_b32_e32 v1, 0xffff, v1
	v_add_u32_e32 v11, 2, v11
	;;#ASMSTART
	v_cvt_f32_f16 v1, v1;
	;;#ASMEND
	v_cmp_le_i32_e32 vcc, s21, v11
	;;#ASMSTART
	v_cvt_f32_f16 v7, v7;
	;;#ASMEND
	v_add_f32_e32 v1, v1, v7
	s_or_b64 s[6:7], vcc, s[6:7]
	v_add_co_u32_e32 v5, vcc, 8, v5
	v_add_f32_e32 v17, v17, v1
	v_add_u32_e32 v18, 64, v18
	v_add_u32_e32 v20, 0x100, v20
	v_addc_co_u32_e32 v6, vcc, 0, v6, vcc
	s_andn2_b64 exec, exec, s[6:7]
	s_cbranch_execz .LBB264_226
.LBB264_126:                            ; =>This Inner Loop Header: Depth=1
	global_load_dword v1, v[5:6], off
	ds_read2_b64 v[7:10], v20 offset1:1
	ds_read2_b64 v[21:24], v20 offset0:2 offset1:3
	s_waitcnt lgkmcnt(1)
	;;#ASMSTART
	v_cvt_f16_f32 v26, v7;

	;;#ASMEND
	;;#ASMSTART
	v_cvt_f16_f32 v27, v8;

	;;#ASMEND
	;; [unrolled: 4-line block ×4, first 2 shown]
	s_waitcnt lgkmcnt(0)
	;;#ASMSTART
	v_cvt_f16_f32 v30, v21;

	;;#ASMEND
	;;#ASMSTART
	v_cvt_f16_f32 v31, v22;

	;;#ASMEND
	;; [unrolled: 4-line block ×4, first 2 shown]
	v_mov_b32_e32 v22, 0
	s_waitcnt vmcnt(0)
	v_mad_i64_i32 v[7:8], s[0:1], v1, s31, v[3:4]
	global_load_dwordx2 v[9:10], v[7:8], off
	global_load_dword v21, v2, s[14:15]
	s_waitcnt vmcnt(1)
	v_cmp_ne_u16_sdwa s[12:13], v9, v2 src0_sel:BYTE_0 src1_sel:DWORD
	s_and_saveexec_b64 s[0:1], s[12:13]
	s_cbranch_execz .LBB264_132
; %bb.127:                              ;   in Loop: Header=BB264_126 Depth=1
	v_cmp_ne_u16_sdwa s[16:17], v9, s24 src0_sel:BYTE_0 src1_sel:DWORD
	v_mov_b32_e32 v22, 0x8000
	s_and_saveexec_b64 s[12:13], s[16:17]
	s_cbranch_execz .LBB264_131
; %bb.128:                              ;   in Loop: Header=BB264_126 Depth=1
	v_and_b32_e32 v1, 0x7f, v9
	v_cmp_ne_u32_e32 vcc, s25, v1
	v_mov_b32_e32 v22, 0x7c01
	s_and_saveexec_b64 s[16:17], vcc
	s_cbranch_execz .LBB264_130
; %bb.129:                              ;   in Loop: Header=BB264_126 Depth=1
	v_and_b32_e32 v24, 7, v9
	v_ffbh_u32_e32 v22, v24
	v_min_u32_e32 v34, 32, v22
	v_subrev_u32_e32 v22, 28, v34
	v_lshlrev_b64 v[22:23], v22, v[9:10]
	v_lshrrev_b32_e32 v25, 3, v1
	v_sub_u32_e32 v23, 29, v34
	v_cmp_gt_u32_e32 vcc, 8, v1
	v_cndmask_b32_e32 v1, v25, v23, vcc
	v_lshl_add_u32 v1, v1, 10, v12
	v_lshlrev_b32_e32 v23, 8, v9
	v_and_b32_e32 v22, 7, v22
	v_and_b32_e32 v1, 0xfc00, v1
	v_cndmask_b32_e32 v22, v24, v22, vcc
	v_and_or_b32 v1, v23, s26, v1
	v_lshl_or_b32 v22, v22, 7, v1
.LBB264_130:                            ;   in Loop: Header=BB264_126 Depth=1
	s_or_b64 exec, exec, s[16:17]
.LBB264_131:                            ;   in Loop: Header=BB264_126 Depth=1
	s_or_b64 exec, exec, s[12:13]
.LBB264_132:                            ;   in Loop: Header=BB264_126 Depth=1
	s_or_b64 exec, exec, s[0:1]
	v_lshrrev_b16_e32 v1, 8, v9
	v_cmp_ne_u16_e32 vcc, 0, v1
	v_mov_b32_e32 v24, 0
	v_mov_b32_e32 v23, 0
	s_and_saveexec_b64 s[0:1], vcc
	s_cbranch_execz .LBB264_138
; %bb.133:                              ;   in Loop: Header=BB264_126 Depth=1
	v_cmp_ne_u16_e32 vcc, s24, v1
	v_bfrev_b32_e32 v23, 1
	s_and_saveexec_b64 s[12:13], vcc
	s_cbranch_execz .LBB264_137
; %bb.134:                              ;   in Loop: Header=BB264_126 Depth=1
	v_and_b32_e32 v25, 0x7f, v1
	v_cmp_ne_u32_e32 vcc, s25, v25
	v_mov_b32_e32 v23, 0x7c010000
	s_and_saveexec_b64 s[16:17], vcc
	s_cbranch_execz .LBB264_136
; %bb.135:                              ;   in Loop: Header=BB264_126 Depth=1
	v_and_b32_e32 v23, 7, v1
	v_ffbh_u32_e32 v34, v23
	v_min_u32_e32 v37, 32, v34
	v_subrev_u32_e32 v34, 28, v37
	v_lshlrev_b64 v[34:35], v34, v[1:2]
	v_lshrrev_b32_e32 v36, 3, v25
	v_sub_u32_e32 v35, 29, v37
	v_cmp_gt_u32_e32 vcc, 8, v25
	v_cndmask_b32_e32 v25, v36, v35, vcc
	v_lshlrev_b32_e32 v1, 8, v1
	v_lshl_add_u32 v25, v25, 10, v12
	v_and_b32_e32 v34, 7, v34
	v_and_or_b32 v1, v1, s26, v25
	v_cndmask_b32_e32 v23, v23, v34, vcc
	v_lshlrev_b32_e32 v1, 16, v1
	v_lshl_or_b32 v23, v23, 23, v1
.LBB264_136:                            ;   in Loop: Header=BB264_126 Depth=1
	s_or_b64 exec, exec, s[16:17]
.LBB264_137:                            ;   in Loop: Header=BB264_126 Depth=1
	s_or_b64 exec, exec, s[12:13]
.LBB264_138:                            ;   in Loop: Header=BB264_126 Depth=1
	s_or_b64 exec, exec, s[0:1]
	v_lshrrev_b32_e32 v1, 16, v9
	v_cmp_ne_u16_sdwa s[12:13], v1, v2 src0_sel:BYTE_0 src1_sel:DWORD
	s_and_saveexec_b64 s[0:1], s[12:13]
	s_cbranch_execz .LBB264_144
; %bb.139:                              ;   in Loop: Header=BB264_126 Depth=1
	v_cmp_ne_u16_sdwa s[16:17], v1, s24 src0_sel:BYTE_0 src1_sel:DWORD
	v_mov_b32_e32 v24, 0x8000
	s_and_saveexec_b64 s[12:13], s[16:17]
	s_cbranch_execz .LBB264_143
; %bb.140:                              ;   in Loop: Header=BB264_126 Depth=1
	v_bfe_u32 v25, v9, 16, 7
	v_cmp_ne_u32_e32 vcc, s25, v25
	v_mov_b32_e32 v24, 0x7c01
	s_and_saveexec_b64 s[16:17], vcc
	s_cbranch_execz .LBB264_142
; %bb.141:                              ;   in Loop: Header=BB264_126 Depth=1
	v_and_b32_e32 v24, 7, v1
	v_ffbh_u32_e32 v34, v24
	v_min_u32_e32 v37, 32, v34
	v_subrev_u32_e32 v34, 28, v37
	v_lshlrev_b64 v[34:35], v34, v[1:2]
	v_lshrrev_b32_e32 v36, 3, v25
	v_sub_u32_e32 v35, 29, v37
	v_cmp_gt_u32_e32 vcc, 8, v25
	v_cndmask_b32_e32 v25, v36, v35, vcc
	v_lshl_add_u32 v25, v25, 10, v12
	v_lshlrev_b32_e32 v1, 8, v1
	v_and_b32_e32 v34, 7, v34
	v_and_b32_e32 v25, 0xfc00, v25
	v_cndmask_b32_e32 v24, v24, v34, vcc
	v_and_or_b32 v1, v1, s26, v25
	v_lshl_or_b32 v24, v24, 7, v1
.LBB264_142:                            ;   in Loop: Header=BB264_126 Depth=1
	s_or_b64 exec, exec, s[16:17]
.LBB264_143:                            ;   in Loop: Header=BB264_126 Depth=1
	s_or_b64 exec, exec, s[12:13]
.LBB264_144:                            ;   in Loop: Header=BB264_126 Depth=1
	s_or_b64 exec, exec, s[0:1]
	v_cmp_lt_u32_e32 vcc, s5, v9
	v_mov_b32_e32 v25, 0
	v_mov_b32_e32 v34, 0
	s_and_saveexec_b64 s[0:1], vcc
	s_cbranch_execz .LBB264_150
; %bb.145:                              ;   in Loop: Header=BB264_126 Depth=1
	v_lshrrev_b32_e32 v1, 24, v9
	v_cmp_ne_u32_e32 vcc, s24, v1
	v_bfrev_b32_e32 v34, 1
	s_and_saveexec_b64 s[12:13], vcc
	s_cbranch_execz .LBB264_149
; %bb.146:                              ;   in Loop: Header=BB264_126 Depth=1
	v_and_b32_e32 v35, 0x7f, v1
	v_cmp_ne_u32_e32 vcc, s25, v35
	v_mov_b32_e32 v34, 0x7c010000
	s_and_saveexec_b64 s[16:17], vcc
	s_cbranch_execz .LBB264_148
; %bb.147:                              ;   in Loop: Header=BB264_126 Depth=1
	v_and_b32_e32 v34, 7, v1
	v_ffbh_u32_e32 v36, v34
	v_min_u32_e32 v39, 32, v36
	v_subrev_u32_e32 v36, 28, v39
	v_lshlrev_b64 v[36:37], v36, v[1:2]
	v_lshrrev_b32_e32 v38, 3, v35
	v_sub_u32_e32 v37, 29, v39
	v_cmp_gt_u32_e32 vcc, 8, v35
	v_cndmask_b32_e32 v35, v38, v37, vcc
	v_lshlrev_b32_e32 v1, 8, v1
	v_lshl_add_u32 v35, v35, 10, v12
	v_and_b32_e32 v36, 7, v36
	v_and_or_b32 v1, v1, s26, v35
	v_cndmask_b32_e32 v34, v34, v36, vcc
	v_lshlrev_b32_e32 v1, 16, v1
	v_lshl_or_b32 v34, v34, 23, v1
.LBB264_148:                            ;   in Loop: Header=BB264_126 Depth=1
	s_or_b64 exec, exec, s[16:17]
.LBB264_149:                            ;   in Loop: Header=BB264_126 Depth=1
	s_or_b64 exec, exec, s[12:13]
.LBB264_150:                            ;   in Loop: Header=BB264_126 Depth=1
	s_or_b64 exec, exec, s[0:1]
	v_mov_b32_e32 v1, v10
	v_cmp_ne_u16_sdwa s[12:13], v10, v2 src0_sel:BYTE_0 src1_sel:DWORD
	s_and_saveexec_b64 s[0:1], s[12:13]
	s_cbranch_execz .LBB264_156
; %bb.151:                              ;   in Loop: Header=BB264_126 Depth=1
	v_cmp_ne_u16_sdwa s[16:17], v10, s24 src0_sel:BYTE_0 src1_sel:DWORD
	v_mov_b32_e32 v25, 0x8000
	s_and_saveexec_b64 s[12:13], s[16:17]
	s_cbranch_execz .LBB264_155
; %bb.152:                              ;   in Loop: Header=BB264_126 Depth=1
	v_and_b32_e32 v35, 0x7f, v10
	v_cmp_ne_u32_e32 vcc, s25, v35
	v_mov_b32_e32 v25, 0x7c01
	s_and_saveexec_b64 s[16:17], vcc
	s_cbranch_execz .LBB264_154
; %bb.153:                              ;   in Loop: Header=BB264_126 Depth=1
	v_and_b32_e32 v25, 7, v10
	v_ffbh_u32_e32 v36, v25
	v_min_u32_e32 v39, 32, v36
	v_subrev_u32_e32 v36, 28, v39
	v_lshlrev_b64 v[36:37], v36, v[1:2]
	v_lshrrev_b32_e32 v38, 3, v35
	v_sub_u32_e32 v37, 29, v39
	v_cmp_gt_u32_e32 vcc, 8, v35
	v_cndmask_b32_e32 v35, v38, v37, vcc
	v_lshl_add_u32 v35, v35, 10, v12
	v_lshlrev_b32_e32 v37, 8, v10
	v_and_b32_e32 v36, 7, v36
	v_and_b32_e32 v35, 0xfc00, v35
	v_cndmask_b32_e32 v25, v25, v36, vcc
	v_and_or_b32 v35, v37, s26, v35
	v_lshl_or_b32 v25, v25, 7, v35
.LBB264_154:                            ;   in Loop: Header=BB264_126 Depth=1
	s_or_b64 exec, exec, s[16:17]
.LBB264_155:                            ;   in Loop: Header=BB264_126 Depth=1
	s_or_b64 exec, exec, s[12:13]
.LBB264_156:                            ;   in Loop: Header=BB264_126 Depth=1
	s_or_b64 exec, exec, s[0:1]
	v_lshrrev_b16_e32 v1, 8, v1
	v_cmp_ne_u16_e32 vcc, 0, v1
	v_mov_b32_e32 v35, 0
	v_mov_b32_e32 v36, 0
	s_and_saveexec_b64 s[0:1], vcc
	s_cbranch_execz .LBB264_162
; %bb.157:                              ;   in Loop: Header=BB264_126 Depth=1
	v_cmp_ne_u16_e32 vcc, s24, v1
	v_bfrev_b32_e32 v36, 1
	s_and_saveexec_b64 s[12:13], vcc
	s_cbranch_execz .LBB264_161
; %bb.158:                              ;   in Loop: Header=BB264_126 Depth=1
	v_and_b32_e32 v37, 0x7f, v1
	v_cmp_ne_u32_e32 vcc, s25, v37
	v_mov_b32_e32 v36, 0x7c010000
	s_and_saveexec_b64 s[16:17], vcc
	s_cbranch_execz .LBB264_160
; %bb.159:                              ;   in Loop: Header=BB264_126 Depth=1
	v_and_b32_e32 v36, 7, v1
	v_ffbh_u32_e32 v38, v36
	v_min_u32_e32 v41, 32, v38
	v_subrev_u32_e32 v38, 28, v41
	v_lshlrev_b64 v[38:39], v38, v[1:2]
	v_lshrrev_b32_e32 v40, 3, v37
	v_sub_u32_e32 v39, 29, v41
	v_cmp_gt_u32_e32 vcc, 8, v37
	v_cndmask_b32_e32 v37, v40, v39, vcc
	v_lshlrev_b32_e32 v1, 8, v1
	v_lshl_add_u32 v37, v37, 10, v12
	v_and_b32_e32 v38, 7, v38
	v_and_or_b32 v1, v1, s26, v37
	v_cndmask_b32_e32 v36, v36, v38, vcc
	v_lshlrev_b32_e32 v1, 16, v1
	v_lshl_or_b32 v36, v36, 23, v1
.LBB264_160:                            ;   in Loop: Header=BB264_126 Depth=1
	s_or_b64 exec, exec, s[16:17]
.LBB264_161:                            ;   in Loop: Header=BB264_126 Depth=1
	s_or_b64 exec, exec, s[12:13]
.LBB264_162:                            ;   in Loop: Header=BB264_126 Depth=1
	s_or_b64 exec, exec, s[0:1]
	v_lshrrev_b32_e32 v1, 16, v10
	v_cmp_ne_u16_sdwa s[12:13], v1, v2 src0_sel:BYTE_0 src1_sel:DWORD
	s_and_saveexec_b64 s[0:1], s[12:13]
	s_cbranch_execz .LBB264_168
; %bb.163:                              ;   in Loop: Header=BB264_126 Depth=1
	v_cmp_ne_u16_sdwa s[16:17], v1, s24 src0_sel:BYTE_0 src1_sel:DWORD
	v_mov_b32_e32 v35, 0x8000
	s_and_saveexec_b64 s[12:13], s[16:17]
	s_cbranch_execz .LBB264_167
; %bb.164:                              ;   in Loop: Header=BB264_126 Depth=1
	v_bfe_u32 v37, v10, 16, 7
	v_cmp_ne_u32_e32 vcc, s25, v37
	v_mov_b32_e32 v35, 0x7c01
	s_and_saveexec_b64 s[16:17], vcc
	s_cbranch_execz .LBB264_166
; %bb.165:                              ;   in Loop: Header=BB264_126 Depth=1
	v_and_b32_e32 v35, 7, v1
	v_ffbh_u32_e32 v38, v35
	v_min_u32_e32 v41, 32, v38
	v_subrev_u32_e32 v38, 28, v41
	v_lshlrev_b64 v[38:39], v38, v[1:2]
	v_lshrrev_b32_e32 v40, 3, v37
	v_sub_u32_e32 v39, 29, v41
	v_cmp_gt_u32_e32 vcc, 8, v37
	v_cndmask_b32_e32 v37, v40, v39, vcc
	v_lshl_add_u32 v37, v37, 10, v12
	v_lshlrev_b32_e32 v1, 8, v1
	v_and_b32_e32 v38, 7, v38
	v_and_b32_e32 v37, 0xfc00, v37
	v_cndmask_b32_e32 v35, v35, v38, vcc
	v_and_or_b32 v1, v1, s26, v37
	v_lshl_or_b32 v35, v35, 7, v1
.LBB264_166:                            ;   in Loop: Header=BB264_126 Depth=1
	s_or_b64 exec, exec, s[16:17]
.LBB264_167:                            ;   in Loop: Header=BB264_126 Depth=1
	s_or_b64 exec, exec, s[12:13]
.LBB264_168:                            ;   in Loop: Header=BB264_126 Depth=1
	s_or_b64 exec, exec, s[0:1]
	v_cmp_lt_u64_e32 vcc, s[4:5], v[9:10]
	v_mov_b32_e32 v37, 0
	s_and_saveexec_b64 s[0:1], vcc
	s_cbranch_execz .LBB264_174
; %bb.169:                              ;   in Loop: Header=BB264_126 Depth=1
	v_lshrrev_b32_e32 v1, 24, v10
	v_cmp_ne_u32_e32 vcc, s24, v1
	v_bfrev_b32_e32 v37, 1
	s_and_saveexec_b64 s[12:13], vcc
	s_cbranch_execz .LBB264_173
; %bb.170:                              ;   in Loop: Header=BB264_126 Depth=1
	v_and_b32_e32 v9, 0x7f, v1
	v_cmp_ne_u32_e32 vcc, s25, v9
	v_mov_b32_e32 v37, 0x7c010000
	s_and_saveexec_b64 s[16:17], vcc
	s_cbranch_execz .LBB264_172
; %bb.171:                              ;   in Loop: Header=BB264_126 Depth=1
	v_and_b32_e32 v10, 7, v1
	v_ffbh_u32_e32 v37, v10
	v_min_u32_e32 v40, 32, v37
	v_subrev_u32_e32 v37, 28, v40
	v_lshlrev_b64 v[37:38], v37, v[1:2]
	v_lshrrev_b32_e32 v39, 3, v9
	v_sub_u32_e32 v38, 29, v40
	v_cmp_gt_u32_e32 vcc, 8, v9
	v_cndmask_b32_e32 v9, v39, v38, vcc
	v_lshlrev_b32_e32 v1, 8, v1
	v_lshl_add_u32 v9, v9, 10, v12
	v_and_b32_e32 v37, 7, v37
	v_and_or_b32 v1, v1, s26, v9
	v_cndmask_b32_e32 v10, v10, v37, vcc
	v_lshlrev_b32_e32 v1, 16, v1
	v_lshl_or_b32 v37, v10, 23, v1
.LBB264_172:                            ;   in Loop: Header=BB264_126 Depth=1
	s_or_b64 exec, exec, s[16:17]
.LBB264_173:                            ;   in Loop: Header=BB264_126 Depth=1
	s_or_b64 exec, exec, s[12:13]
.LBB264_174:                            ;   in Loop: Header=BB264_126 Depth=1
	s_or_b64 exec, exec, s[0:1]
	s_waitcnt vmcnt(0)
	v_fma_mixlo_f16 v10, v21, v34, 0 op_sel:[0,1,0] op_sel_hi:[0,1,0]
	v_lshlrev_b32_e32 v38, 16, v10
	v_or_b32_e32 v10, v23, v22
	v_fma_mixlo_f16 v10, v21, v10, 0 op_sel_hi:[0,1,0]
	v_and_b32_e32 v44, 0xffff, v10
	v_or_b32_e32 v10, v36, v25
	v_fma_mixlo_f16 v10, v21, v10, 0 op_sel_hi:[0,1,0]
	v_or_b32_e32 v1, v34, v24
	v_fma_mixlo_f16 v22, v21, v23, 0 op_sel:[0,1,0] op_sel_hi:[0,1,0]
	v_and_b32_e32 v42, 0xffff, v10
	v_or_b32_e32 v10, v37, v35
	v_fma_mixlo_f16 v1, v21, v1, 0 op_sel_hi:[0,1,0]
	v_lshlrev_b32_e32 v41, 16, v22
	v_fma_mixlo_f16 v22, v21, v36, 0 op_sel:[0,1,0] op_sel_hi:[0,1,0]
	v_fma_mixlo_f16 v10, v21, v10, 0 op_sel_hi:[0,1,0]
	v_fma_mixlo_f16 v21, v21, v37, 0 op_sel:[0,1,0] op_sel_hi:[0,1,0]
	v_and_b32_e32 v39, 0xffff, v1
	v_lshlrev_b32_e32 v40, 16, v22
	v_lshlrev_b32_e32 v37, 16, v21
	v_and_b32_e32 v43, 0xffff, v10
	v_add_u32_e32 v9, -7, v18
	v_cmp_eq_u32_e32 vcc, s28, v11
	v_or_b32_e32 v1, v38, v39
	v_or_b32_e32 v34, v41, v44
	;; [unrolled: 1-line block ×4, first 2 shown]
	v_add_u32_e32 v25, -6, v18
	v_add_u32_e32 v24, -5, v18
	;; [unrolled: 1-line block ×6, first 2 shown]
	s_and_saveexec_b64 s[12:13], vcc
	s_cbranch_execz .LBB264_176
; %bb.175:                              ;   in Loop: Header=BB264_126 Depth=1
	v_cmp_gt_i32_e64 s[0:1], s30, v9
	v_cndmask_b32_e64 v1, 0, v44, s[0:1]
	v_cmp_gt_i32_e64 s[0:1], s30, v25
	v_cndmask_b32_e64 v34, 0, v41, s[0:1]
	v_cmp_gt_i32_e64 s[0:1], s30, v24
	v_or_b32_e32 v34, v34, v1
	v_cndmask_b32_e64 v1, 0, v39, s[0:1]
	v_cmp_gt_i32_e64 s[0:1], s30, v23
	v_cndmask_b32_e64 v35, 0, v38, s[0:1]
	v_cmp_gt_i32_e64 s[0:1], s30, v22
	v_or_b32_e32 v1, v35, v1
	;; [unrolled: 5-line block ×3, first 2 shown]
	v_cndmask_b32_e64 v35, 0, v43, s[0:1]
	v_cmp_gt_i32_e64 s[0:1], s30, v18
	v_cndmask_b32_e64 v37, 0, v37, s[0:1]
	v_or_b32_e32 v35, v37, v35
.LBB264_176:                            ;   in Loop: Header=BB264_126 Depth=1
	s_or_b64 exec, exec, s[12:13]
	v_and_b32_e32 v26, 0xffff, v26
	v_lshl_or_b32 v26, v27, 16, v26
	v_and_b32_e32 v27, 0xffff, v28
	v_lshl_or_b32 v27, v29, 16, v27
	v_and_b32_e32 v28, 0xffff, v30
	v_and_b32_e32 v29, 0xffff, v32
	;;#ASMSTART
	v_pk_mul_f16 v30, v26, v34;

	;;#ASMEND
	;;#ASMSTART
	v_pk_mul_f16 v1, v27, v1;

	;;#ASMEND
	v_lshl_or_b32 v28, v31, 16, v28
	v_lshl_or_b32 v29, v33, 16, v29
	;;#ASMSTART
	v_pk_mul_f16 v31, v28, v36;

	;;#ASMEND
	;;#ASMSTART
	v_pk_mul_f16 v32, v29, v35;

	;;#ASMEND
	;;#ASMSTART
	v_pk_add_f16 v1, v30, v1;

	;;#ASMEND
	;;#ASMSTART
	v_pk_add_f16 v1, v1, v31;
	;; [unrolled: 4-line block ×3, first 2 shown]

	;;#ASMEND
	v_lshrrev_b32_e32 v31, 16, v1
	v_and_b32_e32 v1, 0xffff, v1
	;;#ASMSTART
	v_cvt_f32_f16 v30, v1;
	;;#ASMEND
	;;#ASMSTART
	v_cvt_f32_f16 v31, v31;
	;;#ASMEND
	global_load_dwordx2 v[7:8], v[7:8], off offset:512
	v_mov_b32_e32 v33, 0
	global_load_dword v32, v33, s[14:15]
	v_mov_b32_e32 v34, 0
	s_waitcnt vmcnt(1)
	v_cmp_ne_u16_sdwa s[0:1], v7, v2 src0_sel:BYTE_0 src1_sel:DWORD
	s_and_saveexec_b64 s[12:13], s[0:1]
	s_cbranch_execz .LBB264_182
; %bb.177:                              ;   in Loop: Header=BB264_126 Depth=1
	v_cmp_ne_u16_sdwa s[0:1], v7, s24 src0_sel:BYTE_0 src1_sel:DWORD
	v_mov_b32_e32 v34, 0x8000
	s_and_saveexec_b64 s[16:17], s[0:1]
	s_cbranch_execz .LBB264_181
; %bb.178:                              ;   in Loop: Header=BB264_126 Depth=1
	v_and_b32_e32 v1, 0x7f, v7
	v_cmp_ne_u32_e64 s[0:1], s25, v1
	v_mov_b32_e32 v34, 0x7c01
	s_and_saveexec_b64 s[18:19], s[0:1]
	s_cbranch_execz .LBB264_180
; %bb.179:                              ;   in Loop: Header=BB264_126 Depth=1
	v_and_b32_e32 v36, 7, v7
	v_ffbh_u32_e32 v34, v36
	v_min_u32_e32 v38, 32, v34
	v_subrev_u32_e32 v34, 28, v38
	v_lshlrev_b64 v[34:35], v34, v[7:8]
	v_lshrrev_b32_e32 v37, 3, v1
	v_sub_u32_e32 v35, 29, v38
	v_cmp_gt_u32_e64 s[0:1], 8, v1
	v_cndmask_b32_e64 v1, v37, v35, s[0:1]
	v_lshl_add_u32 v1, v1, 10, v12
	v_lshlrev_b32_e32 v35, 8, v7
	v_and_b32_e32 v34, 7, v34
	v_and_b32_e32 v1, 0xfc00, v1
	v_cndmask_b32_e64 v34, v36, v34, s[0:1]
	v_and_or_b32 v1, v35, s26, v1
	v_lshl_or_b32 v34, v34, 7, v1
.LBB264_180:                            ;   in Loop: Header=BB264_126 Depth=1
	s_or_b64 exec, exec, s[18:19]
.LBB264_181:                            ;   in Loop: Header=BB264_126 Depth=1
	s_or_b64 exec, exec, s[16:17]
.LBB264_182:                            ;   in Loop: Header=BB264_126 Depth=1
	s_or_b64 exec, exec, s[12:13]
	v_lshrrev_b16_e32 v1, 8, v7
	v_cmp_ne_u16_e64 s[0:1], 0, v1
	s_and_saveexec_b64 s[12:13], s[0:1]
	s_cbranch_execz .LBB264_188
; %bb.183:                              ;   in Loop: Header=BB264_126 Depth=1
	v_cmp_ne_u16_e64 s[0:1], s24, v1
	v_bfrev_b32_e32 v33, 1
	s_and_saveexec_b64 s[16:17], s[0:1]
	s_cbranch_execz .LBB264_187
; %bb.184:                              ;   in Loop: Header=BB264_126 Depth=1
	v_and_b32_e32 v35, 0x7f, v1
	v_cmp_ne_u32_e64 s[0:1], s25, v35
	v_mov_b32_e32 v33, 0x7c010000
	s_and_saveexec_b64 s[18:19], s[0:1]
	s_cbranch_execz .LBB264_186
; %bb.185:                              ;   in Loop: Header=BB264_126 Depth=1
	v_and_b32_e32 v33, 7, v1
	v_ffbh_u32_e32 v36, v33
	v_min_u32_e32 v39, 32, v36
	v_subrev_u32_e32 v36, 28, v39
	v_lshlrev_b64 v[36:37], v36, v[1:2]
	v_lshrrev_b32_e32 v38, 3, v35
	v_sub_u32_e32 v37, 29, v39
	v_cmp_gt_u32_e64 s[0:1], 8, v35
	v_cndmask_b32_e64 v35, v38, v37, s[0:1]
	v_lshlrev_b32_e32 v1, 8, v1
	v_lshl_add_u32 v35, v35, 10, v12
	v_and_b32_e32 v36, 7, v36
	v_and_or_b32 v1, v1, s26, v35
	v_cndmask_b32_e64 v33, v33, v36, s[0:1]
	v_lshlrev_b32_e32 v1, 16, v1
	v_lshl_or_b32 v33, v33, 23, v1
.LBB264_186:                            ;   in Loop: Header=BB264_126 Depth=1
	s_or_b64 exec, exec, s[18:19]
.LBB264_187:                            ;   in Loop: Header=BB264_126 Depth=1
	s_or_b64 exec, exec, s[16:17]
.LBB264_188:                            ;   in Loop: Header=BB264_126 Depth=1
	s_or_b64 exec, exec, s[12:13]
	v_lshrrev_b32_e32 v1, 16, v7
	v_cmp_ne_u16_sdwa s[0:1], v1, v2 src0_sel:BYTE_0 src1_sel:DWORD
	v_mov_b32_e32 v35, 0
	v_mov_b32_e32 v36, 0
	s_and_saveexec_b64 s[12:13], s[0:1]
	s_cbranch_execz .LBB264_194
; %bb.189:                              ;   in Loop: Header=BB264_126 Depth=1
	v_cmp_ne_u16_sdwa s[0:1], v1, s24 src0_sel:BYTE_0 src1_sel:DWORD
	v_mov_b32_e32 v36, 0x8000
	s_and_saveexec_b64 s[16:17], s[0:1]
	s_cbranch_execz .LBB264_193
; %bb.190:                              ;   in Loop: Header=BB264_126 Depth=1
	v_bfe_u32 v37, v7, 16, 7
	v_cmp_ne_u32_e64 s[0:1], s25, v37
	v_mov_b32_e32 v36, 0x7c01
	s_and_saveexec_b64 s[18:19], s[0:1]
	s_cbranch_execz .LBB264_192
; %bb.191:                              ;   in Loop: Header=BB264_126 Depth=1
	v_and_b32_e32 v36, 7, v1
	v_ffbh_u32_e32 v38, v36
	v_min_u32_e32 v41, 32, v38
	v_subrev_u32_e32 v38, 28, v41
	v_lshlrev_b64 v[38:39], v38, v[1:2]
	v_lshrrev_b32_e32 v40, 3, v37
	v_sub_u32_e32 v39, 29, v41
	v_cmp_gt_u32_e64 s[0:1], 8, v37
	v_cndmask_b32_e64 v37, v40, v39, s[0:1]
	v_lshl_add_u32 v37, v37, 10, v12
	v_lshlrev_b32_e32 v1, 8, v1
	v_and_b32_e32 v38, 7, v38
	v_and_b32_e32 v37, 0xfc00, v37
	v_cndmask_b32_e64 v36, v36, v38, s[0:1]
	v_and_or_b32 v1, v1, s26, v37
	v_lshl_or_b32 v36, v36, 7, v1
.LBB264_192:                            ;   in Loop: Header=BB264_126 Depth=1
	s_or_b64 exec, exec, s[18:19]
.LBB264_193:                            ;   in Loop: Header=BB264_126 Depth=1
	s_or_b64 exec, exec, s[16:17]
.LBB264_194:                            ;   in Loop: Header=BB264_126 Depth=1
	s_or_b64 exec, exec, s[12:13]
	v_cmp_lt_u32_e64 s[0:1], s5, v7
	s_and_saveexec_b64 s[12:13], s[0:1]
	s_cbranch_execz .LBB264_200
; %bb.195:                              ;   in Loop: Header=BB264_126 Depth=1
	v_lshrrev_b32_e32 v1, 24, v7
	v_cmp_ne_u32_e64 s[0:1], s24, v1
	v_bfrev_b32_e32 v35, 1
	s_and_saveexec_b64 s[16:17], s[0:1]
	s_cbranch_execz .LBB264_199
; %bb.196:                              ;   in Loop: Header=BB264_126 Depth=1
	v_and_b32_e32 v37, 0x7f, v1
	v_cmp_ne_u32_e64 s[0:1], s25, v37
	v_mov_b32_e32 v35, 0x7c010000
	s_and_saveexec_b64 s[18:19], s[0:1]
	s_cbranch_execz .LBB264_198
; %bb.197:                              ;   in Loop: Header=BB264_126 Depth=1
	v_and_b32_e32 v35, 7, v1
	v_ffbh_u32_e32 v38, v35
	v_min_u32_e32 v41, 32, v38
	v_subrev_u32_e32 v38, 28, v41
	v_lshlrev_b64 v[38:39], v38, v[1:2]
	v_lshrrev_b32_e32 v40, 3, v37
	v_sub_u32_e32 v39, 29, v41
	v_cmp_gt_u32_e64 s[0:1], 8, v37
	v_cndmask_b32_e64 v37, v40, v39, s[0:1]
	v_lshlrev_b32_e32 v1, 8, v1
	v_lshl_add_u32 v37, v37, 10, v12
	v_and_b32_e32 v38, 7, v38
	v_and_or_b32 v1, v1, s26, v37
	v_cndmask_b32_e64 v35, v35, v38, s[0:1]
	v_lshlrev_b32_e32 v1, 16, v1
	v_lshl_or_b32 v35, v35, 23, v1
.LBB264_198:                            ;   in Loop: Header=BB264_126 Depth=1
	s_or_b64 exec, exec, s[18:19]
.LBB264_199:                            ;   in Loop: Header=BB264_126 Depth=1
	s_or_b64 exec, exec, s[16:17]
.LBB264_200:                            ;   in Loop: Header=BB264_126 Depth=1
	s_or_b64 exec, exec, s[12:13]
	v_mov_b32_e32 v1, v8
	v_cmp_ne_u16_sdwa s[0:1], v8, v2 src0_sel:BYTE_0 src1_sel:DWORD
	v_mov_b32_e32 v37, 0
	v_mov_b32_e32 v38, 0
	s_and_saveexec_b64 s[12:13], s[0:1]
	s_cbranch_execz .LBB264_206
; %bb.201:                              ;   in Loop: Header=BB264_126 Depth=1
	v_cmp_ne_u16_sdwa s[0:1], v8, s24 src0_sel:BYTE_0 src1_sel:DWORD
	v_mov_b32_e32 v38, 0x8000
	s_and_saveexec_b64 s[16:17], s[0:1]
	s_cbranch_execz .LBB264_205
; %bb.202:                              ;   in Loop: Header=BB264_126 Depth=1
	v_and_b32_e32 v39, 0x7f, v8
	v_cmp_ne_u32_e64 s[0:1], s25, v39
	v_mov_b32_e32 v38, 0x7c01
	s_and_saveexec_b64 s[18:19], s[0:1]
	s_cbranch_execz .LBB264_204
; %bb.203:                              ;   in Loop: Header=BB264_126 Depth=1
	v_and_b32_e32 v38, 7, v8
	v_ffbh_u32_e32 v40, v38
	v_min_u32_e32 v43, 32, v40
	v_subrev_u32_e32 v40, 28, v43
	v_lshlrev_b64 v[40:41], v40, v[1:2]
	v_lshrrev_b32_e32 v42, 3, v39
	v_sub_u32_e32 v41, 29, v43
	v_cmp_gt_u32_e64 s[0:1], 8, v39
	v_cndmask_b32_e64 v39, v42, v41, s[0:1]
	v_lshl_add_u32 v39, v39, 10, v12
	v_lshlrev_b32_e32 v41, 8, v8
	v_and_b32_e32 v40, 7, v40
	v_and_b32_e32 v39, 0xfc00, v39
	v_cndmask_b32_e64 v38, v38, v40, s[0:1]
	v_and_or_b32 v39, v41, s26, v39
	v_lshl_or_b32 v38, v38, 7, v39
.LBB264_204:                            ;   in Loop: Header=BB264_126 Depth=1
	s_or_b64 exec, exec, s[18:19]
.LBB264_205:                            ;   in Loop: Header=BB264_126 Depth=1
	s_or_b64 exec, exec, s[16:17]
.LBB264_206:                            ;   in Loop: Header=BB264_126 Depth=1
	s_or_b64 exec, exec, s[12:13]
	v_lshrrev_b16_e32 v1, 8, v1
	v_cmp_ne_u16_e64 s[0:1], 0, v1
	v_mov_b32_e32 v39, 0
	s_and_saveexec_b64 s[12:13], s[0:1]
	s_cbranch_execz .LBB264_212
; %bb.207:                              ;   in Loop: Header=BB264_126 Depth=1
	v_cmp_ne_u16_e64 s[0:1], s24, v1
	v_bfrev_b32_e32 v39, 1
	s_and_saveexec_b64 s[16:17], s[0:1]
	s_cbranch_execz .LBB264_211
; %bb.208:                              ;   in Loop: Header=BB264_126 Depth=1
	v_and_b32_e32 v40, 0x7f, v1
	v_cmp_ne_u32_e64 s[0:1], s25, v40
	v_mov_b32_e32 v39, 0x7c010000
	s_and_saveexec_b64 s[18:19], s[0:1]
	s_cbranch_execz .LBB264_210
; %bb.209:                              ;   in Loop: Header=BB264_126 Depth=1
	v_and_b32_e32 v39, 7, v1
	v_ffbh_u32_e32 v41, v39
	v_min_u32_e32 v44, 32, v41
	v_subrev_u32_e32 v41, 28, v44
	v_lshlrev_b64 v[41:42], v41, v[1:2]
	v_lshrrev_b32_e32 v43, 3, v40
	v_sub_u32_e32 v42, 29, v44
	v_cmp_gt_u32_e64 s[0:1], 8, v40
	v_cndmask_b32_e64 v40, v43, v42, s[0:1]
	v_lshlrev_b32_e32 v1, 8, v1
	v_lshl_add_u32 v40, v40, 10, v12
	v_and_b32_e32 v41, 7, v41
	v_and_or_b32 v1, v1, s26, v40
	v_cndmask_b32_e64 v39, v39, v41, s[0:1]
	v_lshlrev_b32_e32 v1, 16, v1
	v_lshl_or_b32 v39, v39, 23, v1
.LBB264_210:                            ;   in Loop: Header=BB264_126 Depth=1
	s_or_b64 exec, exec, s[18:19]
.LBB264_211:                            ;   in Loop: Header=BB264_126 Depth=1
	s_or_b64 exec, exec, s[16:17]
.LBB264_212:                            ;   in Loop: Header=BB264_126 Depth=1
	s_or_b64 exec, exec, s[12:13]
	v_lshrrev_b32_e32 v1, 16, v8
	v_cmp_ne_u16_sdwa s[0:1], v1, v2 src0_sel:BYTE_0 src1_sel:DWORD
	s_and_saveexec_b64 s[12:13], s[0:1]
	s_cbranch_execz .LBB264_218
; %bb.213:                              ;   in Loop: Header=BB264_126 Depth=1
	v_cmp_ne_u16_sdwa s[0:1], v1, s24 src0_sel:BYTE_0 src1_sel:DWORD
	v_mov_b32_e32 v37, 0x8000
	s_and_saveexec_b64 s[16:17], s[0:1]
	s_cbranch_execz .LBB264_217
; %bb.214:                              ;   in Loop: Header=BB264_126 Depth=1
	v_bfe_u32 v40, v8, 16, 7
	v_cmp_ne_u32_e64 s[0:1], s25, v40
	v_mov_b32_e32 v37, 0x7c01
	s_and_saveexec_b64 s[18:19], s[0:1]
	s_cbranch_execz .LBB264_216
; %bb.215:                              ;   in Loop: Header=BB264_126 Depth=1
	v_and_b32_e32 v37, 7, v1
	v_ffbh_u32_e32 v41, v37
	v_min_u32_e32 v44, 32, v41
	v_subrev_u32_e32 v41, 28, v44
	v_lshlrev_b64 v[41:42], v41, v[1:2]
	v_lshrrev_b32_e32 v43, 3, v40
	v_sub_u32_e32 v42, 29, v44
	v_cmp_gt_u32_e64 s[0:1], 8, v40
	v_cndmask_b32_e64 v40, v43, v42, s[0:1]
	v_lshl_add_u32 v40, v40, 10, v12
	v_lshlrev_b32_e32 v1, 8, v1
	v_and_b32_e32 v41, 7, v41
	v_and_b32_e32 v40, 0xfc00, v40
	v_cndmask_b32_e64 v37, v37, v41, s[0:1]
	v_and_or_b32 v1, v1, s26, v40
	v_lshl_or_b32 v37, v37, 7, v1
.LBB264_216:                            ;   in Loop: Header=BB264_126 Depth=1
	s_or_b64 exec, exec, s[18:19]
.LBB264_217:                            ;   in Loop: Header=BB264_126 Depth=1
	s_or_b64 exec, exec, s[16:17]
.LBB264_218:                            ;   in Loop: Header=BB264_126 Depth=1
	s_or_b64 exec, exec, s[12:13]
	v_cmp_lt_u64_e64 s[0:1], s[4:5], v[7:8]
	v_mov_b32_e32 v7, 0
	s_and_saveexec_b64 s[12:13], s[0:1]
	s_cbranch_execz .LBB264_224
; %bb.219:                              ;   in Loop: Header=BB264_126 Depth=1
	v_lshrrev_b32_e32 v1, 24, v8
	v_cmp_ne_u32_e64 s[0:1], s24, v1
	v_bfrev_b32_e32 v7, 1
	s_and_saveexec_b64 s[16:17], s[0:1]
	s_cbranch_execz .LBB264_223
; %bb.220:                              ;   in Loop: Header=BB264_126 Depth=1
	v_and_b32_e32 v8, 0x7f, v1
	v_cmp_ne_u32_e64 s[0:1], s25, v8
	v_mov_b32_e32 v7, 0x7c010000
	s_and_saveexec_b64 s[18:19], s[0:1]
	s_cbranch_execz .LBB264_222
; %bb.221:                              ;   in Loop: Header=BB264_126 Depth=1
	v_and_b32_e32 v7, 7, v1
	v_ffbh_u32_e32 v40, v7
	v_min_u32_e32 v43, 32, v40
	v_subrev_u32_e32 v40, 28, v43
	v_lshlrev_b64 v[40:41], v40, v[1:2]
	v_lshrrev_b32_e32 v42, 3, v8
	v_sub_u32_e32 v41, 29, v43
	v_cmp_gt_u32_e64 s[0:1], 8, v8
	v_cndmask_b32_e64 v8, v42, v41, s[0:1]
	v_lshlrev_b32_e32 v1, 8, v1
	v_lshl_add_u32 v8, v8, 10, v12
	v_and_b32_e32 v40, 7, v40
	v_and_or_b32 v1, v1, s26, v8
	v_cndmask_b32_e64 v7, v7, v40, s[0:1]
	v_lshlrev_b32_e32 v1, 16, v1
	v_lshl_or_b32 v7, v7, 23, v1
.LBB264_222:                            ;   in Loop: Header=BB264_126 Depth=1
	s_or_b64 exec, exec, s[18:19]
.LBB264_223:                            ;   in Loop: Header=BB264_126 Depth=1
	s_or_b64 exec, exec, s[16:17]
.LBB264_224:                            ;   in Loop: Header=BB264_126 Depth=1
	s_or_b64 exec, exec, s[12:13]
	s_waitcnt vmcnt(0)
	v_fma_mixlo_f16 v8, v32, v35, 0 op_sel:[0,1,0] op_sel_hi:[0,1,0]
	v_or_b32_e32 v1, v35, v36
	v_lshlrev_b32_e32 v35, 16, v8
	v_or_b32_e32 v8, v33, v34
	v_fma_mixlo_f16 v33, v32, v33, 0 op_sel:[0,1,0] op_sel_hi:[0,1,0]
	v_lshlrev_b32_e32 v40, 16, v33
	v_or_b32_e32 v33, v39, v38
	v_or_b32_e32 v37, v7, v37
	v_fma_mixlo_f16 v1, v32, v1, 0 op_sel_hi:[0,1,0]
	v_fma_mixlo_f16 v8, v32, v8, 0 op_sel_hi:[0,1,0]
	v_fma_mixlo_f16 v34, v32, v39, 0 op_sel:[0,1,0] op_sel_hi:[0,1,0]
	v_fma_mixlo_f16 v33, v32, v33, 0 op_sel_hi:[0,1,0]
	v_fma_mixlo_f16 v37, v32, v37, 0 op_sel_hi:[0,1,0]
	v_fma_mixlo_f16 v7, v32, v7, 0 op_sel:[0,1,0] op_sel_hi:[0,1,0]
	v_and_b32_e32 v36, 0xffff, v1
	v_and_b32_e32 v41, 0xffff, v8
	v_lshlrev_b32_e32 v34, 16, v34
	v_and_b32_e32 v38, 0xffff, v33
	v_lshlrev_b32_e32 v7, 16, v7
	v_and_b32_e32 v37, 0xffff, v37
	v_or_b32_e32 v1, v35, v36
	v_or_b32_e32 v8, v40, v41
	;; [unrolled: 1-line block ×4, first 2 shown]
	s_and_saveexec_b64 s[0:1], vcc
	s_cbranch_execz .LBB264_125
; %bb.225:                              ;   in Loop: Header=BB264_126 Depth=1
	v_cmp_gt_i32_e32 vcc, s30, v9
	v_cndmask_b32_e32 v1, 0, v41, vcc
	v_cmp_gt_i32_e32 vcc, s30, v25
	v_cndmask_b32_e32 v8, 0, v40, vcc
	v_cmp_gt_i32_e32 vcc, s30, v24
	v_or_b32_e32 v8, v8, v1
	v_cndmask_b32_e32 v1, 0, v36, vcc
	v_cmp_gt_i32_e32 vcc, s30, v23
	v_cndmask_b32_e32 v9, 0, v35, vcc
	v_cmp_gt_i32_e32 vcc, s30, v22
	v_or_b32_e32 v1, v9, v1
	;; [unrolled: 5-line block ×3, first 2 shown]
	v_cndmask_b32_e32 v9, 0, v37, vcc
	v_cmp_gt_i32_e32 vcc, s30, v18
	v_cndmask_b32_e32 v7, 0, v7, vcc
	v_or_b32_e32 v32, v7, v9
	s_branch .LBB264_125
.LBB264_226:
	s_or_b64 exec, exec, s[6:7]
.LBB264_227:
	s_or_b64 exec, exec, s[2:3]
	ds_bpermute_b32 v1, v14, v19
	ds_bpermute_b32 v2, v14, v17
	v_and_b32_e32 v3, 0x3c3, v0
	v_cmp_eq_u32_e32 vcc, 64, v3
	s_waitcnt lgkmcnt(0)
	v_add_f32_e32 v1, v19, v1
	v_add_f32_e32 v4, v17, v2
	ds_bpermute_b32 v2, v16, v1
	ds_bpermute_b32 v5, v16, v4
	s_waitcnt lgkmcnt(0)
	s_barrier
	v_add_f32_e32 v2, v1, v2
	v_add_f32_e32 v1, v4, v5
	s_and_saveexec_b64 s[0:1], vcc
; %bb.228:
	v_add_u32_e32 v4, 0x50, v13
	ds_write2_b32 v4, v2, v1 offset1:16
; %bb.229:
	s_or_b64 exec, exec, s[0:1]
	v_cmp_gt_u32_e32 vcc, 64, v0
	v_lshrrev_b32_e32 v0, 2, v0
	s_waitcnt lgkmcnt(0)
	s_barrier
	s_and_saveexec_b64 s[0:1], vcc
	s_cbranch_execz .LBB264_235
; %bb.230:
	v_mov_b32_e32 v4, 0x50
	v_cmp_eq_u32_e32 vcc, 0, v15
	v_lshl_add_u32 v4, v0, 2, v4
	s_and_saveexec_b64 s[2:3], vcc
	s_cbranch_execz .LBB264_232
; %bb.231:
	ds_read_b32 v5, v4
	s_waitcnt lgkmcnt(0)
	v_add_f32_e32 v2, v2, v5
.LBB264_232:
	s_or_b64 exec, exec, s[2:3]
	s_and_saveexec_b64 s[2:3], vcc
	s_cbranch_execz .LBB264_234
; %bb.233:
	ds_read_b32 v4, v4 offset:64
	s_waitcnt lgkmcnt(0)
	v_add_f32_e32 v1, v1, v4
.LBB264_234:
	s_or_b64 exec, exec, s[2:3]
.LBB264_235:
	s_or_b64 exec, exec, s[0:1]
	v_cmp_eq_u32_e32 vcc, 0, v3
	s_barrier
	s_and_saveexec_b64 s[0:1], vcc
	s_cbranch_execz .LBB264_237
; %bb.236:
	s_mul_i32 s0, s10, s11
	s_mul_i32 s0, s0, s9
	s_lshl_b32 s0, s0, 5
	s_ashr_i32 s1, s0, 31
	s_lshl_b64 s[0:1], s[0:1], 1
	s_add_u32 s2, s22, s0
	s_mul_i32 s0, s11, s20
	s_addc_u32 s3, s23, s1
	s_ashr_i32 s1, s0, 31
	s_lshl_b64 s[0:1], s[0:1], 1
	s_add_u32 s2, s2, s0
	s_addc_u32 s3, s3, s1
	s_lshl_b32 s0, s8, 5
	s_ashr_i32 s1, s0, 31
	s_lshl_b64 s[0:1], s[0:1], 1
	s_add_u32 s0, s2, s0
	s_addc_u32 s1, s3, s1
	v_lshlrev_b32_e32 v0, 1, v0
	;;#ASMSTART
	v_cvt_f16_f32 v2, v2;

	;;#ASMEND
	global_store_short v0, v2, s[0:1]
	;;#ASMSTART
	v_cvt_f16_f32 v1, v1;

	;;#ASMEND
	global_store_short v0, v1, s[0:1] offset:32
.LBB264_237:
	s_endpgm
	.section	.rodata,"a",@progbits
	.p2align	6, 0x0
	.amdhsa_kernel _ZN4vllm25paged_attention_v1_kernelIthLi32ELi32ELi128ELNS_18Fp8KVCacheDataTypeE1ELb0EEEvPT_PKS2_PKT0_S8_ifPKiSA_iPKfiiiSC_SC_iiiii
		.amdhsa_group_segment_fixed_size 80
		.amdhsa_private_segment_fixed_size 0
		.amdhsa_kernarg_size 384
		.amdhsa_user_sgpr_count 6
		.amdhsa_user_sgpr_private_segment_buffer 1
		.amdhsa_user_sgpr_dispatch_ptr 0
		.amdhsa_user_sgpr_queue_ptr 0
		.amdhsa_user_sgpr_kernarg_segment_ptr 1
		.amdhsa_user_sgpr_dispatch_id 0
		.amdhsa_user_sgpr_flat_scratch_init 0
		.amdhsa_user_sgpr_private_segment_size 0
		.amdhsa_uses_dynamic_stack 0
		.amdhsa_system_sgpr_private_segment_wavefront_offset 0
		.amdhsa_system_sgpr_workgroup_id_x 1
		.amdhsa_system_sgpr_workgroup_id_y 1
		.amdhsa_system_sgpr_workgroup_id_z 1
		.amdhsa_system_sgpr_workgroup_info 0
		.amdhsa_system_vgpr_workitem_id 0
		.amdhsa_next_free_vgpr 45
		.amdhsa_next_free_sgpr 46
		.amdhsa_reserve_vcc 1
		.amdhsa_reserve_flat_scratch 0
		.amdhsa_float_round_mode_32 0
		.amdhsa_float_round_mode_16_64 0
		.amdhsa_float_denorm_mode_32 3
		.amdhsa_float_denorm_mode_16_64 3
		.amdhsa_dx10_clamp 1
		.amdhsa_ieee_mode 1
		.amdhsa_fp16_overflow 0
		.amdhsa_exception_fp_ieee_invalid_op 0
		.amdhsa_exception_fp_denorm_src 0
		.amdhsa_exception_fp_ieee_div_zero 0
		.amdhsa_exception_fp_ieee_overflow 0
		.amdhsa_exception_fp_ieee_underflow 0
		.amdhsa_exception_fp_ieee_inexact 0
		.amdhsa_exception_int_div_zero 0
	.end_amdhsa_kernel
	.section	.text._ZN4vllm25paged_attention_v1_kernelIthLi32ELi32ELi128ELNS_18Fp8KVCacheDataTypeE1ELb0EEEvPT_PKS2_PKT0_S8_ifPKiSA_iPKfiiiSC_SC_iiiii,"axG",@progbits,_ZN4vllm25paged_attention_v1_kernelIthLi32ELi32ELi128ELNS_18Fp8KVCacheDataTypeE1ELb0EEEvPT_PKS2_PKT0_S8_ifPKiSA_iPKfiiiSC_SC_iiiii,comdat
.Lfunc_end264:
	.size	_ZN4vllm25paged_attention_v1_kernelIthLi32ELi32ELi128ELNS_18Fp8KVCacheDataTypeE1ELb0EEEvPT_PKS2_PKT0_S8_ifPKiSA_iPKfiiiSC_SC_iiiii, .Lfunc_end264-_ZN4vllm25paged_attention_v1_kernelIthLi32ELi32ELi128ELNS_18Fp8KVCacheDataTypeE1ELb0EEEvPT_PKS2_PKT0_S8_ifPKiSA_iPKfiiiSC_SC_iiiii
                                        ; -- End function
	.set _ZN4vllm25paged_attention_v1_kernelIthLi32ELi32ELi128ELNS_18Fp8KVCacheDataTypeE1ELb0EEEvPT_PKS2_PKT0_S8_ifPKiSA_iPKfiiiSC_SC_iiiii.num_vgpr, 45
	.set _ZN4vllm25paged_attention_v1_kernelIthLi32ELi32ELi128ELNS_18Fp8KVCacheDataTypeE1ELb0EEEvPT_PKS2_PKT0_S8_ifPKiSA_iPKfiiiSC_SC_iiiii.num_agpr, 0
	.set _ZN4vllm25paged_attention_v1_kernelIthLi32ELi32ELi128ELNS_18Fp8KVCacheDataTypeE1ELb0EEEvPT_PKS2_PKT0_S8_ifPKiSA_iPKfiiiSC_SC_iiiii.numbered_sgpr, 46
	.set _ZN4vllm25paged_attention_v1_kernelIthLi32ELi32ELi128ELNS_18Fp8KVCacheDataTypeE1ELb0EEEvPT_PKS2_PKT0_S8_ifPKiSA_iPKfiiiSC_SC_iiiii.num_named_barrier, 0
	.set _ZN4vllm25paged_attention_v1_kernelIthLi32ELi32ELi128ELNS_18Fp8KVCacheDataTypeE1ELb0EEEvPT_PKS2_PKT0_S8_ifPKiSA_iPKfiiiSC_SC_iiiii.private_seg_size, 0
	.set _ZN4vllm25paged_attention_v1_kernelIthLi32ELi32ELi128ELNS_18Fp8KVCacheDataTypeE1ELb0EEEvPT_PKS2_PKT0_S8_ifPKiSA_iPKfiiiSC_SC_iiiii.uses_vcc, 1
	.set _ZN4vllm25paged_attention_v1_kernelIthLi32ELi32ELi128ELNS_18Fp8KVCacheDataTypeE1ELb0EEEvPT_PKS2_PKT0_S8_ifPKiSA_iPKfiiiSC_SC_iiiii.uses_flat_scratch, 0
	.set _ZN4vllm25paged_attention_v1_kernelIthLi32ELi32ELi128ELNS_18Fp8KVCacheDataTypeE1ELb0EEEvPT_PKS2_PKT0_S8_ifPKiSA_iPKfiiiSC_SC_iiiii.has_dyn_sized_stack, 0
	.set _ZN4vllm25paged_attention_v1_kernelIthLi32ELi32ELi128ELNS_18Fp8KVCacheDataTypeE1ELb0EEEvPT_PKS2_PKT0_S8_ifPKiSA_iPKfiiiSC_SC_iiiii.has_recursion, 0
	.set _ZN4vllm25paged_attention_v1_kernelIthLi32ELi32ELi128ELNS_18Fp8KVCacheDataTypeE1ELb0EEEvPT_PKS2_PKT0_S8_ifPKiSA_iPKfiiiSC_SC_iiiii.has_indirect_call, 0
	.section	.AMDGPU.csdata,"",@progbits
; Kernel info:
; codeLenInByte = 9924
; TotalNumSgprs: 50
; NumVgprs: 45
; ScratchSize: 0
; MemoryBound: 0
; FloatMode: 240
; IeeeMode: 1
; LDSByteSize: 80 bytes/workgroup (compile time only)
; SGPRBlocks: 6
; VGPRBlocks: 11
; NumSGPRsForWavesPerEU: 50
; NumVGPRsForWavesPerEU: 45
; Occupancy: 5
; WaveLimiterHint : 1
; COMPUTE_PGM_RSRC2:SCRATCH_EN: 0
; COMPUTE_PGM_RSRC2:USER_SGPR: 6
; COMPUTE_PGM_RSRC2:TRAP_HANDLER: 0
; COMPUTE_PGM_RSRC2:TGID_X_EN: 1
; COMPUTE_PGM_RSRC2:TGID_Y_EN: 1
; COMPUTE_PGM_RSRC2:TGID_Z_EN: 1
; COMPUTE_PGM_RSRC2:TIDIG_COMP_CNT: 0
	.section	.text._ZN4vllm25paged_attention_v1_kernelIthLi64ELi32ELi128ELNS_18Fp8KVCacheDataTypeE1ELb0EEEvPT_PKS2_PKT0_S8_ifPKiSA_iPKfiiiSC_SC_iiiii,"axG",@progbits,_ZN4vllm25paged_attention_v1_kernelIthLi64ELi32ELi128ELNS_18Fp8KVCacheDataTypeE1ELb0EEEvPT_PKS2_PKT0_S8_ifPKiSA_iPKfiiiSC_SC_iiiii,comdat
	.protected	_ZN4vllm25paged_attention_v1_kernelIthLi64ELi32ELi128ELNS_18Fp8KVCacheDataTypeE1ELb0EEEvPT_PKS2_PKT0_S8_ifPKiSA_iPKfiiiSC_SC_iiiii ; -- Begin function _ZN4vllm25paged_attention_v1_kernelIthLi64ELi32ELi128ELNS_18Fp8KVCacheDataTypeE1ELb0EEEvPT_PKS2_PKT0_S8_ifPKiSA_iPKfiiiSC_SC_iiiii
	.globl	_ZN4vllm25paged_attention_v1_kernelIthLi64ELi32ELi128ELNS_18Fp8KVCacheDataTypeE1ELb0EEEvPT_PKS2_PKT0_S8_ifPKiSA_iPKfiiiSC_SC_iiiii
	.p2align	8
	.type	_ZN4vllm25paged_attention_v1_kernelIthLi64ELi32ELi128ELNS_18Fp8KVCacheDataTypeE1ELb0EEEvPT_PKS2_PKT0_S8_ifPKiSA_iPKfiiiSC_SC_iiiii,@function
_ZN4vllm25paged_attention_v1_kernelIthLi64ELi32ELi128ELNS_18Fp8KVCacheDataTypeE1ELb0EEEvPT_PKS2_PKT0_S8_ifPKiSA_iPKfiiiSC_SC_iiiii: ; @_ZN4vllm25paged_attention_v1_kernelIthLi64ELi32ELi128ELNS_18Fp8KVCacheDataTypeE1ELb0EEEvPT_PKS2_PKT0_S8_ifPKiSA_iPKfiiiSC_SC_iiiii
; %bb.0:
	s_load_dword s9, s[4:5], 0x80
	s_load_dwordx2 s[0:1], s[4:5], 0x30
	s_load_dwordx2 s[30:31], s[4:5], 0x20
	s_mov_b32 s10, s7
	s_ashr_i32 s11, s7, 31
	s_lshl_b64 s[2:3], s[10:11], 2
	s_waitcnt lgkmcnt(0)
	s_add_u32 s0, s0, s2
	s_addc_u32 s1, s1, s3
	s_abs_i32 s2, s30
	v_cvt_f32_u32_e32 v1, s2
	s_sub_i32 s11, 0, s2
	s_abs_i32 s7, s9
	s_xor_b32 s3, s9, s30
	v_rcp_iflag_f32_e32 v1, v1
	s_ashr_i32 s3, s3, 31
	s_mov_b32 s33, 0
	v_mul_f32_e32 v1, 0x4f7ffffe, v1
	v_cvt_u32_f32_e32 v1, v1
	v_readfirstlane_b32 s12, v1
	s_mul_i32 s11, s11, s12
	s_mul_hi_u32 s11, s12, s11
	s_add_i32 s12, s12, s11
	s_mul_hi_u32 s11, s7, s12
	s_mul_i32 s12, s11, s2
	s_sub_i32 s7, s7, s12
	s_add_i32 s12, s11, 1
	s_sub_i32 s13, s7, s2
	s_cmp_ge_u32 s7, s2
	s_cselect_b32 s11, s12, s11
	s_cselect_b32 s7, s13, s7
	s_add_i32 s12, s11, 1
	s_cmp_ge_u32 s7, s2
	s_cselect_b32 s2, s12, s11
	s_xor_b32 s2, s2, s3
	s_sub_i32 s14, s2, s3
	s_abs_i32 s11, s14
	v_cvt_f32_u32_e32 v1, s11
	s_load_dwordx2 s[2:3], s[4:5], 0x40
	s_sub_i32 s7, 0, s11
	s_abs_i32 s12, s6
	v_rcp_iflag_f32_e32 v1, v1
	v_mul_f32_e32 v1, 0x4f7ffffe, v1
	v_cvt_u32_f32_e32 v1, v1
	v_readfirstlane_b32 s13, v1
	s_mul_i32 s7, s7, s13
	s_mul_hi_u32 s7, s13, s7
	s_add_i32 s13, s13, s7
	s_waitcnt lgkmcnt(0)
	s_cmp_eq_u64 s[2:3], 0
	s_mul_hi_u32 s13, s12, s13
	s_cbranch_scc1 .LBB265_2
; %bb.1:
	s_ashr_i32 s7, s6, 31
	s_lshl_b64 s[16:17], s[6:7], 2
	s_add_u32 s2, s2, s16
	s_addc_u32 s3, s3, s17
	s_load_dword s33, s[2:3], 0x0
.LBB265_2:
	s_load_dword s30, s[0:1], 0x0
	s_load_dwordx4 s[16:19], s[4:5], 0x48
	s_ashr_i32 s2, s6, 31
	s_ashr_i32 s3, s14, 31
	v_and_b32_e32 v3, 1, v0
	s_lshl_b32 s20, s6, 6
	v_cmp_gt_u32_e32 vcc, 16, v0
	v_lshlrev_b32_e32 v10, 3, v0
	s_and_saveexec_b64 s[0:1], vcc
	s_cbranch_execz .LBB265_4
; %bb.3:
	s_load_dwordx2 s[6:7], s[4:5], 0x8
	s_waitcnt lgkmcnt(0)
	s_mul_i32 s14, s16, s10
	s_ashr_i32 s15, s14, 31
	s_lshl_b64 s[14:15], s[14:15], 1
	v_lshlrev_b32_e32 v4, 2, v0
	s_add_u32 s14, s6, s14
	s_addc_u32 s15, s7, s15
	s_ashr_i32 s21, s20, 31
	s_lshl_b64 s[6:7], s[20:21], 1
	s_add_u32 s6, s14, s6
	s_addc_u32 s7, s15, s7
	global_load_dwordx2 v[1:2], v10, s[6:7]
	v_and_b32_e32 v4, 0xff8, v4
	v_lshl_add_u32 v4, v3, 6, v4
	s_waitcnt vmcnt(0)
	ds_write_b64 v4, v[1:2]
.LBB265_4:
	s_or_b64 exec, exec, s[0:1]
	s_waitcnt lgkmcnt(0)
	s_add_i32 s1, s30, 31
	s_ashr_i32 s6, s1, 31
	s_lshr_b32 s6, s6, 27
	s_add_i32 s1, s1, s6
	s_ashr_i32 s21, s1, 5
	s_xor_b32 s1, s2, s3
	s_mul_i32 s2, s13, s11
	s_sub_i32 s2, s12, s2
	s_add_i32 s3, s13, 1
	s_sub_i32 s6, s2, s11
	s_load_dwordx2 s[24:25], s[4:5], 0x28
	s_load_dword s0, s[4:5], 0x38
	s_cmp_ge_u32 s2, s11
	s_cselect_b32 s3, s3, s13
	s_cselect_b32 s2, s6, s2
	s_add_i32 s6, s3, 1
	s_cmp_ge_u32 s2, s11
	s_cselect_b32 s2, s6, s3
	v_lshrrev_b32_e32 v11, 6, v0
	s_xor_b32 s2, s2, s1
	s_waitcnt lgkmcnt(0)
	s_mul_i32 s26, s0, s10
	s_sub_i32 s16, s2, s1
	s_ashr_i32 s27, s26, 31
	v_cmp_gt_i32_e64 s[0:1], s21, v11
	v_cmp_le_i32_e32 vcc, s21, v11
	v_mbcnt_lo_u32_b32 v8, -1, 0
	s_barrier
                                        ; implicit-def: $vgpr16
                                        ; implicit-def: $vgpr1
                                        ; implicit-def: $vgpr7
	s_and_saveexec_b64 s[2:3], vcc
	s_xor_b64 s[2:3], exec, s[2:3]
; %bb.5:
	v_mbcnt_hi_u32_b32 v16, -1, v8
	v_and_b32_e32 v1, 64, v16
	v_add_u32_e32 v7, 64, v1
                                        ; implicit-def: $vgpr3
                                        ; implicit-def: $vgpr8
; %bb.6:
	s_or_saveexec_b64 s[6:7], s[2:3]
	s_load_dwordx2 s[22:23], s[4:5], 0x0
	s_load_dwordx2 s[28:29], s[4:5], 0x18
	s_load_dword s11, s[4:5], 0x88
	s_load_dwordx4 s[12:15], s[4:5], 0x58
	v_mov_b32_e32 v13, 0xff7fffff
	s_mul_i32 s16, s16, s18
	v_lshrrev_b32_e32 v12, 4, v0
	s_xor_b64 exec, exec, s[6:7]
	s_cbranch_execz .LBB265_204
; %bb.7:
	s_load_dwordx2 s[2:3], s[4:5], 0x10
	s_ashr_i32 s4, s16, 31
	v_bfe_u32 v1, v0, 1, 5
	v_lshlrev_b32_e32 v4, 4, v1
	v_lshlrev_b32_e32 v6, 2, v3
	s_waitcnt lgkmcnt(0)
	s_add_u32 s2, s2, s16
	s_addc_u32 s3, s3, s4
	v_mov_b32_e32 v5, s3
	v_add_co_u32_e32 v4, vcc, s2, v4
	v_addc_co_u32_e32 v5, vcc, 0, v5, vcc
	v_lshlrev_b32_e32 v14, 6, v3
	v_cmp_eq_u32_e32 vcc, 0, v3
	v_add_co_u32_e64 v3, s[4:5], v4, v6
	v_addc_co_u32_e64 v4, s[4:5], 0, v5, s[4:5]
	s_sub_i32 s41, 1, s30
	v_lshl_or_b32 v15, v11, 5, v1
	v_lshlrev_b32_e32 v1, 2, v1
	s_lshl_b64 s[4:5], s[26:27], 2
	v_lshl_or_b32 v1, v11, 7, v1
	s_add_u32 s4, s24, s4
	v_add_u32_e32 v17, 0x90, v1
	v_and_b32_e32 v1, 60, v12
	s_addc_u32 s5, s25, s5
	v_mov_b32_e32 v6, s5
	v_add_co_u32_e64 v5, s[4:5], s4, v1
	s_mov_b32 s40, s17
	v_mov_b32_e32 v2, 0
	v_cmp_neq_f32_e64 s[2:3], s33, 0
	v_addc_co_u32_e64 v6, s[4:5], 0, v6, s[4:5]
	v_mov_b32_e32 v13, 0xff7fffff
	s_mov_b64 s[18:19], 0
	s_movk_i32 s42, 0x80
	s_movk_i32 s43, 0x7f
	s_mov_b32 s44, 0x8000
	s_mov_b32 s45, 0xffffff
	v_mbcnt_hi_u32_b32 v16, -1, v8
	v_mov_b32_e32 v18, 0x2000
	v_mov_b32_e32 v19, v11
	s_branch .LBB265_9
.LBB265_8:                              ;   in Loop: Header=BB265_9 Depth=1
	s_or_b64 exec, exec, s[34:35]
	v_add_u32_e32 v19, 2, v19
	v_cmp_le_i32_e64 s[4:5], s21, v19
	s_or_b64 s[18:19], s[4:5], s[18:19]
	v_add_co_u32_e64 v5, s[4:5], 8, v5
	v_add_u32_e32 v15, 64, v15
	v_add_u32_e32 v17, 0x100, v17
	v_addc_co_u32_e64 v6, s[4:5], 0, v6, s[4:5]
	s_andn2_b64 exec, exec, s[18:19]
	s_cbranch_execz .LBB265_203
.LBB265_9:                              ; =>This Inner Loop Header: Depth=1
	global_load_dword v1, v[5:6], off
	v_mov_b32_e32 v21, 0
	s_waitcnt vmcnt(0)
	v_mad_i64_i32 v[7:8], s[4:5], v1, s40, v[3:4]
	s_waitcnt lgkmcnt(0)
	global_load_dword v9, v[7:8], off
	global_load_dword v20, v2, s[12:13]
	s_waitcnt vmcnt(1)
	v_cmp_ne_u16_sdwa s[4:5], v9, v2 src0_sel:BYTE_0 src1_sel:DWORD
	s_and_saveexec_b64 s[34:35], s[4:5]
	s_cbranch_execz .LBB265_15
; %bb.10:                               ;   in Loop: Header=BB265_9 Depth=1
	v_cmp_ne_u16_sdwa s[4:5], v9, s42 src0_sel:BYTE_0 src1_sel:DWORD
	v_mov_b32_e32 v21, 0x8000
	s_and_saveexec_b64 s[36:37], s[4:5]
	s_cbranch_execz .LBB265_14
; %bb.11:                               ;   in Loop: Header=BB265_9 Depth=1
	v_and_b32_e32 v1, 0x7f, v9
	v_cmp_ne_u32_e64 s[4:5], s43, v1
	v_mov_b32_e32 v21, 0x7c01
	s_and_saveexec_b64 s[38:39], s[4:5]
	s_cbranch_execz .LBB265_13
; %bb.12:                               ;   in Loop: Header=BB265_9 Depth=1
	v_and_b32_e32 v23, 7, v9
	v_ffbh_u32_e32 v21, v23
	v_min_u32_e32 v25, 32, v21
	v_subrev_u32_e32 v21, 28, v25
	v_lshlrev_b64 v[21:22], v21, v[9:10]
	v_lshrrev_b32_e32 v24, 3, v1
	v_sub_u32_e32 v22, 29, v25
	v_cmp_gt_u32_e64 s[4:5], 8, v1
	v_cndmask_b32_e64 v1, v24, v22, s[4:5]
	v_lshl_add_u32 v1, v1, 10, v18
	v_lshlrev_b32_e32 v22, 8, v9
	v_and_b32_e32 v21, 7, v21
	v_and_b32_e32 v1, 0xfc00, v1
	v_cndmask_b32_e64 v21, v23, v21, s[4:5]
	v_and_or_b32 v1, v22, s44, v1
	v_lshl_or_b32 v21, v21, 7, v1
.LBB265_13:                             ;   in Loop: Header=BB265_9 Depth=1
	s_or_b64 exec, exec, s[38:39]
.LBB265_14:                             ;   in Loop: Header=BB265_9 Depth=1
	s_or_b64 exec, exec, s[36:37]
.LBB265_15:                             ;   in Loop: Header=BB265_9 Depth=1
	s_or_b64 exec, exec, s[34:35]
	v_lshrrev_b16_e32 v1, 8, v9
	v_cmp_ne_u16_e64 s[4:5], 0, v1
	v_mov_b32_e32 v22, 0
	v_mov_b32_e32 v23, 0
	s_and_saveexec_b64 s[34:35], s[4:5]
	s_cbranch_execz .LBB265_21
; %bb.16:                               ;   in Loop: Header=BB265_9 Depth=1
	v_cmp_ne_u16_e64 s[4:5], s42, v1
	v_bfrev_b32_e32 v23, 1
	s_and_saveexec_b64 s[36:37], s[4:5]
	s_cbranch_execz .LBB265_20
; %bb.17:                               ;   in Loop: Header=BB265_9 Depth=1
	v_and_b32_e32 v24, 0x7f, v1
	v_cmp_ne_u32_e64 s[4:5], s43, v24
	v_mov_b32_e32 v23, 0x7c010000
	s_and_saveexec_b64 s[38:39], s[4:5]
	s_cbranch_execz .LBB265_19
; %bb.18:                               ;   in Loop: Header=BB265_9 Depth=1
	v_and_b32_e32 v23, 7, v1
	v_ffbh_u32_e32 v25, v23
	v_min_u32_e32 v28, 32, v25
	v_subrev_u32_e32 v25, 28, v28
	v_lshlrev_b64 v[25:26], v25, v[1:2]
	v_lshrrev_b32_e32 v27, 3, v24
	v_sub_u32_e32 v26, 29, v28
	v_cmp_gt_u32_e64 s[4:5], 8, v24
	v_cndmask_b32_e64 v24, v27, v26, s[4:5]
	v_lshlrev_b32_e32 v1, 8, v1
	v_lshl_add_u32 v24, v24, 10, v18
	v_and_b32_e32 v25, 7, v25
	v_and_or_b32 v1, v1, s44, v24
	v_cndmask_b32_e64 v23, v23, v25, s[4:5]
	v_lshlrev_b32_e32 v1, 16, v1
	v_lshl_or_b32 v23, v23, 23, v1
.LBB265_19:                             ;   in Loop: Header=BB265_9 Depth=1
	s_or_b64 exec, exec, s[38:39]
.LBB265_20:                             ;   in Loop: Header=BB265_9 Depth=1
	s_or_b64 exec, exec, s[36:37]
.LBB265_21:                             ;   in Loop: Header=BB265_9 Depth=1
	s_or_b64 exec, exec, s[34:35]
	v_lshrrev_b32_e32 v1, 16, v9
	v_cmp_ne_u16_sdwa s[4:5], v1, v2 src0_sel:BYTE_0 src1_sel:DWORD
	s_and_saveexec_b64 s[34:35], s[4:5]
	s_cbranch_execz .LBB265_27
; %bb.22:                               ;   in Loop: Header=BB265_9 Depth=1
	v_cmp_ne_u16_sdwa s[4:5], v1, s42 src0_sel:BYTE_0 src1_sel:DWORD
	v_mov_b32_e32 v22, 0x8000
	s_and_saveexec_b64 s[36:37], s[4:5]
	s_cbranch_execz .LBB265_26
; %bb.23:                               ;   in Loop: Header=BB265_9 Depth=1
	v_bfe_u32 v24, v9, 16, 7
	v_cmp_ne_u32_e64 s[4:5], s43, v24
	v_mov_b32_e32 v22, 0x7c01
	s_and_saveexec_b64 s[38:39], s[4:5]
	s_cbranch_execz .LBB265_25
; %bb.24:                               ;   in Loop: Header=BB265_9 Depth=1
	v_and_b32_e32 v22, 7, v1
	v_ffbh_u32_e32 v25, v22
	v_min_u32_e32 v28, 32, v25
	v_subrev_u32_e32 v25, 28, v28
	v_lshlrev_b64 v[25:26], v25, v[1:2]
	v_lshrrev_b32_e32 v27, 3, v24
	v_sub_u32_e32 v26, 29, v28
	v_cmp_gt_u32_e64 s[4:5], 8, v24
	v_cndmask_b32_e64 v24, v27, v26, s[4:5]
	v_lshl_add_u32 v24, v24, 10, v18
	v_lshlrev_b32_e32 v1, 8, v1
	v_and_b32_e32 v25, 7, v25
	v_and_b32_e32 v24, 0xfc00, v24
	v_cndmask_b32_e64 v22, v22, v25, s[4:5]
	v_and_or_b32 v1, v1, s44, v24
	v_lshl_or_b32 v22, v22, 7, v1
.LBB265_25:                             ;   in Loop: Header=BB265_9 Depth=1
	s_or_b64 exec, exec, s[38:39]
.LBB265_26:                             ;   in Loop: Header=BB265_9 Depth=1
	s_or_b64 exec, exec, s[36:37]
.LBB265_27:                             ;   in Loop: Header=BB265_9 Depth=1
	s_or_b64 exec, exec, s[34:35]
	v_cmp_lt_u32_e64 s[4:5], s45, v9
	v_mov_b32_e32 v25, 0
	v_mov_b32_e32 v24, 0
	s_and_saveexec_b64 s[34:35], s[4:5]
	s_cbranch_execz .LBB265_33
; %bb.28:                               ;   in Loop: Header=BB265_9 Depth=1
	v_lshrrev_b32_e32 v1, 24, v9
	v_cmp_ne_u32_e64 s[4:5], s42, v1
	v_bfrev_b32_e32 v24, 1
	s_and_saveexec_b64 s[36:37], s[4:5]
	s_cbranch_execz .LBB265_32
; %bb.29:                               ;   in Loop: Header=BB265_9 Depth=1
	v_and_b32_e32 v9, 0x7f, v1
	v_cmp_ne_u32_e64 s[4:5], s43, v9
	v_mov_b32_e32 v24, 0x7c010000
	s_and_saveexec_b64 s[38:39], s[4:5]
	s_cbranch_execz .LBB265_31
; %bb.30:                               ;   in Loop: Header=BB265_9 Depth=1
	v_and_b32_e32 v24, 7, v1
	v_ffbh_u32_e32 v26, v24
	v_min_u32_e32 v29, 32, v26
	v_subrev_u32_e32 v26, 28, v29
	v_lshlrev_b64 v[26:27], v26, v[1:2]
	v_lshrrev_b32_e32 v28, 3, v9
	v_sub_u32_e32 v27, 29, v29
	v_cmp_gt_u32_e64 s[4:5], 8, v9
	v_cndmask_b32_e64 v9, v28, v27, s[4:5]
	v_lshlrev_b32_e32 v1, 8, v1
	v_lshl_add_u32 v9, v9, 10, v18
	v_and_b32_e32 v26, 7, v26
	v_and_or_b32 v1, v1, s44, v9
	v_cndmask_b32_e64 v24, v24, v26, s[4:5]
	v_lshlrev_b32_e32 v1, 16, v1
	v_lshl_or_b32 v24, v24, 23, v1
.LBB265_31:                             ;   in Loop: Header=BB265_9 Depth=1
	s_or_b64 exec, exec, s[38:39]
.LBB265_32:                             ;   in Loop: Header=BB265_9 Depth=1
	s_or_b64 exec, exec, s[36:37]
.LBB265_33:                             ;   in Loop: Header=BB265_9 Depth=1
	s_or_b64 exec, exec, s[34:35]
	global_load_dword v9, v[7:8], off offset:8
	s_waitcnt vmcnt(0)
	v_cmp_ne_u16_sdwa s[4:5], v9, v2 src0_sel:BYTE_0 src1_sel:DWORD
	s_and_saveexec_b64 s[34:35], s[4:5]
	s_cbranch_execz .LBB265_39
; %bb.34:                               ;   in Loop: Header=BB265_9 Depth=1
	v_cmp_ne_u16_sdwa s[4:5], v9, s42 src0_sel:BYTE_0 src1_sel:DWORD
	v_mov_b32_e32 v25, 0x8000
	s_and_saveexec_b64 s[36:37], s[4:5]
	s_cbranch_execz .LBB265_38
; %bb.35:                               ;   in Loop: Header=BB265_9 Depth=1
	v_and_b32_e32 v1, 0x7f, v9
	v_cmp_ne_u32_e64 s[4:5], s43, v1
	v_mov_b32_e32 v25, 0x7c01
	s_and_saveexec_b64 s[38:39], s[4:5]
	s_cbranch_execz .LBB265_37
; %bb.36:                               ;   in Loop: Header=BB265_9 Depth=1
	v_and_b32_e32 v27, 7, v9
	v_ffbh_u32_e32 v25, v27
	v_min_u32_e32 v29, 32, v25
	v_subrev_u32_e32 v25, 28, v29
	v_lshlrev_b64 v[25:26], v25, v[9:10]
	v_lshrrev_b32_e32 v28, 3, v1
	v_sub_u32_e32 v26, 29, v29
	v_cmp_gt_u32_e64 s[4:5], 8, v1
	v_cndmask_b32_e64 v1, v28, v26, s[4:5]
	v_lshl_add_u32 v1, v1, 10, v18
	v_lshlrev_b32_e32 v26, 8, v9
	v_and_b32_e32 v25, 7, v25
	v_and_b32_e32 v1, 0xfc00, v1
	v_cndmask_b32_e64 v25, v27, v25, s[4:5]
	v_and_or_b32 v1, v26, s44, v1
	v_lshl_or_b32 v25, v25, 7, v1
.LBB265_37:                             ;   in Loop: Header=BB265_9 Depth=1
	s_or_b64 exec, exec, s[38:39]
.LBB265_38:                             ;   in Loop: Header=BB265_9 Depth=1
	s_or_b64 exec, exec, s[36:37]
.LBB265_39:                             ;   in Loop: Header=BB265_9 Depth=1
	s_or_b64 exec, exec, s[34:35]
	v_lshrrev_b16_e32 v1, 8, v9
	v_cmp_ne_u16_e64 s[4:5], 0, v1
	v_mov_b32_e32 v26, 0
	v_mov_b32_e32 v27, 0
	s_and_saveexec_b64 s[34:35], s[4:5]
	s_cbranch_execz .LBB265_45
; %bb.40:                               ;   in Loop: Header=BB265_9 Depth=1
	v_cmp_ne_u16_e64 s[4:5], s42, v1
	v_bfrev_b32_e32 v27, 1
	s_and_saveexec_b64 s[36:37], s[4:5]
	s_cbranch_execz .LBB265_44
; %bb.41:                               ;   in Loop: Header=BB265_9 Depth=1
	v_and_b32_e32 v28, 0x7f, v1
	v_cmp_ne_u32_e64 s[4:5], s43, v28
	v_mov_b32_e32 v27, 0x7c010000
	s_and_saveexec_b64 s[38:39], s[4:5]
	s_cbranch_execz .LBB265_43
; %bb.42:                               ;   in Loop: Header=BB265_9 Depth=1
	v_and_b32_e32 v27, 7, v1
	v_ffbh_u32_e32 v29, v27
	v_min_u32_e32 v32, 32, v29
	v_subrev_u32_e32 v29, 28, v32
	v_lshlrev_b64 v[29:30], v29, v[1:2]
	v_lshrrev_b32_e32 v31, 3, v28
	v_sub_u32_e32 v30, 29, v32
	v_cmp_gt_u32_e64 s[4:5], 8, v28
	v_cndmask_b32_e64 v28, v31, v30, s[4:5]
	v_lshlrev_b32_e32 v1, 8, v1
	v_lshl_add_u32 v28, v28, 10, v18
	v_and_b32_e32 v29, 7, v29
	v_and_or_b32 v1, v1, s44, v28
	v_cndmask_b32_e64 v27, v27, v29, s[4:5]
	v_lshlrev_b32_e32 v1, 16, v1
	v_lshl_or_b32 v27, v27, 23, v1
.LBB265_43:                             ;   in Loop: Header=BB265_9 Depth=1
	s_or_b64 exec, exec, s[38:39]
.LBB265_44:                             ;   in Loop: Header=BB265_9 Depth=1
	s_or_b64 exec, exec, s[36:37]
.LBB265_45:                             ;   in Loop: Header=BB265_9 Depth=1
	s_or_b64 exec, exec, s[34:35]
	v_lshrrev_b32_e32 v1, 16, v9
	v_cmp_ne_u16_sdwa s[4:5], v1, v2 src0_sel:BYTE_0 src1_sel:DWORD
	s_and_saveexec_b64 s[34:35], s[4:5]
	s_cbranch_execz .LBB265_51
; %bb.46:                               ;   in Loop: Header=BB265_9 Depth=1
	v_cmp_ne_u16_sdwa s[4:5], v1, s42 src0_sel:BYTE_0 src1_sel:DWORD
	v_mov_b32_e32 v26, 0x8000
	s_and_saveexec_b64 s[36:37], s[4:5]
	s_cbranch_execz .LBB265_50
; %bb.47:                               ;   in Loop: Header=BB265_9 Depth=1
	v_bfe_u32 v28, v9, 16, 7
	v_cmp_ne_u32_e64 s[4:5], s43, v28
	v_mov_b32_e32 v26, 0x7c01
	s_and_saveexec_b64 s[38:39], s[4:5]
	s_cbranch_execz .LBB265_49
; %bb.48:                               ;   in Loop: Header=BB265_9 Depth=1
	v_and_b32_e32 v26, 7, v1
	v_ffbh_u32_e32 v29, v26
	v_min_u32_e32 v32, 32, v29
	v_subrev_u32_e32 v29, 28, v32
	v_lshlrev_b64 v[29:30], v29, v[1:2]
	v_lshrrev_b32_e32 v31, 3, v28
	v_sub_u32_e32 v30, 29, v32
	v_cmp_gt_u32_e64 s[4:5], 8, v28
	v_cndmask_b32_e64 v28, v31, v30, s[4:5]
	v_lshl_add_u32 v28, v28, 10, v18
	v_lshlrev_b32_e32 v1, 8, v1
	v_and_b32_e32 v29, 7, v29
	v_and_b32_e32 v28, 0xfc00, v28
	v_cndmask_b32_e64 v26, v26, v29, s[4:5]
	v_and_or_b32 v1, v1, s44, v28
	v_lshl_or_b32 v26, v26, 7, v1
.LBB265_49:                             ;   in Loop: Header=BB265_9 Depth=1
	s_or_b64 exec, exec, s[38:39]
.LBB265_50:                             ;   in Loop: Header=BB265_9 Depth=1
	s_or_b64 exec, exec, s[36:37]
.LBB265_51:                             ;   in Loop: Header=BB265_9 Depth=1
	s_or_b64 exec, exec, s[34:35]
	v_cmp_lt_u32_e64 s[4:5], s45, v9
	v_mov_b32_e32 v29, 0
	v_mov_b32_e32 v28, 0
	s_and_saveexec_b64 s[34:35], s[4:5]
	s_cbranch_execz .LBB265_57
; %bb.52:                               ;   in Loop: Header=BB265_9 Depth=1
	v_lshrrev_b32_e32 v1, 24, v9
	v_cmp_ne_u32_e64 s[4:5], s42, v1
	v_bfrev_b32_e32 v28, 1
	s_and_saveexec_b64 s[36:37], s[4:5]
	s_cbranch_execz .LBB265_56
; %bb.53:                               ;   in Loop: Header=BB265_9 Depth=1
	v_and_b32_e32 v9, 0x7f, v1
	v_cmp_ne_u32_e64 s[4:5], s43, v9
	v_mov_b32_e32 v28, 0x7c010000
	s_and_saveexec_b64 s[38:39], s[4:5]
	s_cbranch_execz .LBB265_55
; %bb.54:                               ;   in Loop: Header=BB265_9 Depth=1
	v_and_b32_e32 v28, 7, v1
	v_ffbh_u32_e32 v30, v28
	v_min_u32_e32 v33, 32, v30
	v_subrev_u32_e32 v30, 28, v33
	v_lshlrev_b64 v[30:31], v30, v[1:2]
	v_lshrrev_b32_e32 v32, 3, v9
	v_sub_u32_e32 v31, 29, v33
	v_cmp_gt_u32_e64 s[4:5], 8, v9
	v_cndmask_b32_e64 v9, v32, v31, s[4:5]
	v_lshlrev_b32_e32 v1, 8, v1
	v_lshl_add_u32 v9, v9, 10, v18
	v_and_b32_e32 v30, 7, v30
	v_and_or_b32 v1, v1, s44, v9
	v_cndmask_b32_e64 v28, v28, v30, s[4:5]
	v_lshlrev_b32_e32 v1, 16, v1
	v_lshl_or_b32 v28, v28, 23, v1
.LBB265_55:                             ;   in Loop: Header=BB265_9 Depth=1
	s_or_b64 exec, exec, s[38:39]
.LBB265_56:                             ;   in Loop: Header=BB265_9 Depth=1
	s_or_b64 exec, exec, s[36:37]
.LBB265_57:                             ;   in Loop: Header=BB265_9 Depth=1
	s_or_b64 exec, exec, s[34:35]
	global_load_dword v9, v[7:8], off offset:512
	s_waitcnt vmcnt(0)
	v_cmp_ne_u16_sdwa s[4:5], v9, v2 src0_sel:BYTE_0 src1_sel:DWORD
	s_and_saveexec_b64 s[34:35], s[4:5]
	s_cbranch_execz .LBB265_63
; %bb.58:                               ;   in Loop: Header=BB265_9 Depth=1
	v_cmp_ne_u16_sdwa s[4:5], v9, s42 src0_sel:BYTE_0 src1_sel:DWORD
	v_mov_b32_e32 v29, 0x8000
	s_and_saveexec_b64 s[36:37], s[4:5]
	s_cbranch_execz .LBB265_62
; %bb.59:                               ;   in Loop: Header=BB265_9 Depth=1
	v_and_b32_e32 v1, 0x7f, v9
	v_cmp_ne_u32_e64 s[4:5], s43, v1
	v_mov_b32_e32 v29, 0x7c01
	s_and_saveexec_b64 s[38:39], s[4:5]
	s_cbranch_execz .LBB265_61
; %bb.60:                               ;   in Loop: Header=BB265_9 Depth=1
	v_and_b32_e32 v31, 7, v9
	v_ffbh_u32_e32 v29, v31
	v_min_u32_e32 v33, 32, v29
	v_subrev_u32_e32 v29, 28, v33
	v_lshlrev_b64 v[29:30], v29, v[9:10]
	v_lshrrev_b32_e32 v32, 3, v1
	v_sub_u32_e32 v30, 29, v33
	v_cmp_gt_u32_e64 s[4:5], 8, v1
	v_cndmask_b32_e64 v1, v32, v30, s[4:5]
	v_lshl_add_u32 v1, v1, 10, v18
	v_lshlrev_b32_e32 v30, 8, v9
	v_and_b32_e32 v29, 7, v29
	v_and_b32_e32 v1, 0xfc00, v1
	v_cndmask_b32_e64 v29, v31, v29, s[4:5]
	v_and_or_b32 v1, v30, s44, v1
	v_lshl_or_b32 v29, v29, 7, v1
.LBB265_61:                             ;   in Loop: Header=BB265_9 Depth=1
	s_or_b64 exec, exec, s[38:39]
.LBB265_62:                             ;   in Loop: Header=BB265_9 Depth=1
	s_or_b64 exec, exec, s[36:37]
.LBB265_63:                             ;   in Loop: Header=BB265_9 Depth=1
	s_or_b64 exec, exec, s[34:35]
	v_lshrrev_b16_e32 v1, 8, v9
	v_cmp_ne_u16_e64 s[4:5], 0, v1
	v_mov_b32_e32 v30, 0
	v_mov_b32_e32 v31, 0
	s_and_saveexec_b64 s[34:35], s[4:5]
	s_cbranch_execz .LBB265_69
; %bb.64:                               ;   in Loop: Header=BB265_9 Depth=1
	v_cmp_ne_u16_e64 s[4:5], s42, v1
	v_bfrev_b32_e32 v31, 1
	s_and_saveexec_b64 s[36:37], s[4:5]
	s_cbranch_execz .LBB265_68
; %bb.65:                               ;   in Loop: Header=BB265_9 Depth=1
	v_and_b32_e32 v32, 0x7f, v1
	v_cmp_ne_u32_e64 s[4:5], s43, v32
	v_mov_b32_e32 v31, 0x7c010000
	s_and_saveexec_b64 s[38:39], s[4:5]
	s_cbranch_execz .LBB265_67
; %bb.66:                               ;   in Loop: Header=BB265_9 Depth=1
	v_and_b32_e32 v31, 7, v1
	v_ffbh_u32_e32 v33, v31
	v_min_u32_e32 v36, 32, v33
	v_subrev_u32_e32 v33, 28, v36
	v_lshlrev_b64 v[33:34], v33, v[1:2]
	v_lshrrev_b32_e32 v35, 3, v32
	v_sub_u32_e32 v34, 29, v36
	v_cmp_gt_u32_e64 s[4:5], 8, v32
	v_cndmask_b32_e64 v32, v35, v34, s[4:5]
	v_lshlrev_b32_e32 v1, 8, v1
	v_lshl_add_u32 v32, v32, 10, v18
	v_and_b32_e32 v33, 7, v33
	v_and_or_b32 v1, v1, s44, v32
	v_cndmask_b32_e64 v31, v31, v33, s[4:5]
	v_lshlrev_b32_e32 v1, 16, v1
	v_lshl_or_b32 v31, v31, 23, v1
.LBB265_67:                             ;   in Loop: Header=BB265_9 Depth=1
	s_or_b64 exec, exec, s[38:39]
.LBB265_68:                             ;   in Loop: Header=BB265_9 Depth=1
	s_or_b64 exec, exec, s[36:37]
.LBB265_69:                             ;   in Loop: Header=BB265_9 Depth=1
	s_or_b64 exec, exec, s[34:35]
	v_lshrrev_b32_e32 v1, 16, v9
	v_cmp_ne_u16_sdwa s[4:5], v1, v2 src0_sel:BYTE_0 src1_sel:DWORD
	s_and_saveexec_b64 s[34:35], s[4:5]
	s_cbranch_execz .LBB265_75
; %bb.70:                               ;   in Loop: Header=BB265_9 Depth=1
	v_cmp_ne_u16_sdwa s[4:5], v1, s42 src0_sel:BYTE_0 src1_sel:DWORD
	v_mov_b32_e32 v30, 0x8000
	s_and_saveexec_b64 s[36:37], s[4:5]
	s_cbranch_execz .LBB265_74
; %bb.71:                               ;   in Loop: Header=BB265_9 Depth=1
	v_bfe_u32 v32, v9, 16, 7
	v_cmp_ne_u32_e64 s[4:5], s43, v32
	v_mov_b32_e32 v30, 0x7c01
	s_and_saveexec_b64 s[38:39], s[4:5]
	s_cbranch_execz .LBB265_73
; %bb.72:                               ;   in Loop: Header=BB265_9 Depth=1
	v_and_b32_e32 v30, 7, v1
	v_ffbh_u32_e32 v33, v30
	v_min_u32_e32 v36, 32, v33
	v_subrev_u32_e32 v33, 28, v36
	v_lshlrev_b64 v[33:34], v33, v[1:2]
	v_lshrrev_b32_e32 v35, 3, v32
	v_sub_u32_e32 v34, 29, v36
	v_cmp_gt_u32_e64 s[4:5], 8, v32
	v_cndmask_b32_e64 v32, v35, v34, s[4:5]
	v_lshl_add_u32 v32, v32, 10, v18
	v_lshlrev_b32_e32 v1, 8, v1
	v_and_b32_e32 v33, 7, v33
	v_and_b32_e32 v32, 0xfc00, v32
	v_cndmask_b32_e64 v30, v30, v33, s[4:5]
	v_and_or_b32 v1, v1, s44, v32
	v_lshl_or_b32 v30, v30, 7, v1
.LBB265_73:                             ;   in Loop: Header=BB265_9 Depth=1
	s_or_b64 exec, exec, s[38:39]
.LBB265_74:                             ;   in Loop: Header=BB265_9 Depth=1
	s_or_b64 exec, exec, s[36:37]
.LBB265_75:                             ;   in Loop: Header=BB265_9 Depth=1
	s_or_b64 exec, exec, s[34:35]
	v_cmp_lt_u32_e64 s[4:5], s45, v9
	v_mov_b32_e32 v33, 0
	v_mov_b32_e32 v32, 0
	s_and_saveexec_b64 s[34:35], s[4:5]
	s_cbranch_execz .LBB265_81
; %bb.76:                               ;   in Loop: Header=BB265_9 Depth=1
	v_lshrrev_b32_e32 v1, 24, v9
	v_cmp_ne_u32_e64 s[4:5], s42, v1
	v_bfrev_b32_e32 v32, 1
	s_and_saveexec_b64 s[36:37], s[4:5]
	s_cbranch_execz .LBB265_80
; %bb.77:                               ;   in Loop: Header=BB265_9 Depth=1
	v_and_b32_e32 v9, 0x7f, v1
	v_cmp_ne_u32_e64 s[4:5], s43, v9
	v_mov_b32_e32 v32, 0x7c010000
	s_and_saveexec_b64 s[38:39], s[4:5]
	s_cbranch_execz .LBB265_79
; %bb.78:                               ;   in Loop: Header=BB265_9 Depth=1
	v_and_b32_e32 v32, 7, v1
	v_ffbh_u32_e32 v34, v32
	v_min_u32_e32 v37, 32, v34
	v_subrev_u32_e32 v34, 28, v37
	v_lshlrev_b64 v[34:35], v34, v[1:2]
	v_lshrrev_b32_e32 v36, 3, v9
	v_sub_u32_e32 v35, 29, v37
	v_cmp_gt_u32_e64 s[4:5], 8, v9
	v_cndmask_b32_e64 v9, v36, v35, s[4:5]
	v_lshlrev_b32_e32 v1, 8, v1
	v_lshl_add_u32 v9, v9, 10, v18
	v_and_b32_e32 v34, 7, v34
	v_and_or_b32 v1, v1, s44, v9
	v_cndmask_b32_e64 v32, v32, v34, s[4:5]
	v_lshlrev_b32_e32 v1, 16, v1
	v_lshl_or_b32 v32, v32, 23, v1
.LBB265_79:                             ;   in Loop: Header=BB265_9 Depth=1
	s_or_b64 exec, exec, s[38:39]
.LBB265_80:                             ;   in Loop: Header=BB265_9 Depth=1
	s_or_b64 exec, exec, s[36:37]
.LBB265_81:                             ;   in Loop: Header=BB265_9 Depth=1
	s_or_b64 exec, exec, s[34:35]
	global_load_dword v9, v[7:8], off offset:520
	s_waitcnt vmcnt(0)
	v_cmp_ne_u16_sdwa s[4:5], v9, v2 src0_sel:BYTE_0 src1_sel:DWORD
	s_and_saveexec_b64 s[34:35], s[4:5]
	s_cbranch_execz .LBB265_87
; %bb.82:                               ;   in Loop: Header=BB265_9 Depth=1
	v_cmp_ne_u16_sdwa s[4:5], v9, s42 src0_sel:BYTE_0 src1_sel:DWORD
	v_mov_b32_e32 v33, 0x8000
	s_and_saveexec_b64 s[36:37], s[4:5]
	s_cbranch_execz .LBB265_86
; %bb.83:                               ;   in Loop: Header=BB265_9 Depth=1
	v_and_b32_e32 v1, 0x7f, v9
	v_cmp_ne_u32_e64 s[4:5], s43, v1
	v_mov_b32_e32 v33, 0x7c01
	s_and_saveexec_b64 s[38:39], s[4:5]
	s_cbranch_execz .LBB265_85
; %bb.84:                               ;   in Loop: Header=BB265_9 Depth=1
	v_and_b32_e32 v35, 7, v9
	v_ffbh_u32_e32 v33, v35
	v_min_u32_e32 v37, 32, v33
	v_subrev_u32_e32 v33, 28, v37
	v_lshlrev_b64 v[33:34], v33, v[9:10]
	v_lshrrev_b32_e32 v36, 3, v1
	v_sub_u32_e32 v34, 29, v37
	v_cmp_gt_u32_e64 s[4:5], 8, v1
	v_cndmask_b32_e64 v1, v36, v34, s[4:5]
	v_lshl_add_u32 v1, v1, 10, v18
	v_lshlrev_b32_e32 v34, 8, v9
	v_and_b32_e32 v33, 7, v33
	v_and_b32_e32 v1, 0xfc00, v1
	v_cndmask_b32_e64 v33, v35, v33, s[4:5]
	v_and_or_b32 v1, v34, s44, v1
	v_lshl_or_b32 v33, v33, 7, v1
.LBB265_85:                             ;   in Loop: Header=BB265_9 Depth=1
	s_or_b64 exec, exec, s[38:39]
.LBB265_86:                             ;   in Loop: Header=BB265_9 Depth=1
	s_or_b64 exec, exec, s[36:37]
.LBB265_87:                             ;   in Loop: Header=BB265_9 Depth=1
	s_or_b64 exec, exec, s[34:35]
	v_lshrrev_b16_e32 v1, 8, v9
	v_cmp_ne_u16_e64 s[4:5], 0, v1
	v_mov_b32_e32 v34, 0
	v_mov_b32_e32 v35, 0
	s_and_saveexec_b64 s[34:35], s[4:5]
	s_cbranch_execz .LBB265_93
; %bb.88:                               ;   in Loop: Header=BB265_9 Depth=1
	v_cmp_ne_u16_e64 s[4:5], s42, v1
	v_bfrev_b32_e32 v35, 1
	s_and_saveexec_b64 s[36:37], s[4:5]
	s_cbranch_execz .LBB265_92
; %bb.89:                               ;   in Loop: Header=BB265_9 Depth=1
	v_and_b32_e32 v36, 0x7f, v1
	v_cmp_ne_u32_e64 s[4:5], s43, v36
	v_mov_b32_e32 v35, 0x7c010000
	s_and_saveexec_b64 s[38:39], s[4:5]
	s_cbranch_execz .LBB265_91
; %bb.90:                               ;   in Loop: Header=BB265_9 Depth=1
	v_and_b32_e32 v35, 7, v1
	v_ffbh_u32_e32 v37, v35
	v_min_u32_e32 v40, 32, v37
	v_subrev_u32_e32 v37, 28, v40
	v_lshlrev_b64 v[37:38], v37, v[1:2]
	v_lshrrev_b32_e32 v39, 3, v36
	v_sub_u32_e32 v38, 29, v40
	v_cmp_gt_u32_e64 s[4:5], 8, v36
	v_cndmask_b32_e64 v36, v39, v38, s[4:5]
	v_lshlrev_b32_e32 v1, 8, v1
	v_lshl_add_u32 v36, v36, 10, v18
	v_and_b32_e32 v37, 7, v37
	v_and_or_b32 v1, v1, s44, v36
	v_cndmask_b32_e64 v35, v35, v37, s[4:5]
	v_lshlrev_b32_e32 v1, 16, v1
	v_lshl_or_b32 v35, v35, 23, v1
.LBB265_91:                             ;   in Loop: Header=BB265_9 Depth=1
	s_or_b64 exec, exec, s[38:39]
.LBB265_92:                             ;   in Loop: Header=BB265_9 Depth=1
	s_or_b64 exec, exec, s[36:37]
.LBB265_93:                             ;   in Loop: Header=BB265_9 Depth=1
	s_or_b64 exec, exec, s[34:35]
	v_lshrrev_b32_e32 v1, 16, v9
	v_cmp_ne_u16_sdwa s[4:5], v1, v2 src0_sel:BYTE_0 src1_sel:DWORD
	s_and_saveexec_b64 s[34:35], s[4:5]
	s_cbranch_execz .LBB265_99
; %bb.94:                               ;   in Loop: Header=BB265_9 Depth=1
	v_cmp_ne_u16_sdwa s[4:5], v1, s42 src0_sel:BYTE_0 src1_sel:DWORD
	v_mov_b32_e32 v34, 0x8000
	s_and_saveexec_b64 s[36:37], s[4:5]
	s_cbranch_execz .LBB265_98
; %bb.95:                               ;   in Loop: Header=BB265_9 Depth=1
	v_bfe_u32 v36, v9, 16, 7
	v_cmp_ne_u32_e64 s[4:5], s43, v36
	v_mov_b32_e32 v34, 0x7c01
	s_and_saveexec_b64 s[38:39], s[4:5]
	s_cbranch_execz .LBB265_97
; %bb.96:                               ;   in Loop: Header=BB265_9 Depth=1
	v_and_b32_e32 v34, 7, v1
	v_ffbh_u32_e32 v37, v34
	v_min_u32_e32 v40, 32, v37
	v_subrev_u32_e32 v37, 28, v40
	v_lshlrev_b64 v[37:38], v37, v[1:2]
	v_lshrrev_b32_e32 v39, 3, v36
	v_sub_u32_e32 v38, 29, v40
	v_cmp_gt_u32_e64 s[4:5], 8, v36
	v_cndmask_b32_e64 v36, v39, v38, s[4:5]
	v_lshl_add_u32 v36, v36, 10, v18
	v_lshlrev_b32_e32 v1, 8, v1
	v_and_b32_e32 v37, 7, v37
	v_and_b32_e32 v36, 0xfc00, v36
	v_cndmask_b32_e64 v34, v34, v37, s[4:5]
	v_and_or_b32 v1, v1, s44, v36
	v_lshl_or_b32 v34, v34, 7, v1
.LBB265_97:                             ;   in Loop: Header=BB265_9 Depth=1
	s_or_b64 exec, exec, s[38:39]
.LBB265_98:                             ;   in Loop: Header=BB265_9 Depth=1
	s_or_b64 exec, exec, s[36:37]
.LBB265_99:                             ;   in Loop: Header=BB265_9 Depth=1
	s_or_b64 exec, exec, s[34:35]
	v_cmp_lt_u32_e64 s[4:5], s45, v9
	v_mov_b32_e32 v37, 0
	v_mov_b32_e32 v36, 0
	s_and_saveexec_b64 s[34:35], s[4:5]
	s_cbranch_execz .LBB265_105
; %bb.100:                              ;   in Loop: Header=BB265_9 Depth=1
	v_lshrrev_b32_e32 v1, 24, v9
	v_cmp_ne_u32_e64 s[4:5], s42, v1
	v_bfrev_b32_e32 v36, 1
	s_and_saveexec_b64 s[36:37], s[4:5]
	s_cbranch_execz .LBB265_104
; %bb.101:                              ;   in Loop: Header=BB265_9 Depth=1
	v_and_b32_e32 v9, 0x7f, v1
	v_cmp_ne_u32_e64 s[4:5], s43, v9
	v_mov_b32_e32 v36, 0x7c010000
	s_and_saveexec_b64 s[38:39], s[4:5]
	s_cbranch_execz .LBB265_103
; %bb.102:                              ;   in Loop: Header=BB265_9 Depth=1
	v_and_b32_e32 v36, 7, v1
	v_ffbh_u32_e32 v38, v36
	v_min_u32_e32 v41, 32, v38
	v_subrev_u32_e32 v38, 28, v41
	v_lshlrev_b64 v[38:39], v38, v[1:2]
	v_lshrrev_b32_e32 v40, 3, v9
	v_sub_u32_e32 v39, 29, v41
	v_cmp_gt_u32_e64 s[4:5], 8, v9
	v_cndmask_b32_e64 v9, v40, v39, s[4:5]
	v_lshlrev_b32_e32 v1, 8, v1
	v_lshl_add_u32 v9, v9, 10, v18
	v_and_b32_e32 v38, 7, v38
	v_and_or_b32 v1, v1, s44, v9
	v_cndmask_b32_e64 v36, v36, v38, s[4:5]
	v_lshlrev_b32_e32 v1, 16, v1
	v_lshl_or_b32 v36, v36, 23, v1
.LBB265_103:                            ;   in Loop: Header=BB265_9 Depth=1
	s_or_b64 exec, exec, s[38:39]
.LBB265_104:                            ;   in Loop: Header=BB265_9 Depth=1
	s_or_b64 exec, exec, s[36:37]
.LBB265_105:                            ;   in Loop: Header=BB265_9 Depth=1
	s_or_b64 exec, exec, s[34:35]
	global_load_dword v9, v[7:8], off offset:1024
	s_waitcnt vmcnt(0)
	v_cmp_ne_u16_sdwa s[4:5], v9, v2 src0_sel:BYTE_0 src1_sel:DWORD
	s_and_saveexec_b64 s[34:35], s[4:5]
	s_cbranch_execz .LBB265_111
; %bb.106:                              ;   in Loop: Header=BB265_9 Depth=1
	v_cmp_ne_u16_sdwa s[4:5], v9, s42 src0_sel:BYTE_0 src1_sel:DWORD
	v_mov_b32_e32 v37, 0x8000
	s_and_saveexec_b64 s[36:37], s[4:5]
	s_cbranch_execz .LBB265_110
; %bb.107:                              ;   in Loop: Header=BB265_9 Depth=1
	v_and_b32_e32 v1, 0x7f, v9
	v_cmp_ne_u32_e64 s[4:5], s43, v1
	v_mov_b32_e32 v37, 0x7c01
	s_and_saveexec_b64 s[38:39], s[4:5]
	s_cbranch_execz .LBB265_109
; %bb.108:                              ;   in Loop: Header=BB265_9 Depth=1
	v_and_b32_e32 v39, 7, v9
	v_ffbh_u32_e32 v37, v39
	v_min_u32_e32 v41, 32, v37
	v_subrev_u32_e32 v37, 28, v41
	v_lshlrev_b64 v[37:38], v37, v[9:10]
	v_lshrrev_b32_e32 v40, 3, v1
	v_sub_u32_e32 v38, 29, v41
	v_cmp_gt_u32_e64 s[4:5], 8, v1
	v_cndmask_b32_e64 v1, v40, v38, s[4:5]
	v_lshl_add_u32 v1, v1, 10, v18
	v_lshlrev_b32_e32 v38, 8, v9
	v_and_b32_e32 v37, 7, v37
	v_and_b32_e32 v1, 0xfc00, v1
	v_cndmask_b32_e64 v37, v39, v37, s[4:5]
	v_and_or_b32 v1, v38, s44, v1
	v_lshl_or_b32 v37, v37, 7, v1
.LBB265_109:                            ;   in Loop: Header=BB265_9 Depth=1
	s_or_b64 exec, exec, s[38:39]
.LBB265_110:                            ;   in Loop: Header=BB265_9 Depth=1
	s_or_b64 exec, exec, s[36:37]
.LBB265_111:                            ;   in Loop: Header=BB265_9 Depth=1
	s_or_b64 exec, exec, s[34:35]
	v_lshrrev_b16_e32 v1, 8, v9
	v_cmp_ne_u16_e64 s[4:5], 0, v1
	v_mov_b32_e32 v38, 0
	v_mov_b32_e32 v39, 0
	s_and_saveexec_b64 s[34:35], s[4:5]
	s_cbranch_execz .LBB265_117
; %bb.112:                              ;   in Loop: Header=BB265_9 Depth=1
	v_cmp_ne_u16_e64 s[4:5], s42, v1
	v_bfrev_b32_e32 v39, 1
	s_and_saveexec_b64 s[36:37], s[4:5]
	s_cbranch_execz .LBB265_116
; %bb.113:                              ;   in Loop: Header=BB265_9 Depth=1
	v_and_b32_e32 v40, 0x7f, v1
	v_cmp_ne_u32_e64 s[4:5], s43, v40
	v_mov_b32_e32 v39, 0x7c010000
	s_and_saveexec_b64 s[38:39], s[4:5]
	s_cbranch_execz .LBB265_115
; %bb.114:                              ;   in Loop: Header=BB265_9 Depth=1
	v_and_b32_e32 v39, 7, v1
	v_ffbh_u32_e32 v41, v39
	v_min_u32_e32 v44, 32, v41
	v_subrev_u32_e32 v41, 28, v44
	v_lshlrev_b64 v[41:42], v41, v[1:2]
	v_lshrrev_b32_e32 v43, 3, v40
	v_sub_u32_e32 v42, 29, v44
	v_cmp_gt_u32_e64 s[4:5], 8, v40
	v_cndmask_b32_e64 v40, v43, v42, s[4:5]
	v_lshlrev_b32_e32 v1, 8, v1
	v_lshl_add_u32 v40, v40, 10, v18
	v_and_b32_e32 v41, 7, v41
	v_and_or_b32 v1, v1, s44, v40
	v_cndmask_b32_e64 v39, v39, v41, s[4:5]
	v_lshlrev_b32_e32 v1, 16, v1
	v_lshl_or_b32 v39, v39, 23, v1
.LBB265_115:                            ;   in Loop: Header=BB265_9 Depth=1
	s_or_b64 exec, exec, s[38:39]
.LBB265_116:                            ;   in Loop: Header=BB265_9 Depth=1
	s_or_b64 exec, exec, s[36:37]
.LBB265_117:                            ;   in Loop: Header=BB265_9 Depth=1
	s_or_b64 exec, exec, s[34:35]
	v_lshrrev_b32_e32 v1, 16, v9
	v_cmp_ne_u16_sdwa s[4:5], v1, v2 src0_sel:BYTE_0 src1_sel:DWORD
	s_and_saveexec_b64 s[34:35], s[4:5]
	s_cbranch_execz .LBB265_123
; %bb.118:                              ;   in Loop: Header=BB265_9 Depth=1
	v_cmp_ne_u16_sdwa s[4:5], v1, s42 src0_sel:BYTE_0 src1_sel:DWORD
	v_mov_b32_e32 v38, 0x8000
	s_and_saveexec_b64 s[36:37], s[4:5]
	s_cbranch_execz .LBB265_122
; %bb.119:                              ;   in Loop: Header=BB265_9 Depth=1
	v_bfe_u32 v40, v9, 16, 7
	v_cmp_ne_u32_e64 s[4:5], s43, v40
	v_mov_b32_e32 v38, 0x7c01
	s_and_saveexec_b64 s[38:39], s[4:5]
	s_cbranch_execz .LBB265_121
; %bb.120:                              ;   in Loop: Header=BB265_9 Depth=1
	v_and_b32_e32 v38, 7, v1
	v_ffbh_u32_e32 v41, v38
	v_min_u32_e32 v44, 32, v41
	v_subrev_u32_e32 v41, 28, v44
	v_lshlrev_b64 v[41:42], v41, v[1:2]
	v_lshrrev_b32_e32 v43, 3, v40
	v_sub_u32_e32 v42, 29, v44
	v_cmp_gt_u32_e64 s[4:5], 8, v40
	v_cndmask_b32_e64 v40, v43, v42, s[4:5]
	v_lshl_add_u32 v40, v40, 10, v18
	v_lshlrev_b32_e32 v1, 8, v1
	v_and_b32_e32 v41, 7, v41
	v_and_b32_e32 v40, 0xfc00, v40
	v_cndmask_b32_e64 v38, v38, v41, s[4:5]
	v_and_or_b32 v1, v1, s44, v40
	v_lshl_or_b32 v38, v38, 7, v1
.LBB265_121:                            ;   in Loop: Header=BB265_9 Depth=1
	s_or_b64 exec, exec, s[38:39]
.LBB265_122:                            ;   in Loop: Header=BB265_9 Depth=1
	s_or_b64 exec, exec, s[36:37]
.LBB265_123:                            ;   in Loop: Header=BB265_9 Depth=1
	s_or_b64 exec, exec, s[34:35]
	v_cmp_lt_u32_e64 s[4:5], s45, v9
	v_mov_b32_e32 v41, 0
	v_mov_b32_e32 v40, 0
	s_and_saveexec_b64 s[34:35], s[4:5]
	s_cbranch_execz .LBB265_129
; %bb.124:                              ;   in Loop: Header=BB265_9 Depth=1
	v_lshrrev_b32_e32 v1, 24, v9
	v_cmp_ne_u32_e64 s[4:5], s42, v1
	v_bfrev_b32_e32 v40, 1
	s_and_saveexec_b64 s[36:37], s[4:5]
	s_cbranch_execz .LBB265_128
; %bb.125:                              ;   in Loop: Header=BB265_9 Depth=1
	v_and_b32_e32 v9, 0x7f, v1
	v_cmp_ne_u32_e64 s[4:5], s43, v9
	v_mov_b32_e32 v40, 0x7c010000
	s_and_saveexec_b64 s[38:39], s[4:5]
	s_cbranch_execz .LBB265_127
; %bb.126:                              ;   in Loop: Header=BB265_9 Depth=1
	v_and_b32_e32 v40, 7, v1
	v_ffbh_u32_e32 v42, v40
	v_min_u32_e32 v45, 32, v42
	v_subrev_u32_e32 v42, 28, v45
	v_lshlrev_b64 v[42:43], v42, v[1:2]
	v_lshrrev_b32_e32 v44, 3, v9
	v_sub_u32_e32 v43, 29, v45
	v_cmp_gt_u32_e64 s[4:5], 8, v9
	v_cndmask_b32_e64 v9, v44, v43, s[4:5]
	v_lshlrev_b32_e32 v1, 8, v1
	v_lshl_add_u32 v9, v9, 10, v18
	v_and_b32_e32 v42, 7, v42
	v_and_or_b32 v1, v1, s44, v9
	v_cndmask_b32_e64 v40, v40, v42, s[4:5]
	v_lshlrev_b32_e32 v1, 16, v1
	v_lshl_or_b32 v40, v40, 23, v1
.LBB265_127:                            ;   in Loop: Header=BB265_9 Depth=1
	s_or_b64 exec, exec, s[38:39]
.LBB265_128:                            ;   in Loop: Header=BB265_9 Depth=1
	s_or_b64 exec, exec, s[36:37]
.LBB265_129:                            ;   in Loop: Header=BB265_9 Depth=1
	s_or_b64 exec, exec, s[34:35]
	global_load_dword v9, v[7:8], off offset:1032
	s_waitcnt vmcnt(0)
	v_cmp_ne_u16_sdwa s[4:5], v9, v2 src0_sel:BYTE_0 src1_sel:DWORD
	s_and_saveexec_b64 s[34:35], s[4:5]
	s_cbranch_execz .LBB265_135
; %bb.130:                              ;   in Loop: Header=BB265_9 Depth=1
	v_cmp_ne_u16_sdwa s[4:5], v9, s42 src0_sel:BYTE_0 src1_sel:DWORD
	v_mov_b32_e32 v41, 0x8000
	s_and_saveexec_b64 s[36:37], s[4:5]
	s_cbranch_execz .LBB265_134
; %bb.131:                              ;   in Loop: Header=BB265_9 Depth=1
	v_and_b32_e32 v1, 0x7f, v9
	v_cmp_ne_u32_e64 s[4:5], s43, v1
	v_mov_b32_e32 v41, 0x7c01
	s_and_saveexec_b64 s[38:39], s[4:5]
	s_cbranch_execz .LBB265_133
; %bb.132:                              ;   in Loop: Header=BB265_9 Depth=1
	v_and_b32_e32 v43, 7, v9
	v_ffbh_u32_e32 v41, v43
	v_min_u32_e32 v45, 32, v41
	v_subrev_u32_e32 v41, 28, v45
	v_lshlrev_b64 v[41:42], v41, v[9:10]
	v_lshrrev_b32_e32 v44, 3, v1
	v_sub_u32_e32 v42, 29, v45
	v_cmp_gt_u32_e64 s[4:5], 8, v1
	v_cndmask_b32_e64 v1, v44, v42, s[4:5]
	v_lshl_add_u32 v1, v1, 10, v18
	v_lshlrev_b32_e32 v42, 8, v9
	v_and_b32_e32 v41, 7, v41
	v_and_b32_e32 v1, 0xfc00, v1
	v_cndmask_b32_e64 v41, v43, v41, s[4:5]
	v_and_or_b32 v1, v42, s44, v1
	v_lshl_or_b32 v41, v41, 7, v1
.LBB265_133:                            ;   in Loop: Header=BB265_9 Depth=1
	s_or_b64 exec, exec, s[38:39]
.LBB265_134:                            ;   in Loop: Header=BB265_9 Depth=1
	s_or_b64 exec, exec, s[36:37]
.LBB265_135:                            ;   in Loop: Header=BB265_9 Depth=1
	s_or_b64 exec, exec, s[34:35]
	v_lshrrev_b16_e32 v1, 8, v9
	v_cmp_ne_u16_e64 s[4:5], 0, v1
	v_mov_b32_e32 v42, 0
	v_mov_b32_e32 v43, 0
	s_and_saveexec_b64 s[34:35], s[4:5]
	s_cbranch_execz .LBB265_141
; %bb.136:                              ;   in Loop: Header=BB265_9 Depth=1
	v_cmp_ne_u16_e64 s[4:5], s42, v1
	v_bfrev_b32_e32 v43, 1
	s_and_saveexec_b64 s[36:37], s[4:5]
	s_cbranch_execz .LBB265_140
; %bb.137:                              ;   in Loop: Header=BB265_9 Depth=1
	v_and_b32_e32 v44, 0x7f, v1
	v_cmp_ne_u32_e64 s[4:5], s43, v44
	v_mov_b32_e32 v43, 0x7c010000
	s_and_saveexec_b64 s[38:39], s[4:5]
	s_cbranch_execz .LBB265_139
; %bb.138:                              ;   in Loop: Header=BB265_9 Depth=1
	v_and_b32_e32 v43, 7, v1
	v_ffbh_u32_e32 v45, v43
	v_min_u32_e32 v48, 32, v45
	v_subrev_u32_e32 v45, 28, v48
	v_lshlrev_b64 v[45:46], v45, v[1:2]
	v_lshrrev_b32_e32 v47, 3, v44
	v_sub_u32_e32 v46, 29, v48
	v_cmp_gt_u32_e64 s[4:5], 8, v44
	v_cndmask_b32_e64 v44, v47, v46, s[4:5]
	v_lshlrev_b32_e32 v1, 8, v1
	v_lshl_add_u32 v44, v44, 10, v18
	v_and_b32_e32 v45, 7, v45
	v_and_or_b32 v1, v1, s44, v44
	v_cndmask_b32_e64 v43, v43, v45, s[4:5]
	v_lshlrev_b32_e32 v1, 16, v1
	v_lshl_or_b32 v43, v43, 23, v1
.LBB265_139:                            ;   in Loop: Header=BB265_9 Depth=1
	s_or_b64 exec, exec, s[38:39]
.LBB265_140:                            ;   in Loop: Header=BB265_9 Depth=1
	s_or_b64 exec, exec, s[36:37]
.LBB265_141:                            ;   in Loop: Header=BB265_9 Depth=1
	s_or_b64 exec, exec, s[34:35]
	v_lshrrev_b32_e32 v1, 16, v9
	v_cmp_ne_u16_sdwa s[4:5], v1, v2 src0_sel:BYTE_0 src1_sel:DWORD
	s_and_saveexec_b64 s[34:35], s[4:5]
	s_cbranch_execz .LBB265_147
; %bb.142:                              ;   in Loop: Header=BB265_9 Depth=1
	v_cmp_ne_u16_sdwa s[4:5], v1, s42 src0_sel:BYTE_0 src1_sel:DWORD
	v_mov_b32_e32 v42, 0x8000
	s_and_saveexec_b64 s[36:37], s[4:5]
	s_cbranch_execz .LBB265_146
; %bb.143:                              ;   in Loop: Header=BB265_9 Depth=1
	v_bfe_u32 v44, v9, 16, 7
	v_cmp_ne_u32_e64 s[4:5], s43, v44
	v_mov_b32_e32 v42, 0x7c01
	s_and_saveexec_b64 s[38:39], s[4:5]
	s_cbranch_execz .LBB265_145
; %bb.144:                              ;   in Loop: Header=BB265_9 Depth=1
	v_and_b32_e32 v42, 7, v1
	v_ffbh_u32_e32 v45, v42
	v_min_u32_e32 v48, 32, v45
	v_subrev_u32_e32 v45, 28, v48
	v_lshlrev_b64 v[45:46], v45, v[1:2]
	v_lshrrev_b32_e32 v47, 3, v44
	v_sub_u32_e32 v46, 29, v48
	v_cmp_gt_u32_e64 s[4:5], 8, v44
	v_cndmask_b32_e64 v44, v47, v46, s[4:5]
	v_lshl_add_u32 v44, v44, 10, v18
	v_lshlrev_b32_e32 v1, 8, v1
	v_and_b32_e32 v45, 7, v45
	v_and_b32_e32 v44, 0xfc00, v44
	v_cndmask_b32_e64 v42, v42, v45, s[4:5]
	v_and_or_b32 v1, v1, s44, v44
	v_lshl_or_b32 v42, v42, 7, v1
.LBB265_145:                            ;   in Loop: Header=BB265_9 Depth=1
	s_or_b64 exec, exec, s[38:39]
.LBB265_146:                            ;   in Loop: Header=BB265_9 Depth=1
	s_or_b64 exec, exec, s[36:37]
.LBB265_147:                            ;   in Loop: Header=BB265_9 Depth=1
	s_or_b64 exec, exec, s[34:35]
	v_cmp_lt_u32_e64 s[4:5], s45, v9
	v_mov_b32_e32 v45, 0
	v_mov_b32_e32 v44, 0
	s_and_saveexec_b64 s[34:35], s[4:5]
	s_cbranch_execz .LBB265_153
; %bb.148:                              ;   in Loop: Header=BB265_9 Depth=1
	v_lshrrev_b32_e32 v1, 24, v9
	v_cmp_ne_u32_e64 s[4:5], s42, v1
	v_bfrev_b32_e32 v44, 1
	s_and_saveexec_b64 s[36:37], s[4:5]
	s_cbranch_execz .LBB265_152
; %bb.149:                              ;   in Loop: Header=BB265_9 Depth=1
	v_and_b32_e32 v9, 0x7f, v1
	v_cmp_ne_u32_e64 s[4:5], s43, v9
	v_mov_b32_e32 v44, 0x7c010000
	s_and_saveexec_b64 s[38:39], s[4:5]
	s_cbranch_execz .LBB265_151
; %bb.150:                              ;   in Loop: Header=BB265_9 Depth=1
	v_and_b32_e32 v44, 7, v1
	v_ffbh_u32_e32 v46, v44
	v_min_u32_e32 v49, 32, v46
	v_subrev_u32_e32 v46, 28, v49
	v_lshlrev_b64 v[46:47], v46, v[1:2]
	v_lshrrev_b32_e32 v48, 3, v9
	v_sub_u32_e32 v47, 29, v49
	v_cmp_gt_u32_e64 s[4:5], 8, v9
	v_cndmask_b32_e64 v9, v48, v47, s[4:5]
	v_lshlrev_b32_e32 v1, 8, v1
	v_lshl_add_u32 v9, v9, 10, v18
	v_and_b32_e32 v46, 7, v46
	v_and_or_b32 v1, v1, s44, v9
	v_cndmask_b32_e64 v44, v44, v46, s[4:5]
	v_lshlrev_b32_e32 v1, 16, v1
	v_lshl_or_b32 v44, v44, 23, v1
.LBB265_151:                            ;   in Loop: Header=BB265_9 Depth=1
	s_or_b64 exec, exec, s[38:39]
.LBB265_152:                            ;   in Loop: Header=BB265_9 Depth=1
	s_or_b64 exec, exec, s[36:37]
.LBB265_153:                            ;   in Loop: Header=BB265_9 Depth=1
	s_or_b64 exec, exec, s[34:35]
	global_load_dword v9, v[7:8], off offset:1536
	s_waitcnt vmcnt(0)
	v_cmp_ne_u16_sdwa s[4:5], v9, v2 src0_sel:BYTE_0 src1_sel:DWORD
	s_and_saveexec_b64 s[34:35], s[4:5]
	s_cbranch_execz .LBB265_159
; %bb.154:                              ;   in Loop: Header=BB265_9 Depth=1
	v_cmp_ne_u16_sdwa s[4:5], v9, s42 src0_sel:BYTE_0 src1_sel:DWORD
	v_mov_b32_e32 v45, 0x8000
	s_and_saveexec_b64 s[36:37], s[4:5]
	s_cbranch_execz .LBB265_158
; %bb.155:                              ;   in Loop: Header=BB265_9 Depth=1
	v_and_b32_e32 v1, 0x7f, v9
	v_cmp_ne_u32_e64 s[4:5], s43, v1
	v_mov_b32_e32 v45, 0x7c01
	s_and_saveexec_b64 s[38:39], s[4:5]
	s_cbranch_execz .LBB265_157
; %bb.156:                              ;   in Loop: Header=BB265_9 Depth=1
	v_and_b32_e32 v47, 7, v9
	v_ffbh_u32_e32 v45, v47
	v_min_u32_e32 v49, 32, v45
	v_subrev_u32_e32 v45, 28, v49
	v_lshlrev_b64 v[45:46], v45, v[9:10]
	v_lshrrev_b32_e32 v48, 3, v1
	v_sub_u32_e32 v46, 29, v49
	v_cmp_gt_u32_e64 s[4:5], 8, v1
	v_cndmask_b32_e64 v1, v48, v46, s[4:5]
	v_lshl_add_u32 v1, v1, 10, v18
	v_lshlrev_b32_e32 v46, 8, v9
	v_and_b32_e32 v45, 7, v45
	v_and_b32_e32 v1, 0xfc00, v1
	v_cndmask_b32_e64 v45, v47, v45, s[4:5]
	v_and_or_b32 v1, v46, s44, v1
	v_lshl_or_b32 v45, v45, 7, v1
.LBB265_157:                            ;   in Loop: Header=BB265_9 Depth=1
	s_or_b64 exec, exec, s[38:39]
.LBB265_158:                            ;   in Loop: Header=BB265_9 Depth=1
	s_or_b64 exec, exec, s[36:37]
.LBB265_159:                            ;   in Loop: Header=BB265_9 Depth=1
	s_or_b64 exec, exec, s[34:35]
	v_lshrrev_b16_e32 v1, 8, v9
	v_cmp_ne_u16_e64 s[4:5], 0, v1
	v_mov_b32_e32 v46, 0
	v_mov_b32_e32 v47, 0
	s_and_saveexec_b64 s[34:35], s[4:5]
	s_cbranch_execz .LBB265_165
; %bb.160:                              ;   in Loop: Header=BB265_9 Depth=1
	v_cmp_ne_u16_e64 s[4:5], s42, v1
	v_bfrev_b32_e32 v47, 1
	s_and_saveexec_b64 s[36:37], s[4:5]
	s_cbranch_execz .LBB265_164
; %bb.161:                              ;   in Loop: Header=BB265_9 Depth=1
	v_and_b32_e32 v48, 0x7f, v1
	v_cmp_ne_u32_e64 s[4:5], s43, v48
	v_mov_b32_e32 v47, 0x7c010000
	s_and_saveexec_b64 s[38:39], s[4:5]
	s_cbranch_execz .LBB265_163
; %bb.162:                              ;   in Loop: Header=BB265_9 Depth=1
	v_and_b32_e32 v47, 7, v1
	v_ffbh_u32_e32 v49, v47
	v_min_u32_e32 v52, 32, v49
	v_subrev_u32_e32 v49, 28, v52
	v_lshlrev_b64 v[49:50], v49, v[1:2]
	v_lshrrev_b32_e32 v51, 3, v48
	v_sub_u32_e32 v50, 29, v52
	v_cmp_gt_u32_e64 s[4:5], 8, v48
	v_cndmask_b32_e64 v48, v51, v50, s[4:5]
	v_lshlrev_b32_e32 v1, 8, v1
	v_lshl_add_u32 v48, v48, 10, v18
	v_and_b32_e32 v49, 7, v49
	v_and_or_b32 v1, v1, s44, v48
	v_cndmask_b32_e64 v47, v47, v49, s[4:5]
	v_lshlrev_b32_e32 v1, 16, v1
	v_lshl_or_b32 v47, v47, 23, v1
.LBB265_163:                            ;   in Loop: Header=BB265_9 Depth=1
	s_or_b64 exec, exec, s[38:39]
.LBB265_164:                            ;   in Loop: Header=BB265_9 Depth=1
	s_or_b64 exec, exec, s[36:37]
.LBB265_165:                            ;   in Loop: Header=BB265_9 Depth=1
	s_or_b64 exec, exec, s[34:35]
	v_lshrrev_b32_e32 v1, 16, v9
	v_cmp_ne_u16_sdwa s[4:5], v1, v2 src0_sel:BYTE_0 src1_sel:DWORD
	s_and_saveexec_b64 s[34:35], s[4:5]
	s_cbranch_execz .LBB265_171
; %bb.166:                              ;   in Loop: Header=BB265_9 Depth=1
	v_cmp_ne_u16_sdwa s[4:5], v1, s42 src0_sel:BYTE_0 src1_sel:DWORD
	v_mov_b32_e32 v46, 0x8000
	s_and_saveexec_b64 s[36:37], s[4:5]
	s_cbranch_execz .LBB265_170
; %bb.167:                              ;   in Loop: Header=BB265_9 Depth=1
	v_bfe_u32 v48, v9, 16, 7
	v_cmp_ne_u32_e64 s[4:5], s43, v48
	v_mov_b32_e32 v46, 0x7c01
	s_and_saveexec_b64 s[38:39], s[4:5]
	s_cbranch_execz .LBB265_169
; %bb.168:                              ;   in Loop: Header=BB265_9 Depth=1
	v_and_b32_e32 v46, 7, v1
	v_ffbh_u32_e32 v49, v46
	v_min_u32_e32 v52, 32, v49
	v_subrev_u32_e32 v49, 28, v52
	v_lshlrev_b64 v[49:50], v49, v[1:2]
	v_lshrrev_b32_e32 v51, 3, v48
	v_sub_u32_e32 v50, 29, v52
	v_cmp_gt_u32_e64 s[4:5], 8, v48
	v_cndmask_b32_e64 v48, v51, v50, s[4:5]
	v_lshl_add_u32 v48, v48, 10, v18
	v_lshlrev_b32_e32 v1, 8, v1
	v_and_b32_e32 v49, 7, v49
	v_and_b32_e32 v48, 0xfc00, v48
	v_cndmask_b32_e64 v46, v46, v49, s[4:5]
	v_and_or_b32 v1, v1, s44, v48
	v_lshl_or_b32 v46, v46, 7, v1
.LBB265_169:                            ;   in Loop: Header=BB265_9 Depth=1
	s_or_b64 exec, exec, s[38:39]
.LBB265_170:                            ;   in Loop: Header=BB265_9 Depth=1
	s_or_b64 exec, exec, s[36:37]
.LBB265_171:                            ;   in Loop: Header=BB265_9 Depth=1
	s_or_b64 exec, exec, s[34:35]
	v_cmp_lt_u32_e64 s[4:5], s45, v9
	v_mov_b32_e32 v48, 0
	v_mov_b32_e32 v49, 0
	s_and_saveexec_b64 s[34:35], s[4:5]
	s_cbranch_execz .LBB265_177
; %bb.172:                              ;   in Loop: Header=BB265_9 Depth=1
	v_lshrrev_b32_e32 v1, 24, v9
	v_cmp_ne_u32_e64 s[4:5], s42, v1
	v_bfrev_b32_e32 v49, 1
	s_and_saveexec_b64 s[36:37], s[4:5]
	s_cbranch_execz .LBB265_176
; %bb.173:                              ;   in Loop: Header=BB265_9 Depth=1
	v_and_b32_e32 v9, 0x7f, v1
	v_cmp_ne_u32_e64 s[4:5], s43, v9
	v_mov_b32_e32 v49, 0x7c010000
	s_and_saveexec_b64 s[38:39], s[4:5]
	s_cbranch_execz .LBB265_175
; %bb.174:                              ;   in Loop: Header=BB265_9 Depth=1
	v_and_b32_e32 v51, 7, v1
	v_ffbh_u32_e32 v49, v51
	v_min_u32_e32 v53, 32, v49
	v_subrev_u32_e32 v49, 28, v53
	v_lshlrev_b64 v[49:50], v49, v[1:2]
	v_lshrrev_b32_e32 v52, 3, v9
	v_sub_u32_e32 v50, 29, v53
	v_cmp_gt_u32_e64 s[4:5], 8, v9
	v_cndmask_b32_e64 v9, v52, v50, s[4:5]
	v_lshlrev_b32_e32 v1, 8, v1
	v_lshl_add_u32 v9, v9, 10, v18
	v_and_b32_e32 v49, 7, v49
	v_and_or_b32 v1, v1, s44, v9
	v_cndmask_b32_e64 v49, v51, v49, s[4:5]
	v_lshlrev_b32_e32 v1, 16, v1
	v_lshl_or_b32 v49, v49, 23, v1
.LBB265_175:                            ;   in Loop: Header=BB265_9 Depth=1
	s_or_b64 exec, exec, s[38:39]
.LBB265_176:                            ;   in Loop: Header=BB265_9 Depth=1
	s_or_b64 exec, exec, s[36:37]
.LBB265_177:                            ;   in Loop: Header=BB265_9 Depth=1
	s_or_b64 exec, exec, s[34:35]
	global_load_dword v7, v[7:8], off offset:1544
	s_waitcnt vmcnt(0)
	v_cmp_ne_u16_sdwa s[4:5], v7, v2 src0_sel:BYTE_0 src1_sel:DWORD
	s_and_saveexec_b64 s[34:35], s[4:5]
	s_cbranch_execz .LBB265_183
; %bb.178:                              ;   in Loop: Header=BB265_9 Depth=1
	v_cmp_ne_u16_sdwa s[4:5], v7, s42 src0_sel:BYTE_0 src1_sel:DWORD
	v_mov_b32_e32 v48, 0x8000
	s_and_saveexec_b64 s[36:37], s[4:5]
	s_cbranch_execz .LBB265_182
; %bb.179:                              ;   in Loop: Header=BB265_9 Depth=1
	v_and_b32_e32 v1, 0x7f, v7
	v_cmp_ne_u32_e64 s[4:5], s43, v1
	v_mov_b32_e32 v48, 0x7c01
	s_and_saveexec_b64 s[38:39], s[4:5]
	s_cbranch_execz .LBB265_181
; %bb.180:                              ;   in Loop: Header=BB265_9 Depth=1
	v_and_b32_e32 v48, 7, v7
	v_ffbh_u32_e32 v8, v48
	v_min_u32_e32 v51, 32, v8
	v_subrev_u32_e32 v8, 28, v51
	v_lshlrev_b64 v[8:9], v8, v[7:8]
	v_lshrrev_b32_e32 v50, 3, v1
	v_sub_u32_e32 v9, 29, v51
	v_cmp_gt_u32_e64 s[4:5], 8, v1
	v_cndmask_b32_e64 v1, v50, v9, s[4:5]
	v_lshl_add_u32 v1, v1, 10, v18
	v_lshlrev_b32_e32 v9, 8, v7
	v_and_b32_e32 v8, 7, v8
	v_and_b32_e32 v1, 0xfc00, v1
	v_cndmask_b32_e64 v8, v48, v8, s[4:5]
	v_and_or_b32 v1, v9, s44, v1
	v_lshl_or_b32 v48, v8, 7, v1
.LBB265_181:                            ;   in Loop: Header=BB265_9 Depth=1
	s_or_b64 exec, exec, s[38:39]
.LBB265_182:                            ;   in Loop: Header=BB265_9 Depth=1
	s_or_b64 exec, exec, s[36:37]
.LBB265_183:                            ;   in Loop: Header=BB265_9 Depth=1
	s_or_b64 exec, exec, s[34:35]
	v_lshrrev_b16_e32 v1, 8, v7
	v_cmp_ne_u16_e64 s[4:5], 0, v1
	v_mov_b32_e32 v50, 0
	v_mov_b32_e32 v51, 0
	s_and_saveexec_b64 s[34:35], s[4:5]
	s_cbranch_execz .LBB265_189
; %bb.184:                              ;   in Loop: Header=BB265_9 Depth=1
	v_cmp_ne_u16_e64 s[4:5], s42, v1
	v_bfrev_b32_e32 v51, 1
	s_and_saveexec_b64 s[36:37], s[4:5]
	s_cbranch_execz .LBB265_188
; %bb.185:                              ;   in Loop: Header=BB265_9 Depth=1
	v_and_b32_e32 v8, 0x7f, v1
	v_cmp_ne_u32_e64 s[4:5], s43, v8
	v_mov_b32_e32 v51, 0x7c010000
	s_and_saveexec_b64 s[38:39], s[4:5]
	s_cbranch_execz .LBB265_187
; %bb.186:                              ;   in Loop: Header=BB265_9 Depth=1
	v_and_b32_e32 v9, 7, v1
	v_ffbh_u32_e32 v51, v9
	v_min_u32_e32 v54, 32, v51
	v_subrev_u32_e32 v51, 28, v54
	v_lshlrev_b64 v[51:52], v51, v[1:2]
	v_lshrrev_b32_e32 v53, 3, v8
	v_sub_u32_e32 v52, 29, v54
	v_cmp_gt_u32_e64 s[4:5], 8, v8
	v_cndmask_b32_e64 v8, v53, v52, s[4:5]
	v_lshlrev_b32_e32 v1, 8, v1
	v_lshl_add_u32 v8, v8, 10, v18
	v_and_b32_e32 v51, 7, v51
	v_and_or_b32 v1, v1, s44, v8
	v_cndmask_b32_e64 v9, v9, v51, s[4:5]
	v_lshlrev_b32_e32 v1, 16, v1
	v_lshl_or_b32 v51, v9, 23, v1
.LBB265_187:                            ;   in Loop: Header=BB265_9 Depth=1
	s_or_b64 exec, exec, s[38:39]
.LBB265_188:                            ;   in Loop: Header=BB265_9 Depth=1
	s_or_b64 exec, exec, s[36:37]
.LBB265_189:                            ;   in Loop: Header=BB265_9 Depth=1
	s_or_b64 exec, exec, s[34:35]
	v_lshrrev_b32_e32 v1, 16, v7
	v_cmp_ne_u16_sdwa s[4:5], v1, v2 src0_sel:BYTE_0 src1_sel:DWORD
	s_and_saveexec_b64 s[34:35], s[4:5]
	s_cbranch_execz .LBB265_195
; %bb.190:                              ;   in Loop: Header=BB265_9 Depth=1
	v_cmp_ne_u16_sdwa s[4:5], v1, s42 src0_sel:BYTE_0 src1_sel:DWORD
	v_mov_b32_e32 v50, 0x8000
	s_and_saveexec_b64 s[36:37], s[4:5]
	s_cbranch_execz .LBB265_194
; %bb.191:                              ;   in Loop: Header=BB265_9 Depth=1
	v_bfe_u32 v8, v7, 16, 7
	v_cmp_ne_u32_e64 s[4:5], s43, v8
	v_mov_b32_e32 v50, 0x7c01
	s_and_saveexec_b64 s[38:39], s[4:5]
	s_cbranch_execz .LBB265_193
; %bb.192:                              ;   in Loop: Header=BB265_9 Depth=1
	v_and_b32_e32 v9, 7, v1
	v_ffbh_u32_e32 v52, v9
	v_min_u32_e32 v54, 32, v52
	v_subrev_u32_e32 v52, 28, v54
	v_lshlrev_b64 v[52:53], v52, v[1:2]
	v_lshrrev_b32_e32 v50, 3, v8
	v_sub_u32_e32 v53, 29, v54
	v_cmp_gt_u32_e64 s[4:5], 8, v8
	v_cndmask_b32_e64 v8, v50, v53, s[4:5]
	v_lshl_add_u32 v8, v8, 10, v18
	v_lshlrev_b32_e32 v1, 8, v1
	v_and_b32_e32 v50, 7, v52
	v_and_b32_e32 v8, 0xfc00, v8
	v_cndmask_b32_e64 v9, v9, v50, s[4:5]
	v_and_or_b32 v1, v1, s44, v8
	v_lshl_or_b32 v50, v9, 7, v1
.LBB265_193:                            ;   in Loop: Header=BB265_9 Depth=1
	s_or_b64 exec, exec, s[38:39]
.LBB265_194:                            ;   in Loop: Header=BB265_9 Depth=1
	s_or_b64 exec, exec, s[36:37]
.LBB265_195:                            ;   in Loop: Header=BB265_9 Depth=1
	s_or_b64 exec, exec, s[34:35]
	v_cmp_lt_u32_e64 s[4:5], s45, v7
	v_mov_b32_e32 v52, 0
	s_and_saveexec_b64 s[34:35], s[4:5]
	s_cbranch_execz .LBB265_201
; %bb.196:                              ;   in Loop: Header=BB265_9 Depth=1
	v_lshrrev_b32_e32 v1, 24, v7
	v_cmp_ne_u32_e64 s[4:5], s42, v1
	v_bfrev_b32_e32 v52, 1
	s_and_saveexec_b64 s[36:37], s[4:5]
	s_cbranch_execz .LBB265_200
; %bb.197:                              ;   in Loop: Header=BB265_9 Depth=1
	v_and_b32_e32 v7, 0x7f, v1
	v_cmp_ne_u32_e64 s[4:5], s43, v7
	v_mov_b32_e32 v52, 0x7c010000
	s_and_saveexec_b64 s[38:39], s[4:5]
	s_cbranch_execz .LBB265_199
; %bb.198:                              ;   in Loop: Header=BB265_9 Depth=1
	v_and_b32_e32 v52, 7, v1
	v_ffbh_u32_e32 v8, v52
	v_min_u32_e32 v54, 32, v8
	v_subrev_u32_e32 v8, 28, v54
	v_lshlrev_b64 v[8:9], v8, v[1:2]
	v_lshrrev_b32_e32 v53, 3, v7
	v_sub_u32_e32 v9, 29, v54
	v_cmp_gt_u32_e64 s[4:5], 8, v7
	v_cndmask_b32_e64 v7, v53, v9, s[4:5]
	v_lshlrev_b32_e32 v1, 8, v1
	v_lshl_add_u32 v7, v7, 10, v18
	v_and_b32_e32 v8, 7, v8
	v_and_or_b32 v1, v1, s44, v7
	v_cndmask_b32_e64 v8, v52, v8, s[4:5]
	v_lshlrev_b32_e32 v1, 16, v1
	v_lshl_or_b32 v52, v8, 23, v1
.LBB265_199:                            ;   in Loop: Header=BB265_9 Depth=1
	s_or_b64 exec, exec, s[38:39]
.LBB265_200:                            ;   in Loop: Header=BB265_9 Depth=1
	s_or_b64 exec, exec, s[36:37]
.LBB265_201:                            ;   in Loop: Header=BB265_9 Depth=1
	s_or_b64 exec, exec, s[34:35]
	v_or_b32_e32 v1, v47, v45
	v_or_b32_e32 v25, v27, v25
	v_fma_mixlo_f16 v9, v20, v1, 0 op_sel_hi:[0,1,0]
	v_or_b32_e32 v1, v49, v46
	v_fma_mixlo_f16 v46, v20, v25, 0 op_sel_hi:[0,1,0]
	v_or_b32_e32 v25, v28, v26
	v_or_b32_e32 v21, v23, v21
	v_fma_mixlo_f16 v8, v20, v47, 0 op_sel:[0,1,0] op_sel_hi:[0,1,0]
	v_or_b32_e32 v41, v43, v41
	v_fma_mixlo_f16 v47, v20, v25, 0 op_sel_hi:[0,1,0]
	v_fma_mixlo_f16 v25, v20, v23, 0 op_sel:[0,1,0] op_sel_hi:[0,1,0]
	v_fma_mixlo_f16 v26, v20, v21, 0 op_sel_hi:[0,1,0]
	v_or_b32_e32 v21, v24, v22
	ds_read_b64 v[22:23], v14
	v_fma_mixlo_f16 v45, v20, v41, 0 op_sel_hi:[0,1,0]
	v_or_b32_e32 v41, v44, v42
	v_or_b32_e32 v37, v39, v37
	v_fma_mixlo_f16 v42, v20, v41, 0 op_sel_hi:[0,1,0]
	v_fma_mixlo_f16 v41, v20, v44, 0 op_sel:[0,1,0] op_sel_hi:[0,1,0]
	v_fma_mixlo_f16 v44, v20, v37, 0 op_sel_hi:[0,1,0]
	v_or_b32_e32 v37, v40, v38
	v_or_b32_e32 v33, v35, v33
	v_fma_mixlo_f16 v38, v20, v37, 0 op_sel_hi:[0,1,0]
	v_fma_mixlo_f16 v37, v20, v40, 0 op_sel:[0,1,0] op_sel_hi:[0,1,0]
	;; [unrolled: 5-line block ×3, first 2 shown]
	v_fma_mixlo_f16 v36, v20, v29, 0 op_sel_hi:[0,1,0]
	v_or_b32_e32 v29, v32, v30
	v_fma_mixlo_f16 v30, v20, v29, 0 op_sel_hi:[0,1,0]
	v_fma_mixlo_f16 v29, v20, v27, 0 op_sel:[0,1,0] op_sel_hi:[0,1,0]
	v_fma_mixlo_f16 v27, v20, v21, 0 op_sel_hi:[0,1,0]
	v_or_b32_e32 v48, v51, v48
	v_fma_mixlo_f16 v21, v20, v51, 0 op_sel:[0,1,0] op_sel_hi:[0,1,0]
	s_waitcnt lgkmcnt(0)
	v_lshrrev_b32_e32 v51, 16, v22
	v_and_b32_e32 v22, 0xffff, v22
	v_fma_mixlo_f16 v7, v20, v1, 0 op_sel_hi:[0,1,0]
	v_fma_mixlo_f16 v1, v20, v49, 0 op_sel:[0,1,0] op_sel_hi:[0,1,0]
	;;#ASMSTART
	v_cvt_f32_f16 v49, v22;
	;;#ASMEND
	v_and_b32_e32 v22, 0xffff, v26
	;;#ASMSTART
	v_cvt_f32_f16 v51, v51;
	;;#ASMEND
	;;#ASMSTART
	v_cvt_f32_f16 v53, v22;
	;;#ASMEND
	v_and_b32_e32 v22, 0xffff, v25
	;;#ASMSTART
	v_cvt_f32_f16 v54, v22;
	;;#ASMEND
	v_lshrrev_b32_e32 v22, 16, v23
	v_fma_mixlo_f16 v24, v20, v24, 0 op_sel:[0,1,0] op_sel_hi:[0,1,0]
	v_and_b32_e32 v23, 0xffff, v23
	;;#ASMSTART
	v_cvt_f32_f16 v55, v23;
	;;#ASMEND
	;;#ASMSTART
	v_cvt_f32_f16 v56, v22;
	;;#ASMEND
	v_and_b32_e32 v22, 0xffff, v27
	;;#ASMSTART
	v_cvt_f32_f16 v57, v22;
	;;#ASMEND
	v_and_b32_e32 v22, 0xffff, v24
	;;#ASMSTART
	v_cvt_f32_f16 v58, v22;
	;;#ASMEND
	ds_read_b64 v[26:27], v14 offset:8
	v_and_b32_e32 v29, 0xffff, v29
	v_fma_mixlo_f16 v28, v20, v28, 0 op_sel:[0,1,0] op_sel_hi:[0,1,0]
	v_and_b32_e32 v28, 0xffff, v28
	v_fma_mixlo_f16 v31, v20, v31, 0 op_sel:[0,1,0] op_sel_hi:[0,1,0]
	s_waitcnt lgkmcnt(0)
	v_lshrrev_b32_e32 v24, 16, v26
	v_and_b32_e32 v23, 0xffff, v26
	v_and_b32_e32 v26, 0xffff, v46
	;;#ASMSTART
	v_cvt_f32_f16 v23, v23;
	;;#ASMEND
	;;#ASMSTART
	v_cvt_f32_f16 v24, v24;
	;;#ASMEND
	;; [unrolled: 3-line block ×4, first 2 shown]
	v_mul_f32_e32 v23, v23, v26
	v_mul_f32_e32 v24, v24, v29
	v_lshrrev_b32_e32 v29, 16, v27
	v_and_b32_e32 v26, 0xffff, v27
	;;#ASMSTART
	v_cvt_f32_f16 v26, v26;
	;;#ASMEND
	;;#ASMSTART
	v_cvt_f32_f16 v27, v29;
	;;#ASMEND
	v_and_b32_e32 v29, 0xffff, v47
	;;#ASMSTART
	v_cvt_f32_f16 v46, v29;
	;;#ASMEND
	;;#ASMSTART
	v_cvt_f32_f16 v47, v28;
	;;#ASMEND
	ds_read_b64 v[28:29], v14 offset:16
	v_mul_f32_e32 v27, v27, v47
	v_mul_f32_e32 v26, v26, v46
	v_fma_mixlo_f16 v32, v20, v32, 0 op_sel:[0,1,0] op_sel_hi:[0,1,0]
	v_fma_mixlo_f16 v25, v20, v48, 0 op_sel_hi:[0,1,0]
	s_waitcnt lgkmcnt(0)
	v_lshrrev_b32_e32 v47, 16, v28
	v_and_b32_e32 v28, 0xffff, v28
	;;#ASMSTART
	v_cvt_f32_f16 v46, v28;
	;;#ASMEND
	v_and_b32_e32 v28, 0xffff, v36
	;;#ASMSTART
	v_cvt_f32_f16 v47, v47;
	;;#ASMEND
	;;#ASMSTART
	v_cvt_f32_f16 v36, v28;
	;;#ASMEND
	v_and_b32_e32 v28, 0xffff, v31
	;;#ASMSTART
	v_cvt_f32_f16 v31, v28;
	;;#ASMEND
	v_lshrrev_b32_e32 v28, 16, v29
	v_fmac_f32_e32 v23, v49, v53
	v_and_b32_e32 v29, 0xffff, v29
	;;#ASMSTART
	v_cvt_f32_f16 v48, v29;
	;;#ASMEND
	;;#ASMSTART
	v_cvt_f32_f16 v49, v28;
	;;#ASMEND
	v_and_b32_e32 v28, 0xffff, v30
	;;#ASMSTART
	v_cvt_f32_f16 v30, v28;
	;;#ASMEND
	v_and_b32_e32 v28, 0xffff, v32
	;;#ASMSTART
	v_cvt_f32_f16 v32, v28;
	;;#ASMEND
	ds_read_b64 v[28:29], v14 offset:24
	v_fmac_f32_e32 v24, v51, v54
	v_fmac_f32_e32 v26, v55, v57
	;; [unrolled: 1-line block ×3, first 2 shown]
	v_fma_mixlo_f16 v35, v20, v35, 0 op_sel:[0,1,0] op_sel_hi:[0,1,0]
	s_waitcnt lgkmcnt(0)
	v_lshrrev_b32_e32 v31, 16, v28
	v_and_b32_e32 v28, 0xffff, v28
	v_fmac_f32_e32 v27, v56, v58
	v_fmac_f32_e32 v26, v48, v30
	;;#ASMSTART
	v_cvt_f32_f16 v30, v28;
	;;#ASMEND
	v_and_b32_e32 v28, 0xffff, v40
	v_fmac_f32_e32 v27, v49, v32
	;;#ASMSTART
	v_cvt_f32_f16 v31, v31;
	;;#ASMEND
	;;#ASMSTART
	v_cvt_f32_f16 v32, v28;
	;;#ASMEND
	v_and_b32_e32 v28, 0xffff, v35
	;;#ASMSTART
	v_cvt_f32_f16 v35, v28;
	;;#ASMEND
	v_lshrrev_b32_e32 v28, 16, v29
	v_fmac_f32_e32 v23, v46, v36
	v_and_b32_e32 v29, 0xffff, v29
	;;#ASMSTART
	v_cvt_f32_f16 v36, v29;
	;;#ASMEND
	;;#ASMSTART
	v_cvt_f32_f16 v40, v28;
	;;#ASMEND
	v_and_b32_e32 v28, 0xffff, v34
	;;#ASMSTART
	v_cvt_f32_f16 v34, v28;
	;;#ASMEND
	v_and_b32_e32 v28, 0xffff, v33
	;;#ASMSTART
	v_cvt_f32_f16 v33, v28;
	;;#ASMEND
	ds_read_b64 v[28:29], v14 offset:32
	v_fmac_f32_e32 v24, v31, v35
	v_fma_mixlo_f16 v39, v20, v39, 0 op_sel:[0,1,0] op_sel_hi:[0,1,0]
	v_fmac_f32_e32 v23, v30, v32
	v_fmac_f32_e32 v27, v40, v33
	s_waitcnt lgkmcnt(0)
	v_lshrrev_b32_e32 v31, 16, v28
	v_and_b32_e32 v28, 0xffff, v28
	;;#ASMSTART
	v_cvt_f32_f16 v30, v28;
	;;#ASMEND
	v_and_b32_e32 v28, 0xffff, v44
	;;#ASMSTART
	v_cvt_f32_f16 v31, v31;
	;;#ASMEND
	;;#ASMSTART
	v_cvt_f32_f16 v32, v28;
	;;#ASMEND
	v_and_b32_e32 v28, 0xffff, v39
	;;#ASMSTART
	v_cvt_f32_f16 v33, v28;
	;;#ASMEND
	v_lshrrev_b32_e32 v28, 16, v29
	v_fmac_f32_e32 v26, v36, v34
	v_and_b32_e32 v29, 0xffff, v29
	;;#ASMSTART
	v_cvt_f32_f16 v34, v29;
	;;#ASMEND
	;;#ASMSTART
	v_cvt_f32_f16 v35, v28;
	;;#ASMEND
	v_and_b32_e32 v28, 0xffff, v38
	;;#ASMSTART
	v_cvt_f32_f16 v36, v28;
	;;#ASMEND
	v_and_b32_e32 v28, 0xffff, v37
	;;#ASMSTART
	v_cvt_f32_f16 v37, v28;
	;;#ASMEND
	ds_read_b64 v[28:29], v14 offset:40
	v_fmac_f32_e32 v24, v31, v33
	v_fma_mixlo_f16 v43, v20, v43, 0 op_sel:[0,1,0] op_sel_hi:[0,1,0]
	v_fmac_f32_e32 v23, v30, v32
	v_fmac_f32_e32 v26, v34, v36
	s_waitcnt lgkmcnt(0)
	v_lshrrev_b32_e32 v31, 16, v28
	v_and_b32_e32 v28, 0xffff, v28
	;;#ASMSTART
	v_cvt_f32_f16 v30, v28;
	;;#ASMEND
	v_and_b32_e32 v28, 0xffff, v45
	;;#ASMSTART
	v_cvt_f32_f16 v31, v31;
	;;#ASMEND
	;;#ASMSTART
	v_cvt_f32_f16 v32, v28;
	;;#ASMEND
	v_and_b32_e32 v28, 0xffff, v43
	;;#ASMSTART
	v_cvt_f32_f16 v33, v28;
	;;#ASMEND
	v_lshrrev_b32_e32 v28, 16, v29
	v_fmac_f32_e32 v27, v35, v37
	v_and_b32_e32 v29, 0xffff, v29
	;;#ASMSTART
	v_cvt_f32_f16 v34, v29;
	;;#ASMEND
	;;#ASMSTART
	v_cvt_f32_f16 v35, v28;
	;;#ASMEND
	v_and_b32_e32 v28, 0xffff, v42
	;;#ASMSTART
	v_cvt_f32_f16 v36, v28;
	;;#ASMEND
	v_and_b32_e32 v28, 0xffff, v41
	;;#ASMSTART
	v_cvt_f32_f16 v37, v28;
	;;#ASMEND
	ds_read_b64 v[28:29], v14 offset:48
	v_fmac_f32_e32 v23, v30, v32
	v_and_b32_e32 v9, 0xffff, v9
	v_and_b32_e32 v8, 0xffff, v8
	v_fmac_f32_e32 v24, v31, v33
	s_waitcnt lgkmcnt(0)
	v_lshrrev_b32_e32 v30, 16, v28
	v_and_b32_e32 v28, 0xffff, v28
	;;#ASMSTART
	v_cvt_f32_f16 v28, v28;
	;;#ASMEND
	;;#ASMSTART
	v_cvt_f32_f16 v30, v30;
	;;#ASMEND
	;; [unrolled: 3-line block ×4, first 2 shown]
	v_lshrrev_b32_e32 v8, 16, v29
	v_and_b32_e32 v29, 0xffff, v29
	v_and_b32_e32 v7, 0xffff, v7
	v_and_b32_e32 v1, 0xffff, v1
	;;#ASMSTART
	v_cvt_f32_f16 v29, v29;
	;;#ASMEND
	;;#ASMSTART
	v_cvt_f32_f16 v32, v8;
	;;#ASMEND
	;; [unrolled: 3-line block ×4, first 2 shown]
	ds_read_b64 v[7:8], v14 offset:56
	v_fmac_f32_e32 v27, v35, v37
	v_fmac_f32_e32 v23, v28, v9
	;; [unrolled: 1-line block ×3, first 2 shown]
	v_or_b32_e32 v22, v52, v50
	s_waitcnt lgkmcnt(0)
	v_lshrrev_b32_e32 v9, 16, v7
	v_and_b32_e32 v1, 0xffff, v7
	;;#ASMSTART
	v_cvt_f32_f16 v1, v1;
	;;#ASMEND
	;;#ASMSTART
	v_cvt_f32_f16 v7, v9;
	;;#ASMEND
	v_and_b32_e32 v9, 0xffff, v25
	v_fma_mixlo_f16 v22, v20, v22, 0 op_sel_hi:[0,1,0]
	v_fmac_f32_e32 v26, v34, v36
	v_fmac_f32_e32 v24, v30, v31
	;;#ASMSTART
	v_cvt_f32_f16 v9, v9;
	;;#ASMEND
	v_and_b32_e32 v21, 0xffff, v21
	v_fmac_f32_e32 v23, v1, v9
	v_and_b32_e32 v1, 0xffff, v8
	v_fma_mixlo_f16 v20, v20, v52, 0 op_sel:[0,1,0] op_sel_hi:[0,1,0]
	v_fmac_f32_e32 v26, v29, v33
	;;#ASMSTART
	v_cvt_f32_f16 v21, v21;
	;;#ASMEND
	v_fmac_f32_e32 v24, v7, v21
	v_lshrrev_b32_e32 v7, 16, v8
	;;#ASMSTART
	v_cvt_f32_f16 v1, v1;
	;;#ASMEND
	v_and_b32_e32 v8, 0xffff, v22
	;;#ASMSTART
	v_cvt_f32_f16 v7, v7;
	;;#ASMEND
	;;#ASMSTART
	v_cvt_f32_f16 v8, v8;
	;;#ASMEND
	v_and_b32_e32 v9, 0xffff, v20
	v_fmac_f32_e32 v26, v1, v8
	v_add_f32_e32 v1, v23, v24
	;;#ASMSTART
	v_cvt_f32_f16 v9, v9;
	;;#ASMEND
	v_fmac_f32_e32 v27, v7, v9
	v_add_f32_e32 v1, v1, v26
	v_add_f32_e32 v8, v27, v1
	v_and_b32_e32 v1, 64, v16
	v_xor_b32_e32 v9, 1, v16
	v_add_u32_e32 v7, 64, v1
	v_cmp_lt_i32_e64 s[4:5], v9, v7
	v_cndmask_b32_e64 v9, v16, v9, s[4:5]
	v_lshlrev_b32_e32 v9, 2, v9
	ds_bpermute_b32 v9, v9, v8
	s_and_saveexec_b64 s[34:35], vcc
	s_cbranch_execz .LBB265_8
; %bb.202:                              ;   in Loop: Header=BB265_9 Depth=1
	v_add_u32_e32 v20, s41, v15
	v_cvt_f32_i32_e32 v20, v20
	s_waitcnt lgkmcnt(0)
	v_add_f32_e32 v8, v8, v9
	v_cmp_gt_i32_e64 s[4:5], s30, v15
	v_max_f32_e32 v9, v13, v13
	v_mul_f32_e32 v20, s33, v20
	v_cndmask_b32_e64 v20, 0, v20, s[2:3]
	v_fmac_f32_e32 v20, s31, v8
	v_cndmask_b32_e64 v8, 0, v20, s[4:5]
	ds_write_b32 v17, v8
	v_max_f32_e32 v8, v9, v20
	v_cndmask_b32_e64 v13, v13, v8, s[4:5]
	s_branch .LBB265_8
.LBB265_203:
	s_or_b64 exec, exec, s[18:19]
.LBB265_204:
	s_or_b64 exec, exec, s[6:7]
	v_xor_b32_e32 v2, 32, v16
	v_cmp_lt_i32_e32 vcc, v2, v7
	v_cndmask_b32_e32 v2, v16, v2, vcc
	v_lshlrev_b32_e32 v2, 2, v2
	ds_bpermute_b32 v3, v2, v13
	v_xor_b32_e32 v5, 16, v16
	v_max_f32_e32 v4, v13, v13
	v_cmp_lt_i32_e32 vcc, v5, v7
	v_xor_b32_e32 v6, 8, v16
	s_waitcnt lgkmcnt(0)
	v_max_f32_e32 v3, v3, v3
	v_max_f32_e32 v4, v4, v3
	v_cndmask_b32_e32 v3, v16, v5, vcc
	v_lshlrev_b32_e32 v3, 2, v3
	ds_bpermute_b32 v5, v3, v4
	v_cmp_lt_i32_e32 vcc, v6, v7
	v_xor_b32_e32 v8, 4, v16
	v_xor_b32_e32 v9, 2, v16
	v_and_b32_e32 v13, 63, v0
	s_waitcnt lgkmcnt(0)
	v_max_f32_e32 v5, v5, v5
	v_max_f32_e32 v5, v4, v5
	v_cndmask_b32_e32 v4, v16, v6, vcc
	v_lshlrev_b32_e32 v4, 2, v4
	ds_bpermute_b32 v6, v4, v5
	v_cmp_lt_i32_e32 vcc, v8, v7
	s_waitcnt lgkmcnt(0)
	v_max_f32_e32 v6, v6, v6
	v_max_f32_e32 v6, v5, v6
	v_cndmask_b32_e32 v5, v16, v8, vcc
	v_lshlrev_b32_e32 v5, 2, v5
	ds_bpermute_b32 v8, v5, v6
	v_cmp_lt_i32_e32 vcc, v9, v7
	s_waitcnt lgkmcnt(0)
	v_max_f32_e32 v8, v8, v8
	v_max_f32_e32 v8, v6, v8
	v_cndmask_b32_e32 v6, v16, v9, vcc
	v_lshlrev_b32_e32 v14, 2, v6
	ds_bpermute_b32 v9, v14, v8
	v_cmp_eq_u32_e32 vcc, 0, v13
	v_lshlrev_b32_e32 v6, 2, v11
	s_and_saveexec_b64 s[2:3], vcc
	s_cbranch_execz .LBB265_206
; %bb.205:
	s_waitcnt lgkmcnt(0)
	v_max_f32_e32 v9, v9, v9
	v_max_f32_e32 v8, v8, v8
	;; [unrolled: 1-line block ×3, first 2 shown]
	ds_write_b32 v6, v8 offset:128
.LBB265_206:
	s_or_b64 exec, exec, s[2:3]
	v_cmp_gt_u32_e64 s[2:3], 2, v13
	s_waitcnt lgkmcnt(0)
	v_mov_b32_e32 v9, 0xff7fffff
	v_lshlrev_b32_e32 v8, 2, v13
	s_barrier
	s_and_saveexec_b64 s[4:5], s[2:3]
; %bb.207:
	ds_read_b32 v9, v8 offset:128
; %bb.208:
	s_or_b64 exec, exec, s[4:5]
	v_xor_b32_e32 v15, 1, v16
	v_cmp_lt_i32_e64 s[4:5], v15, v7
	v_cndmask_b32_e64 v7, v16, v15, s[4:5]
	v_lshlrev_b32_e32 v15, 2, v7
	s_waitcnt lgkmcnt(0)
	ds_bpermute_b32 v7, v15, v9
	v_max_f32_e32 v9, v9, v9
	v_lshlrev_b32_e32 v1, 2, v1
	s_lshl_b32 s4, s21, 5
	s_min_i32 s31, s4, s30
	s_waitcnt lgkmcnt(0)
	v_max_f32_e32 v7, v7, v7
	v_max_f32_e32 v7, v9, v7
	ds_bpermute_b32 v7, v1, v7
	v_cmp_gt_i32_e64 s[4:5], s31, v0
	v_mov_b32_e32 v1, 0
	s_and_saveexec_b64 s[12:13], s[4:5]
	s_cbranch_execz .LBB265_212
; %bb.209:
	v_mov_b32_e32 v1, 0x90
	v_lshl_add_u32 v9, v0, 2, v1
	v_mov_b32_e32 v1, 0
	s_mov_b64 s[18:19], 0
	v_mov_b32_e32 v17, v0
.LBB265_210:                            ; =>This Inner Loop Header: Depth=1
	ds_read_b32 v18, v9
	v_add_u32_e32 v17, 0x80, v17
	v_cmp_le_i32_e64 s[6:7], s31, v17
	s_or_b64 s[18:19], s[6:7], s[18:19]
	s_waitcnt lgkmcnt(0)
	v_sub_f32_e32 v18, v18, v7
	v_mul_f32_e32 v18, 0x3fb8aa3b, v18
	v_exp_f32_e32 v18, v18
	ds_write_b32 v9, v18
	v_add_f32_e32 v1, v1, v18
	v_add_u32_e32 v9, 0x200, v9
	s_andn2_b64 exec, exec, s[18:19]
	s_cbranch_execnz .LBB265_210
; %bb.211:
	s_or_b64 exec, exec, s[18:19]
.LBB265_212:
	s_or_b64 exec, exec, s[12:13]
	ds_bpermute_b32 v2, v2, v1
	s_waitcnt lgkmcnt(0)
	v_add_f32_e32 v1, v1, v2
	ds_bpermute_b32 v2, v3, v1
	s_waitcnt lgkmcnt(0)
	v_add_f32_e32 v1, v1, v2
	;; [unrolled: 3-line block ×6, first 2 shown]
	s_and_saveexec_b64 s[6:7], vcc
; %bb.213:
	ds_write_b32 v6, v1 offset:136
; %bb.214:
	s_or_b64 exec, exec, s[6:7]
	s_waitcnt lgkmcnt(0)
	s_barrier
	s_and_saveexec_b64 s[6:7], s[2:3]
; %bb.215:
	ds_read_b32 v1, v8 offset:136
; %bb.216:
	s_or_b64 exec, exec, s[6:7]
	s_waitcnt lgkmcnt(0)
	ds_bpermute_b32 v2, v15, v1
	v_lshlrev_b32_e32 v3, 2, v16
	s_waitcnt lgkmcnt(0)
	v_add_f32_e32 v1, v1, v2
	v_and_b32_e32 v2, 0xffffff00, v3
	ds_bpermute_b32 v1, v2, v1
	s_and_saveexec_b64 s[2:3], s[4:5]
	s_cbranch_execz .LBB265_219
; %bb.217:
	s_waitcnt lgkmcnt(0)
	v_add_f32_e32 v2, 0x358637bd, v1
	v_div_scale_f32 v1, s[4:5], v2, v2, 1.0
	v_div_scale_f32 v3, vcc, 1.0, v2, 1.0
	s_mov_b64 s[4:5], 0
	v_rcp_f32_e32 v4, v1
	v_fma_f32 v5, -v1, v4, 1.0
	v_fmac_f32_e32 v4, v5, v4
	v_mul_f32_e32 v5, v3, v4
	v_fma_f32 v6, -v1, v5, v3
	v_fmac_f32_e32 v5, v6, v4
	v_fma_f32 v1, -v1, v5, v3
	v_div_fmas_f32 v3, v1, v4, v5
	v_mov_b32_e32 v1, 0x90
	v_lshl_add_u32 v1, v0, 2, v1
	v_div_fixup_f32 v2, v3, v2, 1.0
	v_mov_b32_e32 v3, v0
.LBB265_218:                            ; =>This Inner Loop Header: Depth=1
	ds_read_b32 v4, v1
	v_add_u32_e32 v3, 0x80, v3
	v_cmp_le_i32_e32 vcc, s31, v3
	s_or_b64 s[4:5], vcc, s[4:5]
	s_waitcnt lgkmcnt(0)
	v_mul_f32_e32 v4, v2, v4
	ds_write_b32 v1, v4
	v_add_u32_e32 v1, 0x200, v1
	s_andn2_b64 exec, exec, s[4:5]
	s_cbranch_execnz .LBB265_218
.LBB265_219:
	s_or_b64 exec, exec, s[2:3]
	v_mov_b32_e32 v19, 0
	v_and_b32_e32 v16, 3, v0
	v_mov_b32_e32 v20, 0
	v_mov_b32_e32 v18, 0
	;; [unrolled: 1-line block ×3, first 2 shown]
	s_waitcnt lgkmcnt(0)
	s_barrier
	s_and_saveexec_b64 s[2:3], s[0:1]
	s_cbranch_execz .LBB265_423
; %bb.220:
	s_ashr_i32 s0, s16, 31
	s_add_u32 s1, s28, s16
	v_and_b32_e32 v1, 24, v10
	s_addc_u32 s0, s29, s0
	v_and_b32_e32 v3, 0x1f8, v10
	v_lshlrev_b32_e32 v5, 5, v11
	s_add_i32 s28, s21, -1
	v_mov_b32_e32 v4, s0
	v_add_co_u32_e32 v3, vcc, s1, v3
	v_or3_b32 v21, v5, v1, 7
	v_lshlrev_b32_e32 v1, 5, v16
	s_lshl_b64 s[0:1], s[26:27], 2
	v_lshl_or_b32 v1, v11, 7, v1
	s_add_u32 s0, s24, s0
	v_addc_co_u32_e32 v4, vcc, 0, v4, vcc
	v_add_u32_e32 v22, 0x90, v1
	v_and_b32_e32 v1, 60, v12
	s_addc_u32 s1, s25, s1
	s_mov_b32 s4, -1
	v_mov_b32_e32 v6, s1
	v_add_co_u32_e32 v5, vcc, s0, v1
	s_mov_b32 s31, s17
	s_mov_b32 s5, 0xffffff
	v_mov_b32_e32 v2, 0
	v_addc_co_u32_e32 v6, vcc, 0, v6, vcc
	s_mov_b64 s[6:7], 0
	s_movk_i32 s24, 0x80
	s_movk_i32 s25, 0x7f
	s_mov_b32 s26, 0x8000
	v_mov_b32_e32 v12, 0x2000
	v_mov_b32_e32 v17, 0
	;; [unrolled: 1-line block ×5, first 2 shown]
	s_branch .LBB265_222
.LBB265_221:                            ;   in Loop: Header=BB265_222 Depth=1
	s_or_b64 exec, exec, s[0:1]
	v_add_f32_e32 v9, v9, v10
	v_add_f32_e32 v18, v18, v9
	v_add_f32_e32 v9, v36, v37
	v_add_f32_e32 v20, v20, v9
	v_add_f32_e32 v9, v34, v35
	;;#ASMSTART
	v_pk_mul_f16 v7, v30, v7;

	;;#ASMEND
	;;#ASMSTART
	v_pk_mul_f16 v1, v31, v1;

	;;#ASMEND
	v_add_f32_e32 v19, v19, v9
	;;#ASMSTART
	v_pk_mul_f16 v8, v32, v8;

	;;#ASMEND
	;;#ASMSTART
	v_pk_mul_f16 v9, v33, v38;

	;;#ASMEND
	;;#ASMSTART
	v_pk_add_f16 v1, v7, v1;

	;;#ASMEND
	;;#ASMSTART
	v_pk_add_f16 v1, v1, v8;
	;; [unrolled: 4-line block ×3, first 2 shown]

	;;#ASMEND
	v_lshrrev_b32_e32 v7, 16, v1
	v_and_b32_e32 v1, 0xffff, v1
	v_add_u32_e32 v11, 2, v11
	;;#ASMSTART
	v_cvt_f32_f16 v1, v1;
	;;#ASMEND
	v_cmp_le_i32_e32 vcc, s21, v11
	;;#ASMSTART
	v_cvt_f32_f16 v7, v7;
	;;#ASMEND
	v_add_f32_e32 v1, v1, v7
	s_or_b64 s[6:7], vcc, s[6:7]
	v_add_co_u32_e32 v5, vcc, 8, v5
	v_add_f32_e32 v17, v17, v1
	v_add_u32_e32 v21, 64, v21
	v_add_u32_e32 v22, 0x100, v22
	v_addc_co_u32_e32 v6, vcc, 0, v6, vcc
	s_andn2_b64 exec, exec, s[6:7]
	s_cbranch_execz .LBB265_422
.LBB265_222:                            ; =>This Inner Loop Header: Depth=1
	global_load_dword v1, v[5:6], off
	ds_read2_b64 v[7:10], v22 offset1:1
	ds_read2_b64 v[23:26], v22 offset0:2 offset1:3
	s_waitcnt lgkmcnt(1)
	;;#ASMSTART
	v_cvt_f16_f32 v30, v7;

	;;#ASMEND
	;;#ASMSTART
	v_cvt_f16_f32 v31, v8;

	;;#ASMEND
	;; [unrolled: 4-line block ×4, first 2 shown]
	s_waitcnt lgkmcnt(0)
	;;#ASMSTART
	v_cvt_f16_f32 v34, v23;

	;;#ASMEND
	;;#ASMSTART
	v_cvt_f16_f32 v35, v24;

	;;#ASMEND
	;; [unrolled: 4-line block ×4, first 2 shown]
	v_mov_b32_e32 v25, 0
	s_waitcnt vmcnt(0)
	v_mad_i64_i32 v[7:8], s[0:1], v1, s31, v[3:4]
	global_load_dwordx2 v[9:10], v[7:8], off
	global_load_dword v24, v2, s[14:15]
	s_waitcnt vmcnt(1)
	v_cmp_ne_u16_sdwa s[12:13], v9, v2 src0_sel:BYTE_0 src1_sel:DWORD
	s_and_saveexec_b64 s[0:1], s[12:13]
	s_cbranch_execz .LBB265_228
; %bb.223:                              ;   in Loop: Header=BB265_222 Depth=1
	v_cmp_ne_u16_sdwa s[16:17], v9, s24 src0_sel:BYTE_0 src1_sel:DWORD
	v_mov_b32_e32 v25, 0x8000
	s_and_saveexec_b64 s[12:13], s[16:17]
	s_cbranch_execz .LBB265_227
; %bb.224:                              ;   in Loop: Header=BB265_222 Depth=1
	v_and_b32_e32 v1, 0x7f, v9
	v_cmp_ne_u32_e32 vcc, s25, v1
	v_mov_b32_e32 v25, 0x7c01
	s_and_saveexec_b64 s[16:17], vcc
	s_cbranch_execz .LBB265_226
; %bb.225:                              ;   in Loop: Header=BB265_222 Depth=1
	v_and_b32_e32 v23, 7, v9
	v_ffbh_u32_e32 v25, v23
	v_min_u32_e32 v28, 32, v25
	v_subrev_u32_e32 v25, 28, v28
	v_lshlrev_b64 v[25:26], v25, v[9:10]
	v_lshrrev_b32_e32 v27, 3, v1
	v_sub_u32_e32 v26, 29, v28
	v_cmp_gt_u32_e32 vcc, 8, v1
	v_cndmask_b32_e32 v1, v27, v26, vcc
	v_lshl_add_u32 v1, v1, 10, v12
	v_lshlrev_b32_e32 v26, 8, v9
	v_and_b32_e32 v25, 7, v25
	v_and_b32_e32 v1, 0xfc00, v1
	v_cndmask_b32_e32 v23, v23, v25, vcc
	v_and_or_b32 v1, v26, s26, v1
	v_lshl_or_b32 v25, v23, 7, v1
.LBB265_226:                            ;   in Loop: Header=BB265_222 Depth=1
	s_or_b64 exec, exec, s[16:17]
.LBB265_227:                            ;   in Loop: Header=BB265_222 Depth=1
	s_or_b64 exec, exec, s[12:13]
.LBB265_228:                            ;   in Loop: Header=BB265_222 Depth=1
	s_or_b64 exec, exec, s[0:1]
	v_lshrrev_b16_e32 v1, 8, v9
	v_cmp_ne_u16_e32 vcc, 0, v1
	v_mov_b32_e32 v27, 0
	v_mov_b32_e32 v26, 0
	s_and_saveexec_b64 s[0:1], vcc
	s_cbranch_execz .LBB265_234
; %bb.229:                              ;   in Loop: Header=BB265_222 Depth=1
	v_cmp_ne_u16_e32 vcc, s24, v1
	v_bfrev_b32_e32 v26, 1
	s_and_saveexec_b64 s[12:13], vcc
	s_cbranch_execz .LBB265_233
; %bb.230:                              ;   in Loop: Header=BB265_222 Depth=1
	v_and_b32_e32 v23, 0x7f, v1
	v_cmp_ne_u32_e32 vcc, s25, v23
	v_mov_b32_e32 v26, 0x7c010000
	s_and_saveexec_b64 s[16:17], vcc
	s_cbranch_execz .LBB265_232
; %bb.231:                              ;   in Loop: Header=BB265_222 Depth=1
	v_and_b32_e32 v26, 7, v1
	v_ffbh_u32_e32 v28, v26
	v_min_u32_e32 v39, 32, v28
	v_subrev_u32_e32 v28, 28, v39
	v_lshlrev_b64 v[28:29], v28, v[1:2]
	v_lshrrev_b32_e32 v38, 3, v23
	v_sub_u32_e32 v29, 29, v39
	v_cmp_gt_u32_e32 vcc, 8, v23
	v_cndmask_b32_e32 v23, v38, v29, vcc
	v_lshlrev_b32_e32 v1, 8, v1
	v_lshl_add_u32 v23, v23, 10, v12
	v_and_b32_e32 v28, 7, v28
	v_and_or_b32 v1, v1, s26, v23
	v_cndmask_b32_e32 v26, v26, v28, vcc
	v_lshlrev_b32_e32 v1, 16, v1
	v_lshl_or_b32 v26, v26, 23, v1
.LBB265_232:                            ;   in Loop: Header=BB265_222 Depth=1
	s_or_b64 exec, exec, s[16:17]
.LBB265_233:                            ;   in Loop: Header=BB265_222 Depth=1
	s_or_b64 exec, exec, s[12:13]
.LBB265_234:                            ;   in Loop: Header=BB265_222 Depth=1
	s_or_b64 exec, exec, s[0:1]
	v_lshrrev_b32_e32 v1, 16, v9
	v_cmp_ne_u16_sdwa s[12:13], v1, v2 src0_sel:BYTE_0 src1_sel:DWORD
	s_and_saveexec_b64 s[0:1], s[12:13]
	s_cbranch_execz .LBB265_240
; %bb.235:                              ;   in Loop: Header=BB265_222 Depth=1
	v_cmp_ne_u16_sdwa s[16:17], v1, s24 src0_sel:BYTE_0 src1_sel:DWORD
	v_mov_b32_e32 v27, 0x8000
	s_and_saveexec_b64 s[12:13], s[16:17]
	s_cbranch_execz .LBB265_239
; %bb.236:                              ;   in Loop: Header=BB265_222 Depth=1
	v_bfe_u32 v23, v9, 16, 7
	v_cmp_ne_u32_e32 vcc, s25, v23
	v_mov_b32_e32 v27, 0x7c01
	s_and_saveexec_b64 s[16:17], vcc
	s_cbranch_execz .LBB265_238
; %bb.237:                              ;   in Loop: Header=BB265_222 Depth=1
	v_and_b32_e32 v29, 7, v1
	v_ffbh_u32_e32 v27, v29
	v_min_u32_e32 v39, 32, v27
	v_subrev_u32_e32 v27, 28, v39
	v_lshlrev_b64 v[27:28], v27, v[1:2]
	v_lshrrev_b32_e32 v38, 3, v23
	v_sub_u32_e32 v28, 29, v39
	v_cmp_gt_u32_e32 vcc, 8, v23
	v_cndmask_b32_e32 v23, v38, v28, vcc
	v_lshl_add_u32 v23, v23, 10, v12
	v_lshlrev_b32_e32 v1, 8, v1
	v_and_b32_e32 v27, 7, v27
	v_and_b32_e32 v23, 0xfc00, v23
	v_cndmask_b32_e32 v27, v29, v27, vcc
	v_and_or_b32 v1, v1, s26, v23
	v_lshl_or_b32 v27, v27, 7, v1
.LBB265_238:                            ;   in Loop: Header=BB265_222 Depth=1
	s_or_b64 exec, exec, s[16:17]
.LBB265_239:                            ;   in Loop: Header=BB265_222 Depth=1
	s_or_b64 exec, exec, s[12:13]
.LBB265_240:                            ;   in Loop: Header=BB265_222 Depth=1
	s_or_b64 exec, exec, s[0:1]
	v_cmp_lt_u32_e32 vcc, s5, v9
	v_mov_b32_e32 v28, 0
	v_mov_b32_e32 v29, 0
	s_and_saveexec_b64 s[0:1], vcc
	s_cbranch_execz .LBB265_246
; %bb.241:                              ;   in Loop: Header=BB265_222 Depth=1
	v_lshrrev_b32_e32 v1, 24, v9
	v_cmp_ne_u32_e32 vcc, s24, v1
	v_bfrev_b32_e32 v29, 1
	s_and_saveexec_b64 s[12:13], vcc
	s_cbranch_execz .LBB265_245
; %bb.242:                              ;   in Loop: Header=BB265_222 Depth=1
	v_and_b32_e32 v23, 0x7f, v1
	v_cmp_ne_u32_e32 vcc, s25, v23
	v_mov_b32_e32 v29, 0x7c010000
	s_and_saveexec_b64 s[16:17], vcc
	s_cbranch_execz .LBB265_244
; %bb.243:                              ;   in Loop: Header=BB265_222 Depth=1
	v_and_b32_e32 v29, 7, v1
	v_ffbh_u32_e32 v38, v29
	v_min_u32_e32 v41, 32, v38
	v_subrev_u32_e32 v38, 28, v41
	v_lshlrev_b64 v[38:39], v38, v[1:2]
	v_lshrrev_b32_e32 v40, 3, v23
	v_sub_u32_e32 v39, 29, v41
	v_cmp_gt_u32_e32 vcc, 8, v23
	v_cndmask_b32_e32 v23, v40, v39, vcc
	v_lshlrev_b32_e32 v1, 8, v1
	v_lshl_add_u32 v23, v23, 10, v12
	v_and_b32_e32 v38, 7, v38
	v_and_or_b32 v1, v1, s26, v23
	v_cndmask_b32_e32 v29, v29, v38, vcc
	v_lshlrev_b32_e32 v1, 16, v1
	v_lshl_or_b32 v29, v29, 23, v1
.LBB265_244:                            ;   in Loop: Header=BB265_222 Depth=1
	s_or_b64 exec, exec, s[16:17]
.LBB265_245:                            ;   in Loop: Header=BB265_222 Depth=1
	s_or_b64 exec, exec, s[12:13]
.LBB265_246:                            ;   in Loop: Header=BB265_222 Depth=1
	s_or_b64 exec, exec, s[0:1]
	v_mov_b32_e32 v1, v10
	v_cmp_ne_u16_sdwa s[12:13], v10, v2 src0_sel:BYTE_0 src1_sel:DWORD
	s_and_saveexec_b64 s[0:1], s[12:13]
	s_cbranch_execz .LBB265_252
; %bb.247:                              ;   in Loop: Header=BB265_222 Depth=1
	v_cmp_ne_u16_sdwa s[16:17], v10, s24 src0_sel:BYTE_0 src1_sel:DWORD
	v_mov_b32_e32 v28, 0x8000
	s_and_saveexec_b64 s[12:13], s[16:17]
	s_cbranch_execz .LBB265_251
; %bb.248:                              ;   in Loop: Header=BB265_222 Depth=1
	v_and_b32_e32 v23, 0x7f, v10
	v_cmp_ne_u32_e32 vcc, s25, v23
	v_mov_b32_e32 v28, 0x7c01
	s_and_saveexec_b64 s[16:17], vcc
	s_cbranch_execz .LBB265_250
; %bb.249:                              ;   in Loop: Header=BB265_222 Depth=1
	v_and_b32_e32 v28, 7, v10
	v_ffbh_u32_e32 v38, v28
	v_min_u32_e32 v41, 32, v38
	v_subrev_u32_e32 v38, 28, v41
	v_lshlrev_b64 v[38:39], v38, v[1:2]
	v_lshrrev_b32_e32 v40, 3, v23
	v_sub_u32_e32 v39, 29, v41
	v_cmp_gt_u32_e32 vcc, 8, v23
	v_cndmask_b32_e32 v23, v40, v39, vcc
	v_lshl_add_u32 v23, v23, 10, v12
	v_lshlrev_b32_e32 v39, 8, v10
	v_and_b32_e32 v38, 7, v38
	v_and_b32_e32 v23, 0xfc00, v23
	v_cndmask_b32_e32 v28, v28, v38, vcc
	v_and_or_b32 v23, v39, s26, v23
	v_lshl_or_b32 v28, v28, 7, v23
.LBB265_250:                            ;   in Loop: Header=BB265_222 Depth=1
	s_or_b64 exec, exec, s[16:17]
.LBB265_251:                            ;   in Loop: Header=BB265_222 Depth=1
	s_or_b64 exec, exec, s[12:13]
.LBB265_252:                            ;   in Loop: Header=BB265_222 Depth=1
	s_or_b64 exec, exec, s[0:1]
	v_lshrrev_b16_e32 v1, 8, v1
	v_cmp_ne_u16_e32 vcc, 0, v1
	v_mov_b32_e32 v38, 0
	v_mov_b32_e32 v39, 0
	s_and_saveexec_b64 s[0:1], vcc
	s_cbranch_execz .LBB265_258
; %bb.253:                              ;   in Loop: Header=BB265_222 Depth=1
	v_cmp_ne_u16_e32 vcc, s24, v1
	v_bfrev_b32_e32 v39, 1
	s_and_saveexec_b64 s[12:13], vcc
	s_cbranch_execz .LBB265_257
; %bb.254:                              ;   in Loop: Header=BB265_222 Depth=1
	v_and_b32_e32 v23, 0x7f, v1
	v_cmp_ne_u32_e32 vcc, s25, v23
	v_mov_b32_e32 v39, 0x7c010000
	s_and_saveexec_b64 s[16:17], vcc
	s_cbranch_execz .LBB265_256
; %bb.255:                              ;   in Loop: Header=BB265_222 Depth=1
	v_and_b32_e32 v41, 7, v1
	v_ffbh_u32_e32 v39, v41
	v_min_u32_e32 v43, 32, v39
	v_subrev_u32_e32 v39, 28, v43
	v_lshlrev_b64 v[39:40], v39, v[1:2]
	v_lshrrev_b32_e32 v42, 3, v23
	v_sub_u32_e32 v40, 29, v43
	v_cmp_gt_u32_e32 vcc, 8, v23
	v_cndmask_b32_e32 v23, v42, v40, vcc
	v_lshlrev_b32_e32 v1, 8, v1
	v_lshl_add_u32 v23, v23, 10, v12
	v_and_b32_e32 v39, 7, v39
	v_and_or_b32 v1, v1, s26, v23
	v_cndmask_b32_e32 v39, v41, v39, vcc
	v_lshlrev_b32_e32 v1, 16, v1
	v_lshl_or_b32 v39, v39, 23, v1
.LBB265_256:                            ;   in Loop: Header=BB265_222 Depth=1
	s_or_b64 exec, exec, s[16:17]
.LBB265_257:                            ;   in Loop: Header=BB265_222 Depth=1
	s_or_b64 exec, exec, s[12:13]
.LBB265_258:                            ;   in Loop: Header=BB265_222 Depth=1
	s_or_b64 exec, exec, s[0:1]
	v_lshrrev_b32_e32 v1, 16, v10
	v_cmp_ne_u16_sdwa s[12:13], v1, v2 src0_sel:BYTE_0 src1_sel:DWORD
	s_and_saveexec_b64 s[0:1], s[12:13]
	s_cbranch_execz .LBB265_264
; %bb.259:                              ;   in Loop: Header=BB265_222 Depth=1
	v_cmp_ne_u16_sdwa s[16:17], v1, s24 src0_sel:BYTE_0 src1_sel:DWORD
	v_mov_b32_e32 v38, 0x8000
	s_and_saveexec_b64 s[12:13], s[16:17]
	s_cbranch_execz .LBB265_263
; %bb.260:                              ;   in Loop: Header=BB265_222 Depth=1
	v_bfe_u32 v23, v10, 16, 7
	v_cmp_ne_u32_e32 vcc, s25, v23
	v_mov_b32_e32 v38, 0x7c01
	s_and_saveexec_b64 s[16:17], vcc
	s_cbranch_execz .LBB265_262
; %bb.261:                              ;   in Loop: Header=BB265_222 Depth=1
	v_and_b32_e32 v38, 7, v1
	v_ffbh_u32_e32 v40, v38
	v_min_u32_e32 v43, 32, v40
	v_subrev_u32_e32 v40, 28, v43
	v_lshlrev_b64 v[40:41], v40, v[1:2]
	v_lshrrev_b32_e32 v42, 3, v23
	v_sub_u32_e32 v41, 29, v43
	v_cmp_gt_u32_e32 vcc, 8, v23
	v_cndmask_b32_e32 v23, v42, v41, vcc
	v_lshl_add_u32 v23, v23, 10, v12
	v_lshlrev_b32_e32 v1, 8, v1
	v_and_b32_e32 v40, 7, v40
	v_and_b32_e32 v23, 0xfc00, v23
	v_cndmask_b32_e32 v38, v38, v40, vcc
	v_and_or_b32 v1, v1, s26, v23
	v_lshl_or_b32 v38, v38, 7, v1
.LBB265_262:                            ;   in Loop: Header=BB265_222 Depth=1
	s_or_b64 exec, exec, s[16:17]
.LBB265_263:                            ;   in Loop: Header=BB265_222 Depth=1
	s_or_b64 exec, exec, s[12:13]
.LBB265_264:                            ;   in Loop: Header=BB265_222 Depth=1
	s_or_b64 exec, exec, s[0:1]
	v_cmp_lt_u64_e32 vcc, s[4:5], v[9:10]
	v_mov_b32_e32 v40, 0
	s_and_saveexec_b64 s[0:1], vcc
	s_cbranch_execz .LBB265_270
; %bb.265:                              ;   in Loop: Header=BB265_222 Depth=1
	v_lshrrev_b32_e32 v1, 24, v10
	v_cmp_ne_u32_e32 vcc, s24, v1
	v_bfrev_b32_e32 v40, 1
	s_and_saveexec_b64 s[12:13], vcc
	s_cbranch_execz .LBB265_269
; %bb.266:                              ;   in Loop: Header=BB265_222 Depth=1
	v_and_b32_e32 v9, 0x7f, v1
	v_cmp_ne_u32_e32 vcc, s25, v9
	v_mov_b32_e32 v40, 0x7c010000
	s_and_saveexec_b64 s[16:17], vcc
	s_cbranch_execz .LBB265_268
; %bb.267:                              ;   in Loop: Header=BB265_222 Depth=1
	v_and_b32_e32 v10, 7, v1
	v_ffbh_u32_e32 v40, v10
	v_min_u32_e32 v42, 32, v40
	v_subrev_u32_e32 v40, 28, v42
	v_lshlrev_b64 v[40:41], v40, v[1:2]
	v_lshrrev_b32_e32 v23, 3, v9
	v_sub_u32_e32 v41, 29, v42
	v_cmp_gt_u32_e32 vcc, 8, v9
	v_cndmask_b32_e32 v9, v23, v41, vcc
	v_lshlrev_b32_e32 v1, 8, v1
	v_lshl_add_u32 v9, v9, 10, v12
	v_and_b32_e32 v23, 7, v40
	v_and_or_b32 v1, v1, s26, v9
	v_cndmask_b32_e32 v10, v10, v23, vcc
	v_lshlrev_b32_e32 v1, 16, v1
	v_lshl_or_b32 v40, v10, 23, v1
.LBB265_268:                            ;   in Loop: Header=BB265_222 Depth=1
	s_or_b64 exec, exec, s[16:17]
.LBB265_269:                            ;   in Loop: Header=BB265_222 Depth=1
	s_or_b64 exec, exec, s[12:13]
.LBB265_270:                            ;   in Loop: Header=BB265_222 Depth=1
	s_or_b64 exec, exec, s[0:1]
	s_waitcnt vmcnt(0)
	v_fma_mixlo_f16 v9, v24, v29, 0 op_sel:[0,1,0] op_sel_hi:[0,1,0]
	v_lshlrev_b32_e32 v41, 16, v9
	v_or_b32_e32 v9, v26, v25
	v_fma_mixlo_f16 v10, v24, v26, 0 op_sel:[0,1,0] op_sel_hi:[0,1,0]
	v_fma_mixlo_f16 v25, v24, v39, 0 op_sel:[0,1,0] op_sel_hi:[0,1,0]
	v_or_b32_e32 v1, v29, v27
	v_lshlrev_b32_e32 v43, 16, v10
	v_or_b32_e32 v10, v39, v28
	v_lshlrev_b32_e32 v39, 16, v25
	v_or_b32_e32 v25, v40, v38
	v_fma_mixlo_f16 v1, v24, v1, 0 op_sel_hi:[0,1,0]
	v_fma_mixlo_f16 v9, v24, v9, 0 op_sel_hi:[0,1,0]
	v_fma_mixlo_f16 v10, v24, v10, 0 op_sel_hi:[0,1,0]
	v_fma_mixlo_f16 v25, v24, v25, 0 op_sel_hi:[0,1,0]
	v_fma_mixlo_f16 v24, v24, v40, 0 op_sel:[0,1,0] op_sel_hi:[0,1,0]
	v_and_b32_e32 v42, 0xffff, v1
	v_and_b32_e32 v46, 0xffff, v9
	;; [unrolled: 1-line block ×3, first 2 shown]
	v_lshlrev_b32_e32 v40, 16, v24
	v_and_b32_e32 v45, 0xffff, v25
	v_add_u32_e32 v23, -7, v21
	v_cmp_eq_u32_e32 vcc, s28, v11
	v_or_b32_e32 v1, v41, v42
	v_or_b32_e32 v9, v43, v46
	v_or_b32_e32 v10, v39, v44
	v_or_b32_e32 v38, v40, v45
	v_add_u32_e32 v29, -6, v21
	v_add_u32_e32 v28, -5, v21
	;; [unrolled: 1-line block ×6, first 2 shown]
	s_and_saveexec_b64 s[12:13], vcc
	s_cbranch_execz .LBB265_272
; %bb.271:                              ;   in Loop: Header=BB265_222 Depth=1
	v_cmp_gt_i32_e64 s[0:1], s30, v23
	v_cndmask_b32_e64 v1, 0, v46, s[0:1]
	v_cmp_gt_i32_e64 s[0:1], s30, v29
	v_cndmask_b32_e64 v9, 0, v43, s[0:1]
	v_cmp_gt_i32_e64 s[0:1], s30, v28
	v_or_b32_e32 v9, v9, v1
	v_cndmask_b32_e64 v1, 0, v42, s[0:1]
	v_cmp_gt_i32_e64 s[0:1], s30, v27
	v_cndmask_b32_e64 v10, 0, v41, s[0:1]
	v_cmp_gt_i32_e64 s[0:1], s30, v26
	v_or_b32_e32 v1, v10, v1
	;; [unrolled: 5-line block ×3, first 2 shown]
	v_cndmask_b32_e64 v38, 0, v45, s[0:1]
	v_cmp_gt_i32_e64 s[0:1], s30, v21
	v_cndmask_b32_e64 v39, 0, v40, s[0:1]
	v_or_b32_e32 v38, v39, v38
.LBB265_272:                            ;   in Loop: Header=BB265_222 Depth=1
	s_or_b64 exec, exec, s[12:13]
	v_and_b32_e32 v30, 0xffff, v30
	v_lshl_or_b32 v30, v31, 16, v30
	v_and_b32_e32 v31, 0xffff, v32
	v_lshl_or_b32 v31, v33, 16, v31
	v_and_b32_e32 v32, 0xffff, v34
	v_and_b32_e32 v33, 0xffff, v36
	;;#ASMSTART
	v_pk_mul_f16 v9, v30, v9;

	;;#ASMEND
	;;#ASMSTART
	v_pk_mul_f16 v1, v31, v1;

	;;#ASMEND
	v_lshl_or_b32 v32, v35, 16, v32
	v_lshl_or_b32 v33, v37, 16, v33
	;;#ASMSTART
	v_pk_mul_f16 v10, v32, v10;

	;;#ASMEND
	;;#ASMSTART
	v_pk_mul_f16 v34, v33, v38;

	;;#ASMEND
	;;#ASMSTART
	v_pk_add_f16 v1, v9, v1;

	;;#ASMEND
	;;#ASMSTART
	v_pk_add_f16 v1, v1, v10;
	;; [unrolled: 4-line block ×3, first 2 shown]

	;;#ASMEND
	v_lshrrev_b32_e32 v9, 16, v1
	v_and_b32_e32 v1, 0xffff, v1
	;;#ASMSTART
	v_cvt_f32_f16 v34, v1;
	;;#ASMEND
	;;#ASMSTART
	v_cvt_f32_f16 v35, v9;
	;;#ASMEND
	global_load_dwordx2 v[9:10], v[7:8], off offset:512
	v_mov_b32_e32 v37, 0
	global_load_dword v36, v37, s[14:15]
	v_mov_b32_e32 v38, 0
	s_waitcnt vmcnt(1)
	v_cmp_ne_u16_sdwa s[0:1], v9, v2 src0_sel:BYTE_0 src1_sel:DWORD
	s_and_saveexec_b64 s[12:13], s[0:1]
	s_cbranch_execz .LBB265_278
; %bb.273:                              ;   in Loop: Header=BB265_222 Depth=1
	v_cmp_ne_u16_sdwa s[0:1], v9, s24 src0_sel:BYTE_0 src1_sel:DWORD
	v_mov_b32_e32 v38, 0x8000
	s_and_saveexec_b64 s[16:17], s[0:1]
	s_cbranch_execz .LBB265_277
; %bb.274:                              ;   in Loop: Header=BB265_222 Depth=1
	v_and_b32_e32 v1, 0x7f, v9
	v_cmp_ne_u32_e64 s[0:1], s25, v1
	v_mov_b32_e32 v38, 0x7c01
	s_and_saveexec_b64 s[18:19], s[0:1]
	s_cbranch_execz .LBB265_276
; %bb.275:                              ;   in Loop: Header=BB265_222 Depth=1
	v_and_b32_e32 v40, 7, v9
	v_ffbh_u32_e32 v38, v40
	v_min_u32_e32 v42, 32, v38
	v_subrev_u32_e32 v38, 28, v42
	v_lshlrev_b64 v[38:39], v38, v[9:10]
	v_lshrrev_b32_e32 v41, 3, v1
	v_sub_u32_e32 v39, 29, v42
	v_cmp_gt_u32_e64 s[0:1], 8, v1
	v_cndmask_b32_e64 v1, v41, v39, s[0:1]
	v_lshl_add_u32 v1, v1, 10, v12
	v_lshlrev_b32_e32 v39, 8, v9
	v_and_b32_e32 v38, 7, v38
	v_and_b32_e32 v1, 0xfc00, v1
	v_cndmask_b32_e64 v38, v40, v38, s[0:1]
	v_and_or_b32 v1, v39, s26, v1
	v_lshl_or_b32 v38, v38, 7, v1
.LBB265_276:                            ;   in Loop: Header=BB265_222 Depth=1
	s_or_b64 exec, exec, s[18:19]
.LBB265_277:                            ;   in Loop: Header=BB265_222 Depth=1
	s_or_b64 exec, exec, s[16:17]
.LBB265_278:                            ;   in Loop: Header=BB265_222 Depth=1
	s_or_b64 exec, exec, s[12:13]
	v_lshrrev_b16_e32 v1, 8, v9
	v_cmp_ne_u16_e64 s[0:1], 0, v1
	s_and_saveexec_b64 s[12:13], s[0:1]
	s_cbranch_execz .LBB265_284
; %bb.279:                              ;   in Loop: Header=BB265_222 Depth=1
	v_cmp_ne_u16_e64 s[0:1], s24, v1
	v_bfrev_b32_e32 v37, 1
	s_and_saveexec_b64 s[16:17], s[0:1]
	s_cbranch_execz .LBB265_283
; %bb.280:                              ;   in Loop: Header=BB265_222 Depth=1
	v_and_b32_e32 v39, 0x7f, v1
	v_cmp_ne_u32_e64 s[0:1], s25, v39
	v_mov_b32_e32 v37, 0x7c010000
	s_and_saveexec_b64 s[18:19], s[0:1]
	s_cbranch_execz .LBB265_282
; %bb.281:                              ;   in Loop: Header=BB265_222 Depth=1
	v_and_b32_e32 v37, 7, v1
	v_ffbh_u32_e32 v40, v37
	v_min_u32_e32 v43, 32, v40
	v_subrev_u32_e32 v40, 28, v43
	v_lshlrev_b64 v[40:41], v40, v[1:2]
	v_lshrrev_b32_e32 v42, 3, v39
	v_sub_u32_e32 v41, 29, v43
	v_cmp_gt_u32_e64 s[0:1], 8, v39
	v_cndmask_b32_e64 v39, v42, v41, s[0:1]
	v_lshlrev_b32_e32 v1, 8, v1
	v_lshl_add_u32 v39, v39, 10, v12
	v_and_b32_e32 v40, 7, v40
	v_and_or_b32 v1, v1, s26, v39
	v_cndmask_b32_e64 v37, v37, v40, s[0:1]
	v_lshlrev_b32_e32 v1, 16, v1
	v_lshl_or_b32 v37, v37, 23, v1
.LBB265_282:                            ;   in Loop: Header=BB265_222 Depth=1
	s_or_b64 exec, exec, s[18:19]
.LBB265_283:                            ;   in Loop: Header=BB265_222 Depth=1
	s_or_b64 exec, exec, s[16:17]
.LBB265_284:                            ;   in Loop: Header=BB265_222 Depth=1
	s_or_b64 exec, exec, s[12:13]
	v_lshrrev_b32_e32 v1, 16, v9
	v_cmp_ne_u16_sdwa s[0:1], v1, v2 src0_sel:BYTE_0 src1_sel:DWORD
	v_mov_b32_e32 v39, 0
	v_mov_b32_e32 v40, 0
	s_and_saveexec_b64 s[12:13], s[0:1]
	s_cbranch_execz .LBB265_290
; %bb.285:                              ;   in Loop: Header=BB265_222 Depth=1
	v_cmp_ne_u16_sdwa s[0:1], v1, s24 src0_sel:BYTE_0 src1_sel:DWORD
	v_mov_b32_e32 v40, 0x8000
	s_and_saveexec_b64 s[16:17], s[0:1]
	s_cbranch_execz .LBB265_289
; %bb.286:                              ;   in Loop: Header=BB265_222 Depth=1
	v_bfe_u32 v41, v9, 16, 7
	v_cmp_ne_u32_e64 s[0:1], s25, v41
	v_mov_b32_e32 v40, 0x7c01
	s_and_saveexec_b64 s[18:19], s[0:1]
	s_cbranch_execz .LBB265_288
; %bb.287:                              ;   in Loop: Header=BB265_222 Depth=1
	v_and_b32_e32 v40, 7, v1
	v_ffbh_u32_e32 v42, v40
	v_min_u32_e32 v45, 32, v42
	v_subrev_u32_e32 v42, 28, v45
	v_lshlrev_b64 v[42:43], v42, v[1:2]
	v_lshrrev_b32_e32 v44, 3, v41
	v_sub_u32_e32 v43, 29, v45
	v_cmp_gt_u32_e64 s[0:1], 8, v41
	v_cndmask_b32_e64 v41, v44, v43, s[0:1]
	v_lshl_add_u32 v41, v41, 10, v12
	v_lshlrev_b32_e32 v1, 8, v1
	v_and_b32_e32 v42, 7, v42
	v_and_b32_e32 v41, 0xfc00, v41
	v_cndmask_b32_e64 v40, v40, v42, s[0:1]
	v_and_or_b32 v1, v1, s26, v41
	v_lshl_or_b32 v40, v40, 7, v1
.LBB265_288:                            ;   in Loop: Header=BB265_222 Depth=1
	s_or_b64 exec, exec, s[18:19]
.LBB265_289:                            ;   in Loop: Header=BB265_222 Depth=1
	s_or_b64 exec, exec, s[16:17]
.LBB265_290:                            ;   in Loop: Header=BB265_222 Depth=1
	s_or_b64 exec, exec, s[12:13]
	v_cmp_lt_u32_e64 s[0:1], s5, v9
	s_and_saveexec_b64 s[12:13], s[0:1]
	s_cbranch_execz .LBB265_296
; %bb.291:                              ;   in Loop: Header=BB265_222 Depth=1
	v_lshrrev_b32_e32 v1, 24, v9
	v_cmp_ne_u32_e64 s[0:1], s24, v1
	v_bfrev_b32_e32 v39, 1
	s_and_saveexec_b64 s[16:17], s[0:1]
	s_cbranch_execz .LBB265_295
; %bb.292:                              ;   in Loop: Header=BB265_222 Depth=1
	v_and_b32_e32 v41, 0x7f, v1
	v_cmp_ne_u32_e64 s[0:1], s25, v41
	v_mov_b32_e32 v39, 0x7c010000
	s_and_saveexec_b64 s[18:19], s[0:1]
	s_cbranch_execz .LBB265_294
; %bb.293:                              ;   in Loop: Header=BB265_222 Depth=1
	v_and_b32_e32 v39, 7, v1
	v_ffbh_u32_e32 v42, v39
	v_min_u32_e32 v45, 32, v42
	v_subrev_u32_e32 v42, 28, v45
	v_lshlrev_b64 v[42:43], v42, v[1:2]
	v_lshrrev_b32_e32 v44, 3, v41
	v_sub_u32_e32 v43, 29, v45
	v_cmp_gt_u32_e64 s[0:1], 8, v41
	v_cndmask_b32_e64 v41, v44, v43, s[0:1]
	v_lshlrev_b32_e32 v1, 8, v1
	v_lshl_add_u32 v41, v41, 10, v12
	v_and_b32_e32 v42, 7, v42
	v_and_or_b32 v1, v1, s26, v41
	v_cndmask_b32_e64 v39, v39, v42, s[0:1]
	v_lshlrev_b32_e32 v1, 16, v1
	v_lshl_or_b32 v39, v39, 23, v1
.LBB265_294:                            ;   in Loop: Header=BB265_222 Depth=1
	s_or_b64 exec, exec, s[18:19]
.LBB265_295:                            ;   in Loop: Header=BB265_222 Depth=1
	s_or_b64 exec, exec, s[16:17]
.LBB265_296:                            ;   in Loop: Header=BB265_222 Depth=1
	s_or_b64 exec, exec, s[12:13]
	v_mov_b32_e32 v1, v10
	v_cmp_ne_u16_sdwa s[0:1], v10, v2 src0_sel:BYTE_0 src1_sel:DWORD
	v_mov_b32_e32 v41, 0
	v_mov_b32_e32 v42, 0
	s_and_saveexec_b64 s[12:13], s[0:1]
	s_cbranch_execz .LBB265_302
; %bb.297:                              ;   in Loop: Header=BB265_222 Depth=1
	v_cmp_ne_u16_sdwa s[0:1], v10, s24 src0_sel:BYTE_0 src1_sel:DWORD
	v_mov_b32_e32 v42, 0x8000
	s_and_saveexec_b64 s[16:17], s[0:1]
	s_cbranch_execz .LBB265_301
; %bb.298:                              ;   in Loop: Header=BB265_222 Depth=1
	v_and_b32_e32 v43, 0x7f, v10
	v_cmp_ne_u32_e64 s[0:1], s25, v43
	v_mov_b32_e32 v42, 0x7c01
	s_and_saveexec_b64 s[18:19], s[0:1]
	s_cbranch_execz .LBB265_300
; %bb.299:                              ;   in Loop: Header=BB265_222 Depth=1
	v_and_b32_e32 v42, 7, v10
	v_ffbh_u32_e32 v44, v42
	v_min_u32_e32 v47, 32, v44
	v_subrev_u32_e32 v44, 28, v47
	v_lshlrev_b64 v[44:45], v44, v[1:2]
	v_lshrrev_b32_e32 v46, 3, v43
	v_sub_u32_e32 v45, 29, v47
	v_cmp_gt_u32_e64 s[0:1], 8, v43
	v_cndmask_b32_e64 v43, v46, v45, s[0:1]
	v_lshl_add_u32 v43, v43, 10, v12
	v_lshlrev_b32_e32 v45, 8, v10
	v_and_b32_e32 v44, 7, v44
	v_and_b32_e32 v43, 0xfc00, v43
	v_cndmask_b32_e64 v42, v42, v44, s[0:1]
	v_and_or_b32 v43, v45, s26, v43
	v_lshl_or_b32 v42, v42, 7, v43
.LBB265_300:                            ;   in Loop: Header=BB265_222 Depth=1
	s_or_b64 exec, exec, s[18:19]
.LBB265_301:                            ;   in Loop: Header=BB265_222 Depth=1
	s_or_b64 exec, exec, s[16:17]
.LBB265_302:                            ;   in Loop: Header=BB265_222 Depth=1
	s_or_b64 exec, exec, s[12:13]
	v_lshrrev_b16_e32 v1, 8, v1
	v_cmp_ne_u16_e64 s[0:1], 0, v1
	v_mov_b32_e32 v43, 0
	s_and_saveexec_b64 s[12:13], s[0:1]
	s_cbranch_execz .LBB265_308
; %bb.303:                              ;   in Loop: Header=BB265_222 Depth=1
	v_cmp_ne_u16_e64 s[0:1], s24, v1
	v_bfrev_b32_e32 v43, 1
	s_and_saveexec_b64 s[16:17], s[0:1]
	s_cbranch_execz .LBB265_307
; %bb.304:                              ;   in Loop: Header=BB265_222 Depth=1
	v_and_b32_e32 v44, 0x7f, v1
	v_cmp_ne_u32_e64 s[0:1], s25, v44
	v_mov_b32_e32 v43, 0x7c010000
	s_and_saveexec_b64 s[18:19], s[0:1]
	s_cbranch_execz .LBB265_306
; %bb.305:                              ;   in Loop: Header=BB265_222 Depth=1
	v_and_b32_e32 v43, 7, v1
	v_ffbh_u32_e32 v45, v43
	v_min_u32_e32 v48, 32, v45
	v_subrev_u32_e32 v45, 28, v48
	v_lshlrev_b64 v[45:46], v45, v[1:2]
	v_lshrrev_b32_e32 v47, 3, v44
	v_sub_u32_e32 v46, 29, v48
	v_cmp_gt_u32_e64 s[0:1], 8, v44
	v_cndmask_b32_e64 v44, v47, v46, s[0:1]
	v_lshlrev_b32_e32 v1, 8, v1
	v_lshl_add_u32 v44, v44, 10, v12
	v_and_b32_e32 v45, 7, v45
	v_and_or_b32 v1, v1, s26, v44
	v_cndmask_b32_e64 v43, v43, v45, s[0:1]
	v_lshlrev_b32_e32 v1, 16, v1
	v_lshl_or_b32 v43, v43, 23, v1
.LBB265_306:                            ;   in Loop: Header=BB265_222 Depth=1
	s_or_b64 exec, exec, s[18:19]
.LBB265_307:                            ;   in Loop: Header=BB265_222 Depth=1
	s_or_b64 exec, exec, s[16:17]
.LBB265_308:                            ;   in Loop: Header=BB265_222 Depth=1
	s_or_b64 exec, exec, s[12:13]
	v_lshrrev_b32_e32 v1, 16, v10
	v_cmp_ne_u16_sdwa s[0:1], v1, v2 src0_sel:BYTE_0 src1_sel:DWORD
	s_and_saveexec_b64 s[12:13], s[0:1]
	s_cbranch_execz .LBB265_314
; %bb.309:                              ;   in Loop: Header=BB265_222 Depth=1
	v_cmp_ne_u16_sdwa s[0:1], v1, s24 src0_sel:BYTE_0 src1_sel:DWORD
	v_mov_b32_e32 v41, 0x8000
	s_and_saveexec_b64 s[16:17], s[0:1]
	s_cbranch_execz .LBB265_313
; %bb.310:                              ;   in Loop: Header=BB265_222 Depth=1
	v_bfe_u32 v44, v10, 16, 7
	v_cmp_ne_u32_e64 s[0:1], s25, v44
	v_mov_b32_e32 v41, 0x7c01
	s_and_saveexec_b64 s[18:19], s[0:1]
	s_cbranch_execz .LBB265_312
; %bb.311:                              ;   in Loop: Header=BB265_222 Depth=1
	v_and_b32_e32 v41, 7, v1
	v_ffbh_u32_e32 v45, v41
	v_min_u32_e32 v48, 32, v45
	v_subrev_u32_e32 v45, 28, v48
	v_lshlrev_b64 v[45:46], v45, v[1:2]
	v_lshrrev_b32_e32 v47, 3, v44
	v_sub_u32_e32 v46, 29, v48
	v_cmp_gt_u32_e64 s[0:1], 8, v44
	v_cndmask_b32_e64 v44, v47, v46, s[0:1]
	v_lshl_add_u32 v44, v44, 10, v12
	v_lshlrev_b32_e32 v1, 8, v1
	v_and_b32_e32 v45, 7, v45
	v_and_b32_e32 v44, 0xfc00, v44
	v_cndmask_b32_e64 v41, v41, v45, s[0:1]
	v_and_or_b32 v1, v1, s26, v44
	v_lshl_or_b32 v41, v41, 7, v1
.LBB265_312:                            ;   in Loop: Header=BB265_222 Depth=1
	s_or_b64 exec, exec, s[18:19]
.LBB265_313:                            ;   in Loop: Header=BB265_222 Depth=1
	s_or_b64 exec, exec, s[16:17]
.LBB265_314:                            ;   in Loop: Header=BB265_222 Depth=1
	s_or_b64 exec, exec, s[12:13]
	v_cmp_lt_u64_e64 s[0:1], s[4:5], v[9:10]
	v_mov_b32_e32 v9, 0
	s_and_saveexec_b64 s[12:13], s[0:1]
	s_cbranch_execz .LBB265_320
; %bb.315:                              ;   in Loop: Header=BB265_222 Depth=1
	v_lshrrev_b32_e32 v1, 24, v10
	v_cmp_ne_u32_e64 s[0:1], s24, v1
	v_bfrev_b32_e32 v9, 1
	s_and_saveexec_b64 s[16:17], s[0:1]
	s_cbranch_execz .LBB265_319
; %bb.316:                              ;   in Loop: Header=BB265_222 Depth=1
	v_and_b32_e32 v10, 0x7f, v1
	v_cmp_ne_u32_e64 s[0:1], s25, v10
	v_mov_b32_e32 v9, 0x7c010000
	s_and_saveexec_b64 s[18:19], s[0:1]
	s_cbranch_execz .LBB265_318
; %bb.317:                              ;   in Loop: Header=BB265_222 Depth=1
	v_and_b32_e32 v9, 7, v1
	v_ffbh_u32_e32 v44, v9
	v_min_u32_e32 v47, 32, v44
	v_subrev_u32_e32 v44, 28, v47
	v_lshlrev_b64 v[44:45], v44, v[1:2]
	v_lshrrev_b32_e32 v46, 3, v10
	v_sub_u32_e32 v45, 29, v47
	v_cmp_gt_u32_e64 s[0:1], 8, v10
	v_cndmask_b32_e64 v10, v46, v45, s[0:1]
	v_lshlrev_b32_e32 v1, 8, v1
	v_lshl_add_u32 v10, v10, 10, v12
	v_and_b32_e32 v44, 7, v44
	v_and_or_b32 v1, v1, s26, v10
	v_cndmask_b32_e64 v9, v9, v44, s[0:1]
	v_lshlrev_b32_e32 v1, 16, v1
	v_lshl_or_b32 v9, v9, 23, v1
.LBB265_318:                            ;   in Loop: Header=BB265_222 Depth=1
	s_or_b64 exec, exec, s[18:19]
.LBB265_319:                            ;   in Loop: Header=BB265_222 Depth=1
	s_or_b64 exec, exec, s[16:17]
.LBB265_320:                            ;   in Loop: Header=BB265_222 Depth=1
	s_or_b64 exec, exec, s[12:13]
	s_waitcnt vmcnt(0)
	v_fma_mixlo_f16 v10, v36, v39, 0 op_sel:[0,1,0] op_sel_hi:[0,1,0]
	v_or_b32_e32 v1, v39, v40
	v_lshlrev_b32_e32 v39, 16, v10
	v_or_b32_e32 v10, v37, v38
	v_fma_mixlo_f16 v37, v36, v37, 0 op_sel:[0,1,0] op_sel_hi:[0,1,0]
	v_lshlrev_b32_e32 v44, 16, v37
	v_or_b32_e32 v37, v43, v42
	v_or_b32_e32 v41, v9, v41
	v_fma_mixlo_f16 v1, v36, v1, 0 op_sel_hi:[0,1,0]
	v_fma_mixlo_f16 v10, v36, v10, 0 op_sel_hi:[0,1,0]
	v_fma_mixlo_f16 v38, v36, v43, 0 op_sel:[0,1,0] op_sel_hi:[0,1,0]
	v_fma_mixlo_f16 v37, v36, v37, 0 op_sel_hi:[0,1,0]
	v_fma_mixlo_f16 v41, v36, v41, 0 op_sel_hi:[0,1,0]
	v_fma_mixlo_f16 v9, v36, v9, 0 op_sel:[0,1,0] op_sel_hi:[0,1,0]
	v_and_b32_e32 v40, 0xffff, v1
	v_and_b32_e32 v45, 0xffff, v10
	v_lshlrev_b32_e32 v38, 16, v38
	v_and_b32_e32 v42, 0xffff, v37
	v_lshlrev_b32_e32 v9, 16, v9
	v_and_b32_e32 v36, 0xffff, v41
	v_or_b32_e32 v1, v39, v40
	v_or_b32_e32 v10, v44, v45
	;; [unrolled: 1-line block ×4, first 2 shown]
	s_and_saveexec_b64 s[12:13], vcc
	s_cbranch_execz .LBB265_322
; %bb.321:                              ;   in Loop: Header=BB265_222 Depth=1
	v_cmp_gt_i32_e64 s[0:1], s30, v23
	v_cndmask_b32_e64 v1, 0, v45, s[0:1]
	v_cmp_gt_i32_e64 s[0:1], s30, v29
	v_cndmask_b32_e64 v10, 0, v44, s[0:1]
	v_cmp_gt_i32_e64 s[0:1], s30, v28
	v_or_b32_e32 v10, v10, v1
	v_cndmask_b32_e64 v1, 0, v40, s[0:1]
	v_cmp_gt_i32_e64 s[0:1], s30, v27
	v_cndmask_b32_e64 v37, 0, v39, s[0:1]
	v_cmp_gt_i32_e64 s[0:1], s30, v26
	v_or_b32_e32 v1, v37, v1
	v_cndmask_b32_e64 v37, 0, v42, s[0:1]
	v_cmp_gt_i32_e64 s[0:1], s30, v25
	v_cndmask_b32_e64 v38, 0, v38, s[0:1]
	v_cmp_gt_i32_e64 s[0:1], s30, v24
	;; [unrolled: 2-line block ×3, first 2 shown]
	v_cndmask_b32_e64 v9, 0, v9, s[0:1]
	v_or_b32_e32 v37, v38, v37
	v_or_b32_e32 v41, v9, v36
.LBB265_322:                            ;   in Loop: Header=BB265_222 Depth=1
	s_or_b64 exec, exec, s[12:13]
	;;#ASMSTART
	v_pk_mul_f16 v9, v30, v10;

	;;#ASMEND
	;;#ASMSTART
	v_pk_mul_f16 v1, v31, v1;

	;;#ASMEND
	;; [unrolled: 4-line block ×4, first 2 shown]
	;;#ASMSTART
	v_pk_add_f16 v1, v9, v1;

	;;#ASMEND
	;;#ASMSTART
	v_pk_add_f16 v1, v1, v10;

	;;#ASMEND
	;; [unrolled: 4-line block ×3, first 2 shown]
	v_lshrrev_b32_e32 v9, 16, v1
	v_and_b32_e32 v1, 0xffff, v1
	;;#ASMSTART
	v_cvt_f32_f16 v36, v1;
	;;#ASMEND
	;;#ASMSTART
	v_cvt_f32_f16 v37, v9;
	;;#ASMEND
	global_load_dwordx2 v[9:10], v[7:8], off offset:1024
	v_mov_b32_e32 v39, 0
	global_load_dword v38, v39, s[14:15]
	v_mov_b32_e32 v40, 0
	s_waitcnt vmcnt(1)
	v_cmp_ne_u16_sdwa s[0:1], v9, v2 src0_sel:BYTE_0 src1_sel:DWORD
	s_and_saveexec_b64 s[12:13], s[0:1]
	s_cbranch_execz .LBB265_328
; %bb.323:                              ;   in Loop: Header=BB265_222 Depth=1
	v_cmp_ne_u16_sdwa s[0:1], v9, s24 src0_sel:BYTE_0 src1_sel:DWORD
	v_mov_b32_e32 v40, 0x8000
	s_and_saveexec_b64 s[16:17], s[0:1]
	s_cbranch_execz .LBB265_327
; %bb.324:                              ;   in Loop: Header=BB265_222 Depth=1
	v_and_b32_e32 v1, 0x7f, v9
	v_cmp_ne_u32_e64 s[0:1], s25, v1
	v_mov_b32_e32 v40, 0x7c01
	s_and_saveexec_b64 s[18:19], s[0:1]
	s_cbranch_execz .LBB265_326
; %bb.325:                              ;   in Loop: Header=BB265_222 Depth=1
	v_and_b32_e32 v42, 7, v9
	v_ffbh_u32_e32 v40, v42
	v_min_u32_e32 v44, 32, v40
	v_subrev_u32_e32 v40, 28, v44
	v_lshlrev_b64 v[40:41], v40, v[9:10]
	v_lshrrev_b32_e32 v43, 3, v1
	v_sub_u32_e32 v41, 29, v44
	v_cmp_gt_u32_e64 s[0:1], 8, v1
	v_cndmask_b32_e64 v1, v43, v41, s[0:1]
	v_lshl_add_u32 v1, v1, 10, v12
	v_lshlrev_b32_e32 v41, 8, v9
	v_and_b32_e32 v40, 7, v40
	v_and_b32_e32 v1, 0xfc00, v1
	v_cndmask_b32_e64 v40, v42, v40, s[0:1]
	v_and_or_b32 v1, v41, s26, v1
	v_lshl_or_b32 v40, v40, 7, v1
.LBB265_326:                            ;   in Loop: Header=BB265_222 Depth=1
	s_or_b64 exec, exec, s[18:19]
.LBB265_327:                            ;   in Loop: Header=BB265_222 Depth=1
	s_or_b64 exec, exec, s[16:17]
.LBB265_328:                            ;   in Loop: Header=BB265_222 Depth=1
	s_or_b64 exec, exec, s[12:13]
	v_lshrrev_b16_e32 v1, 8, v9
	v_cmp_ne_u16_e64 s[0:1], 0, v1
	s_and_saveexec_b64 s[12:13], s[0:1]
	s_cbranch_execz .LBB265_334
; %bb.329:                              ;   in Loop: Header=BB265_222 Depth=1
	v_cmp_ne_u16_e64 s[0:1], s24, v1
	v_bfrev_b32_e32 v39, 1
	s_and_saveexec_b64 s[16:17], s[0:1]
	s_cbranch_execz .LBB265_333
; %bb.330:                              ;   in Loop: Header=BB265_222 Depth=1
	v_and_b32_e32 v41, 0x7f, v1
	v_cmp_ne_u32_e64 s[0:1], s25, v41
	v_mov_b32_e32 v39, 0x7c010000
	s_and_saveexec_b64 s[18:19], s[0:1]
	s_cbranch_execz .LBB265_332
; %bb.331:                              ;   in Loop: Header=BB265_222 Depth=1
	v_and_b32_e32 v39, 7, v1
	v_ffbh_u32_e32 v42, v39
	v_min_u32_e32 v45, 32, v42
	v_subrev_u32_e32 v42, 28, v45
	v_lshlrev_b64 v[42:43], v42, v[1:2]
	v_lshrrev_b32_e32 v44, 3, v41
	v_sub_u32_e32 v43, 29, v45
	v_cmp_gt_u32_e64 s[0:1], 8, v41
	v_cndmask_b32_e64 v41, v44, v43, s[0:1]
	v_lshlrev_b32_e32 v1, 8, v1
	v_lshl_add_u32 v41, v41, 10, v12
	v_and_b32_e32 v42, 7, v42
	v_and_or_b32 v1, v1, s26, v41
	v_cndmask_b32_e64 v39, v39, v42, s[0:1]
	v_lshlrev_b32_e32 v1, 16, v1
	v_lshl_or_b32 v39, v39, 23, v1
.LBB265_332:                            ;   in Loop: Header=BB265_222 Depth=1
	s_or_b64 exec, exec, s[18:19]
.LBB265_333:                            ;   in Loop: Header=BB265_222 Depth=1
	s_or_b64 exec, exec, s[16:17]
.LBB265_334:                            ;   in Loop: Header=BB265_222 Depth=1
	s_or_b64 exec, exec, s[12:13]
	v_lshrrev_b32_e32 v1, 16, v9
	v_cmp_ne_u16_sdwa s[0:1], v1, v2 src0_sel:BYTE_0 src1_sel:DWORD
	v_mov_b32_e32 v41, 0
	v_mov_b32_e32 v42, 0
	s_and_saveexec_b64 s[12:13], s[0:1]
	s_cbranch_execz .LBB265_340
; %bb.335:                              ;   in Loop: Header=BB265_222 Depth=1
	v_cmp_ne_u16_sdwa s[0:1], v1, s24 src0_sel:BYTE_0 src1_sel:DWORD
	v_mov_b32_e32 v42, 0x8000
	s_and_saveexec_b64 s[16:17], s[0:1]
	s_cbranch_execz .LBB265_339
; %bb.336:                              ;   in Loop: Header=BB265_222 Depth=1
	v_bfe_u32 v43, v9, 16, 7
	v_cmp_ne_u32_e64 s[0:1], s25, v43
	v_mov_b32_e32 v42, 0x7c01
	s_and_saveexec_b64 s[18:19], s[0:1]
	s_cbranch_execz .LBB265_338
; %bb.337:                              ;   in Loop: Header=BB265_222 Depth=1
	v_and_b32_e32 v42, 7, v1
	v_ffbh_u32_e32 v44, v42
	v_min_u32_e32 v47, 32, v44
	v_subrev_u32_e32 v44, 28, v47
	v_lshlrev_b64 v[44:45], v44, v[1:2]
	v_lshrrev_b32_e32 v46, 3, v43
	v_sub_u32_e32 v45, 29, v47
	v_cmp_gt_u32_e64 s[0:1], 8, v43
	v_cndmask_b32_e64 v43, v46, v45, s[0:1]
	v_lshl_add_u32 v43, v43, 10, v12
	v_lshlrev_b32_e32 v1, 8, v1
	v_and_b32_e32 v44, 7, v44
	v_and_b32_e32 v43, 0xfc00, v43
	v_cndmask_b32_e64 v42, v42, v44, s[0:1]
	v_and_or_b32 v1, v1, s26, v43
	v_lshl_or_b32 v42, v42, 7, v1
.LBB265_338:                            ;   in Loop: Header=BB265_222 Depth=1
	s_or_b64 exec, exec, s[18:19]
.LBB265_339:                            ;   in Loop: Header=BB265_222 Depth=1
	s_or_b64 exec, exec, s[16:17]
.LBB265_340:                            ;   in Loop: Header=BB265_222 Depth=1
	s_or_b64 exec, exec, s[12:13]
	v_cmp_lt_u32_e64 s[0:1], s5, v9
	s_and_saveexec_b64 s[12:13], s[0:1]
	s_cbranch_execz .LBB265_346
; %bb.341:                              ;   in Loop: Header=BB265_222 Depth=1
	v_lshrrev_b32_e32 v1, 24, v9
	v_cmp_ne_u32_e64 s[0:1], s24, v1
	v_bfrev_b32_e32 v41, 1
	s_and_saveexec_b64 s[16:17], s[0:1]
	s_cbranch_execz .LBB265_345
; %bb.342:                              ;   in Loop: Header=BB265_222 Depth=1
	v_and_b32_e32 v43, 0x7f, v1
	v_cmp_ne_u32_e64 s[0:1], s25, v43
	v_mov_b32_e32 v41, 0x7c010000
	s_and_saveexec_b64 s[18:19], s[0:1]
	s_cbranch_execz .LBB265_344
; %bb.343:                              ;   in Loop: Header=BB265_222 Depth=1
	v_and_b32_e32 v41, 7, v1
	v_ffbh_u32_e32 v44, v41
	v_min_u32_e32 v47, 32, v44
	v_subrev_u32_e32 v44, 28, v47
	v_lshlrev_b64 v[44:45], v44, v[1:2]
	v_lshrrev_b32_e32 v46, 3, v43
	v_sub_u32_e32 v45, 29, v47
	v_cmp_gt_u32_e64 s[0:1], 8, v43
	v_cndmask_b32_e64 v43, v46, v45, s[0:1]
	v_lshlrev_b32_e32 v1, 8, v1
	v_lshl_add_u32 v43, v43, 10, v12
	v_and_b32_e32 v44, 7, v44
	v_and_or_b32 v1, v1, s26, v43
	v_cndmask_b32_e64 v41, v41, v44, s[0:1]
	v_lshlrev_b32_e32 v1, 16, v1
	v_lshl_or_b32 v41, v41, 23, v1
.LBB265_344:                            ;   in Loop: Header=BB265_222 Depth=1
	s_or_b64 exec, exec, s[18:19]
.LBB265_345:                            ;   in Loop: Header=BB265_222 Depth=1
	s_or_b64 exec, exec, s[16:17]
.LBB265_346:                            ;   in Loop: Header=BB265_222 Depth=1
	s_or_b64 exec, exec, s[12:13]
	v_mov_b32_e32 v1, v10
	v_cmp_ne_u16_sdwa s[0:1], v10, v2 src0_sel:BYTE_0 src1_sel:DWORD
	v_mov_b32_e32 v43, 0
	v_mov_b32_e32 v44, 0
	s_and_saveexec_b64 s[12:13], s[0:1]
	s_cbranch_execz .LBB265_352
; %bb.347:                              ;   in Loop: Header=BB265_222 Depth=1
	v_cmp_ne_u16_sdwa s[0:1], v10, s24 src0_sel:BYTE_0 src1_sel:DWORD
	v_mov_b32_e32 v44, 0x8000
	s_and_saveexec_b64 s[16:17], s[0:1]
	s_cbranch_execz .LBB265_351
; %bb.348:                              ;   in Loop: Header=BB265_222 Depth=1
	v_and_b32_e32 v45, 0x7f, v10
	v_cmp_ne_u32_e64 s[0:1], s25, v45
	v_mov_b32_e32 v44, 0x7c01
	s_and_saveexec_b64 s[18:19], s[0:1]
	s_cbranch_execz .LBB265_350
; %bb.349:                              ;   in Loop: Header=BB265_222 Depth=1
	v_and_b32_e32 v44, 7, v10
	v_ffbh_u32_e32 v46, v44
	v_min_u32_e32 v49, 32, v46
	v_subrev_u32_e32 v46, 28, v49
	v_lshlrev_b64 v[46:47], v46, v[1:2]
	v_lshrrev_b32_e32 v48, 3, v45
	v_sub_u32_e32 v47, 29, v49
	v_cmp_gt_u32_e64 s[0:1], 8, v45
	v_cndmask_b32_e64 v45, v48, v47, s[0:1]
	v_lshl_add_u32 v45, v45, 10, v12
	v_lshlrev_b32_e32 v47, 8, v10
	v_and_b32_e32 v46, 7, v46
	v_and_b32_e32 v45, 0xfc00, v45
	v_cndmask_b32_e64 v44, v44, v46, s[0:1]
	v_and_or_b32 v45, v47, s26, v45
	v_lshl_or_b32 v44, v44, 7, v45
.LBB265_350:                            ;   in Loop: Header=BB265_222 Depth=1
	s_or_b64 exec, exec, s[18:19]
.LBB265_351:                            ;   in Loop: Header=BB265_222 Depth=1
	s_or_b64 exec, exec, s[16:17]
.LBB265_352:                            ;   in Loop: Header=BB265_222 Depth=1
	s_or_b64 exec, exec, s[12:13]
	v_lshrrev_b16_e32 v1, 8, v1
	v_cmp_ne_u16_e64 s[0:1], 0, v1
	v_mov_b32_e32 v45, 0
	s_and_saveexec_b64 s[12:13], s[0:1]
	s_cbranch_execz .LBB265_358
; %bb.353:                              ;   in Loop: Header=BB265_222 Depth=1
	v_cmp_ne_u16_e64 s[0:1], s24, v1
	v_bfrev_b32_e32 v45, 1
	s_and_saveexec_b64 s[16:17], s[0:1]
	s_cbranch_execz .LBB265_357
; %bb.354:                              ;   in Loop: Header=BB265_222 Depth=1
	v_and_b32_e32 v46, 0x7f, v1
	v_cmp_ne_u32_e64 s[0:1], s25, v46
	v_mov_b32_e32 v45, 0x7c010000
	s_and_saveexec_b64 s[18:19], s[0:1]
	s_cbranch_execz .LBB265_356
; %bb.355:                              ;   in Loop: Header=BB265_222 Depth=1
	v_and_b32_e32 v45, 7, v1
	v_ffbh_u32_e32 v47, v45
	v_min_u32_e32 v50, 32, v47
	v_subrev_u32_e32 v47, 28, v50
	v_lshlrev_b64 v[47:48], v47, v[1:2]
	v_lshrrev_b32_e32 v49, 3, v46
	v_sub_u32_e32 v48, 29, v50
	v_cmp_gt_u32_e64 s[0:1], 8, v46
	v_cndmask_b32_e64 v46, v49, v48, s[0:1]
	v_lshlrev_b32_e32 v1, 8, v1
	v_lshl_add_u32 v46, v46, 10, v12
	v_and_b32_e32 v47, 7, v47
	v_and_or_b32 v1, v1, s26, v46
	v_cndmask_b32_e64 v45, v45, v47, s[0:1]
	v_lshlrev_b32_e32 v1, 16, v1
	v_lshl_or_b32 v45, v45, 23, v1
.LBB265_356:                            ;   in Loop: Header=BB265_222 Depth=1
	s_or_b64 exec, exec, s[18:19]
.LBB265_357:                            ;   in Loop: Header=BB265_222 Depth=1
	s_or_b64 exec, exec, s[16:17]
.LBB265_358:                            ;   in Loop: Header=BB265_222 Depth=1
	s_or_b64 exec, exec, s[12:13]
	v_lshrrev_b32_e32 v1, 16, v10
	v_cmp_ne_u16_sdwa s[0:1], v1, v2 src0_sel:BYTE_0 src1_sel:DWORD
	s_and_saveexec_b64 s[12:13], s[0:1]
	s_cbranch_execz .LBB265_364
; %bb.359:                              ;   in Loop: Header=BB265_222 Depth=1
	v_cmp_ne_u16_sdwa s[0:1], v1, s24 src0_sel:BYTE_0 src1_sel:DWORD
	v_mov_b32_e32 v43, 0x8000
	s_and_saveexec_b64 s[16:17], s[0:1]
	s_cbranch_execz .LBB265_363
; %bb.360:                              ;   in Loop: Header=BB265_222 Depth=1
	v_bfe_u32 v46, v10, 16, 7
	v_cmp_ne_u32_e64 s[0:1], s25, v46
	v_mov_b32_e32 v43, 0x7c01
	s_and_saveexec_b64 s[18:19], s[0:1]
	s_cbranch_execz .LBB265_362
; %bb.361:                              ;   in Loop: Header=BB265_222 Depth=1
	v_and_b32_e32 v43, 7, v1
	v_ffbh_u32_e32 v47, v43
	v_min_u32_e32 v50, 32, v47
	v_subrev_u32_e32 v47, 28, v50
	v_lshlrev_b64 v[47:48], v47, v[1:2]
	v_lshrrev_b32_e32 v49, 3, v46
	v_sub_u32_e32 v48, 29, v50
	v_cmp_gt_u32_e64 s[0:1], 8, v46
	v_cndmask_b32_e64 v46, v49, v48, s[0:1]
	v_lshl_add_u32 v46, v46, 10, v12
	v_lshlrev_b32_e32 v1, 8, v1
	v_and_b32_e32 v47, 7, v47
	v_and_b32_e32 v46, 0xfc00, v46
	v_cndmask_b32_e64 v43, v43, v47, s[0:1]
	v_and_or_b32 v1, v1, s26, v46
	v_lshl_or_b32 v43, v43, 7, v1
.LBB265_362:                            ;   in Loop: Header=BB265_222 Depth=1
	s_or_b64 exec, exec, s[18:19]
.LBB265_363:                            ;   in Loop: Header=BB265_222 Depth=1
	s_or_b64 exec, exec, s[16:17]
.LBB265_364:                            ;   in Loop: Header=BB265_222 Depth=1
	s_or_b64 exec, exec, s[12:13]
	v_cmp_lt_u64_e64 s[0:1], s[4:5], v[9:10]
	v_mov_b32_e32 v9, 0
	s_and_saveexec_b64 s[12:13], s[0:1]
	s_cbranch_execz .LBB265_370
; %bb.365:                              ;   in Loop: Header=BB265_222 Depth=1
	v_lshrrev_b32_e32 v1, 24, v10
	v_cmp_ne_u32_e64 s[0:1], s24, v1
	v_bfrev_b32_e32 v9, 1
	s_and_saveexec_b64 s[16:17], s[0:1]
	s_cbranch_execz .LBB265_369
; %bb.366:                              ;   in Loop: Header=BB265_222 Depth=1
	v_and_b32_e32 v10, 0x7f, v1
	v_cmp_ne_u32_e64 s[0:1], s25, v10
	v_mov_b32_e32 v9, 0x7c010000
	s_and_saveexec_b64 s[18:19], s[0:1]
	s_cbranch_execz .LBB265_368
; %bb.367:                              ;   in Loop: Header=BB265_222 Depth=1
	v_and_b32_e32 v9, 7, v1
	v_ffbh_u32_e32 v46, v9
	v_min_u32_e32 v49, 32, v46
	v_subrev_u32_e32 v46, 28, v49
	v_lshlrev_b64 v[46:47], v46, v[1:2]
	v_lshrrev_b32_e32 v48, 3, v10
	v_sub_u32_e32 v47, 29, v49
	v_cmp_gt_u32_e64 s[0:1], 8, v10
	v_cndmask_b32_e64 v10, v48, v47, s[0:1]
	v_lshlrev_b32_e32 v1, 8, v1
	v_lshl_add_u32 v10, v10, 10, v12
	v_and_b32_e32 v46, 7, v46
	v_and_or_b32 v1, v1, s26, v10
	v_cndmask_b32_e64 v9, v9, v46, s[0:1]
	v_lshlrev_b32_e32 v1, 16, v1
	v_lshl_or_b32 v9, v9, 23, v1
.LBB265_368:                            ;   in Loop: Header=BB265_222 Depth=1
	s_or_b64 exec, exec, s[18:19]
.LBB265_369:                            ;   in Loop: Header=BB265_222 Depth=1
	s_or_b64 exec, exec, s[16:17]
.LBB265_370:                            ;   in Loop: Header=BB265_222 Depth=1
	s_or_b64 exec, exec, s[12:13]
	s_waitcnt vmcnt(0)
	v_fma_mixlo_f16 v10, v38, v41, 0 op_sel:[0,1,0] op_sel_hi:[0,1,0]
	v_or_b32_e32 v1, v41, v42
	v_lshlrev_b32_e32 v41, 16, v10
	v_or_b32_e32 v10, v39, v40
	v_fma_mixlo_f16 v39, v38, v39, 0 op_sel:[0,1,0] op_sel_hi:[0,1,0]
	v_lshlrev_b32_e32 v46, 16, v39
	v_or_b32_e32 v39, v45, v44
	v_or_b32_e32 v43, v9, v43
	v_fma_mixlo_f16 v1, v38, v1, 0 op_sel_hi:[0,1,0]
	v_fma_mixlo_f16 v10, v38, v10, 0 op_sel_hi:[0,1,0]
	v_fma_mixlo_f16 v40, v38, v45, 0 op_sel:[0,1,0] op_sel_hi:[0,1,0]
	v_fma_mixlo_f16 v39, v38, v39, 0 op_sel_hi:[0,1,0]
	v_fma_mixlo_f16 v43, v38, v43, 0 op_sel_hi:[0,1,0]
	v_fma_mixlo_f16 v9, v38, v9, 0 op_sel:[0,1,0] op_sel_hi:[0,1,0]
	v_and_b32_e32 v42, 0xffff, v1
	v_and_b32_e32 v47, 0xffff, v10
	v_lshlrev_b32_e32 v40, 16, v40
	v_and_b32_e32 v44, 0xffff, v39
	v_lshlrev_b32_e32 v9, 16, v9
	v_and_b32_e32 v38, 0xffff, v43
	v_or_b32_e32 v1, v41, v42
	v_or_b32_e32 v10, v46, v47
	v_or_b32_e32 v39, v40, v44
	v_or_b32_e32 v43, v9, v38
	s_and_saveexec_b64 s[12:13], vcc
	s_cbranch_execz .LBB265_372
; %bb.371:                              ;   in Loop: Header=BB265_222 Depth=1
	v_cmp_gt_i32_e64 s[0:1], s30, v23
	v_cndmask_b32_e64 v1, 0, v47, s[0:1]
	v_cmp_gt_i32_e64 s[0:1], s30, v29
	v_cndmask_b32_e64 v10, 0, v46, s[0:1]
	v_cmp_gt_i32_e64 s[0:1], s30, v28
	v_or_b32_e32 v10, v10, v1
	v_cndmask_b32_e64 v1, 0, v42, s[0:1]
	v_cmp_gt_i32_e64 s[0:1], s30, v27
	v_cndmask_b32_e64 v39, 0, v41, s[0:1]
	v_cmp_gt_i32_e64 s[0:1], s30, v26
	v_or_b32_e32 v1, v39, v1
	v_cndmask_b32_e64 v39, 0, v44, s[0:1]
	v_cmp_gt_i32_e64 s[0:1], s30, v25
	v_cndmask_b32_e64 v40, 0, v40, s[0:1]
	v_cmp_gt_i32_e64 s[0:1], s30, v24
	;; [unrolled: 2-line block ×3, first 2 shown]
	v_cndmask_b32_e64 v9, 0, v9, s[0:1]
	v_or_b32_e32 v39, v40, v39
	v_or_b32_e32 v43, v9, v38
.LBB265_372:                            ;   in Loop: Header=BB265_222 Depth=1
	s_or_b64 exec, exec, s[12:13]
	;;#ASMSTART
	v_pk_mul_f16 v9, v30, v10;

	;;#ASMEND
	;;#ASMSTART
	v_pk_mul_f16 v1, v31, v1;

	;;#ASMEND
	;;#ASMSTART
	v_pk_mul_f16 v10, v32, v39;

	;;#ASMEND
	;;#ASMSTART
	v_pk_mul_f16 v38, v33, v43;

	;;#ASMEND
	;;#ASMSTART
	v_pk_add_f16 v1, v9, v1;

	;;#ASMEND
	;;#ASMSTART
	v_pk_add_f16 v1, v1, v10;

	;;#ASMEND
	;; [unrolled: 4-line block ×3, first 2 shown]
	v_lshrrev_b32_e32 v10, 16, v1
	v_and_b32_e32 v1, 0xffff, v1
	;;#ASMSTART
	v_cvt_f32_f16 v9, v1;
	;;#ASMEND
	;;#ASMSTART
	v_cvt_f32_f16 v10, v10;
	;;#ASMEND
	global_load_dwordx2 v[7:8], v[7:8], off offset:1536
	v_mov_b32_e32 v39, 0
	global_load_dword v38, v39, s[14:15]
	v_mov_b32_e32 v40, 0
	s_waitcnt vmcnt(1)
	v_cmp_ne_u16_sdwa s[0:1], v7, v2 src0_sel:BYTE_0 src1_sel:DWORD
	s_and_saveexec_b64 s[12:13], s[0:1]
	s_cbranch_execz .LBB265_378
; %bb.373:                              ;   in Loop: Header=BB265_222 Depth=1
	v_cmp_ne_u16_sdwa s[0:1], v7, s24 src0_sel:BYTE_0 src1_sel:DWORD
	v_mov_b32_e32 v40, 0x8000
	s_and_saveexec_b64 s[16:17], s[0:1]
	s_cbranch_execz .LBB265_377
; %bb.374:                              ;   in Loop: Header=BB265_222 Depth=1
	v_and_b32_e32 v1, 0x7f, v7
	v_cmp_ne_u32_e64 s[0:1], s25, v1
	v_mov_b32_e32 v40, 0x7c01
	s_and_saveexec_b64 s[18:19], s[0:1]
	s_cbranch_execz .LBB265_376
; %bb.375:                              ;   in Loop: Header=BB265_222 Depth=1
	v_and_b32_e32 v42, 7, v7
	v_ffbh_u32_e32 v40, v42
	v_min_u32_e32 v44, 32, v40
	v_subrev_u32_e32 v40, 28, v44
	v_lshlrev_b64 v[40:41], v40, v[7:8]
	v_lshrrev_b32_e32 v43, 3, v1
	v_sub_u32_e32 v41, 29, v44
	v_cmp_gt_u32_e64 s[0:1], 8, v1
	v_cndmask_b32_e64 v1, v43, v41, s[0:1]
	v_lshl_add_u32 v1, v1, 10, v12
	v_lshlrev_b32_e32 v41, 8, v7
	v_and_b32_e32 v40, 7, v40
	v_and_b32_e32 v1, 0xfc00, v1
	v_cndmask_b32_e64 v40, v42, v40, s[0:1]
	v_and_or_b32 v1, v41, s26, v1
	v_lshl_or_b32 v40, v40, 7, v1
.LBB265_376:                            ;   in Loop: Header=BB265_222 Depth=1
	s_or_b64 exec, exec, s[18:19]
.LBB265_377:                            ;   in Loop: Header=BB265_222 Depth=1
	s_or_b64 exec, exec, s[16:17]
.LBB265_378:                            ;   in Loop: Header=BB265_222 Depth=1
	s_or_b64 exec, exec, s[12:13]
	v_lshrrev_b16_e32 v1, 8, v7
	v_cmp_ne_u16_e64 s[0:1], 0, v1
	s_and_saveexec_b64 s[12:13], s[0:1]
	s_cbranch_execz .LBB265_384
; %bb.379:                              ;   in Loop: Header=BB265_222 Depth=1
	v_cmp_ne_u16_e64 s[0:1], s24, v1
	v_bfrev_b32_e32 v39, 1
	s_and_saveexec_b64 s[16:17], s[0:1]
	s_cbranch_execz .LBB265_383
; %bb.380:                              ;   in Loop: Header=BB265_222 Depth=1
	v_and_b32_e32 v41, 0x7f, v1
	v_cmp_ne_u32_e64 s[0:1], s25, v41
	v_mov_b32_e32 v39, 0x7c010000
	s_and_saveexec_b64 s[18:19], s[0:1]
	s_cbranch_execz .LBB265_382
; %bb.381:                              ;   in Loop: Header=BB265_222 Depth=1
	v_and_b32_e32 v39, 7, v1
	v_ffbh_u32_e32 v42, v39
	v_min_u32_e32 v45, 32, v42
	v_subrev_u32_e32 v42, 28, v45
	v_lshlrev_b64 v[42:43], v42, v[1:2]
	v_lshrrev_b32_e32 v44, 3, v41
	v_sub_u32_e32 v43, 29, v45
	v_cmp_gt_u32_e64 s[0:1], 8, v41
	v_cndmask_b32_e64 v41, v44, v43, s[0:1]
	v_lshlrev_b32_e32 v1, 8, v1
	v_lshl_add_u32 v41, v41, 10, v12
	v_and_b32_e32 v42, 7, v42
	v_and_or_b32 v1, v1, s26, v41
	v_cndmask_b32_e64 v39, v39, v42, s[0:1]
	v_lshlrev_b32_e32 v1, 16, v1
	v_lshl_or_b32 v39, v39, 23, v1
.LBB265_382:                            ;   in Loop: Header=BB265_222 Depth=1
	s_or_b64 exec, exec, s[18:19]
.LBB265_383:                            ;   in Loop: Header=BB265_222 Depth=1
	s_or_b64 exec, exec, s[16:17]
.LBB265_384:                            ;   in Loop: Header=BB265_222 Depth=1
	s_or_b64 exec, exec, s[12:13]
	v_lshrrev_b32_e32 v1, 16, v7
	v_cmp_ne_u16_sdwa s[0:1], v1, v2 src0_sel:BYTE_0 src1_sel:DWORD
	v_mov_b32_e32 v41, 0
	v_mov_b32_e32 v42, 0
	s_and_saveexec_b64 s[12:13], s[0:1]
	s_cbranch_execz .LBB265_390
; %bb.385:                              ;   in Loop: Header=BB265_222 Depth=1
	v_cmp_ne_u16_sdwa s[0:1], v1, s24 src0_sel:BYTE_0 src1_sel:DWORD
	v_mov_b32_e32 v42, 0x8000
	s_and_saveexec_b64 s[16:17], s[0:1]
	s_cbranch_execz .LBB265_389
; %bb.386:                              ;   in Loop: Header=BB265_222 Depth=1
	v_bfe_u32 v43, v7, 16, 7
	v_cmp_ne_u32_e64 s[0:1], s25, v43
	v_mov_b32_e32 v42, 0x7c01
	s_and_saveexec_b64 s[18:19], s[0:1]
	s_cbranch_execz .LBB265_388
; %bb.387:                              ;   in Loop: Header=BB265_222 Depth=1
	v_and_b32_e32 v42, 7, v1
	v_ffbh_u32_e32 v44, v42
	v_min_u32_e32 v47, 32, v44
	v_subrev_u32_e32 v44, 28, v47
	v_lshlrev_b64 v[44:45], v44, v[1:2]
	v_lshrrev_b32_e32 v46, 3, v43
	v_sub_u32_e32 v45, 29, v47
	v_cmp_gt_u32_e64 s[0:1], 8, v43
	v_cndmask_b32_e64 v43, v46, v45, s[0:1]
	v_lshl_add_u32 v43, v43, 10, v12
	v_lshlrev_b32_e32 v1, 8, v1
	v_and_b32_e32 v44, 7, v44
	v_and_b32_e32 v43, 0xfc00, v43
	v_cndmask_b32_e64 v42, v42, v44, s[0:1]
	v_and_or_b32 v1, v1, s26, v43
	v_lshl_or_b32 v42, v42, 7, v1
.LBB265_388:                            ;   in Loop: Header=BB265_222 Depth=1
	s_or_b64 exec, exec, s[18:19]
.LBB265_389:                            ;   in Loop: Header=BB265_222 Depth=1
	s_or_b64 exec, exec, s[16:17]
.LBB265_390:                            ;   in Loop: Header=BB265_222 Depth=1
	s_or_b64 exec, exec, s[12:13]
	v_cmp_lt_u32_e64 s[0:1], s5, v7
	s_and_saveexec_b64 s[12:13], s[0:1]
	s_cbranch_execz .LBB265_396
; %bb.391:                              ;   in Loop: Header=BB265_222 Depth=1
	v_lshrrev_b32_e32 v1, 24, v7
	v_cmp_ne_u32_e64 s[0:1], s24, v1
	v_bfrev_b32_e32 v41, 1
	s_and_saveexec_b64 s[16:17], s[0:1]
	s_cbranch_execz .LBB265_395
; %bb.392:                              ;   in Loop: Header=BB265_222 Depth=1
	v_and_b32_e32 v43, 0x7f, v1
	v_cmp_ne_u32_e64 s[0:1], s25, v43
	v_mov_b32_e32 v41, 0x7c010000
	s_and_saveexec_b64 s[18:19], s[0:1]
	s_cbranch_execz .LBB265_394
; %bb.393:                              ;   in Loop: Header=BB265_222 Depth=1
	v_and_b32_e32 v41, 7, v1
	v_ffbh_u32_e32 v44, v41
	v_min_u32_e32 v47, 32, v44
	v_subrev_u32_e32 v44, 28, v47
	v_lshlrev_b64 v[44:45], v44, v[1:2]
	v_lshrrev_b32_e32 v46, 3, v43
	v_sub_u32_e32 v45, 29, v47
	v_cmp_gt_u32_e64 s[0:1], 8, v43
	v_cndmask_b32_e64 v43, v46, v45, s[0:1]
	v_lshlrev_b32_e32 v1, 8, v1
	v_lshl_add_u32 v43, v43, 10, v12
	v_and_b32_e32 v44, 7, v44
	v_and_or_b32 v1, v1, s26, v43
	v_cndmask_b32_e64 v41, v41, v44, s[0:1]
	v_lshlrev_b32_e32 v1, 16, v1
	v_lshl_or_b32 v41, v41, 23, v1
.LBB265_394:                            ;   in Loop: Header=BB265_222 Depth=1
	s_or_b64 exec, exec, s[18:19]
.LBB265_395:                            ;   in Loop: Header=BB265_222 Depth=1
	s_or_b64 exec, exec, s[16:17]
.LBB265_396:                            ;   in Loop: Header=BB265_222 Depth=1
	s_or_b64 exec, exec, s[12:13]
	v_mov_b32_e32 v1, v8
	v_cmp_ne_u16_sdwa s[0:1], v8, v2 src0_sel:BYTE_0 src1_sel:DWORD
	v_mov_b32_e32 v43, 0
	v_mov_b32_e32 v44, 0
	s_and_saveexec_b64 s[12:13], s[0:1]
	s_cbranch_execz .LBB265_402
; %bb.397:                              ;   in Loop: Header=BB265_222 Depth=1
	v_cmp_ne_u16_sdwa s[0:1], v8, s24 src0_sel:BYTE_0 src1_sel:DWORD
	v_mov_b32_e32 v44, 0x8000
	s_and_saveexec_b64 s[16:17], s[0:1]
	s_cbranch_execz .LBB265_401
; %bb.398:                              ;   in Loop: Header=BB265_222 Depth=1
	v_and_b32_e32 v45, 0x7f, v8
	v_cmp_ne_u32_e64 s[0:1], s25, v45
	v_mov_b32_e32 v44, 0x7c01
	s_and_saveexec_b64 s[18:19], s[0:1]
	s_cbranch_execz .LBB265_400
; %bb.399:                              ;   in Loop: Header=BB265_222 Depth=1
	v_and_b32_e32 v44, 7, v8
	v_ffbh_u32_e32 v46, v44
	v_min_u32_e32 v49, 32, v46
	v_subrev_u32_e32 v46, 28, v49
	v_lshlrev_b64 v[46:47], v46, v[1:2]
	v_lshrrev_b32_e32 v48, 3, v45
	v_sub_u32_e32 v47, 29, v49
	v_cmp_gt_u32_e64 s[0:1], 8, v45
	v_cndmask_b32_e64 v45, v48, v47, s[0:1]
	v_lshl_add_u32 v45, v45, 10, v12
	v_lshlrev_b32_e32 v47, 8, v8
	v_and_b32_e32 v46, 7, v46
	v_and_b32_e32 v45, 0xfc00, v45
	v_cndmask_b32_e64 v44, v44, v46, s[0:1]
	v_and_or_b32 v45, v47, s26, v45
	v_lshl_or_b32 v44, v44, 7, v45
.LBB265_400:                            ;   in Loop: Header=BB265_222 Depth=1
	s_or_b64 exec, exec, s[18:19]
.LBB265_401:                            ;   in Loop: Header=BB265_222 Depth=1
	s_or_b64 exec, exec, s[16:17]
.LBB265_402:                            ;   in Loop: Header=BB265_222 Depth=1
	s_or_b64 exec, exec, s[12:13]
	v_lshrrev_b16_e32 v1, 8, v1
	v_cmp_ne_u16_e64 s[0:1], 0, v1
	v_mov_b32_e32 v45, 0
	s_and_saveexec_b64 s[12:13], s[0:1]
	s_cbranch_execz .LBB265_408
; %bb.403:                              ;   in Loop: Header=BB265_222 Depth=1
	v_cmp_ne_u16_e64 s[0:1], s24, v1
	v_bfrev_b32_e32 v45, 1
	s_and_saveexec_b64 s[16:17], s[0:1]
	s_cbranch_execz .LBB265_407
; %bb.404:                              ;   in Loop: Header=BB265_222 Depth=1
	v_and_b32_e32 v46, 0x7f, v1
	v_cmp_ne_u32_e64 s[0:1], s25, v46
	v_mov_b32_e32 v45, 0x7c010000
	s_and_saveexec_b64 s[18:19], s[0:1]
	s_cbranch_execz .LBB265_406
; %bb.405:                              ;   in Loop: Header=BB265_222 Depth=1
	v_and_b32_e32 v45, 7, v1
	v_ffbh_u32_e32 v47, v45
	v_min_u32_e32 v50, 32, v47
	v_subrev_u32_e32 v47, 28, v50
	v_lshlrev_b64 v[47:48], v47, v[1:2]
	v_lshrrev_b32_e32 v49, 3, v46
	v_sub_u32_e32 v48, 29, v50
	v_cmp_gt_u32_e64 s[0:1], 8, v46
	v_cndmask_b32_e64 v46, v49, v48, s[0:1]
	v_lshlrev_b32_e32 v1, 8, v1
	v_lshl_add_u32 v46, v46, 10, v12
	v_and_b32_e32 v47, 7, v47
	v_and_or_b32 v1, v1, s26, v46
	v_cndmask_b32_e64 v45, v45, v47, s[0:1]
	v_lshlrev_b32_e32 v1, 16, v1
	v_lshl_or_b32 v45, v45, 23, v1
.LBB265_406:                            ;   in Loop: Header=BB265_222 Depth=1
	s_or_b64 exec, exec, s[18:19]
.LBB265_407:                            ;   in Loop: Header=BB265_222 Depth=1
	s_or_b64 exec, exec, s[16:17]
.LBB265_408:                            ;   in Loop: Header=BB265_222 Depth=1
	s_or_b64 exec, exec, s[12:13]
	v_lshrrev_b32_e32 v1, 16, v8
	v_cmp_ne_u16_sdwa s[0:1], v1, v2 src0_sel:BYTE_0 src1_sel:DWORD
	s_and_saveexec_b64 s[12:13], s[0:1]
	s_cbranch_execz .LBB265_414
; %bb.409:                              ;   in Loop: Header=BB265_222 Depth=1
	v_cmp_ne_u16_sdwa s[0:1], v1, s24 src0_sel:BYTE_0 src1_sel:DWORD
	v_mov_b32_e32 v43, 0x8000
	s_and_saveexec_b64 s[16:17], s[0:1]
	s_cbranch_execz .LBB265_413
; %bb.410:                              ;   in Loop: Header=BB265_222 Depth=1
	v_bfe_u32 v46, v8, 16, 7
	v_cmp_ne_u32_e64 s[0:1], s25, v46
	v_mov_b32_e32 v43, 0x7c01
	s_and_saveexec_b64 s[18:19], s[0:1]
	s_cbranch_execz .LBB265_412
; %bb.411:                              ;   in Loop: Header=BB265_222 Depth=1
	v_and_b32_e32 v43, 7, v1
	v_ffbh_u32_e32 v47, v43
	v_min_u32_e32 v50, 32, v47
	v_subrev_u32_e32 v47, 28, v50
	v_lshlrev_b64 v[47:48], v47, v[1:2]
	v_lshrrev_b32_e32 v49, 3, v46
	v_sub_u32_e32 v48, 29, v50
	v_cmp_gt_u32_e64 s[0:1], 8, v46
	v_cndmask_b32_e64 v46, v49, v48, s[0:1]
	v_lshl_add_u32 v46, v46, 10, v12
	v_lshlrev_b32_e32 v1, 8, v1
	v_and_b32_e32 v47, 7, v47
	v_and_b32_e32 v46, 0xfc00, v46
	v_cndmask_b32_e64 v43, v43, v47, s[0:1]
	v_and_or_b32 v1, v1, s26, v46
	v_lshl_or_b32 v43, v43, 7, v1
.LBB265_412:                            ;   in Loop: Header=BB265_222 Depth=1
	s_or_b64 exec, exec, s[18:19]
.LBB265_413:                            ;   in Loop: Header=BB265_222 Depth=1
	s_or_b64 exec, exec, s[16:17]
.LBB265_414:                            ;   in Loop: Header=BB265_222 Depth=1
	s_or_b64 exec, exec, s[12:13]
	v_cmp_lt_u64_e64 s[0:1], s[4:5], v[7:8]
	v_mov_b32_e32 v46, 0
	s_and_saveexec_b64 s[12:13], s[0:1]
	s_cbranch_execz .LBB265_420
; %bb.415:                              ;   in Loop: Header=BB265_222 Depth=1
	v_lshrrev_b32_e32 v1, 24, v8
	v_cmp_ne_u32_e64 s[0:1], s24, v1
	v_bfrev_b32_e32 v46, 1
	s_and_saveexec_b64 s[16:17], s[0:1]
	s_cbranch_execz .LBB265_419
; %bb.416:                              ;   in Loop: Header=BB265_222 Depth=1
	v_and_b32_e32 v7, 0x7f, v1
	v_cmp_ne_u32_e64 s[0:1], s25, v7
	v_mov_b32_e32 v46, 0x7c010000
	s_and_saveexec_b64 s[18:19], s[0:1]
	s_cbranch_execz .LBB265_418
; %bb.417:                              ;   in Loop: Header=BB265_222 Depth=1
	v_and_b32_e32 v8, 7, v1
	v_ffbh_u32_e32 v46, v8
	v_min_u32_e32 v49, 32, v46
	v_subrev_u32_e32 v46, 28, v49
	v_lshlrev_b64 v[46:47], v46, v[1:2]
	v_lshrrev_b32_e32 v48, 3, v7
	v_sub_u32_e32 v47, 29, v49
	v_cmp_gt_u32_e64 s[0:1], 8, v7
	v_cndmask_b32_e64 v7, v48, v47, s[0:1]
	v_lshlrev_b32_e32 v1, 8, v1
	v_lshl_add_u32 v7, v7, 10, v12
	v_and_b32_e32 v46, 7, v46
	v_and_or_b32 v1, v1, s26, v7
	v_cndmask_b32_e64 v8, v8, v46, s[0:1]
	v_lshlrev_b32_e32 v1, 16, v1
	v_lshl_or_b32 v46, v8, 23, v1
.LBB265_418:                            ;   in Loop: Header=BB265_222 Depth=1
	s_or_b64 exec, exec, s[18:19]
.LBB265_419:                            ;   in Loop: Header=BB265_222 Depth=1
	s_or_b64 exec, exec, s[16:17]
.LBB265_420:                            ;   in Loop: Header=BB265_222 Depth=1
	s_or_b64 exec, exec, s[12:13]
	s_waitcnt vmcnt(0)
	v_fma_mixlo_f16 v7, v38, v41, 0 op_sel:[0,1,0] op_sel_hi:[0,1,0]
	v_fma_mixlo_f16 v8, v38, v39, 0 op_sel:[0,1,0] op_sel_hi:[0,1,0]
	v_or_b32_e32 v1, v41, v42
	v_lshlrev_b32_e32 v41, 16, v7
	v_or_b32_e32 v7, v39, v40
	v_lshlrev_b32_e32 v47, 16, v8
	v_or_b32_e32 v8, v45, v44
	v_or_b32_e32 v40, v46, v43
	v_fma_mixlo_f16 v1, v38, v1, 0 op_sel_hi:[0,1,0]
	v_fma_mixlo_f16 v7, v38, v7, 0 op_sel_hi:[0,1,0]
	v_fma_mixlo_f16 v39, v38, v45, 0 op_sel:[0,1,0] op_sel_hi:[0,1,0]
	v_fma_mixlo_f16 v8, v38, v8, 0 op_sel_hi:[0,1,0]
	v_fma_mixlo_f16 v43, v38, v40, 0 op_sel_hi:[0,1,0]
	v_fma_mixlo_f16 v38, v38, v46, 0 op_sel:[0,1,0] op_sel_hi:[0,1,0]
	v_and_b32_e32 v42, 0xffff, v1
	v_and_b32_e32 v48, 0xffff, v7
	v_lshlrev_b32_e32 v39, 16, v39
	v_and_b32_e32 v44, 0xffff, v8
	v_lshlrev_b32_e32 v40, 16, v38
	v_and_b32_e32 v43, 0xffff, v43
	v_or_b32_e32 v1, v41, v42
	v_or_b32_e32 v7, v47, v48
	;; [unrolled: 1-line block ×4, first 2 shown]
	s_and_saveexec_b64 s[0:1], vcc
	s_cbranch_execz .LBB265_221
; %bb.421:                              ;   in Loop: Header=BB265_222 Depth=1
	v_cmp_gt_i32_e32 vcc, s30, v23
	v_cndmask_b32_e32 v1, 0, v48, vcc
	v_cmp_gt_i32_e32 vcc, s30, v29
	v_cndmask_b32_e32 v7, 0, v47, vcc
	v_cmp_gt_i32_e32 vcc, s30, v28
	v_or_b32_e32 v7, v7, v1
	v_cndmask_b32_e32 v1, 0, v42, vcc
	v_cmp_gt_i32_e32 vcc, s30, v27
	v_cndmask_b32_e32 v8, 0, v41, vcc
	v_cmp_gt_i32_e32 vcc, s30, v26
	v_or_b32_e32 v1, v8, v1
	;; [unrolled: 5-line block ×3, first 2 shown]
	v_cndmask_b32_e32 v23, 0, v43, vcc
	v_cmp_gt_i32_e32 vcc, s30, v21
	v_cndmask_b32_e32 v24, 0, v40, vcc
	v_or_b32_e32 v38, v24, v23
	s_branch .LBB265_221
.LBB265_422:
	s_or_b64 exec, exec, s[6:7]
.LBB265_423:
	s_or_b64 exec, exec, s[2:3]
	ds_bpermute_b32 v1, v14, v19
	ds_bpermute_b32 v2, v14, v20
	;; [unrolled: 1-line block ×4, first 2 shown]
	s_waitcnt lgkmcnt(0)
	v_add_f32_e32 v1, v19, v1
	v_add_f32_e32 v2, v20, v2
	ds_bpermute_b32 v5, v15, v1
	v_add_f32_e32 v7, v18, v3
	v_add_f32_e32 v9, v17, v4
	ds_bpermute_b32 v6, v15, v2
	ds_bpermute_b32 v8, v15, v7
	;; [unrolled: 1-line block ×3, first 2 shown]
	s_waitcnt lgkmcnt(3)
	v_add_f32_e32 v4, v1, v5
	v_and_b32_e32 v5, 0x3c3, v0
	s_waitcnt lgkmcnt(2)
	v_add_f32_e32 v3, v2, v6
	s_waitcnt lgkmcnt(1)
	v_add_f32_e32 v2, v7, v8
	;; [unrolled: 2-line block ×3, first 2 shown]
	v_cmp_eq_u32_e32 vcc, 64, v5
	s_barrier
	s_and_saveexec_b64 s[0:1], vcc
	s_cbranch_execz .LBB265_425
; %bb.424:
	v_add_u32_e32 v6, 0x90, v13
	ds_write2_b32 v6, v4, v3 offset1:16
	ds_write2_b32 v6, v2, v1 offset0:32 offset1:48
.LBB265_425:
	s_or_b64 exec, exec, s[0:1]
	v_cmp_gt_u32_e32 vcc, 64, v0
	v_lshrrev_b32_e32 v0, 2, v0
	s_waitcnt lgkmcnt(0)
	s_barrier
	s_and_saveexec_b64 s[0:1], vcc
	s_cbranch_execz .LBB265_432
; %bb.426:
	v_mov_b32_e32 v6, 0x90
	v_cmp_eq_u32_e32 vcc, 0, v16
	v_lshl_add_u32 v6, v0, 2, v6
	s_and_saveexec_b64 s[2:3], vcc
	s_cbranch_execnz .LBB265_435
; %bb.427:
	s_or_b64 exec, exec, s[2:3]
	s_and_saveexec_b64 s[2:3], vcc
	s_cbranch_execnz .LBB265_436
.LBB265_428:
	s_or_b64 exec, exec, s[2:3]
	s_and_saveexec_b64 s[2:3], vcc
	s_cbranch_execnz .LBB265_437
.LBB265_429:
	s_or_b64 exec, exec, s[2:3]
	s_and_saveexec_b64 s[2:3], vcc
	s_cbranch_execz .LBB265_431
.LBB265_430:
	ds_read_b32 v6, v6 offset:192
	s_waitcnt lgkmcnt(0)
	v_add_f32_e32 v1, v1, v6
.LBB265_431:
	s_or_b64 exec, exec, s[2:3]
.LBB265_432:
	s_or_b64 exec, exec, s[0:1]
	v_cmp_eq_u32_e32 vcc, 0, v5
	s_barrier
	s_and_saveexec_b64 s[0:1], vcc
	s_cbranch_execz .LBB265_434
; %bb.433:
	s_mul_i32 s0, s10, s11
	s_mul_i32 s0, s0, s9
	s_lshl_b32 s0, s0, 6
	s_ashr_i32 s1, s0, 31
	s_lshl_b64 s[0:1], s[0:1], 1
	s_add_u32 s2, s22, s0
	s_mul_i32 s0, s11, s20
	s_addc_u32 s3, s23, s1
	s_ashr_i32 s1, s0, 31
	s_lshl_b64 s[0:1], s[0:1], 1
	s_add_u32 s2, s2, s0
	s_addc_u32 s3, s3, s1
	s_lshl_b32 s0, s8, 6
	s_ashr_i32 s1, s0, 31
	s_lshl_b64 s[0:1], s[0:1], 1
	s_add_u32 s0, s2, s0
	s_addc_u32 s1, s3, s1
	v_lshlrev_b32_e32 v0, 1, v0
	;;#ASMSTART
	v_cvt_f16_f32 v4, v4;

	;;#ASMEND
	global_store_short v0, v4, s[0:1]
	;;#ASMSTART
	v_cvt_f16_f32 v3, v3;

	;;#ASMEND
	global_store_short v0, v3, s[0:1] offset:32
	;;#ASMSTART
	v_cvt_f16_f32 v2, v2;

	;;#ASMEND
	global_store_short v0, v2, s[0:1] offset:64
	;; [unrolled: 5-line block ×3, first 2 shown]
.LBB265_434:
	s_endpgm
.LBB265_435:
	ds_read_b32 v7, v6
	s_waitcnt lgkmcnt(0)
	v_add_f32_e32 v4, v4, v7
	s_or_b64 exec, exec, s[2:3]
	s_and_saveexec_b64 s[2:3], vcc
	s_cbranch_execz .LBB265_428
.LBB265_436:
	ds_read_b32 v7, v6 offset:64
	s_waitcnt lgkmcnt(0)
	v_add_f32_e32 v3, v3, v7
	s_or_b64 exec, exec, s[2:3]
	s_and_saveexec_b64 s[2:3], vcc
	s_cbranch_execz .LBB265_429
.LBB265_437:
	ds_read_b32 v7, v6 offset:128
	s_waitcnt lgkmcnt(0)
	v_add_f32_e32 v2, v2, v7
	s_or_b64 exec, exec, s[2:3]
	s_and_saveexec_b64 s[2:3], vcc
	s_cbranch_execnz .LBB265_430
	s_branch .LBB265_431
	.section	.rodata,"a",@progbits
	.p2align	6, 0x0
	.amdhsa_kernel _ZN4vllm25paged_attention_v1_kernelIthLi64ELi32ELi128ELNS_18Fp8KVCacheDataTypeE1ELb0EEEvPT_PKS2_PKT0_S8_ifPKiSA_iPKfiiiSC_SC_iiiii
		.amdhsa_group_segment_fixed_size 144
		.amdhsa_private_segment_fixed_size 0
		.amdhsa_kernarg_size 384
		.amdhsa_user_sgpr_count 6
		.amdhsa_user_sgpr_private_segment_buffer 1
		.amdhsa_user_sgpr_dispatch_ptr 0
		.amdhsa_user_sgpr_queue_ptr 0
		.amdhsa_user_sgpr_kernarg_segment_ptr 1
		.amdhsa_user_sgpr_dispatch_id 0
		.amdhsa_user_sgpr_flat_scratch_init 0
		.amdhsa_user_sgpr_private_segment_size 0
		.amdhsa_uses_dynamic_stack 0
		.amdhsa_system_sgpr_private_segment_wavefront_offset 0
		.amdhsa_system_sgpr_workgroup_id_x 1
		.amdhsa_system_sgpr_workgroup_id_y 1
		.amdhsa_system_sgpr_workgroup_id_z 1
		.amdhsa_system_sgpr_workgroup_info 0
		.amdhsa_system_vgpr_workitem_id 0
		.amdhsa_next_free_vgpr 59
		.amdhsa_next_free_sgpr 46
		.amdhsa_reserve_vcc 1
		.amdhsa_reserve_flat_scratch 0
		.amdhsa_float_round_mode_32 0
		.amdhsa_float_round_mode_16_64 0
		.amdhsa_float_denorm_mode_32 3
		.amdhsa_float_denorm_mode_16_64 3
		.amdhsa_dx10_clamp 1
		.amdhsa_ieee_mode 1
		.amdhsa_fp16_overflow 0
		.amdhsa_exception_fp_ieee_invalid_op 0
		.amdhsa_exception_fp_denorm_src 0
		.amdhsa_exception_fp_ieee_div_zero 0
		.amdhsa_exception_fp_ieee_overflow 0
		.amdhsa_exception_fp_ieee_underflow 0
		.amdhsa_exception_fp_ieee_inexact 0
		.amdhsa_exception_int_div_zero 0
	.end_amdhsa_kernel
	.section	.text._ZN4vllm25paged_attention_v1_kernelIthLi64ELi32ELi128ELNS_18Fp8KVCacheDataTypeE1ELb0EEEvPT_PKS2_PKT0_S8_ifPKiSA_iPKfiiiSC_SC_iiiii,"axG",@progbits,_ZN4vllm25paged_attention_v1_kernelIthLi64ELi32ELi128ELNS_18Fp8KVCacheDataTypeE1ELb0EEEvPT_PKS2_PKT0_S8_ifPKiSA_iPKfiiiSC_SC_iiiii,comdat
.Lfunc_end265:
	.size	_ZN4vllm25paged_attention_v1_kernelIthLi64ELi32ELi128ELNS_18Fp8KVCacheDataTypeE1ELb0EEEvPT_PKS2_PKT0_S8_ifPKiSA_iPKfiiiSC_SC_iiiii, .Lfunc_end265-_ZN4vllm25paged_attention_v1_kernelIthLi64ELi32ELi128ELNS_18Fp8KVCacheDataTypeE1ELb0EEEvPT_PKS2_PKT0_S8_ifPKiSA_iPKfiiiSC_SC_iiiii
                                        ; -- End function
	.set _ZN4vllm25paged_attention_v1_kernelIthLi64ELi32ELi128ELNS_18Fp8KVCacheDataTypeE1ELb0EEEvPT_PKS2_PKT0_S8_ifPKiSA_iPKfiiiSC_SC_iiiii.num_vgpr, 59
	.set _ZN4vllm25paged_attention_v1_kernelIthLi64ELi32ELi128ELNS_18Fp8KVCacheDataTypeE1ELb0EEEvPT_PKS2_PKT0_S8_ifPKiSA_iPKfiiiSC_SC_iiiii.num_agpr, 0
	.set _ZN4vllm25paged_attention_v1_kernelIthLi64ELi32ELi128ELNS_18Fp8KVCacheDataTypeE1ELb0EEEvPT_PKS2_PKT0_S8_ifPKiSA_iPKfiiiSC_SC_iiiii.numbered_sgpr, 46
	.set _ZN4vllm25paged_attention_v1_kernelIthLi64ELi32ELi128ELNS_18Fp8KVCacheDataTypeE1ELb0EEEvPT_PKS2_PKT0_S8_ifPKiSA_iPKfiiiSC_SC_iiiii.num_named_barrier, 0
	.set _ZN4vllm25paged_attention_v1_kernelIthLi64ELi32ELi128ELNS_18Fp8KVCacheDataTypeE1ELb0EEEvPT_PKS2_PKT0_S8_ifPKiSA_iPKfiiiSC_SC_iiiii.private_seg_size, 0
	.set _ZN4vllm25paged_attention_v1_kernelIthLi64ELi32ELi128ELNS_18Fp8KVCacheDataTypeE1ELb0EEEvPT_PKS2_PKT0_S8_ifPKiSA_iPKfiiiSC_SC_iiiii.uses_vcc, 1
	.set _ZN4vllm25paged_attention_v1_kernelIthLi64ELi32ELi128ELNS_18Fp8KVCacheDataTypeE1ELb0EEEvPT_PKS2_PKT0_S8_ifPKiSA_iPKfiiiSC_SC_iiiii.uses_flat_scratch, 0
	.set _ZN4vllm25paged_attention_v1_kernelIthLi64ELi32ELi128ELNS_18Fp8KVCacheDataTypeE1ELb0EEEvPT_PKS2_PKT0_S8_ifPKiSA_iPKfiiiSC_SC_iiiii.has_dyn_sized_stack, 0
	.set _ZN4vllm25paged_attention_v1_kernelIthLi64ELi32ELi128ELNS_18Fp8KVCacheDataTypeE1ELb0EEEvPT_PKS2_PKT0_S8_ifPKiSA_iPKfiiiSC_SC_iiiii.has_recursion, 0
	.set _ZN4vllm25paged_attention_v1_kernelIthLi64ELi32ELi128ELNS_18Fp8KVCacheDataTypeE1ELb0EEEvPT_PKS2_PKT0_S8_ifPKiSA_iPKfiiiSC_SC_iiiii.has_indirect_call, 0
	.section	.AMDGPU.csdata,"",@progbits
; Kernel info:
; codeLenInByte = 17636
; TotalNumSgprs: 50
; NumVgprs: 59
; ScratchSize: 0
; MemoryBound: 0
; FloatMode: 240
; IeeeMode: 1
; LDSByteSize: 144 bytes/workgroup (compile time only)
; SGPRBlocks: 6
; VGPRBlocks: 14
; NumSGPRsForWavesPerEU: 50
; NumVGPRsForWavesPerEU: 59
; Occupancy: 4
; WaveLimiterHint : 1
; COMPUTE_PGM_RSRC2:SCRATCH_EN: 0
; COMPUTE_PGM_RSRC2:USER_SGPR: 6
; COMPUTE_PGM_RSRC2:TRAP_HANDLER: 0
; COMPUTE_PGM_RSRC2:TGID_X_EN: 1
; COMPUTE_PGM_RSRC2:TGID_Y_EN: 1
; COMPUTE_PGM_RSRC2:TGID_Z_EN: 1
; COMPUTE_PGM_RSRC2:TIDIG_COMP_CNT: 0
	.section	.text._ZN4vllm25paged_attention_v1_kernelIthLi80ELi32ELi128ELNS_18Fp8KVCacheDataTypeE1ELb0EEEvPT_PKS2_PKT0_S8_ifPKiSA_iPKfiiiSC_SC_iiiii,"axG",@progbits,_ZN4vllm25paged_attention_v1_kernelIthLi80ELi32ELi128ELNS_18Fp8KVCacheDataTypeE1ELb0EEEvPT_PKS2_PKT0_S8_ifPKiSA_iPKfiiiSC_SC_iiiii,comdat
	.protected	_ZN4vllm25paged_attention_v1_kernelIthLi80ELi32ELi128ELNS_18Fp8KVCacheDataTypeE1ELb0EEEvPT_PKS2_PKT0_S8_ifPKiSA_iPKfiiiSC_SC_iiiii ; -- Begin function _ZN4vllm25paged_attention_v1_kernelIthLi80ELi32ELi128ELNS_18Fp8KVCacheDataTypeE1ELb0EEEvPT_PKS2_PKT0_S8_ifPKiSA_iPKfiiiSC_SC_iiiii
	.globl	_ZN4vllm25paged_attention_v1_kernelIthLi80ELi32ELi128ELNS_18Fp8KVCacheDataTypeE1ELb0EEEvPT_PKS2_PKT0_S8_ifPKiSA_iPKfiiiSC_SC_iiiii
	.p2align	8
	.type	_ZN4vllm25paged_attention_v1_kernelIthLi80ELi32ELi128ELNS_18Fp8KVCacheDataTypeE1ELb0EEEvPT_PKS2_PKT0_S8_ifPKiSA_iPKfiiiSC_SC_iiiii,@function
_ZN4vllm25paged_attention_v1_kernelIthLi80ELi32ELi128ELNS_18Fp8KVCacheDataTypeE1ELb0EEEvPT_PKS2_PKT0_S8_ifPKiSA_iPKfiiiSC_SC_iiiii: ; @_ZN4vllm25paged_attention_v1_kernelIthLi80ELi32ELi128ELNS_18Fp8KVCacheDataTypeE1ELb0EEEvPT_PKS2_PKT0_S8_ifPKiSA_iPKfiiiSC_SC_iiiii
; %bb.0:
	s_mov_b64 s[50:51], s[2:3]
	s_mov_b64 s[48:49], s[0:1]
	s_add_u32 s48, s48, s9
	s_load_dword s9, s[4:5], 0x80
	s_load_dwordx2 s[0:1], s[4:5], 0x30
	s_load_dwordx2 s[30:31], s[4:5], 0x20
	s_addc_u32 s49, s49, 0
	s_mov_b32 s10, s7
	s_ashr_i32 s11, s7, 31
	s_lshl_b64 s[2:3], s[10:11], 2
	s_waitcnt lgkmcnt(0)
	s_add_u32 s0, s0, s2
	s_addc_u32 s1, s1, s3
	s_abs_i32 s2, s30
	v_cvt_f32_u32_e32 v1, s2
	s_sub_i32 s11, 0, s2
	s_abs_i32 s7, s9
	s_xor_b32 s3, s9, s30
	v_rcp_iflag_f32_e32 v1, v1
	s_ashr_i32 s3, s3, 31
	s_mov_b32 s33, 0
	v_mul_f32_e32 v1, 0x4f7ffffe, v1
	v_cvt_u32_f32_e32 v1, v1
	v_readfirstlane_b32 s12, v1
	s_mul_i32 s11, s11, s12
	s_mul_hi_u32 s11, s12, s11
	s_add_i32 s12, s12, s11
	s_mul_hi_u32 s11, s7, s12
	s_mul_i32 s12, s11, s2
	s_sub_i32 s7, s7, s12
	s_add_i32 s12, s11, 1
	s_sub_i32 s13, s7, s2
	s_cmp_ge_u32 s7, s2
	s_cselect_b32 s11, s12, s11
	s_cselect_b32 s7, s13, s7
	s_add_i32 s12, s11, 1
	s_cmp_ge_u32 s7, s2
	s_cselect_b32 s2, s12, s11
	s_xor_b32 s2, s2, s3
	s_sub_i32 s14, s2, s3
	s_abs_i32 s11, s14
	v_cvt_f32_u32_e32 v1, s11
	s_load_dwordx2 s[2:3], s[4:5], 0x40
	s_sub_i32 s7, 0, s11
	s_abs_i32 s12, s6
	v_rcp_iflag_f32_e32 v1, v1
	v_mul_f32_e32 v1, 0x4f7ffffe, v1
	v_cvt_u32_f32_e32 v1, v1
	v_readfirstlane_b32 s13, v1
	s_mul_i32 s7, s7, s13
	s_mul_hi_u32 s7, s13, s7
	s_add_i32 s13, s13, s7
	s_waitcnt lgkmcnt(0)
	s_cmp_eq_u64 s[2:3], 0
	s_mul_hi_u32 s13, s12, s13
	s_cbranch_scc1 .LBB266_2
; %bb.1:
	s_ashr_i32 s7, s6, 31
	s_lshl_b64 s[16:17], s[6:7], 2
	s_add_u32 s2, s2, s16
	s_addc_u32 s3, s3, s17
	s_load_dword s33, s[2:3], 0x0
.LBB266_2:
	s_load_dword s30, s[0:1], 0x0
	s_load_dwordx4 s[16:19], s[4:5], 0x48
	s_ashr_i32 s2, s6, 31
	s_ashr_i32 s3, s14, 31
	v_and_b32_e32 v3, 1, v0
	s_movk_i32 s7, 0x50
	s_mul_i32 s20, s6, 0x50
	v_cmp_gt_u32_e32 vcc, 20, v0
	v_lshlrev_b32_e32 v1, 3, v0
	s_and_saveexec_b64 s[0:1], vcc
	s_cbranch_execz .LBB266_4
; %bb.3:
	s_load_dwordx2 s[14:15], s[4:5], 0x8
	s_waitcnt lgkmcnt(0)
	s_mul_i32 s22, s16, s10
	s_ashr_i32 s23, s22, 31
	s_lshl_b64 s[22:23], s[22:23], 1
	v_lshlrev_b32_e32 v4, 2, v0
	s_add_u32 s6, s14, s22
	s_addc_u32 s16, s15, s23
	s_ashr_i32 s21, s20, 31
	s_lshl_b64 s[14:15], s[20:21], 1
	s_add_u32 s14, s6, s14
	s_addc_u32 s15, s16, s15
	global_load_dwordx2 v[1:2], v1, s[14:15]
	v_and_b32_e32 v4, 0xff8, v4
	v_mad_u32_u24 v4, v3, s7, v4
	s_waitcnt vmcnt(0)
	ds_write_b64 v4, v[1:2]
.LBB266_4:
	s_or_b64 exec, exec, s[0:1]
	s_waitcnt lgkmcnt(0)
	s_add_i32 s1, s30, 31
	s_ashr_i32 s6, s1, 31
	s_lshr_b32 s6, s6, 27
	s_add_i32 s1, s1, s6
	s_ashr_i32 s21, s1, 5
	s_xor_b32 s1, s2, s3
	s_mul_i32 s2, s13, s11
	s_sub_i32 s2, s12, s2
	s_add_i32 s3, s13, 1
	s_sub_i32 s6, s2, s11
	s_load_dwordx2 s[24:25], s[4:5], 0x28
	s_load_dword s0, s[4:5], 0x38
	s_cmp_ge_u32 s2, s11
	s_cselect_b32 s3, s3, s13
	s_cselect_b32 s2, s6, s2
	s_add_i32 s6, s3, 1
	s_cmp_ge_u32 s2, s11
	s_cselect_b32 s2, s6, s3
	v_lshrrev_b32_e32 v11, 6, v0
	s_xor_b32 s2, s2, s1
	s_waitcnt lgkmcnt(0)
	s_mul_i32 s26, s0, s10
	s_sub_i32 s16, s2, s1
	s_ashr_i32 s27, s26, 31
	v_cmp_gt_i32_e64 s[0:1], s21, v11
	v_cmp_le_i32_e32 vcc, s21, v11
	v_mbcnt_lo_u32_b32 v8, -1, 0
	s_barrier
                                        ; implicit-def: $vgpr16
                                        ; implicit-def: $vgpr1
                                        ; implicit-def: $vgpr7
	s_and_saveexec_b64 s[2:3], vcc
	s_xor_b64 s[2:3], exec, s[2:3]
; %bb.5:
	v_mbcnt_hi_u32_b32 v16, -1, v8
	v_and_b32_e32 v1, 64, v16
	v_add_u32_e32 v7, 64, v1
                                        ; implicit-def: $vgpr3
                                        ; implicit-def: $vgpr8
; %bb.6:
	s_or_saveexec_b64 s[6:7], s[2:3]
	s_load_dwordx2 s[22:23], s[4:5], 0x0
	s_load_dwordx2 s[28:29], s[4:5], 0x18
	s_load_dword s11, s[4:5], 0x88
	s_load_dwordx4 s[12:15], s[4:5], 0x58
	v_mov_b32_e32 v13, 0xff7fffff
	s_mul_i32 s16, s16, s18
	s_xor_b64 exec, exec, s[6:7]
	s_cbranch_execz .LBB266_252
; %bb.7:
	s_load_dwordx2 s[2:3], s[4:5], 0x10
	s_ashr_i32 s4, s16, 31
	v_bfe_u32 v1, v0, 1, 5
	v_lshlrev_b32_e32 v4, 4, v1
	v_lshlrev_b32_e32 v6, 2, v3
	s_waitcnt lgkmcnt(0)
	s_add_u32 s2, s2, s16
	s_addc_u32 s3, s3, s4
	v_mov_b32_e32 v5, s3
	v_add_co_u32_e32 v4, vcc, s2, v4
	v_addc_co_u32_e32 v5, vcc, 0, v5, vcc
	v_mul_u32_u24_e32 v14, 0x50, v3
	v_cmp_eq_u32_e32 vcc, 0, v3
	v_add_co_u32_e64 v3, s[4:5], v4, v6
	v_addc_co_u32_e64 v4, s[4:5], 0, v5, s[4:5]
	v_lshl_or_b32 v15, v11, 5, v1
	v_lshlrev_b32_e32 v1, 2, v1
	s_sub_i32 s41, 1, s30
	v_lshl_or_b32 v1, v11, 7, v1
	s_lshl_b64 s[4:5], s[26:27], 2
	v_add_u32_e32 v17, 0xb0, v1
	v_lshrrev_b32_e32 v1, 4, v0
	s_add_u32 s4, s24, s4
	v_and_b32_e32 v1, 60, v1
	s_addc_u32 s5, s25, s5
	v_mov_b32_e32 v6, s5
	v_add_co_u32_e64 v5, s[4:5], s4, v1
	s_mov_b32 s40, s17
	v_mov_b32_e32 v2, 0
	v_cmp_neq_f32_e64 s[2:3], s33, 0
	v_addc_co_u32_e64 v6, s[4:5], 0, v6, s[4:5]
	v_mov_b32_e32 v13, 0xff7fffff
	s_mov_b64 s[18:19], 0
	s_movk_i32 s42, 0x80
	s_movk_i32 s43, 0x7f
	s_mov_b32 s44, 0x8000
	s_mov_b32 s45, 0xffffff
	v_mbcnt_hi_u32_b32 v16, -1, v8
	v_mov_b32_e32 v18, 0x2000
	v_mov_b32_e32 v19, v11
	buffer_store_dword v3, off, s[48:51], 0 ; 4-byte Folded Spill
	s_nop 0
	buffer_store_dword v4, off, s[48:51], 0 offset:4 ; 4-byte Folded Spill
	s_branch .LBB266_9
.LBB266_8:                              ;   in Loop: Header=BB266_9 Depth=1
	s_or_b64 exec, exec, s[34:35]
	v_add_u32_e32 v19, 2, v19
	v_cmp_le_i32_e64 s[4:5], s21, v19
	s_or_b64 s[18:19], s[4:5], s[18:19]
	v_add_co_u32_e64 v5, s[4:5], 8, v5
	v_add_u32_e32 v15, 64, v15
	v_add_u32_e32 v17, 0x100, v17
	v_addc_co_u32_e64 v6, s[4:5], 0, v6, s[4:5]
	s_andn2_b64 exec, exec, s[18:19]
	s_cbranch_execz .LBB266_251
.LBB266_9:                              ; =>This Inner Loop Header: Depth=1
	global_load_dword v1, v[5:6], off
	buffer_load_dword v3, off, s[48:51], 0  ; 4-byte Folded Reload
	buffer_load_dword v4, off, s[48:51], 0 offset:4 ; 4-byte Folded Reload
	v_mov_b32_e32 v21, 0
	s_waitcnt vmcnt(0)
	v_mad_i64_i32 v[7:8], s[4:5], v1, s40, v[3:4]
	s_waitcnt lgkmcnt(0)
	global_load_dword v9, v[7:8], off
	global_load_dword v20, v2, s[12:13]
	s_waitcnt vmcnt(1)
	v_cmp_ne_u16_sdwa s[4:5], v9, v2 src0_sel:BYTE_0 src1_sel:DWORD
	s_and_saveexec_b64 s[34:35], s[4:5]
	s_cbranch_execz .LBB266_15
; %bb.10:                               ;   in Loop: Header=BB266_9 Depth=1
	v_cmp_ne_u16_sdwa s[4:5], v9, s42 src0_sel:BYTE_0 src1_sel:DWORD
	v_mov_b32_e32 v21, 0x8000
	s_and_saveexec_b64 s[36:37], s[4:5]
	s_cbranch_execz .LBB266_14
; %bb.11:                               ;   in Loop: Header=BB266_9 Depth=1
	v_and_b32_e32 v1, 0x7f, v9
	v_cmp_ne_u32_e64 s[4:5], s43, v1
	v_mov_b32_e32 v21, 0x7c01
	s_and_saveexec_b64 s[38:39], s[4:5]
	s_cbranch_execz .LBB266_13
; %bb.12:                               ;   in Loop: Header=BB266_9 Depth=1
	v_and_b32_e32 v23, 7, v9
	v_ffbh_u32_e32 v21, v23
	v_min_u32_e32 v25, 32, v21
	v_subrev_u32_e32 v21, 28, v25
	v_lshlrev_b64 v[21:22], v21, v[9:10]
	v_lshrrev_b32_e32 v24, 3, v1
	v_sub_u32_e32 v22, 29, v25
	v_cmp_gt_u32_e64 s[4:5], 8, v1
	v_cndmask_b32_e64 v1, v24, v22, s[4:5]
	v_lshl_add_u32 v1, v1, 10, v18
	v_lshlrev_b32_e32 v22, 8, v9
	v_and_b32_e32 v21, 7, v21
	v_and_b32_e32 v1, 0xfc00, v1
	v_cndmask_b32_e64 v21, v23, v21, s[4:5]
	v_and_or_b32 v1, v22, s44, v1
	v_lshl_or_b32 v21, v21, 7, v1
.LBB266_13:                             ;   in Loop: Header=BB266_9 Depth=1
	s_or_b64 exec, exec, s[38:39]
.LBB266_14:                             ;   in Loop: Header=BB266_9 Depth=1
	s_or_b64 exec, exec, s[36:37]
.LBB266_15:                             ;   in Loop: Header=BB266_9 Depth=1
	s_or_b64 exec, exec, s[34:35]
	v_lshrrev_b16_e32 v1, 8, v9
	v_cmp_ne_u16_e64 s[4:5], 0, v1
	v_mov_b32_e32 v22, 0
	v_mov_b32_e32 v23, 0
	s_and_saveexec_b64 s[34:35], s[4:5]
	s_cbranch_execz .LBB266_21
; %bb.16:                               ;   in Loop: Header=BB266_9 Depth=1
	v_cmp_ne_u16_e64 s[4:5], s42, v1
	v_bfrev_b32_e32 v23, 1
	s_and_saveexec_b64 s[36:37], s[4:5]
	s_cbranch_execz .LBB266_20
; %bb.17:                               ;   in Loop: Header=BB266_9 Depth=1
	v_and_b32_e32 v24, 0x7f, v1
	v_cmp_ne_u32_e64 s[4:5], s43, v24
	v_mov_b32_e32 v23, 0x7c010000
	s_and_saveexec_b64 s[38:39], s[4:5]
	s_cbranch_execz .LBB266_19
; %bb.18:                               ;   in Loop: Header=BB266_9 Depth=1
	v_and_b32_e32 v23, 7, v1
	v_ffbh_u32_e32 v25, v23
	v_min_u32_e32 v28, 32, v25
	v_subrev_u32_e32 v25, 28, v28
	v_lshlrev_b64 v[25:26], v25, v[1:2]
	v_lshrrev_b32_e32 v27, 3, v24
	v_sub_u32_e32 v26, 29, v28
	v_cmp_gt_u32_e64 s[4:5], 8, v24
	v_cndmask_b32_e64 v24, v27, v26, s[4:5]
	v_lshlrev_b32_e32 v1, 8, v1
	v_lshl_add_u32 v24, v24, 10, v18
	v_and_b32_e32 v25, 7, v25
	v_and_or_b32 v1, v1, s44, v24
	v_cndmask_b32_e64 v23, v23, v25, s[4:5]
	v_lshlrev_b32_e32 v1, 16, v1
	v_lshl_or_b32 v23, v23, 23, v1
.LBB266_19:                             ;   in Loop: Header=BB266_9 Depth=1
	s_or_b64 exec, exec, s[38:39]
.LBB266_20:                             ;   in Loop: Header=BB266_9 Depth=1
	s_or_b64 exec, exec, s[36:37]
.LBB266_21:                             ;   in Loop: Header=BB266_9 Depth=1
	s_or_b64 exec, exec, s[34:35]
	v_lshrrev_b32_e32 v1, 16, v9
	v_cmp_ne_u16_sdwa s[4:5], v1, v2 src0_sel:BYTE_0 src1_sel:DWORD
	s_and_saveexec_b64 s[34:35], s[4:5]
	s_cbranch_execz .LBB266_27
; %bb.22:                               ;   in Loop: Header=BB266_9 Depth=1
	v_cmp_ne_u16_sdwa s[4:5], v1, s42 src0_sel:BYTE_0 src1_sel:DWORD
	v_mov_b32_e32 v22, 0x8000
	s_and_saveexec_b64 s[36:37], s[4:5]
	s_cbranch_execz .LBB266_26
; %bb.23:                               ;   in Loop: Header=BB266_9 Depth=1
	v_bfe_u32 v24, v9, 16, 7
	v_cmp_ne_u32_e64 s[4:5], s43, v24
	v_mov_b32_e32 v22, 0x7c01
	s_and_saveexec_b64 s[38:39], s[4:5]
	s_cbranch_execz .LBB266_25
; %bb.24:                               ;   in Loop: Header=BB266_9 Depth=1
	v_and_b32_e32 v22, 7, v1
	v_ffbh_u32_e32 v25, v22
	v_min_u32_e32 v28, 32, v25
	v_subrev_u32_e32 v25, 28, v28
	v_lshlrev_b64 v[25:26], v25, v[1:2]
	v_lshrrev_b32_e32 v27, 3, v24
	v_sub_u32_e32 v26, 29, v28
	v_cmp_gt_u32_e64 s[4:5], 8, v24
	v_cndmask_b32_e64 v24, v27, v26, s[4:5]
	v_lshl_add_u32 v24, v24, 10, v18
	v_lshlrev_b32_e32 v1, 8, v1
	v_and_b32_e32 v25, 7, v25
	v_and_b32_e32 v24, 0xfc00, v24
	v_cndmask_b32_e64 v22, v22, v25, s[4:5]
	v_and_or_b32 v1, v1, s44, v24
	v_lshl_or_b32 v22, v22, 7, v1
.LBB266_25:                             ;   in Loop: Header=BB266_9 Depth=1
	s_or_b64 exec, exec, s[38:39]
.LBB266_26:                             ;   in Loop: Header=BB266_9 Depth=1
	s_or_b64 exec, exec, s[36:37]
.LBB266_27:                             ;   in Loop: Header=BB266_9 Depth=1
	s_or_b64 exec, exec, s[34:35]
	v_cmp_lt_u32_e64 s[4:5], s45, v9
	v_mov_b32_e32 v25, 0
	v_mov_b32_e32 v24, 0
	s_and_saveexec_b64 s[34:35], s[4:5]
	s_cbranch_execz .LBB266_33
; %bb.28:                               ;   in Loop: Header=BB266_9 Depth=1
	v_lshrrev_b32_e32 v1, 24, v9
	v_cmp_ne_u32_e64 s[4:5], s42, v1
	v_bfrev_b32_e32 v24, 1
	s_and_saveexec_b64 s[36:37], s[4:5]
	s_cbranch_execz .LBB266_32
; %bb.29:                               ;   in Loop: Header=BB266_9 Depth=1
	v_and_b32_e32 v9, 0x7f, v1
	v_cmp_ne_u32_e64 s[4:5], s43, v9
	v_mov_b32_e32 v24, 0x7c010000
	s_and_saveexec_b64 s[38:39], s[4:5]
	s_cbranch_execz .LBB266_31
; %bb.30:                               ;   in Loop: Header=BB266_9 Depth=1
	v_and_b32_e32 v24, 7, v1
	v_ffbh_u32_e32 v26, v24
	v_min_u32_e32 v29, 32, v26
	v_subrev_u32_e32 v26, 28, v29
	v_lshlrev_b64 v[26:27], v26, v[1:2]
	v_lshrrev_b32_e32 v28, 3, v9
	v_sub_u32_e32 v27, 29, v29
	v_cmp_gt_u32_e64 s[4:5], 8, v9
	v_cndmask_b32_e64 v9, v28, v27, s[4:5]
	v_lshlrev_b32_e32 v1, 8, v1
	v_lshl_add_u32 v9, v9, 10, v18
	v_and_b32_e32 v26, 7, v26
	v_and_or_b32 v1, v1, s44, v9
	v_cndmask_b32_e64 v24, v24, v26, s[4:5]
	v_lshlrev_b32_e32 v1, 16, v1
	v_lshl_or_b32 v24, v24, 23, v1
.LBB266_31:                             ;   in Loop: Header=BB266_9 Depth=1
	s_or_b64 exec, exec, s[38:39]
.LBB266_32:                             ;   in Loop: Header=BB266_9 Depth=1
	s_or_b64 exec, exec, s[36:37]
.LBB266_33:                             ;   in Loop: Header=BB266_9 Depth=1
	s_or_b64 exec, exec, s[34:35]
	global_load_dword v9, v[7:8], off offset:8
	s_waitcnt vmcnt(0)
	v_cmp_ne_u16_sdwa s[4:5], v9, v2 src0_sel:BYTE_0 src1_sel:DWORD
	s_and_saveexec_b64 s[34:35], s[4:5]
	s_cbranch_execz .LBB266_39
; %bb.34:                               ;   in Loop: Header=BB266_9 Depth=1
	v_cmp_ne_u16_sdwa s[4:5], v9, s42 src0_sel:BYTE_0 src1_sel:DWORD
	v_mov_b32_e32 v25, 0x8000
	s_and_saveexec_b64 s[36:37], s[4:5]
	s_cbranch_execz .LBB266_38
; %bb.35:                               ;   in Loop: Header=BB266_9 Depth=1
	v_and_b32_e32 v1, 0x7f, v9
	v_cmp_ne_u32_e64 s[4:5], s43, v1
	v_mov_b32_e32 v25, 0x7c01
	s_and_saveexec_b64 s[38:39], s[4:5]
	s_cbranch_execz .LBB266_37
; %bb.36:                               ;   in Loop: Header=BB266_9 Depth=1
	v_and_b32_e32 v27, 7, v9
	v_ffbh_u32_e32 v25, v27
	v_min_u32_e32 v29, 32, v25
	v_subrev_u32_e32 v25, 28, v29
	v_lshlrev_b64 v[25:26], v25, v[9:10]
	v_lshrrev_b32_e32 v28, 3, v1
	v_sub_u32_e32 v26, 29, v29
	v_cmp_gt_u32_e64 s[4:5], 8, v1
	v_cndmask_b32_e64 v1, v28, v26, s[4:5]
	v_lshl_add_u32 v1, v1, 10, v18
	v_lshlrev_b32_e32 v26, 8, v9
	v_and_b32_e32 v25, 7, v25
	v_and_b32_e32 v1, 0xfc00, v1
	v_cndmask_b32_e64 v25, v27, v25, s[4:5]
	v_and_or_b32 v1, v26, s44, v1
	v_lshl_or_b32 v25, v25, 7, v1
.LBB266_37:                             ;   in Loop: Header=BB266_9 Depth=1
	s_or_b64 exec, exec, s[38:39]
.LBB266_38:                             ;   in Loop: Header=BB266_9 Depth=1
	s_or_b64 exec, exec, s[36:37]
.LBB266_39:                             ;   in Loop: Header=BB266_9 Depth=1
	s_or_b64 exec, exec, s[34:35]
	v_lshrrev_b16_e32 v1, 8, v9
	v_cmp_ne_u16_e64 s[4:5], 0, v1
	v_mov_b32_e32 v26, 0
	v_mov_b32_e32 v27, 0
	s_and_saveexec_b64 s[34:35], s[4:5]
	s_cbranch_execz .LBB266_45
; %bb.40:                               ;   in Loop: Header=BB266_9 Depth=1
	v_cmp_ne_u16_e64 s[4:5], s42, v1
	v_bfrev_b32_e32 v27, 1
	s_and_saveexec_b64 s[36:37], s[4:5]
	s_cbranch_execz .LBB266_44
; %bb.41:                               ;   in Loop: Header=BB266_9 Depth=1
	v_and_b32_e32 v28, 0x7f, v1
	v_cmp_ne_u32_e64 s[4:5], s43, v28
	v_mov_b32_e32 v27, 0x7c010000
	s_and_saveexec_b64 s[38:39], s[4:5]
	s_cbranch_execz .LBB266_43
; %bb.42:                               ;   in Loop: Header=BB266_9 Depth=1
	v_and_b32_e32 v27, 7, v1
	v_ffbh_u32_e32 v29, v27
	v_min_u32_e32 v32, 32, v29
	v_subrev_u32_e32 v29, 28, v32
	v_lshlrev_b64 v[29:30], v29, v[1:2]
	v_lshrrev_b32_e32 v31, 3, v28
	v_sub_u32_e32 v30, 29, v32
	v_cmp_gt_u32_e64 s[4:5], 8, v28
	v_cndmask_b32_e64 v28, v31, v30, s[4:5]
	v_lshlrev_b32_e32 v1, 8, v1
	v_lshl_add_u32 v28, v28, 10, v18
	v_and_b32_e32 v29, 7, v29
	v_and_or_b32 v1, v1, s44, v28
	v_cndmask_b32_e64 v27, v27, v29, s[4:5]
	v_lshlrev_b32_e32 v1, 16, v1
	v_lshl_or_b32 v27, v27, 23, v1
.LBB266_43:                             ;   in Loop: Header=BB266_9 Depth=1
	s_or_b64 exec, exec, s[38:39]
.LBB266_44:                             ;   in Loop: Header=BB266_9 Depth=1
	s_or_b64 exec, exec, s[36:37]
.LBB266_45:                             ;   in Loop: Header=BB266_9 Depth=1
	s_or_b64 exec, exec, s[34:35]
	v_lshrrev_b32_e32 v1, 16, v9
	v_cmp_ne_u16_sdwa s[4:5], v1, v2 src0_sel:BYTE_0 src1_sel:DWORD
	s_and_saveexec_b64 s[34:35], s[4:5]
	s_cbranch_execz .LBB266_51
; %bb.46:                               ;   in Loop: Header=BB266_9 Depth=1
	v_cmp_ne_u16_sdwa s[4:5], v1, s42 src0_sel:BYTE_0 src1_sel:DWORD
	v_mov_b32_e32 v26, 0x8000
	s_and_saveexec_b64 s[36:37], s[4:5]
	s_cbranch_execz .LBB266_50
; %bb.47:                               ;   in Loop: Header=BB266_9 Depth=1
	v_bfe_u32 v28, v9, 16, 7
	v_cmp_ne_u32_e64 s[4:5], s43, v28
	v_mov_b32_e32 v26, 0x7c01
	s_and_saveexec_b64 s[38:39], s[4:5]
	s_cbranch_execz .LBB266_49
; %bb.48:                               ;   in Loop: Header=BB266_9 Depth=1
	v_and_b32_e32 v26, 7, v1
	v_ffbh_u32_e32 v29, v26
	v_min_u32_e32 v32, 32, v29
	v_subrev_u32_e32 v29, 28, v32
	v_lshlrev_b64 v[29:30], v29, v[1:2]
	v_lshrrev_b32_e32 v31, 3, v28
	v_sub_u32_e32 v30, 29, v32
	v_cmp_gt_u32_e64 s[4:5], 8, v28
	v_cndmask_b32_e64 v28, v31, v30, s[4:5]
	v_lshl_add_u32 v28, v28, 10, v18
	v_lshlrev_b32_e32 v1, 8, v1
	v_and_b32_e32 v29, 7, v29
	v_and_b32_e32 v28, 0xfc00, v28
	v_cndmask_b32_e64 v26, v26, v29, s[4:5]
	v_and_or_b32 v1, v1, s44, v28
	v_lshl_or_b32 v26, v26, 7, v1
.LBB266_49:                             ;   in Loop: Header=BB266_9 Depth=1
	s_or_b64 exec, exec, s[38:39]
.LBB266_50:                             ;   in Loop: Header=BB266_9 Depth=1
	s_or_b64 exec, exec, s[36:37]
.LBB266_51:                             ;   in Loop: Header=BB266_9 Depth=1
	s_or_b64 exec, exec, s[34:35]
	v_cmp_lt_u32_e64 s[4:5], s45, v9
	v_mov_b32_e32 v29, 0
	v_mov_b32_e32 v28, 0
	s_and_saveexec_b64 s[34:35], s[4:5]
	s_cbranch_execz .LBB266_57
; %bb.52:                               ;   in Loop: Header=BB266_9 Depth=1
	v_lshrrev_b32_e32 v1, 24, v9
	v_cmp_ne_u32_e64 s[4:5], s42, v1
	v_bfrev_b32_e32 v28, 1
	s_and_saveexec_b64 s[36:37], s[4:5]
	s_cbranch_execz .LBB266_56
; %bb.53:                               ;   in Loop: Header=BB266_9 Depth=1
	v_and_b32_e32 v9, 0x7f, v1
	v_cmp_ne_u32_e64 s[4:5], s43, v9
	v_mov_b32_e32 v28, 0x7c010000
	s_and_saveexec_b64 s[38:39], s[4:5]
	s_cbranch_execz .LBB266_55
; %bb.54:                               ;   in Loop: Header=BB266_9 Depth=1
	v_and_b32_e32 v28, 7, v1
	v_ffbh_u32_e32 v30, v28
	v_min_u32_e32 v33, 32, v30
	v_subrev_u32_e32 v30, 28, v33
	v_lshlrev_b64 v[30:31], v30, v[1:2]
	v_lshrrev_b32_e32 v32, 3, v9
	v_sub_u32_e32 v31, 29, v33
	v_cmp_gt_u32_e64 s[4:5], 8, v9
	v_cndmask_b32_e64 v9, v32, v31, s[4:5]
	v_lshlrev_b32_e32 v1, 8, v1
	v_lshl_add_u32 v9, v9, 10, v18
	v_and_b32_e32 v30, 7, v30
	v_and_or_b32 v1, v1, s44, v9
	v_cndmask_b32_e64 v28, v28, v30, s[4:5]
	v_lshlrev_b32_e32 v1, 16, v1
	v_lshl_or_b32 v28, v28, 23, v1
.LBB266_55:                             ;   in Loop: Header=BB266_9 Depth=1
	s_or_b64 exec, exec, s[38:39]
.LBB266_56:                             ;   in Loop: Header=BB266_9 Depth=1
	s_or_b64 exec, exec, s[36:37]
.LBB266_57:                             ;   in Loop: Header=BB266_9 Depth=1
	s_or_b64 exec, exec, s[34:35]
	global_load_dword v9, v[7:8], off offset:512
	s_waitcnt vmcnt(0)
	v_cmp_ne_u16_sdwa s[4:5], v9, v2 src0_sel:BYTE_0 src1_sel:DWORD
	s_and_saveexec_b64 s[34:35], s[4:5]
	s_cbranch_execz .LBB266_63
; %bb.58:                               ;   in Loop: Header=BB266_9 Depth=1
	v_cmp_ne_u16_sdwa s[4:5], v9, s42 src0_sel:BYTE_0 src1_sel:DWORD
	v_mov_b32_e32 v29, 0x8000
	s_and_saveexec_b64 s[36:37], s[4:5]
	s_cbranch_execz .LBB266_62
; %bb.59:                               ;   in Loop: Header=BB266_9 Depth=1
	v_and_b32_e32 v1, 0x7f, v9
	v_cmp_ne_u32_e64 s[4:5], s43, v1
	v_mov_b32_e32 v29, 0x7c01
	s_and_saveexec_b64 s[38:39], s[4:5]
	s_cbranch_execz .LBB266_61
; %bb.60:                               ;   in Loop: Header=BB266_9 Depth=1
	v_and_b32_e32 v31, 7, v9
	v_ffbh_u32_e32 v29, v31
	v_min_u32_e32 v33, 32, v29
	v_subrev_u32_e32 v29, 28, v33
	v_lshlrev_b64 v[29:30], v29, v[9:10]
	v_lshrrev_b32_e32 v32, 3, v1
	v_sub_u32_e32 v30, 29, v33
	v_cmp_gt_u32_e64 s[4:5], 8, v1
	v_cndmask_b32_e64 v1, v32, v30, s[4:5]
	v_lshl_add_u32 v1, v1, 10, v18
	v_lshlrev_b32_e32 v30, 8, v9
	v_and_b32_e32 v29, 7, v29
	v_and_b32_e32 v1, 0xfc00, v1
	v_cndmask_b32_e64 v29, v31, v29, s[4:5]
	v_and_or_b32 v1, v30, s44, v1
	v_lshl_or_b32 v29, v29, 7, v1
.LBB266_61:                             ;   in Loop: Header=BB266_9 Depth=1
	s_or_b64 exec, exec, s[38:39]
.LBB266_62:                             ;   in Loop: Header=BB266_9 Depth=1
	s_or_b64 exec, exec, s[36:37]
.LBB266_63:                             ;   in Loop: Header=BB266_9 Depth=1
	s_or_b64 exec, exec, s[34:35]
	v_lshrrev_b16_e32 v1, 8, v9
	v_cmp_ne_u16_e64 s[4:5], 0, v1
	v_mov_b32_e32 v30, 0
	v_mov_b32_e32 v31, 0
	s_and_saveexec_b64 s[34:35], s[4:5]
	s_cbranch_execz .LBB266_69
; %bb.64:                               ;   in Loop: Header=BB266_9 Depth=1
	v_cmp_ne_u16_e64 s[4:5], s42, v1
	v_bfrev_b32_e32 v31, 1
	s_and_saveexec_b64 s[36:37], s[4:5]
	s_cbranch_execz .LBB266_68
; %bb.65:                               ;   in Loop: Header=BB266_9 Depth=1
	v_and_b32_e32 v32, 0x7f, v1
	v_cmp_ne_u32_e64 s[4:5], s43, v32
	v_mov_b32_e32 v31, 0x7c010000
	s_and_saveexec_b64 s[38:39], s[4:5]
	s_cbranch_execz .LBB266_67
; %bb.66:                               ;   in Loop: Header=BB266_9 Depth=1
	v_and_b32_e32 v31, 7, v1
	v_ffbh_u32_e32 v33, v31
	v_min_u32_e32 v36, 32, v33
	v_subrev_u32_e32 v33, 28, v36
	v_lshlrev_b64 v[33:34], v33, v[1:2]
	v_lshrrev_b32_e32 v35, 3, v32
	v_sub_u32_e32 v34, 29, v36
	v_cmp_gt_u32_e64 s[4:5], 8, v32
	v_cndmask_b32_e64 v32, v35, v34, s[4:5]
	v_lshlrev_b32_e32 v1, 8, v1
	v_lshl_add_u32 v32, v32, 10, v18
	v_and_b32_e32 v33, 7, v33
	v_and_or_b32 v1, v1, s44, v32
	v_cndmask_b32_e64 v31, v31, v33, s[4:5]
	v_lshlrev_b32_e32 v1, 16, v1
	v_lshl_or_b32 v31, v31, 23, v1
.LBB266_67:                             ;   in Loop: Header=BB266_9 Depth=1
	s_or_b64 exec, exec, s[38:39]
.LBB266_68:                             ;   in Loop: Header=BB266_9 Depth=1
	s_or_b64 exec, exec, s[36:37]
.LBB266_69:                             ;   in Loop: Header=BB266_9 Depth=1
	s_or_b64 exec, exec, s[34:35]
	v_lshrrev_b32_e32 v1, 16, v9
	v_cmp_ne_u16_sdwa s[4:5], v1, v2 src0_sel:BYTE_0 src1_sel:DWORD
	s_and_saveexec_b64 s[34:35], s[4:5]
	s_cbranch_execz .LBB266_75
; %bb.70:                               ;   in Loop: Header=BB266_9 Depth=1
	v_cmp_ne_u16_sdwa s[4:5], v1, s42 src0_sel:BYTE_0 src1_sel:DWORD
	v_mov_b32_e32 v30, 0x8000
	s_and_saveexec_b64 s[36:37], s[4:5]
	s_cbranch_execz .LBB266_74
; %bb.71:                               ;   in Loop: Header=BB266_9 Depth=1
	v_bfe_u32 v32, v9, 16, 7
	v_cmp_ne_u32_e64 s[4:5], s43, v32
	v_mov_b32_e32 v30, 0x7c01
	s_and_saveexec_b64 s[38:39], s[4:5]
	s_cbranch_execz .LBB266_73
; %bb.72:                               ;   in Loop: Header=BB266_9 Depth=1
	v_and_b32_e32 v30, 7, v1
	v_ffbh_u32_e32 v33, v30
	v_min_u32_e32 v36, 32, v33
	v_subrev_u32_e32 v33, 28, v36
	v_lshlrev_b64 v[33:34], v33, v[1:2]
	v_lshrrev_b32_e32 v35, 3, v32
	v_sub_u32_e32 v34, 29, v36
	v_cmp_gt_u32_e64 s[4:5], 8, v32
	v_cndmask_b32_e64 v32, v35, v34, s[4:5]
	v_lshl_add_u32 v32, v32, 10, v18
	v_lshlrev_b32_e32 v1, 8, v1
	v_and_b32_e32 v33, 7, v33
	v_and_b32_e32 v32, 0xfc00, v32
	v_cndmask_b32_e64 v30, v30, v33, s[4:5]
	v_and_or_b32 v1, v1, s44, v32
	v_lshl_or_b32 v30, v30, 7, v1
.LBB266_73:                             ;   in Loop: Header=BB266_9 Depth=1
	s_or_b64 exec, exec, s[38:39]
.LBB266_74:                             ;   in Loop: Header=BB266_9 Depth=1
	s_or_b64 exec, exec, s[36:37]
.LBB266_75:                             ;   in Loop: Header=BB266_9 Depth=1
	s_or_b64 exec, exec, s[34:35]
	v_cmp_lt_u32_e64 s[4:5], s45, v9
	v_mov_b32_e32 v33, 0
	v_mov_b32_e32 v32, 0
	s_and_saveexec_b64 s[34:35], s[4:5]
	s_cbranch_execz .LBB266_81
; %bb.76:                               ;   in Loop: Header=BB266_9 Depth=1
	v_lshrrev_b32_e32 v1, 24, v9
	v_cmp_ne_u32_e64 s[4:5], s42, v1
	v_bfrev_b32_e32 v32, 1
	s_and_saveexec_b64 s[36:37], s[4:5]
	s_cbranch_execz .LBB266_80
; %bb.77:                               ;   in Loop: Header=BB266_9 Depth=1
	v_and_b32_e32 v9, 0x7f, v1
	v_cmp_ne_u32_e64 s[4:5], s43, v9
	v_mov_b32_e32 v32, 0x7c010000
	s_and_saveexec_b64 s[38:39], s[4:5]
	s_cbranch_execz .LBB266_79
; %bb.78:                               ;   in Loop: Header=BB266_9 Depth=1
	v_and_b32_e32 v32, 7, v1
	v_ffbh_u32_e32 v34, v32
	v_min_u32_e32 v37, 32, v34
	v_subrev_u32_e32 v34, 28, v37
	v_lshlrev_b64 v[34:35], v34, v[1:2]
	v_lshrrev_b32_e32 v36, 3, v9
	v_sub_u32_e32 v35, 29, v37
	v_cmp_gt_u32_e64 s[4:5], 8, v9
	v_cndmask_b32_e64 v9, v36, v35, s[4:5]
	v_lshlrev_b32_e32 v1, 8, v1
	v_lshl_add_u32 v9, v9, 10, v18
	v_and_b32_e32 v34, 7, v34
	v_and_or_b32 v1, v1, s44, v9
	v_cndmask_b32_e64 v32, v32, v34, s[4:5]
	v_lshlrev_b32_e32 v1, 16, v1
	v_lshl_or_b32 v32, v32, 23, v1
.LBB266_79:                             ;   in Loop: Header=BB266_9 Depth=1
	s_or_b64 exec, exec, s[38:39]
.LBB266_80:                             ;   in Loop: Header=BB266_9 Depth=1
	s_or_b64 exec, exec, s[36:37]
.LBB266_81:                             ;   in Loop: Header=BB266_9 Depth=1
	s_or_b64 exec, exec, s[34:35]
	global_load_dword v9, v[7:8], off offset:520
	s_waitcnt vmcnt(0)
	v_cmp_ne_u16_sdwa s[4:5], v9, v2 src0_sel:BYTE_0 src1_sel:DWORD
	s_and_saveexec_b64 s[34:35], s[4:5]
	s_cbranch_execz .LBB266_87
; %bb.82:                               ;   in Loop: Header=BB266_9 Depth=1
	v_cmp_ne_u16_sdwa s[4:5], v9, s42 src0_sel:BYTE_0 src1_sel:DWORD
	v_mov_b32_e32 v33, 0x8000
	s_and_saveexec_b64 s[36:37], s[4:5]
	s_cbranch_execz .LBB266_86
; %bb.83:                               ;   in Loop: Header=BB266_9 Depth=1
	v_and_b32_e32 v1, 0x7f, v9
	v_cmp_ne_u32_e64 s[4:5], s43, v1
	v_mov_b32_e32 v33, 0x7c01
	s_and_saveexec_b64 s[38:39], s[4:5]
	s_cbranch_execz .LBB266_85
; %bb.84:                               ;   in Loop: Header=BB266_9 Depth=1
	v_and_b32_e32 v35, 7, v9
	v_ffbh_u32_e32 v33, v35
	v_min_u32_e32 v37, 32, v33
	v_subrev_u32_e32 v33, 28, v37
	v_lshlrev_b64 v[33:34], v33, v[9:10]
	v_lshrrev_b32_e32 v36, 3, v1
	v_sub_u32_e32 v34, 29, v37
	v_cmp_gt_u32_e64 s[4:5], 8, v1
	v_cndmask_b32_e64 v1, v36, v34, s[4:5]
	v_lshl_add_u32 v1, v1, 10, v18
	v_lshlrev_b32_e32 v34, 8, v9
	v_and_b32_e32 v33, 7, v33
	v_and_b32_e32 v1, 0xfc00, v1
	v_cndmask_b32_e64 v33, v35, v33, s[4:5]
	v_and_or_b32 v1, v34, s44, v1
	v_lshl_or_b32 v33, v33, 7, v1
.LBB266_85:                             ;   in Loop: Header=BB266_9 Depth=1
	s_or_b64 exec, exec, s[38:39]
.LBB266_86:                             ;   in Loop: Header=BB266_9 Depth=1
	s_or_b64 exec, exec, s[36:37]
.LBB266_87:                             ;   in Loop: Header=BB266_9 Depth=1
	s_or_b64 exec, exec, s[34:35]
	v_lshrrev_b16_e32 v1, 8, v9
	v_cmp_ne_u16_e64 s[4:5], 0, v1
	v_mov_b32_e32 v34, 0
	v_mov_b32_e32 v35, 0
	s_and_saveexec_b64 s[34:35], s[4:5]
	s_cbranch_execz .LBB266_93
; %bb.88:                               ;   in Loop: Header=BB266_9 Depth=1
	v_cmp_ne_u16_e64 s[4:5], s42, v1
	v_bfrev_b32_e32 v35, 1
	s_and_saveexec_b64 s[36:37], s[4:5]
	s_cbranch_execz .LBB266_92
; %bb.89:                               ;   in Loop: Header=BB266_9 Depth=1
	v_and_b32_e32 v36, 0x7f, v1
	v_cmp_ne_u32_e64 s[4:5], s43, v36
	v_mov_b32_e32 v35, 0x7c010000
	s_and_saveexec_b64 s[38:39], s[4:5]
	s_cbranch_execz .LBB266_91
; %bb.90:                               ;   in Loop: Header=BB266_9 Depth=1
	v_and_b32_e32 v35, 7, v1
	v_ffbh_u32_e32 v37, v35
	v_min_u32_e32 v40, 32, v37
	v_subrev_u32_e32 v37, 28, v40
	v_lshlrev_b64 v[37:38], v37, v[1:2]
	v_lshrrev_b32_e32 v39, 3, v36
	v_sub_u32_e32 v38, 29, v40
	v_cmp_gt_u32_e64 s[4:5], 8, v36
	v_cndmask_b32_e64 v36, v39, v38, s[4:5]
	v_lshlrev_b32_e32 v1, 8, v1
	v_lshl_add_u32 v36, v36, 10, v18
	v_and_b32_e32 v37, 7, v37
	v_and_or_b32 v1, v1, s44, v36
	v_cndmask_b32_e64 v35, v35, v37, s[4:5]
	v_lshlrev_b32_e32 v1, 16, v1
	v_lshl_or_b32 v35, v35, 23, v1
.LBB266_91:                             ;   in Loop: Header=BB266_9 Depth=1
	s_or_b64 exec, exec, s[38:39]
.LBB266_92:                             ;   in Loop: Header=BB266_9 Depth=1
	s_or_b64 exec, exec, s[36:37]
.LBB266_93:                             ;   in Loop: Header=BB266_9 Depth=1
	s_or_b64 exec, exec, s[34:35]
	v_lshrrev_b32_e32 v1, 16, v9
	v_cmp_ne_u16_sdwa s[4:5], v1, v2 src0_sel:BYTE_0 src1_sel:DWORD
	s_and_saveexec_b64 s[34:35], s[4:5]
	s_cbranch_execz .LBB266_99
; %bb.94:                               ;   in Loop: Header=BB266_9 Depth=1
	v_cmp_ne_u16_sdwa s[4:5], v1, s42 src0_sel:BYTE_0 src1_sel:DWORD
	v_mov_b32_e32 v34, 0x8000
	s_and_saveexec_b64 s[36:37], s[4:5]
	s_cbranch_execz .LBB266_98
; %bb.95:                               ;   in Loop: Header=BB266_9 Depth=1
	v_bfe_u32 v36, v9, 16, 7
	v_cmp_ne_u32_e64 s[4:5], s43, v36
	v_mov_b32_e32 v34, 0x7c01
	s_and_saveexec_b64 s[38:39], s[4:5]
	s_cbranch_execz .LBB266_97
; %bb.96:                               ;   in Loop: Header=BB266_9 Depth=1
	v_and_b32_e32 v34, 7, v1
	v_ffbh_u32_e32 v37, v34
	v_min_u32_e32 v40, 32, v37
	v_subrev_u32_e32 v37, 28, v40
	v_lshlrev_b64 v[37:38], v37, v[1:2]
	v_lshrrev_b32_e32 v39, 3, v36
	v_sub_u32_e32 v38, 29, v40
	v_cmp_gt_u32_e64 s[4:5], 8, v36
	v_cndmask_b32_e64 v36, v39, v38, s[4:5]
	v_lshl_add_u32 v36, v36, 10, v18
	v_lshlrev_b32_e32 v1, 8, v1
	v_and_b32_e32 v37, 7, v37
	v_and_b32_e32 v36, 0xfc00, v36
	v_cndmask_b32_e64 v34, v34, v37, s[4:5]
	v_and_or_b32 v1, v1, s44, v36
	v_lshl_or_b32 v34, v34, 7, v1
.LBB266_97:                             ;   in Loop: Header=BB266_9 Depth=1
	s_or_b64 exec, exec, s[38:39]
.LBB266_98:                             ;   in Loop: Header=BB266_9 Depth=1
	s_or_b64 exec, exec, s[36:37]
.LBB266_99:                             ;   in Loop: Header=BB266_9 Depth=1
	s_or_b64 exec, exec, s[34:35]
	v_cmp_lt_u32_e64 s[4:5], s45, v9
	v_mov_b32_e32 v37, 0
	v_mov_b32_e32 v36, 0
	s_and_saveexec_b64 s[34:35], s[4:5]
	s_cbranch_execz .LBB266_105
; %bb.100:                              ;   in Loop: Header=BB266_9 Depth=1
	v_lshrrev_b32_e32 v1, 24, v9
	v_cmp_ne_u32_e64 s[4:5], s42, v1
	v_bfrev_b32_e32 v36, 1
	s_and_saveexec_b64 s[36:37], s[4:5]
	s_cbranch_execz .LBB266_104
; %bb.101:                              ;   in Loop: Header=BB266_9 Depth=1
	v_and_b32_e32 v9, 0x7f, v1
	v_cmp_ne_u32_e64 s[4:5], s43, v9
	v_mov_b32_e32 v36, 0x7c010000
	s_and_saveexec_b64 s[38:39], s[4:5]
	s_cbranch_execz .LBB266_103
; %bb.102:                              ;   in Loop: Header=BB266_9 Depth=1
	v_and_b32_e32 v36, 7, v1
	v_ffbh_u32_e32 v38, v36
	v_min_u32_e32 v41, 32, v38
	v_subrev_u32_e32 v38, 28, v41
	v_lshlrev_b64 v[38:39], v38, v[1:2]
	v_lshrrev_b32_e32 v40, 3, v9
	v_sub_u32_e32 v39, 29, v41
	v_cmp_gt_u32_e64 s[4:5], 8, v9
	v_cndmask_b32_e64 v9, v40, v39, s[4:5]
	v_lshlrev_b32_e32 v1, 8, v1
	v_lshl_add_u32 v9, v9, 10, v18
	v_and_b32_e32 v38, 7, v38
	v_and_or_b32 v1, v1, s44, v9
	v_cndmask_b32_e64 v36, v36, v38, s[4:5]
	v_lshlrev_b32_e32 v1, 16, v1
	v_lshl_or_b32 v36, v36, 23, v1
.LBB266_103:                            ;   in Loop: Header=BB266_9 Depth=1
	s_or_b64 exec, exec, s[38:39]
.LBB266_104:                            ;   in Loop: Header=BB266_9 Depth=1
	s_or_b64 exec, exec, s[36:37]
.LBB266_105:                            ;   in Loop: Header=BB266_9 Depth=1
	s_or_b64 exec, exec, s[34:35]
	global_load_dword v9, v[7:8], off offset:1024
	s_waitcnt vmcnt(0)
	v_cmp_ne_u16_sdwa s[4:5], v9, v2 src0_sel:BYTE_0 src1_sel:DWORD
	s_and_saveexec_b64 s[34:35], s[4:5]
	s_cbranch_execz .LBB266_111
; %bb.106:                              ;   in Loop: Header=BB266_9 Depth=1
	v_cmp_ne_u16_sdwa s[4:5], v9, s42 src0_sel:BYTE_0 src1_sel:DWORD
	v_mov_b32_e32 v37, 0x8000
	s_and_saveexec_b64 s[36:37], s[4:5]
	s_cbranch_execz .LBB266_110
; %bb.107:                              ;   in Loop: Header=BB266_9 Depth=1
	v_and_b32_e32 v1, 0x7f, v9
	v_cmp_ne_u32_e64 s[4:5], s43, v1
	v_mov_b32_e32 v37, 0x7c01
	s_and_saveexec_b64 s[38:39], s[4:5]
	s_cbranch_execz .LBB266_109
; %bb.108:                              ;   in Loop: Header=BB266_9 Depth=1
	v_and_b32_e32 v39, 7, v9
	v_ffbh_u32_e32 v37, v39
	v_min_u32_e32 v41, 32, v37
	v_subrev_u32_e32 v37, 28, v41
	v_lshlrev_b64 v[37:38], v37, v[9:10]
	v_lshrrev_b32_e32 v40, 3, v1
	v_sub_u32_e32 v38, 29, v41
	v_cmp_gt_u32_e64 s[4:5], 8, v1
	v_cndmask_b32_e64 v1, v40, v38, s[4:5]
	v_lshl_add_u32 v1, v1, 10, v18
	v_lshlrev_b32_e32 v38, 8, v9
	v_and_b32_e32 v37, 7, v37
	v_and_b32_e32 v1, 0xfc00, v1
	v_cndmask_b32_e64 v37, v39, v37, s[4:5]
	v_and_or_b32 v1, v38, s44, v1
	v_lshl_or_b32 v37, v37, 7, v1
.LBB266_109:                            ;   in Loop: Header=BB266_9 Depth=1
	s_or_b64 exec, exec, s[38:39]
.LBB266_110:                            ;   in Loop: Header=BB266_9 Depth=1
	s_or_b64 exec, exec, s[36:37]
.LBB266_111:                            ;   in Loop: Header=BB266_9 Depth=1
	s_or_b64 exec, exec, s[34:35]
	v_lshrrev_b16_e32 v1, 8, v9
	v_cmp_ne_u16_e64 s[4:5], 0, v1
	v_mov_b32_e32 v38, 0
	v_mov_b32_e32 v39, 0
	s_and_saveexec_b64 s[34:35], s[4:5]
	s_cbranch_execz .LBB266_117
; %bb.112:                              ;   in Loop: Header=BB266_9 Depth=1
	v_cmp_ne_u16_e64 s[4:5], s42, v1
	v_bfrev_b32_e32 v39, 1
	s_and_saveexec_b64 s[36:37], s[4:5]
	s_cbranch_execz .LBB266_116
; %bb.113:                              ;   in Loop: Header=BB266_9 Depth=1
	v_and_b32_e32 v40, 0x7f, v1
	v_cmp_ne_u32_e64 s[4:5], s43, v40
	v_mov_b32_e32 v39, 0x7c010000
	s_and_saveexec_b64 s[38:39], s[4:5]
	s_cbranch_execz .LBB266_115
; %bb.114:                              ;   in Loop: Header=BB266_9 Depth=1
	v_and_b32_e32 v39, 7, v1
	v_ffbh_u32_e32 v41, v39
	v_min_u32_e32 v44, 32, v41
	v_subrev_u32_e32 v41, 28, v44
	v_lshlrev_b64 v[41:42], v41, v[1:2]
	v_lshrrev_b32_e32 v43, 3, v40
	v_sub_u32_e32 v42, 29, v44
	v_cmp_gt_u32_e64 s[4:5], 8, v40
	v_cndmask_b32_e64 v40, v43, v42, s[4:5]
	v_lshlrev_b32_e32 v1, 8, v1
	v_lshl_add_u32 v40, v40, 10, v18
	v_and_b32_e32 v41, 7, v41
	v_and_or_b32 v1, v1, s44, v40
	v_cndmask_b32_e64 v39, v39, v41, s[4:5]
	v_lshlrev_b32_e32 v1, 16, v1
	v_lshl_or_b32 v39, v39, 23, v1
.LBB266_115:                            ;   in Loop: Header=BB266_9 Depth=1
	s_or_b64 exec, exec, s[38:39]
.LBB266_116:                            ;   in Loop: Header=BB266_9 Depth=1
	s_or_b64 exec, exec, s[36:37]
.LBB266_117:                            ;   in Loop: Header=BB266_9 Depth=1
	s_or_b64 exec, exec, s[34:35]
	v_lshrrev_b32_e32 v1, 16, v9
	v_cmp_ne_u16_sdwa s[4:5], v1, v2 src0_sel:BYTE_0 src1_sel:DWORD
	s_and_saveexec_b64 s[34:35], s[4:5]
	s_cbranch_execz .LBB266_123
; %bb.118:                              ;   in Loop: Header=BB266_9 Depth=1
	v_cmp_ne_u16_sdwa s[4:5], v1, s42 src0_sel:BYTE_0 src1_sel:DWORD
	v_mov_b32_e32 v38, 0x8000
	s_and_saveexec_b64 s[36:37], s[4:5]
	s_cbranch_execz .LBB266_122
; %bb.119:                              ;   in Loop: Header=BB266_9 Depth=1
	v_bfe_u32 v40, v9, 16, 7
	v_cmp_ne_u32_e64 s[4:5], s43, v40
	v_mov_b32_e32 v38, 0x7c01
	s_and_saveexec_b64 s[38:39], s[4:5]
	s_cbranch_execz .LBB266_121
; %bb.120:                              ;   in Loop: Header=BB266_9 Depth=1
	v_and_b32_e32 v38, 7, v1
	v_ffbh_u32_e32 v41, v38
	v_min_u32_e32 v44, 32, v41
	v_subrev_u32_e32 v41, 28, v44
	v_lshlrev_b64 v[41:42], v41, v[1:2]
	v_lshrrev_b32_e32 v43, 3, v40
	v_sub_u32_e32 v42, 29, v44
	v_cmp_gt_u32_e64 s[4:5], 8, v40
	v_cndmask_b32_e64 v40, v43, v42, s[4:5]
	v_lshl_add_u32 v40, v40, 10, v18
	v_lshlrev_b32_e32 v1, 8, v1
	v_and_b32_e32 v41, 7, v41
	v_and_b32_e32 v40, 0xfc00, v40
	v_cndmask_b32_e64 v38, v38, v41, s[4:5]
	v_and_or_b32 v1, v1, s44, v40
	v_lshl_or_b32 v38, v38, 7, v1
.LBB266_121:                            ;   in Loop: Header=BB266_9 Depth=1
	s_or_b64 exec, exec, s[38:39]
.LBB266_122:                            ;   in Loop: Header=BB266_9 Depth=1
	s_or_b64 exec, exec, s[36:37]
.LBB266_123:                            ;   in Loop: Header=BB266_9 Depth=1
	s_or_b64 exec, exec, s[34:35]
	v_cmp_lt_u32_e64 s[4:5], s45, v9
	v_mov_b32_e32 v41, 0
	v_mov_b32_e32 v40, 0
	s_and_saveexec_b64 s[34:35], s[4:5]
	s_cbranch_execz .LBB266_129
; %bb.124:                              ;   in Loop: Header=BB266_9 Depth=1
	v_lshrrev_b32_e32 v1, 24, v9
	v_cmp_ne_u32_e64 s[4:5], s42, v1
	v_bfrev_b32_e32 v40, 1
	s_and_saveexec_b64 s[36:37], s[4:5]
	s_cbranch_execz .LBB266_128
; %bb.125:                              ;   in Loop: Header=BB266_9 Depth=1
	v_and_b32_e32 v9, 0x7f, v1
	v_cmp_ne_u32_e64 s[4:5], s43, v9
	v_mov_b32_e32 v40, 0x7c010000
	s_and_saveexec_b64 s[38:39], s[4:5]
	s_cbranch_execz .LBB266_127
; %bb.126:                              ;   in Loop: Header=BB266_9 Depth=1
	v_and_b32_e32 v40, 7, v1
	v_ffbh_u32_e32 v42, v40
	v_min_u32_e32 v45, 32, v42
	v_subrev_u32_e32 v42, 28, v45
	v_lshlrev_b64 v[42:43], v42, v[1:2]
	v_lshrrev_b32_e32 v44, 3, v9
	v_sub_u32_e32 v43, 29, v45
	v_cmp_gt_u32_e64 s[4:5], 8, v9
	v_cndmask_b32_e64 v9, v44, v43, s[4:5]
	v_lshlrev_b32_e32 v1, 8, v1
	v_lshl_add_u32 v9, v9, 10, v18
	v_and_b32_e32 v42, 7, v42
	v_and_or_b32 v1, v1, s44, v9
	v_cndmask_b32_e64 v40, v40, v42, s[4:5]
	v_lshlrev_b32_e32 v1, 16, v1
	v_lshl_or_b32 v40, v40, 23, v1
.LBB266_127:                            ;   in Loop: Header=BB266_9 Depth=1
	s_or_b64 exec, exec, s[38:39]
.LBB266_128:                            ;   in Loop: Header=BB266_9 Depth=1
	s_or_b64 exec, exec, s[36:37]
.LBB266_129:                            ;   in Loop: Header=BB266_9 Depth=1
	s_or_b64 exec, exec, s[34:35]
	global_load_dword v9, v[7:8], off offset:1032
	s_waitcnt vmcnt(0)
	v_cmp_ne_u16_sdwa s[4:5], v9, v2 src0_sel:BYTE_0 src1_sel:DWORD
	s_and_saveexec_b64 s[34:35], s[4:5]
	s_cbranch_execz .LBB266_135
; %bb.130:                              ;   in Loop: Header=BB266_9 Depth=1
	v_cmp_ne_u16_sdwa s[4:5], v9, s42 src0_sel:BYTE_0 src1_sel:DWORD
	v_mov_b32_e32 v41, 0x8000
	s_and_saveexec_b64 s[36:37], s[4:5]
	s_cbranch_execz .LBB266_134
; %bb.131:                              ;   in Loop: Header=BB266_9 Depth=1
	v_and_b32_e32 v1, 0x7f, v9
	v_cmp_ne_u32_e64 s[4:5], s43, v1
	v_mov_b32_e32 v41, 0x7c01
	s_and_saveexec_b64 s[38:39], s[4:5]
	s_cbranch_execz .LBB266_133
; %bb.132:                              ;   in Loop: Header=BB266_9 Depth=1
	v_and_b32_e32 v43, 7, v9
	v_ffbh_u32_e32 v41, v43
	v_min_u32_e32 v45, 32, v41
	v_subrev_u32_e32 v41, 28, v45
	v_lshlrev_b64 v[41:42], v41, v[9:10]
	v_lshrrev_b32_e32 v44, 3, v1
	v_sub_u32_e32 v42, 29, v45
	v_cmp_gt_u32_e64 s[4:5], 8, v1
	v_cndmask_b32_e64 v1, v44, v42, s[4:5]
	v_lshl_add_u32 v1, v1, 10, v18
	v_lshlrev_b32_e32 v42, 8, v9
	v_and_b32_e32 v41, 7, v41
	v_and_b32_e32 v1, 0xfc00, v1
	v_cndmask_b32_e64 v41, v43, v41, s[4:5]
	v_and_or_b32 v1, v42, s44, v1
	v_lshl_or_b32 v41, v41, 7, v1
.LBB266_133:                            ;   in Loop: Header=BB266_9 Depth=1
	s_or_b64 exec, exec, s[38:39]
.LBB266_134:                            ;   in Loop: Header=BB266_9 Depth=1
	s_or_b64 exec, exec, s[36:37]
.LBB266_135:                            ;   in Loop: Header=BB266_9 Depth=1
	s_or_b64 exec, exec, s[34:35]
	v_lshrrev_b16_e32 v1, 8, v9
	v_cmp_ne_u16_e64 s[4:5], 0, v1
	v_mov_b32_e32 v42, 0
	v_mov_b32_e32 v43, 0
	s_and_saveexec_b64 s[34:35], s[4:5]
	s_cbranch_execz .LBB266_141
; %bb.136:                              ;   in Loop: Header=BB266_9 Depth=1
	v_cmp_ne_u16_e64 s[4:5], s42, v1
	v_bfrev_b32_e32 v43, 1
	s_and_saveexec_b64 s[36:37], s[4:5]
	s_cbranch_execz .LBB266_140
; %bb.137:                              ;   in Loop: Header=BB266_9 Depth=1
	v_and_b32_e32 v44, 0x7f, v1
	v_cmp_ne_u32_e64 s[4:5], s43, v44
	v_mov_b32_e32 v43, 0x7c010000
	s_and_saveexec_b64 s[38:39], s[4:5]
	s_cbranch_execz .LBB266_139
; %bb.138:                              ;   in Loop: Header=BB266_9 Depth=1
	v_and_b32_e32 v43, 7, v1
	v_ffbh_u32_e32 v45, v43
	v_min_u32_e32 v48, 32, v45
	v_subrev_u32_e32 v45, 28, v48
	v_lshlrev_b64 v[45:46], v45, v[1:2]
	v_lshrrev_b32_e32 v47, 3, v44
	v_sub_u32_e32 v46, 29, v48
	v_cmp_gt_u32_e64 s[4:5], 8, v44
	v_cndmask_b32_e64 v44, v47, v46, s[4:5]
	v_lshlrev_b32_e32 v1, 8, v1
	v_lshl_add_u32 v44, v44, 10, v18
	v_and_b32_e32 v45, 7, v45
	v_and_or_b32 v1, v1, s44, v44
	v_cndmask_b32_e64 v43, v43, v45, s[4:5]
	v_lshlrev_b32_e32 v1, 16, v1
	v_lshl_or_b32 v43, v43, 23, v1
.LBB266_139:                            ;   in Loop: Header=BB266_9 Depth=1
	s_or_b64 exec, exec, s[38:39]
.LBB266_140:                            ;   in Loop: Header=BB266_9 Depth=1
	s_or_b64 exec, exec, s[36:37]
.LBB266_141:                            ;   in Loop: Header=BB266_9 Depth=1
	s_or_b64 exec, exec, s[34:35]
	v_lshrrev_b32_e32 v1, 16, v9
	v_cmp_ne_u16_sdwa s[4:5], v1, v2 src0_sel:BYTE_0 src1_sel:DWORD
	s_and_saveexec_b64 s[34:35], s[4:5]
	s_cbranch_execz .LBB266_147
; %bb.142:                              ;   in Loop: Header=BB266_9 Depth=1
	v_cmp_ne_u16_sdwa s[4:5], v1, s42 src0_sel:BYTE_0 src1_sel:DWORD
	v_mov_b32_e32 v42, 0x8000
	s_and_saveexec_b64 s[36:37], s[4:5]
	s_cbranch_execz .LBB266_146
; %bb.143:                              ;   in Loop: Header=BB266_9 Depth=1
	v_bfe_u32 v44, v9, 16, 7
	v_cmp_ne_u32_e64 s[4:5], s43, v44
	v_mov_b32_e32 v42, 0x7c01
	s_and_saveexec_b64 s[38:39], s[4:5]
	s_cbranch_execz .LBB266_145
; %bb.144:                              ;   in Loop: Header=BB266_9 Depth=1
	v_and_b32_e32 v42, 7, v1
	v_ffbh_u32_e32 v45, v42
	v_min_u32_e32 v48, 32, v45
	v_subrev_u32_e32 v45, 28, v48
	v_lshlrev_b64 v[45:46], v45, v[1:2]
	v_lshrrev_b32_e32 v47, 3, v44
	v_sub_u32_e32 v46, 29, v48
	v_cmp_gt_u32_e64 s[4:5], 8, v44
	v_cndmask_b32_e64 v44, v47, v46, s[4:5]
	v_lshl_add_u32 v44, v44, 10, v18
	v_lshlrev_b32_e32 v1, 8, v1
	v_and_b32_e32 v45, 7, v45
	v_and_b32_e32 v44, 0xfc00, v44
	v_cndmask_b32_e64 v42, v42, v45, s[4:5]
	v_and_or_b32 v1, v1, s44, v44
	v_lshl_or_b32 v42, v42, 7, v1
.LBB266_145:                            ;   in Loop: Header=BB266_9 Depth=1
	s_or_b64 exec, exec, s[38:39]
.LBB266_146:                            ;   in Loop: Header=BB266_9 Depth=1
	s_or_b64 exec, exec, s[36:37]
.LBB266_147:                            ;   in Loop: Header=BB266_9 Depth=1
	s_or_b64 exec, exec, s[34:35]
	v_cmp_lt_u32_e64 s[4:5], s45, v9
	v_mov_b32_e32 v45, 0
	v_mov_b32_e32 v44, 0
	s_and_saveexec_b64 s[34:35], s[4:5]
	s_cbranch_execz .LBB266_153
; %bb.148:                              ;   in Loop: Header=BB266_9 Depth=1
	v_lshrrev_b32_e32 v1, 24, v9
	v_cmp_ne_u32_e64 s[4:5], s42, v1
	v_bfrev_b32_e32 v44, 1
	s_and_saveexec_b64 s[36:37], s[4:5]
	s_cbranch_execz .LBB266_152
; %bb.149:                              ;   in Loop: Header=BB266_9 Depth=1
	v_and_b32_e32 v9, 0x7f, v1
	v_cmp_ne_u32_e64 s[4:5], s43, v9
	v_mov_b32_e32 v44, 0x7c010000
	s_and_saveexec_b64 s[38:39], s[4:5]
	s_cbranch_execz .LBB266_151
; %bb.150:                              ;   in Loop: Header=BB266_9 Depth=1
	v_and_b32_e32 v44, 7, v1
	v_ffbh_u32_e32 v46, v44
	v_min_u32_e32 v49, 32, v46
	v_subrev_u32_e32 v46, 28, v49
	v_lshlrev_b64 v[46:47], v46, v[1:2]
	v_lshrrev_b32_e32 v48, 3, v9
	v_sub_u32_e32 v47, 29, v49
	v_cmp_gt_u32_e64 s[4:5], 8, v9
	v_cndmask_b32_e64 v9, v48, v47, s[4:5]
	v_lshlrev_b32_e32 v1, 8, v1
	v_lshl_add_u32 v9, v9, 10, v18
	v_and_b32_e32 v46, 7, v46
	v_and_or_b32 v1, v1, s44, v9
	v_cndmask_b32_e64 v44, v44, v46, s[4:5]
	v_lshlrev_b32_e32 v1, 16, v1
	v_lshl_or_b32 v44, v44, 23, v1
.LBB266_151:                            ;   in Loop: Header=BB266_9 Depth=1
	s_or_b64 exec, exec, s[38:39]
.LBB266_152:                            ;   in Loop: Header=BB266_9 Depth=1
	s_or_b64 exec, exec, s[36:37]
.LBB266_153:                            ;   in Loop: Header=BB266_9 Depth=1
	s_or_b64 exec, exec, s[34:35]
	global_load_dword v9, v[7:8], off offset:1536
	s_waitcnt vmcnt(0)
	v_cmp_ne_u16_sdwa s[4:5], v9, v2 src0_sel:BYTE_0 src1_sel:DWORD
	s_and_saveexec_b64 s[34:35], s[4:5]
	s_cbranch_execz .LBB266_159
; %bb.154:                              ;   in Loop: Header=BB266_9 Depth=1
	v_cmp_ne_u16_sdwa s[4:5], v9, s42 src0_sel:BYTE_0 src1_sel:DWORD
	v_mov_b32_e32 v45, 0x8000
	s_and_saveexec_b64 s[36:37], s[4:5]
	s_cbranch_execz .LBB266_158
; %bb.155:                              ;   in Loop: Header=BB266_9 Depth=1
	v_and_b32_e32 v1, 0x7f, v9
	v_cmp_ne_u32_e64 s[4:5], s43, v1
	v_mov_b32_e32 v45, 0x7c01
	s_and_saveexec_b64 s[38:39], s[4:5]
	s_cbranch_execz .LBB266_157
; %bb.156:                              ;   in Loop: Header=BB266_9 Depth=1
	v_and_b32_e32 v47, 7, v9
	v_ffbh_u32_e32 v45, v47
	v_min_u32_e32 v49, 32, v45
	v_subrev_u32_e32 v45, 28, v49
	v_lshlrev_b64 v[45:46], v45, v[9:10]
	v_lshrrev_b32_e32 v48, 3, v1
	v_sub_u32_e32 v46, 29, v49
	v_cmp_gt_u32_e64 s[4:5], 8, v1
	v_cndmask_b32_e64 v1, v48, v46, s[4:5]
	v_lshl_add_u32 v1, v1, 10, v18
	v_lshlrev_b32_e32 v46, 8, v9
	v_and_b32_e32 v45, 7, v45
	v_and_b32_e32 v1, 0xfc00, v1
	v_cndmask_b32_e64 v45, v47, v45, s[4:5]
	v_and_or_b32 v1, v46, s44, v1
	v_lshl_or_b32 v45, v45, 7, v1
.LBB266_157:                            ;   in Loop: Header=BB266_9 Depth=1
	s_or_b64 exec, exec, s[38:39]
.LBB266_158:                            ;   in Loop: Header=BB266_9 Depth=1
	s_or_b64 exec, exec, s[36:37]
.LBB266_159:                            ;   in Loop: Header=BB266_9 Depth=1
	s_or_b64 exec, exec, s[34:35]
	v_lshrrev_b16_e32 v1, 8, v9
	v_cmp_ne_u16_e64 s[4:5], 0, v1
	v_mov_b32_e32 v46, 0
	v_mov_b32_e32 v47, 0
	s_and_saveexec_b64 s[34:35], s[4:5]
	s_cbranch_execz .LBB266_165
; %bb.160:                              ;   in Loop: Header=BB266_9 Depth=1
	v_cmp_ne_u16_e64 s[4:5], s42, v1
	v_bfrev_b32_e32 v47, 1
	s_and_saveexec_b64 s[36:37], s[4:5]
	s_cbranch_execz .LBB266_164
; %bb.161:                              ;   in Loop: Header=BB266_9 Depth=1
	v_and_b32_e32 v48, 0x7f, v1
	v_cmp_ne_u32_e64 s[4:5], s43, v48
	v_mov_b32_e32 v47, 0x7c010000
	s_and_saveexec_b64 s[38:39], s[4:5]
	s_cbranch_execz .LBB266_163
; %bb.162:                              ;   in Loop: Header=BB266_9 Depth=1
	v_and_b32_e32 v47, 7, v1
	v_ffbh_u32_e32 v49, v47
	v_min_u32_e32 v52, 32, v49
	v_subrev_u32_e32 v49, 28, v52
	v_lshlrev_b64 v[49:50], v49, v[1:2]
	v_lshrrev_b32_e32 v51, 3, v48
	v_sub_u32_e32 v50, 29, v52
	v_cmp_gt_u32_e64 s[4:5], 8, v48
	v_cndmask_b32_e64 v48, v51, v50, s[4:5]
	v_lshlrev_b32_e32 v1, 8, v1
	v_lshl_add_u32 v48, v48, 10, v18
	v_and_b32_e32 v49, 7, v49
	v_and_or_b32 v1, v1, s44, v48
	v_cndmask_b32_e64 v47, v47, v49, s[4:5]
	v_lshlrev_b32_e32 v1, 16, v1
	v_lshl_or_b32 v47, v47, 23, v1
.LBB266_163:                            ;   in Loop: Header=BB266_9 Depth=1
	s_or_b64 exec, exec, s[38:39]
.LBB266_164:                            ;   in Loop: Header=BB266_9 Depth=1
	s_or_b64 exec, exec, s[36:37]
.LBB266_165:                            ;   in Loop: Header=BB266_9 Depth=1
	s_or_b64 exec, exec, s[34:35]
	v_lshrrev_b32_e32 v1, 16, v9
	v_cmp_ne_u16_sdwa s[4:5], v1, v2 src0_sel:BYTE_0 src1_sel:DWORD
	s_and_saveexec_b64 s[34:35], s[4:5]
	s_cbranch_execz .LBB266_171
; %bb.166:                              ;   in Loop: Header=BB266_9 Depth=1
	v_cmp_ne_u16_sdwa s[4:5], v1, s42 src0_sel:BYTE_0 src1_sel:DWORD
	v_mov_b32_e32 v46, 0x8000
	s_and_saveexec_b64 s[36:37], s[4:5]
	s_cbranch_execz .LBB266_170
; %bb.167:                              ;   in Loop: Header=BB266_9 Depth=1
	v_bfe_u32 v48, v9, 16, 7
	v_cmp_ne_u32_e64 s[4:5], s43, v48
	v_mov_b32_e32 v46, 0x7c01
	s_and_saveexec_b64 s[38:39], s[4:5]
	s_cbranch_execz .LBB266_169
; %bb.168:                              ;   in Loop: Header=BB266_9 Depth=1
	v_and_b32_e32 v46, 7, v1
	v_ffbh_u32_e32 v49, v46
	v_min_u32_e32 v52, 32, v49
	v_subrev_u32_e32 v49, 28, v52
	v_lshlrev_b64 v[49:50], v49, v[1:2]
	v_lshrrev_b32_e32 v51, 3, v48
	v_sub_u32_e32 v50, 29, v52
	v_cmp_gt_u32_e64 s[4:5], 8, v48
	v_cndmask_b32_e64 v48, v51, v50, s[4:5]
	v_lshl_add_u32 v48, v48, 10, v18
	v_lshlrev_b32_e32 v1, 8, v1
	v_and_b32_e32 v49, 7, v49
	v_and_b32_e32 v48, 0xfc00, v48
	v_cndmask_b32_e64 v46, v46, v49, s[4:5]
	v_and_or_b32 v1, v1, s44, v48
	v_lshl_or_b32 v46, v46, 7, v1
.LBB266_169:                            ;   in Loop: Header=BB266_9 Depth=1
	s_or_b64 exec, exec, s[38:39]
.LBB266_170:                            ;   in Loop: Header=BB266_9 Depth=1
	s_or_b64 exec, exec, s[36:37]
.LBB266_171:                            ;   in Loop: Header=BB266_9 Depth=1
	s_or_b64 exec, exec, s[34:35]
	v_cmp_lt_u32_e64 s[4:5], s45, v9
	v_mov_b32_e32 v49, 0
	v_mov_b32_e32 v48, 0
	s_and_saveexec_b64 s[34:35], s[4:5]
	s_cbranch_execz .LBB266_177
; %bb.172:                              ;   in Loop: Header=BB266_9 Depth=1
	v_lshrrev_b32_e32 v1, 24, v9
	v_cmp_ne_u32_e64 s[4:5], s42, v1
	v_bfrev_b32_e32 v48, 1
	s_and_saveexec_b64 s[36:37], s[4:5]
	s_cbranch_execz .LBB266_176
; %bb.173:                              ;   in Loop: Header=BB266_9 Depth=1
	v_and_b32_e32 v9, 0x7f, v1
	v_cmp_ne_u32_e64 s[4:5], s43, v9
	v_mov_b32_e32 v48, 0x7c010000
	s_and_saveexec_b64 s[38:39], s[4:5]
	s_cbranch_execz .LBB266_175
; %bb.174:                              ;   in Loop: Header=BB266_9 Depth=1
	v_and_b32_e32 v48, 7, v1
	v_ffbh_u32_e32 v50, v48
	v_min_u32_e32 v53, 32, v50
	v_subrev_u32_e32 v50, 28, v53
	v_lshlrev_b64 v[50:51], v50, v[1:2]
	v_lshrrev_b32_e32 v52, 3, v9
	v_sub_u32_e32 v51, 29, v53
	v_cmp_gt_u32_e64 s[4:5], 8, v9
	v_cndmask_b32_e64 v9, v52, v51, s[4:5]
	v_lshlrev_b32_e32 v1, 8, v1
	v_lshl_add_u32 v9, v9, 10, v18
	v_and_b32_e32 v50, 7, v50
	v_and_or_b32 v1, v1, s44, v9
	v_cndmask_b32_e64 v48, v48, v50, s[4:5]
	v_lshlrev_b32_e32 v1, 16, v1
	v_lshl_or_b32 v48, v48, 23, v1
.LBB266_175:                            ;   in Loop: Header=BB266_9 Depth=1
	s_or_b64 exec, exec, s[38:39]
.LBB266_176:                            ;   in Loop: Header=BB266_9 Depth=1
	s_or_b64 exec, exec, s[36:37]
.LBB266_177:                            ;   in Loop: Header=BB266_9 Depth=1
	s_or_b64 exec, exec, s[34:35]
	global_load_dword v9, v[7:8], off offset:1544
	s_waitcnt vmcnt(0)
	v_cmp_ne_u16_sdwa s[4:5], v9, v2 src0_sel:BYTE_0 src1_sel:DWORD
	s_and_saveexec_b64 s[34:35], s[4:5]
	s_cbranch_execz .LBB266_183
; %bb.178:                              ;   in Loop: Header=BB266_9 Depth=1
	v_cmp_ne_u16_sdwa s[4:5], v9, s42 src0_sel:BYTE_0 src1_sel:DWORD
	v_mov_b32_e32 v49, 0x8000
	s_and_saveexec_b64 s[36:37], s[4:5]
	s_cbranch_execz .LBB266_182
; %bb.179:                              ;   in Loop: Header=BB266_9 Depth=1
	v_and_b32_e32 v1, 0x7f, v9
	v_cmp_ne_u32_e64 s[4:5], s43, v1
	v_mov_b32_e32 v49, 0x7c01
	s_and_saveexec_b64 s[38:39], s[4:5]
	s_cbranch_execz .LBB266_181
; %bb.180:                              ;   in Loop: Header=BB266_9 Depth=1
	v_and_b32_e32 v51, 7, v9
	v_ffbh_u32_e32 v49, v51
	v_min_u32_e32 v53, 32, v49
	v_subrev_u32_e32 v49, 28, v53
	v_lshlrev_b64 v[49:50], v49, v[9:10]
	v_lshrrev_b32_e32 v52, 3, v1
	v_sub_u32_e32 v50, 29, v53
	v_cmp_gt_u32_e64 s[4:5], 8, v1
	v_cndmask_b32_e64 v1, v52, v50, s[4:5]
	v_lshl_add_u32 v1, v1, 10, v18
	v_lshlrev_b32_e32 v50, 8, v9
	v_and_b32_e32 v49, 7, v49
	v_and_b32_e32 v1, 0xfc00, v1
	v_cndmask_b32_e64 v49, v51, v49, s[4:5]
	v_and_or_b32 v1, v50, s44, v1
	v_lshl_or_b32 v49, v49, 7, v1
.LBB266_181:                            ;   in Loop: Header=BB266_9 Depth=1
	s_or_b64 exec, exec, s[38:39]
.LBB266_182:                            ;   in Loop: Header=BB266_9 Depth=1
	s_or_b64 exec, exec, s[36:37]
.LBB266_183:                            ;   in Loop: Header=BB266_9 Depth=1
	s_or_b64 exec, exec, s[34:35]
	v_lshrrev_b16_e32 v1, 8, v9
	v_cmp_ne_u16_e64 s[4:5], 0, v1
	v_mov_b32_e32 v50, 0
	v_mov_b32_e32 v51, 0
	s_and_saveexec_b64 s[34:35], s[4:5]
	s_cbranch_execz .LBB266_189
; %bb.184:                              ;   in Loop: Header=BB266_9 Depth=1
	v_cmp_ne_u16_e64 s[4:5], s42, v1
	v_bfrev_b32_e32 v51, 1
	s_and_saveexec_b64 s[36:37], s[4:5]
	s_cbranch_execz .LBB266_188
; %bb.185:                              ;   in Loop: Header=BB266_9 Depth=1
	v_and_b32_e32 v52, 0x7f, v1
	v_cmp_ne_u32_e64 s[4:5], s43, v52
	v_mov_b32_e32 v51, 0x7c010000
	s_and_saveexec_b64 s[38:39], s[4:5]
	s_cbranch_execz .LBB266_187
; %bb.186:                              ;   in Loop: Header=BB266_9 Depth=1
	v_and_b32_e32 v51, 7, v1
	v_ffbh_u32_e32 v53, v51
	v_min_u32_e32 v56, 32, v53
	v_subrev_u32_e32 v53, 28, v56
	v_lshlrev_b64 v[53:54], v53, v[1:2]
	v_lshrrev_b32_e32 v55, 3, v52
	v_sub_u32_e32 v54, 29, v56
	v_cmp_gt_u32_e64 s[4:5], 8, v52
	v_cndmask_b32_e64 v52, v55, v54, s[4:5]
	v_lshlrev_b32_e32 v1, 8, v1
	v_lshl_add_u32 v52, v52, 10, v18
	v_and_b32_e32 v53, 7, v53
	v_and_or_b32 v1, v1, s44, v52
	v_cndmask_b32_e64 v51, v51, v53, s[4:5]
	v_lshlrev_b32_e32 v1, 16, v1
	v_lshl_or_b32 v51, v51, 23, v1
.LBB266_187:                            ;   in Loop: Header=BB266_9 Depth=1
	s_or_b64 exec, exec, s[38:39]
.LBB266_188:                            ;   in Loop: Header=BB266_9 Depth=1
	s_or_b64 exec, exec, s[36:37]
.LBB266_189:                            ;   in Loop: Header=BB266_9 Depth=1
	s_or_b64 exec, exec, s[34:35]
	v_lshrrev_b32_e32 v1, 16, v9
	v_cmp_ne_u16_sdwa s[4:5], v1, v2 src0_sel:BYTE_0 src1_sel:DWORD
	s_and_saveexec_b64 s[34:35], s[4:5]
	s_cbranch_execz .LBB266_195
; %bb.190:                              ;   in Loop: Header=BB266_9 Depth=1
	v_cmp_ne_u16_sdwa s[4:5], v1, s42 src0_sel:BYTE_0 src1_sel:DWORD
	v_mov_b32_e32 v50, 0x8000
	s_and_saveexec_b64 s[36:37], s[4:5]
	s_cbranch_execz .LBB266_194
; %bb.191:                              ;   in Loop: Header=BB266_9 Depth=1
	v_bfe_u32 v52, v9, 16, 7
	v_cmp_ne_u32_e64 s[4:5], s43, v52
	v_mov_b32_e32 v50, 0x7c01
	s_and_saveexec_b64 s[38:39], s[4:5]
	s_cbranch_execz .LBB266_193
; %bb.192:                              ;   in Loop: Header=BB266_9 Depth=1
	v_and_b32_e32 v50, 7, v1
	v_ffbh_u32_e32 v53, v50
	v_min_u32_e32 v56, 32, v53
	v_subrev_u32_e32 v53, 28, v56
	v_lshlrev_b64 v[53:54], v53, v[1:2]
	v_lshrrev_b32_e32 v55, 3, v52
	v_sub_u32_e32 v54, 29, v56
	v_cmp_gt_u32_e64 s[4:5], 8, v52
	v_cndmask_b32_e64 v52, v55, v54, s[4:5]
	v_lshl_add_u32 v52, v52, 10, v18
	v_lshlrev_b32_e32 v1, 8, v1
	v_and_b32_e32 v53, 7, v53
	v_and_b32_e32 v52, 0xfc00, v52
	v_cndmask_b32_e64 v50, v50, v53, s[4:5]
	v_and_or_b32 v1, v1, s44, v52
	v_lshl_or_b32 v50, v50, 7, v1
.LBB266_193:                            ;   in Loop: Header=BB266_9 Depth=1
	s_or_b64 exec, exec, s[38:39]
.LBB266_194:                            ;   in Loop: Header=BB266_9 Depth=1
	s_or_b64 exec, exec, s[36:37]
.LBB266_195:                            ;   in Loop: Header=BB266_9 Depth=1
	s_or_b64 exec, exec, s[34:35]
	v_cmp_lt_u32_e64 s[4:5], s45, v9
	v_mov_b32_e32 v53, 0
	v_mov_b32_e32 v52, 0
	s_and_saveexec_b64 s[34:35], s[4:5]
	s_cbranch_execz .LBB266_201
; %bb.196:                              ;   in Loop: Header=BB266_9 Depth=1
	v_lshrrev_b32_e32 v1, 24, v9
	v_cmp_ne_u32_e64 s[4:5], s42, v1
	v_bfrev_b32_e32 v52, 1
	s_and_saveexec_b64 s[36:37], s[4:5]
	s_cbranch_execz .LBB266_200
; %bb.197:                              ;   in Loop: Header=BB266_9 Depth=1
	v_and_b32_e32 v9, 0x7f, v1
	v_cmp_ne_u32_e64 s[4:5], s43, v9
	v_mov_b32_e32 v52, 0x7c010000
	s_and_saveexec_b64 s[38:39], s[4:5]
	s_cbranch_execz .LBB266_199
; %bb.198:                              ;   in Loop: Header=BB266_9 Depth=1
	v_and_b32_e32 v52, 7, v1
	v_ffbh_u32_e32 v54, v52
	v_min_u32_e32 v57, 32, v54
	v_subrev_u32_e32 v54, 28, v57
	v_lshlrev_b64 v[54:55], v54, v[1:2]
	v_lshrrev_b32_e32 v56, 3, v9
	v_sub_u32_e32 v55, 29, v57
	v_cmp_gt_u32_e64 s[4:5], 8, v9
	v_cndmask_b32_e64 v9, v56, v55, s[4:5]
	v_lshlrev_b32_e32 v1, 8, v1
	v_lshl_add_u32 v9, v9, 10, v18
	v_and_b32_e32 v54, 7, v54
	v_and_or_b32 v1, v1, s44, v9
	v_cndmask_b32_e64 v52, v52, v54, s[4:5]
	v_lshlrev_b32_e32 v1, 16, v1
	v_lshl_or_b32 v52, v52, 23, v1
.LBB266_199:                            ;   in Loop: Header=BB266_9 Depth=1
	s_or_b64 exec, exec, s[38:39]
.LBB266_200:                            ;   in Loop: Header=BB266_9 Depth=1
	s_or_b64 exec, exec, s[36:37]
.LBB266_201:                            ;   in Loop: Header=BB266_9 Depth=1
	s_or_b64 exec, exec, s[34:35]
	global_load_dword v9, v[7:8], off offset:2048
	s_waitcnt vmcnt(0)
	v_cmp_ne_u16_sdwa s[4:5], v9, v2 src0_sel:BYTE_0 src1_sel:DWORD
	s_and_saveexec_b64 s[34:35], s[4:5]
	s_cbranch_execz .LBB266_207
; %bb.202:                              ;   in Loop: Header=BB266_9 Depth=1
	v_cmp_ne_u16_sdwa s[4:5], v9, s42 src0_sel:BYTE_0 src1_sel:DWORD
	v_mov_b32_e32 v53, 0x8000
	s_and_saveexec_b64 s[36:37], s[4:5]
	s_cbranch_execz .LBB266_206
; %bb.203:                              ;   in Loop: Header=BB266_9 Depth=1
	v_and_b32_e32 v1, 0x7f, v9
	v_cmp_ne_u32_e64 s[4:5], s43, v1
	v_mov_b32_e32 v53, 0x7c01
	s_and_saveexec_b64 s[38:39], s[4:5]
	s_cbranch_execz .LBB266_205
; %bb.204:                              ;   in Loop: Header=BB266_9 Depth=1
	v_and_b32_e32 v55, 7, v9
	v_ffbh_u32_e32 v53, v55
	v_min_u32_e32 v57, 32, v53
	v_subrev_u32_e32 v53, 28, v57
	v_lshlrev_b64 v[53:54], v53, v[9:10]
	v_lshrrev_b32_e32 v56, 3, v1
	v_sub_u32_e32 v54, 29, v57
	v_cmp_gt_u32_e64 s[4:5], 8, v1
	v_cndmask_b32_e64 v1, v56, v54, s[4:5]
	v_lshl_add_u32 v1, v1, 10, v18
	v_lshlrev_b32_e32 v54, 8, v9
	v_and_b32_e32 v53, 7, v53
	v_and_b32_e32 v1, 0xfc00, v1
	v_cndmask_b32_e64 v53, v55, v53, s[4:5]
	v_and_or_b32 v1, v54, s44, v1
	v_lshl_or_b32 v53, v53, 7, v1
.LBB266_205:                            ;   in Loop: Header=BB266_9 Depth=1
	s_or_b64 exec, exec, s[38:39]
.LBB266_206:                            ;   in Loop: Header=BB266_9 Depth=1
	s_or_b64 exec, exec, s[36:37]
.LBB266_207:                            ;   in Loop: Header=BB266_9 Depth=1
	s_or_b64 exec, exec, s[34:35]
	v_lshrrev_b16_e32 v1, 8, v9
	v_cmp_ne_u16_e64 s[4:5], 0, v1
	v_mov_b32_e32 v54, 0
	v_mov_b32_e32 v55, 0
	s_and_saveexec_b64 s[34:35], s[4:5]
	s_cbranch_execz .LBB266_213
; %bb.208:                              ;   in Loop: Header=BB266_9 Depth=1
	v_cmp_ne_u16_e64 s[4:5], s42, v1
	v_bfrev_b32_e32 v55, 1
	s_and_saveexec_b64 s[36:37], s[4:5]
	s_cbranch_execz .LBB266_212
; %bb.209:                              ;   in Loop: Header=BB266_9 Depth=1
	v_and_b32_e32 v56, 0x7f, v1
	v_cmp_ne_u32_e64 s[4:5], s43, v56
	v_mov_b32_e32 v55, 0x7c010000
	s_and_saveexec_b64 s[38:39], s[4:5]
	s_cbranch_execz .LBB266_211
; %bb.210:                              ;   in Loop: Header=BB266_9 Depth=1
	v_and_b32_e32 v55, 7, v1
	v_ffbh_u32_e32 v57, v55
	v_min_u32_e32 v60, 32, v57
	v_subrev_u32_e32 v57, 28, v60
	v_lshlrev_b64 v[57:58], v57, v[1:2]
	v_lshrrev_b32_e32 v59, 3, v56
	v_sub_u32_e32 v58, 29, v60
	v_cmp_gt_u32_e64 s[4:5], 8, v56
	v_cndmask_b32_e64 v56, v59, v58, s[4:5]
	v_lshlrev_b32_e32 v1, 8, v1
	v_lshl_add_u32 v56, v56, 10, v18
	v_and_b32_e32 v57, 7, v57
	v_and_or_b32 v1, v1, s44, v56
	v_cndmask_b32_e64 v55, v55, v57, s[4:5]
	v_lshlrev_b32_e32 v1, 16, v1
	v_lshl_or_b32 v55, v55, 23, v1
.LBB266_211:                            ;   in Loop: Header=BB266_9 Depth=1
	s_or_b64 exec, exec, s[38:39]
.LBB266_212:                            ;   in Loop: Header=BB266_9 Depth=1
	s_or_b64 exec, exec, s[36:37]
.LBB266_213:                            ;   in Loop: Header=BB266_9 Depth=1
	s_or_b64 exec, exec, s[34:35]
	v_lshrrev_b32_e32 v1, 16, v9
	v_cmp_ne_u16_sdwa s[4:5], v1, v2 src0_sel:BYTE_0 src1_sel:DWORD
	s_and_saveexec_b64 s[34:35], s[4:5]
	s_cbranch_execz .LBB266_219
; %bb.214:                              ;   in Loop: Header=BB266_9 Depth=1
	v_cmp_ne_u16_sdwa s[4:5], v1, s42 src0_sel:BYTE_0 src1_sel:DWORD
	v_mov_b32_e32 v54, 0x8000
	s_and_saveexec_b64 s[36:37], s[4:5]
	s_cbranch_execz .LBB266_218
; %bb.215:                              ;   in Loop: Header=BB266_9 Depth=1
	v_bfe_u32 v56, v9, 16, 7
	v_cmp_ne_u32_e64 s[4:5], s43, v56
	v_mov_b32_e32 v54, 0x7c01
	s_and_saveexec_b64 s[38:39], s[4:5]
	s_cbranch_execz .LBB266_217
; %bb.216:                              ;   in Loop: Header=BB266_9 Depth=1
	v_and_b32_e32 v54, 7, v1
	v_ffbh_u32_e32 v57, v54
	v_min_u32_e32 v60, 32, v57
	v_subrev_u32_e32 v57, 28, v60
	v_lshlrev_b64 v[57:58], v57, v[1:2]
	v_lshrrev_b32_e32 v59, 3, v56
	v_sub_u32_e32 v58, 29, v60
	v_cmp_gt_u32_e64 s[4:5], 8, v56
	v_cndmask_b32_e64 v56, v59, v58, s[4:5]
	v_lshl_add_u32 v56, v56, 10, v18
	v_lshlrev_b32_e32 v1, 8, v1
	v_and_b32_e32 v57, 7, v57
	v_and_b32_e32 v56, 0xfc00, v56
	v_cndmask_b32_e64 v54, v54, v57, s[4:5]
	v_and_or_b32 v1, v1, s44, v56
	v_lshl_or_b32 v54, v54, 7, v1
.LBB266_217:                            ;   in Loop: Header=BB266_9 Depth=1
	s_or_b64 exec, exec, s[38:39]
.LBB266_218:                            ;   in Loop: Header=BB266_9 Depth=1
	s_or_b64 exec, exec, s[36:37]
.LBB266_219:                            ;   in Loop: Header=BB266_9 Depth=1
	s_or_b64 exec, exec, s[34:35]
	v_cmp_lt_u32_e64 s[4:5], s45, v9
	v_mov_b32_e32 v56, 0
	v_mov_b32_e32 v57, 0
	s_and_saveexec_b64 s[34:35], s[4:5]
	s_cbranch_execz .LBB266_225
; %bb.220:                              ;   in Loop: Header=BB266_9 Depth=1
	v_lshrrev_b32_e32 v1, 24, v9
	v_cmp_ne_u32_e64 s[4:5], s42, v1
	v_bfrev_b32_e32 v57, 1
	s_and_saveexec_b64 s[36:37], s[4:5]
	s_cbranch_execz .LBB266_224
; %bb.221:                              ;   in Loop: Header=BB266_9 Depth=1
	v_and_b32_e32 v9, 0x7f, v1
	v_cmp_ne_u32_e64 s[4:5], s43, v9
	v_mov_b32_e32 v57, 0x7c010000
	s_and_saveexec_b64 s[38:39], s[4:5]
	s_cbranch_execz .LBB266_223
; %bb.222:                              ;   in Loop: Header=BB266_9 Depth=1
	v_and_b32_e32 v59, 7, v1
	v_ffbh_u32_e32 v57, v59
	v_min_u32_e32 v61, 32, v57
	v_subrev_u32_e32 v57, 28, v61
	v_lshlrev_b64 v[57:58], v57, v[1:2]
	v_lshrrev_b32_e32 v60, 3, v9
	v_sub_u32_e32 v58, 29, v61
	v_cmp_gt_u32_e64 s[4:5], 8, v9
	v_cndmask_b32_e64 v9, v60, v58, s[4:5]
	v_lshlrev_b32_e32 v1, 8, v1
	v_lshl_add_u32 v9, v9, 10, v18
	v_and_b32_e32 v57, 7, v57
	v_and_or_b32 v1, v1, s44, v9
	v_cndmask_b32_e64 v57, v59, v57, s[4:5]
	v_lshlrev_b32_e32 v1, 16, v1
	v_lshl_or_b32 v57, v57, 23, v1
.LBB266_223:                            ;   in Loop: Header=BB266_9 Depth=1
	s_or_b64 exec, exec, s[38:39]
.LBB266_224:                            ;   in Loop: Header=BB266_9 Depth=1
	s_or_b64 exec, exec, s[36:37]
.LBB266_225:                            ;   in Loop: Header=BB266_9 Depth=1
	s_or_b64 exec, exec, s[34:35]
	global_load_dword v7, v[7:8], off offset:2056
	s_waitcnt vmcnt(0)
	v_cmp_ne_u16_sdwa s[4:5], v7, v2 src0_sel:BYTE_0 src1_sel:DWORD
	s_and_saveexec_b64 s[34:35], s[4:5]
	s_cbranch_execz .LBB266_231
; %bb.226:                              ;   in Loop: Header=BB266_9 Depth=1
	v_cmp_ne_u16_sdwa s[4:5], v7, s42 src0_sel:BYTE_0 src1_sel:DWORD
	v_mov_b32_e32 v56, 0x8000
	s_and_saveexec_b64 s[36:37], s[4:5]
	s_cbranch_execz .LBB266_230
; %bb.227:                              ;   in Loop: Header=BB266_9 Depth=1
	v_and_b32_e32 v1, 0x7f, v7
	v_cmp_ne_u32_e64 s[4:5], s43, v1
	v_mov_b32_e32 v56, 0x7c01
	s_and_saveexec_b64 s[38:39], s[4:5]
	s_cbranch_execz .LBB266_229
; %bb.228:                              ;   in Loop: Header=BB266_9 Depth=1
	v_and_b32_e32 v56, 7, v7
	v_ffbh_u32_e32 v8, v56
	v_min_u32_e32 v59, 32, v8
	v_subrev_u32_e32 v8, 28, v59
	v_lshlrev_b64 v[8:9], v8, v[7:8]
	v_lshrrev_b32_e32 v58, 3, v1
	v_sub_u32_e32 v9, 29, v59
	v_cmp_gt_u32_e64 s[4:5], 8, v1
	v_cndmask_b32_e64 v1, v58, v9, s[4:5]
	v_lshl_add_u32 v1, v1, 10, v18
	v_lshlrev_b32_e32 v9, 8, v7
	v_and_b32_e32 v8, 7, v8
	v_and_b32_e32 v1, 0xfc00, v1
	v_cndmask_b32_e64 v8, v56, v8, s[4:5]
	v_and_or_b32 v1, v9, s44, v1
	v_lshl_or_b32 v56, v8, 7, v1
.LBB266_229:                            ;   in Loop: Header=BB266_9 Depth=1
	s_or_b64 exec, exec, s[38:39]
.LBB266_230:                            ;   in Loop: Header=BB266_9 Depth=1
	s_or_b64 exec, exec, s[36:37]
.LBB266_231:                            ;   in Loop: Header=BB266_9 Depth=1
	s_or_b64 exec, exec, s[34:35]
	v_lshrrev_b16_e32 v1, 8, v7
	v_cmp_ne_u16_e64 s[4:5], 0, v1
	v_mov_b32_e32 v58, 0
	v_mov_b32_e32 v59, 0
	s_and_saveexec_b64 s[34:35], s[4:5]
	s_cbranch_execz .LBB266_237
; %bb.232:                              ;   in Loop: Header=BB266_9 Depth=1
	v_cmp_ne_u16_e64 s[4:5], s42, v1
	v_bfrev_b32_e32 v59, 1
	s_and_saveexec_b64 s[36:37], s[4:5]
	s_cbranch_execz .LBB266_236
; %bb.233:                              ;   in Loop: Header=BB266_9 Depth=1
	v_and_b32_e32 v8, 0x7f, v1
	v_cmp_ne_u32_e64 s[4:5], s43, v8
	v_mov_b32_e32 v59, 0x7c010000
	s_and_saveexec_b64 s[38:39], s[4:5]
	s_cbranch_execz .LBB266_235
; %bb.234:                              ;   in Loop: Header=BB266_9 Depth=1
	v_and_b32_e32 v9, 7, v1
	v_ffbh_u32_e32 v59, v9
	v_min_u32_e32 v62, 32, v59
	v_subrev_u32_e32 v59, 28, v62
	v_lshlrev_b64 v[59:60], v59, v[1:2]
	v_lshrrev_b32_e32 v61, 3, v8
	v_sub_u32_e32 v60, 29, v62
	v_cmp_gt_u32_e64 s[4:5], 8, v8
	v_cndmask_b32_e64 v8, v61, v60, s[4:5]
	v_lshlrev_b32_e32 v1, 8, v1
	v_lshl_add_u32 v8, v8, 10, v18
	v_and_b32_e32 v59, 7, v59
	v_and_or_b32 v1, v1, s44, v8
	v_cndmask_b32_e64 v9, v9, v59, s[4:5]
	v_lshlrev_b32_e32 v1, 16, v1
	v_lshl_or_b32 v59, v9, 23, v1
.LBB266_235:                            ;   in Loop: Header=BB266_9 Depth=1
	s_or_b64 exec, exec, s[38:39]
.LBB266_236:                            ;   in Loop: Header=BB266_9 Depth=1
	s_or_b64 exec, exec, s[36:37]
.LBB266_237:                            ;   in Loop: Header=BB266_9 Depth=1
	s_or_b64 exec, exec, s[34:35]
	v_lshrrev_b32_e32 v1, 16, v7
	v_cmp_ne_u16_sdwa s[4:5], v1, v2 src0_sel:BYTE_0 src1_sel:DWORD
	s_and_saveexec_b64 s[34:35], s[4:5]
	s_cbranch_execz .LBB266_243
; %bb.238:                              ;   in Loop: Header=BB266_9 Depth=1
	v_cmp_ne_u16_sdwa s[4:5], v1, s42 src0_sel:BYTE_0 src1_sel:DWORD
	v_mov_b32_e32 v58, 0x8000
	s_and_saveexec_b64 s[36:37], s[4:5]
	s_cbranch_execz .LBB266_242
; %bb.239:                              ;   in Loop: Header=BB266_9 Depth=1
	v_bfe_u32 v8, v7, 16, 7
	v_cmp_ne_u32_e64 s[4:5], s43, v8
	v_mov_b32_e32 v58, 0x7c01
	s_and_saveexec_b64 s[38:39], s[4:5]
	s_cbranch_execz .LBB266_241
; %bb.240:                              ;   in Loop: Header=BB266_9 Depth=1
	v_and_b32_e32 v9, 7, v1
	v_ffbh_u32_e32 v60, v9
	v_min_u32_e32 v62, 32, v60
	v_subrev_u32_e32 v60, 28, v62
	v_lshlrev_b64 v[60:61], v60, v[1:2]
	v_lshrrev_b32_e32 v58, 3, v8
	v_sub_u32_e32 v61, 29, v62
	v_cmp_gt_u32_e64 s[4:5], 8, v8
	v_cndmask_b32_e64 v8, v58, v61, s[4:5]
	v_lshl_add_u32 v8, v8, 10, v18
	v_lshlrev_b32_e32 v1, 8, v1
	v_and_b32_e32 v58, 7, v60
	v_and_b32_e32 v8, 0xfc00, v8
	v_cndmask_b32_e64 v9, v9, v58, s[4:5]
	v_and_or_b32 v1, v1, s44, v8
	v_lshl_or_b32 v58, v9, 7, v1
.LBB266_241:                            ;   in Loop: Header=BB266_9 Depth=1
	s_or_b64 exec, exec, s[38:39]
.LBB266_242:                            ;   in Loop: Header=BB266_9 Depth=1
	s_or_b64 exec, exec, s[36:37]
.LBB266_243:                            ;   in Loop: Header=BB266_9 Depth=1
	s_or_b64 exec, exec, s[34:35]
	v_cmp_lt_u32_e64 s[4:5], s45, v7
	v_mov_b32_e32 v60, 0
	s_and_saveexec_b64 s[34:35], s[4:5]
	s_cbranch_execz .LBB266_249
; %bb.244:                              ;   in Loop: Header=BB266_9 Depth=1
	v_lshrrev_b32_e32 v1, 24, v7
	v_cmp_ne_u32_e64 s[4:5], s42, v1
	v_bfrev_b32_e32 v60, 1
	s_and_saveexec_b64 s[36:37], s[4:5]
	s_cbranch_execz .LBB266_248
; %bb.245:                              ;   in Loop: Header=BB266_9 Depth=1
	v_and_b32_e32 v7, 0x7f, v1
	v_cmp_ne_u32_e64 s[4:5], s43, v7
	v_mov_b32_e32 v60, 0x7c010000
	s_and_saveexec_b64 s[38:39], s[4:5]
	s_cbranch_execz .LBB266_247
; %bb.246:                              ;   in Loop: Header=BB266_9 Depth=1
	v_and_b32_e32 v60, 7, v1
	v_ffbh_u32_e32 v8, v60
	v_min_u32_e32 v62, 32, v8
	v_subrev_u32_e32 v8, 28, v62
	v_lshlrev_b64 v[8:9], v8, v[1:2]
	v_lshrrev_b32_e32 v61, 3, v7
	v_sub_u32_e32 v9, 29, v62
	v_cmp_gt_u32_e64 s[4:5], 8, v7
	v_cndmask_b32_e64 v7, v61, v9, s[4:5]
	v_lshlrev_b32_e32 v1, 8, v1
	v_lshl_add_u32 v7, v7, 10, v18
	v_and_b32_e32 v8, 7, v8
	v_and_or_b32 v1, v1, s44, v7
	v_cndmask_b32_e64 v8, v60, v8, s[4:5]
	v_lshlrev_b32_e32 v1, 16, v1
	v_lshl_or_b32 v60, v8, 23, v1
.LBB266_247:                            ;   in Loop: Header=BB266_9 Depth=1
	s_or_b64 exec, exec, s[38:39]
.LBB266_248:                            ;   in Loop: Header=BB266_9 Depth=1
	s_or_b64 exec, exec, s[36:37]
.LBB266_249:                            ;   in Loop: Header=BB266_9 Depth=1
	s_or_b64 exec, exec, s[34:35]
	v_or_b32_e32 v1, v55, v53
	v_or_b32_e32 v25, v27, v25
	v_fma_mixlo_f16 v9, v20, v1, 0 op_sel_hi:[0,1,0]
	v_or_b32_e32 v1, v57, v54
	v_or_b32_e32 v49, v51, v49
	v_fma_mixlo_f16 v54, v20, v25, 0 op_sel_hi:[0,1,0]
	v_or_b32_e32 v25, v28, v26
	v_or_b32_e32 v21, v23, v21
	v_fma_mixlo_f16 v8, v20, v55, 0 op_sel:[0,1,0] op_sel_hi:[0,1,0]
	v_fma_mixlo_f16 v53, v20, v49, 0 op_sel_hi:[0,1,0]
	v_or_b32_e32 v49, v52, v50
	v_or_b32_e32 v45, v47, v45
	v_fma_mixlo_f16 v55, v20, v25, 0 op_sel_hi:[0,1,0]
	v_fma_mixlo_f16 v25, v20, v23, 0 op_sel:[0,1,0] op_sel_hi:[0,1,0]
	v_fma_mixlo_f16 v26, v20, v21, 0 op_sel_hi:[0,1,0]
	v_or_b32_e32 v21, v24, v22
	ds_read_b64 v[22:23], v14
	v_fma_mixlo_f16 v50, v20, v49, 0 op_sel_hi:[0,1,0]
	v_fma_mixlo_f16 v49, v20, v52, 0 op_sel:[0,1,0] op_sel_hi:[0,1,0]
	v_fma_mixlo_f16 v52, v20, v45, 0 op_sel_hi:[0,1,0]
	v_or_b32_e32 v45, v48, v46
	v_or_b32_e32 v41, v43, v41
	v_fma_mixlo_f16 v46, v20, v45, 0 op_sel_hi:[0,1,0]
	v_fma_mixlo_f16 v45, v20, v48, 0 op_sel:[0,1,0] op_sel_hi:[0,1,0]
	v_fma_mixlo_f16 v48, v20, v41, 0 op_sel_hi:[0,1,0]
	v_or_b32_e32 v41, v44, v42
	v_or_b32_e32 v37, v39, v37
	;; [unrolled: 5-line block ×4, first 2 shown]
	v_fma_mixlo_f16 v34, v20, v33, 0 op_sel_hi:[0,1,0]
	v_fma_mixlo_f16 v33, v20, v36, 0 op_sel:[0,1,0] op_sel_hi:[0,1,0]
	v_fma_mixlo_f16 v36, v20, v29, 0 op_sel_hi:[0,1,0]
	v_or_b32_e32 v29, v32, v30
	s_waitcnt lgkmcnt(0)
	v_lshrrev_b32_e32 v3, 16, v22
	v_fma_mixlo_f16 v7, v20, v1, 0 op_sel_hi:[0,1,0]
	v_fma_mixlo_f16 v1, v20, v57, 0 op_sel:[0,1,0] op_sel_hi:[0,1,0]
	v_fma_mixlo_f16 v30, v20, v29, 0 op_sel_hi:[0,1,0]
	v_fma_mixlo_f16 v29, v20, v27, 0 op_sel:[0,1,0] op_sel_hi:[0,1,0]
	v_fma_mixlo_f16 v27, v20, v21, 0 op_sel_hi:[0,1,0]
	v_or_b32_e32 v56, v59, v56
	v_fma_mixlo_f16 v21, v20, v59, 0 op_sel:[0,1,0] op_sel_hi:[0,1,0]
	v_and_b32_e32 v4, 0xffff, v22
	;;#ASMSTART
	v_cvt_f32_f16 v57, v4;
	;;#ASMEND
	;;#ASMSTART
	v_cvt_f32_f16 v59, v3;
	;;#ASMEND
	v_and_b32_e32 v3, 0xffff, v26
	;;#ASMSTART
	v_cvt_f32_f16 v61, v3;
	;;#ASMEND
	v_and_b32_e32 v3, 0xffff, v25
	;;#ASMSTART
	v_cvt_f32_f16 v62, v3;
	;;#ASMEND
	v_lshrrev_b32_e32 v3, 16, v23
	v_fma_mixlo_f16 v24, v20, v24, 0 op_sel:[0,1,0] op_sel_hi:[0,1,0]
	v_and_b32_e32 v4, 0xffff, v23
	;;#ASMSTART
	v_cvt_f32_f16 v63, v4;
	;;#ASMEND
	;;#ASMSTART
	v_cvt_f32_f16 v12, v3;
	;;#ASMEND
	v_and_b32_e32 v3, 0xffff, v27
	;;#ASMSTART
	v_cvt_f32_f16 v10, v3;
	;;#ASMEND
	v_and_b32_e32 v3, 0xffff, v24
	;;#ASMSTART
	v_cvt_f32_f16 v3, v3;
	;;#ASMEND
	ds_read_b64 v[26:27], v14 offset:8
	v_or_b32_e32 v4, v60, v58
	v_fma_mixlo_f16 v22, v20, v4, 0 op_sel_hi:[0,1,0]
	v_fma_mixlo_f16 v28, v20, v28, 0 op_sel:[0,1,0] op_sel_hi:[0,1,0]
	v_and_b32_e32 v28, 0xffff, v28
	s_waitcnt lgkmcnt(0)
	v_lshrrev_b32_e32 v23, 16, v26
	v_and_b32_e32 v4, 0xffff, v26
	;;#ASMSTART
	v_cvt_f32_f16 v4, v4;
	;;#ASMEND
	;;#ASMSTART
	v_cvt_f32_f16 v24, v23;
	;;#ASMEND
	v_and_b32_e32 v23, 0xffff, v54
	v_and_b32_e32 v26, 0xffff, v29
	;;#ASMSTART
	v_cvt_f32_f16 v23, v23;
	;;#ASMEND
	;;#ASMSTART
	v_cvt_f32_f16 v26, v26;
	;;#ASMEND
	v_mul_f32_e32 v23, v4, v23
	v_mul_f32_e32 v24, v24, v26
	v_lshrrev_b32_e32 v26, 16, v27
	v_and_b32_e32 v4, 0xffff, v27
	;;#ASMSTART
	v_cvt_f32_f16 v4, v4;
	;;#ASMEND
	;;#ASMSTART
	v_cvt_f32_f16 v27, v26;
	;;#ASMEND
	v_and_b32_e32 v26, 0xffff, v55
	;;#ASMSTART
	v_cvt_f32_f16 v26, v26;
	;;#ASMEND
	;;#ASMSTART
	v_cvt_f32_f16 v54, v28;
	;;#ASMEND
	ds_read_b64 v[28:29], v14 offset:16
	v_fma_mixlo_f16 v31, v20, v31, 0 op_sel:[0,1,0] op_sel_hi:[0,1,0]
	v_mul_f32_e32 v26, v4, v26
	v_mul_f32_e32 v27, v27, v54
	v_fmac_f32_e32 v26, v63, v10
	v_fmac_f32_e32 v27, v12, v3
	s_waitcnt lgkmcnt(0)
	v_lshrrev_b32_e32 v4, 16, v28
	v_and_b32_e32 v3, 0xffff, v28
	v_and_b32_e32 v10, 0xffff, v36
	;; [unrolled: 1-line block ×3, first 2 shown]
	v_lshrrev_b32_e32 v28, 16, v29
	v_fma_mixlo_f16 v32, v20, v32, 0 op_sel:[0,1,0] op_sel_hi:[0,1,0]
	;;#ASMSTART
	v_cvt_f32_f16 v3, v3;
	;;#ASMEND
	;;#ASMSTART
	v_cvt_f32_f16 v4, v4;
	;;#ASMEND
	;; [unrolled: 3-line block ×4, first 2 shown]
	v_and_b32_e32 v29, 0xffff, v29
	;;#ASMSTART
	v_cvt_f32_f16 v31, v29;
	;;#ASMEND
	;;#ASMSTART
	v_cvt_f32_f16 v36, v28;
	;;#ASMEND
	v_and_b32_e32 v28, 0xffff, v30
	;;#ASMSTART
	v_cvt_f32_f16 v30, v28;
	;;#ASMEND
	v_and_b32_e32 v28, 0xffff, v32
	;;#ASMSTART
	v_cvt_f32_f16 v32, v28;
	;;#ASMEND
	ds_read_b64 v[28:29], v14 offset:24
	v_fma_mixlo_f16 v35, v20, v35, 0 op_sel:[0,1,0] op_sel_hi:[0,1,0]
	v_fmac_f32_e32 v23, v57, v61
	v_fmac_f32_e32 v24, v59, v62
	;; [unrolled: 1-line block ×4, first 2 shown]
	s_waitcnt lgkmcnt(0)
	v_lshrrev_b32_e32 v4, 16, v28
	v_and_b32_e32 v3, 0xffff, v28
	v_and_b32_e32 v10, 0xffff, v40
	;; [unrolled: 1-line block ×3, first 2 shown]
	v_lshrrev_b32_e32 v28, 16, v29
	v_fmac_f32_e32 v26, v31, v30
	;;#ASMSTART
	v_cvt_f32_f16 v3, v3;
	;;#ASMEND
	;;#ASMSTART
	v_cvt_f32_f16 v4, v4;
	;;#ASMEND
	;; [unrolled: 3-line block ×4, first 2 shown]
	v_and_b32_e32 v29, 0xffff, v29
	;;#ASMSTART
	v_cvt_f32_f16 v30, v29;
	;;#ASMEND
	;;#ASMSTART
	v_cvt_f32_f16 v31, v28;
	;;#ASMEND
	v_and_b32_e32 v28, 0xffff, v34
	v_fmac_f32_e32 v27, v36, v32
	;;#ASMSTART
	v_cvt_f32_f16 v32, v28;
	;;#ASMEND
	v_and_b32_e32 v28, 0xffff, v33
	;;#ASMSTART
	v_cvt_f32_f16 v33, v28;
	;;#ASMEND
	ds_read_b64 v[28:29], v14 offset:32
	v_fma_mixlo_f16 v39, v20, v39, 0 op_sel:[0,1,0] op_sel_hi:[0,1,0]
	v_fmac_f32_e32 v23, v3, v10
	v_fmac_f32_e32 v24, v4, v12
	v_and_b32_e32 v10, 0xffff, v44
	s_waitcnt lgkmcnt(0)
	v_lshrrev_b32_e32 v4, 16, v28
	v_and_b32_e32 v3, 0xffff, v28
	v_and_b32_e32 v12, 0xffff, v39
	v_lshrrev_b32_e32 v28, 16, v29
	v_fmac_f32_e32 v26, v30, v32
	v_fmac_f32_e32 v27, v31, v33
	;;#ASMSTART
	v_cvt_f32_f16 v3, v3;
	;;#ASMEND
	;;#ASMSTART
	v_cvt_f32_f16 v4, v4;
	;;#ASMEND
	;;#ASMSTART
	v_cvt_f32_f16 v10, v10;
	;;#ASMEND
	;;#ASMSTART
	v_cvt_f32_f16 v12, v12;
	;;#ASMEND
	v_and_b32_e32 v29, 0xffff, v29
	;;#ASMSTART
	v_cvt_f32_f16 v30, v29;
	;;#ASMEND
	;;#ASMSTART
	v_cvt_f32_f16 v31, v28;
	;;#ASMEND
	v_and_b32_e32 v28, 0xffff, v38
	;;#ASMSTART
	v_cvt_f32_f16 v32, v28;
	;;#ASMEND
	v_and_b32_e32 v28, 0xffff, v37
	;;#ASMSTART
	v_cvt_f32_f16 v33, v28;
	;;#ASMEND
	ds_read_b64 v[28:29], v14 offset:40
	v_fma_mixlo_f16 v43, v20, v43, 0 op_sel:[0,1,0] op_sel_hi:[0,1,0]
	v_fmac_f32_e32 v23, v3, v10
	v_fmac_f32_e32 v24, v4, v12
	v_and_b32_e32 v10, 0xffff, v48
	s_waitcnt lgkmcnt(0)
	v_lshrrev_b32_e32 v4, 16, v28
	v_and_b32_e32 v3, 0xffff, v28
	v_and_b32_e32 v12, 0xffff, v43
	v_lshrrev_b32_e32 v28, 16, v29
	v_fmac_f32_e32 v26, v30, v32
	v_fmac_f32_e32 v27, v31, v33
	;;#ASMSTART
	v_cvt_f32_f16 v3, v3;
	;;#ASMEND
	;;#ASMSTART
	v_cvt_f32_f16 v4, v4;
	;;#ASMEND
	;;#ASMSTART
	v_cvt_f32_f16 v10, v10;
	;;#ASMEND
	;;#ASMSTART
	v_cvt_f32_f16 v12, v12;
	;;#ASMEND
	v_and_b32_e32 v29, 0xffff, v29
	;;#ASMSTART
	v_cvt_f32_f16 v30, v29;
	;;#ASMEND
	;;#ASMSTART
	v_cvt_f32_f16 v31, v28;
	;;#ASMEND
	v_and_b32_e32 v28, 0xffff, v42
	;; [unrolled: 39-line block ×4, first 2 shown]
	;;#ASMSTART
	v_cvt_f32_f16 v32, v28;
	;;#ASMEND
	v_and_b32_e32 v28, 0xffff, v49
	;;#ASMSTART
	v_cvt_f32_f16 v33, v28;
	;;#ASMEND
	ds_read_b64 v[28:29], v14 offset:64
	v_fmac_f32_e32 v23, v3, v10
	v_fmac_f32_e32 v24, v4, v12
	v_and_b32_e32 v9, 0xffff, v9
	v_and_b32_e32 v8, 0xffff, v8
	s_waitcnt lgkmcnt(0)
	v_lshrrev_b32_e32 v4, 16, v28
	v_and_b32_e32 v3, 0xffff, v28
	;;#ASMSTART
	v_cvt_f32_f16 v3, v3;
	;;#ASMEND
	;;#ASMSTART
	v_cvt_f32_f16 v4, v4;
	;;#ASMEND
	;;#ASMSTART
	v_cvt_f32_f16 v9, v9;
	;;#ASMEND
	;;#ASMSTART
	v_cvt_f32_f16 v10, v8;
	;;#ASMEND
	v_lshrrev_b32_e32 v8, 16, v29
	v_and_b32_e32 v12, 0xffff, v29
	v_and_b32_e32 v7, 0xffff, v7
	;; [unrolled: 1-line block ×3, first 2 shown]
	;;#ASMSTART
	v_cvt_f32_f16 v12, v12;
	;;#ASMEND
	;;#ASMSTART
	v_cvt_f32_f16 v28, v8;
	;;#ASMEND
	;; [unrolled: 3-line block ×4, first 2 shown]
	ds_read_b64 v[7:8], v14 offset:72
	v_fmac_f32_e32 v27, v31, v33
	v_fma_mixlo_f16 v25, v20, v56, 0 op_sel_hi:[0,1,0]
	v_fmac_f32_e32 v27, v28, v1
	v_fmac_f32_e32 v23, v3, v9
	s_waitcnt lgkmcnt(0)
	v_and_b32_e32 v1, 0xffff, v7
	v_fmac_f32_e32 v24, v4, v10
	v_lshrrev_b32_e32 v3, 16, v7
	;;#ASMSTART
	v_cvt_f32_f16 v1, v1;
	;;#ASMEND
	v_and_b32_e32 v4, 0xffff, v25
	v_fmac_f32_e32 v26, v30, v32
	;;#ASMSTART
	v_cvt_f32_f16 v3, v3;
	;;#ASMEND
	;;#ASMSTART
	v_cvt_f32_f16 v4, v4;
	;;#ASMEND
	v_and_b32_e32 v7, 0xffff, v21
	v_fmac_f32_e32 v23, v1, v4
	v_and_b32_e32 v1, 0xffff, v8
	v_fma_mixlo_f16 v20, v20, v60, 0 op_sel:[0,1,0] op_sel_hi:[0,1,0]
	v_fmac_f32_e32 v26, v12, v29
	;;#ASMSTART
	v_cvt_f32_f16 v7, v7;
	;;#ASMEND
	v_fmac_f32_e32 v24, v3, v7
	v_lshrrev_b32_e32 v3, 16, v8
	;;#ASMSTART
	v_cvt_f32_f16 v1, v1;
	;;#ASMEND
	v_and_b32_e32 v4, 0xffff, v22
	;;#ASMSTART
	v_cvt_f32_f16 v3, v3;
	;;#ASMEND
	;;#ASMSTART
	v_cvt_f32_f16 v4, v4;
	;;#ASMEND
	v_and_b32_e32 v7, 0xffff, v20
	v_fmac_f32_e32 v26, v1, v4
	v_add_f32_e32 v1, v23, v24
	;;#ASMSTART
	v_cvt_f32_f16 v7, v7;
	;;#ASMEND
	v_fmac_f32_e32 v27, v3, v7
	v_add_f32_e32 v1, v1, v26
	v_add_f32_e32 v8, v27, v1
	v_and_b32_e32 v1, 64, v16
	v_xor_b32_e32 v3, 1, v16
	v_add_u32_e32 v7, 64, v1
	v_cmp_lt_i32_e64 s[4:5], v3, v7
	v_cndmask_b32_e64 v3, v16, v3, s[4:5]
	v_lshlrev_b32_e32 v3, 2, v3
	ds_bpermute_b32 v9, v3, v8
	s_and_saveexec_b64 s[34:35], vcc
	s_cbranch_execz .LBB266_8
; %bb.250:                              ;   in Loop: Header=BB266_9 Depth=1
	v_add_u32_e32 v3, s41, v15
	v_cvt_f32_i32_e32 v3, v3
	s_waitcnt lgkmcnt(0)
	v_add_f32_e32 v4, v8, v9
	v_max_f32_e32 v8, v13, v13
	v_cmp_gt_i32_e64 s[4:5], s30, v15
	v_mul_f32_e32 v3, s33, v3
	v_cndmask_b32_e64 v3, 0, v3, s[2:3]
	v_fmac_f32_e32 v3, s31, v4
	v_cndmask_b32_e64 v4, 0, v3, s[4:5]
	v_max_f32_e32 v3, v8, v3
	v_cndmask_b32_e64 v13, v13, v3, s[4:5]
	ds_write_b32 v17, v4
	s_branch .LBB266_8
.LBB266_251:
	s_or_b64 exec, exec, s[18:19]
.LBB266_252:
	s_or_b64 exec, exec, s[6:7]
	v_xor_b32_e32 v2, 32, v16
	v_cmp_lt_i32_e32 vcc, v2, v7
	v_cndmask_b32_e32 v2, v16, v2, vcc
	v_lshlrev_b32_e32 v2, 2, v2
	ds_bpermute_b32 v3, v2, v13
	v_xor_b32_e32 v5, 16, v16
	v_max_f32_e32 v4, v13, v13
	v_cmp_lt_i32_e32 vcc, v5, v7
	v_xor_b32_e32 v6, 8, v16
	s_waitcnt lgkmcnt(0)
	v_max_f32_e32 v3, v3, v3
	v_max_f32_e32 v4, v4, v3
	v_cndmask_b32_e32 v3, v16, v5, vcc
	v_lshlrev_b32_e32 v3, 2, v3
	ds_bpermute_b32 v5, v3, v4
	v_cmp_lt_i32_e32 vcc, v6, v7
	v_xor_b32_e32 v8, 4, v16
	v_xor_b32_e32 v9, 2, v16
	v_and_b32_e32 v13, 63, v0
	s_waitcnt lgkmcnt(0)
	v_max_f32_e32 v5, v5, v5
	v_max_f32_e32 v5, v4, v5
	v_cndmask_b32_e32 v4, v16, v6, vcc
	v_lshlrev_b32_e32 v4, 2, v4
	ds_bpermute_b32 v6, v4, v5
	v_cmp_lt_i32_e32 vcc, v8, v7
	s_waitcnt lgkmcnt(0)
	v_max_f32_e32 v6, v6, v6
	v_max_f32_e32 v6, v5, v6
	v_cndmask_b32_e32 v5, v16, v8, vcc
	v_lshlrev_b32_e32 v5, 2, v5
	ds_bpermute_b32 v8, v5, v6
	v_cmp_lt_i32_e32 vcc, v9, v7
	s_waitcnt lgkmcnt(0)
	v_max_f32_e32 v8, v8, v8
	v_max_f32_e32 v8, v6, v8
	v_cndmask_b32_e32 v6, v16, v9, vcc
	v_lshlrev_b32_e32 v14, 2, v6
	ds_bpermute_b32 v9, v14, v8
	v_cmp_eq_u32_e32 vcc, 0, v13
	v_lshlrev_b32_e32 v6, 2, v11
	s_and_saveexec_b64 s[2:3], vcc
	s_cbranch_execz .LBB266_254
; %bb.253:
	s_waitcnt lgkmcnt(0)
	v_max_f32_e32 v9, v9, v9
	v_max_f32_e32 v8, v8, v8
	;; [unrolled: 1-line block ×3, first 2 shown]
	ds_write_b32 v6, v8 offset:160
.LBB266_254:
	s_or_b64 exec, exec, s[2:3]
	v_cmp_gt_u32_e64 s[2:3], 2, v13
	s_waitcnt lgkmcnt(0)
	v_mov_b32_e32 v9, 0xff7fffff
	v_lshlrev_b32_e32 v8, 2, v13
	s_barrier
	s_and_saveexec_b64 s[4:5], s[2:3]
; %bb.255:
	ds_read_b32 v9, v8 offset:160
; %bb.256:
	s_or_b64 exec, exec, s[4:5]
	v_xor_b32_e32 v10, 1, v16
	v_cmp_lt_i32_e64 s[4:5], v10, v7
	v_cndmask_b32_e64 v7, v16, v10, s[4:5]
	v_lshlrev_b32_e32 v15, 2, v7
	s_waitcnt lgkmcnt(0)
	ds_bpermute_b32 v7, v15, v9
	v_max_f32_e32 v9, v9, v9
	v_lshlrev_b32_e32 v1, 2, v1
	s_lshl_b32 s4, s21, 5
	s_min_i32 s31, s4, s30
	s_waitcnt lgkmcnt(0)
	v_max_f32_e32 v7, v7, v7
	v_max_f32_e32 v7, v9, v7
	ds_bpermute_b32 v7, v1, v7
	v_cmp_gt_i32_e64 s[4:5], s31, v0
	v_mov_b32_e32 v1, 0
	s_and_saveexec_b64 s[12:13], s[4:5]
	s_cbranch_execz .LBB266_260
; %bb.257:
	v_mov_b32_e32 v1, 0xb0
	v_lshl_add_u32 v9, v0, 2, v1
	v_mov_b32_e32 v1, 0
	s_mov_b64 s[18:19], 0
	v_mov_b32_e32 v17, v0
.LBB266_258:                            ; =>This Inner Loop Header: Depth=1
	ds_read_b32 v10, v9
	v_add_u32_e32 v17, 0x80, v17
	v_cmp_le_i32_e64 s[6:7], s31, v17
	s_or_b64 s[18:19], s[6:7], s[18:19]
	s_waitcnt lgkmcnt(0)
	v_sub_f32_e32 v10, v10, v7
	v_mul_f32_e32 v10, 0x3fb8aa3b, v10
	v_exp_f32_e32 v10, v10
	ds_write_b32 v9, v10
	v_add_f32_e32 v1, v1, v10
	v_add_u32_e32 v9, 0x200, v9
	s_andn2_b64 exec, exec, s[18:19]
	s_cbranch_execnz .LBB266_258
; %bb.259:
	s_or_b64 exec, exec, s[18:19]
.LBB266_260:
	s_or_b64 exec, exec, s[12:13]
	ds_bpermute_b32 v2, v2, v1
	s_waitcnt lgkmcnt(0)
	v_add_f32_e32 v1, v1, v2
	ds_bpermute_b32 v2, v3, v1
	s_waitcnt lgkmcnt(0)
	v_add_f32_e32 v1, v1, v2
	;; [unrolled: 3-line block ×6, first 2 shown]
	s_and_saveexec_b64 s[6:7], vcc
; %bb.261:
	ds_write_b32 v6, v1 offset:168
; %bb.262:
	s_or_b64 exec, exec, s[6:7]
	s_waitcnt lgkmcnt(0)
	s_barrier
	s_and_saveexec_b64 s[6:7], s[2:3]
; %bb.263:
	ds_read_b32 v1, v8 offset:168
; %bb.264:
	s_or_b64 exec, exec, s[6:7]
	s_waitcnt lgkmcnt(0)
	ds_bpermute_b32 v2, v15, v1
	v_lshlrev_b32_e32 v3, 2, v16
	s_waitcnt lgkmcnt(0)
	v_add_f32_e32 v1, v1, v2
	v_and_b32_e32 v2, 0xffffff00, v3
	ds_bpermute_b32 v1, v2, v1
	s_and_saveexec_b64 s[2:3], s[4:5]
	s_cbranch_execz .LBB266_267
; %bb.265:
	s_waitcnt lgkmcnt(0)
	v_add_f32_e32 v2, 0x358637bd, v1
	v_div_scale_f32 v1, s[4:5], v2, v2, 1.0
	v_div_scale_f32 v3, vcc, 1.0, v2, 1.0
	s_mov_b64 s[4:5], 0
	v_rcp_f32_e32 v4, v1
	v_fma_f32 v5, -v1, v4, 1.0
	v_fmac_f32_e32 v4, v5, v4
	v_mul_f32_e32 v5, v3, v4
	v_fma_f32 v6, -v1, v5, v3
	v_fmac_f32_e32 v5, v6, v4
	v_fma_f32 v1, -v1, v5, v3
	v_div_fmas_f32 v3, v1, v4, v5
	v_mov_b32_e32 v1, 0xb0
	v_lshl_add_u32 v1, v0, 2, v1
	v_div_fixup_f32 v2, v3, v2, 1.0
	v_mov_b32_e32 v3, v0
.LBB266_266:                            ; =>This Inner Loop Header: Depth=1
	ds_read_b32 v4, v1
	v_add_u32_e32 v3, 0x80, v3
	v_cmp_le_i32_e32 vcc, s31, v3
	s_or_b64 s[4:5], vcc, s[4:5]
	s_waitcnt lgkmcnt(0)
	v_mul_f32_e32 v4, v2, v4
	ds_write_b32 v1, v4
	v_add_u32_e32 v1, 0x200, v1
	s_andn2_b64 exec, exec, s[4:5]
	s_cbranch_execnz .LBB266_266
.LBB266_267:
	s_or_b64 exec, exec, s[2:3]
	v_mov_b32_e32 v20, 0
	v_and_b32_e32 v16, 3, v0
	v_mov_b32_e32 v21, 0
	v_mov_b32_e32 v19, 0
	;; [unrolled: 1-line block ×4, first 2 shown]
	s_waitcnt lgkmcnt(0)
	s_barrier
	s_and_saveexec_b64 s[2:3], s[0:1]
	s_cbranch_execz .LBB266_521
; %bb.268:
	v_lshlrev_b32_e32 v2, 3, v0
	s_ashr_i32 s0, s16, 31
	v_and_b32_e32 v1, 24, v2
	s_add_u32 s1, s28, s16
	v_lshlrev_b32_e32 v5, 5, v11
	s_addc_u32 s0, s29, s0
	v_and_b32_e32 v3, 0x1f8, v2
	v_or3_b32 v22, v5, v1, 7
	v_lshlrev_b32_e32 v1, 5, v16
	s_add_i32 s28, s21, -1
	v_mov_b32_e32 v4, s0
	v_add_co_u32_e32 v3, vcc, s1, v3
	v_lshl_or_b32 v1, v11, 7, v1
	s_lshl_b64 s[0:1], s[26:27], 2
	v_add_u32_e32 v23, 0xb0, v1
	v_lshrrev_b32_e32 v1, 4, v0
	s_add_u32 s0, s24, s0
	v_addc_co_u32_e32 v4, vcc, 0, v4, vcc
	v_and_b32_e32 v1, 60, v1
	s_addc_u32 s1, s25, s1
	s_mov_b32 s4, -1
	v_mov_b32_e32 v6, s1
	v_add_co_u32_e32 v5, vcc, s0, v1
	s_mov_b32 s31, s17
	s_mov_b32 s5, 0xffffff
	v_mov_b32_e32 v2, 0
	v_addc_co_u32_e32 v6, vcc, 0, v6, vcc
	s_mov_b64 s[6:7], 0
	s_movk_i32 s24, 0x80
	s_movk_i32 s25, 0x7f
	s_mov_b32 s26, 0x8000
	v_mov_b32_e32 v12, 0x2000
	v_mov_b32_e32 v17, 0
	;; [unrolled: 1-line block ×6, first 2 shown]
	s_branch .LBB266_270
.LBB266_269:                            ;   in Loop: Header=BB266_270 Depth=1
	s_or_b64 exec, exec, s[0:1]
	v_add_f32_e32 v9, v9, v10
	v_add_f32_e32 v18, v18, v9
	;; [unrolled: 1-line block ×7, first 2 shown]
	;;#ASMSTART
	v_pk_mul_f16 v7, v31, v7;

	;;#ASMEND
	;;#ASMSTART
	v_pk_mul_f16 v1, v32, v1;

	;;#ASMEND
	v_add_f32_e32 v20, v20, v9
	;;#ASMSTART
	v_pk_mul_f16 v8, v33, v8;

	;;#ASMEND
	;;#ASMSTART
	v_pk_mul_f16 v9, v34, v41;

	;;#ASMEND
	;;#ASMSTART
	v_pk_add_f16 v1, v7, v1;

	;;#ASMEND
	;;#ASMSTART
	v_pk_add_f16 v1, v1, v8;
	;; [unrolled: 4-line block ×3, first 2 shown]

	;;#ASMEND
	v_lshrrev_b32_e32 v7, 16, v1
	v_and_b32_e32 v1, 0xffff, v1
	v_add_u32_e32 v11, 2, v11
	;;#ASMSTART
	v_cvt_f32_f16 v1, v1;
	;;#ASMEND
	v_cmp_le_i32_e32 vcc, s21, v11
	;;#ASMSTART
	v_cvt_f32_f16 v7, v7;
	;;#ASMEND
	v_add_f32_e32 v1, v1, v7
	s_or_b64 s[6:7], vcc, s[6:7]
	v_add_co_u32_e32 v5, vcc, 8, v5
	v_add_f32_e32 v17, v17, v1
	v_add_u32_e32 v22, 64, v22
	v_add_u32_e32 v23, 0x100, v23
	v_addc_co_u32_e32 v6, vcc, 0, v6, vcc
	s_andn2_b64 exec, exec, s[6:7]
	s_cbranch_execz .LBB266_520
.LBB266_270:                            ; =>This Inner Loop Header: Depth=1
	global_load_dword v1, v[5:6], off
	ds_read2_b64 v[7:10], v23 offset1:1
	ds_read2_b64 v[24:27], v23 offset0:2 offset1:3
	s_waitcnt lgkmcnt(1)
	;;#ASMSTART
	v_cvt_f16_f32 v31, v7;

	;;#ASMEND
	;;#ASMSTART
	v_cvt_f16_f32 v32, v8;

	;;#ASMEND
	;; [unrolled: 4-line block ×4, first 2 shown]
	s_waitcnt lgkmcnt(0)
	;;#ASMSTART
	v_cvt_f16_f32 v35, v24;

	;;#ASMEND
	;;#ASMSTART
	v_cvt_f16_f32 v36, v25;

	;;#ASMEND
	;; [unrolled: 4-line block ×4, first 2 shown]
	v_mov_b32_e32 v26, 0
	s_waitcnt vmcnt(0)
	v_mad_i64_i32 v[7:8], s[0:1], v1, s31, v[3:4]
	global_load_dwordx2 v[9:10], v[7:8], off
	global_load_dword v25, v2, s[14:15]
	s_waitcnt vmcnt(1)
	v_cmp_ne_u16_sdwa s[12:13], v9, v2 src0_sel:BYTE_0 src1_sel:DWORD
	s_and_saveexec_b64 s[0:1], s[12:13]
	s_cbranch_execz .LBB266_276
; %bb.271:                              ;   in Loop: Header=BB266_270 Depth=1
	v_cmp_ne_u16_sdwa s[16:17], v9, s24 src0_sel:BYTE_0 src1_sel:DWORD
	v_mov_b32_e32 v26, 0x8000
	s_and_saveexec_b64 s[12:13], s[16:17]
	s_cbranch_execz .LBB266_275
; %bb.272:                              ;   in Loop: Header=BB266_270 Depth=1
	v_and_b32_e32 v1, 0x7f, v9
	v_cmp_ne_u32_e32 vcc, s25, v1
	v_mov_b32_e32 v26, 0x7c01
	s_and_saveexec_b64 s[16:17], vcc
	s_cbranch_execz .LBB266_274
; %bb.273:                              ;   in Loop: Header=BB266_270 Depth=1
	v_and_b32_e32 v24, 7, v9
	v_ffbh_u32_e32 v26, v24
	v_min_u32_e32 v29, 32, v26
	v_subrev_u32_e32 v26, 28, v29
	v_lshlrev_b64 v[26:27], v26, v[9:10]
	v_lshrrev_b32_e32 v28, 3, v1
	v_sub_u32_e32 v27, 29, v29
	v_cmp_gt_u32_e32 vcc, 8, v1
	v_cndmask_b32_e32 v1, v28, v27, vcc
	v_lshl_add_u32 v1, v1, 10, v12
	v_lshlrev_b32_e32 v27, 8, v9
	v_and_b32_e32 v26, 7, v26
	v_and_b32_e32 v1, 0xfc00, v1
	v_cndmask_b32_e32 v24, v24, v26, vcc
	v_and_or_b32 v1, v27, s26, v1
	v_lshl_or_b32 v26, v24, 7, v1
.LBB266_274:                            ;   in Loop: Header=BB266_270 Depth=1
	s_or_b64 exec, exec, s[16:17]
.LBB266_275:                            ;   in Loop: Header=BB266_270 Depth=1
	s_or_b64 exec, exec, s[12:13]
.LBB266_276:                            ;   in Loop: Header=BB266_270 Depth=1
	s_or_b64 exec, exec, s[0:1]
	v_lshrrev_b16_e32 v1, 8, v9
	v_cmp_ne_u16_e32 vcc, 0, v1
	v_mov_b32_e32 v28, 0
	v_mov_b32_e32 v27, 0
	s_and_saveexec_b64 s[0:1], vcc
	s_cbranch_execz .LBB266_282
; %bb.277:                              ;   in Loop: Header=BB266_270 Depth=1
	v_cmp_ne_u16_e32 vcc, s24, v1
	v_bfrev_b32_e32 v27, 1
	s_and_saveexec_b64 s[12:13], vcc
	s_cbranch_execz .LBB266_281
; %bb.278:                              ;   in Loop: Header=BB266_270 Depth=1
	v_and_b32_e32 v24, 0x7f, v1
	v_cmp_ne_u32_e32 vcc, s25, v24
	v_mov_b32_e32 v27, 0x7c010000
	s_and_saveexec_b64 s[16:17], vcc
	s_cbranch_execz .LBB266_280
; %bb.279:                              ;   in Loop: Header=BB266_270 Depth=1
	v_and_b32_e32 v27, 7, v1
	v_ffbh_u32_e32 v29, v27
	v_min_u32_e32 v40, 32, v29
	v_subrev_u32_e32 v29, 28, v40
	v_lshlrev_b64 v[29:30], v29, v[1:2]
	v_lshrrev_b32_e32 v39, 3, v24
	v_sub_u32_e32 v30, 29, v40
	v_cmp_gt_u32_e32 vcc, 8, v24
	v_cndmask_b32_e32 v24, v39, v30, vcc
	v_lshlrev_b32_e32 v1, 8, v1
	v_lshl_add_u32 v24, v24, 10, v12
	v_and_b32_e32 v29, 7, v29
	v_and_or_b32 v1, v1, s26, v24
	v_cndmask_b32_e32 v27, v27, v29, vcc
	v_lshlrev_b32_e32 v1, 16, v1
	v_lshl_or_b32 v27, v27, 23, v1
.LBB266_280:                            ;   in Loop: Header=BB266_270 Depth=1
	s_or_b64 exec, exec, s[16:17]
.LBB266_281:                            ;   in Loop: Header=BB266_270 Depth=1
	s_or_b64 exec, exec, s[12:13]
.LBB266_282:                            ;   in Loop: Header=BB266_270 Depth=1
	s_or_b64 exec, exec, s[0:1]
	v_lshrrev_b32_e32 v1, 16, v9
	v_cmp_ne_u16_sdwa s[12:13], v1, v2 src0_sel:BYTE_0 src1_sel:DWORD
	s_and_saveexec_b64 s[0:1], s[12:13]
	s_cbranch_execz .LBB266_288
; %bb.283:                              ;   in Loop: Header=BB266_270 Depth=1
	v_cmp_ne_u16_sdwa s[16:17], v1, s24 src0_sel:BYTE_0 src1_sel:DWORD
	v_mov_b32_e32 v28, 0x8000
	s_and_saveexec_b64 s[12:13], s[16:17]
	s_cbranch_execz .LBB266_287
; %bb.284:                              ;   in Loop: Header=BB266_270 Depth=1
	v_bfe_u32 v24, v9, 16, 7
	v_cmp_ne_u32_e32 vcc, s25, v24
	v_mov_b32_e32 v28, 0x7c01
	s_and_saveexec_b64 s[16:17], vcc
	s_cbranch_execz .LBB266_286
; %bb.285:                              ;   in Loop: Header=BB266_270 Depth=1
	v_and_b32_e32 v30, 7, v1
	v_ffbh_u32_e32 v28, v30
	v_min_u32_e32 v40, 32, v28
	v_subrev_u32_e32 v28, 28, v40
	v_lshlrev_b64 v[28:29], v28, v[1:2]
	v_lshrrev_b32_e32 v39, 3, v24
	v_sub_u32_e32 v29, 29, v40
	v_cmp_gt_u32_e32 vcc, 8, v24
	v_cndmask_b32_e32 v24, v39, v29, vcc
	v_lshl_add_u32 v24, v24, 10, v12
	v_lshlrev_b32_e32 v1, 8, v1
	v_and_b32_e32 v28, 7, v28
	v_and_b32_e32 v24, 0xfc00, v24
	v_cndmask_b32_e32 v28, v30, v28, vcc
	v_and_or_b32 v1, v1, s26, v24
	v_lshl_or_b32 v28, v28, 7, v1
.LBB266_286:                            ;   in Loop: Header=BB266_270 Depth=1
	s_or_b64 exec, exec, s[16:17]
.LBB266_287:                            ;   in Loop: Header=BB266_270 Depth=1
	s_or_b64 exec, exec, s[12:13]
.LBB266_288:                            ;   in Loop: Header=BB266_270 Depth=1
	s_or_b64 exec, exec, s[0:1]
	v_cmp_lt_u32_e32 vcc, s5, v9
	v_mov_b32_e32 v29, 0
	v_mov_b32_e32 v30, 0
	s_and_saveexec_b64 s[0:1], vcc
	s_cbranch_execz .LBB266_294
; %bb.289:                              ;   in Loop: Header=BB266_270 Depth=1
	v_lshrrev_b32_e32 v1, 24, v9
	v_cmp_ne_u32_e32 vcc, s24, v1
	v_bfrev_b32_e32 v30, 1
	s_and_saveexec_b64 s[12:13], vcc
	s_cbranch_execz .LBB266_293
; %bb.290:                              ;   in Loop: Header=BB266_270 Depth=1
	v_and_b32_e32 v24, 0x7f, v1
	v_cmp_ne_u32_e32 vcc, s25, v24
	v_mov_b32_e32 v30, 0x7c010000
	s_and_saveexec_b64 s[16:17], vcc
	s_cbranch_execz .LBB266_292
; %bb.291:                              ;   in Loop: Header=BB266_270 Depth=1
	v_and_b32_e32 v30, 7, v1
	v_ffbh_u32_e32 v39, v30
	v_min_u32_e32 v42, 32, v39
	v_subrev_u32_e32 v39, 28, v42
	v_lshlrev_b64 v[39:40], v39, v[1:2]
	v_lshrrev_b32_e32 v41, 3, v24
	v_sub_u32_e32 v40, 29, v42
	v_cmp_gt_u32_e32 vcc, 8, v24
	v_cndmask_b32_e32 v24, v41, v40, vcc
	v_lshlrev_b32_e32 v1, 8, v1
	v_lshl_add_u32 v24, v24, 10, v12
	v_and_b32_e32 v39, 7, v39
	v_and_or_b32 v1, v1, s26, v24
	v_cndmask_b32_e32 v30, v30, v39, vcc
	v_lshlrev_b32_e32 v1, 16, v1
	v_lshl_or_b32 v30, v30, 23, v1
.LBB266_292:                            ;   in Loop: Header=BB266_270 Depth=1
	s_or_b64 exec, exec, s[16:17]
.LBB266_293:                            ;   in Loop: Header=BB266_270 Depth=1
	s_or_b64 exec, exec, s[12:13]
.LBB266_294:                            ;   in Loop: Header=BB266_270 Depth=1
	s_or_b64 exec, exec, s[0:1]
	v_mov_b32_e32 v1, v10
	v_cmp_ne_u16_sdwa s[12:13], v10, v2 src0_sel:BYTE_0 src1_sel:DWORD
	s_and_saveexec_b64 s[0:1], s[12:13]
	s_cbranch_execz .LBB266_300
; %bb.295:                              ;   in Loop: Header=BB266_270 Depth=1
	v_cmp_ne_u16_sdwa s[16:17], v10, s24 src0_sel:BYTE_0 src1_sel:DWORD
	v_mov_b32_e32 v29, 0x8000
	s_and_saveexec_b64 s[12:13], s[16:17]
	s_cbranch_execz .LBB266_299
; %bb.296:                              ;   in Loop: Header=BB266_270 Depth=1
	v_and_b32_e32 v24, 0x7f, v10
	v_cmp_ne_u32_e32 vcc, s25, v24
	v_mov_b32_e32 v29, 0x7c01
	s_and_saveexec_b64 s[16:17], vcc
	s_cbranch_execz .LBB266_298
; %bb.297:                              ;   in Loop: Header=BB266_270 Depth=1
	v_and_b32_e32 v29, 7, v10
	v_ffbh_u32_e32 v39, v29
	v_min_u32_e32 v42, 32, v39
	v_subrev_u32_e32 v39, 28, v42
	v_lshlrev_b64 v[39:40], v39, v[1:2]
	v_lshrrev_b32_e32 v41, 3, v24
	v_sub_u32_e32 v40, 29, v42
	v_cmp_gt_u32_e32 vcc, 8, v24
	v_cndmask_b32_e32 v24, v41, v40, vcc
	v_lshl_add_u32 v24, v24, 10, v12
	v_lshlrev_b32_e32 v40, 8, v10
	v_and_b32_e32 v39, 7, v39
	v_and_b32_e32 v24, 0xfc00, v24
	v_cndmask_b32_e32 v29, v29, v39, vcc
	v_and_or_b32 v24, v40, s26, v24
	v_lshl_or_b32 v29, v29, 7, v24
.LBB266_298:                            ;   in Loop: Header=BB266_270 Depth=1
	s_or_b64 exec, exec, s[16:17]
.LBB266_299:                            ;   in Loop: Header=BB266_270 Depth=1
	s_or_b64 exec, exec, s[12:13]
.LBB266_300:                            ;   in Loop: Header=BB266_270 Depth=1
	s_or_b64 exec, exec, s[0:1]
	v_lshrrev_b16_e32 v1, 8, v1
	v_cmp_ne_u16_e32 vcc, 0, v1
	v_mov_b32_e32 v39, 0
	v_mov_b32_e32 v40, 0
	s_and_saveexec_b64 s[0:1], vcc
	s_cbranch_execz .LBB266_306
; %bb.301:                              ;   in Loop: Header=BB266_270 Depth=1
	v_cmp_ne_u16_e32 vcc, s24, v1
	v_bfrev_b32_e32 v40, 1
	s_and_saveexec_b64 s[12:13], vcc
	s_cbranch_execz .LBB266_305
; %bb.302:                              ;   in Loop: Header=BB266_270 Depth=1
	v_and_b32_e32 v24, 0x7f, v1
	v_cmp_ne_u32_e32 vcc, s25, v24
	v_mov_b32_e32 v40, 0x7c010000
	s_and_saveexec_b64 s[16:17], vcc
	s_cbranch_execz .LBB266_304
; %bb.303:                              ;   in Loop: Header=BB266_270 Depth=1
	v_and_b32_e32 v42, 7, v1
	v_ffbh_u32_e32 v40, v42
	v_min_u32_e32 v44, 32, v40
	v_subrev_u32_e32 v40, 28, v44
	v_lshlrev_b64 v[40:41], v40, v[1:2]
	v_lshrrev_b32_e32 v43, 3, v24
	v_sub_u32_e32 v41, 29, v44
	v_cmp_gt_u32_e32 vcc, 8, v24
	v_cndmask_b32_e32 v24, v43, v41, vcc
	v_lshlrev_b32_e32 v1, 8, v1
	v_lshl_add_u32 v24, v24, 10, v12
	v_and_b32_e32 v40, 7, v40
	v_and_or_b32 v1, v1, s26, v24
	v_cndmask_b32_e32 v40, v42, v40, vcc
	v_lshlrev_b32_e32 v1, 16, v1
	v_lshl_or_b32 v40, v40, 23, v1
.LBB266_304:                            ;   in Loop: Header=BB266_270 Depth=1
	s_or_b64 exec, exec, s[16:17]
.LBB266_305:                            ;   in Loop: Header=BB266_270 Depth=1
	s_or_b64 exec, exec, s[12:13]
.LBB266_306:                            ;   in Loop: Header=BB266_270 Depth=1
	s_or_b64 exec, exec, s[0:1]
	v_lshrrev_b32_e32 v1, 16, v10
	v_cmp_ne_u16_sdwa s[12:13], v1, v2 src0_sel:BYTE_0 src1_sel:DWORD
	s_and_saveexec_b64 s[0:1], s[12:13]
	s_cbranch_execz .LBB266_312
; %bb.307:                              ;   in Loop: Header=BB266_270 Depth=1
	v_cmp_ne_u16_sdwa s[16:17], v1, s24 src0_sel:BYTE_0 src1_sel:DWORD
	v_mov_b32_e32 v39, 0x8000
	s_and_saveexec_b64 s[12:13], s[16:17]
	s_cbranch_execz .LBB266_311
; %bb.308:                              ;   in Loop: Header=BB266_270 Depth=1
	v_bfe_u32 v24, v10, 16, 7
	v_cmp_ne_u32_e32 vcc, s25, v24
	v_mov_b32_e32 v39, 0x7c01
	s_and_saveexec_b64 s[16:17], vcc
	s_cbranch_execz .LBB266_310
; %bb.309:                              ;   in Loop: Header=BB266_270 Depth=1
	v_and_b32_e32 v39, 7, v1
	v_ffbh_u32_e32 v41, v39
	v_min_u32_e32 v44, 32, v41
	v_subrev_u32_e32 v41, 28, v44
	v_lshlrev_b64 v[41:42], v41, v[1:2]
	v_lshrrev_b32_e32 v43, 3, v24
	v_sub_u32_e32 v42, 29, v44
	v_cmp_gt_u32_e32 vcc, 8, v24
	v_cndmask_b32_e32 v24, v43, v42, vcc
	v_lshl_add_u32 v24, v24, 10, v12
	v_lshlrev_b32_e32 v1, 8, v1
	v_and_b32_e32 v41, 7, v41
	v_and_b32_e32 v24, 0xfc00, v24
	v_cndmask_b32_e32 v39, v39, v41, vcc
	v_and_or_b32 v1, v1, s26, v24
	v_lshl_or_b32 v39, v39, 7, v1
.LBB266_310:                            ;   in Loop: Header=BB266_270 Depth=1
	s_or_b64 exec, exec, s[16:17]
.LBB266_311:                            ;   in Loop: Header=BB266_270 Depth=1
	s_or_b64 exec, exec, s[12:13]
.LBB266_312:                            ;   in Loop: Header=BB266_270 Depth=1
	s_or_b64 exec, exec, s[0:1]
	v_cmp_lt_u64_e32 vcc, s[4:5], v[9:10]
	v_mov_b32_e32 v41, 0
	s_and_saveexec_b64 s[0:1], vcc
	s_cbranch_execz .LBB266_318
; %bb.313:                              ;   in Loop: Header=BB266_270 Depth=1
	v_lshrrev_b32_e32 v1, 24, v10
	v_cmp_ne_u32_e32 vcc, s24, v1
	v_bfrev_b32_e32 v41, 1
	s_and_saveexec_b64 s[12:13], vcc
	s_cbranch_execz .LBB266_317
; %bb.314:                              ;   in Loop: Header=BB266_270 Depth=1
	v_and_b32_e32 v9, 0x7f, v1
	v_cmp_ne_u32_e32 vcc, s25, v9
	v_mov_b32_e32 v41, 0x7c010000
	s_and_saveexec_b64 s[16:17], vcc
	s_cbranch_execz .LBB266_316
; %bb.315:                              ;   in Loop: Header=BB266_270 Depth=1
	v_and_b32_e32 v10, 7, v1
	v_ffbh_u32_e32 v41, v10
	v_min_u32_e32 v43, 32, v41
	v_subrev_u32_e32 v41, 28, v43
	v_lshlrev_b64 v[41:42], v41, v[1:2]
	v_lshrrev_b32_e32 v24, 3, v9
	v_sub_u32_e32 v42, 29, v43
	v_cmp_gt_u32_e32 vcc, 8, v9
	v_cndmask_b32_e32 v9, v24, v42, vcc
	v_lshlrev_b32_e32 v1, 8, v1
	v_lshl_add_u32 v9, v9, 10, v12
	v_and_b32_e32 v24, 7, v41
	v_and_or_b32 v1, v1, s26, v9
	v_cndmask_b32_e32 v10, v10, v24, vcc
	v_lshlrev_b32_e32 v1, 16, v1
	v_lshl_or_b32 v41, v10, 23, v1
.LBB266_316:                            ;   in Loop: Header=BB266_270 Depth=1
	s_or_b64 exec, exec, s[16:17]
.LBB266_317:                            ;   in Loop: Header=BB266_270 Depth=1
	s_or_b64 exec, exec, s[12:13]
.LBB266_318:                            ;   in Loop: Header=BB266_270 Depth=1
	s_or_b64 exec, exec, s[0:1]
	s_waitcnt vmcnt(0)
	v_fma_mixlo_f16 v9, v25, v30, 0 op_sel:[0,1,0] op_sel_hi:[0,1,0]
	v_lshlrev_b32_e32 v42, 16, v9
	v_or_b32_e32 v9, v27, v26
	v_fma_mixlo_f16 v10, v25, v27, 0 op_sel:[0,1,0] op_sel_hi:[0,1,0]
	v_fma_mixlo_f16 v26, v25, v40, 0 op_sel:[0,1,0] op_sel_hi:[0,1,0]
	v_or_b32_e32 v1, v30, v28
	v_lshlrev_b32_e32 v44, 16, v10
	v_or_b32_e32 v10, v40, v29
	v_lshlrev_b32_e32 v40, 16, v26
	v_or_b32_e32 v26, v41, v39
	v_fma_mixlo_f16 v1, v25, v1, 0 op_sel_hi:[0,1,0]
	v_fma_mixlo_f16 v9, v25, v9, 0 op_sel_hi:[0,1,0]
	;; [unrolled: 1-line block ×4, first 2 shown]
	v_fma_mixlo_f16 v25, v25, v41, 0 op_sel:[0,1,0] op_sel_hi:[0,1,0]
	v_and_b32_e32 v43, 0xffff, v1
	v_and_b32_e32 v47, 0xffff, v9
	;; [unrolled: 1-line block ×3, first 2 shown]
	v_lshlrev_b32_e32 v41, 16, v25
	v_and_b32_e32 v46, 0xffff, v26
	v_add_u32_e32 v24, -7, v22
	v_cmp_eq_u32_e32 vcc, s28, v11
	v_or_b32_e32 v1, v42, v43
	v_or_b32_e32 v9, v44, v47
	;; [unrolled: 1-line block ×4, first 2 shown]
	v_add_u32_e32 v30, -6, v22
	v_add_u32_e32 v29, -5, v22
	;; [unrolled: 1-line block ×6, first 2 shown]
	s_and_saveexec_b64 s[12:13], vcc
	s_cbranch_execz .LBB266_320
; %bb.319:                              ;   in Loop: Header=BB266_270 Depth=1
	v_cmp_gt_i32_e64 s[0:1], s30, v24
	v_cndmask_b32_e64 v1, 0, v47, s[0:1]
	v_cmp_gt_i32_e64 s[0:1], s30, v30
	v_cndmask_b32_e64 v9, 0, v44, s[0:1]
	v_cmp_gt_i32_e64 s[0:1], s30, v29
	v_or_b32_e32 v9, v9, v1
	v_cndmask_b32_e64 v1, 0, v43, s[0:1]
	v_cmp_gt_i32_e64 s[0:1], s30, v28
	v_cndmask_b32_e64 v10, 0, v42, s[0:1]
	v_cmp_gt_i32_e64 s[0:1], s30, v27
	v_or_b32_e32 v1, v10, v1
	;; [unrolled: 5-line block ×3, first 2 shown]
	v_cndmask_b32_e64 v39, 0, v46, s[0:1]
	v_cmp_gt_i32_e64 s[0:1], s30, v22
	v_cndmask_b32_e64 v40, 0, v41, s[0:1]
	v_or_b32_e32 v39, v40, v39
.LBB266_320:                            ;   in Loop: Header=BB266_270 Depth=1
	s_or_b64 exec, exec, s[12:13]
	v_and_b32_e32 v31, 0xffff, v31
	v_lshl_or_b32 v31, v32, 16, v31
	v_and_b32_e32 v32, 0xffff, v33
	v_lshl_or_b32 v32, v34, 16, v32
	v_and_b32_e32 v33, 0xffff, v35
	v_and_b32_e32 v34, 0xffff, v37
	;;#ASMSTART
	v_pk_mul_f16 v9, v31, v9;

	;;#ASMEND
	;;#ASMSTART
	v_pk_mul_f16 v1, v32, v1;

	;;#ASMEND
	v_lshl_or_b32 v33, v36, 16, v33
	v_lshl_or_b32 v34, v38, 16, v34
	;;#ASMSTART
	v_pk_mul_f16 v10, v33, v10;

	;;#ASMEND
	;;#ASMSTART
	v_pk_mul_f16 v35, v34, v39;

	;;#ASMEND
	;;#ASMSTART
	v_pk_add_f16 v1, v9, v1;

	;;#ASMEND
	;;#ASMSTART
	v_pk_add_f16 v1, v1, v10;
	;; [unrolled: 4-line block ×3, first 2 shown]

	;;#ASMEND
	v_lshrrev_b32_e32 v9, 16, v1
	v_and_b32_e32 v1, 0xffff, v1
	;;#ASMSTART
	v_cvt_f32_f16 v35, v1;
	;;#ASMEND
	;;#ASMSTART
	v_cvt_f32_f16 v36, v9;
	;;#ASMEND
	global_load_dwordx2 v[9:10], v[7:8], off offset:512
	v_mov_b32_e32 v38, 0
	global_load_dword v37, v38, s[14:15]
	v_mov_b32_e32 v39, 0
	s_waitcnt vmcnt(1)
	v_cmp_ne_u16_sdwa s[0:1], v9, v2 src0_sel:BYTE_0 src1_sel:DWORD
	s_and_saveexec_b64 s[12:13], s[0:1]
	s_cbranch_execz .LBB266_326
; %bb.321:                              ;   in Loop: Header=BB266_270 Depth=1
	v_cmp_ne_u16_sdwa s[0:1], v9, s24 src0_sel:BYTE_0 src1_sel:DWORD
	v_mov_b32_e32 v39, 0x8000
	s_and_saveexec_b64 s[16:17], s[0:1]
	s_cbranch_execz .LBB266_325
; %bb.322:                              ;   in Loop: Header=BB266_270 Depth=1
	v_and_b32_e32 v1, 0x7f, v9
	v_cmp_ne_u32_e64 s[0:1], s25, v1
	v_mov_b32_e32 v39, 0x7c01
	s_and_saveexec_b64 s[18:19], s[0:1]
	s_cbranch_execz .LBB266_324
; %bb.323:                              ;   in Loop: Header=BB266_270 Depth=1
	v_and_b32_e32 v41, 7, v9
	v_ffbh_u32_e32 v39, v41
	v_min_u32_e32 v43, 32, v39
	v_subrev_u32_e32 v39, 28, v43
	v_lshlrev_b64 v[39:40], v39, v[9:10]
	v_lshrrev_b32_e32 v42, 3, v1
	v_sub_u32_e32 v40, 29, v43
	v_cmp_gt_u32_e64 s[0:1], 8, v1
	v_cndmask_b32_e64 v1, v42, v40, s[0:1]
	v_lshl_add_u32 v1, v1, 10, v12
	v_lshlrev_b32_e32 v40, 8, v9
	v_and_b32_e32 v39, 7, v39
	v_and_b32_e32 v1, 0xfc00, v1
	v_cndmask_b32_e64 v39, v41, v39, s[0:1]
	v_and_or_b32 v1, v40, s26, v1
	v_lshl_or_b32 v39, v39, 7, v1
.LBB266_324:                            ;   in Loop: Header=BB266_270 Depth=1
	s_or_b64 exec, exec, s[18:19]
.LBB266_325:                            ;   in Loop: Header=BB266_270 Depth=1
	s_or_b64 exec, exec, s[16:17]
.LBB266_326:                            ;   in Loop: Header=BB266_270 Depth=1
	s_or_b64 exec, exec, s[12:13]
	v_lshrrev_b16_e32 v1, 8, v9
	v_cmp_ne_u16_e64 s[0:1], 0, v1
	s_and_saveexec_b64 s[12:13], s[0:1]
	s_cbranch_execz .LBB266_332
; %bb.327:                              ;   in Loop: Header=BB266_270 Depth=1
	v_cmp_ne_u16_e64 s[0:1], s24, v1
	v_bfrev_b32_e32 v38, 1
	s_and_saveexec_b64 s[16:17], s[0:1]
	s_cbranch_execz .LBB266_331
; %bb.328:                              ;   in Loop: Header=BB266_270 Depth=1
	v_and_b32_e32 v40, 0x7f, v1
	v_cmp_ne_u32_e64 s[0:1], s25, v40
	v_mov_b32_e32 v38, 0x7c010000
	s_and_saveexec_b64 s[18:19], s[0:1]
	s_cbranch_execz .LBB266_330
; %bb.329:                              ;   in Loop: Header=BB266_270 Depth=1
	v_and_b32_e32 v38, 7, v1
	v_ffbh_u32_e32 v41, v38
	v_min_u32_e32 v44, 32, v41
	v_subrev_u32_e32 v41, 28, v44
	v_lshlrev_b64 v[41:42], v41, v[1:2]
	v_lshrrev_b32_e32 v43, 3, v40
	v_sub_u32_e32 v42, 29, v44
	v_cmp_gt_u32_e64 s[0:1], 8, v40
	v_cndmask_b32_e64 v40, v43, v42, s[0:1]
	v_lshlrev_b32_e32 v1, 8, v1
	v_lshl_add_u32 v40, v40, 10, v12
	v_and_b32_e32 v41, 7, v41
	v_and_or_b32 v1, v1, s26, v40
	v_cndmask_b32_e64 v38, v38, v41, s[0:1]
	v_lshlrev_b32_e32 v1, 16, v1
	v_lshl_or_b32 v38, v38, 23, v1
.LBB266_330:                            ;   in Loop: Header=BB266_270 Depth=1
	s_or_b64 exec, exec, s[18:19]
.LBB266_331:                            ;   in Loop: Header=BB266_270 Depth=1
	s_or_b64 exec, exec, s[16:17]
.LBB266_332:                            ;   in Loop: Header=BB266_270 Depth=1
	s_or_b64 exec, exec, s[12:13]
	v_lshrrev_b32_e32 v1, 16, v9
	v_cmp_ne_u16_sdwa s[0:1], v1, v2 src0_sel:BYTE_0 src1_sel:DWORD
	v_mov_b32_e32 v40, 0
	v_mov_b32_e32 v41, 0
	s_and_saveexec_b64 s[12:13], s[0:1]
	s_cbranch_execz .LBB266_338
; %bb.333:                              ;   in Loop: Header=BB266_270 Depth=1
	v_cmp_ne_u16_sdwa s[0:1], v1, s24 src0_sel:BYTE_0 src1_sel:DWORD
	v_mov_b32_e32 v41, 0x8000
	s_and_saveexec_b64 s[16:17], s[0:1]
	s_cbranch_execz .LBB266_337
; %bb.334:                              ;   in Loop: Header=BB266_270 Depth=1
	v_bfe_u32 v42, v9, 16, 7
	v_cmp_ne_u32_e64 s[0:1], s25, v42
	v_mov_b32_e32 v41, 0x7c01
	s_and_saveexec_b64 s[18:19], s[0:1]
	s_cbranch_execz .LBB266_336
; %bb.335:                              ;   in Loop: Header=BB266_270 Depth=1
	v_and_b32_e32 v41, 7, v1
	v_ffbh_u32_e32 v43, v41
	v_min_u32_e32 v46, 32, v43
	v_subrev_u32_e32 v43, 28, v46
	v_lshlrev_b64 v[43:44], v43, v[1:2]
	v_lshrrev_b32_e32 v45, 3, v42
	v_sub_u32_e32 v44, 29, v46
	v_cmp_gt_u32_e64 s[0:1], 8, v42
	v_cndmask_b32_e64 v42, v45, v44, s[0:1]
	v_lshl_add_u32 v42, v42, 10, v12
	v_lshlrev_b32_e32 v1, 8, v1
	v_and_b32_e32 v43, 7, v43
	v_and_b32_e32 v42, 0xfc00, v42
	v_cndmask_b32_e64 v41, v41, v43, s[0:1]
	v_and_or_b32 v1, v1, s26, v42
	v_lshl_or_b32 v41, v41, 7, v1
.LBB266_336:                            ;   in Loop: Header=BB266_270 Depth=1
	s_or_b64 exec, exec, s[18:19]
.LBB266_337:                            ;   in Loop: Header=BB266_270 Depth=1
	s_or_b64 exec, exec, s[16:17]
.LBB266_338:                            ;   in Loop: Header=BB266_270 Depth=1
	s_or_b64 exec, exec, s[12:13]
	v_cmp_lt_u32_e64 s[0:1], s5, v9
	s_and_saveexec_b64 s[12:13], s[0:1]
	s_cbranch_execz .LBB266_344
; %bb.339:                              ;   in Loop: Header=BB266_270 Depth=1
	v_lshrrev_b32_e32 v1, 24, v9
	v_cmp_ne_u32_e64 s[0:1], s24, v1
	v_bfrev_b32_e32 v40, 1
	s_and_saveexec_b64 s[16:17], s[0:1]
	s_cbranch_execz .LBB266_343
; %bb.340:                              ;   in Loop: Header=BB266_270 Depth=1
	v_and_b32_e32 v42, 0x7f, v1
	v_cmp_ne_u32_e64 s[0:1], s25, v42
	v_mov_b32_e32 v40, 0x7c010000
	s_and_saveexec_b64 s[18:19], s[0:1]
	s_cbranch_execz .LBB266_342
; %bb.341:                              ;   in Loop: Header=BB266_270 Depth=1
	v_and_b32_e32 v40, 7, v1
	v_ffbh_u32_e32 v43, v40
	v_min_u32_e32 v46, 32, v43
	v_subrev_u32_e32 v43, 28, v46
	v_lshlrev_b64 v[43:44], v43, v[1:2]
	v_lshrrev_b32_e32 v45, 3, v42
	v_sub_u32_e32 v44, 29, v46
	v_cmp_gt_u32_e64 s[0:1], 8, v42
	v_cndmask_b32_e64 v42, v45, v44, s[0:1]
	v_lshlrev_b32_e32 v1, 8, v1
	v_lshl_add_u32 v42, v42, 10, v12
	v_and_b32_e32 v43, 7, v43
	v_and_or_b32 v1, v1, s26, v42
	v_cndmask_b32_e64 v40, v40, v43, s[0:1]
	v_lshlrev_b32_e32 v1, 16, v1
	v_lshl_or_b32 v40, v40, 23, v1
.LBB266_342:                            ;   in Loop: Header=BB266_270 Depth=1
	s_or_b64 exec, exec, s[18:19]
.LBB266_343:                            ;   in Loop: Header=BB266_270 Depth=1
	s_or_b64 exec, exec, s[16:17]
.LBB266_344:                            ;   in Loop: Header=BB266_270 Depth=1
	s_or_b64 exec, exec, s[12:13]
	v_mov_b32_e32 v1, v10
	v_cmp_ne_u16_sdwa s[0:1], v10, v2 src0_sel:BYTE_0 src1_sel:DWORD
	v_mov_b32_e32 v42, 0
	v_mov_b32_e32 v43, 0
	s_and_saveexec_b64 s[12:13], s[0:1]
	s_cbranch_execz .LBB266_350
; %bb.345:                              ;   in Loop: Header=BB266_270 Depth=1
	v_cmp_ne_u16_sdwa s[0:1], v10, s24 src0_sel:BYTE_0 src1_sel:DWORD
	v_mov_b32_e32 v43, 0x8000
	s_and_saveexec_b64 s[16:17], s[0:1]
	s_cbranch_execz .LBB266_349
; %bb.346:                              ;   in Loop: Header=BB266_270 Depth=1
	v_and_b32_e32 v44, 0x7f, v10
	v_cmp_ne_u32_e64 s[0:1], s25, v44
	v_mov_b32_e32 v43, 0x7c01
	s_and_saveexec_b64 s[18:19], s[0:1]
	s_cbranch_execz .LBB266_348
; %bb.347:                              ;   in Loop: Header=BB266_270 Depth=1
	v_and_b32_e32 v43, 7, v10
	v_ffbh_u32_e32 v45, v43
	v_min_u32_e32 v48, 32, v45
	v_subrev_u32_e32 v45, 28, v48
	v_lshlrev_b64 v[45:46], v45, v[1:2]
	v_lshrrev_b32_e32 v47, 3, v44
	v_sub_u32_e32 v46, 29, v48
	v_cmp_gt_u32_e64 s[0:1], 8, v44
	v_cndmask_b32_e64 v44, v47, v46, s[0:1]
	v_lshl_add_u32 v44, v44, 10, v12
	v_lshlrev_b32_e32 v46, 8, v10
	v_and_b32_e32 v45, 7, v45
	v_and_b32_e32 v44, 0xfc00, v44
	v_cndmask_b32_e64 v43, v43, v45, s[0:1]
	v_and_or_b32 v44, v46, s26, v44
	v_lshl_or_b32 v43, v43, 7, v44
.LBB266_348:                            ;   in Loop: Header=BB266_270 Depth=1
	s_or_b64 exec, exec, s[18:19]
.LBB266_349:                            ;   in Loop: Header=BB266_270 Depth=1
	s_or_b64 exec, exec, s[16:17]
.LBB266_350:                            ;   in Loop: Header=BB266_270 Depth=1
	s_or_b64 exec, exec, s[12:13]
	v_lshrrev_b16_e32 v1, 8, v1
	v_cmp_ne_u16_e64 s[0:1], 0, v1
	v_mov_b32_e32 v44, 0
	s_and_saveexec_b64 s[12:13], s[0:1]
	s_cbranch_execz .LBB266_356
; %bb.351:                              ;   in Loop: Header=BB266_270 Depth=1
	v_cmp_ne_u16_e64 s[0:1], s24, v1
	v_bfrev_b32_e32 v44, 1
	s_and_saveexec_b64 s[16:17], s[0:1]
	s_cbranch_execz .LBB266_355
; %bb.352:                              ;   in Loop: Header=BB266_270 Depth=1
	v_and_b32_e32 v45, 0x7f, v1
	v_cmp_ne_u32_e64 s[0:1], s25, v45
	v_mov_b32_e32 v44, 0x7c010000
	s_and_saveexec_b64 s[18:19], s[0:1]
	s_cbranch_execz .LBB266_354
; %bb.353:                              ;   in Loop: Header=BB266_270 Depth=1
	v_and_b32_e32 v44, 7, v1
	v_ffbh_u32_e32 v46, v44
	v_min_u32_e32 v49, 32, v46
	v_subrev_u32_e32 v46, 28, v49
	v_lshlrev_b64 v[46:47], v46, v[1:2]
	v_lshrrev_b32_e32 v48, 3, v45
	v_sub_u32_e32 v47, 29, v49
	v_cmp_gt_u32_e64 s[0:1], 8, v45
	v_cndmask_b32_e64 v45, v48, v47, s[0:1]
	v_lshlrev_b32_e32 v1, 8, v1
	v_lshl_add_u32 v45, v45, 10, v12
	v_and_b32_e32 v46, 7, v46
	v_and_or_b32 v1, v1, s26, v45
	v_cndmask_b32_e64 v44, v44, v46, s[0:1]
	v_lshlrev_b32_e32 v1, 16, v1
	v_lshl_or_b32 v44, v44, 23, v1
.LBB266_354:                            ;   in Loop: Header=BB266_270 Depth=1
	s_or_b64 exec, exec, s[18:19]
.LBB266_355:                            ;   in Loop: Header=BB266_270 Depth=1
	s_or_b64 exec, exec, s[16:17]
.LBB266_356:                            ;   in Loop: Header=BB266_270 Depth=1
	s_or_b64 exec, exec, s[12:13]
	v_lshrrev_b32_e32 v1, 16, v10
	v_cmp_ne_u16_sdwa s[0:1], v1, v2 src0_sel:BYTE_0 src1_sel:DWORD
	s_and_saveexec_b64 s[12:13], s[0:1]
	s_cbranch_execz .LBB266_362
; %bb.357:                              ;   in Loop: Header=BB266_270 Depth=1
	v_cmp_ne_u16_sdwa s[0:1], v1, s24 src0_sel:BYTE_0 src1_sel:DWORD
	v_mov_b32_e32 v42, 0x8000
	s_and_saveexec_b64 s[16:17], s[0:1]
	s_cbranch_execz .LBB266_361
; %bb.358:                              ;   in Loop: Header=BB266_270 Depth=1
	v_bfe_u32 v45, v10, 16, 7
	v_cmp_ne_u32_e64 s[0:1], s25, v45
	v_mov_b32_e32 v42, 0x7c01
	s_and_saveexec_b64 s[18:19], s[0:1]
	s_cbranch_execz .LBB266_360
; %bb.359:                              ;   in Loop: Header=BB266_270 Depth=1
	v_and_b32_e32 v42, 7, v1
	v_ffbh_u32_e32 v46, v42
	v_min_u32_e32 v49, 32, v46
	v_subrev_u32_e32 v46, 28, v49
	v_lshlrev_b64 v[46:47], v46, v[1:2]
	v_lshrrev_b32_e32 v48, 3, v45
	v_sub_u32_e32 v47, 29, v49
	v_cmp_gt_u32_e64 s[0:1], 8, v45
	v_cndmask_b32_e64 v45, v48, v47, s[0:1]
	v_lshl_add_u32 v45, v45, 10, v12
	v_lshlrev_b32_e32 v1, 8, v1
	v_and_b32_e32 v46, 7, v46
	v_and_b32_e32 v45, 0xfc00, v45
	v_cndmask_b32_e64 v42, v42, v46, s[0:1]
	v_and_or_b32 v1, v1, s26, v45
	v_lshl_or_b32 v42, v42, 7, v1
.LBB266_360:                            ;   in Loop: Header=BB266_270 Depth=1
	s_or_b64 exec, exec, s[18:19]
.LBB266_361:                            ;   in Loop: Header=BB266_270 Depth=1
	s_or_b64 exec, exec, s[16:17]
.LBB266_362:                            ;   in Loop: Header=BB266_270 Depth=1
	s_or_b64 exec, exec, s[12:13]
	v_cmp_lt_u64_e64 s[0:1], s[4:5], v[9:10]
	v_mov_b32_e32 v9, 0
	s_and_saveexec_b64 s[12:13], s[0:1]
	s_cbranch_execz .LBB266_368
; %bb.363:                              ;   in Loop: Header=BB266_270 Depth=1
	v_lshrrev_b32_e32 v1, 24, v10
	v_cmp_ne_u32_e64 s[0:1], s24, v1
	v_bfrev_b32_e32 v9, 1
	s_and_saveexec_b64 s[16:17], s[0:1]
	s_cbranch_execz .LBB266_367
; %bb.364:                              ;   in Loop: Header=BB266_270 Depth=1
	v_and_b32_e32 v10, 0x7f, v1
	v_cmp_ne_u32_e64 s[0:1], s25, v10
	v_mov_b32_e32 v9, 0x7c010000
	s_and_saveexec_b64 s[18:19], s[0:1]
	s_cbranch_execz .LBB266_366
; %bb.365:                              ;   in Loop: Header=BB266_270 Depth=1
	v_and_b32_e32 v9, 7, v1
	v_ffbh_u32_e32 v45, v9
	v_min_u32_e32 v48, 32, v45
	v_subrev_u32_e32 v45, 28, v48
	v_lshlrev_b64 v[45:46], v45, v[1:2]
	v_lshrrev_b32_e32 v47, 3, v10
	v_sub_u32_e32 v46, 29, v48
	v_cmp_gt_u32_e64 s[0:1], 8, v10
	v_cndmask_b32_e64 v10, v47, v46, s[0:1]
	v_lshlrev_b32_e32 v1, 8, v1
	v_lshl_add_u32 v10, v10, 10, v12
	v_and_b32_e32 v45, 7, v45
	v_and_or_b32 v1, v1, s26, v10
	v_cndmask_b32_e64 v9, v9, v45, s[0:1]
	v_lshlrev_b32_e32 v1, 16, v1
	v_lshl_or_b32 v9, v9, 23, v1
.LBB266_366:                            ;   in Loop: Header=BB266_270 Depth=1
	s_or_b64 exec, exec, s[18:19]
.LBB266_367:                            ;   in Loop: Header=BB266_270 Depth=1
	s_or_b64 exec, exec, s[16:17]
.LBB266_368:                            ;   in Loop: Header=BB266_270 Depth=1
	s_or_b64 exec, exec, s[12:13]
	s_waitcnt vmcnt(0)
	v_fma_mixlo_f16 v10, v37, v40, 0 op_sel:[0,1,0] op_sel_hi:[0,1,0]
	v_or_b32_e32 v1, v40, v41
	v_lshlrev_b32_e32 v40, 16, v10
	v_or_b32_e32 v10, v38, v39
	v_fma_mixlo_f16 v38, v37, v38, 0 op_sel:[0,1,0] op_sel_hi:[0,1,0]
	v_lshlrev_b32_e32 v45, 16, v38
	v_or_b32_e32 v38, v44, v43
	v_or_b32_e32 v42, v9, v42
	v_fma_mixlo_f16 v1, v37, v1, 0 op_sel_hi:[0,1,0]
	v_fma_mixlo_f16 v10, v37, v10, 0 op_sel_hi:[0,1,0]
	v_fma_mixlo_f16 v39, v37, v44, 0 op_sel:[0,1,0] op_sel_hi:[0,1,0]
	v_fma_mixlo_f16 v38, v37, v38, 0 op_sel_hi:[0,1,0]
	v_fma_mixlo_f16 v42, v37, v42, 0 op_sel_hi:[0,1,0]
	v_fma_mixlo_f16 v9, v37, v9, 0 op_sel:[0,1,0] op_sel_hi:[0,1,0]
	v_and_b32_e32 v41, 0xffff, v1
	v_and_b32_e32 v46, 0xffff, v10
	v_lshlrev_b32_e32 v39, 16, v39
	v_and_b32_e32 v43, 0xffff, v38
	v_lshlrev_b32_e32 v9, 16, v9
	v_and_b32_e32 v37, 0xffff, v42
	v_or_b32_e32 v1, v40, v41
	v_or_b32_e32 v10, v45, v46
	;; [unrolled: 1-line block ×4, first 2 shown]
	s_and_saveexec_b64 s[12:13], vcc
	s_cbranch_execz .LBB266_370
; %bb.369:                              ;   in Loop: Header=BB266_270 Depth=1
	v_cmp_gt_i32_e64 s[0:1], s30, v24
	v_cndmask_b32_e64 v1, 0, v46, s[0:1]
	v_cmp_gt_i32_e64 s[0:1], s30, v30
	v_cndmask_b32_e64 v10, 0, v45, s[0:1]
	v_cmp_gt_i32_e64 s[0:1], s30, v29
	v_or_b32_e32 v10, v10, v1
	v_cndmask_b32_e64 v1, 0, v41, s[0:1]
	v_cmp_gt_i32_e64 s[0:1], s30, v28
	v_cndmask_b32_e64 v38, 0, v40, s[0:1]
	v_cmp_gt_i32_e64 s[0:1], s30, v27
	v_or_b32_e32 v1, v38, v1
	v_cndmask_b32_e64 v38, 0, v43, s[0:1]
	v_cmp_gt_i32_e64 s[0:1], s30, v26
	v_cndmask_b32_e64 v39, 0, v39, s[0:1]
	v_cmp_gt_i32_e64 s[0:1], s30, v25
	;; [unrolled: 2-line block ×3, first 2 shown]
	v_cndmask_b32_e64 v9, 0, v9, s[0:1]
	v_or_b32_e32 v38, v39, v38
	v_or_b32_e32 v42, v9, v37
.LBB266_370:                            ;   in Loop: Header=BB266_270 Depth=1
	s_or_b64 exec, exec, s[12:13]
	;;#ASMSTART
	v_pk_mul_f16 v9, v31, v10;

	;;#ASMEND
	;;#ASMSTART
	v_pk_mul_f16 v1, v32, v1;

	;;#ASMEND
	;; [unrolled: 4-line block ×4, first 2 shown]
	;;#ASMSTART
	v_pk_add_f16 v1, v9, v1;

	;;#ASMEND
	;;#ASMSTART
	v_pk_add_f16 v1, v1, v10;

	;;#ASMEND
	;; [unrolled: 4-line block ×3, first 2 shown]
	v_lshrrev_b32_e32 v9, 16, v1
	v_and_b32_e32 v1, 0xffff, v1
	;;#ASMSTART
	v_cvt_f32_f16 v37, v1;
	;;#ASMEND
	;;#ASMSTART
	v_cvt_f32_f16 v38, v9;
	;;#ASMEND
	global_load_dwordx2 v[9:10], v[7:8], off offset:1024
	v_mov_b32_e32 v40, 0
	global_load_dword v39, v40, s[14:15]
	v_mov_b32_e32 v41, 0
	s_waitcnt vmcnt(1)
	v_cmp_ne_u16_sdwa s[0:1], v9, v2 src0_sel:BYTE_0 src1_sel:DWORD
	s_and_saveexec_b64 s[12:13], s[0:1]
	s_cbranch_execz .LBB266_376
; %bb.371:                              ;   in Loop: Header=BB266_270 Depth=1
	v_cmp_ne_u16_sdwa s[0:1], v9, s24 src0_sel:BYTE_0 src1_sel:DWORD
	v_mov_b32_e32 v41, 0x8000
	s_and_saveexec_b64 s[16:17], s[0:1]
	s_cbranch_execz .LBB266_375
; %bb.372:                              ;   in Loop: Header=BB266_270 Depth=1
	v_and_b32_e32 v1, 0x7f, v9
	v_cmp_ne_u32_e64 s[0:1], s25, v1
	v_mov_b32_e32 v41, 0x7c01
	s_and_saveexec_b64 s[18:19], s[0:1]
	s_cbranch_execz .LBB266_374
; %bb.373:                              ;   in Loop: Header=BB266_270 Depth=1
	v_and_b32_e32 v43, 7, v9
	v_ffbh_u32_e32 v41, v43
	v_min_u32_e32 v45, 32, v41
	v_subrev_u32_e32 v41, 28, v45
	v_lshlrev_b64 v[41:42], v41, v[9:10]
	v_lshrrev_b32_e32 v44, 3, v1
	v_sub_u32_e32 v42, 29, v45
	v_cmp_gt_u32_e64 s[0:1], 8, v1
	v_cndmask_b32_e64 v1, v44, v42, s[0:1]
	v_lshl_add_u32 v1, v1, 10, v12
	v_lshlrev_b32_e32 v42, 8, v9
	v_and_b32_e32 v41, 7, v41
	v_and_b32_e32 v1, 0xfc00, v1
	v_cndmask_b32_e64 v41, v43, v41, s[0:1]
	v_and_or_b32 v1, v42, s26, v1
	v_lshl_or_b32 v41, v41, 7, v1
.LBB266_374:                            ;   in Loop: Header=BB266_270 Depth=1
	s_or_b64 exec, exec, s[18:19]
.LBB266_375:                            ;   in Loop: Header=BB266_270 Depth=1
	s_or_b64 exec, exec, s[16:17]
.LBB266_376:                            ;   in Loop: Header=BB266_270 Depth=1
	s_or_b64 exec, exec, s[12:13]
	v_lshrrev_b16_e32 v1, 8, v9
	v_cmp_ne_u16_e64 s[0:1], 0, v1
	s_and_saveexec_b64 s[12:13], s[0:1]
	s_cbranch_execz .LBB266_382
; %bb.377:                              ;   in Loop: Header=BB266_270 Depth=1
	v_cmp_ne_u16_e64 s[0:1], s24, v1
	v_bfrev_b32_e32 v40, 1
	s_and_saveexec_b64 s[16:17], s[0:1]
	s_cbranch_execz .LBB266_381
; %bb.378:                              ;   in Loop: Header=BB266_270 Depth=1
	v_and_b32_e32 v42, 0x7f, v1
	v_cmp_ne_u32_e64 s[0:1], s25, v42
	v_mov_b32_e32 v40, 0x7c010000
	s_and_saveexec_b64 s[18:19], s[0:1]
	s_cbranch_execz .LBB266_380
; %bb.379:                              ;   in Loop: Header=BB266_270 Depth=1
	v_and_b32_e32 v40, 7, v1
	v_ffbh_u32_e32 v43, v40
	v_min_u32_e32 v46, 32, v43
	v_subrev_u32_e32 v43, 28, v46
	v_lshlrev_b64 v[43:44], v43, v[1:2]
	v_lshrrev_b32_e32 v45, 3, v42
	v_sub_u32_e32 v44, 29, v46
	v_cmp_gt_u32_e64 s[0:1], 8, v42
	v_cndmask_b32_e64 v42, v45, v44, s[0:1]
	v_lshlrev_b32_e32 v1, 8, v1
	v_lshl_add_u32 v42, v42, 10, v12
	v_and_b32_e32 v43, 7, v43
	v_and_or_b32 v1, v1, s26, v42
	v_cndmask_b32_e64 v40, v40, v43, s[0:1]
	v_lshlrev_b32_e32 v1, 16, v1
	v_lshl_or_b32 v40, v40, 23, v1
.LBB266_380:                            ;   in Loop: Header=BB266_270 Depth=1
	s_or_b64 exec, exec, s[18:19]
.LBB266_381:                            ;   in Loop: Header=BB266_270 Depth=1
	s_or_b64 exec, exec, s[16:17]
.LBB266_382:                            ;   in Loop: Header=BB266_270 Depth=1
	s_or_b64 exec, exec, s[12:13]
	v_lshrrev_b32_e32 v1, 16, v9
	v_cmp_ne_u16_sdwa s[0:1], v1, v2 src0_sel:BYTE_0 src1_sel:DWORD
	v_mov_b32_e32 v42, 0
	v_mov_b32_e32 v43, 0
	s_and_saveexec_b64 s[12:13], s[0:1]
	s_cbranch_execz .LBB266_388
; %bb.383:                              ;   in Loop: Header=BB266_270 Depth=1
	v_cmp_ne_u16_sdwa s[0:1], v1, s24 src0_sel:BYTE_0 src1_sel:DWORD
	v_mov_b32_e32 v43, 0x8000
	s_and_saveexec_b64 s[16:17], s[0:1]
	s_cbranch_execz .LBB266_387
; %bb.384:                              ;   in Loop: Header=BB266_270 Depth=1
	v_bfe_u32 v44, v9, 16, 7
	v_cmp_ne_u32_e64 s[0:1], s25, v44
	v_mov_b32_e32 v43, 0x7c01
	s_and_saveexec_b64 s[18:19], s[0:1]
	s_cbranch_execz .LBB266_386
; %bb.385:                              ;   in Loop: Header=BB266_270 Depth=1
	v_and_b32_e32 v43, 7, v1
	v_ffbh_u32_e32 v45, v43
	v_min_u32_e32 v48, 32, v45
	v_subrev_u32_e32 v45, 28, v48
	v_lshlrev_b64 v[45:46], v45, v[1:2]
	v_lshrrev_b32_e32 v47, 3, v44
	v_sub_u32_e32 v46, 29, v48
	v_cmp_gt_u32_e64 s[0:1], 8, v44
	v_cndmask_b32_e64 v44, v47, v46, s[0:1]
	v_lshl_add_u32 v44, v44, 10, v12
	v_lshlrev_b32_e32 v1, 8, v1
	v_and_b32_e32 v45, 7, v45
	v_and_b32_e32 v44, 0xfc00, v44
	v_cndmask_b32_e64 v43, v43, v45, s[0:1]
	v_and_or_b32 v1, v1, s26, v44
	v_lshl_or_b32 v43, v43, 7, v1
.LBB266_386:                            ;   in Loop: Header=BB266_270 Depth=1
	s_or_b64 exec, exec, s[18:19]
.LBB266_387:                            ;   in Loop: Header=BB266_270 Depth=1
	s_or_b64 exec, exec, s[16:17]
.LBB266_388:                            ;   in Loop: Header=BB266_270 Depth=1
	s_or_b64 exec, exec, s[12:13]
	v_cmp_lt_u32_e64 s[0:1], s5, v9
	s_and_saveexec_b64 s[12:13], s[0:1]
	s_cbranch_execz .LBB266_394
; %bb.389:                              ;   in Loop: Header=BB266_270 Depth=1
	v_lshrrev_b32_e32 v1, 24, v9
	v_cmp_ne_u32_e64 s[0:1], s24, v1
	v_bfrev_b32_e32 v42, 1
	s_and_saveexec_b64 s[16:17], s[0:1]
	s_cbranch_execz .LBB266_393
; %bb.390:                              ;   in Loop: Header=BB266_270 Depth=1
	v_and_b32_e32 v44, 0x7f, v1
	v_cmp_ne_u32_e64 s[0:1], s25, v44
	v_mov_b32_e32 v42, 0x7c010000
	s_and_saveexec_b64 s[18:19], s[0:1]
	s_cbranch_execz .LBB266_392
; %bb.391:                              ;   in Loop: Header=BB266_270 Depth=1
	v_and_b32_e32 v42, 7, v1
	v_ffbh_u32_e32 v45, v42
	v_min_u32_e32 v48, 32, v45
	v_subrev_u32_e32 v45, 28, v48
	v_lshlrev_b64 v[45:46], v45, v[1:2]
	v_lshrrev_b32_e32 v47, 3, v44
	v_sub_u32_e32 v46, 29, v48
	v_cmp_gt_u32_e64 s[0:1], 8, v44
	v_cndmask_b32_e64 v44, v47, v46, s[0:1]
	v_lshlrev_b32_e32 v1, 8, v1
	v_lshl_add_u32 v44, v44, 10, v12
	v_and_b32_e32 v45, 7, v45
	v_and_or_b32 v1, v1, s26, v44
	v_cndmask_b32_e64 v42, v42, v45, s[0:1]
	v_lshlrev_b32_e32 v1, 16, v1
	v_lshl_or_b32 v42, v42, 23, v1
.LBB266_392:                            ;   in Loop: Header=BB266_270 Depth=1
	s_or_b64 exec, exec, s[18:19]
.LBB266_393:                            ;   in Loop: Header=BB266_270 Depth=1
	s_or_b64 exec, exec, s[16:17]
.LBB266_394:                            ;   in Loop: Header=BB266_270 Depth=1
	s_or_b64 exec, exec, s[12:13]
	v_mov_b32_e32 v1, v10
	v_cmp_ne_u16_sdwa s[0:1], v10, v2 src0_sel:BYTE_0 src1_sel:DWORD
	v_mov_b32_e32 v44, 0
	v_mov_b32_e32 v45, 0
	s_and_saveexec_b64 s[12:13], s[0:1]
	s_cbranch_execz .LBB266_400
; %bb.395:                              ;   in Loop: Header=BB266_270 Depth=1
	v_cmp_ne_u16_sdwa s[0:1], v10, s24 src0_sel:BYTE_0 src1_sel:DWORD
	v_mov_b32_e32 v45, 0x8000
	s_and_saveexec_b64 s[16:17], s[0:1]
	s_cbranch_execz .LBB266_399
; %bb.396:                              ;   in Loop: Header=BB266_270 Depth=1
	v_and_b32_e32 v46, 0x7f, v10
	v_cmp_ne_u32_e64 s[0:1], s25, v46
	v_mov_b32_e32 v45, 0x7c01
	s_and_saveexec_b64 s[18:19], s[0:1]
	s_cbranch_execz .LBB266_398
; %bb.397:                              ;   in Loop: Header=BB266_270 Depth=1
	v_and_b32_e32 v45, 7, v10
	v_ffbh_u32_e32 v47, v45
	v_min_u32_e32 v50, 32, v47
	v_subrev_u32_e32 v47, 28, v50
	v_lshlrev_b64 v[47:48], v47, v[1:2]
	v_lshrrev_b32_e32 v49, 3, v46
	v_sub_u32_e32 v48, 29, v50
	v_cmp_gt_u32_e64 s[0:1], 8, v46
	v_cndmask_b32_e64 v46, v49, v48, s[0:1]
	v_lshl_add_u32 v46, v46, 10, v12
	v_lshlrev_b32_e32 v48, 8, v10
	v_and_b32_e32 v47, 7, v47
	v_and_b32_e32 v46, 0xfc00, v46
	v_cndmask_b32_e64 v45, v45, v47, s[0:1]
	v_and_or_b32 v46, v48, s26, v46
	v_lshl_or_b32 v45, v45, 7, v46
.LBB266_398:                            ;   in Loop: Header=BB266_270 Depth=1
	s_or_b64 exec, exec, s[18:19]
.LBB266_399:                            ;   in Loop: Header=BB266_270 Depth=1
	s_or_b64 exec, exec, s[16:17]
.LBB266_400:                            ;   in Loop: Header=BB266_270 Depth=1
	s_or_b64 exec, exec, s[12:13]
	v_lshrrev_b16_e32 v1, 8, v1
	v_cmp_ne_u16_e64 s[0:1], 0, v1
	v_mov_b32_e32 v46, 0
	s_and_saveexec_b64 s[12:13], s[0:1]
	s_cbranch_execz .LBB266_406
; %bb.401:                              ;   in Loop: Header=BB266_270 Depth=1
	v_cmp_ne_u16_e64 s[0:1], s24, v1
	v_bfrev_b32_e32 v46, 1
	s_and_saveexec_b64 s[16:17], s[0:1]
	s_cbranch_execz .LBB266_405
; %bb.402:                              ;   in Loop: Header=BB266_270 Depth=1
	v_and_b32_e32 v47, 0x7f, v1
	v_cmp_ne_u32_e64 s[0:1], s25, v47
	v_mov_b32_e32 v46, 0x7c010000
	s_and_saveexec_b64 s[18:19], s[0:1]
	s_cbranch_execz .LBB266_404
; %bb.403:                              ;   in Loop: Header=BB266_270 Depth=1
	v_and_b32_e32 v46, 7, v1
	v_ffbh_u32_e32 v48, v46
	v_min_u32_e32 v51, 32, v48
	v_subrev_u32_e32 v48, 28, v51
	v_lshlrev_b64 v[48:49], v48, v[1:2]
	v_lshrrev_b32_e32 v50, 3, v47
	v_sub_u32_e32 v49, 29, v51
	v_cmp_gt_u32_e64 s[0:1], 8, v47
	v_cndmask_b32_e64 v47, v50, v49, s[0:1]
	v_lshlrev_b32_e32 v1, 8, v1
	v_lshl_add_u32 v47, v47, 10, v12
	v_and_b32_e32 v48, 7, v48
	v_and_or_b32 v1, v1, s26, v47
	v_cndmask_b32_e64 v46, v46, v48, s[0:1]
	v_lshlrev_b32_e32 v1, 16, v1
	v_lshl_or_b32 v46, v46, 23, v1
.LBB266_404:                            ;   in Loop: Header=BB266_270 Depth=1
	s_or_b64 exec, exec, s[18:19]
.LBB266_405:                            ;   in Loop: Header=BB266_270 Depth=1
	s_or_b64 exec, exec, s[16:17]
.LBB266_406:                            ;   in Loop: Header=BB266_270 Depth=1
	s_or_b64 exec, exec, s[12:13]
	v_lshrrev_b32_e32 v1, 16, v10
	v_cmp_ne_u16_sdwa s[0:1], v1, v2 src0_sel:BYTE_0 src1_sel:DWORD
	s_and_saveexec_b64 s[12:13], s[0:1]
	s_cbranch_execz .LBB266_412
; %bb.407:                              ;   in Loop: Header=BB266_270 Depth=1
	v_cmp_ne_u16_sdwa s[0:1], v1, s24 src0_sel:BYTE_0 src1_sel:DWORD
	v_mov_b32_e32 v44, 0x8000
	s_and_saveexec_b64 s[16:17], s[0:1]
	s_cbranch_execz .LBB266_411
; %bb.408:                              ;   in Loop: Header=BB266_270 Depth=1
	v_bfe_u32 v47, v10, 16, 7
	v_cmp_ne_u32_e64 s[0:1], s25, v47
	v_mov_b32_e32 v44, 0x7c01
	s_and_saveexec_b64 s[18:19], s[0:1]
	s_cbranch_execz .LBB266_410
; %bb.409:                              ;   in Loop: Header=BB266_270 Depth=1
	v_and_b32_e32 v44, 7, v1
	v_ffbh_u32_e32 v48, v44
	v_min_u32_e32 v51, 32, v48
	v_subrev_u32_e32 v48, 28, v51
	v_lshlrev_b64 v[48:49], v48, v[1:2]
	v_lshrrev_b32_e32 v50, 3, v47
	v_sub_u32_e32 v49, 29, v51
	v_cmp_gt_u32_e64 s[0:1], 8, v47
	v_cndmask_b32_e64 v47, v50, v49, s[0:1]
	v_lshl_add_u32 v47, v47, 10, v12
	v_lshlrev_b32_e32 v1, 8, v1
	v_and_b32_e32 v48, 7, v48
	v_and_b32_e32 v47, 0xfc00, v47
	v_cndmask_b32_e64 v44, v44, v48, s[0:1]
	v_and_or_b32 v1, v1, s26, v47
	v_lshl_or_b32 v44, v44, 7, v1
.LBB266_410:                            ;   in Loop: Header=BB266_270 Depth=1
	s_or_b64 exec, exec, s[18:19]
.LBB266_411:                            ;   in Loop: Header=BB266_270 Depth=1
	s_or_b64 exec, exec, s[16:17]
.LBB266_412:                            ;   in Loop: Header=BB266_270 Depth=1
	s_or_b64 exec, exec, s[12:13]
	v_cmp_lt_u64_e64 s[0:1], s[4:5], v[9:10]
	v_mov_b32_e32 v9, 0
	s_and_saveexec_b64 s[12:13], s[0:1]
	s_cbranch_execz .LBB266_418
; %bb.413:                              ;   in Loop: Header=BB266_270 Depth=1
	v_lshrrev_b32_e32 v1, 24, v10
	v_cmp_ne_u32_e64 s[0:1], s24, v1
	v_bfrev_b32_e32 v9, 1
	s_and_saveexec_b64 s[16:17], s[0:1]
	s_cbranch_execz .LBB266_417
; %bb.414:                              ;   in Loop: Header=BB266_270 Depth=1
	v_and_b32_e32 v10, 0x7f, v1
	v_cmp_ne_u32_e64 s[0:1], s25, v10
	v_mov_b32_e32 v9, 0x7c010000
	s_and_saveexec_b64 s[18:19], s[0:1]
	s_cbranch_execz .LBB266_416
; %bb.415:                              ;   in Loop: Header=BB266_270 Depth=1
	v_and_b32_e32 v9, 7, v1
	v_ffbh_u32_e32 v47, v9
	v_min_u32_e32 v50, 32, v47
	v_subrev_u32_e32 v47, 28, v50
	v_lshlrev_b64 v[47:48], v47, v[1:2]
	v_lshrrev_b32_e32 v49, 3, v10
	v_sub_u32_e32 v48, 29, v50
	v_cmp_gt_u32_e64 s[0:1], 8, v10
	v_cndmask_b32_e64 v10, v49, v48, s[0:1]
	v_lshlrev_b32_e32 v1, 8, v1
	v_lshl_add_u32 v10, v10, 10, v12
	v_and_b32_e32 v47, 7, v47
	v_and_or_b32 v1, v1, s26, v10
	v_cndmask_b32_e64 v9, v9, v47, s[0:1]
	v_lshlrev_b32_e32 v1, 16, v1
	v_lshl_or_b32 v9, v9, 23, v1
.LBB266_416:                            ;   in Loop: Header=BB266_270 Depth=1
	s_or_b64 exec, exec, s[18:19]
.LBB266_417:                            ;   in Loop: Header=BB266_270 Depth=1
	s_or_b64 exec, exec, s[16:17]
.LBB266_418:                            ;   in Loop: Header=BB266_270 Depth=1
	s_or_b64 exec, exec, s[12:13]
	s_waitcnt vmcnt(0)
	v_fma_mixlo_f16 v10, v39, v42, 0 op_sel:[0,1,0] op_sel_hi:[0,1,0]
	v_or_b32_e32 v1, v42, v43
	v_lshlrev_b32_e32 v42, 16, v10
	v_or_b32_e32 v10, v40, v41
	v_fma_mixlo_f16 v40, v39, v40, 0 op_sel:[0,1,0] op_sel_hi:[0,1,0]
	v_lshlrev_b32_e32 v47, 16, v40
	v_or_b32_e32 v40, v46, v45
	v_or_b32_e32 v44, v9, v44
	v_fma_mixlo_f16 v1, v39, v1, 0 op_sel_hi:[0,1,0]
	v_fma_mixlo_f16 v10, v39, v10, 0 op_sel_hi:[0,1,0]
	v_fma_mixlo_f16 v41, v39, v46, 0 op_sel:[0,1,0] op_sel_hi:[0,1,0]
	v_fma_mixlo_f16 v40, v39, v40, 0 op_sel_hi:[0,1,0]
	v_fma_mixlo_f16 v44, v39, v44, 0 op_sel_hi:[0,1,0]
	v_fma_mixlo_f16 v9, v39, v9, 0 op_sel:[0,1,0] op_sel_hi:[0,1,0]
	v_and_b32_e32 v43, 0xffff, v1
	v_and_b32_e32 v48, 0xffff, v10
	v_lshlrev_b32_e32 v41, 16, v41
	v_and_b32_e32 v45, 0xffff, v40
	v_lshlrev_b32_e32 v9, 16, v9
	v_and_b32_e32 v39, 0xffff, v44
	v_or_b32_e32 v1, v42, v43
	v_or_b32_e32 v10, v47, v48
	;; [unrolled: 1-line block ×4, first 2 shown]
	s_and_saveexec_b64 s[12:13], vcc
	s_cbranch_execz .LBB266_420
; %bb.419:                              ;   in Loop: Header=BB266_270 Depth=1
	v_cmp_gt_i32_e64 s[0:1], s30, v24
	v_cndmask_b32_e64 v1, 0, v48, s[0:1]
	v_cmp_gt_i32_e64 s[0:1], s30, v30
	v_cndmask_b32_e64 v10, 0, v47, s[0:1]
	v_cmp_gt_i32_e64 s[0:1], s30, v29
	v_or_b32_e32 v10, v10, v1
	v_cndmask_b32_e64 v1, 0, v43, s[0:1]
	v_cmp_gt_i32_e64 s[0:1], s30, v28
	v_cndmask_b32_e64 v40, 0, v42, s[0:1]
	v_cmp_gt_i32_e64 s[0:1], s30, v27
	v_or_b32_e32 v1, v40, v1
	v_cndmask_b32_e64 v40, 0, v45, s[0:1]
	v_cmp_gt_i32_e64 s[0:1], s30, v26
	v_cndmask_b32_e64 v41, 0, v41, s[0:1]
	v_cmp_gt_i32_e64 s[0:1], s30, v25
	;; [unrolled: 2-line block ×3, first 2 shown]
	v_cndmask_b32_e64 v9, 0, v9, s[0:1]
	v_or_b32_e32 v40, v41, v40
	v_or_b32_e32 v44, v9, v39
.LBB266_420:                            ;   in Loop: Header=BB266_270 Depth=1
	s_or_b64 exec, exec, s[12:13]
	;;#ASMSTART
	v_pk_mul_f16 v9, v31, v10;

	;;#ASMEND
	;;#ASMSTART
	v_pk_mul_f16 v1, v32, v1;

	;;#ASMEND
	;;#ASMSTART
	v_pk_mul_f16 v10, v33, v40;

	;;#ASMEND
	;;#ASMSTART
	v_pk_mul_f16 v39, v34, v44;

	;;#ASMEND
	;;#ASMSTART
	v_pk_add_f16 v1, v9, v1;

	;;#ASMEND
	;;#ASMSTART
	v_pk_add_f16 v1, v1, v10;

	;;#ASMEND
	;; [unrolled: 4-line block ×3, first 2 shown]
	v_lshrrev_b32_e32 v9, 16, v1
	v_and_b32_e32 v1, 0xffff, v1
	;;#ASMSTART
	v_cvt_f32_f16 v39, v1;
	;;#ASMEND
	;;#ASMSTART
	v_cvt_f32_f16 v40, v9;
	;;#ASMEND
	global_load_dwordx2 v[9:10], v[7:8], off offset:1536
	v_mov_b32_e32 v42, 0
	global_load_dword v41, v42, s[14:15]
	v_mov_b32_e32 v43, 0
	s_waitcnt vmcnt(1)
	v_cmp_ne_u16_sdwa s[0:1], v9, v2 src0_sel:BYTE_0 src1_sel:DWORD
	s_and_saveexec_b64 s[12:13], s[0:1]
	s_cbranch_execz .LBB266_426
; %bb.421:                              ;   in Loop: Header=BB266_270 Depth=1
	v_cmp_ne_u16_sdwa s[0:1], v9, s24 src0_sel:BYTE_0 src1_sel:DWORD
	v_mov_b32_e32 v43, 0x8000
	s_and_saveexec_b64 s[16:17], s[0:1]
	s_cbranch_execz .LBB266_425
; %bb.422:                              ;   in Loop: Header=BB266_270 Depth=1
	v_and_b32_e32 v1, 0x7f, v9
	v_cmp_ne_u32_e64 s[0:1], s25, v1
	v_mov_b32_e32 v43, 0x7c01
	s_and_saveexec_b64 s[18:19], s[0:1]
	s_cbranch_execz .LBB266_424
; %bb.423:                              ;   in Loop: Header=BB266_270 Depth=1
	v_and_b32_e32 v45, 7, v9
	v_ffbh_u32_e32 v43, v45
	v_min_u32_e32 v47, 32, v43
	v_subrev_u32_e32 v43, 28, v47
	v_lshlrev_b64 v[43:44], v43, v[9:10]
	v_lshrrev_b32_e32 v46, 3, v1
	v_sub_u32_e32 v44, 29, v47
	v_cmp_gt_u32_e64 s[0:1], 8, v1
	v_cndmask_b32_e64 v1, v46, v44, s[0:1]
	v_lshl_add_u32 v1, v1, 10, v12
	v_lshlrev_b32_e32 v44, 8, v9
	v_and_b32_e32 v43, 7, v43
	v_and_b32_e32 v1, 0xfc00, v1
	v_cndmask_b32_e64 v43, v45, v43, s[0:1]
	v_and_or_b32 v1, v44, s26, v1
	v_lshl_or_b32 v43, v43, 7, v1
.LBB266_424:                            ;   in Loop: Header=BB266_270 Depth=1
	s_or_b64 exec, exec, s[18:19]
.LBB266_425:                            ;   in Loop: Header=BB266_270 Depth=1
	s_or_b64 exec, exec, s[16:17]
.LBB266_426:                            ;   in Loop: Header=BB266_270 Depth=1
	s_or_b64 exec, exec, s[12:13]
	v_lshrrev_b16_e32 v1, 8, v9
	v_cmp_ne_u16_e64 s[0:1], 0, v1
	s_and_saveexec_b64 s[12:13], s[0:1]
	s_cbranch_execz .LBB266_432
; %bb.427:                              ;   in Loop: Header=BB266_270 Depth=1
	v_cmp_ne_u16_e64 s[0:1], s24, v1
	v_bfrev_b32_e32 v42, 1
	s_and_saveexec_b64 s[16:17], s[0:1]
	s_cbranch_execz .LBB266_431
; %bb.428:                              ;   in Loop: Header=BB266_270 Depth=1
	v_and_b32_e32 v44, 0x7f, v1
	v_cmp_ne_u32_e64 s[0:1], s25, v44
	v_mov_b32_e32 v42, 0x7c010000
	s_and_saveexec_b64 s[18:19], s[0:1]
	s_cbranch_execz .LBB266_430
; %bb.429:                              ;   in Loop: Header=BB266_270 Depth=1
	v_and_b32_e32 v42, 7, v1
	v_ffbh_u32_e32 v45, v42
	v_min_u32_e32 v48, 32, v45
	v_subrev_u32_e32 v45, 28, v48
	v_lshlrev_b64 v[45:46], v45, v[1:2]
	v_lshrrev_b32_e32 v47, 3, v44
	v_sub_u32_e32 v46, 29, v48
	v_cmp_gt_u32_e64 s[0:1], 8, v44
	v_cndmask_b32_e64 v44, v47, v46, s[0:1]
	v_lshlrev_b32_e32 v1, 8, v1
	v_lshl_add_u32 v44, v44, 10, v12
	v_and_b32_e32 v45, 7, v45
	v_and_or_b32 v1, v1, s26, v44
	v_cndmask_b32_e64 v42, v42, v45, s[0:1]
	v_lshlrev_b32_e32 v1, 16, v1
	v_lshl_or_b32 v42, v42, 23, v1
.LBB266_430:                            ;   in Loop: Header=BB266_270 Depth=1
	s_or_b64 exec, exec, s[18:19]
.LBB266_431:                            ;   in Loop: Header=BB266_270 Depth=1
	s_or_b64 exec, exec, s[16:17]
.LBB266_432:                            ;   in Loop: Header=BB266_270 Depth=1
	s_or_b64 exec, exec, s[12:13]
	v_lshrrev_b32_e32 v1, 16, v9
	v_cmp_ne_u16_sdwa s[0:1], v1, v2 src0_sel:BYTE_0 src1_sel:DWORD
	v_mov_b32_e32 v44, 0
	v_mov_b32_e32 v45, 0
	s_and_saveexec_b64 s[12:13], s[0:1]
	s_cbranch_execz .LBB266_438
; %bb.433:                              ;   in Loop: Header=BB266_270 Depth=1
	v_cmp_ne_u16_sdwa s[0:1], v1, s24 src0_sel:BYTE_0 src1_sel:DWORD
	v_mov_b32_e32 v45, 0x8000
	s_and_saveexec_b64 s[16:17], s[0:1]
	s_cbranch_execz .LBB266_437
; %bb.434:                              ;   in Loop: Header=BB266_270 Depth=1
	v_bfe_u32 v46, v9, 16, 7
	v_cmp_ne_u32_e64 s[0:1], s25, v46
	v_mov_b32_e32 v45, 0x7c01
	s_and_saveexec_b64 s[18:19], s[0:1]
	s_cbranch_execz .LBB266_436
; %bb.435:                              ;   in Loop: Header=BB266_270 Depth=1
	v_and_b32_e32 v45, 7, v1
	v_ffbh_u32_e32 v47, v45
	v_min_u32_e32 v50, 32, v47
	v_subrev_u32_e32 v47, 28, v50
	v_lshlrev_b64 v[47:48], v47, v[1:2]
	v_lshrrev_b32_e32 v49, 3, v46
	v_sub_u32_e32 v48, 29, v50
	v_cmp_gt_u32_e64 s[0:1], 8, v46
	v_cndmask_b32_e64 v46, v49, v48, s[0:1]
	v_lshl_add_u32 v46, v46, 10, v12
	v_lshlrev_b32_e32 v1, 8, v1
	v_and_b32_e32 v47, 7, v47
	v_and_b32_e32 v46, 0xfc00, v46
	v_cndmask_b32_e64 v45, v45, v47, s[0:1]
	v_and_or_b32 v1, v1, s26, v46
	v_lshl_or_b32 v45, v45, 7, v1
.LBB266_436:                            ;   in Loop: Header=BB266_270 Depth=1
	s_or_b64 exec, exec, s[18:19]
.LBB266_437:                            ;   in Loop: Header=BB266_270 Depth=1
	s_or_b64 exec, exec, s[16:17]
.LBB266_438:                            ;   in Loop: Header=BB266_270 Depth=1
	s_or_b64 exec, exec, s[12:13]
	v_cmp_lt_u32_e64 s[0:1], s5, v9
	s_and_saveexec_b64 s[12:13], s[0:1]
	s_cbranch_execz .LBB266_444
; %bb.439:                              ;   in Loop: Header=BB266_270 Depth=1
	v_lshrrev_b32_e32 v1, 24, v9
	v_cmp_ne_u32_e64 s[0:1], s24, v1
	v_bfrev_b32_e32 v44, 1
	s_and_saveexec_b64 s[16:17], s[0:1]
	s_cbranch_execz .LBB266_443
; %bb.440:                              ;   in Loop: Header=BB266_270 Depth=1
	v_and_b32_e32 v46, 0x7f, v1
	v_cmp_ne_u32_e64 s[0:1], s25, v46
	v_mov_b32_e32 v44, 0x7c010000
	s_and_saveexec_b64 s[18:19], s[0:1]
	s_cbranch_execz .LBB266_442
; %bb.441:                              ;   in Loop: Header=BB266_270 Depth=1
	v_and_b32_e32 v44, 7, v1
	v_ffbh_u32_e32 v47, v44
	v_min_u32_e32 v50, 32, v47
	v_subrev_u32_e32 v47, 28, v50
	v_lshlrev_b64 v[47:48], v47, v[1:2]
	v_lshrrev_b32_e32 v49, 3, v46
	v_sub_u32_e32 v48, 29, v50
	v_cmp_gt_u32_e64 s[0:1], 8, v46
	v_cndmask_b32_e64 v46, v49, v48, s[0:1]
	v_lshlrev_b32_e32 v1, 8, v1
	v_lshl_add_u32 v46, v46, 10, v12
	v_and_b32_e32 v47, 7, v47
	v_and_or_b32 v1, v1, s26, v46
	v_cndmask_b32_e64 v44, v44, v47, s[0:1]
	v_lshlrev_b32_e32 v1, 16, v1
	v_lshl_or_b32 v44, v44, 23, v1
.LBB266_442:                            ;   in Loop: Header=BB266_270 Depth=1
	s_or_b64 exec, exec, s[18:19]
.LBB266_443:                            ;   in Loop: Header=BB266_270 Depth=1
	s_or_b64 exec, exec, s[16:17]
.LBB266_444:                            ;   in Loop: Header=BB266_270 Depth=1
	s_or_b64 exec, exec, s[12:13]
	v_mov_b32_e32 v1, v10
	v_cmp_ne_u16_sdwa s[0:1], v10, v2 src0_sel:BYTE_0 src1_sel:DWORD
	v_mov_b32_e32 v46, 0
	v_mov_b32_e32 v47, 0
	s_and_saveexec_b64 s[12:13], s[0:1]
	s_cbranch_execz .LBB266_450
; %bb.445:                              ;   in Loop: Header=BB266_270 Depth=1
	v_cmp_ne_u16_sdwa s[0:1], v10, s24 src0_sel:BYTE_0 src1_sel:DWORD
	v_mov_b32_e32 v47, 0x8000
	s_and_saveexec_b64 s[16:17], s[0:1]
	s_cbranch_execz .LBB266_449
; %bb.446:                              ;   in Loop: Header=BB266_270 Depth=1
	v_and_b32_e32 v48, 0x7f, v10
	v_cmp_ne_u32_e64 s[0:1], s25, v48
	v_mov_b32_e32 v47, 0x7c01
	s_and_saveexec_b64 s[18:19], s[0:1]
	s_cbranch_execz .LBB266_448
; %bb.447:                              ;   in Loop: Header=BB266_270 Depth=1
	v_and_b32_e32 v47, 7, v10
	v_ffbh_u32_e32 v49, v47
	v_min_u32_e32 v52, 32, v49
	v_subrev_u32_e32 v49, 28, v52
	v_lshlrev_b64 v[49:50], v49, v[1:2]
	v_lshrrev_b32_e32 v51, 3, v48
	v_sub_u32_e32 v50, 29, v52
	v_cmp_gt_u32_e64 s[0:1], 8, v48
	v_cndmask_b32_e64 v48, v51, v50, s[0:1]
	v_lshl_add_u32 v48, v48, 10, v12
	v_lshlrev_b32_e32 v50, 8, v10
	v_and_b32_e32 v49, 7, v49
	v_and_b32_e32 v48, 0xfc00, v48
	v_cndmask_b32_e64 v47, v47, v49, s[0:1]
	v_and_or_b32 v48, v50, s26, v48
	v_lshl_or_b32 v47, v47, 7, v48
.LBB266_448:                            ;   in Loop: Header=BB266_270 Depth=1
	s_or_b64 exec, exec, s[18:19]
.LBB266_449:                            ;   in Loop: Header=BB266_270 Depth=1
	s_or_b64 exec, exec, s[16:17]
.LBB266_450:                            ;   in Loop: Header=BB266_270 Depth=1
	s_or_b64 exec, exec, s[12:13]
	v_lshrrev_b16_e32 v1, 8, v1
	v_cmp_ne_u16_e64 s[0:1], 0, v1
	v_mov_b32_e32 v48, 0
	s_and_saveexec_b64 s[12:13], s[0:1]
	s_cbranch_execz .LBB266_456
; %bb.451:                              ;   in Loop: Header=BB266_270 Depth=1
	v_cmp_ne_u16_e64 s[0:1], s24, v1
	v_bfrev_b32_e32 v48, 1
	s_and_saveexec_b64 s[16:17], s[0:1]
	s_cbranch_execz .LBB266_455
; %bb.452:                              ;   in Loop: Header=BB266_270 Depth=1
	v_and_b32_e32 v49, 0x7f, v1
	v_cmp_ne_u32_e64 s[0:1], s25, v49
	v_mov_b32_e32 v48, 0x7c010000
	s_and_saveexec_b64 s[18:19], s[0:1]
	s_cbranch_execz .LBB266_454
; %bb.453:                              ;   in Loop: Header=BB266_270 Depth=1
	v_and_b32_e32 v48, 7, v1
	v_ffbh_u32_e32 v50, v48
	v_min_u32_e32 v53, 32, v50
	v_subrev_u32_e32 v50, 28, v53
	v_lshlrev_b64 v[50:51], v50, v[1:2]
	v_lshrrev_b32_e32 v52, 3, v49
	v_sub_u32_e32 v51, 29, v53
	v_cmp_gt_u32_e64 s[0:1], 8, v49
	v_cndmask_b32_e64 v49, v52, v51, s[0:1]
	v_lshlrev_b32_e32 v1, 8, v1
	v_lshl_add_u32 v49, v49, 10, v12
	v_and_b32_e32 v50, 7, v50
	v_and_or_b32 v1, v1, s26, v49
	v_cndmask_b32_e64 v48, v48, v50, s[0:1]
	v_lshlrev_b32_e32 v1, 16, v1
	v_lshl_or_b32 v48, v48, 23, v1
.LBB266_454:                            ;   in Loop: Header=BB266_270 Depth=1
	s_or_b64 exec, exec, s[18:19]
.LBB266_455:                            ;   in Loop: Header=BB266_270 Depth=1
	s_or_b64 exec, exec, s[16:17]
.LBB266_456:                            ;   in Loop: Header=BB266_270 Depth=1
	s_or_b64 exec, exec, s[12:13]
	v_lshrrev_b32_e32 v1, 16, v10
	v_cmp_ne_u16_sdwa s[0:1], v1, v2 src0_sel:BYTE_0 src1_sel:DWORD
	s_and_saveexec_b64 s[12:13], s[0:1]
	s_cbranch_execz .LBB266_462
; %bb.457:                              ;   in Loop: Header=BB266_270 Depth=1
	v_cmp_ne_u16_sdwa s[0:1], v1, s24 src0_sel:BYTE_0 src1_sel:DWORD
	v_mov_b32_e32 v46, 0x8000
	s_and_saveexec_b64 s[16:17], s[0:1]
	s_cbranch_execz .LBB266_461
; %bb.458:                              ;   in Loop: Header=BB266_270 Depth=1
	v_bfe_u32 v49, v10, 16, 7
	v_cmp_ne_u32_e64 s[0:1], s25, v49
	v_mov_b32_e32 v46, 0x7c01
	s_and_saveexec_b64 s[18:19], s[0:1]
	s_cbranch_execz .LBB266_460
; %bb.459:                              ;   in Loop: Header=BB266_270 Depth=1
	v_and_b32_e32 v46, 7, v1
	v_ffbh_u32_e32 v50, v46
	v_min_u32_e32 v53, 32, v50
	v_subrev_u32_e32 v50, 28, v53
	v_lshlrev_b64 v[50:51], v50, v[1:2]
	v_lshrrev_b32_e32 v52, 3, v49
	v_sub_u32_e32 v51, 29, v53
	v_cmp_gt_u32_e64 s[0:1], 8, v49
	v_cndmask_b32_e64 v49, v52, v51, s[0:1]
	v_lshl_add_u32 v49, v49, 10, v12
	v_lshlrev_b32_e32 v1, 8, v1
	v_and_b32_e32 v50, 7, v50
	v_and_b32_e32 v49, 0xfc00, v49
	v_cndmask_b32_e64 v46, v46, v50, s[0:1]
	v_and_or_b32 v1, v1, s26, v49
	v_lshl_or_b32 v46, v46, 7, v1
.LBB266_460:                            ;   in Loop: Header=BB266_270 Depth=1
	s_or_b64 exec, exec, s[18:19]
.LBB266_461:                            ;   in Loop: Header=BB266_270 Depth=1
	s_or_b64 exec, exec, s[16:17]
.LBB266_462:                            ;   in Loop: Header=BB266_270 Depth=1
	s_or_b64 exec, exec, s[12:13]
	v_cmp_lt_u64_e64 s[0:1], s[4:5], v[9:10]
	v_mov_b32_e32 v9, 0
	s_and_saveexec_b64 s[12:13], s[0:1]
	s_cbranch_execz .LBB266_468
; %bb.463:                              ;   in Loop: Header=BB266_270 Depth=1
	v_lshrrev_b32_e32 v1, 24, v10
	v_cmp_ne_u32_e64 s[0:1], s24, v1
	v_bfrev_b32_e32 v9, 1
	s_and_saveexec_b64 s[16:17], s[0:1]
	s_cbranch_execz .LBB266_467
; %bb.464:                              ;   in Loop: Header=BB266_270 Depth=1
	v_and_b32_e32 v10, 0x7f, v1
	v_cmp_ne_u32_e64 s[0:1], s25, v10
	v_mov_b32_e32 v9, 0x7c010000
	s_and_saveexec_b64 s[18:19], s[0:1]
	s_cbranch_execz .LBB266_466
; %bb.465:                              ;   in Loop: Header=BB266_270 Depth=1
	v_and_b32_e32 v9, 7, v1
	v_ffbh_u32_e32 v49, v9
	v_min_u32_e32 v52, 32, v49
	v_subrev_u32_e32 v49, 28, v52
	v_lshlrev_b64 v[49:50], v49, v[1:2]
	v_lshrrev_b32_e32 v51, 3, v10
	v_sub_u32_e32 v50, 29, v52
	v_cmp_gt_u32_e64 s[0:1], 8, v10
	v_cndmask_b32_e64 v10, v51, v50, s[0:1]
	v_lshlrev_b32_e32 v1, 8, v1
	v_lshl_add_u32 v10, v10, 10, v12
	v_and_b32_e32 v49, 7, v49
	v_and_or_b32 v1, v1, s26, v10
	v_cndmask_b32_e64 v9, v9, v49, s[0:1]
	v_lshlrev_b32_e32 v1, 16, v1
	v_lshl_or_b32 v9, v9, 23, v1
.LBB266_466:                            ;   in Loop: Header=BB266_270 Depth=1
	s_or_b64 exec, exec, s[18:19]
.LBB266_467:                            ;   in Loop: Header=BB266_270 Depth=1
	s_or_b64 exec, exec, s[16:17]
.LBB266_468:                            ;   in Loop: Header=BB266_270 Depth=1
	s_or_b64 exec, exec, s[12:13]
	s_waitcnt vmcnt(0)
	v_fma_mixlo_f16 v10, v41, v44, 0 op_sel:[0,1,0] op_sel_hi:[0,1,0]
	v_or_b32_e32 v1, v44, v45
	v_lshlrev_b32_e32 v44, 16, v10
	v_or_b32_e32 v10, v42, v43
	v_fma_mixlo_f16 v42, v41, v42, 0 op_sel:[0,1,0] op_sel_hi:[0,1,0]
	v_lshlrev_b32_e32 v49, 16, v42
	v_or_b32_e32 v42, v48, v47
	v_or_b32_e32 v46, v9, v46
	v_fma_mixlo_f16 v1, v41, v1, 0 op_sel_hi:[0,1,0]
	v_fma_mixlo_f16 v10, v41, v10, 0 op_sel_hi:[0,1,0]
	v_fma_mixlo_f16 v43, v41, v48, 0 op_sel:[0,1,0] op_sel_hi:[0,1,0]
	v_fma_mixlo_f16 v42, v41, v42, 0 op_sel_hi:[0,1,0]
	v_fma_mixlo_f16 v46, v41, v46, 0 op_sel_hi:[0,1,0]
	v_fma_mixlo_f16 v9, v41, v9, 0 op_sel:[0,1,0] op_sel_hi:[0,1,0]
	v_and_b32_e32 v45, 0xffff, v1
	v_and_b32_e32 v50, 0xffff, v10
	v_lshlrev_b32_e32 v43, 16, v43
	v_and_b32_e32 v47, 0xffff, v42
	v_lshlrev_b32_e32 v9, 16, v9
	v_and_b32_e32 v41, 0xffff, v46
	v_or_b32_e32 v1, v44, v45
	v_or_b32_e32 v10, v49, v50
	;; [unrolled: 1-line block ×4, first 2 shown]
	s_and_saveexec_b64 s[12:13], vcc
	s_cbranch_execz .LBB266_470
; %bb.469:                              ;   in Loop: Header=BB266_270 Depth=1
	v_cmp_gt_i32_e64 s[0:1], s30, v24
	v_cndmask_b32_e64 v1, 0, v50, s[0:1]
	v_cmp_gt_i32_e64 s[0:1], s30, v30
	v_cndmask_b32_e64 v10, 0, v49, s[0:1]
	v_cmp_gt_i32_e64 s[0:1], s30, v29
	v_or_b32_e32 v10, v10, v1
	v_cndmask_b32_e64 v1, 0, v45, s[0:1]
	v_cmp_gt_i32_e64 s[0:1], s30, v28
	v_cndmask_b32_e64 v42, 0, v44, s[0:1]
	v_cmp_gt_i32_e64 s[0:1], s30, v27
	v_or_b32_e32 v1, v42, v1
	v_cndmask_b32_e64 v42, 0, v47, s[0:1]
	v_cmp_gt_i32_e64 s[0:1], s30, v26
	v_cndmask_b32_e64 v43, 0, v43, s[0:1]
	v_cmp_gt_i32_e64 s[0:1], s30, v25
	;; [unrolled: 2-line block ×3, first 2 shown]
	v_cndmask_b32_e64 v9, 0, v9, s[0:1]
	v_or_b32_e32 v42, v43, v42
	v_or_b32_e32 v46, v9, v41
.LBB266_470:                            ;   in Loop: Header=BB266_270 Depth=1
	s_or_b64 exec, exec, s[12:13]
	;;#ASMSTART
	v_pk_mul_f16 v9, v31, v10;

	;;#ASMEND
	;;#ASMSTART
	v_pk_mul_f16 v1, v32, v1;

	;;#ASMEND
	;; [unrolled: 4-line block ×4, first 2 shown]
	;;#ASMSTART
	v_pk_add_f16 v1, v9, v1;

	;;#ASMEND
	;;#ASMSTART
	v_pk_add_f16 v1, v1, v10;

	;;#ASMEND
	;; [unrolled: 4-line block ×3, first 2 shown]
	v_lshrrev_b32_e32 v10, 16, v1
	v_and_b32_e32 v1, 0xffff, v1
	;;#ASMSTART
	v_cvt_f32_f16 v9, v1;
	;;#ASMEND
	;;#ASMSTART
	v_cvt_f32_f16 v10, v10;
	;;#ASMEND
	global_load_dwordx2 v[7:8], v[7:8], off offset:2048
	v_mov_b32_e32 v42, 0
	global_load_dword v41, v42, s[14:15]
	v_mov_b32_e32 v43, 0
	s_waitcnt vmcnt(1)
	v_cmp_ne_u16_sdwa s[0:1], v7, v2 src0_sel:BYTE_0 src1_sel:DWORD
	s_and_saveexec_b64 s[12:13], s[0:1]
	s_cbranch_execz .LBB266_476
; %bb.471:                              ;   in Loop: Header=BB266_270 Depth=1
	v_cmp_ne_u16_sdwa s[0:1], v7, s24 src0_sel:BYTE_0 src1_sel:DWORD
	v_mov_b32_e32 v43, 0x8000
	s_and_saveexec_b64 s[16:17], s[0:1]
	s_cbranch_execz .LBB266_475
; %bb.472:                              ;   in Loop: Header=BB266_270 Depth=1
	v_and_b32_e32 v1, 0x7f, v7
	v_cmp_ne_u32_e64 s[0:1], s25, v1
	v_mov_b32_e32 v43, 0x7c01
	s_and_saveexec_b64 s[18:19], s[0:1]
	s_cbranch_execz .LBB266_474
; %bb.473:                              ;   in Loop: Header=BB266_270 Depth=1
	v_and_b32_e32 v45, 7, v7
	v_ffbh_u32_e32 v43, v45
	v_min_u32_e32 v47, 32, v43
	v_subrev_u32_e32 v43, 28, v47
	v_lshlrev_b64 v[43:44], v43, v[7:8]
	v_lshrrev_b32_e32 v46, 3, v1
	v_sub_u32_e32 v44, 29, v47
	v_cmp_gt_u32_e64 s[0:1], 8, v1
	v_cndmask_b32_e64 v1, v46, v44, s[0:1]
	v_lshl_add_u32 v1, v1, 10, v12
	v_lshlrev_b32_e32 v44, 8, v7
	v_and_b32_e32 v43, 7, v43
	v_and_b32_e32 v1, 0xfc00, v1
	v_cndmask_b32_e64 v43, v45, v43, s[0:1]
	v_and_or_b32 v1, v44, s26, v1
	v_lshl_or_b32 v43, v43, 7, v1
.LBB266_474:                            ;   in Loop: Header=BB266_270 Depth=1
	s_or_b64 exec, exec, s[18:19]
.LBB266_475:                            ;   in Loop: Header=BB266_270 Depth=1
	s_or_b64 exec, exec, s[16:17]
.LBB266_476:                            ;   in Loop: Header=BB266_270 Depth=1
	s_or_b64 exec, exec, s[12:13]
	v_lshrrev_b16_e32 v1, 8, v7
	v_cmp_ne_u16_e64 s[0:1], 0, v1
	s_and_saveexec_b64 s[12:13], s[0:1]
	s_cbranch_execz .LBB266_482
; %bb.477:                              ;   in Loop: Header=BB266_270 Depth=1
	v_cmp_ne_u16_e64 s[0:1], s24, v1
	v_bfrev_b32_e32 v42, 1
	s_and_saveexec_b64 s[16:17], s[0:1]
	s_cbranch_execz .LBB266_481
; %bb.478:                              ;   in Loop: Header=BB266_270 Depth=1
	v_and_b32_e32 v44, 0x7f, v1
	v_cmp_ne_u32_e64 s[0:1], s25, v44
	v_mov_b32_e32 v42, 0x7c010000
	s_and_saveexec_b64 s[18:19], s[0:1]
	s_cbranch_execz .LBB266_480
; %bb.479:                              ;   in Loop: Header=BB266_270 Depth=1
	v_and_b32_e32 v42, 7, v1
	v_ffbh_u32_e32 v45, v42
	v_min_u32_e32 v48, 32, v45
	v_subrev_u32_e32 v45, 28, v48
	v_lshlrev_b64 v[45:46], v45, v[1:2]
	v_lshrrev_b32_e32 v47, 3, v44
	v_sub_u32_e32 v46, 29, v48
	v_cmp_gt_u32_e64 s[0:1], 8, v44
	v_cndmask_b32_e64 v44, v47, v46, s[0:1]
	v_lshlrev_b32_e32 v1, 8, v1
	v_lshl_add_u32 v44, v44, 10, v12
	v_and_b32_e32 v45, 7, v45
	v_and_or_b32 v1, v1, s26, v44
	v_cndmask_b32_e64 v42, v42, v45, s[0:1]
	v_lshlrev_b32_e32 v1, 16, v1
	v_lshl_or_b32 v42, v42, 23, v1
.LBB266_480:                            ;   in Loop: Header=BB266_270 Depth=1
	s_or_b64 exec, exec, s[18:19]
.LBB266_481:                            ;   in Loop: Header=BB266_270 Depth=1
	s_or_b64 exec, exec, s[16:17]
.LBB266_482:                            ;   in Loop: Header=BB266_270 Depth=1
	s_or_b64 exec, exec, s[12:13]
	v_lshrrev_b32_e32 v1, 16, v7
	v_cmp_ne_u16_sdwa s[0:1], v1, v2 src0_sel:BYTE_0 src1_sel:DWORD
	v_mov_b32_e32 v44, 0
	v_mov_b32_e32 v45, 0
	s_and_saveexec_b64 s[12:13], s[0:1]
	s_cbranch_execz .LBB266_488
; %bb.483:                              ;   in Loop: Header=BB266_270 Depth=1
	v_cmp_ne_u16_sdwa s[0:1], v1, s24 src0_sel:BYTE_0 src1_sel:DWORD
	v_mov_b32_e32 v45, 0x8000
	s_and_saveexec_b64 s[16:17], s[0:1]
	s_cbranch_execz .LBB266_487
; %bb.484:                              ;   in Loop: Header=BB266_270 Depth=1
	v_bfe_u32 v46, v7, 16, 7
	v_cmp_ne_u32_e64 s[0:1], s25, v46
	v_mov_b32_e32 v45, 0x7c01
	s_and_saveexec_b64 s[18:19], s[0:1]
	s_cbranch_execz .LBB266_486
; %bb.485:                              ;   in Loop: Header=BB266_270 Depth=1
	v_and_b32_e32 v45, 7, v1
	v_ffbh_u32_e32 v47, v45
	v_min_u32_e32 v50, 32, v47
	v_subrev_u32_e32 v47, 28, v50
	v_lshlrev_b64 v[47:48], v47, v[1:2]
	v_lshrrev_b32_e32 v49, 3, v46
	v_sub_u32_e32 v48, 29, v50
	v_cmp_gt_u32_e64 s[0:1], 8, v46
	v_cndmask_b32_e64 v46, v49, v48, s[0:1]
	v_lshl_add_u32 v46, v46, 10, v12
	v_lshlrev_b32_e32 v1, 8, v1
	v_and_b32_e32 v47, 7, v47
	v_and_b32_e32 v46, 0xfc00, v46
	v_cndmask_b32_e64 v45, v45, v47, s[0:1]
	v_and_or_b32 v1, v1, s26, v46
	v_lshl_or_b32 v45, v45, 7, v1
.LBB266_486:                            ;   in Loop: Header=BB266_270 Depth=1
	s_or_b64 exec, exec, s[18:19]
.LBB266_487:                            ;   in Loop: Header=BB266_270 Depth=1
	s_or_b64 exec, exec, s[16:17]
.LBB266_488:                            ;   in Loop: Header=BB266_270 Depth=1
	s_or_b64 exec, exec, s[12:13]
	v_cmp_lt_u32_e64 s[0:1], s5, v7
	s_and_saveexec_b64 s[12:13], s[0:1]
	s_cbranch_execz .LBB266_494
; %bb.489:                              ;   in Loop: Header=BB266_270 Depth=1
	v_lshrrev_b32_e32 v1, 24, v7
	v_cmp_ne_u32_e64 s[0:1], s24, v1
	v_bfrev_b32_e32 v44, 1
	s_and_saveexec_b64 s[16:17], s[0:1]
	s_cbranch_execz .LBB266_493
; %bb.490:                              ;   in Loop: Header=BB266_270 Depth=1
	v_and_b32_e32 v46, 0x7f, v1
	v_cmp_ne_u32_e64 s[0:1], s25, v46
	v_mov_b32_e32 v44, 0x7c010000
	s_and_saveexec_b64 s[18:19], s[0:1]
	s_cbranch_execz .LBB266_492
; %bb.491:                              ;   in Loop: Header=BB266_270 Depth=1
	v_and_b32_e32 v44, 7, v1
	v_ffbh_u32_e32 v47, v44
	v_min_u32_e32 v50, 32, v47
	v_subrev_u32_e32 v47, 28, v50
	v_lshlrev_b64 v[47:48], v47, v[1:2]
	v_lshrrev_b32_e32 v49, 3, v46
	v_sub_u32_e32 v48, 29, v50
	v_cmp_gt_u32_e64 s[0:1], 8, v46
	v_cndmask_b32_e64 v46, v49, v48, s[0:1]
	v_lshlrev_b32_e32 v1, 8, v1
	v_lshl_add_u32 v46, v46, 10, v12
	v_and_b32_e32 v47, 7, v47
	v_and_or_b32 v1, v1, s26, v46
	v_cndmask_b32_e64 v44, v44, v47, s[0:1]
	v_lshlrev_b32_e32 v1, 16, v1
	v_lshl_or_b32 v44, v44, 23, v1
.LBB266_492:                            ;   in Loop: Header=BB266_270 Depth=1
	s_or_b64 exec, exec, s[18:19]
.LBB266_493:                            ;   in Loop: Header=BB266_270 Depth=1
	s_or_b64 exec, exec, s[16:17]
.LBB266_494:                            ;   in Loop: Header=BB266_270 Depth=1
	s_or_b64 exec, exec, s[12:13]
	v_mov_b32_e32 v1, v8
	v_cmp_ne_u16_sdwa s[0:1], v8, v2 src0_sel:BYTE_0 src1_sel:DWORD
	v_mov_b32_e32 v46, 0
	v_mov_b32_e32 v47, 0
	s_and_saveexec_b64 s[12:13], s[0:1]
	s_cbranch_execz .LBB266_500
; %bb.495:                              ;   in Loop: Header=BB266_270 Depth=1
	v_cmp_ne_u16_sdwa s[0:1], v8, s24 src0_sel:BYTE_0 src1_sel:DWORD
	v_mov_b32_e32 v47, 0x8000
	s_and_saveexec_b64 s[16:17], s[0:1]
	s_cbranch_execz .LBB266_499
; %bb.496:                              ;   in Loop: Header=BB266_270 Depth=1
	v_and_b32_e32 v48, 0x7f, v8
	v_cmp_ne_u32_e64 s[0:1], s25, v48
	v_mov_b32_e32 v47, 0x7c01
	s_and_saveexec_b64 s[18:19], s[0:1]
	s_cbranch_execz .LBB266_498
; %bb.497:                              ;   in Loop: Header=BB266_270 Depth=1
	v_and_b32_e32 v47, 7, v8
	v_ffbh_u32_e32 v49, v47
	v_min_u32_e32 v52, 32, v49
	v_subrev_u32_e32 v49, 28, v52
	v_lshlrev_b64 v[49:50], v49, v[1:2]
	v_lshrrev_b32_e32 v51, 3, v48
	v_sub_u32_e32 v50, 29, v52
	v_cmp_gt_u32_e64 s[0:1], 8, v48
	v_cndmask_b32_e64 v48, v51, v50, s[0:1]
	v_lshl_add_u32 v48, v48, 10, v12
	v_lshlrev_b32_e32 v50, 8, v8
	v_and_b32_e32 v49, 7, v49
	v_and_b32_e32 v48, 0xfc00, v48
	v_cndmask_b32_e64 v47, v47, v49, s[0:1]
	v_and_or_b32 v48, v50, s26, v48
	v_lshl_or_b32 v47, v47, 7, v48
.LBB266_498:                            ;   in Loop: Header=BB266_270 Depth=1
	s_or_b64 exec, exec, s[18:19]
.LBB266_499:                            ;   in Loop: Header=BB266_270 Depth=1
	s_or_b64 exec, exec, s[16:17]
.LBB266_500:                            ;   in Loop: Header=BB266_270 Depth=1
	s_or_b64 exec, exec, s[12:13]
	v_lshrrev_b16_e32 v1, 8, v1
	v_cmp_ne_u16_e64 s[0:1], 0, v1
	v_mov_b32_e32 v48, 0
	s_and_saveexec_b64 s[12:13], s[0:1]
	s_cbranch_execz .LBB266_506
; %bb.501:                              ;   in Loop: Header=BB266_270 Depth=1
	v_cmp_ne_u16_e64 s[0:1], s24, v1
	v_bfrev_b32_e32 v48, 1
	s_and_saveexec_b64 s[16:17], s[0:1]
	s_cbranch_execz .LBB266_505
; %bb.502:                              ;   in Loop: Header=BB266_270 Depth=1
	v_and_b32_e32 v49, 0x7f, v1
	v_cmp_ne_u32_e64 s[0:1], s25, v49
	v_mov_b32_e32 v48, 0x7c010000
	s_and_saveexec_b64 s[18:19], s[0:1]
	s_cbranch_execz .LBB266_504
; %bb.503:                              ;   in Loop: Header=BB266_270 Depth=1
	v_and_b32_e32 v48, 7, v1
	v_ffbh_u32_e32 v50, v48
	v_min_u32_e32 v53, 32, v50
	v_subrev_u32_e32 v50, 28, v53
	v_lshlrev_b64 v[50:51], v50, v[1:2]
	v_lshrrev_b32_e32 v52, 3, v49
	v_sub_u32_e32 v51, 29, v53
	v_cmp_gt_u32_e64 s[0:1], 8, v49
	v_cndmask_b32_e64 v49, v52, v51, s[0:1]
	v_lshlrev_b32_e32 v1, 8, v1
	v_lshl_add_u32 v49, v49, 10, v12
	v_and_b32_e32 v50, 7, v50
	v_and_or_b32 v1, v1, s26, v49
	v_cndmask_b32_e64 v48, v48, v50, s[0:1]
	v_lshlrev_b32_e32 v1, 16, v1
	v_lshl_or_b32 v48, v48, 23, v1
.LBB266_504:                            ;   in Loop: Header=BB266_270 Depth=1
	s_or_b64 exec, exec, s[18:19]
.LBB266_505:                            ;   in Loop: Header=BB266_270 Depth=1
	s_or_b64 exec, exec, s[16:17]
.LBB266_506:                            ;   in Loop: Header=BB266_270 Depth=1
	s_or_b64 exec, exec, s[12:13]
	v_lshrrev_b32_e32 v1, 16, v8
	v_cmp_ne_u16_sdwa s[0:1], v1, v2 src0_sel:BYTE_0 src1_sel:DWORD
	s_and_saveexec_b64 s[12:13], s[0:1]
	s_cbranch_execz .LBB266_512
; %bb.507:                              ;   in Loop: Header=BB266_270 Depth=1
	v_cmp_ne_u16_sdwa s[0:1], v1, s24 src0_sel:BYTE_0 src1_sel:DWORD
	v_mov_b32_e32 v46, 0x8000
	s_and_saveexec_b64 s[16:17], s[0:1]
	s_cbranch_execz .LBB266_511
; %bb.508:                              ;   in Loop: Header=BB266_270 Depth=1
	v_bfe_u32 v49, v8, 16, 7
	v_cmp_ne_u32_e64 s[0:1], s25, v49
	v_mov_b32_e32 v46, 0x7c01
	s_and_saveexec_b64 s[18:19], s[0:1]
	s_cbranch_execz .LBB266_510
; %bb.509:                              ;   in Loop: Header=BB266_270 Depth=1
	v_and_b32_e32 v46, 7, v1
	v_ffbh_u32_e32 v50, v46
	v_min_u32_e32 v53, 32, v50
	v_subrev_u32_e32 v50, 28, v53
	v_lshlrev_b64 v[50:51], v50, v[1:2]
	v_lshrrev_b32_e32 v52, 3, v49
	v_sub_u32_e32 v51, 29, v53
	v_cmp_gt_u32_e64 s[0:1], 8, v49
	v_cndmask_b32_e64 v49, v52, v51, s[0:1]
	v_lshl_add_u32 v49, v49, 10, v12
	v_lshlrev_b32_e32 v1, 8, v1
	v_and_b32_e32 v50, 7, v50
	v_and_b32_e32 v49, 0xfc00, v49
	v_cndmask_b32_e64 v46, v46, v50, s[0:1]
	v_and_or_b32 v1, v1, s26, v49
	v_lshl_or_b32 v46, v46, 7, v1
.LBB266_510:                            ;   in Loop: Header=BB266_270 Depth=1
	s_or_b64 exec, exec, s[18:19]
.LBB266_511:                            ;   in Loop: Header=BB266_270 Depth=1
	s_or_b64 exec, exec, s[16:17]
.LBB266_512:                            ;   in Loop: Header=BB266_270 Depth=1
	s_or_b64 exec, exec, s[12:13]
	v_cmp_lt_u64_e64 s[0:1], s[4:5], v[7:8]
	v_mov_b32_e32 v49, 0
	s_and_saveexec_b64 s[12:13], s[0:1]
	s_cbranch_execz .LBB266_518
; %bb.513:                              ;   in Loop: Header=BB266_270 Depth=1
	v_lshrrev_b32_e32 v1, 24, v8
	v_cmp_ne_u32_e64 s[0:1], s24, v1
	v_bfrev_b32_e32 v49, 1
	s_and_saveexec_b64 s[16:17], s[0:1]
	s_cbranch_execz .LBB266_517
; %bb.514:                              ;   in Loop: Header=BB266_270 Depth=1
	v_and_b32_e32 v7, 0x7f, v1
	v_cmp_ne_u32_e64 s[0:1], s25, v7
	v_mov_b32_e32 v49, 0x7c010000
	s_and_saveexec_b64 s[18:19], s[0:1]
	s_cbranch_execz .LBB266_516
; %bb.515:                              ;   in Loop: Header=BB266_270 Depth=1
	v_and_b32_e32 v8, 7, v1
	v_ffbh_u32_e32 v49, v8
	v_min_u32_e32 v52, 32, v49
	v_subrev_u32_e32 v49, 28, v52
	v_lshlrev_b64 v[49:50], v49, v[1:2]
	v_lshrrev_b32_e32 v51, 3, v7
	v_sub_u32_e32 v50, 29, v52
	v_cmp_gt_u32_e64 s[0:1], 8, v7
	v_cndmask_b32_e64 v7, v51, v50, s[0:1]
	v_lshlrev_b32_e32 v1, 8, v1
	v_lshl_add_u32 v7, v7, 10, v12
	v_and_b32_e32 v49, 7, v49
	v_and_or_b32 v1, v1, s26, v7
	v_cndmask_b32_e64 v8, v8, v49, s[0:1]
	v_lshlrev_b32_e32 v1, 16, v1
	v_lshl_or_b32 v49, v8, 23, v1
.LBB266_516:                            ;   in Loop: Header=BB266_270 Depth=1
	s_or_b64 exec, exec, s[18:19]
.LBB266_517:                            ;   in Loop: Header=BB266_270 Depth=1
	s_or_b64 exec, exec, s[16:17]
.LBB266_518:                            ;   in Loop: Header=BB266_270 Depth=1
	s_or_b64 exec, exec, s[12:13]
	s_waitcnt vmcnt(0)
	v_fma_mixlo_f16 v7, v41, v44, 0 op_sel:[0,1,0] op_sel_hi:[0,1,0]
	v_fma_mixlo_f16 v8, v41, v42, 0 op_sel:[0,1,0] op_sel_hi:[0,1,0]
	v_or_b32_e32 v1, v44, v45
	v_lshlrev_b32_e32 v44, 16, v7
	v_or_b32_e32 v7, v42, v43
	v_lshlrev_b32_e32 v50, 16, v8
	v_or_b32_e32 v8, v48, v47
	v_or_b32_e32 v43, v49, v46
	v_fma_mixlo_f16 v1, v41, v1, 0 op_sel_hi:[0,1,0]
	v_fma_mixlo_f16 v7, v41, v7, 0 op_sel_hi:[0,1,0]
	v_fma_mixlo_f16 v42, v41, v48, 0 op_sel:[0,1,0] op_sel_hi:[0,1,0]
	v_fma_mixlo_f16 v8, v41, v8, 0 op_sel_hi:[0,1,0]
	v_fma_mixlo_f16 v46, v41, v43, 0 op_sel_hi:[0,1,0]
	v_fma_mixlo_f16 v41, v41, v49, 0 op_sel:[0,1,0] op_sel_hi:[0,1,0]
	v_and_b32_e32 v45, 0xffff, v1
	v_and_b32_e32 v51, 0xffff, v7
	v_lshlrev_b32_e32 v42, 16, v42
	v_and_b32_e32 v47, 0xffff, v8
	v_lshlrev_b32_e32 v43, 16, v41
	v_and_b32_e32 v46, 0xffff, v46
	v_or_b32_e32 v1, v44, v45
	v_or_b32_e32 v7, v50, v51
	;; [unrolled: 1-line block ×4, first 2 shown]
	s_and_saveexec_b64 s[0:1], vcc
	s_cbranch_execz .LBB266_269
; %bb.519:                              ;   in Loop: Header=BB266_270 Depth=1
	v_cmp_gt_i32_e32 vcc, s30, v24
	v_cndmask_b32_e32 v1, 0, v51, vcc
	v_cmp_gt_i32_e32 vcc, s30, v30
	v_cndmask_b32_e32 v7, 0, v50, vcc
	v_cmp_gt_i32_e32 vcc, s30, v29
	v_or_b32_e32 v7, v7, v1
	v_cndmask_b32_e32 v1, 0, v45, vcc
	v_cmp_gt_i32_e32 vcc, s30, v28
	v_cndmask_b32_e32 v8, 0, v44, vcc
	v_cmp_gt_i32_e32 vcc, s30, v27
	v_or_b32_e32 v1, v8, v1
	;; [unrolled: 5-line block ×3, first 2 shown]
	v_cndmask_b32_e32 v24, 0, v46, vcc
	v_cmp_gt_i32_e32 vcc, s30, v22
	v_cndmask_b32_e32 v25, 0, v43, vcc
	v_or_b32_e32 v41, v25, v24
	s_branch .LBB266_269
.LBB266_520:
	s_or_b64 exec, exec, s[6:7]
.LBB266_521:
	s_or_b64 exec, exec, s[2:3]
	ds_bpermute_b32 v2, v14, v21
	ds_bpermute_b32 v1, v14, v20
	;; [unrolled: 1-line block ×5, first 2 shown]
	s_waitcnt lgkmcnt(4)
	v_add_f32_e32 v2, v21, v2
	s_waitcnt lgkmcnt(3)
	v_add_f32_e32 v1, v20, v1
	ds_bpermute_b32 v6, v15, v2
	s_waitcnt lgkmcnt(3)
	v_add_f32_e32 v3, v19, v3
	s_waitcnt lgkmcnt(2)
	v_add_f32_e32 v9, v18, v4
	;; [unrolled: 2-line block ×3, first 2 shown]
	ds_bpermute_b32 v5, v15, v1
	ds_bpermute_b32 v8, v15, v3
	;; [unrolled: 1-line block ×4, first 2 shown]
	s_waitcnt lgkmcnt(4)
	v_add_f32_e32 v4, v2, v6
	v_and_b32_e32 v6, 0x3c3, v0
	s_waitcnt lgkmcnt(3)
	v_add_f32_e32 v5, v1, v5
	s_waitcnt lgkmcnt(2)
	v_add_f32_e32 v3, v3, v8
	;; [unrolled: 2-line block ×4, first 2 shown]
	v_cmp_eq_u32_e32 vcc, 64, v6
	s_barrier
	s_and_saveexec_b64 s[0:1], vcc
	s_cbranch_execz .LBB266_523
; %bb.522:
	v_add_u32_e32 v7, 0xb0, v13
	ds_write2_b32 v7, v5, v4 offset1:16
	ds_write2_b32 v7, v3, v2 offset0:32 offset1:48
	ds_write_b32 v7, v1 offset:256
.LBB266_523:
	s_or_b64 exec, exec, s[0:1]
	v_cmp_gt_u32_e32 vcc, 64, v0
	v_lshrrev_b32_e32 v0, 2, v0
	s_waitcnt lgkmcnt(0)
	s_barrier
	s_and_saveexec_b64 s[0:1], vcc
	s_cbranch_execz .LBB266_531
; %bb.524:
	v_mov_b32_e32 v7, 0xb0
	v_cmp_eq_u32_e32 vcc, 0, v16
	v_lshl_add_u32 v7, v0, 2, v7
	s_and_saveexec_b64 s[2:3], vcc
	s_cbranch_execnz .LBB266_534
; %bb.525:
	s_or_b64 exec, exec, s[2:3]
	s_and_saveexec_b64 s[2:3], vcc
	s_cbranch_execnz .LBB266_535
.LBB266_526:
	s_or_b64 exec, exec, s[2:3]
	s_and_saveexec_b64 s[2:3], vcc
	s_cbranch_execnz .LBB266_536
.LBB266_527:
	s_or_b64 exec, exec, s[2:3]
	s_and_saveexec_b64 s[2:3], vcc
	s_cbranch_execnz .LBB266_537
.LBB266_528:
	s_or_b64 exec, exec, s[2:3]
	s_and_saveexec_b64 s[2:3], vcc
	s_cbranch_execz .LBB266_530
.LBB266_529:
	ds_read_b32 v7, v7 offset:256
	s_waitcnt lgkmcnt(0)
	v_add_f32_e32 v1, v1, v7
.LBB266_530:
	s_or_b64 exec, exec, s[2:3]
.LBB266_531:
	s_or_b64 exec, exec, s[0:1]
	v_cmp_eq_u32_e32 vcc, 0, v6
	s_barrier
	s_and_saveexec_b64 s[0:1], vcc
	s_cbranch_execz .LBB266_533
; %bb.532:
	s_mul_i32 s0, s10, s11
	s_mul_i32 s0, s0, s9
	s_mulk_i32 s0, 0x50
	s_ashr_i32 s1, s0, 31
	s_lshl_b64 s[0:1], s[0:1], 1
	s_add_u32 s2, s22, s0
	s_mul_i32 s0, s11, s20
	s_addc_u32 s3, s23, s1
	s_ashr_i32 s1, s0, 31
	s_lshl_b64 s[0:1], s[0:1], 1
	s_add_u32 s2, s2, s0
	s_mul_i32 s0, s8, 0x50
	s_addc_u32 s3, s3, s1
	s_ashr_i32 s1, s0, 31
	s_lshl_b64 s[0:1], s[0:1], 1
	s_add_u32 s0, s2, s0
	s_addc_u32 s1, s3, s1
	v_lshlrev_b32_e32 v0, 1, v0
	;;#ASMSTART
	v_cvt_f16_f32 v5, v5;

	;;#ASMEND
	global_store_short v0, v5, s[0:1]
	;;#ASMSTART
	v_cvt_f16_f32 v4, v4;

	;;#ASMEND
	global_store_short v0, v4, s[0:1] offset:32
	;;#ASMSTART
	v_cvt_f16_f32 v3, v3;

	;;#ASMEND
	global_store_short v0, v3, s[0:1] offset:64
	;; [unrolled: 5-line block ×4, first 2 shown]
.LBB266_533:
	s_endpgm
.LBB266_534:
	ds_read_b32 v8, v7
	s_waitcnt lgkmcnt(0)
	v_add_f32_e32 v5, v5, v8
	s_or_b64 exec, exec, s[2:3]
	s_and_saveexec_b64 s[2:3], vcc
	s_cbranch_execz .LBB266_526
.LBB266_535:
	ds_read_b32 v8, v7 offset:64
	s_waitcnt lgkmcnt(0)
	v_add_f32_e32 v4, v4, v8
	s_or_b64 exec, exec, s[2:3]
	s_and_saveexec_b64 s[2:3], vcc
	s_cbranch_execz .LBB266_527
.LBB266_536:
	ds_read_b32 v8, v7 offset:128
	s_waitcnt lgkmcnt(0)
	v_add_f32_e32 v3, v3, v8
	s_or_b64 exec, exec, s[2:3]
	s_and_saveexec_b64 s[2:3], vcc
	s_cbranch_execz .LBB266_528
.LBB266_537:
	ds_read_b32 v8, v7 offset:192
	s_waitcnt lgkmcnt(0)
	v_add_f32_e32 v2, v2, v8
	s_or_b64 exec, exec, s[2:3]
	s_and_saveexec_b64 s[2:3], vcc
	s_cbranch_execnz .LBB266_529
	s_branch .LBB266_530
	.section	.rodata,"a",@progbits
	.p2align	6, 0x0
	.amdhsa_kernel _ZN4vllm25paged_attention_v1_kernelIthLi80ELi32ELi128ELNS_18Fp8KVCacheDataTypeE1ELb0EEEvPT_PKS2_PKT0_S8_ifPKiSA_iPKfiiiSC_SC_iiiii
		.amdhsa_group_segment_fixed_size 176
		.amdhsa_private_segment_fixed_size 12
		.amdhsa_kernarg_size 384
		.amdhsa_user_sgpr_count 6
		.amdhsa_user_sgpr_private_segment_buffer 1
		.amdhsa_user_sgpr_dispatch_ptr 0
		.amdhsa_user_sgpr_queue_ptr 0
		.amdhsa_user_sgpr_kernarg_segment_ptr 1
		.amdhsa_user_sgpr_dispatch_id 0
		.amdhsa_user_sgpr_flat_scratch_init 0
		.amdhsa_user_sgpr_private_segment_size 0
		.amdhsa_uses_dynamic_stack 0
		.amdhsa_system_sgpr_private_segment_wavefront_offset 1
		.amdhsa_system_sgpr_workgroup_id_x 1
		.amdhsa_system_sgpr_workgroup_id_y 1
		.amdhsa_system_sgpr_workgroup_id_z 1
		.amdhsa_system_sgpr_workgroup_info 0
		.amdhsa_system_vgpr_workitem_id 0
		.amdhsa_next_free_vgpr 64
		.amdhsa_next_free_sgpr 52
		.amdhsa_reserve_vcc 1
		.amdhsa_reserve_flat_scratch 0
		.amdhsa_float_round_mode_32 0
		.amdhsa_float_round_mode_16_64 0
		.amdhsa_float_denorm_mode_32 3
		.amdhsa_float_denorm_mode_16_64 3
		.amdhsa_dx10_clamp 1
		.amdhsa_ieee_mode 1
		.amdhsa_fp16_overflow 0
		.amdhsa_exception_fp_ieee_invalid_op 0
		.amdhsa_exception_fp_denorm_src 0
		.amdhsa_exception_fp_ieee_div_zero 0
		.amdhsa_exception_fp_ieee_overflow 0
		.amdhsa_exception_fp_ieee_underflow 0
		.amdhsa_exception_fp_ieee_inexact 0
		.amdhsa_exception_int_div_zero 0
	.end_amdhsa_kernel
	.section	.text._ZN4vllm25paged_attention_v1_kernelIthLi80ELi32ELi128ELNS_18Fp8KVCacheDataTypeE1ELb0EEEvPT_PKS2_PKT0_S8_ifPKiSA_iPKfiiiSC_SC_iiiii,"axG",@progbits,_ZN4vllm25paged_attention_v1_kernelIthLi80ELi32ELi128ELNS_18Fp8KVCacheDataTypeE1ELb0EEEvPT_PKS2_PKT0_S8_ifPKiSA_iPKfiiiSC_SC_iiiii,comdat
.Lfunc_end266:
	.size	_ZN4vllm25paged_attention_v1_kernelIthLi80ELi32ELi128ELNS_18Fp8KVCacheDataTypeE1ELb0EEEvPT_PKS2_PKT0_S8_ifPKiSA_iPKfiiiSC_SC_iiiii, .Lfunc_end266-_ZN4vllm25paged_attention_v1_kernelIthLi80ELi32ELi128ELNS_18Fp8KVCacheDataTypeE1ELb0EEEvPT_PKS2_PKT0_S8_ifPKiSA_iPKfiiiSC_SC_iiiii
                                        ; -- End function
	.set _ZN4vllm25paged_attention_v1_kernelIthLi80ELi32ELi128ELNS_18Fp8KVCacheDataTypeE1ELb0EEEvPT_PKS2_PKT0_S8_ifPKiSA_iPKfiiiSC_SC_iiiii.num_vgpr, 64
	.set _ZN4vllm25paged_attention_v1_kernelIthLi80ELi32ELi128ELNS_18Fp8KVCacheDataTypeE1ELb0EEEvPT_PKS2_PKT0_S8_ifPKiSA_iPKfiiiSC_SC_iiiii.num_agpr, 0
	.set _ZN4vllm25paged_attention_v1_kernelIthLi80ELi32ELi128ELNS_18Fp8KVCacheDataTypeE1ELb0EEEvPT_PKS2_PKT0_S8_ifPKiSA_iPKfiiiSC_SC_iiiii.numbered_sgpr, 52
	.set _ZN4vllm25paged_attention_v1_kernelIthLi80ELi32ELi128ELNS_18Fp8KVCacheDataTypeE1ELb0EEEvPT_PKS2_PKT0_S8_ifPKiSA_iPKfiiiSC_SC_iiiii.num_named_barrier, 0
	.set _ZN4vllm25paged_attention_v1_kernelIthLi80ELi32ELi128ELNS_18Fp8KVCacheDataTypeE1ELb0EEEvPT_PKS2_PKT0_S8_ifPKiSA_iPKfiiiSC_SC_iiiii.private_seg_size, 12
	.set _ZN4vllm25paged_attention_v1_kernelIthLi80ELi32ELi128ELNS_18Fp8KVCacheDataTypeE1ELb0EEEvPT_PKS2_PKT0_S8_ifPKiSA_iPKfiiiSC_SC_iiiii.uses_vcc, 1
	.set _ZN4vllm25paged_attention_v1_kernelIthLi80ELi32ELi128ELNS_18Fp8KVCacheDataTypeE1ELb0EEEvPT_PKS2_PKT0_S8_ifPKiSA_iPKfiiiSC_SC_iiiii.uses_flat_scratch, 0
	.set _ZN4vllm25paged_attention_v1_kernelIthLi80ELi32ELi128ELNS_18Fp8KVCacheDataTypeE1ELb0EEEvPT_PKS2_PKT0_S8_ifPKiSA_iPKfiiiSC_SC_iiiii.has_dyn_sized_stack, 0
	.set _ZN4vllm25paged_attention_v1_kernelIthLi80ELi32ELi128ELNS_18Fp8KVCacheDataTypeE1ELb0EEEvPT_PKS2_PKT0_S8_ifPKiSA_iPKfiiiSC_SC_iiiii.has_recursion, 0
	.set _ZN4vllm25paged_attention_v1_kernelIthLi80ELi32ELi128ELNS_18Fp8KVCacheDataTypeE1ELb0EEEvPT_PKS2_PKT0_S8_ifPKiSA_iPKfiiiSC_SC_iiiii.has_indirect_call, 0
	.section	.AMDGPU.csdata,"",@progbits
; Kernel info:
; codeLenInByte = 21576
; TotalNumSgprs: 56
; NumVgprs: 64
; ScratchSize: 12
; MemoryBound: 0
; FloatMode: 240
; IeeeMode: 1
; LDSByteSize: 176 bytes/workgroup (compile time only)
; SGPRBlocks: 6
; VGPRBlocks: 15
; NumSGPRsForWavesPerEU: 56
; NumVGPRsForWavesPerEU: 64
; Occupancy: 4
; WaveLimiterHint : 1
; COMPUTE_PGM_RSRC2:SCRATCH_EN: 1
; COMPUTE_PGM_RSRC2:USER_SGPR: 6
; COMPUTE_PGM_RSRC2:TRAP_HANDLER: 0
; COMPUTE_PGM_RSRC2:TGID_X_EN: 1
; COMPUTE_PGM_RSRC2:TGID_Y_EN: 1
; COMPUTE_PGM_RSRC2:TGID_Z_EN: 1
; COMPUTE_PGM_RSRC2:TIDIG_COMP_CNT: 0
	.section	.text._ZN4vllm25paged_attention_v1_kernelIthLi96ELi32ELi128ELNS_18Fp8KVCacheDataTypeE1ELb0EEEvPT_PKS2_PKT0_S8_ifPKiSA_iPKfiiiSC_SC_iiiii,"axG",@progbits,_ZN4vllm25paged_attention_v1_kernelIthLi96ELi32ELi128ELNS_18Fp8KVCacheDataTypeE1ELb0EEEvPT_PKS2_PKT0_S8_ifPKiSA_iPKfiiiSC_SC_iiiii,comdat
	.protected	_ZN4vllm25paged_attention_v1_kernelIthLi96ELi32ELi128ELNS_18Fp8KVCacheDataTypeE1ELb0EEEvPT_PKS2_PKT0_S8_ifPKiSA_iPKfiiiSC_SC_iiiii ; -- Begin function _ZN4vllm25paged_attention_v1_kernelIthLi96ELi32ELi128ELNS_18Fp8KVCacheDataTypeE1ELb0EEEvPT_PKS2_PKT0_S8_ifPKiSA_iPKfiiiSC_SC_iiiii
	.globl	_ZN4vllm25paged_attention_v1_kernelIthLi96ELi32ELi128ELNS_18Fp8KVCacheDataTypeE1ELb0EEEvPT_PKS2_PKT0_S8_ifPKiSA_iPKfiiiSC_SC_iiiii
	.p2align	8
	.type	_ZN4vllm25paged_attention_v1_kernelIthLi96ELi32ELi128ELNS_18Fp8KVCacheDataTypeE1ELb0EEEvPT_PKS2_PKT0_S8_ifPKiSA_iPKfiiiSC_SC_iiiii,@function
_ZN4vllm25paged_attention_v1_kernelIthLi96ELi32ELi128ELNS_18Fp8KVCacheDataTypeE1ELb0EEEvPT_PKS2_PKT0_S8_ifPKiSA_iPKfiiiSC_SC_iiiii: ; @_ZN4vllm25paged_attention_v1_kernelIthLi96ELi32ELi128ELNS_18Fp8KVCacheDataTypeE1ELb0EEEvPT_PKS2_PKT0_S8_ifPKiSA_iPKfiiiSC_SC_iiiii
; %bb.0:
	s_mov_b64 s[50:51], s[2:3]
	s_mov_b64 s[48:49], s[0:1]
	s_add_u32 s48, s48, s9
	s_load_dword s9, s[4:5], 0x80
	s_load_dwordx2 s[0:1], s[4:5], 0x30
	s_load_dwordx2 s[30:31], s[4:5], 0x20
	s_addc_u32 s49, s49, 0
	s_mov_b32 s10, s7
	s_ashr_i32 s11, s7, 31
	s_lshl_b64 s[2:3], s[10:11], 2
	s_waitcnt lgkmcnt(0)
	s_add_u32 s0, s0, s2
	s_addc_u32 s1, s1, s3
	s_abs_i32 s2, s30
	v_mov_b32_e32 v11, v0
	v_cvt_f32_u32_e32 v0, s2
	s_sub_i32 s11, 0, s2
	s_abs_i32 s7, s9
	s_xor_b32 s3, s9, s30
	v_rcp_iflag_f32_e32 v0, v0
	s_ashr_i32 s3, s3, 31
	s_mov_b32 s33, 0
	v_mul_f32_e32 v0, 0x4f7ffffe, v0
	v_cvt_u32_f32_e32 v0, v0
	v_readfirstlane_b32 s12, v0
	s_mul_i32 s11, s11, s12
	s_mul_hi_u32 s11, s12, s11
	s_add_i32 s12, s12, s11
	s_mul_hi_u32 s11, s7, s12
	s_mul_i32 s12, s11, s2
	s_sub_i32 s7, s7, s12
	s_add_i32 s12, s11, 1
	s_sub_i32 s13, s7, s2
	s_cmp_ge_u32 s7, s2
	s_cselect_b32 s11, s12, s11
	s_cselect_b32 s7, s13, s7
	s_add_i32 s12, s11, 1
	s_cmp_ge_u32 s7, s2
	s_cselect_b32 s2, s12, s11
	s_xor_b32 s2, s2, s3
	s_sub_i32 s14, s2, s3
	s_abs_i32 s11, s14
	v_cvt_f32_u32_e32 v0, s11
	s_load_dwordx2 s[2:3], s[4:5], 0x40
	s_sub_i32 s7, 0, s11
	s_abs_i32 s12, s6
	v_rcp_iflag_f32_e32 v0, v0
	v_mul_f32_e32 v0, 0x4f7ffffe, v0
	v_cvt_u32_f32_e32 v0, v0
	v_readfirstlane_b32 s13, v0
	s_mul_i32 s7, s7, s13
	s_mul_hi_u32 s7, s13, s7
	s_add_i32 s13, s13, s7
	s_waitcnt lgkmcnt(0)
	s_cmp_eq_u64 s[2:3], 0
	s_mul_hi_u32 s13, s12, s13
	s_cbranch_scc1 .LBB267_2
; %bb.1:
	s_ashr_i32 s7, s6, 31
	s_lshl_b64 s[16:17], s[6:7], 2
	s_add_u32 s2, s2, s16
	s_addc_u32 s3, s3, s17
	s_load_dword s33, s[2:3], 0x0
.LBB267_2:
	s_load_dword s30, s[0:1], 0x0
	s_load_dwordx4 s[16:19], s[4:5], 0x48
	s_ashr_i32 s2, s6, 31
	s_ashr_i32 s3, s14, 31
	v_and_b32_e32 v4, 1, v11
	s_movk_i32 s7, 0x60
	s_mul_i32 s20, s6, 0x60
	v_cmp_gt_u32_e32 vcc, 24, v11
	v_lshlrev_b32_e32 v5, 3, v11
	s_and_saveexec_b64 s[0:1], vcc
	s_cbranch_execz .LBB267_4
; %bb.3:
	s_load_dwordx2 s[14:15], s[4:5], 0x8
	s_waitcnt lgkmcnt(0)
	s_mul_i32 s22, s16, s10
	s_ashr_i32 s23, s22, 31
	s_lshl_b64 s[22:23], s[22:23], 1
	v_lshlrev_b32_e32 v2, 2, v11
	s_add_u32 s6, s14, s22
	s_addc_u32 s16, s15, s23
	s_ashr_i32 s21, s20, 31
	s_lshl_b64 s[14:15], s[20:21], 1
	s_add_u32 s14, s6, s14
	s_addc_u32 s15, s16, s15
	global_load_dwordx2 v[0:1], v5, s[14:15]
	v_and_b32_e32 v2, 0xff8, v2
	v_mad_u32_u24 v2, v4, s7, v2
	s_waitcnt vmcnt(0)
	ds_write_b64 v2, v[0:1]
.LBB267_4:
	s_or_b64 exec, exec, s[0:1]
	s_waitcnt lgkmcnt(0)
	s_add_i32 s1, s30, 31
	s_ashr_i32 s6, s1, 31
	s_lshr_b32 s6, s6, 27
	s_add_i32 s1, s1, s6
	s_ashr_i32 s21, s1, 5
	s_xor_b32 s1, s2, s3
	s_mul_i32 s2, s13, s11
	s_sub_i32 s2, s12, s2
	s_add_i32 s3, s13, 1
	s_sub_i32 s6, s2, s11
	s_load_dwordx2 s[24:25], s[4:5], 0x28
	s_load_dword s0, s[4:5], 0x38
	s_cmp_ge_u32 s2, s11
	s_cselect_b32 s3, s3, s13
	s_cselect_b32 s2, s6, s2
	s_add_i32 s6, s3, 1
	s_cmp_ge_u32 s2, s11
	s_cselect_b32 s2, s6, s3
	v_lshrrev_b32_e32 v0, 6, v11
	s_xor_b32 s2, s2, s1
	s_waitcnt lgkmcnt(0)
	s_mul_i32 s26, s0, s10
	s_sub_i32 s16, s2, s1
	s_ashr_i32 s27, s26, 31
	v_cmp_gt_i32_e64 s[0:1], s21, v0
	v_cmp_le_i32_e32 vcc, s21, v0
	v_mbcnt_lo_u32_b32 v7, -1, 0
	s_barrier
	buffer_store_dword v0, off, s[48:51], 0 ; 4-byte Folded Spill
                                        ; implicit-def: $vgpr0
                                        ; kill: killed $vgpr0
                                        ; implicit-def: $vgpr1
                                        ; implicit-def: $vgpr3
	s_and_saveexec_b64 s[2:3], vcc
	s_xor_b64 s[2:3], exec, s[2:3]
	s_cbranch_execz .LBB267_6
; %bb.5:
	v_mbcnt_hi_u32_b32 v0, -1, v7
	v_and_b32_e32 v1, 64, v0
	v_add_u32_e32 v3, 64, v1
	buffer_store_dword v0, off, s[48:51], 0 offset:8 ; 4-byte Folded Spill
                                        ; implicit-def: $vgpr4
                                        ; implicit-def: $vgpr7
.LBB267_6:
	s_or_saveexec_b64 s[6:7], s[2:3]
	buffer_store_dword v5, off, s[48:51], 0 offset:32 ; 4-byte Folded Spill
	s_load_dwordx2 s[22:23], s[4:5], 0x0
	s_load_dwordx2 s[28:29], s[4:5], 0x18
	s_load_dword s11, s[4:5], 0x88
	s_load_dwordx4 s[12:15], s[4:5], 0x58
	v_mov_b32_e32 v5, 0xff7fffff
	s_mul_i32 s16, s16, s18
	v_lshrrev_b32_e32 v0, 4, v11
	buffer_store_dword v0, off, s[48:51], 0 offset:28 ; 4-byte Folded Spill
	buffer_store_dword v11, off, s[48:51], 0 offset:24 ; 4-byte Folded Spill
	s_xor_b64 exec, exec, s[6:7]
	s_cbranch_execz .LBB267_300
; %bb.7:
	s_load_dwordx2 s[2:3], s[4:5], 0x10
	s_ashr_i32 s4, s16, 31
	v_bfe_u32 v0, v11, 1, 5
	v_lshlrev_b32_e32 v1, 4, v0
	v_lshlrev_b32_e32 v5, 2, v4
	s_waitcnt lgkmcnt(0)
	s_add_u32 s2, s2, s16
	s_addc_u32 s3, s3, s4
	v_mov_b32_e32 v3, s3
	v_add_co_u32_e32 v1, vcc, s2, v1
	v_addc_co_u32_e32 v3, vcc, 0, v3, vcc
	v_mul_u32_u24_e32 v15, 0x60, v4
	v_cmp_eq_u32_e32 vcc, 0, v4
	v_add_co_u32_e64 v4, s[4:5], v1, v5
	v_addc_co_u32_e64 v5, s[4:5], 0, v3, s[4:5]
	buffer_store_dword v4, off, s[48:51], 0 offset:16 ; 4-byte Folded Spill
	s_nop 0
	buffer_store_dword v5, off, s[48:51], 0 offset:20 ; 4-byte Folded Spill
	buffer_load_dword v19, off, s[48:51], 0 ; 4-byte Folded Reload
	s_sub_i32 s41, 1, s30
	s_lshl_b64 s[4:5], s[26:27], 2
	s_add_u32 s4, s24, s4
	s_addc_u32 s5, s25, s5
	v_mov_b32_e32 v1, s5
	s_mov_b32 s40, s17
	v_mov_b32_e32 v2, 0
	v_cmp_neq_f32_e64 s[2:3], s33, 0
	s_mov_b64 s[18:19], 0
	s_movk_i32 s42, 0x80
	s_movk_i32 s43, 0x7f
	s_mov_b32 s44, 0x8000
	s_mov_b32 s45, 0xffffff
	s_waitcnt vmcnt(0)
	v_lshl_or_b32 v16, v19, 5, v0
	v_lshlrev_b32_e32 v0, 2, v0
	v_lshl_or_b32 v0, v19, 7, v0
	v_add_u32_e32 v0, 0xd0, v0
	buffer_store_dword v0, off, s[48:51], 0 offset:4 ; 4-byte Folded Spill
	buffer_load_dword v0, off, s[48:51], 0 offset:28 ; 4-byte Folded Reload
	s_waitcnt vmcnt(0)
	v_and_b32_e32 v0, 60, v0
	v_add_co_u32_e64 v5, s[4:5], s4, v0
	v_mov_b32_e32 v0, 0xff7fffff
	v_addc_co_u32_e64 v6, s[4:5], 0, v1, s[4:5]
	buffer_store_dword v0, off, s[48:51], 0 offset:12 ; 4-byte Folded Spill
	v_mbcnt_hi_u32_b32 v0, -1, v7
	buffer_store_dword v0, off, s[48:51], 0 offset:8 ; 4-byte Folded Spill
	s_branch .LBB267_9
.LBB267_8:                              ;   in Loop: Header=BB267_9 Depth=1
	s_or_b64 exec, exec, s[34:35]
	buffer_load_dword v0, off, s[48:51], 0 offset:4 ; 4-byte Folded Reload
	v_add_u32_e32 v19, 2, v19
	v_cmp_le_i32_e64 s[4:5], s21, v19
	s_or_b64 s[18:19], s[4:5], s[18:19]
	v_add_co_u32_e64 v5, s[4:5], 8, v5
	v_add_u32_e32 v16, 64, v16
	v_addc_co_u32_e64 v6, s[4:5], 0, v6, s[4:5]
	s_waitcnt vmcnt(0)
	v_add_u32_e32 v0, 0x100, v0
	buffer_store_dword v0, off, s[48:51], 0 offset:4 ; 4-byte Folded Spill
	s_andn2_b64 exec, exec, s[18:19]
	s_cbranch_execz .LBB267_299
.LBB267_9:                              ; =>This Inner Loop Header: Depth=1
	global_load_dword v1, v[5:6], off
	buffer_load_dword v3, off, s[48:51], 0 offset:16 ; 4-byte Folded Reload
	buffer_load_dword v4, off, s[48:51], 0 offset:20 ; 4-byte Folded Reload
	v_mov_b32_e32 v21, 0
	s_waitcnt vmcnt(0) lgkmcnt(0)
	v_mad_i64_i32 v[7:8], s[4:5], v1, s40, v[3:4]
	global_load_dword v9, v[7:8], off
	global_load_dword v20, v2, s[12:13]
	s_waitcnt vmcnt(1)
	v_cmp_ne_u16_sdwa s[4:5], v9, v2 src0_sel:BYTE_0 src1_sel:DWORD
	s_and_saveexec_b64 s[34:35], s[4:5]
	s_cbranch_execz .LBB267_15
; %bb.10:                               ;   in Loop: Header=BB267_9 Depth=1
	v_cmp_ne_u16_sdwa s[4:5], v9, s42 src0_sel:BYTE_0 src1_sel:DWORD
	v_mov_b32_e32 v21, 0x8000
	s_and_saveexec_b64 s[36:37], s[4:5]
	s_cbranch_execz .LBB267_14
; %bb.11:                               ;   in Loop: Header=BB267_9 Depth=1
	v_and_b32_e32 v1, 0x7f, v9
	v_cmp_ne_u32_e64 s[4:5], s43, v1
	v_mov_b32_e32 v21, 0x7c01
	s_and_saveexec_b64 s[38:39], s[4:5]
	s_cbranch_execz .LBB267_13
; %bb.12:                               ;   in Loop: Header=BB267_9 Depth=1
	v_and_b32_e32 v10, 7, v9
	v_ffbh_u32_e32 v3, v10
	v_min_u32_e32 v14, 32, v3
	v_subrev_u32_e32 v3, 28, v14
	v_lshlrev_b64 v[3:4], v3, v[9:10]
	v_lshrrev_b32_e32 v12, 3, v1
	v_sub_u32_e32 v4, 29, v14
	v_cmp_gt_u32_e64 s[4:5], 8, v1
	v_cndmask_b32_e64 v1, v12, v4, s[4:5]
	v_mov_b32_e32 v0, 0x2000
	v_lshl_add_u32 v1, v1, 10, v0
	v_lshlrev_b32_e32 v4, 8, v9
	v_and_b32_e32 v3, 7, v3
	v_and_b32_e32 v1, 0xfc00, v1
	v_cndmask_b32_e64 v3, v10, v3, s[4:5]
	v_and_or_b32 v1, v4, s44, v1
	v_lshl_or_b32 v21, v3, 7, v1
.LBB267_13:                             ;   in Loop: Header=BB267_9 Depth=1
	s_or_b64 exec, exec, s[38:39]
.LBB267_14:                             ;   in Loop: Header=BB267_9 Depth=1
	s_or_b64 exec, exec, s[36:37]
.LBB267_15:                             ;   in Loop: Header=BB267_9 Depth=1
	s_or_b64 exec, exec, s[34:35]
	v_lshrrev_b16_e32 v1, 8, v9
	v_cmp_ne_u16_e64 s[4:5], 0, v1
	v_mov_b32_e32 v22, 0
	v_mov_b32_e32 v23, 0
	s_and_saveexec_b64 s[34:35], s[4:5]
	s_cbranch_execz .LBB267_21
; %bb.16:                               ;   in Loop: Header=BB267_9 Depth=1
	v_cmp_ne_u16_e64 s[4:5], s42, v1
	v_bfrev_b32_e32 v23, 1
	s_and_saveexec_b64 s[36:37], s[4:5]
	s_cbranch_execz .LBB267_20
; %bb.17:                               ;   in Loop: Header=BB267_9 Depth=1
	v_and_b32_e32 v3, 0x7f, v1
	v_cmp_ne_u32_e64 s[4:5], s43, v3
	v_mov_b32_e32 v23, 0x7c010000
	s_and_saveexec_b64 s[38:39], s[4:5]
	s_cbranch_execz .LBB267_19
; %bb.18:                               ;   in Loop: Header=BB267_9 Depth=1
	v_and_b32_e32 v4, 7, v1
	v_ffbh_u32_e32 v12, v4
	v_min_u32_e32 v12, 32, v12
	v_lshrrev_b32_e32 v10, 3, v3
	v_subrev_u32_e32 v14, 28, v12
	v_sub_u32_e32 v12, 29, v12
	v_cmp_gt_u32_e64 s[4:5], 8, v3
	v_lshlrev_b64 v[23:24], v14, v[1:2]
	v_cndmask_b32_e64 v3, v10, v12, s[4:5]
	v_mov_b32_e32 v0, 0x2000
	v_lshlrev_b32_e32 v1, 8, v1
	v_lshl_add_u32 v3, v3, 10, v0
	v_and_b32_e32 v10, 7, v23
	v_and_or_b32 v1, v1, s44, v3
	v_cndmask_b32_e64 v4, v4, v10, s[4:5]
	v_lshlrev_b32_e32 v1, 16, v1
	v_lshl_or_b32 v23, v4, 23, v1
.LBB267_19:                             ;   in Loop: Header=BB267_9 Depth=1
	s_or_b64 exec, exec, s[38:39]
.LBB267_20:                             ;   in Loop: Header=BB267_9 Depth=1
	s_or_b64 exec, exec, s[36:37]
.LBB267_21:                             ;   in Loop: Header=BB267_9 Depth=1
	s_or_b64 exec, exec, s[34:35]
	v_lshrrev_b32_e32 v1, 16, v9
	v_cmp_ne_u16_sdwa s[4:5], v1, v2 src0_sel:BYTE_0 src1_sel:DWORD
	s_and_saveexec_b64 s[34:35], s[4:5]
	s_cbranch_execz .LBB267_27
; %bb.22:                               ;   in Loop: Header=BB267_9 Depth=1
	v_cmp_ne_u16_sdwa s[4:5], v1, s42 src0_sel:BYTE_0 src1_sel:DWORD
	v_mov_b32_e32 v22, 0x8000
	s_and_saveexec_b64 s[36:37], s[4:5]
	s_cbranch_execz .LBB267_26
; %bb.23:                               ;   in Loop: Header=BB267_9 Depth=1
	v_bfe_u32 v3, v9, 16, 7
	v_cmp_ne_u32_e64 s[4:5], s43, v3
	v_mov_b32_e32 v22, 0x7c01
	s_and_saveexec_b64 s[38:39], s[4:5]
	s_cbranch_execz .LBB267_25
; %bb.24:                               ;   in Loop: Header=BB267_9 Depth=1
	v_and_b32_e32 v4, 7, v1
	v_ffbh_u32_e32 v12, v4
	v_min_u32_e32 v12, 32, v12
	v_lshrrev_b32_e32 v10, 3, v3
	v_subrev_u32_e32 v14, 28, v12
	v_sub_u32_e32 v12, 29, v12
	v_cmp_gt_u32_e64 s[4:5], 8, v3
	v_lshlrev_b64 v[24:25], v14, v[1:2]
	v_cndmask_b32_e64 v3, v10, v12, s[4:5]
	v_mov_b32_e32 v0, 0x2000
	v_lshl_add_u32 v3, v3, 10, v0
	v_lshlrev_b32_e32 v1, 8, v1
	v_and_b32_e32 v10, 7, v24
	v_and_b32_e32 v3, 0xfc00, v3
	v_cndmask_b32_e64 v4, v4, v10, s[4:5]
	v_and_or_b32 v1, v1, s44, v3
	v_lshl_or_b32 v22, v4, 7, v1
.LBB267_25:                             ;   in Loop: Header=BB267_9 Depth=1
	s_or_b64 exec, exec, s[38:39]
.LBB267_26:                             ;   in Loop: Header=BB267_9 Depth=1
	s_or_b64 exec, exec, s[36:37]
.LBB267_27:                             ;   in Loop: Header=BB267_9 Depth=1
	s_or_b64 exec, exec, s[34:35]
	v_cmp_lt_u32_e64 s[4:5], s45, v9
	v_mov_b32_e32 v25, 0
	v_mov_b32_e32 v24, 0
	s_and_saveexec_b64 s[34:35], s[4:5]
	s_cbranch_execz .LBB267_33
; %bb.28:                               ;   in Loop: Header=BB267_9 Depth=1
	v_lshrrev_b32_e32 v1, 24, v9
	v_cmp_ne_u32_e64 s[4:5], s42, v1
	v_bfrev_b32_e32 v24, 1
	s_and_saveexec_b64 s[36:37], s[4:5]
	s_cbranch_execz .LBB267_32
; %bb.29:                               ;   in Loop: Header=BB267_9 Depth=1
	v_and_b32_e32 v3, 0x7f, v1
	v_cmp_ne_u32_e64 s[4:5], s43, v3
	v_mov_b32_e32 v24, 0x7c010000
	s_and_saveexec_b64 s[38:39], s[4:5]
	s_cbranch_execz .LBB267_31
; %bb.30:                               ;   in Loop: Header=BB267_9 Depth=1
	v_and_b32_e32 v4, 7, v1
	v_ffbh_u32_e32 v9, v4
	v_min_u32_e32 v14, 32, v9
	v_subrev_u32_e32 v9, 28, v14
	v_lshlrev_b64 v[9:10], v9, v[1:2]
	v_lshrrev_b32_e32 v12, 3, v3
	v_sub_u32_e32 v10, 29, v14
	v_cmp_gt_u32_e64 s[4:5], 8, v3
	v_cndmask_b32_e64 v3, v12, v10, s[4:5]
	v_mov_b32_e32 v0, 0x2000
	v_lshlrev_b32_e32 v1, 8, v1
	v_lshl_add_u32 v3, v3, 10, v0
	v_and_b32_e32 v9, 7, v9
	v_and_or_b32 v1, v1, s44, v3
	v_cndmask_b32_e64 v4, v4, v9, s[4:5]
	v_lshlrev_b32_e32 v1, 16, v1
	v_lshl_or_b32 v24, v4, 23, v1
.LBB267_31:                             ;   in Loop: Header=BB267_9 Depth=1
	s_or_b64 exec, exec, s[38:39]
.LBB267_32:                             ;   in Loop: Header=BB267_9 Depth=1
	s_or_b64 exec, exec, s[36:37]
.LBB267_33:                             ;   in Loop: Header=BB267_9 Depth=1
	s_or_b64 exec, exec, s[34:35]
	global_load_dword v9, v[7:8], off offset:8
	s_waitcnt vmcnt(0)
	v_cmp_ne_u16_sdwa s[4:5], v9, v2 src0_sel:BYTE_0 src1_sel:DWORD
	s_and_saveexec_b64 s[34:35], s[4:5]
	s_cbranch_execz .LBB267_39
; %bb.34:                               ;   in Loop: Header=BB267_9 Depth=1
	v_cmp_ne_u16_sdwa s[4:5], v9, s42 src0_sel:BYTE_0 src1_sel:DWORD
	v_mov_b32_e32 v25, 0x8000
	s_and_saveexec_b64 s[36:37], s[4:5]
	s_cbranch_execz .LBB267_38
; %bb.35:                               ;   in Loop: Header=BB267_9 Depth=1
	v_and_b32_e32 v1, 0x7f, v9
	v_cmp_ne_u32_e64 s[4:5], s43, v1
	v_mov_b32_e32 v25, 0x7c01
	s_and_saveexec_b64 s[38:39], s[4:5]
	s_cbranch_execz .LBB267_37
; %bb.36:                               ;   in Loop: Header=BB267_9 Depth=1
	v_and_b32_e32 v10, 7, v9
	v_ffbh_u32_e32 v3, v10
	v_min_u32_e32 v14, 32, v3
	v_subrev_u32_e32 v3, 28, v14
	v_lshlrev_b64 v[3:4], v3, v[9:10]
	v_lshrrev_b32_e32 v12, 3, v1
	v_sub_u32_e32 v4, 29, v14
	v_cmp_gt_u32_e64 s[4:5], 8, v1
	v_cndmask_b32_e64 v1, v12, v4, s[4:5]
	v_mov_b32_e32 v0, 0x2000
	v_lshl_add_u32 v1, v1, 10, v0
	v_lshlrev_b32_e32 v4, 8, v9
	v_and_b32_e32 v3, 7, v3
	v_and_b32_e32 v1, 0xfc00, v1
	v_cndmask_b32_e64 v3, v10, v3, s[4:5]
	v_and_or_b32 v1, v4, s44, v1
	v_lshl_or_b32 v25, v3, 7, v1
.LBB267_37:                             ;   in Loop: Header=BB267_9 Depth=1
	s_or_b64 exec, exec, s[38:39]
.LBB267_38:                             ;   in Loop: Header=BB267_9 Depth=1
	s_or_b64 exec, exec, s[36:37]
.LBB267_39:                             ;   in Loop: Header=BB267_9 Depth=1
	s_or_b64 exec, exec, s[34:35]
	v_lshrrev_b16_e32 v1, 8, v9
	v_cmp_ne_u16_e64 s[4:5], 0, v1
	v_mov_b32_e32 v26, 0
	v_mov_b32_e32 v27, 0
	s_and_saveexec_b64 s[34:35], s[4:5]
	s_cbranch_execz .LBB267_45
; %bb.40:                               ;   in Loop: Header=BB267_9 Depth=1
	v_cmp_ne_u16_e64 s[4:5], s42, v1
	v_bfrev_b32_e32 v27, 1
	s_and_saveexec_b64 s[36:37], s[4:5]
	s_cbranch_execz .LBB267_44
; %bb.41:                               ;   in Loop: Header=BB267_9 Depth=1
	v_and_b32_e32 v3, 0x7f, v1
	v_cmp_ne_u32_e64 s[4:5], s43, v3
	v_mov_b32_e32 v27, 0x7c010000
	s_and_saveexec_b64 s[38:39], s[4:5]
	s_cbranch_execz .LBB267_43
; %bb.42:                               ;   in Loop: Header=BB267_9 Depth=1
	v_and_b32_e32 v4, 7, v1
	v_ffbh_u32_e32 v12, v4
	v_min_u32_e32 v12, 32, v12
	v_lshrrev_b32_e32 v10, 3, v3
	v_subrev_u32_e32 v14, 28, v12
	v_sub_u32_e32 v12, 29, v12
	v_cmp_gt_u32_e64 s[4:5], 8, v3
	v_lshlrev_b64 v[27:28], v14, v[1:2]
	v_cndmask_b32_e64 v3, v10, v12, s[4:5]
	v_mov_b32_e32 v0, 0x2000
	v_lshlrev_b32_e32 v1, 8, v1
	v_lshl_add_u32 v3, v3, 10, v0
	v_and_b32_e32 v10, 7, v27
	v_and_or_b32 v1, v1, s44, v3
	v_cndmask_b32_e64 v4, v4, v10, s[4:5]
	v_lshlrev_b32_e32 v1, 16, v1
	v_lshl_or_b32 v27, v4, 23, v1
.LBB267_43:                             ;   in Loop: Header=BB267_9 Depth=1
	s_or_b64 exec, exec, s[38:39]
.LBB267_44:                             ;   in Loop: Header=BB267_9 Depth=1
	s_or_b64 exec, exec, s[36:37]
.LBB267_45:                             ;   in Loop: Header=BB267_9 Depth=1
	s_or_b64 exec, exec, s[34:35]
	v_lshrrev_b32_e32 v1, 16, v9
	v_cmp_ne_u16_sdwa s[4:5], v1, v2 src0_sel:BYTE_0 src1_sel:DWORD
	s_and_saveexec_b64 s[34:35], s[4:5]
	s_cbranch_execz .LBB267_51
; %bb.46:                               ;   in Loop: Header=BB267_9 Depth=1
	v_cmp_ne_u16_sdwa s[4:5], v1, s42 src0_sel:BYTE_0 src1_sel:DWORD
	v_mov_b32_e32 v26, 0x8000
	s_and_saveexec_b64 s[36:37], s[4:5]
	s_cbranch_execz .LBB267_50
; %bb.47:                               ;   in Loop: Header=BB267_9 Depth=1
	v_bfe_u32 v3, v9, 16, 7
	v_cmp_ne_u32_e64 s[4:5], s43, v3
	v_mov_b32_e32 v26, 0x7c01
	s_and_saveexec_b64 s[38:39], s[4:5]
	s_cbranch_execz .LBB267_49
; %bb.48:                               ;   in Loop: Header=BB267_9 Depth=1
	v_and_b32_e32 v4, 7, v1
	v_ffbh_u32_e32 v12, v4
	v_min_u32_e32 v12, 32, v12
	v_lshrrev_b32_e32 v10, 3, v3
	v_subrev_u32_e32 v14, 28, v12
	v_sub_u32_e32 v12, 29, v12
	v_cmp_gt_u32_e64 s[4:5], 8, v3
	v_lshlrev_b64 v[28:29], v14, v[1:2]
	v_cndmask_b32_e64 v3, v10, v12, s[4:5]
	v_mov_b32_e32 v0, 0x2000
	v_lshl_add_u32 v3, v3, 10, v0
	v_lshlrev_b32_e32 v1, 8, v1
	v_and_b32_e32 v10, 7, v28
	v_and_b32_e32 v3, 0xfc00, v3
	v_cndmask_b32_e64 v4, v4, v10, s[4:5]
	v_and_or_b32 v1, v1, s44, v3
	v_lshl_or_b32 v26, v4, 7, v1
.LBB267_49:                             ;   in Loop: Header=BB267_9 Depth=1
	s_or_b64 exec, exec, s[38:39]
.LBB267_50:                             ;   in Loop: Header=BB267_9 Depth=1
	s_or_b64 exec, exec, s[36:37]
.LBB267_51:                             ;   in Loop: Header=BB267_9 Depth=1
	s_or_b64 exec, exec, s[34:35]
	v_cmp_lt_u32_e64 s[4:5], s45, v9
	v_mov_b32_e32 v29, 0
	v_mov_b32_e32 v28, 0
	s_and_saveexec_b64 s[34:35], s[4:5]
	s_cbranch_execz .LBB267_57
; %bb.52:                               ;   in Loop: Header=BB267_9 Depth=1
	v_lshrrev_b32_e32 v1, 24, v9
	v_cmp_ne_u32_e64 s[4:5], s42, v1
	v_bfrev_b32_e32 v28, 1
	s_and_saveexec_b64 s[36:37], s[4:5]
	s_cbranch_execz .LBB267_56
; %bb.53:                               ;   in Loop: Header=BB267_9 Depth=1
	v_and_b32_e32 v3, 0x7f, v1
	v_cmp_ne_u32_e64 s[4:5], s43, v3
	v_mov_b32_e32 v28, 0x7c010000
	s_and_saveexec_b64 s[38:39], s[4:5]
	s_cbranch_execz .LBB267_55
; %bb.54:                               ;   in Loop: Header=BB267_9 Depth=1
	v_and_b32_e32 v4, 7, v1
	v_ffbh_u32_e32 v9, v4
	v_min_u32_e32 v14, 32, v9
	v_subrev_u32_e32 v9, 28, v14
	v_lshlrev_b64 v[9:10], v9, v[1:2]
	v_lshrrev_b32_e32 v12, 3, v3
	v_sub_u32_e32 v10, 29, v14
	v_cmp_gt_u32_e64 s[4:5], 8, v3
	v_cndmask_b32_e64 v3, v12, v10, s[4:5]
	v_mov_b32_e32 v0, 0x2000
	v_lshlrev_b32_e32 v1, 8, v1
	v_lshl_add_u32 v3, v3, 10, v0
	v_and_b32_e32 v9, 7, v9
	v_and_or_b32 v1, v1, s44, v3
	v_cndmask_b32_e64 v4, v4, v9, s[4:5]
	v_lshlrev_b32_e32 v1, 16, v1
	v_lshl_or_b32 v28, v4, 23, v1
.LBB267_55:                             ;   in Loop: Header=BB267_9 Depth=1
	s_or_b64 exec, exec, s[38:39]
.LBB267_56:                             ;   in Loop: Header=BB267_9 Depth=1
	s_or_b64 exec, exec, s[36:37]
.LBB267_57:                             ;   in Loop: Header=BB267_9 Depth=1
	s_or_b64 exec, exec, s[34:35]
	global_load_dword v9, v[7:8], off offset:512
	s_waitcnt vmcnt(0)
	v_cmp_ne_u16_sdwa s[4:5], v9, v2 src0_sel:BYTE_0 src1_sel:DWORD
	s_and_saveexec_b64 s[34:35], s[4:5]
	s_cbranch_execz .LBB267_63
; %bb.58:                               ;   in Loop: Header=BB267_9 Depth=1
	v_cmp_ne_u16_sdwa s[4:5], v9, s42 src0_sel:BYTE_0 src1_sel:DWORD
	v_mov_b32_e32 v29, 0x8000
	s_and_saveexec_b64 s[36:37], s[4:5]
	s_cbranch_execz .LBB267_62
; %bb.59:                               ;   in Loop: Header=BB267_9 Depth=1
	v_and_b32_e32 v1, 0x7f, v9
	v_cmp_ne_u32_e64 s[4:5], s43, v1
	v_mov_b32_e32 v29, 0x7c01
	s_and_saveexec_b64 s[38:39], s[4:5]
	s_cbranch_execz .LBB267_61
; %bb.60:                               ;   in Loop: Header=BB267_9 Depth=1
	v_and_b32_e32 v10, 7, v9
	v_ffbh_u32_e32 v3, v10
	v_min_u32_e32 v14, 32, v3
	v_subrev_u32_e32 v3, 28, v14
	v_lshlrev_b64 v[3:4], v3, v[9:10]
	v_lshrrev_b32_e32 v12, 3, v1
	v_sub_u32_e32 v4, 29, v14
	v_cmp_gt_u32_e64 s[4:5], 8, v1
	v_cndmask_b32_e64 v1, v12, v4, s[4:5]
	v_mov_b32_e32 v0, 0x2000
	v_lshl_add_u32 v1, v1, 10, v0
	v_lshlrev_b32_e32 v4, 8, v9
	v_and_b32_e32 v3, 7, v3
	v_and_b32_e32 v1, 0xfc00, v1
	v_cndmask_b32_e64 v3, v10, v3, s[4:5]
	v_and_or_b32 v1, v4, s44, v1
	v_lshl_or_b32 v29, v3, 7, v1
.LBB267_61:                             ;   in Loop: Header=BB267_9 Depth=1
	s_or_b64 exec, exec, s[38:39]
.LBB267_62:                             ;   in Loop: Header=BB267_9 Depth=1
	s_or_b64 exec, exec, s[36:37]
.LBB267_63:                             ;   in Loop: Header=BB267_9 Depth=1
	s_or_b64 exec, exec, s[34:35]
	v_lshrrev_b16_e32 v1, 8, v9
	v_cmp_ne_u16_e64 s[4:5], 0, v1
	v_mov_b32_e32 v30, 0
	v_mov_b32_e32 v31, 0
	s_and_saveexec_b64 s[34:35], s[4:5]
	s_cbranch_execz .LBB267_69
; %bb.64:                               ;   in Loop: Header=BB267_9 Depth=1
	v_cmp_ne_u16_e64 s[4:5], s42, v1
	v_bfrev_b32_e32 v31, 1
	s_and_saveexec_b64 s[36:37], s[4:5]
	s_cbranch_execz .LBB267_68
; %bb.65:                               ;   in Loop: Header=BB267_9 Depth=1
	v_and_b32_e32 v3, 0x7f, v1
	v_cmp_ne_u32_e64 s[4:5], s43, v3
	v_mov_b32_e32 v31, 0x7c010000
	s_and_saveexec_b64 s[38:39], s[4:5]
	s_cbranch_execz .LBB267_67
; %bb.66:                               ;   in Loop: Header=BB267_9 Depth=1
	v_and_b32_e32 v4, 7, v1
	v_ffbh_u32_e32 v12, v4
	v_min_u32_e32 v12, 32, v12
	v_lshrrev_b32_e32 v10, 3, v3
	v_subrev_u32_e32 v14, 28, v12
	v_sub_u32_e32 v12, 29, v12
	v_cmp_gt_u32_e64 s[4:5], 8, v3
	v_lshlrev_b64 v[31:32], v14, v[1:2]
	v_cndmask_b32_e64 v3, v10, v12, s[4:5]
	v_mov_b32_e32 v0, 0x2000
	v_lshlrev_b32_e32 v1, 8, v1
	v_lshl_add_u32 v3, v3, 10, v0
	v_and_b32_e32 v10, 7, v31
	v_and_or_b32 v1, v1, s44, v3
	v_cndmask_b32_e64 v4, v4, v10, s[4:5]
	v_lshlrev_b32_e32 v1, 16, v1
	v_lshl_or_b32 v31, v4, 23, v1
.LBB267_67:                             ;   in Loop: Header=BB267_9 Depth=1
	s_or_b64 exec, exec, s[38:39]
.LBB267_68:                             ;   in Loop: Header=BB267_9 Depth=1
	s_or_b64 exec, exec, s[36:37]
.LBB267_69:                             ;   in Loop: Header=BB267_9 Depth=1
	s_or_b64 exec, exec, s[34:35]
	v_lshrrev_b32_e32 v1, 16, v9
	v_cmp_ne_u16_sdwa s[4:5], v1, v2 src0_sel:BYTE_0 src1_sel:DWORD
	s_and_saveexec_b64 s[34:35], s[4:5]
	s_cbranch_execz .LBB267_75
; %bb.70:                               ;   in Loop: Header=BB267_9 Depth=1
	v_cmp_ne_u16_sdwa s[4:5], v1, s42 src0_sel:BYTE_0 src1_sel:DWORD
	v_mov_b32_e32 v30, 0x8000
	s_and_saveexec_b64 s[36:37], s[4:5]
	s_cbranch_execz .LBB267_74
; %bb.71:                               ;   in Loop: Header=BB267_9 Depth=1
	v_bfe_u32 v3, v9, 16, 7
	v_cmp_ne_u32_e64 s[4:5], s43, v3
	v_mov_b32_e32 v30, 0x7c01
	s_and_saveexec_b64 s[38:39], s[4:5]
	s_cbranch_execz .LBB267_73
; %bb.72:                               ;   in Loop: Header=BB267_9 Depth=1
	v_and_b32_e32 v4, 7, v1
	v_ffbh_u32_e32 v12, v4
	v_min_u32_e32 v12, 32, v12
	v_lshrrev_b32_e32 v10, 3, v3
	v_subrev_u32_e32 v14, 28, v12
	v_sub_u32_e32 v12, 29, v12
	v_cmp_gt_u32_e64 s[4:5], 8, v3
	v_lshlrev_b64 v[32:33], v14, v[1:2]
	v_cndmask_b32_e64 v3, v10, v12, s[4:5]
	v_mov_b32_e32 v0, 0x2000
	v_lshl_add_u32 v3, v3, 10, v0
	v_lshlrev_b32_e32 v1, 8, v1
	v_and_b32_e32 v10, 7, v32
	v_and_b32_e32 v3, 0xfc00, v3
	v_cndmask_b32_e64 v4, v4, v10, s[4:5]
	v_and_or_b32 v1, v1, s44, v3
	v_lshl_or_b32 v30, v4, 7, v1
.LBB267_73:                             ;   in Loop: Header=BB267_9 Depth=1
	s_or_b64 exec, exec, s[38:39]
.LBB267_74:                             ;   in Loop: Header=BB267_9 Depth=1
	s_or_b64 exec, exec, s[36:37]
.LBB267_75:                             ;   in Loop: Header=BB267_9 Depth=1
	s_or_b64 exec, exec, s[34:35]
	v_cmp_lt_u32_e64 s[4:5], s45, v9
	v_mov_b32_e32 v33, 0
	v_mov_b32_e32 v32, 0
	s_and_saveexec_b64 s[34:35], s[4:5]
	s_cbranch_execz .LBB267_81
; %bb.76:                               ;   in Loop: Header=BB267_9 Depth=1
	v_lshrrev_b32_e32 v1, 24, v9
	v_cmp_ne_u32_e64 s[4:5], s42, v1
	v_bfrev_b32_e32 v32, 1
	s_and_saveexec_b64 s[36:37], s[4:5]
	s_cbranch_execz .LBB267_80
; %bb.77:                               ;   in Loop: Header=BB267_9 Depth=1
	v_and_b32_e32 v3, 0x7f, v1
	v_cmp_ne_u32_e64 s[4:5], s43, v3
	v_mov_b32_e32 v32, 0x7c010000
	s_and_saveexec_b64 s[38:39], s[4:5]
	s_cbranch_execz .LBB267_79
; %bb.78:                               ;   in Loop: Header=BB267_9 Depth=1
	v_and_b32_e32 v4, 7, v1
	v_ffbh_u32_e32 v9, v4
	v_min_u32_e32 v14, 32, v9
	v_subrev_u32_e32 v9, 28, v14
	v_lshlrev_b64 v[9:10], v9, v[1:2]
	v_lshrrev_b32_e32 v12, 3, v3
	v_sub_u32_e32 v10, 29, v14
	v_cmp_gt_u32_e64 s[4:5], 8, v3
	v_cndmask_b32_e64 v3, v12, v10, s[4:5]
	v_mov_b32_e32 v0, 0x2000
	v_lshlrev_b32_e32 v1, 8, v1
	v_lshl_add_u32 v3, v3, 10, v0
	v_and_b32_e32 v9, 7, v9
	v_and_or_b32 v1, v1, s44, v3
	v_cndmask_b32_e64 v4, v4, v9, s[4:5]
	v_lshlrev_b32_e32 v1, 16, v1
	v_lshl_or_b32 v32, v4, 23, v1
.LBB267_79:                             ;   in Loop: Header=BB267_9 Depth=1
	s_or_b64 exec, exec, s[38:39]
.LBB267_80:                             ;   in Loop: Header=BB267_9 Depth=1
	s_or_b64 exec, exec, s[36:37]
.LBB267_81:                             ;   in Loop: Header=BB267_9 Depth=1
	s_or_b64 exec, exec, s[34:35]
	global_load_dword v9, v[7:8], off offset:520
	s_waitcnt vmcnt(0)
	v_cmp_ne_u16_sdwa s[4:5], v9, v2 src0_sel:BYTE_0 src1_sel:DWORD
	s_and_saveexec_b64 s[34:35], s[4:5]
	s_cbranch_execz .LBB267_87
; %bb.82:                               ;   in Loop: Header=BB267_9 Depth=1
	v_cmp_ne_u16_sdwa s[4:5], v9, s42 src0_sel:BYTE_0 src1_sel:DWORD
	v_mov_b32_e32 v33, 0x8000
	s_and_saveexec_b64 s[36:37], s[4:5]
	s_cbranch_execz .LBB267_86
; %bb.83:                               ;   in Loop: Header=BB267_9 Depth=1
	v_and_b32_e32 v1, 0x7f, v9
	v_cmp_ne_u32_e64 s[4:5], s43, v1
	v_mov_b32_e32 v33, 0x7c01
	s_and_saveexec_b64 s[38:39], s[4:5]
	s_cbranch_execz .LBB267_85
; %bb.84:                               ;   in Loop: Header=BB267_9 Depth=1
	v_and_b32_e32 v10, 7, v9
	v_ffbh_u32_e32 v3, v10
	v_min_u32_e32 v14, 32, v3
	v_subrev_u32_e32 v3, 28, v14
	v_lshlrev_b64 v[3:4], v3, v[9:10]
	v_lshrrev_b32_e32 v12, 3, v1
	v_sub_u32_e32 v4, 29, v14
	v_cmp_gt_u32_e64 s[4:5], 8, v1
	v_cndmask_b32_e64 v1, v12, v4, s[4:5]
	v_mov_b32_e32 v0, 0x2000
	v_lshl_add_u32 v1, v1, 10, v0
	v_lshlrev_b32_e32 v4, 8, v9
	v_and_b32_e32 v3, 7, v3
	v_and_b32_e32 v1, 0xfc00, v1
	v_cndmask_b32_e64 v3, v10, v3, s[4:5]
	v_and_or_b32 v1, v4, s44, v1
	v_lshl_or_b32 v33, v3, 7, v1
.LBB267_85:                             ;   in Loop: Header=BB267_9 Depth=1
	s_or_b64 exec, exec, s[38:39]
.LBB267_86:                             ;   in Loop: Header=BB267_9 Depth=1
	s_or_b64 exec, exec, s[36:37]
.LBB267_87:                             ;   in Loop: Header=BB267_9 Depth=1
	s_or_b64 exec, exec, s[34:35]
	v_lshrrev_b16_e32 v1, 8, v9
	v_cmp_ne_u16_e64 s[4:5], 0, v1
	v_mov_b32_e32 v34, 0
	v_mov_b32_e32 v35, 0
	s_and_saveexec_b64 s[34:35], s[4:5]
	s_cbranch_execz .LBB267_93
; %bb.88:                               ;   in Loop: Header=BB267_9 Depth=1
	v_cmp_ne_u16_e64 s[4:5], s42, v1
	v_bfrev_b32_e32 v35, 1
	s_and_saveexec_b64 s[36:37], s[4:5]
	s_cbranch_execz .LBB267_92
; %bb.89:                               ;   in Loop: Header=BB267_9 Depth=1
	v_and_b32_e32 v3, 0x7f, v1
	v_cmp_ne_u32_e64 s[4:5], s43, v3
	v_mov_b32_e32 v35, 0x7c010000
	s_and_saveexec_b64 s[38:39], s[4:5]
	s_cbranch_execz .LBB267_91
; %bb.90:                               ;   in Loop: Header=BB267_9 Depth=1
	v_and_b32_e32 v4, 7, v1
	v_ffbh_u32_e32 v12, v4
	v_min_u32_e32 v12, 32, v12
	v_lshrrev_b32_e32 v10, 3, v3
	v_subrev_u32_e32 v14, 28, v12
	v_sub_u32_e32 v12, 29, v12
	v_cmp_gt_u32_e64 s[4:5], 8, v3
	v_lshlrev_b64 v[35:36], v14, v[1:2]
	v_cndmask_b32_e64 v3, v10, v12, s[4:5]
	v_mov_b32_e32 v0, 0x2000
	v_lshlrev_b32_e32 v1, 8, v1
	v_lshl_add_u32 v3, v3, 10, v0
	v_and_b32_e32 v10, 7, v35
	v_and_or_b32 v1, v1, s44, v3
	v_cndmask_b32_e64 v4, v4, v10, s[4:5]
	v_lshlrev_b32_e32 v1, 16, v1
	v_lshl_or_b32 v35, v4, 23, v1
.LBB267_91:                             ;   in Loop: Header=BB267_9 Depth=1
	s_or_b64 exec, exec, s[38:39]
.LBB267_92:                             ;   in Loop: Header=BB267_9 Depth=1
	s_or_b64 exec, exec, s[36:37]
.LBB267_93:                             ;   in Loop: Header=BB267_9 Depth=1
	s_or_b64 exec, exec, s[34:35]
	v_lshrrev_b32_e32 v1, 16, v9
	v_cmp_ne_u16_sdwa s[4:5], v1, v2 src0_sel:BYTE_0 src1_sel:DWORD
	s_and_saveexec_b64 s[34:35], s[4:5]
	s_cbranch_execz .LBB267_99
; %bb.94:                               ;   in Loop: Header=BB267_9 Depth=1
	v_cmp_ne_u16_sdwa s[4:5], v1, s42 src0_sel:BYTE_0 src1_sel:DWORD
	v_mov_b32_e32 v34, 0x8000
	s_and_saveexec_b64 s[36:37], s[4:5]
	s_cbranch_execz .LBB267_98
; %bb.95:                               ;   in Loop: Header=BB267_9 Depth=1
	v_bfe_u32 v3, v9, 16, 7
	v_cmp_ne_u32_e64 s[4:5], s43, v3
	v_mov_b32_e32 v34, 0x7c01
	s_and_saveexec_b64 s[38:39], s[4:5]
	s_cbranch_execz .LBB267_97
; %bb.96:                               ;   in Loop: Header=BB267_9 Depth=1
	v_and_b32_e32 v4, 7, v1
	v_ffbh_u32_e32 v12, v4
	v_min_u32_e32 v12, 32, v12
	v_lshrrev_b32_e32 v10, 3, v3
	v_subrev_u32_e32 v14, 28, v12
	v_sub_u32_e32 v12, 29, v12
	v_cmp_gt_u32_e64 s[4:5], 8, v3
	v_lshlrev_b64 v[36:37], v14, v[1:2]
	v_cndmask_b32_e64 v3, v10, v12, s[4:5]
	v_mov_b32_e32 v0, 0x2000
	v_lshl_add_u32 v3, v3, 10, v0
	v_lshlrev_b32_e32 v1, 8, v1
	v_and_b32_e32 v10, 7, v36
	v_and_b32_e32 v3, 0xfc00, v3
	v_cndmask_b32_e64 v4, v4, v10, s[4:5]
	v_and_or_b32 v1, v1, s44, v3
	v_lshl_or_b32 v34, v4, 7, v1
.LBB267_97:                             ;   in Loop: Header=BB267_9 Depth=1
	s_or_b64 exec, exec, s[38:39]
.LBB267_98:                             ;   in Loop: Header=BB267_9 Depth=1
	s_or_b64 exec, exec, s[36:37]
.LBB267_99:                             ;   in Loop: Header=BB267_9 Depth=1
	s_or_b64 exec, exec, s[34:35]
	v_cmp_lt_u32_e64 s[4:5], s45, v9
	v_mov_b32_e32 v37, 0
	v_mov_b32_e32 v36, 0
	s_and_saveexec_b64 s[34:35], s[4:5]
	s_cbranch_execz .LBB267_105
; %bb.100:                              ;   in Loop: Header=BB267_9 Depth=1
	v_lshrrev_b32_e32 v1, 24, v9
	v_cmp_ne_u32_e64 s[4:5], s42, v1
	v_bfrev_b32_e32 v36, 1
	s_and_saveexec_b64 s[36:37], s[4:5]
	s_cbranch_execz .LBB267_104
; %bb.101:                              ;   in Loop: Header=BB267_9 Depth=1
	v_and_b32_e32 v3, 0x7f, v1
	v_cmp_ne_u32_e64 s[4:5], s43, v3
	v_mov_b32_e32 v36, 0x7c010000
	s_and_saveexec_b64 s[38:39], s[4:5]
	s_cbranch_execz .LBB267_103
; %bb.102:                              ;   in Loop: Header=BB267_9 Depth=1
	v_and_b32_e32 v4, 7, v1
	v_ffbh_u32_e32 v9, v4
	v_min_u32_e32 v14, 32, v9
	v_subrev_u32_e32 v9, 28, v14
	v_lshlrev_b64 v[9:10], v9, v[1:2]
	v_lshrrev_b32_e32 v12, 3, v3
	v_sub_u32_e32 v10, 29, v14
	v_cmp_gt_u32_e64 s[4:5], 8, v3
	v_cndmask_b32_e64 v3, v12, v10, s[4:5]
	v_mov_b32_e32 v0, 0x2000
	v_lshlrev_b32_e32 v1, 8, v1
	v_lshl_add_u32 v3, v3, 10, v0
	v_and_b32_e32 v9, 7, v9
	v_and_or_b32 v1, v1, s44, v3
	v_cndmask_b32_e64 v4, v4, v9, s[4:5]
	v_lshlrev_b32_e32 v1, 16, v1
	v_lshl_or_b32 v36, v4, 23, v1
.LBB267_103:                            ;   in Loop: Header=BB267_9 Depth=1
	s_or_b64 exec, exec, s[38:39]
.LBB267_104:                            ;   in Loop: Header=BB267_9 Depth=1
	s_or_b64 exec, exec, s[36:37]
.LBB267_105:                            ;   in Loop: Header=BB267_9 Depth=1
	s_or_b64 exec, exec, s[34:35]
	global_load_dword v9, v[7:8], off offset:1024
	s_waitcnt vmcnt(0)
	v_cmp_ne_u16_sdwa s[4:5], v9, v2 src0_sel:BYTE_0 src1_sel:DWORD
	s_and_saveexec_b64 s[34:35], s[4:5]
	s_cbranch_execz .LBB267_111
; %bb.106:                              ;   in Loop: Header=BB267_9 Depth=1
	v_cmp_ne_u16_sdwa s[4:5], v9, s42 src0_sel:BYTE_0 src1_sel:DWORD
	v_mov_b32_e32 v37, 0x8000
	s_and_saveexec_b64 s[36:37], s[4:5]
	s_cbranch_execz .LBB267_110
; %bb.107:                              ;   in Loop: Header=BB267_9 Depth=1
	v_and_b32_e32 v1, 0x7f, v9
	v_cmp_ne_u32_e64 s[4:5], s43, v1
	v_mov_b32_e32 v37, 0x7c01
	s_and_saveexec_b64 s[38:39], s[4:5]
	s_cbranch_execz .LBB267_109
; %bb.108:                              ;   in Loop: Header=BB267_9 Depth=1
	v_and_b32_e32 v10, 7, v9
	v_ffbh_u32_e32 v3, v10
	v_min_u32_e32 v14, 32, v3
	v_subrev_u32_e32 v3, 28, v14
	v_lshlrev_b64 v[3:4], v3, v[9:10]
	v_lshrrev_b32_e32 v12, 3, v1
	v_sub_u32_e32 v4, 29, v14
	v_cmp_gt_u32_e64 s[4:5], 8, v1
	v_cndmask_b32_e64 v1, v12, v4, s[4:5]
	v_mov_b32_e32 v0, 0x2000
	v_lshl_add_u32 v1, v1, 10, v0
	v_lshlrev_b32_e32 v4, 8, v9
	v_and_b32_e32 v3, 7, v3
	v_and_b32_e32 v1, 0xfc00, v1
	v_cndmask_b32_e64 v3, v10, v3, s[4:5]
	v_and_or_b32 v1, v4, s44, v1
	v_lshl_or_b32 v37, v3, 7, v1
.LBB267_109:                            ;   in Loop: Header=BB267_9 Depth=1
	s_or_b64 exec, exec, s[38:39]
.LBB267_110:                            ;   in Loop: Header=BB267_9 Depth=1
	s_or_b64 exec, exec, s[36:37]
.LBB267_111:                            ;   in Loop: Header=BB267_9 Depth=1
	s_or_b64 exec, exec, s[34:35]
	v_lshrrev_b16_e32 v1, 8, v9
	v_cmp_ne_u16_e64 s[4:5], 0, v1
	v_mov_b32_e32 v38, 0
	v_mov_b32_e32 v39, 0
	s_and_saveexec_b64 s[34:35], s[4:5]
	s_cbranch_execz .LBB267_117
; %bb.112:                              ;   in Loop: Header=BB267_9 Depth=1
	v_cmp_ne_u16_e64 s[4:5], s42, v1
	v_bfrev_b32_e32 v39, 1
	s_and_saveexec_b64 s[36:37], s[4:5]
	s_cbranch_execz .LBB267_116
; %bb.113:                              ;   in Loop: Header=BB267_9 Depth=1
	v_and_b32_e32 v3, 0x7f, v1
	v_cmp_ne_u32_e64 s[4:5], s43, v3
	v_mov_b32_e32 v39, 0x7c010000
	s_and_saveexec_b64 s[38:39], s[4:5]
	s_cbranch_execz .LBB267_115
; %bb.114:                              ;   in Loop: Header=BB267_9 Depth=1
	v_and_b32_e32 v4, 7, v1
	v_ffbh_u32_e32 v12, v4
	v_min_u32_e32 v12, 32, v12
	v_lshrrev_b32_e32 v10, 3, v3
	v_subrev_u32_e32 v14, 28, v12
	v_sub_u32_e32 v12, 29, v12
	v_cmp_gt_u32_e64 s[4:5], 8, v3
	v_lshlrev_b64 v[39:40], v14, v[1:2]
	v_cndmask_b32_e64 v3, v10, v12, s[4:5]
	v_mov_b32_e32 v0, 0x2000
	v_lshlrev_b32_e32 v1, 8, v1
	v_lshl_add_u32 v3, v3, 10, v0
	v_and_b32_e32 v10, 7, v39
	v_and_or_b32 v1, v1, s44, v3
	v_cndmask_b32_e64 v4, v4, v10, s[4:5]
	v_lshlrev_b32_e32 v1, 16, v1
	v_lshl_or_b32 v39, v4, 23, v1
.LBB267_115:                            ;   in Loop: Header=BB267_9 Depth=1
	s_or_b64 exec, exec, s[38:39]
.LBB267_116:                            ;   in Loop: Header=BB267_9 Depth=1
	s_or_b64 exec, exec, s[36:37]
.LBB267_117:                            ;   in Loop: Header=BB267_9 Depth=1
	s_or_b64 exec, exec, s[34:35]
	v_lshrrev_b32_e32 v1, 16, v9
	v_cmp_ne_u16_sdwa s[4:5], v1, v2 src0_sel:BYTE_0 src1_sel:DWORD
	s_and_saveexec_b64 s[34:35], s[4:5]
	s_cbranch_execz .LBB267_123
; %bb.118:                              ;   in Loop: Header=BB267_9 Depth=1
	v_cmp_ne_u16_sdwa s[4:5], v1, s42 src0_sel:BYTE_0 src1_sel:DWORD
	v_mov_b32_e32 v38, 0x8000
	s_and_saveexec_b64 s[36:37], s[4:5]
	s_cbranch_execz .LBB267_122
; %bb.119:                              ;   in Loop: Header=BB267_9 Depth=1
	v_bfe_u32 v3, v9, 16, 7
	v_cmp_ne_u32_e64 s[4:5], s43, v3
	v_mov_b32_e32 v38, 0x7c01
	s_and_saveexec_b64 s[38:39], s[4:5]
	s_cbranch_execz .LBB267_121
; %bb.120:                              ;   in Loop: Header=BB267_9 Depth=1
	v_and_b32_e32 v4, 7, v1
	v_ffbh_u32_e32 v12, v4
	v_min_u32_e32 v12, 32, v12
	v_lshrrev_b32_e32 v10, 3, v3
	v_subrev_u32_e32 v14, 28, v12
	v_sub_u32_e32 v12, 29, v12
	v_cmp_gt_u32_e64 s[4:5], 8, v3
	v_lshlrev_b64 v[40:41], v14, v[1:2]
	v_cndmask_b32_e64 v3, v10, v12, s[4:5]
	v_mov_b32_e32 v0, 0x2000
	v_lshl_add_u32 v3, v3, 10, v0
	v_lshlrev_b32_e32 v1, 8, v1
	v_and_b32_e32 v10, 7, v40
	v_and_b32_e32 v3, 0xfc00, v3
	v_cndmask_b32_e64 v4, v4, v10, s[4:5]
	v_and_or_b32 v1, v1, s44, v3
	v_lshl_or_b32 v38, v4, 7, v1
.LBB267_121:                            ;   in Loop: Header=BB267_9 Depth=1
	s_or_b64 exec, exec, s[38:39]
.LBB267_122:                            ;   in Loop: Header=BB267_9 Depth=1
	s_or_b64 exec, exec, s[36:37]
.LBB267_123:                            ;   in Loop: Header=BB267_9 Depth=1
	s_or_b64 exec, exec, s[34:35]
	v_cmp_lt_u32_e64 s[4:5], s45, v9
	v_mov_b32_e32 v41, 0
	v_mov_b32_e32 v40, 0
	s_and_saveexec_b64 s[34:35], s[4:5]
	s_cbranch_execz .LBB267_129
; %bb.124:                              ;   in Loop: Header=BB267_9 Depth=1
	v_lshrrev_b32_e32 v1, 24, v9
	v_cmp_ne_u32_e64 s[4:5], s42, v1
	v_bfrev_b32_e32 v40, 1
	s_and_saveexec_b64 s[36:37], s[4:5]
	s_cbranch_execz .LBB267_128
; %bb.125:                              ;   in Loop: Header=BB267_9 Depth=1
	v_and_b32_e32 v3, 0x7f, v1
	v_cmp_ne_u32_e64 s[4:5], s43, v3
	v_mov_b32_e32 v40, 0x7c010000
	s_and_saveexec_b64 s[38:39], s[4:5]
	s_cbranch_execz .LBB267_127
; %bb.126:                              ;   in Loop: Header=BB267_9 Depth=1
	v_and_b32_e32 v4, 7, v1
	v_ffbh_u32_e32 v9, v4
	v_min_u32_e32 v14, 32, v9
	v_subrev_u32_e32 v9, 28, v14
	v_lshlrev_b64 v[9:10], v9, v[1:2]
	v_lshrrev_b32_e32 v12, 3, v3
	v_sub_u32_e32 v10, 29, v14
	v_cmp_gt_u32_e64 s[4:5], 8, v3
	v_cndmask_b32_e64 v3, v12, v10, s[4:5]
	v_mov_b32_e32 v0, 0x2000
	v_lshlrev_b32_e32 v1, 8, v1
	v_lshl_add_u32 v3, v3, 10, v0
	v_and_b32_e32 v9, 7, v9
	v_and_or_b32 v1, v1, s44, v3
	v_cndmask_b32_e64 v4, v4, v9, s[4:5]
	v_lshlrev_b32_e32 v1, 16, v1
	v_lshl_or_b32 v40, v4, 23, v1
.LBB267_127:                            ;   in Loop: Header=BB267_9 Depth=1
	s_or_b64 exec, exec, s[38:39]
.LBB267_128:                            ;   in Loop: Header=BB267_9 Depth=1
	s_or_b64 exec, exec, s[36:37]
.LBB267_129:                            ;   in Loop: Header=BB267_9 Depth=1
	s_or_b64 exec, exec, s[34:35]
	global_load_dword v9, v[7:8], off offset:1032
	s_waitcnt vmcnt(0)
	v_cmp_ne_u16_sdwa s[4:5], v9, v2 src0_sel:BYTE_0 src1_sel:DWORD
	s_and_saveexec_b64 s[34:35], s[4:5]
	s_cbranch_execz .LBB267_135
; %bb.130:                              ;   in Loop: Header=BB267_9 Depth=1
	v_cmp_ne_u16_sdwa s[4:5], v9, s42 src0_sel:BYTE_0 src1_sel:DWORD
	v_mov_b32_e32 v41, 0x8000
	s_and_saveexec_b64 s[36:37], s[4:5]
	s_cbranch_execz .LBB267_134
; %bb.131:                              ;   in Loop: Header=BB267_9 Depth=1
	v_and_b32_e32 v1, 0x7f, v9
	v_cmp_ne_u32_e64 s[4:5], s43, v1
	v_mov_b32_e32 v41, 0x7c01
	s_and_saveexec_b64 s[38:39], s[4:5]
	s_cbranch_execz .LBB267_133
; %bb.132:                              ;   in Loop: Header=BB267_9 Depth=1
	v_and_b32_e32 v10, 7, v9
	v_ffbh_u32_e32 v3, v10
	v_min_u32_e32 v14, 32, v3
	v_subrev_u32_e32 v3, 28, v14
	v_lshlrev_b64 v[3:4], v3, v[9:10]
	v_lshrrev_b32_e32 v12, 3, v1
	v_sub_u32_e32 v4, 29, v14
	v_cmp_gt_u32_e64 s[4:5], 8, v1
	v_cndmask_b32_e64 v1, v12, v4, s[4:5]
	v_mov_b32_e32 v0, 0x2000
	v_lshl_add_u32 v1, v1, 10, v0
	v_lshlrev_b32_e32 v4, 8, v9
	v_and_b32_e32 v3, 7, v3
	v_and_b32_e32 v1, 0xfc00, v1
	v_cndmask_b32_e64 v3, v10, v3, s[4:5]
	v_and_or_b32 v1, v4, s44, v1
	v_lshl_or_b32 v41, v3, 7, v1
.LBB267_133:                            ;   in Loop: Header=BB267_9 Depth=1
	s_or_b64 exec, exec, s[38:39]
.LBB267_134:                            ;   in Loop: Header=BB267_9 Depth=1
	s_or_b64 exec, exec, s[36:37]
.LBB267_135:                            ;   in Loop: Header=BB267_9 Depth=1
	s_or_b64 exec, exec, s[34:35]
	v_lshrrev_b16_e32 v1, 8, v9
	v_cmp_ne_u16_e64 s[4:5], 0, v1
	v_mov_b32_e32 v42, 0
	v_mov_b32_e32 v43, 0
	s_and_saveexec_b64 s[34:35], s[4:5]
	s_cbranch_execz .LBB267_141
; %bb.136:                              ;   in Loop: Header=BB267_9 Depth=1
	v_cmp_ne_u16_e64 s[4:5], s42, v1
	v_bfrev_b32_e32 v43, 1
	s_and_saveexec_b64 s[36:37], s[4:5]
	s_cbranch_execz .LBB267_140
; %bb.137:                              ;   in Loop: Header=BB267_9 Depth=1
	v_and_b32_e32 v3, 0x7f, v1
	v_cmp_ne_u32_e64 s[4:5], s43, v3
	v_mov_b32_e32 v43, 0x7c010000
	s_and_saveexec_b64 s[38:39], s[4:5]
	s_cbranch_execz .LBB267_139
; %bb.138:                              ;   in Loop: Header=BB267_9 Depth=1
	v_and_b32_e32 v4, 7, v1
	v_ffbh_u32_e32 v12, v4
	v_min_u32_e32 v12, 32, v12
	v_lshrrev_b32_e32 v10, 3, v3
	v_subrev_u32_e32 v14, 28, v12
	v_sub_u32_e32 v12, 29, v12
	v_cmp_gt_u32_e64 s[4:5], 8, v3
	v_lshlrev_b64 v[43:44], v14, v[1:2]
	v_cndmask_b32_e64 v3, v10, v12, s[4:5]
	v_mov_b32_e32 v0, 0x2000
	v_lshlrev_b32_e32 v1, 8, v1
	v_lshl_add_u32 v3, v3, 10, v0
	v_and_b32_e32 v10, 7, v43
	v_and_or_b32 v1, v1, s44, v3
	v_cndmask_b32_e64 v4, v4, v10, s[4:5]
	v_lshlrev_b32_e32 v1, 16, v1
	v_lshl_or_b32 v43, v4, 23, v1
.LBB267_139:                            ;   in Loop: Header=BB267_9 Depth=1
	s_or_b64 exec, exec, s[38:39]
.LBB267_140:                            ;   in Loop: Header=BB267_9 Depth=1
	s_or_b64 exec, exec, s[36:37]
.LBB267_141:                            ;   in Loop: Header=BB267_9 Depth=1
	s_or_b64 exec, exec, s[34:35]
	v_lshrrev_b32_e32 v1, 16, v9
	v_cmp_ne_u16_sdwa s[4:5], v1, v2 src0_sel:BYTE_0 src1_sel:DWORD
	s_and_saveexec_b64 s[34:35], s[4:5]
	s_cbranch_execz .LBB267_147
; %bb.142:                              ;   in Loop: Header=BB267_9 Depth=1
	v_cmp_ne_u16_sdwa s[4:5], v1, s42 src0_sel:BYTE_0 src1_sel:DWORD
	v_mov_b32_e32 v42, 0x8000
	s_and_saveexec_b64 s[36:37], s[4:5]
	s_cbranch_execz .LBB267_146
; %bb.143:                              ;   in Loop: Header=BB267_9 Depth=1
	v_bfe_u32 v3, v9, 16, 7
	v_cmp_ne_u32_e64 s[4:5], s43, v3
	v_mov_b32_e32 v42, 0x7c01
	s_and_saveexec_b64 s[38:39], s[4:5]
	s_cbranch_execz .LBB267_145
; %bb.144:                              ;   in Loop: Header=BB267_9 Depth=1
	v_and_b32_e32 v4, 7, v1
	v_ffbh_u32_e32 v12, v4
	v_min_u32_e32 v12, 32, v12
	v_lshrrev_b32_e32 v10, 3, v3
	v_subrev_u32_e32 v14, 28, v12
	v_sub_u32_e32 v12, 29, v12
	v_cmp_gt_u32_e64 s[4:5], 8, v3
	v_lshlrev_b64 v[44:45], v14, v[1:2]
	v_cndmask_b32_e64 v3, v10, v12, s[4:5]
	v_mov_b32_e32 v0, 0x2000
	v_lshl_add_u32 v3, v3, 10, v0
	v_lshlrev_b32_e32 v1, 8, v1
	v_and_b32_e32 v10, 7, v44
	v_and_b32_e32 v3, 0xfc00, v3
	v_cndmask_b32_e64 v4, v4, v10, s[4:5]
	v_and_or_b32 v1, v1, s44, v3
	v_lshl_or_b32 v42, v4, 7, v1
.LBB267_145:                            ;   in Loop: Header=BB267_9 Depth=1
	s_or_b64 exec, exec, s[38:39]
.LBB267_146:                            ;   in Loop: Header=BB267_9 Depth=1
	s_or_b64 exec, exec, s[36:37]
.LBB267_147:                            ;   in Loop: Header=BB267_9 Depth=1
	s_or_b64 exec, exec, s[34:35]
	v_cmp_lt_u32_e64 s[4:5], s45, v9
	v_mov_b32_e32 v45, 0
	v_mov_b32_e32 v44, 0
	s_and_saveexec_b64 s[34:35], s[4:5]
	s_cbranch_execz .LBB267_153
; %bb.148:                              ;   in Loop: Header=BB267_9 Depth=1
	v_lshrrev_b32_e32 v1, 24, v9
	v_cmp_ne_u32_e64 s[4:5], s42, v1
	v_bfrev_b32_e32 v44, 1
	s_and_saveexec_b64 s[36:37], s[4:5]
	s_cbranch_execz .LBB267_152
; %bb.149:                              ;   in Loop: Header=BB267_9 Depth=1
	v_and_b32_e32 v3, 0x7f, v1
	v_cmp_ne_u32_e64 s[4:5], s43, v3
	v_mov_b32_e32 v44, 0x7c010000
	s_and_saveexec_b64 s[38:39], s[4:5]
	s_cbranch_execz .LBB267_151
; %bb.150:                              ;   in Loop: Header=BB267_9 Depth=1
	v_and_b32_e32 v4, 7, v1
	v_ffbh_u32_e32 v9, v4
	v_min_u32_e32 v14, 32, v9
	v_subrev_u32_e32 v9, 28, v14
	v_lshlrev_b64 v[9:10], v9, v[1:2]
	v_lshrrev_b32_e32 v12, 3, v3
	v_sub_u32_e32 v10, 29, v14
	v_cmp_gt_u32_e64 s[4:5], 8, v3
	v_cndmask_b32_e64 v3, v12, v10, s[4:5]
	v_mov_b32_e32 v0, 0x2000
	v_lshlrev_b32_e32 v1, 8, v1
	v_lshl_add_u32 v3, v3, 10, v0
	v_and_b32_e32 v9, 7, v9
	v_and_or_b32 v1, v1, s44, v3
	v_cndmask_b32_e64 v4, v4, v9, s[4:5]
	v_lshlrev_b32_e32 v1, 16, v1
	v_lshl_or_b32 v44, v4, 23, v1
.LBB267_151:                            ;   in Loop: Header=BB267_9 Depth=1
	s_or_b64 exec, exec, s[38:39]
.LBB267_152:                            ;   in Loop: Header=BB267_9 Depth=1
	s_or_b64 exec, exec, s[36:37]
.LBB267_153:                            ;   in Loop: Header=BB267_9 Depth=1
	s_or_b64 exec, exec, s[34:35]
	global_load_dword v9, v[7:8], off offset:1536
	s_waitcnt vmcnt(0)
	v_cmp_ne_u16_sdwa s[4:5], v9, v2 src0_sel:BYTE_0 src1_sel:DWORD
	s_and_saveexec_b64 s[34:35], s[4:5]
	s_cbranch_execz .LBB267_159
; %bb.154:                              ;   in Loop: Header=BB267_9 Depth=1
	v_cmp_ne_u16_sdwa s[4:5], v9, s42 src0_sel:BYTE_0 src1_sel:DWORD
	v_mov_b32_e32 v45, 0x8000
	s_and_saveexec_b64 s[36:37], s[4:5]
	s_cbranch_execz .LBB267_158
; %bb.155:                              ;   in Loop: Header=BB267_9 Depth=1
	v_and_b32_e32 v1, 0x7f, v9
	v_cmp_ne_u32_e64 s[4:5], s43, v1
	v_mov_b32_e32 v45, 0x7c01
	s_and_saveexec_b64 s[38:39], s[4:5]
	s_cbranch_execz .LBB267_157
; %bb.156:                              ;   in Loop: Header=BB267_9 Depth=1
	v_and_b32_e32 v10, 7, v9
	v_ffbh_u32_e32 v3, v10
	v_min_u32_e32 v14, 32, v3
	v_subrev_u32_e32 v3, 28, v14
	v_lshlrev_b64 v[3:4], v3, v[9:10]
	v_lshrrev_b32_e32 v12, 3, v1
	v_sub_u32_e32 v4, 29, v14
	v_cmp_gt_u32_e64 s[4:5], 8, v1
	v_cndmask_b32_e64 v1, v12, v4, s[4:5]
	v_mov_b32_e32 v0, 0x2000
	v_lshl_add_u32 v1, v1, 10, v0
	v_lshlrev_b32_e32 v4, 8, v9
	v_and_b32_e32 v3, 7, v3
	v_and_b32_e32 v1, 0xfc00, v1
	v_cndmask_b32_e64 v3, v10, v3, s[4:5]
	v_and_or_b32 v1, v4, s44, v1
	v_lshl_or_b32 v45, v3, 7, v1
.LBB267_157:                            ;   in Loop: Header=BB267_9 Depth=1
	s_or_b64 exec, exec, s[38:39]
.LBB267_158:                            ;   in Loop: Header=BB267_9 Depth=1
	s_or_b64 exec, exec, s[36:37]
.LBB267_159:                            ;   in Loop: Header=BB267_9 Depth=1
	s_or_b64 exec, exec, s[34:35]
	v_lshrrev_b16_e32 v1, 8, v9
	v_cmp_ne_u16_e64 s[4:5], 0, v1
	v_mov_b32_e32 v46, 0
	v_mov_b32_e32 v47, 0
	s_and_saveexec_b64 s[34:35], s[4:5]
	s_cbranch_execz .LBB267_165
; %bb.160:                              ;   in Loop: Header=BB267_9 Depth=1
	v_cmp_ne_u16_e64 s[4:5], s42, v1
	v_bfrev_b32_e32 v47, 1
	s_and_saveexec_b64 s[36:37], s[4:5]
	s_cbranch_execz .LBB267_164
; %bb.161:                              ;   in Loop: Header=BB267_9 Depth=1
	v_and_b32_e32 v3, 0x7f, v1
	v_cmp_ne_u32_e64 s[4:5], s43, v3
	v_mov_b32_e32 v47, 0x7c010000
	s_and_saveexec_b64 s[38:39], s[4:5]
	s_cbranch_execz .LBB267_163
; %bb.162:                              ;   in Loop: Header=BB267_9 Depth=1
	v_and_b32_e32 v4, 7, v1
	v_ffbh_u32_e32 v12, v4
	v_min_u32_e32 v12, 32, v12
	v_lshrrev_b32_e32 v10, 3, v3
	v_subrev_u32_e32 v14, 28, v12
	v_sub_u32_e32 v12, 29, v12
	v_cmp_gt_u32_e64 s[4:5], 8, v3
	v_lshlrev_b64 v[47:48], v14, v[1:2]
	v_cndmask_b32_e64 v3, v10, v12, s[4:5]
	v_mov_b32_e32 v0, 0x2000
	v_lshlrev_b32_e32 v1, 8, v1
	v_lshl_add_u32 v3, v3, 10, v0
	v_and_b32_e32 v10, 7, v47
	v_and_or_b32 v1, v1, s44, v3
	v_cndmask_b32_e64 v4, v4, v10, s[4:5]
	v_lshlrev_b32_e32 v1, 16, v1
	v_lshl_or_b32 v47, v4, 23, v1
.LBB267_163:                            ;   in Loop: Header=BB267_9 Depth=1
	s_or_b64 exec, exec, s[38:39]
.LBB267_164:                            ;   in Loop: Header=BB267_9 Depth=1
	s_or_b64 exec, exec, s[36:37]
.LBB267_165:                            ;   in Loop: Header=BB267_9 Depth=1
	s_or_b64 exec, exec, s[34:35]
	v_lshrrev_b32_e32 v1, 16, v9
	v_cmp_ne_u16_sdwa s[4:5], v1, v2 src0_sel:BYTE_0 src1_sel:DWORD
	s_and_saveexec_b64 s[34:35], s[4:5]
	s_cbranch_execz .LBB267_171
; %bb.166:                              ;   in Loop: Header=BB267_9 Depth=1
	v_cmp_ne_u16_sdwa s[4:5], v1, s42 src0_sel:BYTE_0 src1_sel:DWORD
	v_mov_b32_e32 v46, 0x8000
	s_and_saveexec_b64 s[36:37], s[4:5]
	s_cbranch_execz .LBB267_170
; %bb.167:                              ;   in Loop: Header=BB267_9 Depth=1
	v_bfe_u32 v3, v9, 16, 7
	v_cmp_ne_u32_e64 s[4:5], s43, v3
	v_mov_b32_e32 v46, 0x7c01
	s_and_saveexec_b64 s[38:39], s[4:5]
	s_cbranch_execz .LBB267_169
; %bb.168:                              ;   in Loop: Header=BB267_9 Depth=1
	v_and_b32_e32 v4, 7, v1
	v_ffbh_u32_e32 v12, v4
	v_min_u32_e32 v12, 32, v12
	v_lshrrev_b32_e32 v10, 3, v3
	v_subrev_u32_e32 v14, 28, v12
	v_sub_u32_e32 v12, 29, v12
	v_cmp_gt_u32_e64 s[4:5], 8, v3
	v_lshlrev_b64 v[48:49], v14, v[1:2]
	v_cndmask_b32_e64 v3, v10, v12, s[4:5]
	v_mov_b32_e32 v0, 0x2000
	v_lshl_add_u32 v3, v3, 10, v0
	v_lshlrev_b32_e32 v1, 8, v1
	v_and_b32_e32 v10, 7, v48
	v_and_b32_e32 v3, 0xfc00, v3
	v_cndmask_b32_e64 v4, v4, v10, s[4:5]
	v_and_or_b32 v1, v1, s44, v3
	v_lshl_or_b32 v46, v4, 7, v1
.LBB267_169:                            ;   in Loop: Header=BB267_9 Depth=1
	s_or_b64 exec, exec, s[38:39]
.LBB267_170:                            ;   in Loop: Header=BB267_9 Depth=1
	s_or_b64 exec, exec, s[36:37]
.LBB267_171:                            ;   in Loop: Header=BB267_9 Depth=1
	s_or_b64 exec, exec, s[34:35]
	v_cmp_lt_u32_e64 s[4:5], s45, v9
	v_mov_b32_e32 v49, 0
	v_mov_b32_e32 v48, 0
	s_and_saveexec_b64 s[34:35], s[4:5]
	s_cbranch_execz .LBB267_177
; %bb.172:                              ;   in Loop: Header=BB267_9 Depth=1
	v_lshrrev_b32_e32 v1, 24, v9
	v_cmp_ne_u32_e64 s[4:5], s42, v1
	v_bfrev_b32_e32 v48, 1
	s_and_saveexec_b64 s[36:37], s[4:5]
	s_cbranch_execz .LBB267_176
; %bb.173:                              ;   in Loop: Header=BB267_9 Depth=1
	v_and_b32_e32 v3, 0x7f, v1
	v_cmp_ne_u32_e64 s[4:5], s43, v3
	v_mov_b32_e32 v48, 0x7c010000
	s_and_saveexec_b64 s[38:39], s[4:5]
	s_cbranch_execz .LBB267_175
; %bb.174:                              ;   in Loop: Header=BB267_9 Depth=1
	v_and_b32_e32 v4, 7, v1
	v_ffbh_u32_e32 v9, v4
	v_min_u32_e32 v14, 32, v9
	v_subrev_u32_e32 v9, 28, v14
	v_lshlrev_b64 v[9:10], v9, v[1:2]
	v_lshrrev_b32_e32 v12, 3, v3
	v_sub_u32_e32 v10, 29, v14
	v_cmp_gt_u32_e64 s[4:5], 8, v3
	v_cndmask_b32_e64 v3, v12, v10, s[4:5]
	v_mov_b32_e32 v0, 0x2000
	v_lshlrev_b32_e32 v1, 8, v1
	v_lshl_add_u32 v3, v3, 10, v0
	v_and_b32_e32 v9, 7, v9
	v_and_or_b32 v1, v1, s44, v3
	v_cndmask_b32_e64 v4, v4, v9, s[4:5]
	v_lshlrev_b32_e32 v1, 16, v1
	v_lshl_or_b32 v48, v4, 23, v1
.LBB267_175:                            ;   in Loop: Header=BB267_9 Depth=1
	s_or_b64 exec, exec, s[38:39]
.LBB267_176:                            ;   in Loop: Header=BB267_9 Depth=1
	s_or_b64 exec, exec, s[36:37]
.LBB267_177:                            ;   in Loop: Header=BB267_9 Depth=1
	s_or_b64 exec, exec, s[34:35]
	global_load_dword v9, v[7:8], off offset:1544
	s_waitcnt vmcnt(0)
	v_cmp_ne_u16_sdwa s[4:5], v9, v2 src0_sel:BYTE_0 src1_sel:DWORD
	s_and_saveexec_b64 s[34:35], s[4:5]
	s_cbranch_execz .LBB267_183
; %bb.178:                              ;   in Loop: Header=BB267_9 Depth=1
	v_cmp_ne_u16_sdwa s[4:5], v9, s42 src0_sel:BYTE_0 src1_sel:DWORD
	v_mov_b32_e32 v49, 0x8000
	s_and_saveexec_b64 s[36:37], s[4:5]
	s_cbranch_execz .LBB267_182
; %bb.179:                              ;   in Loop: Header=BB267_9 Depth=1
	v_and_b32_e32 v1, 0x7f, v9
	v_cmp_ne_u32_e64 s[4:5], s43, v1
	v_mov_b32_e32 v49, 0x7c01
	s_and_saveexec_b64 s[38:39], s[4:5]
	s_cbranch_execz .LBB267_181
; %bb.180:                              ;   in Loop: Header=BB267_9 Depth=1
	v_and_b32_e32 v10, 7, v9
	v_ffbh_u32_e32 v3, v10
	v_min_u32_e32 v14, 32, v3
	v_subrev_u32_e32 v3, 28, v14
	v_lshlrev_b64 v[3:4], v3, v[9:10]
	v_lshrrev_b32_e32 v12, 3, v1
	v_sub_u32_e32 v4, 29, v14
	v_cmp_gt_u32_e64 s[4:5], 8, v1
	v_cndmask_b32_e64 v1, v12, v4, s[4:5]
	v_mov_b32_e32 v0, 0x2000
	v_lshl_add_u32 v1, v1, 10, v0
	v_lshlrev_b32_e32 v4, 8, v9
	v_and_b32_e32 v3, 7, v3
	v_and_b32_e32 v1, 0xfc00, v1
	v_cndmask_b32_e64 v3, v10, v3, s[4:5]
	v_and_or_b32 v1, v4, s44, v1
	v_lshl_or_b32 v49, v3, 7, v1
.LBB267_181:                            ;   in Loop: Header=BB267_9 Depth=1
	s_or_b64 exec, exec, s[38:39]
.LBB267_182:                            ;   in Loop: Header=BB267_9 Depth=1
	s_or_b64 exec, exec, s[36:37]
.LBB267_183:                            ;   in Loop: Header=BB267_9 Depth=1
	s_or_b64 exec, exec, s[34:35]
	v_lshrrev_b16_e32 v1, 8, v9
	v_cmp_ne_u16_e64 s[4:5], 0, v1
	v_mov_b32_e32 v50, 0
	v_mov_b32_e32 v51, 0
	s_and_saveexec_b64 s[34:35], s[4:5]
	s_cbranch_execz .LBB267_189
; %bb.184:                              ;   in Loop: Header=BB267_9 Depth=1
	v_cmp_ne_u16_e64 s[4:5], s42, v1
	v_bfrev_b32_e32 v51, 1
	s_and_saveexec_b64 s[36:37], s[4:5]
	s_cbranch_execz .LBB267_188
; %bb.185:                              ;   in Loop: Header=BB267_9 Depth=1
	v_and_b32_e32 v3, 0x7f, v1
	v_cmp_ne_u32_e64 s[4:5], s43, v3
	v_mov_b32_e32 v51, 0x7c010000
	s_and_saveexec_b64 s[38:39], s[4:5]
	s_cbranch_execz .LBB267_187
; %bb.186:                              ;   in Loop: Header=BB267_9 Depth=1
	v_and_b32_e32 v4, 7, v1
	v_ffbh_u32_e32 v12, v4
	v_min_u32_e32 v12, 32, v12
	v_lshrrev_b32_e32 v10, 3, v3
	v_subrev_u32_e32 v14, 28, v12
	v_sub_u32_e32 v12, 29, v12
	v_cmp_gt_u32_e64 s[4:5], 8, v3
	v_lshlrev_b64 v[51:52], v14, v[1:2]
	v_cndmask_b32_e64 v3, v10, v12, s[4:5]
	v_mov_b32_e32 v0, 0x2000
	v_lshlrev_b32_e32 v1, 8, v1
	v_lshl_add_u32 v3, v3, 10, v0
	v_and_b32_e32 v10, 7, v51
	v_and_or_b32 v1, v1, s44, v3
	v_cndmask_b32_e64 v4, v4, v10, s[4:5]
	v_lshlrev_b32_e32 v1, 16, v1
	v_lshl_or_b32 v51, v4, 23, v1
.LBB267_187:                            ;   in Loop: Header=BB267_9 Depth=1
	s_or_b64 exec, exec, s[38:39]
.LBB267_188:                            ;   in Loop: Header=BB267_9 Depth=1
	s_or_b64 exec, exec, s[36:37]
.LBB267_189:                            ;   in Loop: Header=BB267_9 Depth=1
	s_or_b64 exec, exec, s[34:35]
	v_lshrrev_b32_e32 v1, 16, v9
	v_cmp_ne_u16_sdwa s[4:5], v1, v2 src0_sel:BYTE_0 src1_sel:DWORD
	s_and_saveexec_b64 s[34:35], s[4:5]
	s_cbranch_execz .LBB267_195
; %bb.190:                              ;   in Loop: Header=BB267_9 Depth=1
	v_cmp_ne_u16_sdwa s[4:5], v1, s42 src0_sel:BYTE_0 src1_sel:DWORD
	v_mov_b32_e32 v50, 0x8000
	s_and_saveexec_b64 s[36:37], s[4:5]
	s_cbranch_execz .LBB267_194
; %bb.191:                              ;   in Loop: Header=BB267_9 Depth=1
	v_bfe_u32 v3, v9, 16, 7
	v_cmp_ne_u32_e64 s[4:5], s43, v3
	v_mov_b32_e32 v50, 0x7c01
	s_and_saveexec_b64 s[38:39], s[4:5]
	s_cbranch_execz .LBB267_193
; %bb.192:                              ;   in Loop: Header=BB267_9 Depth=1
	v_and_b32_e32 v4, 7, v1
	v_ffbh_u32_e32 v12, v4
	v_min_u32_e32 v12, 32, v12
	v_lshrrev_b32_e32 v10, 3, v3
	v_subrev_u32_e32 v14, 28, v12
	v_sub_u32_e32 v12, 29, v12
	v_cmp_gt_u32_e64 s[4:5], 8, v3
	v_lshlrev_b64 v[52:53], v14, v[1:2]
	v_cndmask_b32_e64 v3, v10, v12, s[4:5]
	v_mov_b32_e32 v0, 0x2000
	v_lshl_add_u32 v3, v3, 10, v0
	v_lshlrev_b32_e32 v1, 8, v1
	v_and_b32_e32 v10, 7, v52
	v_and_b32_e32 v3, 0xfc00, v3
	v_cndmask_b32_e64 v4, v4, v10, s[4:5]
	v_and_or_b32 v1, v1, s44, v3
	v_lshl_or_b32 v50, v4, 7, v1
.LBB267_193:                            ;   in Loop: Header=BB267_9 Depth=1
	s_or_b64 exec, exec, s[38:39]
.LBB267_194:                            ;   in Loop: Header=BB267_9 Depth=1
	s_or_b64 exec, exec, s[36:37]
.LBB267_195:                            ;   in Loop: Header=BB267_9 Depth=1
	s_or_b64 exec, exec, s[34:35]
	v_cmp_lt_u32_e64 s[4:5], s45, v9
	v_mov_b32_e32 v53, 0
	v_mov_b32_e32 v52, 0
	s_and_saveexec_b64 s[34:35], s[4:5]
	s_cbranch_execz .LBB267_201
; %bb.196:                              ;   in Loop: Header=BB267_9 Depth=1
	v_lshrrev_b32_e32 v1, 24, v9
	v_cmp_ne_u32_e64 s[4:5], s42, v1
	v_bfrev_b32_e32 v52, 1
	s_and_saveexec_b64 s[36:37], s[4:5]
	s_cbranch_execz .LBB267_200
; %bb.197:                              ;   in Loop: Header=BB267_9 Depth=1
	v_and_b32_e32 v3, 0x7f, v1
	v_cmp_ne_u32_e64 s[4:5], s43, v3
	v_mov_b32_e32 v52, 0x7c010000
	s_and_saveexec_b64 s[38:39], s[4:5]
	s_cbranch_execz .LBB267_199
; %bb.198:                              ;   in Loop: Header=BB267_9 Depth=1
	v_and_b32_e32 v4, 7, v1
	v_ffbh_u32_e32 v9, v4
	v_min_u32_e32 v14, 32, v9
	v_subrev_u32_e32 v9, 28, v14
	v_lshlrev_b64 v[9:10], v9, v[1:2]
	v_lshrrev_b32_e32 v12, 3, v3
	v_sub_u32_e32 v10, 29, v14
	v_cmp_gt_u32_e64 s[4:5], 8, v3
	v_cndmask_b32_e64 v3, v12, v10, s[4:5]
	v_mov_b32_e32 v0, 0x2000
	v_lshlrev_b32_e32 v1, 8, v1
	v_lshl_add_u32 v3, v3, 10, v0
	v_and_b32_e32 v9, 7, v9
	v_and_or_b32 v1, v1, s44, v3
	v_cndmask_b32_e64 v4, v4, v9, s[4:5]
	v_lshlrev_b32_e32 v1, 16, v1
	v_lshl_or_b32 v52, v4, 23, v1
.LBB267_199:                            ;   in Loop: Header=BB267_9 Depth=1
	s_or_b64 exec, exec, s[38:39]
.LBB267_200:                            ;   in Loop: Header=BB267_9 Depth=1
	s_or_b64 exec, exec, s[36:37]
.LBB267_201:                            ;   in Loop: Header=BB267_9 Depth=1
	s_or_b64 exec, exec, s[34:35]
	global_load_dword v9, v[7:8], off offset:2048
	s_waitcnt vmcnt(0)
	v_cmp_ne_u16_sdwa s[4:5], v9, v2 src0_sel:BYTE_0 src1_sel:DWORD
	s_and_saveexec_b64 s[34:35], s[4:5]
	s_cbranch_execz .LBB267_207
; %bb.202:                              ;   in Loop: Header=BB267_9 Depth=1
	v_cmp_ne_u16_sdwa s[4:5], v9, s42 src0_sel:BYTE_0 src1_sel:DWORD
	v_mov_b32_e32 v53, 0x8000
	s_and_saveexec_b64 s[36:37], s[4:5]
	s_cbranch_execz .LBB267_206
; %bb.203:                              ;   in Loop: Header=BB267_9 Depth=1
	v_and_b32_e32 v1, 0x7f, v9
	v_cmp_ne_u32_e64 s[4:5], s43, v1
	v_mov_b32_e32 v53, 0x7c01
	s_and_saveexec_b64 s[38:39], s[4:5]
	s_cbranch_execz .LBB267_205
; %bb.204:                              ;   in Loop: Header=BB267_9 Depth=1
	v_and_b32_e32 v10, 7, v9
	v_ffbh_u32_e32 v3, v10
	v_min_u32_e32 v14, 32, v3
	v_subrev_u32_e32 v3, 28, v14
	v_lshlrev_b64 v[3:4], v3, v[9:10]
	v_lshrrev_b32_e32 v12, 3, v1
	v_sub_u32_e32 v4, 29, v14
	v_cmp_gt_u32_e64 s[4:5], 8, v1
	v_cndmask_b32_e64 v1, v12, v4, s[4:5]
	v_mov_b32_e32 v0, 0x2000
	v_lshl_add_u32 v1, v1, 10, v0
	v_lshlrev_b32_e32 v4, 8, v9
	v_and_b32_e32 v3, 7, v3
	v_and_b32_e32 v1, 0xfc00, v1
	v_cndmask_b32_e64 v3, v10, v3, s[4:5]
	v_and_or_b32 v1, v4, s44, v1
	v_lshl_or_b32 v53, v3, 7, v1
.LBB267_205:                            ;   in Loop: Header=BB267_9 Depth=1
	s_or_b64 exec, exec, s[38:39]
.LBB267_206:                            ;   in Loop: Header=BB267_9 Depth=1
	s_or_b64 exec, exec, s[36:37]
.LBB267_207:                            ;   in Loop: Header=BB267_9 Depth=1
	s_or_b64 exec, exec, s[34:35]
	v_lshrrev_b16_e32 v1, 8, v9
	v_cmp_ne_u16_e64 s[4:5], 0, v1
	v_mov_b32_e32 v54, 0
	v_mov_b32_e32 v55, 0
	s_and_saveexec_b64 s[34:35], s[4:5]
	s_cbranch_execz .LBB267_213
; %bb.208:                              ;   in Loop: Header=BB267_9 Depth=1
	v_cmp_ne_u16_e64 s[4:5], s42, v1
	v_bfrev_b32_e32 v55, 1
	s_and_saveexec_b64 s[36:37], s[4:5]
	s_cbranch_execz .LBB267_212
; %bb.209:                              ;   in Loop: Header=BB267_9 Depth=1
	v_and_b32_e32 v3, 0x7f, v1
	v_cmp_ne_u32_e64 s[4:5], s43, v3
	v_mov_b32_e32 v55, 0x7c010000
	s_and_saveexec_b64 s[38:39], s[4:5]
	s_cbranch_execz .LBB267_211
; %bb.210:                              ;   in Loop: Header=BB267_9 Depth=1
	v_and_b32_e32 v4, 7, v1
	v_ffbh_u32_e32 v12, v4
	v_min_u32_e32 v12, 32, v12
	v_lshrrev_b32_e32 v10, 3, v3
	v_subrev_u32_e32 v14, 28, v12
	v_sub_u32_e32 v12, 29, v12
	v_cmp_gt_u32_e64 s[4:5], 8, v3
	v_lshlrev_b64 v[55:56], v14, v[1:2]
	v_cndmask_b32_e64 v3, v10, v12, s[4:5]
	v_mov_b32_e32 v0, 0x2000
	v_lshlrev_b32_e32 v1, 8, v1
	v_lshl_add_u32 v3, v3, 10, v0
	v_and_b32_e32 v10, 7, v55
	v_and_or_b32 v1, v1, s44, v3
	v_cndmask_b32_e64 v4, v4, v10, s[4:5]
	v_lshlrev_b32_e32 v1, 16, v1
	v_lshl_or_b32 v55, v4, 23, v1
.LBB267_211:                            ;   in Loop: Header=BB267_9 Depth=1
	s_or_b64 exec, exec, s[38:39]
.LBB267_212:                            ;   in Loop: Header=BB267_9 Depth=1
	s_or_b64 exec, exec, s[36:37]
.LBB267_213:                            ;   in Loop: Header=BB267_9 Depth=1
	s_or_b64 exec, exec, s[34:35]
	v_lshrrev_b32_e32 v1, 16, v9
	v_cmp_ne_u16_sdwa s[4:5], v1, v2 src0_sel:BYTE_0 src1_sel:DWORD
	s_and_saveexec_b64 s[34:35], s[4:5]
	s_cbranch_execz .LBB267_219
; %bb.214:                              ;   in Loop: Header=BB267_9 Depth=1
	v_cmp_ne_u16_sdwa s[4:5], v1, s42 src0_sel:BYTE_0 src1_sel:DWORD
	v_mov_b32_e32 v54, 0x8000
	s_and_saveexec_b64 s[36:37], s[4:5]
	s_cbranch_execz .LBB267_218
; %bb.215:                              ;   in Loop: Header=BB267_9 Depth=1
	v_bfe_u32 v3, v9, 16, 7
	v_cmp_ne_u32_e64 s[4:5], s43, v3
	v_mov_b32_e32 v54, 0x7c01
	s_and_saveexec_b64 s[38:39], s[4:5]
	s_cbranch_execz .LBB267_217
; %bb.216:                              ;   in Loop: Header=BB267_9 Depth=1
	v_and_b32_e32 v4, 7, v1
	v_ffbh_u32_e32 v12, v4
	v_min_u32_e32 v12, 32, v12
	v_lshrrev_b32_e32 v10, 3, v3
	v_subrev_u32_e32 v14, 28, v12
	v_sub_u32_e32 v12, 29, v12
	v_cmp_gt_u32_e64 s[4:5], 8, v3
	v_lshlrev_b64 v[56:57], v14, v[1:2]
	v_cndmask_b32_e64 v3, v10, v12, s[4:5]
	v_mov_b32_e32 v0, 0x2000
	v_lshl_add_u32 v3, v3, 10, v0
	v_lshlrev_b32_e32 v1, 8, v1
	v_and_b32_e32 v10, 7, v56
	v_and_b32_e32 v3, 0xfc00, v3
	v_cndmask_b32_e64 v4, v4, v10, s[4:5]
	v_and_or_b32 v1, v1, s44, v3
	v_lshl_or_b32 v54, v4, 7, v1
.LBB267_217:                            ;   in Loop: Header=BB267_9 Depth=1
	s_or_b64 exec, exec, s[38:39]
.LBB267_218:                            ;   in Loop: Header=BB267_9 Depth=1
	s_or_b64 exec, exec, s[36:37]
.LBB267_219:                            ;   in Loop: Header=BB267_9 Depth=1
	s_or_b64 exec, exec, s[34:35]
	v_cmp_lt_u32_e64 s[4:5], s45, v9
	v_mov_b32_e32 v57, 0
	v_mov_b32_e32 v56, 0
	s_and_saveexec_b64 s[34:35], s[4:5]
	s_cbranch_execz .LBB267_225
; %bb.220:                              ;   in Loop: Header=BB267_9 Depth=1
	v_lshrrev_b32_e32 v1, 24, v9
	v_cmp_ne_u32_e64 s[4:5], s42, v1
	v_bfrev_b32_e32 v56, 1
	s_and_saveexec_b64 s[36:37], s[4:5]
	s_cbranch_execz .LBB267_224
; %bb.221:                              ;   in Loop: Header=BB267_9 Depth=1
	v_and_b32_e32 v3, 0x7f, v1
	v_cmp_ne_u32_e64 s[4:5], s43, v3
	v_mov_b32_e32 v56, 0x7c010000
	s_and_saveexec_b64 s[38:39], s[4:5]
	s_cbranch_execz .LBB267_223
; %bb.222:                              ;   in Loop: Header=BB267_9 Depth=1
	v_and_b32_e32 v4, 7, v1
	v_ffbh_u32_e32 v9, v4
	v_min_u32_e32 v14, 32, v9
	v_subrev_u32_e32 v9, 28, v14
	v_lshlrev_b64 v[9:10], v9, v[1:2]
	v_lshrrev_b32_e32 v12, 3, v3
	v_sub_u32_e32 v10, 29, v14
	v_cmp_gt_u32_e64 s[4:5], 8, v3
	v_cndmask_b32_e64 v3, v12, v10, s[4:5]
	v_mov_b32_e32 v0, 0x2000
	v_lshlrev_b32_e32 v1, 8, v1
	v_lshl_add_u32 v3, v3, 10, v0
	v_and_b32_e32 v9, 7, v9
	v_and_or_b32 v1, v1, s44, v3
	v_cndmask_b32_e64 v4, v4, v9, s[4:5]
	v_lshlrev_b32_e32 v1, 16, v1
	v_lshl_or_b32 v56, v4, 23, v1
.LBB267_223:                            ;   in Loop: Header=BB267_9 Depth=1
	s_or_b64 exec, exec, s[38:39]
.LBB267_224:                            ;   in Loop: Header=BB267_9 Depth=1
	s_or_b64 exec, exec, s[36:37]
.LBB267_225:                            ;   in Loop: Header=BB267_9 Depth=1
	s_or_b64 exec, exec, s[34:35]
	global_load_dword v9, v[7:8], off offset:2056
	s_waitcnt vmcnt(0)
	v_cmp_ne_u16_sdwa s[4:5], v9, v2 src0_sel:BYTE_0 src1_sel:DWORD
	s_and_saveexec_b64 s[34:35], s[4:5]
	s_cbranch_execz .LBB267_231
; %bb.226:                              ;   in Loop: Header=BB267_9 Depth=1
	v_cmp_ne_u16_sdwa s[4:5], v9, s42 src0_sel:BYTE_0 src1_sel:DWORD
	v_mov_b32_e32 v57, 0x8000
	s_and_saveexec_b64 s[36:37], s[4:5]
	s_cbranch_execz .LBB267_230
; %bb.227:                              ;   in Loop: Header=BB267_9 Depth=1
	v_and_b32_e32 v1, 0x7f, v9
	v_cmp_ne_u32_e64 s[4:5], s43, v1
	v_mov_b32_e32 v57, 0x7c01
	s_and_saveexec_b64 s[38:39], s[4:5]
	s_cbranch_execz .LBB267_229
; %bb.228:                              ;   in Loop: Header=BB267_9 Depth=1
	v_and_b32_e32 v10, 7, v9
	v_ffbh_u32_e32 v3, v10
	v_min_u32_e32 v14, 32, v3
	v_subrev_u32_e32 v3, 28, v14
	v_lshlrev_b64 v[3:4], v3, v[9:10]
	v_lshrrev_b32_e32 v12, 3, v1
	v_sub_u32_e32 v4, 29, v14
	v_cmp_gt_u32_e64 s[4:5], 8, v1
	v_cndmask_b32_e64 v1, v12, v4, s[4:5]
	v_mov_b32_e32 v0, 0x2000
	v_lshl_add_u32 v1, v1, 10, v0
	v_lshlrev_b32_e32 v4, 8, v9
	v_and_b32_e32 v3, 7, v3
	v_and_b32_e32 v1, 0xfc00, v1
	v_cndmask_b32_e64 v3, v10, v3, s[4:5]
	v_and_or_b32 v1, v4, s44, v1
	v_lshl_or_b32 v57, v3, 7, v1
.LBB267_229:                            ;   in Loop: Header=BB267_9 Depth=1
	s_or_b64 exec, exec, s[38:39]
.LBB267_230:                            ;   in Loop: Header=BB267_9 Depth=1
	s_or_b64 exec, exec, s[36:37]
.LBB267_231:                            ;   in Loop: Header=BB267_9 Depth=1
	s_or_b64 exec, exec, s[34:35]
	v_lshrrev_b16_e32 v1, 8, v9
	v_cmp_ne_u16_e64 s[4:5], 0, v1
	v_mov_b32_e32 v58, 0
	v_mov_b32_e32 v59, 0
	s_and_saveexec_b64 s[34:35], s[4:5]
	s_cbranch_execz .LBB267_237
; %bb.232:                              ;   in Loop: Header=BB267_9 Depth=1
	v_cmp_ne_u16_e64 s[4:5], s42, v1
	v_bfrev_b32_e32 v59, 1
	s_and_saveexec_b64 s[36:37], s[4:5]
	s_cbranch_execz .LBB267_236
; %bb.233:                              ;   in Loop: Header=BB267_9 Depth=1
	v_and_b32_e32 v3, 0x7f, v1
	v_cmp_ne_u32_e64 s[4:5], s43, v3
	v_mov_b32_e32 v59, 0x7c010000
	s_and_saveexec_b64 s[38:39], s[4:5]
	s_cbranch_execz .LBB267_235
; %bb.234:                              ;   in Loop: Header=BB267_9 Depth=1
	v_and_b32_e32 v10, 7, v1
	v_lshrrev_b32_e32 v12, 3, v3
	v_cmp_gt_u32_e64 s[4:5], 8, v3
	v_ffbh_u32_e32 v3, v10
	v_min_u32_e32 v14, 32, v3
	v_subrev_u32_e32 v3, 28, v14
	v_lshlrev_b64 v[3:4], v3, v[1:2]
	v_sub_u32_e32 v4, 29, v14
	v_cndmask_b32_e64 v4, v12, v4, s[4:5]
	v_mov_b32_e32 v0, 0x2000
	v_lshlrev_b32_e32 v1, 8, v1
	v_lshl_add_u32 v4, v4, 10, v0
	v_and_b32_e32 v3, 7, v3
	v_and_or_b32 v1, v1, s44, v4
	v_cndmask_b32_e64 v3, v10, v3, s[4:5]
	v_lshlrev_b32_e32 v1, 16, v1
	v_lshl_or_b32 v59, v3, 23, v1
.LBB267_235:                            ;   in Loop: Header=BB267_9 Depth=1
	s_or_b64 exec, exec, s[38:39]
.LBB267_236:                            ;   in Loop: Header=BB267_9 Depth=1
	s_or_b64 exec, exec, s[36:37]
.LBB267_237:                            ;   in Loop: Header=BB267_9 Depth=1
	s_or_b64 exec, exec, s[34:35]
	v_lshrrev_b32_e32 v1, 16, v9
	v_cmp_ne_u16_sdwa s[4:5], v1, v2 src0_sel:BYTE_0 src1_sel:DWORD
	s_and_saveexec_b64 s[34:35], s[4:5]
	s_cbranch_execz .LBB267_243
; %bb.238:                              ;   in Loop: Header=BB267_9 Depth=1
	v_cmp_ne_u16_sdwa s[4:5], v1, s42 src0_sel:BYTE_0 src1_sel:DWORD
	v_mov_b32_e32 v58, 0x8000
	s_and_saveexec_b64 s[36:37], s[4:5]
	s_cbranch_execz .LBB267_242
; %bb.239:                              ;   in Loop: Header=BB267_9 Depth=1
	v_bfe_u32 v3, v9, 16, 7
	v_cmp_ne_u32_e64 s[4:5], s43, v3
	v_mov_b32_e32 v58, 0x7c01
	s_and_saveexec_b64 s[38:39], s[4:5]
	s_cbranch_execz .LBB267_241
; %bb.240:                              ;   in Loop: Header=BB267_9 Depth=1
	v_and_b32_e32 v10, 7, v1
	v_lshrrev_b32_e32 v12, 3, v3
	v_cmp_gt_u32_e64 s[4:5], 8, v3
	v_ffbh_u32_e32 v3, v10
	v_min_u32_e32 v14, 32, v3
	v_subrev_u32_e32 v3, 28, v14
	v_lshlrev_b64 v[3:4], v3, v[1:2]
	v_sub_u32_e32 v4, 29, v14
	v_cndmask_b32_e64 v4, v12, v4, s[4:5]
	v_mov_b32_e32 v0, 0x2000
	v_lshl_add_u32 v4, v4, 10, v0
	v_lshlrev_b32_e32 v1, 8, v1
	v_and_b32_e32 v3, 7, v3
	v_and_b32_e32 v4, 0xfc00, v4
	v_cndmask_b32_e64 v3, v10, v3, s[4:5]
	v_and_or_b32 v1, v1, s44, v4
	v_lshl_or_b32 v58, v3, 7, v1
.LBB267_241:                            ;   in Loop: Header=BB267_9 Depth=1
	s_or_b64 exec, exec, s[38:39]
.LBB267_242:                            ;   in Loop: Header=BB267_9 Depth=1
	s_or_b64 exec, exec, s[36:37]
.LBB267_243:                            ;   in Loop: Header=BB267_9 Depth=1
	s_or_b64 exec, exec, s[34:35]
	v_cmp_lt_u32_e64 s[4:5], s45, v9
	v_mov_b32_e32 v60, 0
	v_mov_b32_e32 v61, 0
	s_and_saveexec_b64 s[34:35], s[4:5]
	s_cbranch_execz .LBB267_249
; %bb.244:                              ;   in Loop: Header=BB267_9 Depth=1
	v_lshrrev_b32_e32 v1, 24, v9
	v_cmp_ne_u32_e64 s[4:5], s42, v1
	v_bfrev_b32_e32 v61, 1
	s_and_saveexec_b64 s[36:37], s[4:5]
	s_cbranch_execz .LBB267_248
; %bb.245:                              ;   in Loop: Header=BB267_9 Depth=1
	v_and_b32_e32 v3, 0x7f, v1
	v_cmp_ne_u32_e64 s[4:5], s43, v3
	v_mov_b32_e32 v61, 0x7c010000
	s_and_saveexec_b64 s[38:39], s[4:5]
	s_cbranch_execz .LBB267_247
; %bb.246:                              ;   in Loop: Header=BB267_9 Depth=1
	v_and_b32_e32 v9, 7, v1
	v_lshrrev_b32_e32 v10, 3, v3
	v_cmp_gt_u32_e64 s[4:5], 8, v3
	v_ffbh_u32_e32 v3, v9
	v_min_u32_e32 v12, 32, v3
	v_subrev_u32_e32 v3, 28, v12
	v_lshlrev_b64 v[3:4], v3, v[1:2]
	v_sub_u32_e32 v4, 29, v12
	v_cndmask_b32_e64 v4, v10, v4, s[4:5]
	v_mov_b32_e32 v0, 0x2000
	v_lshlrev_b32_e32 v1, 8, v1
	v_lshl_add_u32 v4, v4, 10, v0
	v_and_b32_e32 v3, 7, v3
	v_and_or_b32 v1, v1, s44, v4
	v_cndmask_b32_e64 v3, v9, v3, s[4:5]
	v_lshlrev_b32_e32 v1, 16, v1
	v_lshl_or_b32 v61, v3, 23, v1
.LBB267_247:                            ;   in Loop: Header=BB267_9 Depth=1
	s_or_b64 exec, exec, s[38:39]
.LBB267_248:                            ;   in Loop: Header=BB267_9 Depth=1
	s_or_b64 exec, exec, s[36:37]
.LBB267_249:                            ;   in Loop: Header=BB267_9 Depth=1
	s_or_b64 exec, exec, s[34:35]
	global_load_dword v9, v[7:8], off offset:2560
	s_waitcnt vmcnt(0)
	v_cmp_ne_u16_sdwa s[4:5], v9, v2 src0_sel:BYTE_0 src1_sel:DWORD
	s_and_saveexec_b64 s[34:35], s[4:5]
	s_cbranch_execz .LBB267_255
; %bb.250:                              ;   in Loop: Header=BB267_9 Depth=1
	v_cmp_ne_u16_sdwa s[4:5], v9, s42 src0_sel:BYTE_0 src1_sel:DWORD
	v_mov_b32_e32 v60, 0x8000
	s_and_saveexec_b64 s[36:37], s[4:5]
	s_cbranch_execz .LBB267_254
; %bb.251:                              ;   in Loop: Header=BB267_9 Depth=1
	v_and_b32_e32 v1, 0x7f, v9
	v_cmp_ne_u32_e64 s[4:5], s43, v1
	v_mov_b32_e32 v60, 0x7c01
	s_and_saveexec_b64 s[38:39], s[4:5]
	s_cbranch_execz .LBB267_253
; %bb.252:                              ;   in Loop: Header=BB267_9 Depth=1
	v_and_b32_e32 v10, 7, v9
	v_lshrrev_b32_e32 v12, 3, v1
	v_cmp_gt_u32_e64 s[4:5], 8, v1
	v_ffbh_u32_e32 v1, v10
	v_min_u32_e32 v1, 32, v1
	v_subrev_u32_e32 v3, 28, v1
	v_sub_u32_e32 v1, 29, v1
	v_lshlrev_b64 v[3:4], v3, v[9:10]
	v_cndmask_b32_e64 v1, v12, v1, s[4:5]
	v_mov_b32_e32 v0, 0x2000
	v_lshl_add_u32 v1, v1, 10, v0
	v_lshlrev_b32_e32 v4, 8, v9
	v_and_b32_e32 v3, 7, v3
	v_and_b32_e32 v1, 0xfc00, v1
	v_cndmask_b32_e64 v3, v10, v3, s[4:5]
	v_and_or_b32 v1, v4, s44, v1
	v_lshl_or_b32 v60, v3, 7, v1
.LBB267_253:                            ;   in Loop: Header=BB267_9 Depth=1
	s_or_b64 exec, exec, s[38:39]
.LBB267_254:                            ;   in Loop: Header=BB267_9 Depth=1
	s_or_b64 exec, exec, s[36:37]
.LBB267_255:                            ;   in Loop: Header=BB267_9 Depth=1
	s_or_b64 exec, exec, s[34:35]
	v_lshrrev_b16_e32 v1, 8, v9
	v_cmp_ne_u16_e64 s[4:5], 0, v1
	v_mov_b32_e32 v63, 0
	v_mov_b32_e32 v12, 0
	s_and_saveexec_b64 s[34:35], s[4:5]
	s_cbranch_execz .LBB267_261
; %bb.256:                              ;   in Loop: Header=BB267_9 Depth=1
	v_cmp_ne_u16_e64 s[4:5], s42, v1
	v_bfrev_b32_e32 v12, 1
	s_and_saveexec_b64 s[36:37], s[4:5]
	s_cbranch_execz .LBB267_260
; %bb.257:                              ;   in Loop: Header=BB267_9 Depth=1
	v_and_b32_e32 v3, 0x7f, v1
	v_cmp_ne_u32_e64 s[4:5], s43, v3
	v_mov_b32_e32 v12, 0x7c010000
	s_and_saveexec_b64 s[38:39], s[4:5]
	s_cbranch_execz .LBB267_259
; %bb.258:                              ;   in Loop: Header=BB267_9 Depth=1
	v_and_b32_e32 v10, 7, v1
	v_lshrrev_b32_e32 v12, 3, v3
	v_cmp_gt_u32_e64 s[4:5], 8, v3
	v_ffbh_u32_e32 v3, v10
	v_min_u32_e32 v14, 32, v3
	v_subrev_u32_e32 v3, 28, v14
	v_lshlrev_b64 v[3:4], v3, v[1:2]
	v_sub_u32_e32 v4, 29, v14
	v_cndmask_b32_e64 v4, v12, v4, s[4:5]
	v_mov_b32_e32 v0, 0x2000
	v_lshlrev_b32_e32 v1, 8, v1
	v_lshl_add_u32 v4, v4, 10, v0
	v_and_b32_e32 v3, 7, v3
	v_and_or_b32 v1, v1, s44, v4
	v_cndmask_b32_e64 v3, v10, v3, s[4:5]
	v_lshlrev_b32_e32 v1, 16, v1
	v_lshl_or_b32 v12, v3, 23, v1
.LBB267_259:                            ;   in Loop: Header=BB267_9 Depth=1
	s_or_b64 exec, exec, s[38:39]
.LBB267_260:                            ;   in Loop: Header=BB267_9 Depth=1
	s_or_b64 exec, exec, s[36:37]
.LBB267_261:                            ;   in Loop: Header=BB267_9 Depth=1
	s_or_b64 exec, exec, s[34:35]
	v_lshrrev_b32_e32 v1, 16, v9
	v_cmp_ne_u16_sdwa s[4:5], v1, v2 src0_sel:BYTE_0 src1_sel:DWORD
	s_and_saveexec_b64 s[34:35], s[4:5]
	s_cbranch_execz .LBB267_267
; %bb.262:                              ;   in Loop: Header=BB267_9 Depth=1
	v_cmp_ne_u16_sdwa s[4:5], v1, s42 src0_sel:BYTE_0 src1_sel:DWORD
	v_mov_b32_e32 v63, 0x8000
	s_and_saveexec_b64 s[36:37], s[4:5]
	s_cbranch_execz .LBB267_266
; %bb.263:                              ;   in Loop: Header=BB267_9 Depth=1
	v_bfe_u32 v3, v9, 16, 7
	v_cmp_ne_u32_e64 s[4:5], s43, v3
	v_mov_b32_e32 v63, 0x7c01
	s_and_saveexec_b64 s[38:39], s[4:5]
	s_cbranch_execz .LBB267_265
; %bb.264:                              ;   in Loop: Header=BB267_9 Depth=1
	v_and_b32_e32 v10, 7, v1
	v_lshrrev_b32_e32 v14, 3, v3
	v_cmp_gt_u32_e64 s[4:5], 8, v3
	v_ffbh_u32_e32 v3, v10
	v_min_u32_e32 v62, 32, v3
	v_subrev_u32_e32 v3, 28, v62
	v_lshlrev_b64 v[3:4], v3, v[1:2]
	v_sub_u32_e32 v4, 29, v62
	v_cndmask_b32_e64 v4, v14, v4, s[4:5]
	v_mov_b32_e32 v0, 0x2000
	v_lshl_add_u32 v4, v4, 10, v0
	v_lshlrev_b32_e32 v1, 8, v1
	v_and_b32_e32 v3, 7, v3
	v_and_b32_e32 v4, 0xfc00, v4
	v_cndmask_b32_e64 v3, v10, v3, s[4:5]
	v_and_or_b32 v1, v1, s44, v4
	v_lshl_or_b32 v63, v3, 7, v1
.LBB267_265:                            ;   in Loop: Header=BB267_9 Depth=1
	s_or_b64 exec, exec, s[38:39]
.LBB267_266:                            ;   in Loop: Header=BB267_9 Depth=1
	s_or_b64 exec, exec, s[36:37]
.LBB267_267:                            ;   in Loop: Header=BB267_9 Depth=1
	s_or_b64 exec, exec, s[34:35]
	v_cmp_lt_u32_e64 s[4:5], s45, v9
	v_mov_b32_e32 v62, 0
	v_mov_b32_e32 v4, 0
	s_and_saveexec_b64 s[34:35], s[4:5]
	s_cbranch_execz .LBB267_273
; %bb.268:                              ;   in Loop: Header=BB267_9 Depth=1
	v_lshrrev_b32_e32 v1, 24, v9
	v_cmp_ne_u32_e64 s[4:5], s42, v1
	v_bfrev_b32_e32 v4, 1
	s_and_saveexec_b64 s[36:37], s[4:5]
	s_cbranch_execz .LBB267_272
; %bb.269:                              ;   in Loop: Header=BB267_9 Depth=1
	v_and_b32_e32 v3, 0x7f, v1
	v_cmp_ne_u32_e64 s[4:5], s43, v3
	v_mov_b32_e32 v4, 0x7c010000
	s_and_saveexec_b64 s[38:39], s[4:5]
	s_cbranch_execz .LBB267_271
; %bb.270:                              ;   in Loop: Header=BB267_9 Depth=1
	v_and_b32_e32 v9, 7, v1
	v_lshrrev_b32_e32 v10, 3, v3
	v_cmp_gt_u32_e64 s[4:5], 8, v3
	v_ffbh_u32_e32 v3, v9
	v_min_u32_e32 v14, 32, v3
	v_subrev_u32_e32 v3, 28, v14
	v_lshlrev_b64 v[3:4], v3, v[1:2]
	v_sub_u32_e32 v4, 29, v14
	v_cndmask_b32_e64 v4, v10, v4, s[4:5]
	v_mov_b32_e32 v0, 0x2000
	v_lshlrev_b32_e32 v1, 8, v1
	v_lshl_add_u32 v4, v4, 10, v0
	v_and_b32_e32 v3, 7, v3
	v_and_or_b32 v1, v1, s44, v4
	v_cndmask_b32_e64 v3, v9, v3, s[4:5]
	v_lshlrev_b32_e32 v1, 16, v1
	v_lshl_or_b32 v4, v3, 23, v1
.LBB267_271:                            ;   in Loop: Header=BB267_9 Depth=1
	s_or_b64 exec, exec, s[38:39]
.LBB267_272:                            ;   in Loop: Header=BB267_9 Depth=1
	s_or_b64 exec, exec, s[36:37]
.LBB267_273:                            ;   in Loop: Header=BB267_9 Depth=1
	s_or_b64 exec, exec, s[34:35]
	global_load_dword v7, v[7:8], off offset:2568
	s_waitcnt vmcnt(0)
	v_cmp_ne_u16_sdwa s[4:5], v7, v2 src0_sel:BYTE_0 src1_sel:DWORD
	s_and_saveexec_b64 s[34:35], s[4:5]
	s_cbranch_execz .LBB267_279
; %bb.274:                              ;   in Loop: Header=BB267_9 Depth=1
	v_cmp_ne_u16_sdwa s[4:5], v7, s42 src0_sel:BYTE_0 src1_sel:DWORD
	v_mov_b32_e32 v62, 0x8000
	s_and_saveexec_b64 s[36:37], s[4:5]
	s_cbranch_execz .LBB267_278
; %bb.275:                              ;   in Loop: Header=BB267_9 Depth=1
	v_and_b32_e32 v1, 0x7f, v7
	v_cmp_ne_u32_e64 s[4:5], s43, v1
	v_mov_b32_e32 v62, 0x7c01
	s_and_saveexec_b64 s[38:39], s[4:5]
	s_cbranch_execz .LBB267_277
; %bb.276:                              ;   in Loop: Header=BB267_9 Depth=1
	v_and_b32_e32 v3, 7, v7
	v_lshrrev_b32_e32 v10, 3, v1
	v_cmp_gt_u32_e64 s[4:5], 8, v1
	v_ffbh_u32_e32 v1, v3
	v_min_u32_e32 v1, 32, v1
	v_subrev_u32_e32 v8, 28, v1
	v_sub_u32_e32 v1, 29, v1
	v_lshlrev_b64 v[8:9], v8, v[7:8]
	v_cndmask_b32_e64 v1, v10, v1, s[4:5]
	v_mov_b32_e32 v0, 0x2000
	v_lshl_add_u32 v1, v1, 10, v0
	v_lshlrev_b32_e32 v9, 8, v7
	v_and_b32_e32 v8, 7, v8
	v_and_b32_e32 v1, 0xfc00, v1
	v_cndmask_b32_e64 v3, v3, v8, s[4:5]
	v_and_or_b32 v1, v9, s44, v1
	v_lshl_or_b32 v62, v3, 7, v1
.LBB267_277:                            ;   in Loop: Header=BB267_9 Depth=1
	s_or_b64 exec, exec, s[38:39]
.LBB267_278:                            ;   in Loop: Header=BB267_9 Depth=1
	s_or_b64 exec, exec, s[36:37]
.LBB267_279:                            ;   in Loop: Header=BB267_9 Depth=1
	s_or_b64 exec, exec, s[34:35]
	v_lshrrev_b16_e32 v1, 8, v7
	v_cmp_ne_u16_e64 s[4:5], 0, v1
	v_mov_b32_e32 v10, 0
	v_mov_b32_e32 v3, 0
	s_and_saveexec_b64 s[34:35], s[4:5]
	s_cbranch_execz .LBB267_285
; %bb.280:                              ;   in Loop: Header=BB267_9 Depth=1
	v_cmp_ne_u16_e64 s[4:5], s42, v1
	v_bfrev_b32_e32 v3, 1
	s_and_saveexec_b64 s[36:37], s[4:5]
	s_cbranch_execz .LBB267_284
; %bb.281:                              ;   in Loop: Header=BB267_9 Depth=1
	v_and_b32_e32 v8, 0x7f, v1
	v_cmp_ne_u32_e64 s[4:5], s43, v8
	v_mov_b32_e32 v3, 0x7c010000
	s_and_saveexec_b64 s[38:39], s[4:5]
	s_cbranch_execz .LBB267_283
; %bb.282:                              ;   in Loop: Header=BB267_9 Depth=1
	v_and_b32_e32 v3, 7, v1
	v_lshrrev_b32_e32 v14, 3, v8
	v_cmp_gt_u32_e64 s[4:5], 8, v8
	v_ffbh_u32_e32 v8, v3
	v_min_u32_e32 v0, 32, v8
	v_subrev_u32_e32 v8, 28, v0
	v_lshlrev_b64 v[8:9], v8, v[1:2]
	v_sub_u32_e32 v0, 29, v0
	v_cndmask_b32_e64 v0, v14, v0, s[4:5]
	v_mov_b32_e32 v9, 0x2000
	v_lshlrev_b32_e32 v1, 8, v1
	v_lshl_add_u32 v0, v0, 10, v9
	v_and_b32_e32 v8, 7, v8
	v_and_or_b32 v0, v1, s44, v0
	v_cndmask_b32_e64 v3, v3, v8, s[4:5]
	v_lshlrev_b32_e32 v0, 16, v0
	v_lshl_or_b32 v3, v3, 23, v0
.LBB267_283:                            ;   in Loop: Header=BB267_9 Depth=1
	s_or_b64 exec, exec, s[38:39]
.LBB267_284:                            ;   in Loop: Header=BB267_9 Depth=1
	s_or_b64 exec, exec, s[36:37]
.LBB267_285:                            ;   in Loop: Header=BB267_9 Depth=1
	s_or_b64 exec, exec, s[34:35]
	v_lshrrev_b32_e32 v1, 16, v7
	v_cmp_ne_u16_sdwa s[4:5], v1, v2 src0_sel:BYTE_0 src1_sel:DWORD
	s_and_saveexec_b64 s[34:35], s[4:5]
	s_cbranch_execz .LBB267_291
; %bb.286:                              ;   in Loop: Header=BB267_9 Depth=1
	v_cmp_ne_u16_sdwa s[4:5], v1, s42 src0_sel:BYTE_0 src1_sel:DWORD
	v_mov_b32_e32 v10, 0x8000
	s_and_saveexec_b64 s[36:37], s[4:5]
	s_cbranch_execz .LBB267_290
; %bb.287:                              ;   in Loop: Header=BB267_9 Depth=1
	v_bfe_u32 v8, v7, 16, 7
	v_cmp_ne_u32_e64 s[4:5], s43, v8
	v_mov_b32_e32 v10, 0x7c01
	s_and_saveexec_b64 s[38:39], s[4:5]
	s_cbranch_execz .LBB267_289
; %bb.288:                              ;   in Loop: Header=BB267_9 Depth=1
	v_and_b32_e32 v0, 7, v1
	v_lshrrev_b32_e32 v10, 3, v8
	v_cmp_gt_u32_e64 s[4:5], 8, v8
	v_ffbh_u32_e32 v8, v0
	v_min_u32_e32 v14, 32, v8
	v_subrev_u32_e32 v8, 28, v14
	v_lshlrev_b64 v[8:9], v8, v[1:2]
	v_sub_u32_e32 v9, 29, v14
	v_cndmask_b32_e64 v9, v10, v9, s[4:5]
	v_mov_b32_e32 v10, 0x2000
	v_lshl_add_u32 v9, v9, 10, v10
	v_and_b32_e32 v8, 7, v8
	v_lshlrev_b32_e32 v1, 8, v1
	v_cndmask_b32_e64 v0, v0, v8, s[4:5]
	v_and_b32_e32 v8, 0xfc00, v9
	v_and_or_b32 v1, v1, s44, v8
	v_lshl_or_b32 v10, v0, 7, v1
.LBB267_289:                            ;   in Loop: Header=BB267_9 Depth=1
	s_or_b64 exec, exec, s[38:39]
.LBB267_290:                            ;   in Loop: Header=BB267_9 Depth=1
	s_or_b64 exec, exec, s[36:37]
.LBB267_291:                            ;   in Loop: Header=BB267_9 Depth=1
	s_or_b64 exec, exec, s[34:35]
	v_cmp_lt_u32_e64 s[4:5], s45, v7
	v_mov_b32_e32 v14, 0
	s_and_saveexec_b64 s[34:35], s[4:5]
	s_cbranch_execz .LBB267_297
; %bb.292:                              ;   in Loop: Header=BB267_9 Depth=1
	v_lshrrev_b32_e32 v1, 24, v7
	v_cmp_ne_u32_e64 s[4:5], s42, v1
	v_bfrev_b32_e32 v14, 1
	s_and_saveexec_b64 s[36:37], s[4:5]
	s_cbranch_execz .LBB267_296
; %bb.293:                              ;   in Loop: Header=BB267_9 Depth=1
	v_and_b32_e32 v7, 0x7f, v1
	v_cmp_ne_u32_e64 s[4:5], s43, v7
	v_mov_b32_e32 v14, 0x7c010000
	s_and_saveexec_b64 s[38:39], s[4:5]
	s_cbranch_execz .LBB267_295
; %bb.294:                              ;   in Loop: Header=BB267_9 Depth=1
	v_and_b32_e32 v0, 7, v1
	v_lshrrev_b32_e32 v9, 3, v7
	v_cmp_gt_u32_e64 s[4:5], 8, v7
	v_ffbh_u32_e32 v7, v0
	v_min_u32_e32 v14, 32, v7
	v_subrev_u32_e32 v7, 28, v14
	v_lshlrev_b64 v[7:8], v7, v[1:2]
	v_sub_u32_e32 v8, 29, v14
	v_cndmask_b32_e64 v8, v9, v8, s[4:5]
	v_mov_b32_e32 v9, 0x2000
	v_lshlrev_b32_e32 v1, 8, v1
	v_lshl_add_u32 v8, v8, 10, v9
	v_and_b32_e32 v7, 7, v7
	v_and_or_b32 v1, v1, s44, v8
	v_cndmask_b32_e64 v0, v0, v7, s[4:5]
	v_lshlrev_b32_e32 v1, 16, v1
	v_lshl_or_b32 v14, v0, 23, v1
.LBB267_295:                            ;   in Loop: Header=BB267_9 Depth=1
	s_or_b64 exec, exec, s[38:39]
.LBB267_296:                            ;   in Loop: Header=BB267_9 Depth=1
	s_or_b64 exec, exec, s[36:37]
.LBB267_297:                            ;   in Loop: Header=BB267_9 Depth=1
	s_or_b64 exec, exec, s[34:35]
	v_or_b32_e32 v0, v12, v60
	v_fma_mixlo_f16 v9, v20, v0, 0 op_sel_hi:[0,1,0]
	v_or_b32_e32 v0, v4, v63
	v_fma_mixlo_f16 v7, v20, v0, 0 op_sel_hi:[0,1,0]
	;; [unrolled: 2-line block ×4, first 2 shown]
	v_or_b32_e32 v0, v55, v53
	v_fma_mixlo_f16 v57, v20, v61, 0 op_sel:[0,1,0] op_sel_hi:[0,1,0]
	v_fma_mixlo_f16 v61, v20, v0, 0 op_sel_hi:[0,1,0]
	v_or_b32_e32 v0, v56, v54
	v_fma_mixlo_f16 v54, v20, v0, 0 op_sel_hi:[0,1,0]
	v_or_b32_e32 v0, v51, v49
	v_fma_mixlo_f16 v53, v20, v56, 0 op_sel:[0,1,0] op_sel_hi:[0,1,0]
	v_fma_mixlo_f16 v56, v20, v0, 0 op_sel_hi:[0,1,0]
	v_or_b32_e32 v0, v52, v50
	v_fma_mixlo_f16 v50, v20, v0, 0 op_sel_hi:[0,1,0]
	v_or_b32_e32 v0, v47, v45
	v_fma_mixlo_f16 v49, v20, v52, 0 op_sel:[0,1,0] op_sel_hi:[0,1,0]
	v_fma_mixlo_f16 v52, v20, v0, 0 op_sel_hi:[0,1,0]
	v_or_b32_e32 v0, v48, v46
	v_fma_mixlo_f16 v46, v20, v0, 0 op_sel_hi:[0,1,0]
	v_or_b32_e32 v0, v43, v41
	v_fma_mixlo_f16 v8, v20, v12, 0 op_sel:[0,1,0] op_sel_hi:[0,1,0]
	v_fma_mixlo_f16 v12, v20, v43, 0 op_sel:[0,1,0] op_sel_hi:[0,1,0]
	v_fma_mixlo_f16 v43, v20, v0, 0 op_sel_hi:[0,1,0]
	v_or_b32_e32 v0, v44, v42
	v_fma_mixlo_f16 v42, v20, v0, 0 op_sel_hi:[0,1,0]
	v_or_b32_e32 v0, v39, v37
	v_fma_mixlo_f16 v41, v20, v44, 0 op_sel:[0,1,0] op_sel_hi:[0,1,0]
	v_fma_mixlo_f16 v44, v20, v0, 0 op_sel_hi:[0,1,0]
	v_or_b32_e32 v0, v40, v38
	v_fma_mixlo_f16 v38, v20, v0, 0 op_sel_hi:[0,1,0]
	v_or_b32_e32 v0, v35, v33
	;; [unrolled: 5-line block ×4, first 2 shown]
	v_fma_mixlo_f16 v30, v20, v0, 0 op_sel_hi:[0,1,0]
	v_or_b32_e32 v0, v28, v26
	v_fma_mixlo_f16 v25, v20, v27, 0 op_sel:[0,1,0] op_sel_hi:[0,1,0]
	v_fma_mixlo_f16 v27, v20, v0, 0 op_sel_hi:[0,1,0]
	v_fma_mixlo_f16 v26, v20, v28, 0 op_sel:[0,1,0] op_sel_hi:[0,1,0]
	v_or_b32_e32 v0, v23, v21
	v_fma_mixlo_f16 v28, v20, v23, 0 op_sel:[0,1,0] op_sel_hi:[0,1,0]
	v_or_b32_e32 v21, v24, v22
	ds_read_b64 v[22:23], v15
	v_fma_mixlo_f16 v1, v20, v4, 0 op_sel:[0,1,0] op_sel_hi:[0,1,0]
	v_fma_mixlo_f16 v45, v20, v48, 0 op_sel:[0,1,0] op_sel_hi:[0,1,0]
	;; [unrolled: 1-line block ×3, first 2 shown]
	v_fma_mixlo_f16 v0, v20, v0, 0 op_sel_hi:[0,1,0]
	v_fma_mixlo_f16 v32, v20, v21, 0 op_sel_hi:[0,1,0]
	v_or_b32_e32 v48, v3, v62
	v_fma_mixlo_f16 v21, v20, v3, 0 op_sel:[0,1,0] op_sel_hi:[0,1,0]
	s_waitcnt lgkmcnt(0)
	v_lshrrev_b32_e32 v11, 16, v22
	v_and_b32_e32 v3, 0xffff, v22
	;;#ASMSTART
	v_cvt_f32_f16 v3, v3;
	;;#ASMEND
	;;#ASMSTART
	v_cvt_f32_f16 v18, v11;
	;;#ASMEND
	v_and_b32_e32 v0, 0xffff, v0
	v_and_b32_e32 v11, 0xffff, v28
	v_fma_mixlo_f16 v24, v20, v24, 0 op_sel:[0,1,0] op_sel_hi:[0,1,0]
	;;#ASMSTART
	v_cvt_f32_f16 v0, v0;
	;;#ASMEND
	;;#ASMSTART
	v_cvt_f32_f16 v28, v11;
	;;#ASMEND
	v_lshrrev_b32_e32 v11, 16, v23
	v_and_b32_e32 v13, 0xffff, v23
	v_and_b32_e32 v17, 0xffff, v32
	;;#ASMSTART
	v_cvt_f32_f16 v13, v13;
	;;#ASMEND
	;;#ASMSTART
	v_cvt_f32_f16 v11, v11;
	;;#ASMEND
	;; [unrolled: 3-line block ×3, first 2 shown]
	v_and_b32_e32 v17, 0xffff, v24
	;;#ASMSTART
	v_cvt_f32_f16 v17, v17;
	;;#ASMEND
	ds_read_b64 v[62:63], v15 offset:8
	v_or_b32_e32 v10, v14, v10
	v_fma_mixlo_f16 v59, v20, v59, 0 op_sel:[0,1,0] op_sel_hi:[0,1,0]
	v_fma_mixlo_f16 v55, v20, v55, 0 op_sel:[0,1,0] op_sel_hi:[0,1,0]
	v_fma_mixlo_f16 v51, v20, v51, 0 op_sel:[0,1,0] op_sel_hi:[0,1,0]
	v_fma_mixlo_f16 v47, v20, v47, 0 op_sel:[0,1,0] op_sel_hi:[0,1,0]
	v_fma_mixlo_f16 v39, v20, v39, 0 op_sel:[0,1,0] op_sel_hi:[0,1,0]
	v_fma_mixlo_f16 v35, v20, v35, 0 op_sel:[0,1,0] op_sel_hi:[0,1,0]
	v_fma_mixlo_f16 v31, v20, v31, 0 op_sel:[0,1,0] op_sel_hi:[0,1,0]
	v_fma_mixlo_f16 v24, v20, v48, 0 op_sel_hi:[0,1,0]
	v_fma_mixlo_f16 v22, v20, v10, 0 op_sel_hi:[0,1,0]
	v_fma_mixlo_f16 v20, v20, v14, 0 op_sel:[0,1,0] op_sel_hi:[0,1,0]
	s_waitcnt lgkmcnt(0)
	v_lshrrev_b32_e32 v14, 16, v62
	v_and_b32_e32 v10, 0xffff, v62
	v_and_b32_e32 v23, 0xffff, v30
	;;#ASMSTART
	v_cvt_f32_f16 v10, v10;
	;;#ASMEND
	;;#ASMSTART
	v_cvt_f32_f16 v14, v14;
	;;#ASMEND
	;; [unrolled: 3-line block ×3, first 2 shown]
	v_and_b32_e32 v25, 0xffff, v25
	;;#ASMSTART
	v_cvt_f32_f16 v25, v25;
	;;#ASMEND
	v_mul_f32_e32 v23, v10, v23
	v_fmac_f32_e32 v23, v3, v0
	v_mul_f32_e32 v25, v14, v25
	v_lshrrev_b32_e32 v3, 16, v63
	v_and_b32_e32 v0, 0xffff, v63
	v_and_b32_e32 v10, 0xffff, v27
	;; [unrolled: 1-line block ×3, first 2 shown]
	;;#ASMSTART
	v_cvt_f32_f16 v0, v0;
	;;#ASMEND
	;;#ASMSTART
	v_cvt_f32_f16 v3, v3;
	;;#ASMEND
	;; [unrolled: 3-line block ×4, first 2 shown]
	ds_read_b64 v[62:63], v15 offset:16
	v_mul_f32_e32 v26, v0, v10
	v_mul_f32_e32 v27, v3, v14
	v_fmac_f32_e32 v27, v11, v17
	v_fmac_f32_e32 v26, v13, v32
	s_waitcnt lgkmcnt(0)
	v_lshrrev_b32_e32 v3, 16, v62
	v_and_b32_e32 v0, 0xffff, v62
	;;#ASMSTART
	v_cvt_f32_f16 v0, v0;
	;;#ASMEND
	;;#ASMSTART
	v_cvt_f32_f16 v10, v3;
	;;#ASMEND
	v_and_b32_e32 v3, 0xffff, v36
	;;#ASMSTART
	v_cvt_f32_f16 v11, v3;
	;;#ASMEND
	v_and_b32_e32 v3, 0xffff, v31
	;;#ASMSTART
	v_cvt_f32_f16 v13, v3;
	;;#ASMEND
	v_lshrrev_b32_e32 v3, 16, v63
	v_and_b32_e32 v14, 0xffff, v63
	;;#ASMSTART
	v_cvt_f32_f16 v14, v14;
	;;#ASMEND
	;;#ASMSTART
	v_cvt_f32_f16 v17, v3;
	;;#ASMEND
	v_and_b32_e32 v3, 0xffff, v29
	v_fmac_f32_e32 v25, v18, v28
	;;#ASMSTART
	v_cvt_f32_f16 v18, v3;
	;;#ASMEND
	v_and_b32_e32 v3, 0xffff, v4
	;;#ASMSTART
	v_cvt_f32_f16 v28, v3;
	;;#ASMEND
	ds_read_b64 v[3:4], v15 offset:24
	v_fmac_f32_e32 v23, v0, v11
	v_fmac_f32_e32 v25, v10, v13
	v_fmac_f32_e32 v26, v14, v18
	v_fmac_f32_e32 v27, v17, v28
	s_waitcnt lgkmcnt(0)
	v_lshrrev_b32_e32 v10, 16, v3
	v_and_b32_e32 v0, 0xffff, v3
	v_and_b32_e32 v3, 0xffff, v40
	;;#ASMSTART
	v_cvt_f32_f16 v0, v0;
	;;#ASMEND
	;;#ASMSTART
	v_cvt_f32_f16 v10, v10;
	;;#ASMEND
	;;#ASMSTART
	v_cvt_f32_f16 v11, v3;
	;;#ASMEND
	v_and_b32_e32 v3, 0xffff, v35
	;;#ASMSTART
	v_cvt_f32_f16 v13, v3;
	;;#ASMEND
	v_lshrrev_b32_e32 v3, 16, v4
	v_and_b32_e32 v4, 0xffff, v4
	;;#ASMSTART
	v_cvt_f32_f16 v14, v4;
	;;#ASMEND
	;;#ASMSTART
	v_cvt_f32_f16 v17, v3;
	;;#ASMEND
	v_and_b32_e32 v3, 0xffff, v34
	;;#ASMSTART
	v_cvt_f32_f16 v18, v3;
	;;#ASMEND
	v_and_b32_e32 v3, 0xffff, v33
	;;#ASMSTART
	v_cvt_f32_f16 v28, v3;
	;;#ASMEND
	ds_read_b64 v[3:4], v15 offset:32
	v_fmac_f32_e32 v23, v0, v11
	v_fmac_f32_e32 v25, v10, v13
	v_fmac_f32_e32 v26, v14, v18
	v_fmac_f32_e32 v27, v17, v28
	s_waitcnt lgkmcnt(0)
	v_lshrrev_b32_e32 v10, 16, v3
	v_and_b32_e32 v0, 0xffff, v3
	v_and_b32_e32 v3, 0xffff, v44
	;;#ASMSTART
	v_cvt_f32_f16 v0, v0;
	;;#ASMEND
	;;#ASMSTART
	v_cvt_f32_f16 v10, v10;
	;;#ASMEND
	;;#ASMSTART
	v_cvt_f32_f16 v11, v3;
	;;#ASMEND
	v_and_b32_e32 v3, 0xffff, v39
	;;#ASMSTART
	v_cvt_f32_f16 v13, v3;
	;;#ASMEND
	v_lshrrev_b32_e32 v3, 16, v4
	v_and_b32_e32 v4, 0xffff, v4
	;;#ASMSTART
	v_cvt_f32_f16 v14, v4;
	;;#ASMEND
	;;#ASMSTART
	v_cvt_f32_f16 v17, v3;
	;;#ASMEND
	v_and_b32_e32 v3, 0xffff, v38
	;; [unrolled: 38-line block ×7, first 2 shown]
	;;#ASMSTART
	v_cvt_f32_f16 v17, v3;
	;;#ASMEND
	v_and_b32_e32 v3, 0xffff, v57
	;;#ASMSTART
	v_cvt_f32_f16 v18, v3;
	;;#ASMEND
	ds_read_b64 v[3:4], v15 offset:80
	v_fmac_f32_e32 v23, v0, v11
	v_fmac_f32_e32 v25, v10, v12
	v_and_b32_e32 v1, 0xffff, v1
	v_fmac_f32_e32 v27, v14, v18
	s_waitcnt lgkmcnt(0)
	v_lshrrev_b32_e32 v10, 16, v3
	v_and_b32_e32 v0, 0xffff, v3
	v_and_b32_e32 v3, 0xffff, v9
	;;#ASMSTART
	v_cvt_f32_f16 v0, v0;
	;;#ASMEND
	;;#ASMSTART
	v_cvt_f32_f16 v10, v10;
	;;#ASMEND
	;; [unrolled: 3-line block ×3, first 2 shown]
	v_and_b32_e32 v3, 0xffff, v8
	;;#ASMSTART
	v_cvt_f32_f16 v8, v3;
	;;#ASMEND
	v_lshrrev_b32_e32 v3, 16, v4
	v_and_b32_e32 v4, 0xffff, v4
	;;#ASMSTART
	v_cvt_f32_f16 v11, v4;
	;;#ASMEND
	;;#ASMSTART
	v_cvt_f32_f16 v12, v3;
	;;#ASMEND
	v_and_b32_e32 v3, 0xffff, v7
	;;#ASMSTART
	v_cvt_f32_f16 v7, v3;
	;;#ASMEND
	;;#ASMSTART
	v_cvt_f32_f16 v1, v1;
	;;#ASMEND
	ds_read_b64 v[3:4], v15 offset:88
	v_fmac_f32_e32 v26, v13, v17
	v_fmac_f32_e32 v23, v0, v9
	v_fmac_f32_e32 v27, v12, v1
	v_fmac_f32_e32 v25, v10, v8
	s_waitcnt lgkmcnt(0)
	v_lshrrev_b32_e32 v1, 16, v3
	v_and_b32_e32 v0, 0xffff, v3
	v_and_b32_e32 v3, 0xffff, v24
	v_fmac_f32_e32 v26, v11, v7
	;;#ASMSTART
	v_cvt_f32_f16 v0, v0;
	;;#ASMEND
	;;#ASMSTART
	v_cvt_f32_f16 v1, v1;
	;;#ASMEND
	;; [unrolled: 3-line block ×3, first 2 shown]
	v_and_b32_e32 v7, 0xffff, v21
	;;#ASMSTART
	v_cvt_f32_f16 v7, v7;
	;;#ASMEND
	v_fmac_f32_e32 v23, v0, v3
	v_fmac_f32_e32 v25, v1, v7
	v_lshrrev_b32_e32 v1, 16, v4
	v_and_b32_e32 v0, 0xffff, v4
	v_and_b32_e32 v3, 0xffff, v22
	v_and_b32_e32 v4, 0xffff, v20
	;;#ASMSTART
	v_cvt_f32_f16 v0, v0;
	;;#ASMEND
	;;#ASMSTART
	v_cvt_f32_f16 v1, v1;
	;;#ASMEND
	;; [unrolled: 3-line block ×4, first 2 shown]
	buffer_load_dword v7, off, s[48:51], 0 offset:8 ; 4-byte Folded Reload
	v_fmac_f32_e32 v26, v0, v3
	v_add_f32_e32 v0, v23, v25
	v_fmac_f32_e32 v27, v1, v4
	v_add_f32_e32 v0, v0, v26
	v_add_f32_e32 v4, v27, v0
	s_waitcnt vmcnt(0)
	v_and_b32_e32 v1, 64, v7
	v_xor_b32_e32 v0, 1, v7
	v_add_u32_e32 v3, 64, v1
	v_cmp_lt_i32_e64 s[4:5], v0, v3
	v_cndmask_b32_e64 v0, v7, v0, s[4:5]
	v_lshlrev_b32_e32 v0, 2, v0
	ds_bpermute_b32 v7, v0, v4
	s_and_saveexec_b64 s[34:35], vcc
	s_cbranch_execz .LBB267_8
; %bb.298:                              ;   in Loop: Header=BB267_9 Depth=1
	buffer_load_dword v8, off, s[48:51], 0 offset:12 ; 4-byte Folded Reload
	buffer_load_dword v9, off, s[48:51], 0 offset:4 ; 4-byte Folded Reload
	v_add_u32_e32 v0, s41, v16
	v_cvt_f32_i32_e32 v0, v0
	s_waitcnt lgkmcnt(0)
	v_add_f32_e32 v4, v4, v7
	v_cmp_gt_i32_e64 s[4:5], s30, v16
	v_mul_f32_e32 v0, s33, v0
	v_cndmask_b32_e64 v0, 0, v0, s[2:3]
	v_fmac_f32_e32 v0, s31, v4
	v_cndmask_b32_e64 v4, 0, v0, s[4:5]
	s_waitcnt vmcnt(1)
	v_max_f32_e32 v7, v8, v8
	v_max_f32_e32 v0, v7, v0
	v_cndmask_b32_e64 v8, v8, v0, s[4:5]
	s_waitcnt vmcnt(0)
	ds_write_b32 v9, v4
	buffer_store_dword v8, off, s[48:51], 0 offset:12 ; 4-byte Folded Spill
	s_branch .LBB267_8
.LBB267_299:
	s_or_b64 exec, exec, s[18:19]
	buffer_load_dword v11, off, s[48:51], 0 offset:24 ; 4-byte Folded Reload
	buffer_load_dword v5, off, s[48:51], 0 offset:12 ; 4-byte Folded Reload
.LBB267_300:
	s_or_b64 exec, exec, s[6:7]
	buffer_load_dword v9, off, s[48:51], 0 offset:8 ; 4-byte Folded Reload
	s_waitcnt vmcnt(1)
	v_max_f32_e32 v0, v5, v5
	v_and_b32_e32 v14, 63, v11
	s_waitcnt vmcnt(0)
	v_xor_b32_e32 v2, 32, v9
	v_cmp_lt_i32_e32 vcc, v2, v3
	v_cndmask_b32_e32 v2, v9, v2, vcc
	v_lshlrev_b32_e32 v2, 2, v2
	ds_bpermute_b32 v4, v2, v5
	v_xor_b32_e32 v5, 16, v9
	v_cmp_lt_i32_e32 vcc, v5, v3
	v_xor_b32_e32 v6, 8, v9
	s_waitcnt lgkmcnt(0)
	v_xor_b32_e32 v7, 4, v9
	v_max_f32_e32 v4, v4, v4
	v_max_f32_e32 v4, v0, v4
	v_cndmask_b32_e32 v0, v9, v5, vcc
	v_lshlrev_b32_e32 v0, 2, v0
	ds_bpermute_b32 v5, v0, v4
	v_cmp_lt_i32_e32 vcc, v6, v3
	v_xor_b32_e32 v8, 2, v9
	s_waitcnt lgkmcnt(0)
	v_max_f32_e32 v5, v5, v5
	v_max_f32_e32 v5, v4, v5
	v_cndmask_b32_e32 v4, v9, v6, vcc
	v_lshlrev_b32_e32 v4, 2, v4
	ds_bpermute_b32 v6, v4, v5
	v_cmp_lt_i32_e32 vcc, v7, v3
	s_waitcnt lgkmcnt(0)
	v_max_f32_e32 v6, v6, v6
	v_max_f32_e32 v6, v5, v6
	v_cndmask_b32_e32 v5, v9, v7, vcc
	v_lshlrev_b32_e32 v5, 2, v5
	ds_bpermute_b32 v7, v5, v6
	v_cmp_lt_i32_e32 vcc, v8, v3
	s_waitcnt lgkmcnt(0)
	v_max_f32_e32 v7, v7, v7
	v_max_f32_e32 v7, v6, v7
	v_cndmask_b32_e32 v6, v9, v8, vcc
	v_lshlrev_b32_e32 v15, 2, v6
	buffer_load_dword v6, off, s[48:51], 0  ; 4-byte Folded Reload
	ds_bpermute_b32 v8, v15, v7
	v_cmp_eq_u32_e32 vcc, 0, v14
	s_waitcnt vmcnt(0)
	v_lshlrev_b32_e32 v6, 2, v6
	s_and_saveexec_b64 s[2:3], vcc
	s_cbranch_execz .LBB267_302
; %bb.301:
	s_waitcnt lgkmcnt(0)
	v_max_f32_e32 v8, v8, v8
	v_max_f32_e32 v7, v7, v7
	;; [unrolled: 1-line block ×3, first 2 shown]
	ds_write_b32 v6, v7 offset:192
.LBB267_302:
	s_or_b64 exec, exec, s[2:3]
	v_cmp_gt_u32_e64 s[2:3], 2, v14
	s_waitcnt lgkmcnt(0)
	v_mov_b32_e32 v8, 0xff7fffff
	v_lshlrev_b32_e32 v7, 2, v14
	s_barrier
	s_and_saveexec_b64 s[4:5], s[2:3]
; %bb.303:
	ds_read_b32 v8, v7 offset:192
; %bb.304:
	s_or_b64 exec, exec, s[4:5]
	buffer_load_dword v10, off, s[48:51], 0 offset:8 ; 4-byte Folded Reload
	v_lshlrev_b32_e32 v1, 2, v1
	s_waitcnt vmcnt(0)
	v_xor_b32_e32 v9, 1, v10
	v_cmp_lt_i32_e64 s[4:5], v9, v3
	v_cndmask_b32_e64 v3, v10, v9, s[4:5]
	v_lshlrev_b32_e32 v16, 2, v3
	s_waitcnt lgkmcnt(0)
	ds_bpermute_b32 v3, v16, v8
	v_max_f32_e32 v8, v8, v8
	s_lshl_b32 s4, s21, 5
	s_min_i32 s31, s4, s30
	v_cmp_gt_i32_e64 s[4:5], s31, v11
	s_waitcnt lgkmcnt(0)
	v_max_f32_e32 v3, v3, v3
	v_max_f32_e32 v3, v8, v3
	ds_bpermute_b32 v3, v1, v3
	v_mov_b32_e32 v1, 0
	s_and_saveexec_b64 s[12:13], s[4:5]
	s_cbranch_execz .LBB267_308
; %bb.305:
	v_mov_b32_e32 v1, 0xd0
	v_lshl_add_u32 v8, v11, 2, v1
	v_mov_b32_e32 v1, 0
	s_mov_b64 s[18:19], 0
	v_mov_b32_e32 v9, v11
.LBB267_306:                            ; =>This Inner Loop Header: Depth=1
	ds_read_b32 v10, v8
	v_add_u32_e32 v9, 0x80, v9
	v_cmp_le_i32_e64 s[6:7], s31, v9
	s_or_b64 s[18:19], s[6:7], s[18:19]
	s_waitcnt lgkmcnt(0)
	v_sub_f32_e32 v10, v10, v3
	v_mul_f32_e32 v10, 0x3fb8aa3b, v10
	v_exp_f32_e32 v10, v10
	ds_write_b32 v8, v10
	v_add_f32_e32 v1, v1, v10
	v_add_u32_e32 v8, 0x200, v8
	s_andn2_b64 exec, exec, s[18:19]
	s_cbranch_execnz .LBB267_306
; %bb.307:
	s_or_b64 exec, exec, s[18:19]
.LBB267_308:
	s_or_b64 exec, exec, s[12:13]
	ds_bpermute_b32 v2, v2, v1
	s_waitcnt lgkmcnt(0)
	v_add_f32_e32 v1, v1, v2
	ds_bpermute_b32 v0, v0, v1
	s_waitcnt lgkmcnt(0)
	v_add_f32_e32 v0, v1, v0
	;; [unrolled: 3-line block ×6, first 2 shown]
	s_and_saveexec_b64 s[6:7], vcc
; %bb.309:
	ds_write_b32 v6, v0 offset:200
; %bb.310:
	s_or_b64 exec, exec, s[6:7]
	s_waitcnt lgkmcnt(0)
	s_barrier
	s_and_saveexec_b64 s[6:7], s[2:3]
; %bb.311:
	ds_read_b32 v0, v7 offset:200
; %bb.312:
	s_or_b64 exec, exec, s[6:7]
	buffer_load_dword v2, off, s[48:51], 0 offset:8 ; 4-byte Folded Reload
	s_waitcnt lgkmcnt(0)
	ds_bpermute_b32 v1, v16, v0
	s_waitcnt lgkmcnt(0)
	v_add_f32_e32 v0, v0, v1
	s_waitcnt vmcnt(0)
	v_lshlrev_b32_e32 v2, 2, v2
	v_and_b32_e32 v1, 0xffffff00, v2
	ds_bpermute_b32 v0, v1, v0
	s_and_saveexec_b64 s[2:3], s[4:5]
	s_cbranch_execz .LBB267_315
; %bb.313:
	s_waitcnt lgkmcnt(0)
	v_add_f32_e32 v1, 0x358637bd, v0
	v_div_scale_f32 v0, s[4:5], v1, v1, 1.0
	v_div_scale_f32 v2, vcc, 1.0, v1, 1.0
	s_mov_b64 s[4:5], 0
	v_rcp_f32_e32 v3, v0
	v_fma_f32 v4, -v0, v3, 1.0
	v_fmac_f32_e32 v3, v4, v3
	v_mul_f32_e32 v4, v2, v3
	v_fma_f32 v5, -v0, v4, v2
	v_fmac_f32_e32 v4, v5, v3
	v_fma_f32 v0, -v0, v4, v2
	v_div_fmas_f32 v2, v0, v3, v4
	v_mov_b32_e32 v0, 0xd0
	v_lshl_add_u32 v0, v11, 2, v0
	v_div_fixup_f32 v1, v2, v1, 1.0
	v_mov_b32_e32 v2, v11
.LBB267_314:                            ; =>This Inner Loop Header: Depth=1
	ds_read_b32 v3, v0
	v_add_u32_e32 v2, 0x80, v2
	v_cmp_le_i32_e32 vcc, s31, v2
	s_or_b64 s[4:5], vcc, s[4:5]
	s_waitcnt lgkmcnt(0)
	v_mul_f32_e32 v3, v1, v3
	ds_write_b32 v0, v3
	v_add_u32_e32 v0, 0x200, v0
	s_andn2_b64 exec, exec, s[4:5]
	s_cbranch_execnz .LBB267_314
.LBB267_315:
	s_or_b64 exec, exec, s[2:3]
	v_mov_b32_e32 v21, 0
	v_and_b32_e32 v13, 3, v11
	v_mov_b32_e32 v22, 0
	v_mov_b32_e32 v20, 0
	;; [unrolled: 1-line block ×5, first 2 shown]
	s_waitcnt lgkmcnt(0)
	s_barrier
	s_and_saveexec_b64 s[2:3], s[0:1]
	s_cbranch_execz .LBB267_619
; %bb.316:
	buffer_load_dword v1, off, s[48:51], 0 offset:32 ; 4-byte Folded Reload
	buffer_load_dword v5, off, s[48:51], 0  ; 4-byte Folded Reload
	s_ashr_i32 s0, s16, 31
	s_add_u32 s1, s28, s16
	s_addc_u32 s0, s29, s0
	s_add_i32 s28, s21, -1
	v_mov_b32_e32 v4, s0
	s_mov_b32 s4, -1
	s_mov_b32 s31, s17
	s_mov_b32 s5, 0xffffff
	v_mov_b32_e32 v2, 0
	s_mov_b64 s[6:7], 0
	v_mov_b32_e32 v12, 0x2000
	v_mov_b32_e32 v17, 0
	;; [unrolled: 1-line block ×7, first 2 shown]
	s_waitcnt vmcnt(1)
	v_and_b32_e32 v0, 24, v1
	v_and_b32_e32 v1, 0x1f8, v1
	v_add_co_u32_e32 v3, vcc, s1, v1
	s_waitcnt vmcnt(0)
	v_lshlrev_b32_e32 v1, 5, v5
	v_or3_b32 v23, v1, v0, 7
	v_lshlrev_b32_e32 v0, 5, v13
	v_lshl_or_b32 v0, v5, 7, v0
	v_add_u32_e32 v24, 0xd0, v0
	buffer_load_dword v0, off, s[48:51], 0 offset:28 ; 4-byte Folded Reload
	s_lshl_b64 s[0:1], s[26:27], 2
	s_add_u32 s0, s24, s0
	v_addc_co_u32_e32 v4, vcc, 0, v4, vcc
	s_addc_u32 s1, s25, s1
	v_mov_b32_e32 v1, s1
	s_movk_i32 s24, 0x80
	s_movk_i32 s25, 0x7f
	s_mov_b32 s26, 0x8000
	s_waitcnt vmcnt(0)
	v_and_b32_e32 v0, 60, v0
	v_add_co_u32_e32 v5, vcc, s0, v0
	v_addc_co_u32_e32 v6, vcc, 0, v1, vcc
	s_branch .LBB267_318
.LBB267_317:                            ;   in Loop: Header=BB267_318 Depth=1
	s_or_b64 exec, exec, s[0:1]
	v_add_f32_e32 v8, v9, v10
	v_add_f32_e32 v18, v18, v8
	;; [unrolled: 1-line block ×9, first 2 shown]
	;;#ASMSTART
	v_pk_mul_f16 v7, v32, v7;

	;;#ASMEND
	;;#ASMSTART
	v_pk_mul_f16 v1, v33, v1;

	;;#ASMEND
	;; [unrolled: 4-line block ×3, first 2 shown]
	v_add_f32_e32 v21, v21, v8
	;;#ASMSTART
	v_pk_mul_f16 v8, v35, v44;

	;;#ASMEND
	;;#ASMSTART
	v_pk_add_f16 v1, v7, v1;

	;;#ASMEND
	;;#ASMSTART
	v_pk_add_f16 v0, v1, v0;
	;; [unrolled: 4-line block ×3, first 2 shown]

	;;#ASMEND
	v_lshrrev_b32_e32 v1, 16, v0
	v_and_b32_e32 v0, 0xffff, v0
	;;#ASMSTART
	v_cvt_f32_f16 v0, v0;
	;;#ASMEND
	;;#ASMSTART
	v_cvt_f32_f16 v1, v1;
	;;#ASMEND
	v_add_f32_e32 v0, v0, v1
	v_add_f32_e32 v17, v17, v0
	buffer_load_dword v0, off, s[48:51], 0  ; 4-byte Folded Reload
	v_add_u32_e32 v23, 64, v23
	v_add_u32_e32 v24, 0x100, v24
	s_waitcnt vmcnt(0)
	v_add_u32_e32 v0, 2, v0
	v_cmp_le_i32_e32 vcc, s21, v0
	s_or_b64 s[6:7], vcc, s[6:7]
	v_add_co_u32_e32 v5, vcc, 8, v5
	v_addc_co_u32_e32 v6, vcc, 0, v6, vcc
	buffer_store_dword v0, off, s[48:51], 0 ; 4-byte Folded Spill
	s_andn2_b64 exec, exec, s[6:7]
	s_cbranch_execz .LBB267_618
.LBB267_318:                            ; =>This Inner Loop Header: Depth=1
	global_load_dword v0, v[5:6], off
	ds_read2_b64 v[7:10], v24 offset1:1
	ds_read2_b64 v[25:28], v24 offset0:2 offset1:3
	s_waitcnt lgkmcnt(1)
	;;#ASMSTART
	v_cvt_f16_f32 v32, v7;

	;;#ASMEND
	;;#ASMSTART
	v_cvt_f16_f32 v33, v8;

	;;#ASMEND
	;; [unrolled: 4-line block ×4, first 2 shown]
	s_waitcnt lgkmcnt(0)
	;;#ASMSTART
	v_cvt_f16_f32 v36, v25;

	;;#ASMEND
	;;#ASMSTART
	v_cvt_f16_f32 v37, v26;

	;;#ASMEND
	;; [unrolled: 4-line block ×4, first 2 shown]
	v_mov_b32_e32 v27, 0
	s_waitcnt vmcnt(0)
	v_mad_i64_i32 v[7:8], s[0:1], v0, s31, v[3:4]
	global_load_dwordx2 v[9:10], v[7:8], off
	global_load_dword v26, v2, s[14:15]
	s_waitcnt vmcnt(1)
	v_cmp_ne_u16_sdwa s[12:13], v9, v2 src0_sel:BYTE_0 src1_sel:DWORD
	s_and_saveexec_b64 s[0:1], s[12:13]
	s_cbranch_execz .LBB267_324
; %bb.319:                              ;   in Loop: Header=BB267_318 Depth=1
	v_cmp_ne_u16_sdwa s[16:17], v9, s24 src0_sel:BYTE_0 src1_sel:DWORD
	v_mov_b32_e32 v27, 0x8000
	s_and_saveexec_b64 s[12:13], s[16:17]
	s_cbranch_execz .LBB267_323
; %bb.320:                              ;   in Loop: Header=BB267_318 Depth=1
	v_and_b32_e32 v0, 0x7f, v9
	v_cmp_ne_u32_e32 vcc, s25, v0
	v_mov_b32_e32 v27, 0x7c01
	s_and_saveexec_b64 s[16:17], vcc
	s_cbranch_execz .LBB267_322
; %bb.321:                              ;   in Loop: Header=BB267_318 Depth=1
	v_and_b32_e32 v1, 7, v9
	v_ffbh_u32_e32 v25, v1
	v_min_u32_e32 v25, 32, v25
	v_lshrrev_b32_e32 v11, 3, v0
	v_subrev_u32_e32 v27, 28, v25
	v_sub_u32_e32 v25, 29, v25
	v_cmp_gt_u32_e32 vcc, 8, v0
	v_lshlrev_b64 v[27:28], v27, v[9:10]
	v_cndmask_b32_e32 v0, v11, v25, vcc
	v_lshl_add_u32 v0, v0, 10, v12
	v_lshlrev_b32_e32 v11, 8, v9
	v_and_b32_e32 v25, 7, v27
	v_and_b32_e32 v0, 0xfc00, v0
	v_cndmask_b32_e32 v1, v1, v25, vcc
	v_and_or_b32 v0, v11, s26, v0
	v_lshl_or_b32 v27, v1, 7, v0
.LBB267_322:                            ;   in Loop: Header=BB267_318 Depth=1
	s_or_b64 exec, exec, s[16:17]
.LBB267_323:                            ;   in Loop: Header=BB267_318 Depth=1
	s_or_b64 exec, exec, s[12:13]
.LBB267_324:                            ;   in Loop: Header=BB267_318 Depth=1
	s_or_b64 exec, exec, s[0:1]
	v_lshrrev_b16_e32 v1, 8, v9
	v_cmp_ne_u16_e32 vcc, 0, v1
	v_mov_b32_e32 v29, 0
	v_mov_b32_e32 v28, 0
	s_and_saveexec_b64 s[0:1], vcc
	s_cbranch_execz .LBB267_330
; %bb.325:                              ;   in Loop: Header=BB267_318 Depth=1
	v_cmp_ne_u16_e32 vcc, s24, v1
	v_bfrev_b32_e32 v28, 1
	s_and_saveexec_b64 s[12:13], vcc
	s_cbranch_execz .LBB267_329
; %bb.326:                              ;   in Loop: Header=BB267_318 Depth=1
	v_and_b32_e32 v0, 0x7f, v1
	v_cmp_ne_u32_e32 vcc, s25, v0
	v_mov_b32_e32 v28, 0x7c010000
	s_and_saveexec_b64 s[16:17], vcc
	s_cbranch_execz .LBB267_328
; %bb.327:                              ;   in Loop: Header=BB267_318 Depth=1
	v_and_b32_e32 v11, 7, v1
	v_ffbh_u32_e32 v28, v11
	v_min_u32_e32 v28, 32, v28
	v_lshrrev_b32_e32 v25, 3, v0
	v_subrev_u32_e32 v30, 28, v28
	v_sub_u32_e32 v28, 29, v28
	v_cmp_gt_u32_e32 vcc, 8, v0
	v_lshlrev_b64 v[30:31], v30, v[1:2]
	v_cndmask_b32_e32 v0, v25, v28, vcc
	v_lshlrev_b32_e32 v1, 8, v1
	v_lshl_add_u32 v0, v0, 10, v12
	v_and_b32_e32 v25, 7, v30
	v_and_or_b32 v0, v1, s26, v0
	v_cndmask_b32_e32 v11, v11, v25, vcc
	v_lshlrev_b32_e32 v0, 16, v0
	v_lshl_or_b32 v28, v11, 23, v0
.LBB267_328:                            ;   in Loop: Header=BB267_318 Depth=1
	s_or_b64 exec, exec, s[16:17]
.LBB267_329:                            ;   in Loop: Header=BB267_318 Depth=1
	s_or_b64 exec, exec, s[12:13]
.LBB267_330:                            ;   in Loop: Header=BB267_318 Depth=1
	s_or_b64 exec, exec, s[0:1]
	v_lshrrev_b32_e32 v1, 16, v9
	v_cmp_ne_u16_sdwa s[12:13], v1, v2 src0_sel:BYTE_0 src1_sel:DWORD
	s_and_saveexec_b64 s[0:1], s[12:13]
	s_cbranch_execz .LBB267_336
; %bb.331:                              ;   in Loop: Header=BB267_318 Depth=1
	v_cmp_ne_u16_sdwa s[16:17], v1, s24 src0_sel:BYTE_0 src1_sel:DWORD
	v_mov_b32_e32 v29, 0x8000
	s_and_saveexec_b64 s[12:13], s[16:17]
	s_cbranch_execz .LBB267_335
; %bb.332:                              ;   in Loop: Header=BB267_318 Depth=1
	v_bfe_u32 v0, v9, 16, 7
	v_cmp_ne_u32_e32 vcc, s25, v0
	v_mov_b32_e32 v29, 0x7c01
	s_and_saveexec_b64 s[16:17], vcc
	s_cbranch_execz .LBB267_334
; %bb.333:                              ;   in Loop: Header=BB267_318 Depth=1
	v_and_b32_e32 v11, 7, v1
	v_ffbh_u32_e32 v29, v11
	v_min_u32_e32 v31, 32, v29
	v_subrev_u32_e32 v29, 28, v31
	v_lshlrev_b64 v[29:30], v29, v[1:2]
	v_lshrrev_b32_e32 v25, 3, v0
	v_sub_u32_e32 v30, 29, v31
	v_cmp_gt_u32_e32 vcc, 8, v0
	v_cndmask_b32_e32 v0, v25, v30, vcc
	v_lshl_add_u32 v0, v0, 10, v12
	v_lshlrev_b32_e32 v1, 8, v1
	v_and_b32_e32 v25, 7, v29
	v_and_b32_e32 v0, 0xfc00, v0
	v_cndmask_b32_e32 v11, v11, v25, vcc
	v_and_or_b32 v0, v1, s26, v0
	v_lshl_or_b32 v29, v11, 7, v0
.LBB267_334:                            ;   in Loop: Header=BB267_318 Depth=1
	s_or_b64 exec, exec, s[16:17]
.LBB267_335:                            ;   in Loop: Header=BB267_318 Depth=1
	s_or_b64 exec, exec, s[12:13]
.LBB267_336:                            ;   in Loop: Header=BB267_318 Depth=1
	s_or_b64 exec, exec, s[0:1]
	v_cmp_lt_u32_e32 vcc, s5, v9
	v_mov_b32_e32 v30, 0
	v_mov_b32_e32 v31, 0
	s_and_saveexec_b64 s[0:1], vcc
	s_cbranch_execz .LBB267_342
; %bb.337:                              ;   in Loop: Header=BB267_318 Depth=1
	v_lshrrev_b32_e32 v1, 24, v9
	v_cmp_ne_u32_e32 vcc, s24, v1
	v_bfrev_b32_e32 v31, 1
	s_and_saveexec_b64 s[12:13], vcc
	s_cbranch_execz .LBB267_341
; %bb.338:                              ;   in Loop: Header=BB267_318 Depth=1
	v_and_b32_e32 v0, 0x7f, v1
	v_cmp_ne_u32_e32 vcc, s25, v0
	v_mov_b32_e32 v31, 0x7c010000
	s_and_saveexec_b64 s[16:17], vcc
	s_cbranch_execz .LBB267_340
; %bb.339:                              ;   in Loop: Header=BB267_318 Depth=1
	v_and_b32_e32 v11, 7, v1
	v_ffbh_u32_e32 v31, v11
	v_min_u32_e32 v31, 32, v31
	v_lshrrev_b32_e32 v25, 3, v0
	v_subrev_u32_e32 v40, 28, v31
	v_sub_u32_e32 v31, 29, v31
	v_cmp_gt_u32_e32 vcc, 8, v0
	v_lshlrev_b64 v[40:41], v40, v[1:2]
	v_cndmask_b32_e32 v0, v25, v31, vcc
	v_lshlrev_b32_e32 v1, 8, v1
	v_lshl_add_u32 v0, v0, 10, v12
	v_and_b32_e32 v25, 7, v40
	v_and_or_b32 v0, v1, s26, v0
	v_cndmask_b32_e32 v11, v11, v25, vcc
	v_lshlrev_b32_e32 v0, 16, v0
	v_lshl_or_b32 v31, v11, 23, v0
.LBB267_340:                            ;   in Loop: Header=BB267_318 Depth=1
	s_or_b64 exec, exec, s[16:17]
.LBB267_341:                            ;   in Loop: Header=BB267_318 Depth=1
	s_or_b64 exec, exec, s[12:13]
.LBB267_342:                            ;   in Loop: Header=BB267_318 Depth=1
	s_or_b64 exec, exec, s[0:1]
	v_mov_b32_e32 v1, v10
	v_cmp_ne_u16_sdwa s[12:13], v10, v2 src0_sel:BYTE_0 src1_sel:DWORD
	s_and_saveexec_b64 s[0:1], s[12:13]
	s_cbranch_execz .LBB267_348
; %bb.343:                              ;   in Loop: Header=BB267_318 Depth=1
	v_cmp_ne_u16_sdwa s[16:17], v10, s24 src0_sel:BYTE_0 src1_sel:DWORD
	v_mov_b32_e32 v30, 0x8000
	s_and_saveexec_b64 s[12:13], s[16:17]
	s_cbranch_execz .LBB267_347
; %bb.344:                              ;   in Loop: Header=BB267_318 Depth=1
	v_and_b32_e32 v0, 0x7f, v10
	v_cmp_ne_u32_e32 vcc, s25, v0
	v_mov_b32_e32 v30, 0x7c01
	s_and_saveexec_b64 s[16:17], vcc
	s_cbranch_execz .LBB267_346
; %bb.345:                              ;   in Loop: Header=BB267_318 Depth=1
	v_and_b32_e32 v11, 7, v10
	v_ffbh_u32_e32 v30, v11
	v_min_u32_e32 v30, 32, v30
	v_lshrrev_b32_e32 v25, 3, v0
	v_subrev_u32_e32 v40, 28, v30
	v_sub_u32_e32 v30, 29, v30
	v_cmp_gt_u32_e32 vcc, 8, v0
	v_lshlrev_b64 v[40:41], v40, v[1:2]
	v_cndmask_b32_e32 v0, v25, v30, vcc
	v_lshl_add_u32 v0, v0, 10, v12
	v_lshlrev_b32_e32 v25, 8, v10
	v_and_b32_e32 v30, 7, v40
	v_and_b32_e32 v0, 0xfc00, v0
	v_cndmask_b32_e32 v11, v11, v30, vcc
	v_and_or_b32 v0, v25, s26, v0
	v_lshl_or_b32 v30, v11, 7, v0
.LBB267_346:                            ;   in Loop: Header=BB267_318 Depth=1
	s_or_b64 exec, exec, s[16:17]
.LBB267_347:                            ;   in Loop: Header=BB267_318 Depth=1
	s_or_b64 exec, exec, s[12:13]
.LBB267_348:                            ;   in Loop: Header=BB267_318 Depth=1
	s_or_b64 exec, exec, s[0:1]
	v_lshrrev_b16_e32 v1, 8, v1
	v_cmp_ne_u16_e32 vcc, 0, v1
	v_mov_b32_e32 v0, 0
	v_mov_b32_e32 v40, 0
	s_and_saveexec_b64 s[0:1], vcc
	s_cbranch_execz .LBB267_354
; %bb.349:                              ;   in Loop: Header=BB267_318 Depth=1
	v_cmp_ne_u16_e32 vcc, s24, v1
	v_bfrev_b32_e32 v40, 1
	s_and_saveexec_b64 s[12:13], vcc
	s_cbranch_execz .LBB267_353
; %bb.350:                              ;   in Loop: Header=BB267_318 Depth=1
	v_and_b32_e32 v25, 0x7f, v1
	v_cmp_ne_u32_e32 vcc, s25, v25
	v_mov_b32_e32 v40, 0x7c010000
	s_and_saveexec_b64 s[16:17], vcc
	s_cbranch_execz .LBB267_352
; %bb.351:                              ;   in Loop: Header=BB267_318 Depth=1
	v_and_b32_e32 v11, 7, v1
	v_ffbh_u32_e32 v40, v11
	v_min_u32_e32 v43, 32, v40
	v_subrev_u32_e32 v40, 28, v43
	v_lshlrev_b64 v[40:41], v40, v[1:2]
	v_lshrrev_b32_e32 v42, 3, v25
	v_sub_u32_e32 v41, 29, v43
	v_cmp_gt_u32_e32 vcc, 8, v25
	v_cndmask_b32_e32 v25, v42, v41, vcc
	v_lshlrev_b32_e32 v1, 8, v1
	v_lshl_add_u32 v25, v25, 10, v12
	v_and_b32_e32 v40, 7, v40
	v_and_or_b32 v1, v1, s26, v25
	v_cndmask_b32_e32 v11, v11, v40, vcc
	v_lshlrev_b32_e32 v1, 16, v1
	v_lshl_or_b32 v40, v11, 23, v1
.LBB267_352:                            ;   in Loop: Header=BB267_318 Depth=1
	s_or_b64 exec, exec, s[16:17]
.LBB267_353:                            ;   in Loop: Header=BB267_318 Depth=1
	s_or_b64 exec, exec, s[12:13]
.LBB267_354:                            ;   in Loop: Header=BB267_318 Depth=1
	s_or_b64 exec, exec, s[0:1]
	v_lshrrev_b32_e32 v1, 16, v10
	v_cmp_ne_u16_sdwa s[12:13], v1, v2 src0_sel:BYTE_0 src1_sel:DWORD
	s_and_saveexec_b64 s[0:1], s[12:13]
	s_cbranch_execz .LBB267_360
; %bb.355:                              ;   in Loop: Header=BB267_318 Depth=1
	v_cmp_ne_u16_sdwa s[16:17], v1, s24 src0_sel:BYTE_0 src1_sel:DWORD
	v_mov_b32_e32 v0, 0x8000
	s_and_saveexec_b64 s[12:13], s[16:17]
	s_cbranch_execz .LBB267_359
; %bb.356:                              ;   in Loop: Header=BB267_318 Depth=1
	v_bfe_u32 v25, v10, 16, 7
	v_cmp_ne_u32_e32 vcc, s25, v25
	v_mov_b32_e32 v0, 0x7c01
	s_and_saveexec_b64 s[16:17], vcc
	s_cbranch_execz .LBB267_358
; %bb.357:                              ;   in Loop: Header=BB267_318 Depth=1
	v_and_b32_e32 v0, 7, v1
	v_ffbh_u32_e32 v41, v0
	v_min_u32_e32 v43, 32, v41
	v_subrev_u32_e32 v41, 28, v43
	v_lshlrev_b64 v[41:42], v41, v[1:2]
	v_lshrrev_b32_e32 v11, 3, v25
	v_sub_u32_e32 v42, 29, v43
	v_cmp_gt_u32_e32 vcc, 8, v25
	v_cndmask_b32_e32 v11, v11, v42, vcc
	v_lshl_add_u32 v11, v11, 10, v12
	v_lshlrev_b32_e32 v1, 8, v1
	v_and_b32_e32 v25, 7, v41
	v_and_b32_e32 v11, 0xfc00, v11
	v_cndmask_b32_e32 v0, v0, v25, vcc
	v_and_or_b32 v1, v1, s26, v11
	v_lshl_or_b32 v0, v0, 7, v1
.LBB267_358:                            ;   in Loop: Header=BB267_318 Depth=1
	s_or_b64 exec, exec, s[16:17]
.LBB267_359:                            ;   in Loop: Header=BB267_318 Depth=1
	s_or_b64 exec, exec, s[12:13]
.LBB267_360:                            ;   in Loop: Header=BB267_318 Depth=1
	s_or_b64 exec, exec, s[0:1]
	v_cmp_lt_u64_e32 vcc, s[4:5], v[9:10]
	v_mov_b32_e32 v41, 0
	s_and_saveexec_b64 s[0:1], vcc
	s_cbranch_execz .LBB267_366
; %bb.361:                              ;   in Loop: Header=BB267_318 Depth=1
	v_lshrrev_b32_e32 v1, 24, v10
	v_cmp_ne_u32_e32 vcc, s24, v1
	v_bfrev_b32_e32 v41, 1
	s_and_saveexec_b64 s[12:13], vcc
	s_cbranch_execz .LBB267_365
; %bb.362:                              ;   in Loop: Header=BB267_318 Depth=1
	v_and_b32_e32 v9, 0x7f, v1
	v_cmp_ne_u32_e32 vcc, s25, v9
	v_mov_b32_e32 v41, 0x7c010000
	s_and_saveexec_b64 s[16:17], vcc
	s_cbranch_execz .LBB267_364
; %bb.363:                              ;   in Loop: Header=BB267_318 Depth=1
	v_and_b32_e32 v10, 7, v1
	v_ffbh_u32_e32 v25, v10
	v_min_u32_e32 v25, 32, v25
	v_lshrrev_b32_e32 v11, 3, v9
	v_subrev_u32_e32 v41, 28, v25
	v_sub_u32_e32 v25, 29, v25
	v_cmp_gt_u32_e32 vcc, 8, v9
	v_lshlrev_b64 v[41:42], v41, v[1:2]
	v_cndmask_b32_e32 v9, v11, v25, vcc
	v_lshlrev_b32_e32 v1, 8, v1
	v_lshl_add_u32 v9, v9, 10, v12
	v_and_b32_e32 v11, 7, v41
	v_and_or_b32 v1, v1, s26, v9
	v_cndmask_b32_e32 v10, v10, v11, vcc
	v_lshlrev_b32_e32 v1, 16, v1
	v_lshl_or_b32 v41, v10, 23, v1
.LBB267_364:                            ;   in Loop: Header=BB267_318 Depth=1
	s_or_b64 exec, exec, s[16:17]
.LBB267_365:                            ;   in Loop: Header=BB267_318 Depth=1
	s_or_b64 exec, exec, s[12:13]
.LBB267_366:                            ;   in Loop: Header=BB267_318 Depth=1
	s_or_b64 exec, exec, s[0:1]
	buffer_load_dword v1, off, s[48:51], 0  ; 4-byte Folded Reload
	s_waitcnt vmcnt(1)
	v_fma_mixlo_f16 v9, v26, v31, 0 op_sel:[0,1,0] op_sel_hi:[0,1,0]
	v_fma_mixlo_f16 v10, v26, v28, 0 op_sel:[0,1,0] op_sel_hi:[0,1,0]
	v_lshlrev_b32_e32 v42, 16, v9
	v_or_b32_e32 v9, v28, v27
	v_lshlrev_b32_e32 v44, 16, v10
	v_or_b32_e32 v10, v40, v30
	v_fma_mixlo_f16 v11, v26, v40, 0 op_sel:[0,1,0] op_sel_hi:[0,1,0]
	v_or_b32_e32 v0, v41, v0
	v_fma_mixlo_f16 v9, v26, v9, 0 op_sel_hi:[0,1,0]
	v_lshlrev_b32_e32 v40, 16, v11
	v_fma_mixlo_f16 v10, v26, v10, 0 op_sel_hi:[0,1,0]
	v_fma_mixlo_f16 v0, v26, v0, 0 op_sel_hi:[0,1,0]
	v_fma_mixlo_f16 v11, v26, v41, 0 op_sel:[0,1,0] op_sel_hi:[0,1,0]
	v_and_b32_e32 v47, 0xffff, v9
	v_and_b32_e32 v45, 0xffff, v10
	v_lshlrev_b32_e32 v41, 16, v11
	v_and_b32_e32 v46, 0xffff, v0
	v_add_u32_e32 v25, -7, v23
	v_or_b32_e32 v9, v44, v47
	v_or_b32_e32 v10, v40, v45
	;; [unrolled: 1-line block ×3, first 2 shown]
	v_add_u32_e32 v30, -5, v23
	v_add_u32_e32 v28, -3, v23
	;; [unrolled: 1-line block ×3, first 2 shown]
	s_waitcnt vmcnt(0)
	v_cmp_eq_u32_e32 vcc, s28, v1
	v_or_b32_e32 v1, v31, v29
	v_fma_mixlo_f16 v1, v26, v1, 0 op_sel_hi:[0,1,0]
	v_and_b32_e32 v43, 0xffff, v1
	v_or_b32_e32 v1, v42, v43
	v_add_u32_e32 v31, -6, v23
	v_add_u32_e32 v29, -4, v23
	;; [unrolled: 1-line block ×3, first 2 shown]
	s_and_saveexec_b64 s[12:13], vcc
	s_cbranch_execz .LBB267_368
; %bb.367:                              ;   in Loop: Header=BB267_318 Depth=1
	v_cmp_gt_i32_e64 s[0:1], s30, v25
	v_cndmask_b32_e64 v0, 0, v47, s[0:1]
	v_cmp_gt_i32_e64 s[0:1], s30, v31
	v_cndmask_b32_e64 v1, 0, v44, s[0:1]
	v_cmp_gt_i32_e64 s[0:1], s30, v30
	v_or_b32_e32 v9, v1, v0
	v_cndmask_b32_e64 v0, 0, v43, s[0:1]
	v_cmp_gt_i32_e64 s[0:1], s30, v29
	v_cndmask_b32_e64 v1, 0, v42, s[0:1]
	v_cmp_gt_i32_e64 s[0:1], s30, v28
	v_or_b32_e32 v1, v1, v0
	;; [unrolled: 5-line block ×3, first 2 shown]
	v_cndmask_b32_e64 v0, 0, v46, s[0:1]
	v_cmp_gt_i32_e64 s[0:1], s30, v23
	v_cndmask_b32_e64 v11, 0, v41, s[0:1]
	v_or_b32_e32 v0, v11, v0
.LBB267_368:                            ;   in Loop: Header=BB267_318 Depth=1
	s_or_b64 exec, exec, s[12:13]
	v_and_b32_e32 v11, 0xffff, v32
	v_lshl_or_b32 v32, v33, 16, v11
	v_and_b32_e32 v11, 0xffff, v34
	v_lshl_or_b32 v33, v35, 16, v11
	v_and_b32_e32 v11, 0xffff, v36
	v_lshl_or_b32 v34, v37, 16, v11
	v_and_b32_e32 v11, 0xffff, v38
	;;#ASMSTART
	v_pk_mul_f16 v9, v32, v9;

	;;#ASMEND
	;;#ASMSTART
	v_pk_mul_f16 v1, v33, v1;

	;;#ASMEND
	v_lshl_or_b32 v35, v39, 16, v11
	;;#ASMSTART
	v_pk_mul_f16 v10, v34, v10;

	;;#ASMEND
	;;#ASMSTART
	v_pk_mul_f16 v0, v35, v0;

	;;#ASMEND
	;;#ASMSTART
	v_pk_add_f16 v1, v9, v1;

	;;#ASMEND
	;;#ASMSTART
	v_pk_add_f16 v1, v1, v10;
	;; [unrolled: 4-line block ×3, first 2 shown]

	;;#ASMEND
	v_lshrrev_b32_e32 v1, 16, v0
	v_and_b32_e32 v0, 0xffff, v0
	;;#ASMSTART
	v_cvt_f32_f16 v36, v0;
	;;#ASMEND
	;;#ASMSTART
	v_cvt_f32_f16 v37, v1;
	;;#ASMEND
	global_load_dwordx2 v[9:10], v[7:8], off offset:512
	v_mov_b32_e32 v39, 0
	global_load_dword v38, v39, s[14:15]
	v_mov_b32_e32 v40, 0
	s_waitcnt vmcnt(1)
	v_cmp_ne_u16_sdwa s[0:1], v9, v2 src0_sel:BYTE_0 src1_sel:DWORD
	s_and_saveexec_b64 s[12:13], s[0:1]
	s_cbranch_execz .LBB267_374
; %bb.369:                              ;   in Loop: Header=BB267_318 Depth=1
	v_cmp_ne_u16_sdwa s[0:1], v9, s24 src0_sel:BYTE_0 src1_sel:DWORD
	v_mov_b32_e32 v40, 0x8000
	s_and_saveexec_b64 s[16:17], s[0:1]
	s_cbranch_execz .LBB267_373
; %bb.370:                              ;   in Loop: Header=BB267_318 Depth=1
	v_and_b32_e32 v0, 0x7f, v9
	v_cmp_ne_u32_e64 s[0:1], s25, v0
	v_mov_b32_e32 v40, 0x7c01
	s_and_saveexec_b64 s[18:19], s[0:1]
	s_cbranch_execz .LBB267_372
; %bb.371:                              ;   in Loop: Header=BB267_318 Depth=1
	v_and_b32_e32 v1, 7, v9
	v_ffbh_u32_e32 v40, v1
	v_min_u32_e32 v42, 32, v40
	v_subrev_u32_e32 v40, 28, v42
	v_lshlrev_b64 v[40:41], v40, v[9:10]
	v_lshrrev_b32_e32 v11, 3, v0
	v_sub_u32_e32 v41, 29, v42
	v_cmp_gt_u32_e64 s[0:1], 8, v0
	v_cndmask_b32_e64 v0, v11, v41, s[0:1]
	v_lshl_add_u32 v0, v0, 10, v12
	v_lshlrev_b32_e32 v11, 8, v9
	v_and_b32_e32 v40, 7, v40
	v_and_b32_e32 v0, 0xfc00, v0
	v_cndmask_b32_e64 v1, v1, v40, s[0:1]
	v_and_or_b32 v0, v11, s26, v0
	v_lshl_or_b32 v40, v1, 7, v0
.LBB267_372:                            ;   in Loop: Header=BB267_318 Depth=1
	s_or_b64 exec, exec, s[18:19]
.LBB267_373:                            ;   in Loop: Header=BB267_318 Depth=1
	s_or_b64 exec, exec, s[16:17]
.LBB267_374:                            ;   in Loop: Header=BB267_318 Depth=1
	s_or_b64 exec, exec, s[12:13]
	v_lshrrev_b16_e32 v1, 8, v9
	v_cmp_ne_u16_e64 s[0:1], 0, v1
	s_and_saveexec_b64 s[12:13], s[0:1]
	s_cbranch_execz .LBB267_380
; %bb.375:                              ;   in Loop: Header=BB267_318 Depth=1
	v_cmp_ne_u16_e64 s[0:1], s24, v1
	v_bfrev_b32_e32 v39, 1
	s_and_saveexec_b64 s[16:17], s[0:1]
	s_cbranch_execz .LBB267_379
; %bb.376:                              ;   in Loop: Header=BB267_318 Depth=1
	v_and_b32_e32 v0, 0x7f, v1
	v_cmp_ne_u32_e64 s[0:1], s25, v0
	v_mov_b32_e32 v39, 0x7c010000
	s_and_saveexec_b64 s[18:19], s[0:1]
	s_cbranch_execz .LBB267_378
; %bb.377:                              ;   in Loop: Header=BB267_318 Depth=1
	v_and_b32_e32 v11, 7, v1
	v_ffbh_u32_e32 v41, v11
	v_min_u32_e32 v43, 32, v41
	v_subrev_u32_e32 v41, 28, v43
	v_lshlrev_b64 v[41:42], v41, v[1:2]
	v_lshrrev_b32_e32 v39, 3, v0
	v_sub_u32_e32 v42, 29, v43
	v_cmp_gt_u32_e64 s[0:1], 8, v0
	v_cndmask_b32_e64 v0, v39, v42, s[0:1]
	v_lshlrev_b32_e32 v1, 8, v1
	v_lshl_add_u32 v0, v0, 10, v12
	v_and_b32_e32 v39, 7, v41
	v_and_or_b32 v0, v1, s26, v0
	v_cndmask_b32_e64 v11, v11, v39, s[0:1]
	v_lshlrev_b32_e32 v0, 16, v0
	v_lshl_or_b32 v39, v11, 23, v0
.LBB267_378:                            ;   in Loop: Header=BB267_318 Depth=1
	s_or_b64 exec, exec, s[18:19]
.LBB267_379:                            ;   in Loop: Header=BB267_318 Depth=1
	s_or_b64 exec, exec, s[16:17]
.LBB267_380:                            ;   in Loop: Header=BB267_318 Depth=1
	s_or_b64 exec, exec, s[12:13]
	v_lshrrev_b32_e32 v1, 16, v9
	v_cmp_ne_u16_sdwa s[0:1], v1, v2 src0_sel:BYTE_0 src1_sel:DWORD
	v_mov_b32_e32 v41, 0
	v_mov_b32_e32 v42, 0
	s_and_saveexec_b64 s[12:13], s[0:1]
	s_cbranch_execz .LBB267_386
; %bb.381:                              ;   in Loop: Header=BB267_318 Depth=1
	v_cmp_ne_u16_sdwa s[0:1], v1, s24 src0_sel:BYTE_0 src1_sel:DWORD
	v_mov_b32_e32 v42, 0x8000
	s_and_saveexec_b64 s[16:17], s[0:1]
	s_cbranch_execz .LBB267_385
; %bb.382:                              ;   in Loop: Header=BB267_318 Depth=1
	v_bfe_u32 v0, v9, 16, 7
	v_cmp_ne_u32_e64 s[0:1], s25, v0
	v_mov_b32_e32 v42, 0x7c01
	s_and_saveexec_b64 s[18:19], s[0:1]
	s_cbranch_execz .LBB267_384
; %bb.383:                              ;   in Loop: Header=BB267_318 Depth=1
	v_and_b32_e32 v11, 7, v1
	v_ffbh_u32_e32 v42, v11
	v_min_u32_e32 v45, 32, v42
	v_subrev_u32_e32 v42, 28, v45
	v_lshlrev_b64 v[42:43], v42, v[1:2]
	v_lshrrev_b32_e32 v44, 3, v0
	v_sub_u32_e32 v43, 29, v45
	v_cmp_gt_u32_e64 s[0:1], 8, v0
	v_cndmask_b32_e64 v0, v44, v43, s[0:1]
	v_lshl_add_u32 v0, v0, 10, v12
	v_lshlrev_b32_e32 v1, 8, v1
	v_and_b32_e32 v42, 7, v42
	v_and_b32_e32 v0, 0xfc00, v0
	v_cndmask_b32_e64 v11, v11, v42, s[0:1]
	v_and_or_b32 v0, v1, s26, v0
	v_lshl_or_b32 v42, v11, 7, v0
.LBB267_384:                            ;   in Loop: Header=BB267_318 Depth=1
	s_or_b64 exec, exec, s[18:19]
.LBB267_385:                            ;   in Loop: Header=BB267_318 Depth=1
	s_or_b64 exec, exec, s[16:17]
.LBB267_386:                            ;   in Loop: Header=BB267_318 Depth=1
	s_or_b64 exec, exec, s[12:13]
	v_cmp_lt_u32_e64 s[0:1], s5, v9
	s_and_saveexec_b64 s[12:13], s[0:1]
	s_cbranch_execz .LBB267_392
; %bb.387:                              ;   in Loop: Header=BB267_318 Depth=1
	v_lshrrev_b32_e32 v1, 24, v9
	v_cmp_ne_u32_e64 s[0:1], s24, v1
	v_bfrev_b32_e32 v41, 1
	s_and_saveexec_b64 s[16:17], s[0:1]
	s_cbranch_execz .LBB267_391
; %bb.388:                              ;   in Loop: Header=BB267_318 Depth=1
	v_and_b32_e32 v0, 0x7f, v1
	v_cmp_ne_u32_e64 s[0:1], s25, v0
	v_mov_b32_e32 v41, 0x7c010000
	s_and_saveexec_b64 s[18:19], s[0:1]
	s_cbranch_execz .LBB267_390
; %bb.389:                              ;   in Loop: Header=BB267_318 Depth=1
	v_and_b32_e32 v11, 7, v1
	v_ffbh_u32_e32 v43, v11
	v_min_u32_e32 v45, 32, v43
	v_subrev_u32_e32 v43, 28, v45
	v_lshlrev_b64 v[43:44], v43, v[1:2]
	v_lshrrev_b32_e32 v41, 3, v0
	v_sub_u32_e32 v44, 29, v45
	v_cmp_gt_u32_e64 s[0:1], 8, v0
	v_cndmask_b32_e64 v0, v41, v44, s[0:1]
	v_lshlrev_b32_e32 v1, 8, v1
	v_lshl_add_u32 v0, v0, 10, v12
	v_and_b32_e32 v41, 7, v43
	v_and_or_b32 v0, v1, s26, v0
	v_cndmask_b32_e64 v11, v11, v41, s[0:1]
	v_lshlrev_b32_e32 v0, 16, v0
	v_lshl_or_b32 v41, v11, 23, v0
.LBB267_390:                            ;   in Loop: Header=BB267_318 Depth=1
	s_or_b64 exec, exec, s[18:19]
.LBB267_391:                            ;   in Loop: Header=BB267_318 Depth=1
	s_or_b64 exec, exec, s[16:17]
.LBB267_392:                            ;   in Loop: Header=BB267_318 Depth=1
	s_or_b64 exec, exec, s[12:13]
	v_mov_b32_e32 v1, v10
	v_cmp_ne_u16_sdwa s[0:1], v10, v2 src0_sel:BYTE_0 src1_sel:DWORD
	v_mov_b32_e32 v0, 0
	v_mov_b32_e32 v43, 0
	s_and_saveexec_b64 s[12:13], s[0:1]
	s_cbranch_execz .LBB267_398
; %bb.393:                              ;   in Loop: Header=BB267_318 Depth=1
	v_cmp_ne_u16_sdwa s[0:1], v10, s24 src0_sel:BYTE_0 src1_sel:DWORD
	v_mov_b32_e32 v43, 0x8000
	s_and_saveexec_b64 s[16:17], s[0:1]
	s_cbranch_execz .LBB267_397
; %bb.394:                              ;   in Loop: Header=BB267_318 Depth=1
	v_and_b32_e32 v44, 0x7f, v10
	v_cmp_ne_u32_e64 s[0:1], s25, v44
	v_mov_b32_e32 v43, 0x7c01
	s_and_saveexec_b64 s[18:19], s[0:1]
	s_cbranch_execz .LBB267_396
; %bb.395:                              ;   in Loop: Header=BB267_318 Depth=1
	v_and_b32_e32 v11, 7, v10
	v_ffbh_u32_e32 v45, v11
	v_min_u32_e32 v47, 32, v45
	v_subrev_u32_e32 v45, 28, v47
	v_lshlrev_b64 v[45:46], v45, v[1:2]
	v_lshrrev_b32_e32 v43, 3, v44
	v_sub_u32_e32 v46, 29, v47
	v_cmp_gt_u32_e64 s[0:1], 8, v44
	v_cndmask_b32_e64 v43, v43, v46, s[0:1]
	v_lshl_add_u32 v43, v43, 10, v12
	v_lshlrev_b32_e32 v44, 8, v10
	v_and_b32_e32 v45, 7, v45
	v_and_b32_e32 v43, 0xfc00, v43
	v_cndmask_b32_e64 v11, v11, v45, s[0:1]
	v_and_or_b32 v43, v44, s26, v43
	v_lshl_or_b32 v43, v11, 7, v43
.LBB267_396:                            ;   in Loop: Header=BB267_318 Depth=1
	s_or_b64 exec, exec, s[18:19]
.LBB267_397:                            ;   in Loop: Header=BB267_318 Depth=1
	s_or_b64 exec, exec, s[16:17]
.LBB267_398:                            ;   in Loop: Header=BB267_318 Depth=1
	s_or_b64 exec, exec, s[12:13]
	v_lshrrev_b16_e32 v1, 8, v1
	v_cmp_ne_u16_e64 s[0:1], 0, v1
	v_mov_b32_e32 v44, 0
	s_and_saveexec_b64 s[12:13], s[0:1]
	s_cbranch_execz .LBB267_404
; %bb.399:                              ;   in Loop: Header=BB267_318 Depth=1
	v_cmp_ne_u16_e64 s[0:1], s24, v1
	v_bfrev_b32_e32 v44, 1
	s_and_saveexec_b64 s[16:17], s[0:1]
	s_cbranch_execz .LBB267_403
; %bb.400:                              ;   in Loop: Header=BB267_318 Depth=1
	v_and_b32_e32 v45, 0x7f, v1
	v_cmp_ne_u32_e64 s[0:1], s25, v45
	v_mov_b32_e32 v44, 0x7c010000
	s_and_saveexec_b64 s[18:19], s[0:1]
	s_cbranch_execz .LBB267_402
; %bb.401:                              ;   in Loop: Header=BB267_318 Depth=1
	v_and_b32_e32 v11, 7, v1
	v_ffbh_u32_e32 v46, v11
	v_min_u32_e32 v48, 32, v46
	v_subrev_u32_e32 v46, 28, v48
	v_lshlrev_b64 v[46:47], v46, v[1:2]
	v_lshrrev_b32_e32 v44, 3, v45
	v_sub_u32_e32 v47, 29, v48
	v_cmp_gt_u32_e64 s[0:1], 8, v45
	v_cndmask_b32_e64 v44, v44, v47, s[0:1]
	v_lshlrev_b32_e32 v1, 8, v1
	v_lshl_add_u32 v44, v44, 10, v12
	v_and_b32_e32 v45, 7, v46
	v_and_or_b32 v1, v1, s26, v44
	v_cndmask_b32_e64 v11, v11, v45, s[0:1]
	v_lshlrev_b32_e32 v1, 16, v1
	v_lshl_or_b32 v44, v11, 23, v1
.LBB267_402:                            ;   in Loop: Header=BB267_318 Depth=1
	s_or_b64 exec, exec, s[18:19]
.LBB267_403:                            ;   in Loop: Header=BB267_318 Depth=1
	s_or_b64 exec, exec, s[16:17]
.LBB267_404:                            ;   in Loop: Header=BB267_318 Depth=1
	s_or_b64 exec, exec, s[12:13]
	v_lshrrev_b32_e32 v1, 16, v10
	v_cmp_ne_u16_sdwa s[0:1], v1, v2 src0_sel:BYTE_0 src1_sel:DWORD
	s_and_saveexec_b64 s[12:13], s[0:1]
	s_cbranch_execz .LBB267_410
; %bb.405:                              ;   in Loop: Header=BB267_318 Depth=1
	v_cmp_ne_u16_sdwa s[0:1], v1, s24 src0_sel:BYTE_0 src1_sel:DWORD
	v_mov_b32_e32 v0, 0x8000
	s_and_saveexec_b64 s[16:17], s[0:1]
	s_cbranch_execz .LBB267_409
; %bb.406:                              ;   in Loop: Header=BB267_318 Depth=1
	v_bfe_u32 v45, v10, 16, 7
	v_cmp_ne_u32_e64 s[0:1], s25, v45
	v_mov_b32_e32 v0, 0x7c01
	s_and_saveexec_b64 s[18:19], s[0:1]
	s_cbranch_execz .LBB267_408
; %bb.407:                              ;   in Loop: Header=BB267_318 Depth=1
	v_and_b32_e32 v0, 7, v1
	v_ffbh_u32_e32 v46, v0
	v_min_u32_e32 v48, 32, v46
	v_subrev_u32_e32 v46, 28, v48
	v_lshlrev_b64 v[46:47], v46, v[1:2]
	v_lshrrev_b32_e32 v11, 3, v45
	v_sub_u32_e32 v47, 29, v48
	v_cmp_gt_u32_e64 s[0:1], 8, v45
	v_cndmask_b32_e64 v11, v11, v47, s[0:1]
	v_lshl_add_u32 v11, v11, 10, v12
	v_lshlrev_b32_e32 v1, 8, v1
	v_and_b32_e32 v45, 7, v46
	v_and_b32_e32 v11, 0xfc00, v11
	v_cndmask_b32_e64 v0, v0, v45, s[0:1]
	v_and_or_b32 v1, v1, s26, v11
	v_lshl_or_b32 v0, v0, 7, v1
.LBB267_408:                            ;   in Loop: Header=BB267_318 Depth=1
	s_or_b64 exec, exec, s[18:19]
.LBB267_409:                            ;   in Loop: Header=BB267_318 Depth=1
	s_or_b64 exec, exec, s[16:17]
.LBB267_410:                            ;   in Loop: Header=BB267_318 Depth=1
	s_or_b64 exec, exec, s[12:13]
	v_cmp_lt_u64_e64 s[0:1], s[4:5], v[9:10]
	v_mov_b32_e32 v9, 0
	s_and_saveexec_b64 s[12:13], s[0:1]
	s_cbranch_execz .LBB267_416
; %bb.411:                              ;   in Loop: Header=BB267_318 Depth=1
	v_lshrrev_b32_e32 v1, 24, v10
	v_cmp_ne_u32_e64 s[0:1], s24, v1
	v_bfrev_b32_e32 v9, 1
	s_and_saveexec_b64 s[16:17], s[0:1]
	s_cbranch_execz .LBB267_415
; %bb.412:                              ;   in Loop: Header=BB267_318 Depth=1
	v_and_b32_e32 v10, 0x7f, v1
	v_cmp_ne_u32_e64 s[0:1], s25, v10
	v_mov_b32_e32 v9, 0x7c010000
	s_and_saveexec_b64 s[18:19], s[0:1]
	s_cbranch_execz .LBB267_414
; %bb.413:                              ;   in Loop: Header=BB267_318 Depth=1
	v_and_b32_e32 v9, 7, v1
	v_ffbh_u32_e32 v45, v9
	v_min_u32_e32 v47, 32, v45
	v_subrev_u32_e32 v45, 28, v47
	v_lshlrev_b64 v[45:46], v45, v[1:2]
	v_lshrrev_b32_e32 v11, 3, v10
	v_sub_u32_e32 v46, 29, v47
	v_cmp_gt_u32_e64 s[0:1], 8, v10
	v_cndmask_b32_e64 v10, v11, v46, s[0:1]
	v_lshlrev_b32_e32 v1, 8, v1
	v_lshl_add_u32 v10, v10, 10, v12
	v_and_b32_e32 v11, 7, v45
	v_and_or_b32 v1, v1, s26, v10
	v_cndmask_b32_e64 v9, v9, v11, s[0:1]
	v_lshlrev_b32_e32 v1, 16, v1
	v_lshl_or_b32 v9, v9, 23, v1
.LBB267_414:                            ;   in Loop: Header=BB267_318 Depth=1
	s_or_b64 exec, exec, s[18:19]
.LBB267_415:                            ;   in Loop: Header=BB267_318 Depth=1
	s_or_b64 exec, exec, s[16:17]
.LBB267_416:                            ;   in Loop: Header=BB267_318 Depth=1
	s_or_b64 exec, exec, s[12:13]
	s_waitcnt vmcnt(0)
	v_fma_mixlo_f16 v11, v38, v39, 0 op_sel:[0,1,0] op_sel_hi:[0,1,0]
	v_fma_mixlo_f16 v10, v38, v41, 0 op_sel:[0,1,0] op_sel_hi:[0,1,0]
	v_lshlrev_b32_e32 v45, 16, v11
	v_or_b32_e32 v11, v44, v43
	v_or_b32_e32 v1, v41, v42
	v_lshlrev_b32_e32 v41, 16, v10
	v_or_b32_e32 v10, v39, v40
	v_fma_mixlo_f16 v11, v38, v11, 0 op_sel_hi:[0,1,0]
	v_or_b32_e32 v0, v9, v0
	v_fma_mixlo_f16 v1, v38, v1, 0 op_sel_hi:[0,1,0]
	v_fma_mixlo_f16 v10, v38, v10, 0 op_sel_hi:[0,1,0]
	v_fma_mixlo_f16 v39, v38, v44, 0 op_sel:[0,1,0] op_sel_hi:[0,1,0]
	v_and_b32_e32 v43, 0xffff, v11
	v_fma_mixlo_f16 v11, v38, v0, 0 op_sel_hi:[0,1,0]
	v_fma_mixlo_f16 v0, v38, v9, 0 op_sel:[0,1,0] op_sel_hi:[0,1,0]
	v_and_b32_e32 v42, 0xffff, v1
	v_and_b32_e32 v46, 0xffff, v10
	v_lshlrev_b32_e32 v40, 16, v39
	v_lshlrev_b32_e32 v0, 16, v0
	v_and_b32_e32 v9, 0xffff, v11
	v_or_b32_e32 v1, v41, v42
	v_or_b32_e32 v10, v45, v46
	;; [unrolled: 1-line block ×4, first 2 shown]
	s_and_saveexec_b64 s[12:13], vcc
	s_cbranch_execz .LBB267_418
; %bb.417:                              ;   in Loop: Header=BB267_318 Depth=1
	v_cmp_gt_i32_e64 s[0:1], s30, v25
	v_cndmask_b32_e64 v1, 0, v46, s[0:1]
	v_cmp_gt_i32_e64 s[0:1], s30, v31
	v_cndmask_b32_e64 v10, 0, v45, s[0:1]
	v_cmp_gt_i32_e64 s[0:1], s30, v30
	v_or_b32_e32 v10, v10, v1
	v_cndmask_b32_e64 v1, 0, v42, s[0:1]
	v_cmp_gt_i32_e64 s[0:1], s30, v29
	v_cndmask_b32_e64 v11, 0, v41, s[0:1]
	v_cmp_gt_i32_e64 s[0:1], s30, v28
	v_or_b32_e32 v1, v11, v1
	v_cndmask_b32_e64 v11, 0, v43, s[0:1]
	v_cmp_gt_i32_e64 s[0:1], s30, v27
	v_cndmask_b32_e64 v38, 0, v40, s[0:1]
	v_cmp_gt_i32_e64 s[0:1], s30, v26
	;; [unrolled: 2-line block ×3, first 2 shown]
	v_cndmask_b32_e64 v0, 0, v0, s[0:1]
	v_or_b32_e32 v39, v38, v11
	v_or_b32_e32 v38, v0, v9
.LBB267_418:                            ;   in Loop: Header=BB267_318 Depth=1
	s_or_b64 exec, exec, s[12:13]
	;;#ASMSTART
	v_pk_mul_f16 v0, v32, v10;

	;;#ASMEND
	;;#ASMSTART
	v_pk_mul_f16 v1, v33, v1;

	;;#ASMEND
	;; [unrolled: 4-line block ×4, first 2 shown]
	;;#ASMSTART
	v_pk_add_f16 v0, v0, v1;

	;;#ASMEND
	;;#ASMSTART
	v_pk_add_f16 v0, v0, v9;

	;;#ASMEND
	;; [unrolled: 4-line block ×3, first 2 shown]
	v_lshrrev_b32_e32 v1, 16, v0
	v_and_b32_e32 v0, 0xffff, v0
	;;#ASMSTART
	v_cvt_f32_f16 v38, v0;
	;;#ASMEND
	;;#ASMSTART
	v_cvt_f32_f16 v39, v1;
	;;#ASMEND
	global_load_dwordx2 v[9:10], v[7:8], off offset:1024
	v_mov_b32_e32 v41, 0
	global_load_dword v40, v41, s[14:15]
	v_mov_b32_e32 v42, 0
	s_waitcnt vmcnt(1)
	v_cmp_ne_u16_sdwa s[0:1], v9, v2 src0_sel:BYTE_0 src1_sel:DWORD
	s_and_saveexec_b64 s[12:13], s[0:1]
	s_cbranch_execz .LBB267_424
; %bb.419:                              ;   in Loop: Header=BB267_318 Depth=1
	v_cmp_ne_u16_sdwa s[0:1], v9, s24 src0_sel:BYTE_0 src1_sel:DWORD
	v_mov_b32_e32 v42, 0x8000
	s_and_saveexec_b64 s[16:17], s[0:1]
	s_cbranch_execz .LBB267_423
; %bb.420:                              ;   in Loop: Header=BB267_318 Depth=1
	v_and_b32_e32 v0, 0x7f, v9
	v_cmp_ne_u32_e64 s[0:1], s25, v0
	v_mov_b32_e32 v42, 0x7c01
	s_and_saveexec_b64 s[18:19], s[0:1]
	s_cbranch_execz .LBB267_422
; %bb.421:                              ;   in Loop: Header=BB267_318 Depth=1
	v_and_b32_e32 v1, 7, v9
	v_ffbh_u32_e32 v42, v1
	v_min_u32_e32 v44, 32, v42
	v_subrev_u32_e32 v42, 28, v44
	v_lshlrev_b64 v[42:43], v42, v[9:10]
	v_lshrrev_b32_e32 v11, 3, v0
	v_sub_u32_e32 v43, 29, v44
	v_cmp_gt_u32_e64 s[0:1], 8, v0
	v_cndmask_b32_e64 v0, v11, v43, s[0:1]
	v_lshl_add_u32 v0, v0, 10, v12
	v_lshlrev_b32_e32 v11, 8, v9
	v_and_b32_e32 v42, 7, v42
	v_and_b32_e32 v0, 0xfc00, v0
	v_cndmask_b32_e64 v1, v1, v42, s[0:1]
	v_and_or_b32 v0, v11, s26, v0
	v_lshl_or_b32 v42, v1, 7, v0
.LBB267_422:                            ;   in Loop: Header=BB267_318 Depth=1
	s_or_b64 exec, exec, s[18:19]
.LBB267_423:                            ;   in Loop: Header=BB267_318 Depth=1
	s_or_b64 exec, exec, s[16:17]
.LBB267_424:                            ;   in Loop: Header=BB267_318 Depth=1
	s_or_b64 exec, exec, s[12:13]
	v_lshrrev_b16_e32 v1, 8, v9
	v_cmp_ne_u16_e64 s[0:1], 0, v1
	s_and_saveexec_b64 s[12:13], s[0:1]
	s_cbranch_execz .LBB267_430
; %bb.425:                              ;   in Loop: Header=BB267_318 Depth=1
	v_cmp_ne_u16_e64 s[0:1], s24, v1
	v_bfrev_b32_e32 v41, 1
	s_and_saveexec_b64 s[16:17], s[0:1]
	s_cbranch_execz .LBB267_429
; %bb.426:                              ;   in Loop: Header=BB267_318 Depth=1
	v_and_b32_e32 v0, 0x7f, v1
	v_cmp_ne_u32_e64 s[0:1], s25, v0
	v_mov_b32_e32 v41, 0x7c010000
	s_and_saveexec_b64 s[18:19], s[0:1]
	s_cbranch_execz .LBB267_428
; %bb.427:                              ;   in Loop: Header=BB267_318 Depth=1
	v_and_b32_e32 v11, 7, v1
	v_ffbh_u32_e32 v43, v11
	v_min_u32_e32 v45, 32, v43
	v_subrev_u32_e32 v43, 28, v45
	v_lshlrev_b64 v[43:44], v43, v[1:2]
	v_lshrrev_b32_e32 v41, 3, v0
	v_sub_u32_e32 v44, 29, v45
	v_cmp_gt_u32_e64 s[0:1], 8, v0
	v_cndmask_b32_e64 v0, v41, v44, s[0:1]
	v_lshlrev_b32_e32 v1, 8, v1
	v_lshl_add_u32 v0, v0, 10, v12
	v_and_b32_e32 v41, 7, v43
	v_and_or_b32 v0, v1, s26, v0
	v_cndmask_b32_e64 v11, v11, v41, s[0:1]
	v_lshlrev_b32_e32 v0, 16, v0
	v_lshl_or_b32 v41, v11, 23, v0
.LBB267_428:                            ;   in Loop: Header=BB267_318 Depth=1
	s_or_b64 exec, exec, s[18:19]
.LBB267_429:                            ;   in Loop: Header=BB267_318 Depth=1
	s_or_b64 exec, exec, s[16:17]
.LBB267_430:                            ;   in Loop: Header=BB267_318 Depth=1
	s_or_b64 exec, exec, s[12:13]
	v_lshrrev_b32_e32 v1, 16, v9
	v_cmp_ne_u16_sdwa s[0:1], v1, v2 src0_sel:BYTE_0 src1_sel:DWORD
	v_mov_b32_e32 v43, 0
	v_mov_b32_e32 v44, 0
	s_and_saveexec_b64 s[12:13], s[0:1]
	s_cbranch_execz .LBB267_436
; %bb.431:                              ;   in Loop: Header=BB267_318 Depth=1
	v_cmp_ne_u16_sdwa s[0:1], v1, s24 src0_sel:BYTE_0 src1_sel:DWORD
	v_mov_b32_e32 v44, 0x8000
	s_and_saveexec_b64 s[16:17], s[0:1]
	s_cbranch_execz .LBB267_435
; %bb.432:                              ;   in Loop: Header=BB267_318 Depth=1
	v_bfe_u32 v0, v9, 16, 7
	v_cmp_ne_u32_e64 s[0:1], s25, v0
	v_mov_b32_e32 v44, 0x7c01
	s_and_saveexec_b64 s[18:19], s[0:1]
	s_cbranch_execz .LBB267_434
; %bb.433:                              ;   in Loop: Header=BB267_318 Depth=1
	v_and_b32_e32 v11, 7, v1
	v_ffbh_u32_e32 v44, v11
	v_min_u32_e32 v47, 32, v44
	v_subrev_u32_e32 v44, 28, v47
	v_lshlrev_b64 v[44:45], v44, v[1:2]
	v_lshrrev_b32_e32 v46, 3, v0
	v_sub_u32_e32 v45, 29, v47
	v_cmp_gt_u32_e64 s[0:1], 8, v0
	v_cndmask_b32_e64 v0, v46, v45, s[0:1]
	v_lshl_add_u32 v0, v0, 10, v12
	v_lshlrev_b32_e32 v1, 8, v1
	v_and_b32_e32 v44, 7, v44
	v_and_b32_e32 v0, 0xfc00, v0
	v_cndmask_b32_e64 v11, v11, v44, s[0:1]
	v_and_or_b32 v0, v1, s26, v0
	v_lshl_or_b32 v44, v11, 7, v0
.LBB267_434:                            ;   in Loop: Header=BB267_318 Depth=1
	s_or_b64 exec, exec, s[18:19]
.LBB267_435:                            ;   in Loop: Header=BB267_318 Depth=1
	s_or_b64 exec, exec, s[16:17]
.LBB267_436:                            ;   in Loop: Header=BB267_318 Depth=1
	s_or_b64 exec, exec, s[12:13]
	v_cmp_lt_u32_e64 s[0:1], s5, v9
	s_and_saveexec_b64 s[12:13], s[0:1]
	s_cbranch_execz .LBB267_442
; %bb.437:                              ;   in Loop: Header=BB267_318 Depth=1
	v_lshrrev_b32_e32 v1, 24, v9
	v_cmp_ne_u32_e64 s[0:1], s24, v1
	v_bfrev_b32_e32 v43, 1
	s_and_saveexec_b64 s[16:17], s[0:1]
	s_cbranch_execz .LBB267_441
; %bb.438:                              ;   in Loop: Header=BB267_318 Depth=1
	v_and_b32_e32 v0, 0x7f, v1
	v_cmp_ne_u32_e64 s[0:1], s25, v0
	v_mov_b32_e32 v43, 0x7c010000
	s_and_saveexec_b64 s[18:19], s[0:1]
	s_cbranch_execz .LBB267_440
; %bb.439:                              ;   in Loop: Header=BB267_318 Depth=1
	v_and_b32_e32 v11, 7, v1
	v_ffbh_u32_e32 v45, v11
	v_min_u32_e32 v47, 32, v45
	v_subrev_u32_e32 v45, 28, v47
	v_lshlrev_b64 v[45:46], v45, v[1:2]
	v_lshrrev_b32_e32 v43, 3, v0
	v_sub_u32_e32 v46, 29, v47
	v_cmp_gt_u32_e64 s[0:1], 8, v0
	v_cndmask_b32_e64 v0, v43, v46, s[0:1]
	v_lshlrev_b32_e32 v1, 8, v1
	v_lshl_add_u32 v0, v0, 10, v12
	v_and_b32_e32 v43, 7, v45
	v_and_or_b32 v0, v1, s26, v0
	v_cndmask_b32_e64 v11, v11, v43, s[0:1]
	v_lshlrev_b32_e32 v0, 16, v0
	v_lshl_or_b32 v43, v11, 23, v0
.LBB267_440:                            ;   in Loop: Header=BB267_318 Depth=1
	s_or_b64 exec, exec, s[18:19]
.LBB267_441:                            ;   in Loop: Header=BB267_318 Depth=1
	s_or_b64 exec, exec, s[16:17]
.LBB267_442:                            ;   in Loop: Header=BB267_318 Depth=1
	s_or_b64 exec, exec, s[12:13]
	v_mov_b32_e32 v1, v10
	v_cmp_ne_u16_sdwa s[0:1], v10, v2 src0_sel:BYTE_0 src1_sel:DWORD
	v_mov_b32_e32 v45, 0
	v_mov_b32_e32 v0, 0
	s_and_saveexec_b64 s[12:13], s[0:1]
	s_cbranch_execz .LBB267_448
; %bb.443:                              ;   in Loop: Header=BB267_318 Depth=1
	v_cmp_ne_u16_sdwa s[0:1], v10, s24 src0_sel:BYTE_0 src1_sel:DWORD
	v_mov_b32_e32 v0, 0x8000
	s_and_saveexec_b64 s[16:17], s[0:1]
	s_cbranch_execz .LBB267_447
; %bb.444:                              ;   in Loop: Header=BB267_318 Depth=1
	v_and_b32_e32 v46, 0x7f, v10
	v_cmp_ne_u32_e64 s[0:1], s25, v46
	v_mov_b32_e32 v0, 0x7c01
	s_and_saveexec_b64 s[18:19], s[0:1]
	s_cbranch_execz .LBB267_446
; %bb.445:                              ;   in Loop: Header=BB267_318 Depth=1
	v_and_b32_e32 v0, 7, v10
	v_ffbh_u32_e32 v47, v0
	v_min_u32_e32 v49, 32, v47
	v_subrev_u32_e32 v47, 28, v49
	v_lshlrev_b64 v[47:48], v47, v[1:2]
	v_lshrrev_b32_e32 v11, 3, v46
	v_sub_u32_e32 v48, 29, v49
	v_cmp_gt_u32_e64 s[0:1], 8, v46
	v_cndmask_b32_e64 v11, v11, v48, s[0:1]
	v_lshl_add_u32 v11, v11, 10, v12
	v_lshlrev_b32_e32 v46, 8, v10
	v_and_b32_e32 v47, 7, v47
	v_and_b32_e32 v11, 0xfc00, v11
	v_cndmask_b32_e64 v0, v0, v47, s[0:1]
	v_and_or_b32 v11, v46, s26, v11
	v_lshl_or_b32 v0, v0, 7, v11
.LBB267_446:                            ;   in Loop: Header=BB267_318 Depth=1
	s_or_b64 exec, exec, s[18:19]
.LBB267_447:                            ;   in Loop: Header=BB267_318 Depth=1
	s_or_b64 exec, exec, s[16:17]
.LBB267_448:                            ;   in Loop: Header=BB267_318 Depth=1
	s_or_b64 exec, exec, s[12:13]
	v_lshrrev_b16_e32 v1, 8, v1
	v_cmp_ne_u16_e64 s[0:1], 0, v1
	v_mov_b32_e32 v46, 0
	s_and_saveexec_b64 s[12:13], s[0:1]
	s_cbranch_execz .LBB267_454
; %bb.449:                              ;   in Loop: Header=BB267_318 Depth=1
	v_cmp_ne_u16_e64 s[0:1], s24, v1
	v_bfrev_b32_e32 v46, 1
	s_and_saveexec_b64 s[16:17], s[0:1]
	s_cbranch_execz .LBB267_453
; %bb.450:                              ;   in Loop: Header=BB267_318 Depth=1
	v_and_b32_e32 v47, 0x7f, v1
	v_cmp_ne_u32_e64 s[0:1], s25, v47
	v_mov_b32_e32 v46, 0x7c010000
	s_and_saveexec_b64 s[18:19], s[0:1]
	s_cbranch_execz .LBB267_452
; %bb.451:                              ;   in Loop: Header=BB267_318 Depth=1
	v_and_b32_e32 v11, 7, v1
	v_ffbh_u32_e32 v48, v11
	v_min_u32_e32 v50, 32, v48
	v_subrev_u32_e32 v48, 28, v50
	v_lshlrev_b64 v[48:49], v48, v[1:2]
	v_lshrrev_b32_e32 v46, 3, v47
	v_sub_u32_e32 v49, 29, v50
	v_cmp_gt_u32_e64 s[0:1], 8, v47
	v_cndmask_b32_e64 v46, v46, v49, s[0:1]
	v_lshlrev_b32_e32 v1, 8, v1
	v_lshl_add_u32 v46, v46, 10, v12
	v_and_b32_e32 v47, 7, v48
	v_and_or_b32 v1, v1, s26, v46
	v_cndmask_b32_e64 v11, v11, v47, s[0:1]
	v_lshlrev_b32_e32 v1, 16, v1
	v_lshl_or_b32 v46, v11, 23, v1
.LBB267_452:                            ;   in Loop: Header=BB267_318 Depth=1
	s_or_b64 exec, exec, s[18:19]
.LBB267_453:                            ;   in Loop: Header=BB267_318 Depth=1
	s_or_b64 exec, exec, s[16:17]
.LBB267_454:                            ;   in Loop: Header=BB267_318 Depth=1
	s_or_b64 exec, exec, s[12:13]
	v_lshrrev_b32_e32 v1, 16, v10
	v_cmp_ne_u16_sdwa s[0:1], v1, v2 src0_sel:BYTE_0 src1_sel:DWORD
	s_and_saveexec_b64 s[12:13], s[0:1]
	s_cbranch_execz .LBB267_460
; %bb.455:                              ;   in Loop: Header=BB267_318 Depth=1
	v_cmp_ne_u16_sdwa s[0:1], v1, s24 src0_sel:BYTE_0 src1_sel:DWORD
	v_mov_b32_e32 v45, 0x8000
	s_and_saveexec_b64 s[16:17], s[0:1]
	s_cbranch_execz .LBB267_459
; %bb.456:                              ;   in Loop: Header=BB267_318 Depth=1
	v_bfe_u32 v47, v10, 16, 7
	v_cmp_ne_u32_e64 s[0:1], s25, v47
	v_mov_b32_e32 v45, 0x7c01
	s_and_saveexec_b64 s[18:19], s[0:1]
	s_cbranch_execz .LBB267_458
; %bb.457:                              ;   in Loop: Header=BB267_318 Depth=1
	v_and_b32_e32 v11, 7, v1
	v_ffbh_u32_e32 v48, v11
	v_min_u32_e32 v50, 32, v48
	v_subrev_u32_e32 v48, 28, v50
	v_lshlrev_b64 v[48:49], v48, v[1:2]
	v_lshrrev_b32_e32 v45, 3, v47
	v_sub_u32_e32 v49, 29, v50
	v_cmp_gt_u32_e64 s[0:1], 8, v47
	v_cndmask_b32_e64 v45, v45, v49, s[0:1]
	v_lshl_add_u32 v45, v45, 10, v12
	v_lshlrev_b32_e32 v1, 8, v1
	v_and_b32_e32 v47, 7, v48
	v_and_b32_e32 v45, 0xfc00, v45
	v_cndmask_b32_e64 v11, v11, v47, s[0:1]
	v_and_or_b32 v1, v1, s26, v45
	v_lshl_or_b32 v45, v11, 7, v1
.LBB267_458:                            ;   in Loop: Header=BB267_318 Depth=1
	s_or_b64 exec, exec, s[18:19]
.LBB267_459:                            ;   in Loop: Header=BB267_318 Depth=1
	s_or_b64 exec, exec, s[16:17]
.LBB267_460:                            ;   in Loop: Header=BB267_318 Depth=1
	s_or_b64 exec, exec, s[12:13]
	v_cmp_lt_u64_e64 s[0:1], s[4:5], v[9:10]
	v_mov_b32_e32 v9, 0
	s_and_saveexec_b64 s[12:13], s[0:1]
	s_cbranch_execz .LBB267_466
; %bb.461:                              ;   in Loop: Header=BB267_318 Depth=1
	v_lshrrev_b32_e32 v1, 24, v10
	v_cmp_ne_u32_e64 s[0:1], s24, v1
	v_bfrev_b32_e32 v9, 1
	s_and_saveexec_b64 s[16:17], s[0:1]
	s_cbranch_execz .LBB267_465
; %bb.462:                              ;   in Loop: Header=BB267_318 Depth=1
	v_and_b32_e32 v10, 0x7f, v1
	v_cmp_ne_u32_e64 s[0:1], s25, v10
	v_mov_b32_e32 v9, 0x7c010000
	s_and_saveexec_b64 s[18:19], s[0:1]
	s_cbranch_execz .LBB267_464
; %bb.463:                              ;   in Loop: Header=BB267_318 Depth=1
	v_and_b32_e32 v9, 7, v1
	v_ffbh_u32_e32 v47, v9
	v_min_u32_e32 v49, 32, v47
	v_subrev_u32_e32 v47, 28, v49
	v_lshlrev_b64 v[47:48], v47, v[1:2]
	v_lshrrev_b32_e32 v11, 3, v10
	v_sub_u32_e32 v48, 29, v49
	v_cmp_gt_u32_e64 s[0:1], 8, v10
	v_cndmask_b32_e64 v10, v11, v48, s[0:1]
	v_lshlrev_b32_e32 v1, 8, v1
	v_lshl_add_u32 v10, v10, 10, v12
	v_and_b32_e32 v11, 7, v47
	v_and_or_b32 v1, v1, s26, v10
	v_cndmask_b32_e64 v9, v9, v11, s[0:1]
	v_lshlrev_b32_e32 v1, 16, v1
	v_lshl_or_b32 v9, v9, 23, v1
.LBB267_464:                            ;   in Loop: Header=BB267_318 Depth=1
	s_or_b64 exec, exec, s[18:19]
.LBB267_465:                            ;   in Loop: Header=BB267_318 Depth=1
	s_or_b64 exec, exec, s[16:17]
.LBB267_466:                            ;   in Loop: Header=BB267_318 Depth=1
	s_or_b64 exec, exec, s[12:13]
	s_waitcnt vmcnt(0)
	v_fma_mixlo_f16 v10, v40, v43, 0 op_sel:[0,1,0] op_sel_hi:[0,1,0]
	v_fma_mixlo_f16 v11, v40, v41, 0 op_sel:[0,1,0] op_sel_hi:[0,1,0]
	v_or_b32_e32 v1, v43, v44
	v_lshlrev_b32_e32 v43, 16, v10
	v_or_b32_e32 v10, v41, v42
	v_lshlrev_b32_e32 v42, 16, v11
	v_fma_mixlo_f16 v11, v40, v46, 0 op_sel:[0,1,0] op_sel_hi:[0,1,0]
	v_or_b32_e32 v0, v46, v0
	v_lshlrev_b32_e32 v41, 16, v11
	v_or_b32_e32 v11, v9, v45
	v_fma_mixlo_f16 v1, v40, v1, 0 op_sel_hi:[0,1,0]
	v_fma_mixlo_f16 v10, v40, v10, 0 op_sel_hi:[0,1,0]
	;; [unrolled: 1-line block ×4, first 2 shown]
	v_fma_mixlo_f16 v9, v40, v9, 0 op_sel:[0,1,0] op_sel_hi:[0,1,0]
	v_and_b32_e32 v44, 0xffff, v1
	v_and_b32_e32 v47, 0xffff, v10
	;; [unrolled: 1-line block ×3, first 2 shown]
	v_lshlrev_b32_e32 v9, 16, v9
	v_and_b32_e32 v40, 0xffff, v11
	v_or_b32_e32 v1, v43, v44
	v_or_b32_e32 v10, v42, v47
	;; [unrolled: 1-line block ×4, first 2 shown]
	s_and_saveexec_b64 s[12:13], vcc
	s_cbranch_execz .LBB267_468
; %bb.467:                              ;   in Loop: Header=BB267_318 Depth=1
	v_cmp_gt_i32_e64 s[0:1], s30, v25
	v_cndmask_b32_e64 v0, 0, v47, s[0:1]
	v_cmp_gt_i32_e64 s[0:1], s30, v31
	v_cndmask_b32_e64 v1, 0, v42, s[0:1]
	v_cmp_gt_i32_e64 s[0:1], s30, v30
	v_or_b32_e32 v10, v1, v0
	v_cndmask_b32_e64 v0, 0, v44, s[0:1]
	v_cmp_gt_i32_e64 s[0:1], s30, v29
	v_cndmask_b32_e64 v1, 0, v43, s[0:1]
	v_cmp_gt_i32_e64 s[0:1], s30, v28
	v_or_b32_e32 v1, v1, v0
	;; [unrolled: 5-line block ×3, first 2 shown]
	v_cndmask_b32_e64 v11, 0, v40, s[0:1]
	v_cmp_gt_i32_e64 s[0:1], s30, v23
	v_cndmask_b32_e64 v9, 0, v9, s[0:1]
	v_or_b32_e32 v45, v9, v11
.LBB267_468:                            ;   in Loop: Header=BB267_318 Depth=1
	s_or_b64 exec, exec, s[12:13]
	;;#ASMSTART
	v_pk_mul_f16 v9, v32, v10;

	;;#ASMEND
	;;#ASMSTART
	v_pk_mul_f16 v1, v33, v1;

	;;#ASMEND
	;;#ASMSTART
	v_pk_mul_f16 v0, v34, v0;

	;;#ASMEND
	;;#ASMSTART
	v_pk_mul_f16 v10, v35, v45;

	;;#ASMEND
	;;#ASMSTART
	v_pk_add_f16 v1, v9, v1;

	;;#ASMEND
	;;#ASMSTART
	v_pk_add_f16 v0, v1, v0;

	;;#ASMEND
	;; [unrolled: 4-line block ×3, first 2 shown]
	v_lshrrev_b32_e32 v1, 16, v0
	v_and_b32_e32 v0, 0xffff, v0
	;;#ASMSTART
	v_cvt_f32_f16 v40, v0;
	;;#ASMEND
	;;#ASMSTART
	v_cvt_f32_f16 v41, v1;
	;;#ASMEND
	global_load_dwordx2 v[9:10], v[7:8], off offset:1536
	v_mov_b32_e32 v43, 0
	global_load_dword v42, v43, s[14:15]
	v_mov_b32_e32 v44, 0
	s_waitcnt vmcnt(1)
	v_cmp_ne_u16_sdwa s[0:1], v9, v2 src0_sel:BYTE_0 src1_sel:DWORD
	s_and_saveexec_b64 s[12:13], s[0:1]
	s_cbranch_execz .LBB267_474
; %bb.469:                              ;   in Loop: Header=BB267_318 Depth=1
	v_cmp_ne_u16_sdwa s[0:1], v9, s24 src0_sel:BYTE_0 src1_sel:DWORD
	v_mov_b32_e32 v44, 0x8000
	s_and_saveexec_b64 s[16:17], s[0:1]
	s_cbranch_execz .LBB267_473
; %bb.470:                              ;   in Loop: Header=BB267_318 Depth=1
	v_and_b32_e32 v0, 0x7f, v9
	v_cmp_ne_u32_e64 s[0:1], s25, v0
	v_mov_b32_e32 v44, 0x7c01
	s_and_saveexec_b64 s[18:19], s[0:1]
	s_cbranch_execz .LBB267_472
; %bb.471:                              ;   in Loop: Header=BB267_318 Depth=1
	v_and_b32_e32 v1, 7, v9
	v_ffbh_u32_e32 v44, v1
	v_min_u32_e32 v46, 32, v44
	v_subrev_u32_e32 v44, 28, v46
	v_lshlrev_b64 v[44:45], v44, v[9:10]
	v_lshrrev_b32_e32 v11, 3, v0
	v_sub_u32_e32 v45, 29, v46
	v_cmp_gt_u32_e64 s[0:1], 8, v0
	v_cndmask_b32_e64 v0, v11, v45, s[0:1]
	v_lshl_add_u32 v0, v0, 10, v12
	v_lshlrev_b32_e32 v11, 8, v9
	v_and_b32_e32 v44, 7, v44
	v_and_b32_e32 v0, 0xfc00, v0
	v_cndmask_b32_e64 v1, v1, v44, s[0:1]
	v_and_or_b32 v0, v11, s26, v0
	v_lshl_or_b32 v44, v1, 7, v0
.LBB267_472:                            ;   in Loop: Header=BB267_318 Depth=1
	s_or_b64 exec, exec, s[18:19]
.LBB267_473:                            ;   in Loop: Header=BB267_318 Depth=1
	s_or_b64 exec, exec, s[16:17]
.LBB267_474:                            ;   in Loop: Header=BB267_318 Depth=1
	s_or_b64 exec, exec, s[12:13]
	v_lshrrev_b16_e32 v1, 8, v9
	v_cmp_ne_u16_e64 s[0:1], 0, v1
	s_and_saveexec_b64 s[12:13], s[0:1]
	s_cbranch_execz .LBB267_480
; %bb.475:                              ;   in Loop: Header=BB267_318 Depth=1
	v_cmp_ne_u16_e64 s[0:1], s24, v1
	v_bfrev_b32_e32 v43, 1
	s_and_saveexec_b64 s[16:17], s[0:1]
	s_cbranch_execz .LBB267_479
; %bb.476:                              ;   in Loop: Header=BB267_318 Depth=1
	v_and_b32_e32 v0, 0x7f, v1
	v_cmp_ne_u32_e64 s[0:1], s25, v0
	v_mov_b32_e32 v43, 0x7c010000
	s_and_saveexec_b64 s[18:19], s[0:1]
	s_cbranch_execz .LBB267_478
; %bb.477:                              ;   in Loop: Header=BB267_318 Depth=1
	v_and_b32_e32 v11, 7, v1
	v_ffbh_u32_e32 v45, v11
	v_min_u32_e32 v47, 32, v45
	v_subrev_u32_e32 v45, 28, v47
	v_lshlrev_b64 v[45:46], v45, v[1:2]
	v_lshrrev_b32_e32 v43, 3, v0
	v_sub_u32_e32 v46, 29, v47
	v_cmp_gt_u32_e64 s[0:1], 8, v0
	v_cndmask_b32_e64 v0, v43, v46, s[0:1]
	v_lshlrev_b32_e32 v1, 8, v1
	v_lshl_add_u32 v0, v0, 10, v12
	v_and_b32_e32 v43, 7, v45
	v_and_or_b32 v0, v1, s26, v0
	v_cndmask_b32_e64 v11, v11, v43, s[0:1]
	v_lshlrev_b32_e32 v0, 16, v0
	v_lshl_or_b32 v43, v11, 23, v0
.LBB267_478:                            ;   in Loop: Header=BB267_318 Depth=1
	s_or_b64 exec, exec, s[18:19]
.LBB267_479:                            ;   in Loop: Header=BB267_318 Depth=1
	s_or_b64 exec, exec, s[16:17]
.LBB267_480:                            ;   in Loop: Header=BB267_318 Depth=1
	s_or_b64 exec, exec, s[12:13]
	v_lshrrev_b32_e32 v1, 16, v9
	v_cmp_ne_u16_sdwa s[0:1], v1, v2 src0_sel:BYTE_0 src1_sel:DWORD
	v_mov_b32_e32 v45, 0
	v_mov_b32_e32 v46, 0
	s_and_saveexec_b64 s[12:13], s[0:1]
	s_cbranch_execz .LBB267_486
; %bb.481:                              ;   in Loop: Header=BB267_318 Depth=1
	v_cmp_ne_u16_sdwa s[0:1], v1, s24 src0_sel:BYTE_0 src1_sel:DWORD
	v_mov_b32_e32 v46, 0x8000
	s_and_saveexec_b64 s[16:17], s[0:1]
	s_cbranch_execz .LBB267_485
; %bb.482:                              ;   in Loop: Header=BB267_318 Depth=1
	v_bfe_u32 v0, v9, 16, 7
	v_cmp_ne_u32_e64 s[0:1], s25, v0
	v_mov_b32_e32 v46, 0x7c01
	s_and_saveexec_b64 s[18:19], s[0:1]
	s_cbranch_execz .LBB267_484
; %bb.483:                              ;   in Loop: Header=BB267_318 Depth=1
	v_and_b32_e32 v11, 7, v1
	v_ffbh_u32_e32 v46, v11
	v_min_u32_e32 v49, 32, v46
	v_subrev_u32_e32 v46, 28, v49
	v_lshlrev_b64 v[46:47], v46, v[1:2]
	v_lshrrev_b32_e32 v48, 3, v0
	v_sub_u32_e32 v47, 29, v49
	v_cmp_gt_u32_e64 s[0:1], 8, v0
	v_cndmask_b32_e64 v0, v48, v47, s[0:1]
	v_lshl_add_u32 v0, v0, 10, v12
	v_lshlrev_b32_e32 v1, 8, v1
	v_and_b32_e32 v46, 7, v46
	v_and_b32_e32 v0, 0xfc00, v0
	v_cndmask_b32_e64 v11, v11, v46, s[0:1]
	v_and_or_b32 v0, v1, s26, v0
	v_lshl_or_b32 v46, v11, 7, v0
.LBB267_484:                            ;   in Loop: Header=BB267_318 Depth=1
	s_or_b64 exec, exec, s[18:19]
.LBB267_485:                            ;   in Loop: Header=BB267_318 Depth=1
	s_or_b64 exec, exec, s[16:17]
.LBB267_486:                            ;   in Loop: Header=BB267_318 Depth=1
	s_or_b64 exec, exec, s[12:13]
	v_cmp_lt_u32_e64 s[0:1], s5, v9
	s_and_saveexec_b64 s[12:13], s[0:1]
	s_cbranch_execz .LBB267_492
; %bb.487:                              ;   in Loop: Header=BB267_318 Depth=1
	v_lshrrev_b32_e32 v1, 24, v9
	v_cmp_ne_u32_e64 s[0:1], s24, v1
	v_bfrev_b32_e32 v45, 1
	s_and_saveexec_b64 s[16:17], s[0:1]
	s_cbranch_execz .LBB267_491
; %bb.488:                              ;   in Loop: Header=BB267_318 Depth=1
	v_and_b32_e32 v0, 0x7f, v1
	v_cmp_ne_u32_e64 s[0:1], s25, v0
	v_mov_b32_e32 v45, 0x7c010000
	s_and_saveexec_b64 s[18:19], s[0:1]
	s_cbranch_execz .LBB267_490
; %bb.489:                              ;   in Loop: Header=BB267_318 Depth=1
	v_and_b32_e32 v11, 7, v1
	v_ffbh_u32_e32 v47, v11
	v_min_u32_e32 v49, 32, v47
	v_subrev_u32_e32 v47, 28, v49
	v_lshlrev_b64 v[47:48], v47, v[1:2]
	v_lshrrev_b32_e32 v45, 3, v0
	v_sub_u32_e32 v48, 29, v49
	v_cmp_gt_u32_e64 s[0:1], 8, v0
	v_cndmask_b32_e64 v0, v45, v48, s[0:1]
	v_lshlrev_b32_e32 v1, 8, v1
	v_lshl_add_u32 v0, v0, 10, v12
	v_and_b32_e32 v45, 7, v47
	v_and_or_b32 v0, v1, s26, v0
	v_cndmask_b32_e64 v11, v11, v45, s[0:1]
	v_lshlrev_b32_e32 v0, 16, v0
	v_lshl_or_b32 v45, v11, 23, v0
.LBB267_490:                            ;   in Loop: Header=BB267_318 Depth=1
	s_or_b64 exec, exec, s[18:19]
.LBB267_491:                            ;   in Loop: Header=BB267_318 Depth=1
	s_or_b64 exec, exec, s[16:17]
.LBB267_492:                            ;   in Loop: Header=BB267_318 Depth=1
	s_or_b64 exec, exec, s[12:13]
	v_mov_b32_e32 v1, v10
	v_cmp_ne_u16_sdwa s[0:1], v10, v2 src0_sel:BYTE_0 src1_sel:DWORD
	v_mov_b32_e32 v47, 0
	v_mov_b32_e32 v0, 0
	s_and_saveexec_b64 s[12:13], s[0:1]
	s_cbranch_execz .LBB267_498
; %bb.493:                              ;   in Loop: Header=BB267_318 Depth=1
	v_cmp_ne_u16_sdwa s[0:1], v10, s24 src0_sel:BYTE_0 src1_sel:DWORD
	v_mov_b32_e32 v0, 0x8000
	s_and_saveexec_b64 s[16:17], s[0:1]
	s_cbranch_execz .LBB267_497
; %bb.494:                              ;   in Loop: Header=BB267_318 Depth=1
	v_and_b32_e32 v48, 0x7f, v10
	v_cmp_ne_u32_e64 s[0:1], s25, v48
	v_mov_b32_e32 v0, 0x7c01
	s_and_saveexec_b64 s[18:19], s[0:1]
	s_cbranch_execz .LBB267_496
; %bb.495:                              ;   in Loop: Header=BB267_318 Depth=1
	v_and_b32_e32 v0, 7, v10
	v_ffbh_u32_e32 v49, v0
	v_min_u32_e32 v51, 32, v49
	v_subrev_u32_e32 v49, 28, v51
	v_lshlrev_b64 v[49:50], v49, v[1:2]
	v_lshrrev_b32_e32 v11, 3, v48
	v_sub_u32_e32 v50, 29, v51
	v_cmp_gt_u32_e64 s[0:1], 8, v48
	v_cndmask_b32_e64 v11, v11, v50, s[0:1]
	v_lshl_add_u32 v11, v11, 10, v12
	v_lshlrev_b32_e32 v48, 8, v10
	v_and_b32_e32 v49, 7, v49
	v_and_b32_e32 v11, 0xfc00, v11
	v_cndmask_b32_e64 v0, v0, v49, s[0:1]
	v_and_or_b32 v11, v48, s26, v11
	v_lshl_or_b32 v0, v0, 7, v11
.LBB267_496:                            ;   in Loop: Header=BB267_318 Depth=1
	s_or_b64 exec, exec, s[18:19]
.LBB267_497:                            ;   in Loop: Header=BB267_318 Depth=1
	s_or_b64 exec, exec, s[16:17]
.LBB267_498:                            ;   in Loop: Header=BB267_318 Depth=1
	s_or_b64 exec, exec, s[12:13]
	v_lshrrev_b16_e32 v1, 8, v1
	v_cmp_ne_u16_e64 s[0:1], 0, v1
	v_mov_b32_e32 v48, 0
	s_and_saveexec_b64 s[12:13], s[0:1]
	s_cbranch_execz .LBB267_504
; %bb.499:                              ;   in Loop: Header=BB267_318 Depth=1
	v_cmp_ne_u16_e64 s[0:1], s24, v1
	v_bfrev_b32_e32 v48, 1
	s_and_saveexec_b64 s[16:17], s[0:1]
	s_cbranch_execz .LBB267_503
; %bb.500:                              ;   in Loop: Header=BB267_318 Depth=1
	v_and_b32_e32 v49, 0x7f, v1
	v_cmp_ne_u32_e64 s[0:1], s25, v49
	v_mov_b32_e32 v48, 0x7c010000
	s_and_saveexec_b64 s[18:19], s[0:1]
	s_cbranch_execz .LBB267_502
; %bb.501:                              ;   in Loop: Header=BB267_318 Depth=1
	v_and_b32_e32 v11, 7, v1
	v_ffbh_u32_e32 v50, v11
	v_min_u32_e32 v52, 32, v50
	v_subrev_u32_e32 v50, 28, v52
	v_lshlrev_b64 v[50:51], v50, v[1:2]
	v_lshrrev_b32_e32 v48, 3, v49
	v_sub_u32_e32 v51, 29, v52
	v_cmp_gt_u32_e64 s[0:1], 8, v49
	v_cndmask_b32_e64 v48, v48, v51, s[0:1]
	v_lshlrev_b32_e32 v1, 8, v1
	v_lshl_add_u32 v48, v48, 10, v12
	v_and_b32_e32 v49, 7, v50
	v_and_or_b32 v1, v1, s26, v48
	v_cndmask_b32_e64 v11, v11, v49, s[0:1]
	v_lshlrev_b32_e32 v1, 16, v1
	v_lshl_or_b32 v48, v11, 23, v1
.LBB267_502:                            ;   in Loop: Header=BB267_318 Depth=1
	s_or_b64 exec, exec, s[18:19]
.LBB267_503:                            ;   in Loop: Header=BB267_318 Depth=1
	s_or_b64 exec, exec, s[16:17]
.LBB267_504:                            ;   in Loop: Header=BB267_318 Depth=1
	s_or_b64 exec, exec, s[12:13]
	v_lshrrev_b32_e32 v1, 16, v10
	v_cmp_ne_u16_sdwa s[0:1], v1, v2 src0_sel:BYTE_0 src1_sel:DWORD
	s_and_saveexec_b64 s[12:13], s[0:1]
	s_cbranch_execz .LBB267_510
; %bb.505:                              ;   in Loop: Header=BB267_318 Depth=1
	v_cmp_ne_u16_sdwa s[0:1], v1, s24 src0_sel:BYTE_0 src1_sel:DWORD
	v_mov_b32_e32 v47, 0x8000
	s_and_saveexec_b64 s[16:17], s[0:1]
	s_cbranch_execz .LBB267_509
; %bb.506:                              ;   in Loop: Header=BB267_318 Depth=1
	v_bfe_u32 v49, v10, 16, 7
	v_cmp_ne_u32_e64 s[0:1], s25, v49
	v_mov_b32_e32 v47, 0x7c01
	s_and_saveexec_b64 s[18:19], s[0:1]
	s_cbranch_execz .LBB267_508
; %bb.507:                              ;   in Loop: Header=BB267_318 Depth=1
	v_and_b32_e32 v11, 7, v1
	v_ffbh_u32_e32 v50, v11
	v_min_u32_e32 v52, 32, v50
	v_subrev_u32_e32 v50, 28, v52
	v_lshlrev_b64 v[50:51], v50, v[1:2]
	v_lshrrev_b32_e32 v47, 3, v49
	v_sub_u32_e32 v51, 29, v52
	v_cmp_gt_u32_e64 s[0:1], 8, v49
	v_cndmask_b32_e64 v47, v47, v51, s[0:1]
	v_lshl_add_u32 v47, v47, 10, v12
	v_lshlrev_b32_e32 v1, 8, v1
	v_and_b32_e32 v49, 7, v50
	v_and_b32_e32 v47, 0xfc00, v47
	v_cndmask_b32_e64 v11, v11, v49, s[0:1]
	v_and_or_b32 v1, v1, s26, v47
	v_lshl_or_b32 v47, v11, 7, v1
.LBB267_508:                            ;   in Loop: Header=BB267_318 Depth=1
	s_or_b64 exec, exec, s[18:19]
.LBB267_509:                            ;   in Loop: Header=BB267_318 Depth=1
	s_or_b64 exec, exec, s[16:17]
.LBB267_510:                            ;   in Loop: Header=BB267_318 Depth=1
	s_or_b64 exec, exec, s[12:13]
	v_cmp_lt_u64_e64 s[0:1], s[4:5], v[9:10]
	v_mov_b32_e32 v9, 0
	s_and_saveexec_b64 s[12:13], s[0:1]
	s_cbranch_execz .LBB267_516
; %bb.511:                              ;   in Loop: Header=BB267_318 Depth=1
	v_lshrrev_b32_e32 v1, 24, v10
	v_cmp_ne_u32_e64 s[0:1], s24, v1
	v_bfrev_b32_e32 v9, 1
	s_and_saveexec_b64 s[16:17], s[0:1]
	s_cbranch_execz .LBB267_515
; %bb.512:                              ;   in Loop: Header=BB267_318 Depth=1
	v_and_b32_e32 v10, 0x7f, v1
	v_cmp_ne_u32_e64 s[0:1], s25, v10
	v_mov_b32_e32 v9, 0x7c010000
	s_and_saveexec_b64 s[18:19], s[0:1]
	s_cbranch_execz .LBB267_514
; %bb.513:                              ;   in Loop: Header=BB267_318 Depth=1
	v_and_b32_e32 v9, 7, v1
	v_ffbh_u32_e32 v49, v9
	v_min_u32_e32 v51, 32, v49
	v_subrev_u32_e32 v49, 28, v51
	v_lshlrev_b64 v[49:50], v49, v[1:2]
	v_lshrrev_b32_e32 v11, 3, v10
	v_sub_u32_e32 v50, 29, v51
	v_cmp_gt_u32_e64 s[0:1], 8, v10
	v_cndmask_b32_e64 v10, v11, v50, s[0:1]
	v_lshlrev_b32_e32 v1, 8, v1
	v_lshl_add_u32 v10, v10, 10, v12
	v_and_b32_e32 v11, 7, v49
	v_and_or_b32 v1, v1, s26, v10
	v_cndmask_b32_e64 v9, v9, v11, s[0:1]
	v_lshlrev_b32_e32 v1, 16, v1
	v_lshl_or_b32 v9, v9, 23, v1
.LBB267_514:                            ;   in Loop: Header=BB267_318 Depth=1
	s_or_b64 exec, exec, s[18:19]
.LBB267_515:                            ;   in Loop: Header=BB267_318 Depth=1
	s_or_b64 exec, exec, s[16:17]
.LBB267_516:                            ;   in Loop: Header=BB267_318 Depth=1
	s_or_b64 exec, exec, s[12:13]
	s_waitcnt vmcnt(0)
	v_fma_mixlo_f16 v10, v42, v45, 0 op_sel:[0,1,0] op_sel_hi:[0,1,0]
	v_fma_mixlo_f16 v11, v42, v43, 0 op_sel:[0,1,0] op_sel_hi:[0,1,0]
	v_or_b32_e32 v1, v45, v46
	v_lshlrev_b32_e32 v45, 16, v10
	v_or_b32_e32 v10, v43, v44
	v_lshlrev_b32_e32 v44, 16, v11
	v_fma_mixlo_f16 v11, v42, v48, 0 op_sel:[0,1,0] op_sel_hi:[0,1,0]
	v_or_b32_e32 v0, v48, v0
	v_lshlrev_b32_e32 v43, 16, v11
	v_or_b32_e32 v11, v9, v47
	v_fma_mixlo_f16 v1, v42, v1, 0 op_sel_hi:[0,1,0]
	v_fma_mixlo_f16 v10, v42, v10, 0 op_sel_hi:[0,1,0]
	;; [unrolled: 1-line block ×4, first 2 shown]
	v_fma_mixlo_f16 v9, v42, v9, 0 op_sel:[0,1,0] op_sel_hi:[0,1,0]
	v_and_b32_e32 v46, 0xffff, v1
	v_and_b32_e32 v49, 0xffff, v10
	;; [unrolled: 1-line block ×3, first 2 shown]
	v_lshlrev_b32_e32 v9, 16, v9
	v_and_b32_e32 v42, 0xffff, v11
	v_or_b32_e32 v1, v45, v46
	v_or_b32_e32 v10, v44, v49
	v_or_b32_e32 v0, v43, v48
	v_or_b32_e32 v47, v9, v42
	s_and_saveexec_b64 s[12:13], vcc
	s_cbranch_execz .LBB267_518
; %bb.517:                              ;   in Loop: Header=BB267_318 Depth=1
	v_cmp_gt_i32_e64 s[0:1], s30, v25
	v_cndmask_b32_e64 v0, 0, v49, s[0:1]
	v_cmp_gt_i32_e64 s[0:1], s30, v31
	v_cndmask_b32_e64 v1, 0, v44, s[0:1]
	v_cmp_gt_i32_e64 s[0:1], s30, v30
	v_or_b32_e32 v10, v1, v0
	v_cndmask_b32_e64 v0, 0, v46, s[0:1]
	v_cmp_gt_i32_e64 s[0:1], s30, v29
	v_cndmask_b32_e64 v1, 0, v45, s[0:1]
	v_cmp_gt_i32_e64 s[0:1], s30, v28
	v_or_b32_e32 v1, v1, v0
	;; [unrolled: 5-line block ×3, first 2 shown]
	v_cndmask_b32_e64 v11, 0, v42, s[0:1]
	v_cmp_gt_i32_e64 s[0:1], s30, v23
	v_cndmask_b32_e64 v9, 0, v9, s[0:1]
	v_or_b32_e32 v47, v9, v11
.LBB267_518:                            ;   in Loop: Header=BB267_318 Depth=1
	s_or_b64 exec, exec, s[12:13]
	;;#ASMSTART
	v_pk_mul_f16 v9, v32, v10;

	;;#ASMEND
	;;#ASMSTART
	v_pk_mul_f16 v1, v33, v1;

	;;#ASMEND
	;; [unrolled: 4-line block ×4, first 2 shown]
	;;#ASMSTART
	v_pk_add_f16 v1, v9, v1;

	;;#ASMEND
	;;#ASMSTART
	v_pk_add_f16 v0, v1, v0;

	;;#ASMEND
	;; [unrolled: 4-line block ×3, first 2 shown]
	v_lshrrev_b32_e32 v1, 16, v0
	v_and_b32_e32 v0, 0xffff, v0
	;;#ASMSTART
	v_cvt_f32_f16 v42, v0;
	;;#ASMEND
	;;#ASMSTART
	v_cvt_f32_f16 v43, v1;
	;;#ASMEND
	global_load_dwordx2 v[9:10], v[7:8], off offset:2048
	v_mov_b32_e32 v45, 0
	global_load_dword v44, v45, s[14:15]
	v_mov_b32_e32 v46, 0
	s_waitcnt vmcnt(1)
	v_cmp_ne_u16_sdwa s[0:1], v9, v2 src0_sel:BYTE_0 src1_sel:DWORD
	s_and_saveexec_b64 s[12:13], s[0:1]
	s_cbranch_execz .LBB267_524
; %bb.519:                              ;   in Loop: Header=BB267_318 Depth=1
	v_cmp_ne_u16_sdwa s[0:1], v9, s24 src0_sel:BYTE_0 src1_sel:DWORD
	v_mov_b32_e32 v46, 0x8000
	s_and_saveexec_b64 s[16:17], s[0:1]
	s_cbranch_execz .LBB267_523
; %bb.520:                              ;   in Loop: Header=BB267_318 Depth=1
	v_and_b32_e32 v0, 0x7f, v9
	v_cmp_ne_u32_e64 s[0:1], s25, v0
	v_mov_b32_e32 v46, 0x7c01
	s_and_saveexec_b64 s[18:19], s[0:1]
	s_cbranch_execz .LBB267_522
; %bb.521:                              ;   in Loop: Header=BB267_318 Depth=1
	v_and_b32_e32 v1, 7, v9
	v_ffbh_u32_e32 v46, v1
	v_min_u32_e32 v48, 32, v46
	v_subrev_u32_e32 v46, 28, v48
	v_lshlrev_b64 v[46:47], v46, v[9:10]
	v_lshrrev_b32_e32 v11, 3, v0
	v_sub_u32_e32 v47, 29, v48
	v_cmp_gt_u32_e64 s[0:1], 8, v0
	v_cndmask_b32_e64 v0, v11, v47, s[0:1]
	v_lshl_add_u32 v0, v0, 10, v12
	v_lshlrev_b32_e32 v11, 8, v9
	v_and_b32_e32 v46, 7, v46
	v_and_b32_e32 v0, 0xfc00, v0
	v_cndmask_b32_e64 v1, v1, v46, s[0:1]
	v_and_or_b32 v0, v11, s26, v0
	v_lshl_or_b32 v46, v1, 7, v0
.LBB267_522:                            ;   in Loop: Header=BB267_318 Depth=1
	s_or_b64 exec, exec, s[18:19]
.LBB267_523:                            ;   in Loop: Header=BB267_318 Depth=1
	s_or_b64 exec, exec, s[16:17]
.LBB267_524:                            ;   in Loop: Header=BB267_318 Depth=1
	s_or_b64 exec, exec, s[12:13]
	v_lshrrev_b16_e32 v1, 8, v9
	v_cmp_ne_u16_e64 s[0:1], 0, v1
	s_and_saveexec_b64 s[12:13], s[0:1]
	s_cbranch_execz .LBB267_530
; %bb.525:                              ;   in Loop: Header=BB267_318 Depth=1
	v_cmp_ne_u16_e64 s[0:1], s24, v1
	v_bfrev_b32_e32 v45, 1
	s_and_saveexec_b64 s[16:17], s[0:1]
	s_cbranch_execz .LBB267_529
; %bb.526:                              ;   in Loop: Header=BB267_318 Depth=1
	v_and_b32_e32 v0, 0x7f, v1
	v_cmp_ne_u32_e64 s[0:1], s25, v0
	v_mov_b32_e32 v45, 0x7c010000
	s_and_saveexec_b64 s[18:19], s[0:1]
	s_cbranch_execz .LBB267_528
; %bb.527:                              ;   in Loop: Header=BB267_318 Depth=1
	v_and_b32_e32 v11, 7, v1
	v_ffbh_u32_e32 v47, v11
	v_min_u32_e32 v49, 32, v47
	v_subrev_u32_e32 v47, 28, v49
	v_lshlrev_b64 v[47:48], v47, v[1:2]
	v_lshrrev_b32_e32 v45, 3, v0
	v_sub_u32_e32 v48, 29, v49
	v_cmp_gt_u32_e64 s[0:1], 8, v0
	v_cndmask_b32_e64 v0, v45, v48, s[0:1]
	v_lshlrev_b32_e32 v1, 8, v1
	v_lshl_add_u32 v0, v0, 10, v12
	v_and_b32_e32 v45, 7, v47
	v_and_or_b32 v0, v1, s26, v0
	v_cndmask_b32_e64 v11, v11, v45, s[0:1]
	v_lshlrev_b32_e32 v0, 16, v0
	v_lshl_or_b32 v45, v11, 23, v0
.LBB267_528:                            ;   in Loop: Header=BB267_318 Depth=1
	s_or_b64 exec, exec, s[18:19]
.LBB267_529:                            ;   in Loop: Header=BB267_318 Depth=1
	s_or_b64 exec, exec, s[16:17]
.LBB267_530:                            ;   in Loop: Header=BB267_318 Depth=1
	s_or_b64 exec, exec, s[12:13]
	v_lshrrev_b32_e32 v1, 16, v9
	v_cmp_ne_u16_sdwa s[0:1], v1, v2 src0_sel:BYTE_0 src1_sel:DWORD
	v_mov_b32_e32 v47, 0
	v_mov_b32_e32 v48, 0
	s_and_saveexec_b64 s[12:13], s[0:1]
	s_cbranch_execz .LBB267_536
; %bb.531:                              ;   in Loop: Header=BB267_318 Depth=1
	v_cmp_ne_u16_sdwa s[0:1], v1, s24 src0_sel:BYTE_0 src1_sel:DWORD
	v_mov_b32_e32 v48, 0x8000
	s_and_saveexec_b64 s[16:17], s[0:1]
	s_cbranch_execz .LBB267_535
; %bb.532:                              ;   in Loop: Header=BB267_318 Depth=1
	v_bfe_u32 v0, v9, 16, 7
	v_cmp_ne_u32_e64 s[0:1], s25, v0
	v_mov_b32_e32 v48, 0x7c01
	s_and_saveexec_b64 s[18:19], s[0:1]
	s_cbranch_execz .LBB267_534
; %bb.533:                              ;   in Loop: Header=BB267_318 Depth=1
	v_and_b32_e32 v11, 7, v1
	v_ffbh_u32_e32 v48, v11
	v_min_u32_e32 v51, 32, v48
	v_subrev_u32_e32 v48, 28, v51
	v_lshlrev_b64 v[48:49], v48, v[1:2]
	v_lshrrev_b32_e32 v50, 3, v0
	v_sub_u32_e32 v49, 29, v51
	v_cmp_gt_u32_e64 s[0:1], 8, v0
	v_cndmask_b32_e64 v0, v50, v49, s[0:1]
	v_lshl_add_u32 v0, v0, 10, v12
	v_lshlrev_b32_e32 v1, 8, v1
	v_and_b32_e32 v48, 7, v48
	v_and_b32_e32 v0, 0xfc00, v0
	v_cndmask_b32_e64 v11, v11, v48, s[0:1]
	v_and_or_b32 v0, v1, s26, v0
	v_lshl_or_b32 v48, v11, 7, v0
.LBB267_534:                            ;   in Loop: Header=BB267_318 Depth=1
	s_or_b64 exec, exec, s[18:19]
.LBB267_535:                            ;   in Loop: Header=BB267_318 Depth=1
	s_or_b64 exec, exec, s[16:17]
.LBB267_536:                            ;   in Loop: Header=BB267_318 Depth=1
	s_or_b64 exec, exec, s[12:13]
	v_cmp_lt_u32_e64 s[0:1], s5, v9
	s_and_saveexec_b64 s[12:13], s[0:1]
	s_cbranch_execz .LBB267_542
; %bb.537:                              ;   in Loop: Header=BB267_318 Depth=1
	v_lshrrev_b32_e32 v1, 24, v9
	v_cmp_ne_u32_e64 s[0:1], s24, v1
	v_bfrev_b32_e32 v47, 1
	s_and_saveexec_b64 s[16:17], s[0:1]
	s_cbranch_execz .LBB267_541
; %bb.538:                              ;   in Loop: Header=BB267_318 Depth=1
	v_and_b32_e32 v0, 0x7f, v1
	v_cmp_ne_u32_e64 s[0:1], s25, v0
	v_mov_b32_e32 v47, 0x7c010000
	s_and_saveexec_b64 s[18:19], s[0:1]
	s_cbranch_execz .LBB267_540
; %bb.539:                              ;   in Loop: Header=BB267_318 Depth=1
	v_and_b32_e32 v11, 7, v1
	v_ffbh_u32_e32 v49, v11
	v_min_u32_e32 v51, 32, v49
	v_subrev_u32_e32 v49, 28, v51
	v_lshlrev_b64 v[49:50], v49, v[1:2]
	v_lshrrev_b32_e32 v47, 3, v0
	v_sub_u32_e32 v50, 29, v51
	v_cmp_gt_u32_e64 s[0:1], 8, v0
	v_cndmask_b32_e64 v0, v47, v50, s[0:1]
	v_lshlrev_b32_e32 v1, 8, v1
	v_lshl_add_u32 v0, v0, 10, v12
	v_and_b32_e32 v47, 7, v49
	v_and_or_b32 v0, v1, s26, v0
	v_cndmask_b32_e64 v11, v11, v47, s[0:1]
	v_lshlrev_b32_e32 v0, 16, v0
	v_lshl_or_b32 v47, v11, 23, v0
.LBB267_540:                            ;   in Loop: Header=BB267_318 Depth=1
	s_or_b64 exec, exec, s[18:19]
.LBB267_541:                            ;   in Loop: Header=BB267_318 Depth=1
	s_or_b64 exec, exec, s[16:17]
.LBB267_542:                            ;   in Loop: Header=BB267_318 Depth=1
	s_or_b64 exec, exec, s[12:13]
	v_mov_b32_e32 v1, v10
	v_cmp_ne_u16_sdwa s[0:1], v10, v2 src0_sel:BYTE_0 src1_sel:DWORD
	v_mov_b32_e32 v49, 0
	v_mov_b32_e32 v0, 0
	s_and_saveexec_b64 s[12:13], s[0:1]
	s_cbranch_execz .LBB267_548
; %bb.543:                              ;   in Loop: Header=BB267_318 Depth=1
	v_cmp_ne_u16_sdwa s[0:1], v10, s24 src0_sel:BYTE_0 src1_sel:DWORD
	v_mov_b32_e32 v0, 0x8000
	s_and_saveexec_b64 s[16:17], s[0:1]
	s_cbranch_execz .LBB267_547
; %bb.544:                              ;   in Loop: Header=BB267_318 Depth=1
	v_and_b32_e32 v50, 0x7f, v10
	v_cmp_ne_u32_e64 s[0:1], s25, v50
	v_mov_b32_e32 v0, 0x7c01
	s_and_saveexec_b64 s[18:19], s[0:1]
	s_cbranch_execz .LBB267_546
; %bb.545:                              ;   in Loop: Header=BB267_318 Depth=1
	v_and_b32_e32 v0, 7, v10
	v_ffbh_u32_e32 v51, v0
	v_min_u32_e32 v53, 32, v51
	v_subrev_u32_e32 v51, 28, v53
	v_lshlrev_b64 v[51:52], v51, v[1:2]
	v_lshrrev_b32_e32 v11, 3, v50
	v_sub_u32_e32 v52, 29, v53
	v_cmp_gt_u32_e64 s[0:1], 8, v50
	v_cndmask_b32_e64 v11, v11, v52, s[0:1]
	v_lshl_add_u32 v11, v11, 10, v12
	v_lshlrev_b32_e32 v50, 8, v10
	v_and_b32_e32 v51, 7, v51
	v_and_b32_e32 v11, 0xfc00, v11
	v_cndmask_b32_e64 v0, v0, v51, s[0:1]
	v_and_or_b32 v11, v50, s26, v11
	v_lshl_or_b32 v0, v0, 7, v11
.LBB267_546:                            ;   in Loop: Header=BB267_318 Depth=1
	s_or_b64 exec, exec, s[18:19]
.LBB267_547:                            ;   in Loop: Header=BB267_318 Depth=1
	s_or_b64 exec, exec, s[16:17]
.LBB267_548:                            ;   in Loop: Header=BB267_318 Depth=1
	s_or_b64 exec, exec, s[12:13]
	v_lshrrev_b16_e32 v1, 8, v1
	v_cmp_ne_u16_e64 s[0:1], 0, v1
	v_mov_b32_e32 v50, 0
	s_and_saveexec_b64 s[12:13], s[0:1]
	s_cbranch_execz .LBB267_554
; %bb.549:                              ;   in Loop: Header=BB267_318 Depth=1
	v_cmp_ne_u16_e64 s[0:1], s24, v1
	v_bfrev_b32_e32 v50, 1
	s_and_saveexec_b64 s[16:17], s[0:1]
	s_cbranch_execz .LBB267_553
; %bb.550:                              ;   in Loop: Header=BB267_318 Depth=1
	v_and_b32_e32 v51, 0x7f, v1
	v_cmp_ne_u32_e64 s[0:1], s25, v51
	v_mov_b32_e32 v50, 0x7c010000
	s_and_saveexec_b64 s[18:19], s[0:1]
	s_cbranch_execz .LBB267_552
; %bb.551:                              ;   in Loop: Header=BB267_318 Depth=1
	v_and_b32_e32 v11, 7, v1
	v_ffbh_u32_e32 v52, v11
	v_min_u32_e32 v54, 32, v52
	v_subrev_u32_e32 v52, 28, v54
	v_lshlrev_b64 v[52:53], v52, v[1:2]
	v_lshrrev_b32_e32 v50, 3, v51
	v_sub_u32_e32 v53, 29, v54
	v_cmp_gt_u32_e64 s[0:1], 8, v51
	v_cndmask_b32_e64 v50, v50, v53, s[0:1]
	v_lshlrev_b32_e32 v1, 8, v1
	v_lshl_add_u32 v50, v50, 10, v12
	v_and_b32_e32 v51, 7, v52
	v_and_or_b32 v1, v1, s26, v50
	v_cndmask_b32_e64 v11, v11, v51, s[0:1]
	v_lshlrev_b32_e32 v1, 16, v1
	v_lshl_or_b32 v50, v11, 23, v1
.LBB267_552:                            ;   in Loop: Header=BB267_318 Depth=1
	s_or_b64 exec, exec, s[18:19]
.LBB267_553:                            ;   in Loop: Header=BB267_318 Depth=1
	s_or_b64 exec, exec, s[16:17]
.LBB267_554:                            ;   in Loop: Header=BB267_318 Depth=1
	s_or_b64 exec, exec, s[12:13]
	v_lshrrev_b32_e32 v1, 16, v10
	v_cmp_ne_u16_sdwa s[0:1], v1, v2 src0_sel:BYTE_0 src1_sel:DWORD
	s_and_saveexec_b64 s[12:13], s[0:1]
	s_cbranch_execz .LBB267_560
; %bb.555:                              ;   in Loop: Header=BB267_318 Depth=1
	v_cmp_ne_u16_sdwa s[0:1], v1, s24 src0_sel:BYTE_0 src1_sel:DWORD
	v_mov_b32_e32 v49, 0x8000
	s_and_saveexec_b64 s[16:17], s[0:1]
	s_cbranch_execz .LBB267_559
; %bb.556:                              ;   in Loop: Header=BB267_318 Depth=1
	v_bfe_u32 v51, v10, 16, 7
	v_cmp_ne_u32_e64 s[0:1], s25, v51
	v_mov_b32_e32 v49, 0x7c01
	s_and_saveexec_b64 s[18:19], s[0:1]
	s_cbranch_execz .LBB267_558
; %bb.557:                              ;   in Loop: Header=BB267_318 Depth=1
	v_and_b32_e32 v11, 7, v1
	v_ffbh_u32_e32 v52, v11
	v_min_u32_e32 v54, 32, v52
	v_subrev_u32_e32 v52, 28, v54
	v_lshlrev_b64 v[52:53], v52, v[1:2]
	v_lshrrev_b32_e32 v49, 3, v51
	v_sub_u32_e32 v53, 29, v54
	v_cmp_gt_u32_e64 s[0:1], 8, v51
	v_cndmask_b32_e64 v49, v49, v53, s[0:1]
	v_lshl_add_u32 v49, v49, 10, v12
	v_lshlrev_b32_e32 v1, 8, v1
	v_and_b32_e32 v51, 7, v52
	v_and_b32_e32 v49, 0xfc00, v49
	v_cndmask_b32_e64 v11, v11, v51, s[0:1]
	v_and_or_b32 v1, v1, s26, v49
	v_lshl_or_b32 v49, v11, 7, v1
.LBB267_558:                            ;   in Loop: Header=BB267_318 Depth=1
	s_or_b64 exec, exec, s[18:19]
.LBB267_559:                            ;   in Loop: Header=BB267_318 Depth=1
	s_or_b64 exec, exec, s[16:17]
.LBB267_560:                            ;   in Loop: Header=BB267_318 Depth=1
	s_or_b64 exec, exec, s[12:13]
	v_cmp_lt_u64_e64 s[0:1], s[4:5], v[9:10]
	v_mov_b32_e32 v9, 0
	s_and_saveexec_b64 s[12:13], s[0:1]
	s_cbranch_execz .LBB267_566
; %bb.561:                              ;   in Loop: Header=BB267_318 Depth=1
	v_lshrrev_b32_e32 v1, 24, v10
	v_cmp_ne_u32_e64 s[0:1], s24, v1
	v_bfrev_b32_e32 v9, 1
	s_and_saveexec_b64 s[16:17], s[0:1]
	s_cbranch_execz .LBB267_565
; %bb.562:                              ;   in Loop: Header=BB267_318 Depth=1
	v_and_b32_e32 v10, 0x7f, v1
	v_cmp_ne_u32_e64 s[0:1], s25, v10
	v_mov_b32_e32 v9, 0x7c010000
	s_and_saveexec_b64 s[18:19], s[0:1]
	s_cbranch_execz .LBB267_564
; %bb.563:                              ;   in Loop: Header=BB267_318 Depth=1
	v_and_b32_e32 v9, 7, v1
	v_ffbh_u32_e32 v51, v9
	v_min_u32_e32 v53, 32, v51
	v_subrev_u32_e32 v51, 28, v53
	v_lshlrev_b64 v[51:52], v51, v[1:2]
	v_lshrrev_b32_e32 v11, 3, v10
	v_sub_u32_e32 v52, 29, v53
	v_cmp_gt_u32_e64 s[0:1], 8, v10
	v_cndmask_b32_e64 v10, v11, v52, s[0:1]
	v_lshlrev_b32_e32 v1, 8, v1
	v_lshl_add_u32 v10, v10, 10, v12
	v_and_b32_e32 v11, 7, v51
	v_and_or_b32 v1, v1, s26, v10
	v_cndmask_b32_e64 v9, v9, v11, s[0:1]
	v_lshlrev_b32_e32 v1, 16, v1
	v_lshl_or_b32 v9, v9, 23, v1
.LBB267_564:                            ;   in Loop: Header=BB267_318 Depth=1
	s_or_b64 exec, exec, s[18:19]
.LBB267_565:                            ;   in Loop: Header=BB267_318 Depth=1
	s_or_b64 exec, exec, s[16:17]
.LBB267_566:                            ;   in Loop: Header=BB267_318 Depth=1
	s_or_b64 exec, exec, s[12:13]
	s_waitcnt vmcnt(0)
	v_fma_mixlo_f16 v10, v44, v47, 0 op_sel:[0,1,0] op_sel_hi:[0,1,0]
	v_fma_mixlo_f16 v11, v44, v45, 0 op_sel:[0,1,0] op_sel_hi:[0,1,0]
	v_or_b32_e32 v1, v47, v48
	v_lshlrev_b32_e32 v47, 16, v10
	v_or_b32_e32 v10, v45, v46
	v_lshlrev_b32_e32 v46, 16, v11
	v_fma_mixlo_f16 v11, v44, v50, 0 op_sel:[0,1,0] op_sel_hi:[0,1,0]
	v_or_b32_e32 v0, v50, v0
	v_lshlrev_b32_e32 v45, 16, v11
	v_or_b32_e32 v11, v9, v49
	v_fma_mixlo_f16 v1, v44, v1, 0 op_sel_hi:[0,1,0]
	v_fma_mixlo_f16 v10, v44, v10, 0 op_sel_hi:[0,1,0]
	;; [unrolled: 1-line block ×4, first 2 shown]
	v_fma_mixlo_f16 v9, v44, v9, 0 op_sel:[0,1,0] op_sel_hi:[0,1,0]
	v_and_b32_e32 v48, 0xffff, v1
	v_and_b32_e32 v51, 0xffff, v10
	;; [unrolled: 1-line block ×3, first 2 shown]
	v_lshlrev_b32_e32 v9, 16, v9
	v_and_b32_e32 v44, 0xffff, v11
	v_or_b32_e32 v1, v47, v48
	v_or_b32_e32 v10, v46, v51
	;; [unrolled: 1-line block ×4, first 2 shown]
	s_and_saveexec_b64 s[12:13], vcc
	s_cbranch_execz .LBB267_568
; %bb.567:                              ;   in Loop: Header=BB267_318 Depth=1
	v_cmp_gt_i32_e64 s[0:1], s30, v25
	v_cndmask_b32_e64 v0, 0, v51, s[0:1]
	v_cmp_gt_i32_e64 s[0:1], s30, v31
	v_cndmask_b32_e64 v1, 0, v46, s[0:1]
	v_cmp_gt_i32_e64 s[0:1], s30, v30
	v_or_b32_e32 v10, v1, v0
	v_cndmask_b32_e64 v0, 0, v48, s[0:1]
	v_cmp_gt_i32_e64 s[0:1], s30, v29
	v_cndmask_b32_e64 v1, 0, v47, s[0:1]
	v_cmp_gt_i32_e64 s[0:1], s30, v28
	v_or_b32_e32 v1, v1, v0
	;; [unrolled: 5-line block ×3, first 2 shown]
	v_cndmask_b32_e64 v11, 0, v44, s[0:1]
	v_cmp_gt_i32_e64 s[0:1], s30, v23
	v_cndmask_b32_e64 v9, 0, v9, s[0:1]
	v_or_b32_e32 v49, v9, v11
.LBB267_568:                            ;   in Loop: Header=BB267_318 Depth=1
	s_or_b64 exec, exec, s[12:13]
	;;#ASMSTART
	v_pk_mul_f16 v9, v32, v10;

	;;#ASMEND
	;;#ASMSTART
	v_pk_mul_f16 v1, v33, v1;

	;;#ASMEND
	;; [unrolled: 4-line block ×4, first 2 shown]
	;;#ASMSTART
	v_pk_add_f16 v1, v9, v1;

	;;#ASMEND
	;;#ASMSTART
	v_pk_add_f16 v0, v1, v0;

	;;#ASMEND
	;; [unrolled: 4-line block ×3, first 2 shown]
	v_lshrrev_b32_e32 v1, 16, v0
	v_and_b32_e32 v0, 0xffff, v0
	;;#ASMSTART
	v_cvt_f32_f16 v9, v0;
	;;#ASMEND
	;;#ASMSTART
	v_cvt_f32_f16 v10, v1;
	;;#ASMEND
	global_load_dwordx2 v[7:8], v[7:8], off offset:2560
	v_mov_b32_e32 v45, 0
	global_load_dword v44, v45, s[14:15]
	v_mov_b32_e32 v46, 0
	s_waitcnt vmcnt(1)
	v_cmp_ne_u16_sdwa s[0:1], v7, v2 src0_sel:BYTE_0 src1_sel:DWORD
	s_and_saveexec_b64 s[12:13], s[0:1]
	s_cbranch_execz .LBB267_574
; %bb.569:                              ;   in Loop: Header=BB267_318 Depth=1
	v_cmp_ne_u16_sdwa s[0:1], v7, s24 src0_sel:BYTE_0 src1_sel:DWORD
	v_mov_b32_e32 v46, 0x8000
	s_and_saveexec_b64 s[16:17], s[0:1]
	s_cbranch_execz .LBB267_573
; %bb.570:                              ;   in Loop: Header=BB267_318 Depth=1
	v_and_b32_e32 v0, 0x7f, v7
	v_cmp_ne_u32_e64 s[0:1], s25, v0
	v_mov_b32_e32 v46, 0x7c01
	s_and_saveexec_b64 s[18:19], s[0:1]
	s_cbranch_execz .LBB267_572
; %bb.571:                              ;   in Loop: Header=BB267_318 Depth=1
	v_and_b32_e32 v1, 7, v7
	v_ffbh_u32_e32 v46, v1
	v_min_u32_e32 v48, 32, v46
	v_subrev_u32_e32 v46, 28, v48
	v_lshlrev_b64 v[46:47], v46, v[7:8]
	v_lshrrev_b32_e32 v11, 3, v0
	v_sub_u32_e32 v47, 29, v48
	v_cmp_gt_u32_e64 s[0:1], 8, v0
	v_cndmask_b32_e64 v0, v11, v47, s[0:1]
	v_lshl_add_u32 v0, v0, 10, v12
	v_lshlrev_b32_e32 v11, 8, v7
	v_and_b32_e32 v46, 7, v46
	v_and_b32_e32 v0, 0xfc00, v0
	v_cndmask_b32_e64 v1, v1, v46, s[0:1]
	v_and_or_b32 v0, v11, s26, v0
	v_lshl_or_b32 v46, v1, 7, v0
.LBB267_572:                            ;   in Loop: Header=BB267_318 Depth=1
	s_or_b64 exec, exec, s[18:19]
.LBB267_573:                            ;   in Loop: Header=BB267_318 Depth=1
	s_or_b64 exec, exec, s[16:17]
.LBB267_574:                            ;   in Loop: Header=BB267_318 Depth=1
	s_or_b64 exec, exec, s[12:13]
	v_lshrrev_b16_e32 v1, 8, v7
	v_cmp_ne_u16_e64 s[0:1], 0, v1
	s_and_saveexec_b64 s[12:13], s[0:1]
	s_cbranch_execz .LBB267_580
; %bb.575:                              ;   in Loop: Header=BB267_318 Depth=1
	v_cmp_ne_u16_e64 s[0:1], s24, v1
	v_bfrev_b32_e32 v45, 1
	s_and_saveexec_b64 s[16:17], s[0:1]
	s_cbranch_execz .LBB267_579
; %bb.576:                              ;   in Loop: Header=BB267_318 Depth=1
	v_and_b32_e32 v0, 0x7f, v1
	v_cmp_ne_u32_e64 s[0:1], s25, v0
	v_mov_b32_e32 v45, 0x7c010000
	s_and_saveexec_b64 s[18:19], s[0:1]
	s_cbranch_execz .LBB267_578
; %bb.577:                              ;   in Loop: Header=BB267_318 Depth=1
	v_and_b32_e32 v11, 7, v1
	v_ffbh_u32_e32 v47, v11
	v_min_u32_e32 v49, 32, v47
	v_subrev_u32_e32 v47, 28, v49
	v_lshlrev_b64 v[47:48], v47, v[1:2]
	v_lshrrev_b32_e32 v45, 3, v0
	v_sub_u32_e32 v48, 29, v49
	v_cmp_gt_u32_e64 s[0:1], 8, v0
	v_cndmask_b32_e64 v0, v45, v48, s[0:1]
	v_lshlrev_b32_e32 v1, 8, v1
	v_lshl_add_u32 v0, v0, 10, v12
	v_and_b32_e32 v45, 7, v47
	v_and_or_b32 v0, v1, s26, v0
	v_cndmask_b32_e64 v11, v11, v45, s[0:1]
	v_lshlrev_b32_e32 v0, 16, v0
	v_lshl_or_b32 v45, v11, 23, v0
.LBB267_578:                            ;   in Loop: Header=BB267_318 Depth=1
	s_or_b64 exec, exec, s[18:19]
.LBB267_579:                            ;   in Loop: Header=BB267_318 Depth=1
	s_or_b64 exec, exec, s[16:17]
.LBB267_580:                            ;   in Loop: Header=BB267_318 Depth=1
	s_or_b64 exec, exec, s[12:13]
	v_lshrrev_b32_e32 v1, 16, v7
	v_cmp_ne_u16_sdwa s[0:1], v1, v2 src0_sel:BYTE_0 src1_sel:DWORD
	v_mov_b32_e32 v47, 0
	v_mov_b32_e32 v48, 0
	s_and_saveexec_b64 s[12:13], s[0:1]
	s_cbranch_execz .LBB267_586
; %bb.581:                              ;   in Loop: Header=BB267_318 Depth=1
	v_cmp_ne_u16_sdwa s[0:1], v1, s24 src0_sel:BYTE_0 src1_sel:DWORD
	v_mov_b32_e32 v48, 0x8000
	s_and_saveexec_b64 s[16:17], s[0:1]
	s_cbranch_execz .LBB267_585
; %bb.582:                              ;   in Loop: Header=BB267_318 Depth=1
	v_bfe_u32 v0, v7, 16, 7
	v_cmp_ne_u32_e64 s[0:1], s25, v0
	v_mov_b32_e32 v48, 0x7c01
	s_and_saveexec_b64 s[18:19], s[0:1]
	s_cbranch_execz .LBB267_584
; %bb.583:                              ;   in Loop: Header=BB267_318 Depth=1
	v_and_b32_e32 v11, 7, v1
	v_ffbh_u32_e32 v48, v11
	v_min_u32_e32 v51, 32, v48
	v_subrev_u32_e32 v48, 28, v51
	v_lshlrev_b64 v[48:49], v48, v[1:2]
	v_lshrrev_b32_e32 v50, 3, v0
	v_sub_u32_e32 v49, 29, v51
	v_cmp_gt_u32_e64 s[0:1], 8, v0
	v_cndmask_b32_e64 v0, v50, v49, s[0:1]
	v_lshl_add_u32 v0, v0, 10, v12
	v_lshlrev_b32_e32 v1, 8, v1
	v_and_b32_e32 v48, 7, v48
	v_and_b32_e32 v0, 0xfc00, v0
	v_cndmask_b32_e64 v11, v11, v48, s[0:1]
	v_and_or_b32 v0, v1, s26, v0
	v_lshl_or_b32 v48, v11, 7, v0
.LBB267_584:                            ;   in Loop: Header=BB267_318 Depth=1
	s_or_b64 exec, exec, s[18:19]
.LBB267_585:                            ;   in Loop: Header=BB267_318 Depth=1
	s_or_b64 exec, exec, s[16:17]
.LBB267_586:                            ;   in Loop: Header=BB267_318 Depth=1
	s_or_b64 exec, exec, s[12:13]
	v_cmp_lt_u32_e64 s[0:1], s5, v7
	s_and_saveexec_b64 s[12:13], s[0:1]
	s_cbranch_execz .LBB267_592
; %bb.587:                              ;   in Loop: Header=BB267_318 Depth=1
	v_lshrrev_b32_e32 v1, 24, v7
	v_cmp_ne_u32_e64 s[0:1], s24, v1
	v_bfrev_b32_e32 v47, 1
	s_and_saveexec_b64 s[16:17], s[0:1]
	s_cbranch_execz .LBB267_591
; %bb.588:                              ;   in Loop: Header=BB267_318 Depth=1
	v_and_b32_e32 v0, 0x7f, v1
	v_cmp_ne_u32_e64 s[0:1], s25, v0
	v_mov_b32_e32 v47, 0x7c010000
	s_and_saveexec_b64 s[18:19], s[0:1]
	s_cbranch_execz .LBB267_590
; %bb.589:                              ;   in Loop: Header=BB267_318 Depth=1
	v_and_b32_e32 v11, 7, v1
	v_ffbh_u32_e32 v49, v11
	v_min_u32_e32 v51, 32, v49
	v_subrev_u32_e32 v49, 28, v51
	v_lshlrev_b64 v[49:50], v49, v[1:2]
	v_lshrrev_b32_e32 v47, 3, v0
	v_sub_u32_e32 v50, 29, v51
	v_cmp_gt_u32_e64 s[0:1], 8, v0
	v_cndmask_b32_e64 v0, v47, v50, s[0:1]
	v_lshlrev_b32_e32 v1, 8, v1
	v_lshl_add_u32 v0, v0, 10, v12
	v_and_b32_e32 v47, 7, v49
	v_and_or_b32 v0, v1, s26, v0
	v_cndmask_b32_e64 v11, v11, v47, s[0:1]
	v_lshlrev_b32_e32 v0, 16, v0
	v_lshl_or_b32 v47, v11, 23, v0
.LBB267_590:                            ;   in Loop: Header=BB267_318 Depth=1
	s_or_b64 exec, exec, s[18:19]
.LBB267_591:                            ;   in Loop: Header=BB267_318 Depth=1
	s_or_b64 exec, exec, s[16:17]
.LBB267_592:                            ;   in Loop: Header=BB267_318 Depth=1
	s_or_b64 exec, exec, s[12:13]
	v_mov_b32_e32 v1, v8
	v_cmp_ne_u16_sdwa s[0:1], v8, v2 src0_sel:BYTE_0 src1_sel:DWORD
	v_mov_b32_e32 v49, 0
	v_mov_b32_e32 v0, 0
	s_and_saveexec_b64 s[12:13], s[0:1]
	s_cbranch_execz .LBB267_598
; %bb.593:                              ;   in Loop: Header=BB267_318 Depth=1
	v_cmp_ne_u16_sdwa s[0:1], v8, s24 src0_sel:BYTE_0 src1_sel:DWORD
	v_mov_b32_e32 v0, 0x8000
	s_and_saveexec_b64 s[16:17], s[0:1]
	s_cbranch_execz .LBB267_597
; %bb.594:                              ;   in Loop: Header=BB267_318 Depth=1
	v_and_b32_e32 v50, 0x7f, v8
	v_cmp_ne_u32_e64 s[0:1], s25, v50
	v_mov_b32_e32 v0, 0x7c01
	s_and_saveexec_b64 s[18:19], s[0:1]
	s_cbranch_execz .LBB267_596
; %bb.595:                              ;   in Loop: Header=BB267_318 Depth=1
	v_and_b32_e32 v0, 7, v8
	v_ffbh_u32_e32 v51, v0
	v_min_u32_e32 v53, 32, v51
	v_subrev_u32_e32 v51, 28, v53
	v_lshlrev_b64 v[51:52], v51, v[1:2]
	v_lshrrev_b32_e32 v11, 3, v50
	v_sub_u32_e32 v52, 29, v53
	v_cmp_gt_u32_e64 s[0:1], 8, v50
	v_cndmask_b32_e64 v11, v11, v52, s[0:1]
	v_lshl_add_u32 v11, v11, 10, v12
	v_lshlrev_b32_e32 v50, 8, v8
	v_and_b32_e32 v51, 7, v51
	v_and_b32_e32 v11, 0xfc00, v11
	v_cndmask_b32_e64 v0, v0, v51, s[0:1]
	v_and_or_b32 v11, v50, s26, v11
	v_lshl_or_b32 v0, v0, 7, v11
.LBB267_596:                            ;   in Loop: Header=BB267_318 Depth=1
	s_or_b64 exec, exec, s[18:19]
.LBB267_597:                            ;   in Loop: Header=BB267_318 Depth=1
	s_or_b64 exec, exec, s[16:17]
.LBB267_598:                            ;   in Loop: Header=BB267_318 Depth=1
	s_or_b64 exec, exec, s[12:13]
	v_lshrrev_b16_e32 v1, 8, v1
	v_cmp_ne_u16_e64 s[0:1], 0, v1
	v_mov_b32_e32 v50, 0
	s_and_saveexec_b64 s[12:13], s[0:1]
	s_cbranch_execz .LBB267_604
; %bb.599:                              ;   in Loop: Header=BB267_318 Depth=1
	v_cmp_ne_u16_e64 s[0:1], s24, v1
	v_bfrev_b32_e32 v50, 1
	s_and_saveexec_b64 s[16:17], s[0:1]
	s_cbranch_execz .LBB267_603
; %bb.600:                              ;   in Loop: Header=BB267_318 Depth=1
	v_and_b32_e32 v51, 0x7f, v1
	v_cmp_ne_u32_e64 s[0:1], s25, v51
	v_mov_b32_e32 v50, 0x7c010000
	s_and_saveexec_b64 s[18:19], s[0:1]
	s_cbranch_execz .LBB267_602
; %bb.601:                              ;   in Loop: Header=BB267_318 Depth=1
	v_and_b32_e32 v11, 7, v1
	v_ffbh_u32_e32 v52, v11
	v_min_u32_e32 v54, 32, v52
	v_subrev_u32_e32 v52, 28, v54
	v_lshlrev_b64 v[52:53], v52, v[1:2]
	v_lshrrev_b32_e32 v50, 3, v51
	v_sub_u32_e32 v53, 29, v54
	v_cmp_gt_u32_e64 s[0:1], 8, v51
	v_cndmask_b32_e64 v50, v50, v53, s[0:1]
	v_lshlrev_b32_e32 v1, 8, v1
	v_lshl_add_u32 v50, v50, 10, v12
	v_and_b32_e32 v51, 7, v52
	v_and_or_b32 v1, v1, s26, v50
	v_cndmask_b32_e64 v11, v11, v51, s[0:1]
	v_lshlrev_b32_e32 v1, 16, v1
	v_lshl_or_b32 v50, v11, 23, v1
.LBB267_602:                            ;   in Loop: Header=BB267_318 Depth=1
	s_or_b64 exec, exec, s[18:19]
.LBB267_603:                            ;   in Loop: Header=BB267_318 Depth=1
	s_or_b64 exec, exec, s[16:17]
.LBB267_604:                            ;   in Loop: Header=BB267_318 Depth=1
	s_or_b64 exec, exec, s[12:13]
	v_lshrrev_b32_e32 v1, 16, v8
	v_cmp_ne_u16_sdwa s[0:1], v1, v2 src0_sel:BYTE_0 src1_sel:DWORD
	s_and_saveexec_b64 s[12:13], s[0:1]
	s_cbranch_execz .LBB267_610
; %bb.605:                              ;   in Loop: Header=BB267_318 Depth=1
	v_cmp_ne_u16_sdwa s[0:1], v1, s24 src0_sel:BYTE_0 src1_sel:DWORD
	v_mov_b32_e32 v49, 0x8000
	s_and_saveexec_b64 s[16:17], s[0:1]
	s_cbranch_execz .LBB267_609
; %bb.606:                              ;   in Loop: Header=BB267_318 Depth=1
	v_bfe_u32 v51, v8, 16, 7
	v_cmp_ne_u32_e64 s[0:1], s25, v51
	v_mov_b32_e32 v49, 0x7c01
	s_and_saveexec_b64 s[18:19], s[0:1]
	s_cbranch_execz .LBB267_608
; %bb.607:                              ;   in Loop: Header=BB267_318 Depth=1
	v_and_b32_e32 v11, 7, v1
	v_ffbh_u32_e32 v52, v11
	v_min_u32_e32 v54, 32, v52
	v_subrev_u32_e32 v52, 28, v54
	v_lshlrev_b64 v[52:53], v52, v[1:2]
	v_lshrrev_b32_e32 v49, 3, v51
	v_sub_u32_e32 v53, 29, v54
	v_cmp_gt_u32_e64 s[0:1], 8, v51
	v_cndmask_b32_e64 v49, v49, v53, s[0:1]
	v_lshl_add_u32 v49, v49, 10, v12
	v_lshlrev_b32_e32 v1, 8, v1
	v_and_b32_e32 v51, 7, v52
	v_and_b32_e32 v49, 0xfc00, v49
	v_cndmask_b32_e64 v11, v11, v51, s[0:1]
	v_and_or_b32 v1, v1, s26, v49
	v_lshl_or_b32 v49, v11, 7, v1
.LBB267_608:                            ;   in Loop: Header=BB267_318 Depth=1
	s_or_b64 exec, exec, s[18:19]
.LBB267_609:                            ;   in Loop: Header=BB267_318 Depth=1
	s_or_b64 exec, exec, s[16:17]
.LBB267_610:                            ;   in Loop: Header=BB267_318 Depth=1
	s_or_b64 exec, exec, s[12:13]
	v_cmp_lt_u64_e64 s[0:1], s[4:5], v[7:8]
	v_mov_b32_e32 v51, 0
	s_and_saveexec_b64 s[12:13], s[0:1]
	s_cbranch_execz .LBB267_616
; %bb.611:                              ;   in Loop: Header=BB267_318 Depth=1
	v_lshrrev_b32_e32 v1, 24, v8
	v_cmp_ne_u32_e64 s[0:1], s24, v1
	v_bfrev_b32_e32 v51, 1
	s_and_saveexec_b64 s[16:17], s[0:1]
	s_cbranch_execz .LBB267_615
; %bb.612:                              ;   in Loop: Header=BB267_318 Depth=1
	v_and_b32_e32 v7, 0x7f, v1
	v_cmp_ne_u32_e64 s[0:1], s25, v7
	v_mov_b32_e32 v51, 0x7c010000
	s_and_saveexec_b64 s[18:19], s[0:1]
	s_cbranch_execz .LBB267_614
; %bb.613:                              ;   in Loop: Header=BB267_318 Depth=1
	v_and_b32_e32 v8, 7, v1
	v_ffbh_u32_e32 v51, v8
	v_min_u32_e32 v53, 32, v51
	v_subrev_u32_e32 v51, 28, v53
	v_lshlrev_b64 v[51:52], v51, v[1:2]
	v_lshrrev_b32_e32 v11, 3, v7
	v_sub_u32_e32 v52, 29, v53
	v_cmp_gt_u32_e64 s[0:1], 8, v7
	v_cndmask_b32_e64 v7, v11, v52, s[0:1]
	v_lshlrev_b32_e32 v1, 8, v1
	v_lshl_add_u32 v7, v7, 10, v12
	v_and_b32_e32 v11, 7, v51
	v_and_or_b32 v1, v1, s26, v7
	v_cndmask_b32_e64 v8, v8, v11, s[0:1]
	v_lshlrev_b32_e32 v1, 16, v1
	v_lshl_or_b32 v51, v8, 23, v1
.LBB267_614:                            ;   in Loop: Header=BB267_318 Depth=1
	s_or_b64 exec, exec, s[18:19]
.LBB267_615:                            ;   in Loop: Header=BB267_318 Depth=1
	s_or_b64 exec, exec, s[16:17]
.LBB267_616:                            ;   in Loop: Header=BB267_318 Depth=1
	s_or_b64 exec, exec, s[12:13]
	s_waitcnt vmcnt(0)
	v_fma_mixlo_f16 v11, v44, v45, 0 op_sel:[0,1,0] op_sel_hi:[0,1,0]
	v_or_b32_e32 v1, v47, v48
	v_fma_mixlo_f16 v7, v44, v47, 0 op_sel:[0,1,0] op_sel_hi:[0,1,0]
	v_lshlrev_b32_e32 v48, 16, v11
	v_fma_mixlo_f16 v11, v44, v50, 0 op_sel:[0,1,0] op_sel_hi:[0,1,0]
	v_lshlrev_b32_e32 v8, 16, v7
	v_or_b32_e32 v7, v45, v46
	v_or_b32_e32 v0, v50, v0
	v_lshlrev_b32_e32 v45, 16, v11
	v_or_b32_e32 v11, v51, v49
	v_fma_mixlo_f16 v1, v44, v1, 0 op_sel_hi:[0,1,0]
	v_fma_mixlo_f16 v7, v44, v7, 0 op_sel_hi:[0,1,0]
	;; [unrolled: 1-line block ×4, first 2 shown]
	v_fma_mixlo_f16 v44, v44, v51, 0 op_sel:[0,1,0] op_sel_hi:[0,1,0]
	v_and_b32_e32 v47, 0xffff, v1
	v_and_b32_e32 v52, 0xffff, v7
	;; [unrolled: 1-line block ×3, first 2 shown]
	v_lshlrev_b32_e32 v46, 16, v44
	v_and_b32_e32 v49, 0xffff, v11
	v_or_b32_e32 v1, v8, v47
	v_or_b32_e32 v7, v48, v52
	;; [unrolled: 1-line block ×4, first 2 shown]
	s_and_saveexec_b64 s[0:1], vcc
	s_cbranch_execz .LBB267_317
; %bb.617:                              ;   in Loop: Header=BB267_318 Depth=1
	v_cmp_gt_i32_e32 vcc, s30, v25
	v_cndmask_b32_e32 v0, 0, v52, vcc
	v_cmp_gt_i32_e32 vcc, s30, v31
	v_cndmask_b32_e32 v1, 0, v48, vcc
	v_cmp_gt_i32_e32 vcc, s30, v30
	v_or_b32_e32 v7, v1, v0
	v_cndmask_b32_e32 v0, 0, v47, vcc
	v_cmp_gt_i32_e32 vcc, s30, v29
	v_cndmask_b32_e32 v1, 0, v8, vcc
	v_cmp_gt_i32_e32 vcc, s30, v28
	v_or_b32_e32 v1, v1, v0
	;; [unrolled: 5-line block ×3, first 2 shown]
	v_cndmask_b32_e32 v8, 0, v49, vcc
	v_cmp_gt_i32_e32 vcc, s30, v23
	v_cndmask_b32_e32 v11, 0, v46, vcc
	v_or_b32_e32 v44, v11, v8
	s_branch .LBB267_317
.LBB267_618:
	s_or_b64 exec, exec, s[6:7]
.LBB267_619:
	s_or_b64 exec, exec, s[2:3]
	ds_bpermute_b32 v3, v15, v19
	s_waitcnt vmcnt(0) lgkmcnt(0)
	s_barrier
	ds_bpermute_b32 v0, v15, v21
	v_add_f32_e32 v3, v19, v3
	ds_bpermute_b32 v8, v16, v3
	ds_bpermute_b32 v2, v15, v20
	;; [unrolled: 1-line block ×3, first 2 shown]
	s_waitcnt lgkmcnt(3)
	v_add_f32_e32 v0, v21, v0
	ds_bpermute_b32 v5, v16, v0
	s_waitcnt lgkmcnt(3)
	v_add_f32_e32 v3, v3, v8
	buffer_load_dword v8, off, s[48:51], 0 offset:24 ; 4-byte Folded Reload
	ds_bpermute_b32 v4, v15, v18
	s_waitcnt lgkmcnt(3)
	v_add_f32_e32 v2, v20, v2
	s_waitcnt lgkmcnt(1)
	v_add_f32_e32 v0, v0, v5
	ds_bpermute_b32 v5, v15, v17
	v_add_f32_e32 v1, v22, v1
	ds_bpermute_b32 v7, v16, v2
	s_waitcnt lgkmcnt(2)
	v_add_f32_e32 v9, v18, v4
	ds_bpermute_b32 v6, v16, v1
	s_waitcnt lgkmcnt(2)
	v_add_f32_e32 v11, v17, v5
	ds_bpermute_b32 v10, v16, v9
	ds_bpermute_b32 v12, v16, v11
	s_waitcnt lgkmcnt(3)
	v_add_f32_e32 v4, v2, v7
	s_waitcnt lgkmcnt(2)
	v_add_f32_e32 v5, v1, v6
	;; [unrolled: 2-line block ×4, first 2 shown]
	s_waitcnt vmcnt(0)
	v_and_b32_e32 v7, 0x3c3, v8
	v_cmp_eq_u32_e32 vcc, 64, v7
	s_and_saveexec_b64 s[0:1], vcc
	s_cbranch_execz .LBB267_621
; %bb.620:
	v_add_u32_e32 v6, 0xd0, v14
	ds_write2_b32 v6, v0, v5 offset1:16
	ds_write2_b32 v6, v4, v3 offset0:32 offset1:48
	ds_write2_b32 v6, v2, v1 offset0:64 offset1:80
.LBB267_621:
	s_or_b64 exec, exec, s[0:1]
	v_cmp_gt_u32_e32 vcc, 64, v8
	v_lshrrev_b32_e32 v6, 2, v8
	s_waitcnt lgkmcnt(0)
	s_barrier
	s_and_saveexec_b64 s[0:1], vcc
	s_cbranch_execz .LBB267_630
; %bb.622:
	v_mov_b32_e32 v8, 0xd0
	v_cmp_eq_u32_e32 vcc, 0, v13
	v_lshl_add_u32 v8, v6, 2, v8
	s_and_saveexec_b64 s[2:3], vcc
	s_cbranch_execnz .LBB267_633
; %bb.623:
	s_or_b64 exec, exec, s[2:3]
	s_and_saveexec_b64 s[2:3], vcc
	s_cbranch_execnz .LBB267_634
.LBB267_624:
	s_or_b64 exec, exec, s[2:3]
	s_and_saveexec_b64 s[2:3], vcc
	s_cbranch_execnz .LBB267_635
.LBB267_625:
	s_or_b64 exec, exec, s[2:3]
	s_and_saveexec_b64 s[2:3], vcc
	s_cbranch_execnz .LBB267_636
.LBB267_626:
	s_or_b64 exec, exec, s[2:3]
	s_and_saveexec_b64 s[2:3], vcc
	s_cbranch_execnz .LBB267_637
.LBB267_627:
	s_or_b64 exec, exec, s[2:3]
	s_and_saveexec_b64 s[2:3], vcc
	s_cbranch_execz .LBB267_629
.LBB267_628:
	ds_read_b32 v8, v8 offset:320
	s_waitcnt lgkmcnt(0)
	v_add_f32_e32 v1, v1, v8
.LBB267_629:
	s_or_b64 exec, exec, s[2:3]
.LBB267_630:
	s_or_b64 exec, exec, s[0:1]
	v_cmp_eq_u32_e32 vcc, 0, v7
	s_barrier
	s_and_saveexec_b64 s[0:1], vcc
	s_cbranch_execz .LBB267_632
; %bb.631:
	s_mul_i32 s0, s10, s11
	s_mul_i32 s0, s0, s9
	s_mulk_i32 s0, 0x60
	s_ashr_i32 s1, s0, 31
	s_lshl_b64 s[0:1], s[0:1], 1
	s_add_u32 s2, s22, s0
	s_mul_i32 s0, s11, s20
	s_addc_u32 s3, s23, s1
	s_ashr_i32 s1, s0, 31
	s_lshl_b64 s[0:1], s[0:1], 1
	s_add_u32 s2, s2, s0
	s_mul_i32 s0, s8, 0x60
	s_addc_u32 s3, s3, s1
	s_ashr_i32 s1, s0, 31
	s_lshl_b64 s[0:1], s[0:1], 1
	s_add_u32 s0, s2, s0
	s_addc_u32 s1, s3, s1
	v_lshlrev_b32_e32 v6, 1, v6
	;;#ASMSTART
	v_cvt_f16_f32 v0, v0;

	;;#ASMEND
	global_store_short v6, v0, s[0:1]
	;;#ASMSTART
	v_cvt_f16_f32 v0, v5;

	;;#ASMEND
	global_store_short v6, v0, s[0:1] offset:32
	;;#ASMSTART
	v_cvt_f16_f32 v0, v4;

	;;#ASMEND
	global_store_short v6, v0, s[0:1] offset:64
	;; [unrolled: 5-line block ×5, first 2 shown]
.LBB267_632:
	s_endpgm
.LBB267_633:
	ds_read_b32 v9, v8
	s_waitcnt lgkmcnt(0)
	v_add_f32_e32 v0, v0, v9
	s_or_b64 exec, exec, s[2:3]
	s_and_saveexec_b64 s[2:3], vcc
	s_cbranch_execz .LBB267_624
.LBB267_634:
	ds_read_b32 v9, v8 offset:64
	s_waitcnt lgkmcnt(0)
	v_add_f32_e32 v5, v5, v9
	s_or_b64 exec, exec, s[2:3]
	s_and_saveexec_b64 s[2:3], vcc
	s_cbranch_execz .LBB267_625
.LBB267_635:
	ds_read_b32 v9, v8 offset:128
	s_waitcnt lgkmcnt(0)
	v_add_f32_e32 v4, v4, v9
	s_or_b64 exec, exec, s[2:3]
	s_and_saveexec_b64 s[2:3], vcc
	s_cbranch_execz .LBB267_626
.LBB267_636:
	ds_read_b32 v9, v8 offset:192
	s_waitcnt lgkmcnt(0)
	v_add_f32_e32 v3, v3, v9
	s_or_b64 exec, exec, s[2:3]
	s_and_saveexec_b64 s[2:3], vcc
	s_cbranch_execz .LBB267_627
.LBB267_637:
	ds_read_b32 v9, v8 offset:256
	s_waitcnt lgkmcnt(0)
	v_add_f32_e32 v2, v2, v9
	s_or_b64 exec, exec, s[2:3]
	s_and_saveexec_b64 s[2:3], vcc
	s_cbranch_execnz .LBB267_628
	s_branch .LBB267_629
	.section	.rodata,"a",@progbits
	.p2align	6, 0x0
	.amdhsa_kernel _ZN4vllm25paged_attention_v1_kernelIthLi96ELi32ELi128ELNS_18Fp8KVCacheDataTypeE1ELb0EEEvPT_PKS2_PKT0_S8_ifPKiSA_iPKfiiiSC_SC_iiiii
		.amdhsa_group_segment_fixed_size 208
		.amdhsa_private_segment_fixed_size 40
		.amdhsa_kernarg_size 384
		.amdhsa_user_sgpr_count 6
		.amdhsa_user_sgpr_private_segment_buffer 1
		.amdhsa_user_sgpr_dispatch_ptr 0
		.amdhsa_user_sgpr_queue_ptr 0
		.amdhsa_user_sgpr_kernarg_segment_ptr 1
		.amdhsa_user_sgpr_dispatch_id 0
		.amdhsa_user_sgpr_flat_scratch_init 0
		.amdhsa_user_sgpr_private_segment_size 0
		.amdhsa_uses_dynamic_stack 0
		.amdhsa_system_sgpr_private_segment_wavefront_offset 1
		.amdhsa_system_sgpr_workgroup_id_x 1
		.amdhsa_system_sgpr_workgroup_id_y 1
		.amdhsa_system_sgpr_workgroup_id_z 1
		.amdhsa_system_sgpr_workgroup_info 0
		.amdhsa_system_vgpr_workitem_id 0
		.amdhsa_next_free_vgpr 64
		.amdhsa_next_free_sgpr 52
		.amdhsa_reserve_vcc 1
		.amdhsa_reserve_flat_scratch 0
		.amdhsa_float_round_mode_32 0
		.amdhsa_float_round_mode_16_64 0
		.amdhsa_float_denorm_mode_32 3
		.amdhsa_float_denorm_mode_16_64 3
		.amdhsa_dx10_clamp 1
		.amdhsa_ieee_mode 1
		.amdhsa_fp16_overflow 0
		.amdhsa_exception_fp_ieee_invalid_op 0
		.amdhsa_exception_fp_denorm_src 0
		.amdhsa_exception_fp_ieee_div_zero 0
		.amdhsa_exception_fp_ieee_overflow 0
		.amdhsa_exception_fp_ieee_underflow 0
		.amdhsa_exception_fp_ieee_inexact 0
		.amdhsa_exception_int_div_zero 0
	.end_amdhsa_kernel
	.section	.text._ZN4vllm25paged_attention_v1_kernelIthLi96ELi32ELi128ELNS_18Fp8KVCacheDataTypeE1ELb0EEEvPT_PKS2_PKT0_S8_ifPKiSA_iPKfiiiSC_SC_iiiii,"axG",@progbits,_ZN4vllm25paged_attention_v1_kernelIthLi96ELi32ELi128ELNS_18Fp8KVCacheDataTypeE1ELb0EEEvPT_PKS2_PKT0_S8_ifPKiSA_iPKfiiiSC_SC_iiiii,comdat
.Lfunc_end267:
	.size	_ZN4vllm25paged_attention_v1_kernelIthLi96ELi32ELi128ELNS_18Fp8KVCacheDataTypeE1ELb0EEEvPT_PKS2_PKT0_S8_ifPKiSA_iPKfiiiSC_SC_iiiii, .Lfunc_end267-_ZN4vllm25paged_attention_v1_kernelIthLi96ELi32ELi128ELNS_18Fp8KVCacheDataTypeE1ELb0EEEvPT_PKS2_PKT0_S8_ifPKiSA_iPKfiiiSC_SC_iiiii
                                        ; -- End function
	.set _ZN4vllm25paged_attention_v1_kernelIthLi96ELi32ELi128ELNS_18Fp8KVCacheDataTypeE1ELb0EEEvPT_PKS2_PKT0_S8_ifPKiSA_iPKfiiiSC_SC_iiiii.num_vgpr, 64
	.set _ZN4vllm25paged_attention_v1_kernelIthLi96ELi32ELi128ELNS_18Fp8KVCacheDataTypeE1ELb0EEEvPT_PKS2_PKT0_S8_ifPKiSA_iPKfiiiSC_SC_iiiii.num_agpr, 0
	.set _ZN4vllm25paged_attention_v1_kernelIthLi96ELi32ELi128ELNS_18Fp8KVCacheDataTypeE1ELb0EEEvPT_PKS2_PKT0_S8_ifPKiSA_iPKfiiiSC_SC_iiiii.numbered_sgpr, 52
	.set _ZN4vllm25paged_attention_v1_kernelIthLi96ELi32ELi128ELNS_18Fp8KVCacheDataTypeE1ELb0EEEvPT_PKS2_PKT0_S8_ifPKiSA_iPKfiiiSC_SC_iiiii.num_named_barrier, 0
	.set _ZN4vllm25paged_attention_v1_kernelIthLi96ELi32ELi128ELNS_18Fp8KVCacheDataTypeE1ELb0EEEvPT_PKS2_PKT0_S8_ifPKiSA_iPKfiiiSC_SC_iiiii.private_seg_size, 40
	.set _ZN4vllm25paged_attention_v1_kernelIthLi96ELi32ELi128ELNS_18Fp8KVCacheDataTypeE1ELb0EEEvPT_PKS2_PKT0_S8_ifPKiSA_iPKfiiiSC_SC_iiiii.uses_vcc, 1
	.set _ZN4vllm25paged_attention_v1_kernelIthLi96ELi32ELi128ELNS_18Fp8KVCacheDataTypeE1ELb0EEEvPT_PKS2_PKT0_S8_ifPKiSA_iPKfiiiSC_SC_iiiii.uses_flat_scratch, 0
	.set _ZN4vllm25paged_attention_v1_kernelIthLi96ELi32ELi128ELNS_18Fp8KVCacheDataTypeE1ELb0EEEvPT_PKS2_PKT0_S8_ifPKiSA_iPKfiiiSC_SC_iiiii.has_dyn_sized_stack, 0
	.set _ZN4vllm25paged_attention_v1_kernelIthLi96ELi32ELi128ELNS_18Fp8KVCacheDataTypeE1ELb0EEEvPT_PKS2_PKT0_S8_ifPKiSA_iPKfiiiSC_SC_iiiii.has_recursion, 0
	.set _ZN4vllm25paged_attention_v1_kernelIthLi96ELi32ELi128ELNS_18Fp8KVCacheDataTypeE1ELb0EEEvPT_PKS2_PKT0_S8_ifPKiSA_iPKfiiiSC_SC_iiiii.has_indirect_call, 0
	.section	.AMDGPU.csdata,"",@progbits
; Kernel info:
; codeLenInByte = 26084
; TotalNumSgprs: 56
; NumVgprs: 64
; ScratchSize: 40
; MemoryBound: 0
; FloatMode: 240
; IeeeMode: 1
; LDSByteSize: 208 bytes/workgroup (compile time only)
; SGPRBlocks: 6
; VGPRBlocks: 15
; NumSGPRsForWavesPerEU: 56
; NumVGPRsForWavesPerEU: 64
; Occupancy: 4
; WaveLimiterHint : 1
; COMPUTE_PGM_RSRC2:SCRATCH_EN: 1
; COMPUTE_PGM_RSRC2:USER_SGPR: 6
; COMPUTE_PGM_RSRC2:TRAP_HANDLER: 0
; COMPUTE_PGM_RSRC2:TGID_X_EN: 1
; COMPUTE_PGM_RSRC2:TGID_Y_EN: 1
; COMPUTE_PGM_RSRC2:TGID_Z_EN: 1
; COMPUTE_PGM_RSRC2:TIDIG_COMP_CNT: 0
	.section	.text._ZN4vllm25paged_attention_v1_kernelIthLi112ELi32ELi128ELNS_18Fp8KVCacheDataTypeE1ELb0EEEvPT_PKS2_PKT0_S8_ifPKiSA_iPKfiiiSC_SC_iiiii,"axG",@progbits,_ZN4vllm25paged_attention_v1_kernelIthLi112ELi32ELi128ELNS_18Fp8KVCacheDataTypeE1ELb0EEEvPT_PKS2_PKT0_S8_ifPKiSA_iPKfiiiSC_SC_iiiii,comdat
	.protected	_ZN4vllm25paged_attention_v1_kernelIthLi112ELi32ELi128ELNS_18Fp8KVCacheDataTypeE1ELb0EEEvPT_PKS2_PKT0_S8_ifPKiSA_iPKfiiiSC_SC_iiiii ; -- Begin function _ZN4vllm25paged_attention_v1_kernelIthLi112ELi32ELi128ELNS_18Fp8KVCacheDataTypeE1ELb0EEEvPT_PKS2_PKT0_S8_ifPKiSA_iPKfiiiSC_SC_iiiii
	.globl	_ZN4vllm25paged_attention_v1_kernelIthLi112ELi32ELi128ELNS_18Fp8KVCacheDataTypeE1ELb0EEEvPT_PKS2_PKT0_S8_ifPKiSA_iPKfiiiSC_SC_iiiii
	.p2align	8
	.type	_ZN4vllm25paged_attention_v1_kernelIthLi112ELi32ELi128ELNS_18Fp8KVCacheDataTypeE1ELb0EEEvPT_PKS2_PKT0_S8_ifPKiSA_iPKfiiiSC_SC_iiiii,@function
_ZN4vllm25paged_attention_v1_kernelIthLi112ELi32ELi128ELNS_18Fp8KVCacheDataTypeE1ELb0EEEvPT_PKS2_PKT0_S8_ifPKiSA_iPKfiiiSC_SC_iiiii: ; @_ZN4vllm25paged_attention_v1_kernelIthLi112ELi32ELi128ELNS_18Fp8KVCacheDataTypeE1ELb0EEEvPT_PKS2_PKT0_S8_ifPKiSA_iPKfiiiSC_SC_iiiii
; %bb.0:
	s_mov_b64 s[50:51], s[2:3]
	s_mov_b64 s[48:49], s[0:1]
	s_add_u32 s48, s48, s9
	s_load_dword s9, s[4:5], 0x80
	s_load_dwordx2 s[0:1], s[4:5], 0x30
	s_load_dwordx2 s[30:31], s[4:5], 0x20
	s_addc_u32 s49, s49, 0
	s_mov_b32 s10, s7
	s_ashr_i32 s11, s7, 31
	s_lshl_b64 s[2:3], s[10:11], 2
	s_waitcnt lgkmcnt(0)
	s_add_u32 s0, s0, s2
	s_addc_u32 s1, s1, s3
	s_abs_i32 s2, s30
	v_mov_b32_e32 v5, v0
	v_cvt_f32_u32_e32 v0, s2
	s_sub_i32 s11, 0, s2
	s_abs_i32 s7, s9
	s_xor_b32 s3, s9, s30
	v_rcp_iflag_f32_e32 v0, v0
	s_ashr_i32 s3, s3, 31
	s_mov_b32 s33, 0
	v_mul_f32_e32 v0, 0x4f7ffffe, v0
	v_cvt_u32_f32_e32 v0, v0
	v_readfirstlane_b32 s12, v0
	s_mul_i32 s11, s11, s12
	s_mul_hi_u32 s11, s12, s11
	s_add_i32 s12, s12, s11
	s_mul_hi_u32 s11, s7, s12
	s_mul_i32 s12, s11, s2
	s_sub_i32 s7, s7, s12
	s_add_i32 s12, s11, 1
	s_sub_i32 s13, s7, s2
	s_cmp_ge_u32 s7, s2
	s_cselect_b32 s11, s12, s11
	s_cselect_b32 s7, s13, s7
	s_add_i32 s12, s11, 1
	s_cmp_ge_u32 s7, s2
	s_cselect_b32 s2, s12, s11
	s_xor_b32 s2, s2, s3
	s_sub_i32 s14, s2, s3
	s_abs_i32 s11, s14
	v_cvt_f32_u32_e32 v0, s11
	s_load_dwordx2 s[2:3], s[4:5], 0x40
	s_sub_i32 s7, 0, s11
	s_abs_i32 s12, s6
	v_rcp_iflag_f32_e32 v0, v0
	v_mul_f32_e32 v0, 0x4f7ffffe, v0
	v_cvt_u32_f32_e32 v0, v0
	v_readfirstlane_b32 s13, v0
	s_mul_i32 s7, s7, s13
	s_mul_hi_u32 s7, s13, s7
	s_add_i32 s13, s13, s7
	s_waitcnt lgkmcnt(0)
	s_cmp_eq_u64 s[2:3], 0
	s_mul_hi_u32 s13, s12, s13
	s_cbranch_scc1 .LBB268_2
; %bb.1:
	s_ashr_i32 s7, s6, 31
	s_lshl_b64 s[16:17], s[6:7], 2
	s_add_u32 s2, s2, s16
	s_addc_u32 s3, s3, s17
	s_load_dword s33, s[2:3], 0x0
.LBB268_2:
	s_load_dword s30, s[0:1], 0x0
	s_load_dwordx4 s[16:19], s[4:5], 0x48
	s_ashr_i32 s2, s6, 31
	s_ashr_i32 s3, s14, 31
	v_and_b32_e32 v3, 1, v5
	s_movk_i32 s7, 0x70
	s_mul_i32 s20, s6, 0x70
	v_cmp_gt_u32_e32 vcc, 28, v5
	v_lshlrev_b32_e32 v11, 3, v5
	s_and_saveexec_b64 s[0:1], vcc
	s_cbranch_execz .LBB268_4
; %bb.3:
	s_load_dwordx2 s[14:15], s[4:5], 0x8
	s_waitcnt lgkmcnt(0)
	s_mul_i32 s22, s16, s10
	s_ashr_i32 s23, s22, 31
	s_lshl_b64 s[22:23], s[22:23], 1
	v_lshlrev_b32_e32 v2, 2, v5
	s_add_u32 s6, s14, s22
	s_addc_u32 s16, s15, s23
	s_ashr_i32 s21, s20, 31
	s_lshl_b64 s[14:15], s[20:21], 1
	s_add_u32 s14, s6, s14
	s_addc_u32 s15, s16, s15
	global_load_dwordx2 v[0:1], v11, s[14:15]
	v_and_b32_e32 v2, 0xff8, v2
	v_mad_u32_u24 v2, v3, s7, v2
	s_waitcnt vmcnt(0)
	ds_write_b64 v2, v[0:1]
.LBB268_4:
	s_or_b64 exec, exec, s[0:1]
	s_waitcnt lgkmcnt(0)
	s_add_i32 s1, s30, 31
	s_ashr_i32 s6, s1, 31
	s_lshr_b32 s6, s6, 27
	s_add_i32 s1, s1, s6
	s_ashr_i32 s21, s1, 5
	s_xor_b32 s1, s2, s3
	s_mul_i32 s2, s13, s11
	s_sub_i32 s2, s12, s2
	s_add_i32 s3, s13, 1
	s_sub_i32 s6, s2, s11
	s_load_dwordx2 s[24:25], s[4:5], 0x28
	s_load_dword s0, s[4:5], 0x38
	s_cmp_ge_u32 s2, s11
	s_cselect_b32 s3, s3, s13
	s_cselect_b32 s2, s6, s2
	s_add_i32 s6, s3, 1
	s_cmp_ge_u32 s2, s11
	s_cselect_b32 s2, s6, s3
	v_lshrrev_b32_e32 v45, 6, v5
	s_xor_b32 s2, s2, s1
	s_waitcnt lgkmcnt(0)
	s_mul_i32 s26, s0, s10
	s_sub_i32 s16, s2, s1
	s_ashr_i32 s27, s26, 31
	v_cmp_gt_i32_e64 s[0:1], s21, v45
	v_cmp_le_i32_e32 vcc, s21, v45
	v_mbcnt_lo_u32_b32 v4, -1, 0
                                        ; implicit-def: $vgpr0
	s_barrier
                                        ; kill: killed $vgpr0
                                        ; implicit-def: $vgpr0
                                        ; implicit-def: $vgpr1
	s_and_saveexec_b64 s[2:3], vcc
	s_xor_b64 s[2:3], exec, s[2:3]
	s_cbranch_execz .LBB268_6
; %bb.5:
	v_mbcnt_hi_u32_b32 v0, -1, v4
	buffer_store_dword v0, off, s[48:51], 0 offset:36 ; 4-byte Folded Spill
	v_and_b32_e32 v0, 64, v0
	v_add_u32_e32 v1, 64, v0
                                        ; implicit-def: $vgpr3
                                        ; implicit-def: $vgpr4
.LBB268_6:
	s_or_saveexec_b64 s[6:7], s[2:3]
	s_load_dwordx2 s[22:23], s[4:5], 0x0
	s_load_dwordx2 s[28:29], s[4:5], 0x18
	s_load_dword s11, s[4:5], 0x88
	s_load_dwordx4 s[12:15], s[4:5], 0x58
	v_mov_b32_e32 v6, 0xff7fffff
	s_mul_i32 s16, s16, s18
	v_lshrrev_b32_e32 v12, 4, v5
	buffer_store_dword v5, off, s[48:51], 0 offset:52 ; 4-byte Folded Spill
	s_xor_b64 exec, exec, s[6:7]
	s_cbranch_execz .LBB268_348
; %bb.7:
	s_load_dwordx2 s[2:3], s[4:5], 0x10
	s_ashr_i32 s4, s16, 31
	v_bfe_u32 v0, v5, 1, 5
	v_lshlrev_b32_e32 v1, 4, v0
	v_lshlrev_b32_e32 v6, 2, v3
	s_waitcnt lgkmcnt(0)
	s_add_u32 s2, s2, s16
	s_addc_u32 s3, s3, s4
	v_mov_b32_e32 v5, s3
	v_add_co_u32_e32 v1, vcc, s2, v1
	v_addc_co_u32_e32 v5, vcc, 0, v5, vcc
	v_add_co_u32_e64 v6, s[4:5], v1, v6
	v_addc_co_u32_e64 v7, s[4:5], 0, v5, s[4:5]
	v_lshl_or_b32 v1, v45, 5, v0
	v_lshlrev_b32_e32 v0, 2, v0
	s_sub_i32 s41, 1, s30
	v_lshl_or_b32 v0, v45, 7, v0
	s_lshl_b64 s[4:5], s[26:27], 2
	v_add_u32_e32 v0, 0xf0, v0
	s_add_u32 s4, s24, s4
	buffer_store_dword v11, off, s[48:51], 0 offset:60 ; 4-byte Folded Spill
	buffer_store_dword v6, off, s[48:51], 0 offset:44 ; 4-byte Folded Spill
	s_nop 0
	buffer_store_dword v7, off, s[48:51], 0 offset:48 ; 4-byte Folded Spill
	buffer_store_dword v1, off, s[48:51], 0 offset:8 ; 4-byte Folded Spill
	;; [unrolled: 1-line block ×4, first 2 shown]
	v_and_b32_e32 v0, 60, v12
	s_addc_u32 s5, s25, s5
	v_mul_u32_u24_e32 v15, 0x70, v3
	v_cmp_eq_u32_e32 vcc, 0, v3
	v_mov_b32_e32 v1, s5
	v_mov_b32_e32 v3, v45
	v_add_co_u32_e64 v45, s[4:5], s4, v0
	v_mov_b32_e32 v0, 0xff7fffff
	s_mov_b32 s40, s17
	v_mov_b32_e32 v2, 0
	v_cmp_neq_f32_e64 s[2:3], s33, 0
	v_addc_co_u32_e64 v46, s[4:5], 0, v1, s[4:5]
	buffer_store_dword v0, off, s[48:51], 0 offset:40 ; 4-byte Folded Spill
	s_mov_b64 s[18:19], 0
	s_movk_i32 s42, 0x80
	s_movk_i32 s43, 0x7f
	s_mov_b32 s44, 0x8000
	s_mov_b32 s45, 0xffffff
	v_mbcnt_hi_u32_b32 v0, -1, v4
	v_mov_b32_e32 v8, v3
	buffer_store_dword v0, off, s[48:51], 0 offset:36 ; 4-byte Folded Spill
	buffer_store_dword v3, off, s[48:51], 0 offset:56 ; 4-byte Folded Spill
	s_branch .LBB268_9
.LBB268_8:                              ;   in Loop: Header=BB268_9 Depth=1
	s_or_b64 exec, exec, s[34:35]
	buffer_load_dword v3, off, s[48:51], 0 offset:8 ; 4-byte Folded Reload
	s_waitcnt vmcnt(1)
	v_add_u32_e32 v8, 2, v8
	v_cmp_le_i32_e64 s[4:5], s21, v8
	s_or_b64 s[18:19], s[4:5], s[18:19]
	v_add_co_u32_e64 v45, s[4:5], 8, v45
	v_addc_co_u32_e64 v46, s[4:5], 0, v46, s[4:5]
	s_waitcnt vmcnt(0)
	v_add_u32_e32 v3, 64, v3
	buffer_store_dword v3, off, s[48:51], 0 offset:8 ; 4-byte Folded Spill
	buffer_load_dword v3, off, s[48:51], 0 offset:12 ; 4-byte Folded Reload
	s_waitcnt vmcnt(0)
	v_add_u32_e32 v3, 0x100, v3
	buffer_store_dword v3, off, s[48:51], 0 offset:12 ; 4-byte Folded Spill
	s_andn2_b64 exec, exec, s[18:19]
	s_cbranch_execz .LBB268_347
.LBB268_9:                              ; =>This Inner Loop Header: Depth=1
	buffer_store_dword v8, off, s[48:51], 0 offset:16 ; 4-byte Folded Spill
	global_load_dword v0, v[45:46], off
	buffer_load_dword v3, off, s[48:51], 0 offset:44 ; 4-byte Folded Reload
	s_waitcnt lgkmcnt(0)
	buffer_load_dword v4, off, s[48:51], 0 offset:48 ; 4-byte Folded Reload
	v_mov_b32_e32 v50, 0
	s_waitcnt vmcnt(0)
	v_mad_i64_i32 v[7:8], s[4:5], v0, s40, v[3:4]
	global_load_dword v9, v[7:8], off
	global_load_dword v20, v2, s[12:13]
	s_waitcnt vmcnt(1)
	v_cmp_ne_u16_sdwa s[4:5], v9, v2 src0_sel:BYTE_0 src1_sel:DWORD
	s_and_saveexec_b64 s[34:35], s[4:5]
	s_cbranch_execz .LBB268_15
; %bb.10:                               ;   in Loop: Header=BB268_9 Depth=1
	v_cmp_ne_u16_sdwa s[4:5], v9, s42 src0_sel:BYTE_0 src1_sel:DWORD
	v_mov_b32_e32 v50, 0x8000
	s_and_saveexec_b64 s[36:37], s[4:5]
	s_cbranch_execz .LBB268_14
; %bb.11:                               ;   in Loop: Header=BB268_9 Depth=1
	v_and_b32_e32 v0, 0x7f, v9
	v_cmp_ne_u32_e64 s[4:5], s43, v0
	v_mov_b32_e32 v50, 0x7c01
	s_and_saveexec_b64 s[38:39], s[4:5]
	s_cbranch_execz .LBB268_13
; %bb.12:                               ;   in Loop: Header=BB268_9 Depth=1
	v_and_b32_e32 v1, 7, v9
	v_ffbh_u32_e32 v3, v1
	v_min_u32_e32 v11, 32, v3
	v_lshrrev_b32_e32 v10, 3, v0
	v_subrev_u32_e32 v3, 28, v11
	v_lshlrev_b64 v[3:4], v3, v[9:10]
	v_sub_u32_e32 v4, 29, v11
	v_cmp_gt_u32_e64 s[4:5], 8, v0
	v_cndmask_b32_e64 v0, v10, v4, s[4:5]
	v_mov_b32_e32 v5, 0x2000
	v_lshl_add_u32 v0, v0, 10, v5
	v_lshlrev_b32_e32 v4, 8, v9
	v_and_b32_e32 v3, 7, v3
	v_and_b32_e32 v0, 0xfc00, v0
	v_cndmask_b32_e64 v1, v1, v3, s[4:5]
	v_and_or_b32 v0, v4, s44, v0
	v_lshl_or_b32 v50, v1, 7, v0
.LBB268_13:                             ;   in Loop: Header=BB268_9 Depth=1
	s_or_b64 exec, exec, s[38:39]
.LBB268_14:                             ;   in Loop: Header=BB268_9 Depth=1
	s_or_b64 exec, exec, s[36:37]
.LBB268_15:                             ;   in Loop: Header=BB268_9 Depth=1
	s_or_b64 exec, exec, s[34:35]
	v_lshrrev_b16_e32 v1, 8, v9
	v_mov_b32_e32 v0, 0
	v_cmp_ne_u16_e64 s[4:5], 0, v1
	buffer_store_dword v0, off, s[48:51], 0 ; 4-byte Folded Spill
	v_mov_b32_e32 v0, 0
	buffer_store_dword v0, off, s[48:51], 0 offset:4 ; 4-byte Folded Spill
	s_and_saveexec_b64 s[34:35], s[4:5]
	s_cbranch_execz .LBB268_21
; %bb.16:                               ;   in Loop: Header=BB268_9 Depth=1
	v_cmp_ne_u16_e64 s[4:5], s42, v1
	v_bfrev_b32_e32 v0, 1
	buffer_store_dword v0, off, s[48:51], 0 offset:4 ; 4-byte Folded Spill
	s_and_saveexec_b64 s[36:37], s[4:5]
	s_cbranch_execz .LBB268_20
; %bb.17:                               ;   in Loop: Header=BB268_9 Depth=1
	v_and_b32_e32 v0, 0x7f, v1
	v_cmp_ne_u32_e64 s[4:5], s43, v0
	v_mov_b32_e32 v3, 0x7c010000
	buffer_store_dword v3, off, s[48:51], 0 offset:4 ; 4-byte Folded Spill
	s_and_saveexec_b64 s[38:39], s[4:5]
	s_cbranch_execz .LBB268_19
; %bb.18:                               ;   in Loop: Header=BB268_9 Depth=1
	v_and_b32_e32 v10, 7, v1
	v_ffbh_u32_e32 v3, v10
	v_min_u32_e32 v12, 32, v3
	v_subrev_u32_e32 v3, 28, v12
	v_lshlrev_b64 v[3:4], v3, v[1:2]
	v_lshrrev_b32_e32 v11, 3, v0
	v_sub_u32_e32 v4, 29, v12
	v_cmp_gt_u32_e64 s[4:5], 8, v0
	v_cndmask_b32_e64 v0, v11, v4, s[4:5]
	v_mov_b32_e32 v4, 0x2000
	v_lshlrev_b32_e32 v1, 8, v1
	v_lshl_add_u32 v0, v0, 10, v4
	v_and_b32_e32 v3, 7, v3
	v_and_or_b32 v0, v1, s44, v0
	v_cndmask_b32_e64 v3, v10, v3, s[4:5]
	v_lshlrev_b32_e32 v0, 16, v0
	v_lshl_or_b32 v0, v3, 23, v0
	buffer_store_dword v0, off, s[48:51], 0 offset:4 ; 4-byte Folded Spill
.LBB268_19:                             ;   in Loop: Header=BB268_9 Depth=1
	s_or_b64 exec, exec, s[38:39]
.LBB268_20:                             ;   in Loop: Header=BB268_9 Depth=1
	s_or_b64 exec, exec, s[36:37]
.LBB268_21:                             ;   in Loop: Header=BB268_9 Depth=1
	s_or_b64 exec, exec, s[34:35]
	v_lshrrev_b32_e32 v1, 16, v9
	v_cmp_ne_u16_sdwa s[4:5], v1, v2 src0_sel:BYTE_0 src1_sel:DWORD
	s_and_saveexec_b64 s[34:35], s[4:5]
	s_cbranch_execz .LBB268_27
; %bb.22:                               ;   in Loop: Header=BB268_9 Depth=1
	v_cmp_ne_u16_sdwa s[4:5], v1, s42 src0_sel:BYTE_0 src1_sel:DWORD
	v_mov_b32_e32 v0, 0x8000
	buffer_store_dword v0, off, s[48:51], 0 ; 4-byte Folded Spill
	s_and_saveexec_b64 s[36:37], s[4:5]
	s_cbranch_execz .LBB268_26
; %bb.23:                               ;   in Loop: Header=BB268_9 Depth=1
	v_bfe_u32 v0, v9, 16, 7
	v_cmp_ne_u32_e64 s[4:5], s43, v0
	v_mov_b32_e32 v3, 0x7c01
	buffer_store_dword v3, off, s[48:51], 0 ; 4-byte Folded Spill
	s_and_saveexec_b64 s[38:39], s[4:5]
	s_cbranch_execz .LBB268_25
; %bb.24:                               ;   in Loop: Header=BB268_9 Depth=1
	v_and_b32_e32 v10, 7, v1
	v_ffbh_u32_e32 v3, v10
	v_min_u32_e32 v12, 32, v3
	v_subrev_u32_e32 v3, 28, v12
	v_lshlrev_b64 v[3:4], v3, v[1:2]
	v_lshrrev_b32_e32 v11, 3, v0
	v_sub_u32_e32 v4, 29, v12
	v_cmp_gt_u32_e64 s[4:5], 8, v0
	v_cndmask_b32_e64 v0, v11, v4, s[4:5]
	v_mov_b32_e32 v4, 0x2000
	v_lshl_add_u32 v0, v0, 10, v4
	v_lshlrev_b32_e32 v1, 8, v1
	v_and_b32_e32 v3, 7, v3
	v_and_b32_e32 v0, 0xfc00, v0
	v_cndmask_b32_e64 v3, v10, v3, s[4:5]
	v_and_or_b32 v0, v1, s44, v0
	v_lshl_or_b32 v0, v3, 7, v0
	buffer_store_dword v0, off, s[48:51], 0 ; 4-byte Folded Spill
.LBB268_25:                             ;   in Loop: Header=BB268_9 Depth=1
	s_or_b64 exec, exec, s[38:39]
.LBB268_26:                             ;   in Loop: Header=BB268_9 Depth=1
	s_or_b64 exec, exec, s[36:37]
.LBB268_27:                             ;   in Loop: Header=BB268_9 Depth=1
	s_or_b64 exec, exec, s[34:35]
	v_cmp_lt_u32_e64 s[4:5], s45, v9
	v_mov_b32_e32 v25, 0
	v_mov_b32_e32 v24, 0
	s_and_saveexec_b64 s[34:35], s[4:5]
	s_cbranch_execz .LBB268_33
; %bb.28:                               ;   in Loop: Header=BB268_9 Depth=1
	v_lshrrev_b32_e32 v1, 24, v9
	v_cmp_ne_u32_e64 s[4:5], s42, v1
	v_bfrev_b32_e32 v24, 1
	s_and_saveexec_b64 s[36:37], s[4:5]
	s_cbranch_execz .LBB268_32
; %bb.29:                               ;   in Loop: Header=BB268_9 Depth=1
	v_and_b32_e32 v0, 0x7f, v1
	v_cmp_ne_u32_e64 s[4:5], s43, v0
	v_mov_b32_e32 v24, 0x7c010000
	s_and_saveexec_b64 s[38:39], s[4:5]
	s_cbranch_execz .LBB268_31
; %bb.30:                               ;   in Loop: Header=BB268_9 Depth=1
	v_and_b32_e32 v9, 7, v1
	v_ffbh_u32_e32 v3, v9
	v_min_u32_e32 v11, 32, v3
	v_subrev_u32_e32 v3, 28, v11
	v_lshlrev_b64 v[3:4], v3, v[1:2]
	v_lshrrev_b32_e32 v10, 3, v0
	v_sub_u32_e32 v4, 29, v11
	v_cmp_gt_u32_e64 s[4:5], 8, v0
	v_cndmask_b32_e64 v0, v10, v4, s[4:5]
	v_mov_b32_e32 v4, 0x2000
	v_lshlrev_b32_e32 v1, 8, v1
	v_lshl_add_u32 v0, v0, 10, v4
	v_and_b32_e32 v3, 7, v3
	v_and_or_b32 v0, v1, s44, v0
	v_cndmask_b32_e64 v3, v9, v3, s[4:5]
	v_lshlrev_b32_e32 v0, 16, v0
	v_lshl_or_b32 v24, v3, 23, v0
.LBB268_31:                             ;   in Loop: Header=BB268_9 Depth=1
	s_or_b64 exec, exec, s[38:39]
.LBB268_32:                             ;   in Loop: Header=BB268_9 Depth=1
	s_or_b64 exec, exec, s[36:37]
.LBB268_33:                             ;   in Loop: Header=BB268_9 Depth=1
	s_or_b64 exec, exec, s[34:35]
	global_load_dword v9, v[7:8], off offset:8
	s_waitcnt vmcnt(0)
	v_cmp_ne_u16_sdwa s[4:5], v9, v2 src0_sel:BYTE_0 src1_sel:DWORD
	s_and_saveexec_b64 s[34:35], s[4:5]
	s_cbranch_execz .LBB268_39
; %bb.34:                               ;   in Loop: Header=BB268_9 Depth=1
	v_cmp_ne_u16_sdwa s[4:5], v9, s42 src0_sel:BYTE_0 src1_sel:DWORD
	v_mov_b32_e32 v25, 0x8000
	s_and_saveexec_b64 s[36:37], s[4:5]
	s_cbranch_execz .LBB268_38
; %bb.35:                               ;   in Loop: Header=BB268_9 Depth=1
	v_and_b32_e32 v0, 0x7f, v9
	v_cmp_ne_u32_e64 s[4:5], s43, v0
	v_mov_b32_e32 v25, 0x7c01
	s_and_saveexec_b64 s[38:39], s[4:5]
	s_cbranch_execz .LBB268_37
; %bb.36:                               ;   in Loop: Header=BB268_9 Depth=1
	v_and_b32_e32 v1, 7, v9
	v_ffbh_u32_e32 v3, v1
	v_min_u32_e32 v11, 32, v3
	v_lshrrev_b32_e32 v10, 3, v0
	v_subrev_u32_e32 v3, 28, v11
	v_lshlrev_b64 v[3:4], v3, v[9:10]
	v_sub_u32_e32 v4, 29, v11
	v_cmp_gt_u32_e64 s[4:5], 8, v0
	v_cndmask_b32_e64 v0, v10, v4, s[4:5]
	v_mov_b32_e32 v5, 0x2000
	v_lshl_add_u32 v0, v0, 10, v5
	v_lshlrev_b32_e32 v4, 8, v9
	v_and_b32_e32 v3, 7, v3
	v_and_b32_e32 v0, 0xfc00, v0
	v_cndmask_b32_e64 v1, v1, v3, s[4:5]
	v_and_or_b32 v0, v4, s44, v0
	v_lshl_or_b32 v25, v1, 7, v0
.LBB268_37:                             ;   in Loop: Header=BB268_9 Depth=1
	s_or_b64 exec, exec, s[38:39]
.LBB268_38:                             ;   in Loop: Header=BB268_9 Depth=1
	s_or_b64 exec, exec, s[36:37]
.LBB268_39:                             ;   in Loop: Header=BB268_9 Depth=1
	s_or_b64 exec, exec, s[34:35]
	v_lshrrev_b16_e32 v1, 8, v9
	v_cmp_ne_u16_e64 s[4:5], 0, v1
	v_mov_b32_e32 v26, 0
	v_mov_b32_e32 v27, 0
	s_and_saveexec_b64 s[34:35], s[4:5]
	s_cbranch_execz .LBB268_45
; %bb.40:                               ;   in Loop: Header=BB268_9 Depth=1
	v_cmp_ne_u16_e64 s[4:5], s42, v1
	v_bfrev_b32_e32 v27, 1
	s_and_saveexec_b64 s[36:37], s[4:5]
	s_cbranch_execz .LBB268_44
; %bb.41:                               ;   in Loop: Header=BB268_9 Depth=1
	v_and_b32_e32 v0, 0x7f, v1
	v_cmp_ne_u32_e64 s[4:5], s43, v0
	v_mov_b32_e32 v27, 0x7c010000
	s_and_saveexec_b64 s[38:39], s[4:5]
	s_cbranch_execz .LBB268_43
; %bb.42:                               ;   in Loop: Header=BB268_9 Depth=1
	v_and_b32_e32 v10, 7, v1
	v_ffbh_u32_e32 v3, v10
	v_min_u32_e32 v12, 32, v3
	v_subrev_u32_e32 v3, 28, v12
	v_lshlrev_b64 v[3:4], v3, v[1:2]
	v_lshrrev_b32_e32 v11, 3, v0
	v_sub_u32_e32 v4, 29, v12
	v_cmp_gt_u32_e64 s[4:5], 8, v0
	v_cndmask_b32_e64 v0, v11, v4, s[4:5]
	v_mov_b32_e32 v4, 0x2000
	v_lshlrev_b32_e32 v1, 8, v1
	v_lshl_add_u32 v0, v0, 10, v4
	v_and_b32_e32 v3, 7, v3
	v_and_or_b32 v0, v1, s44, v0
	v_cndmask_b32_e64 v3, v10, v3, s[4:5]
	v_lshlrev_b32_e32 v0, 16, v0
	v_lshl_or_b32 v27, v3, 23, v0
.LBB268_43:                             ;   in Loop: Header=BB268_9 Depth=1
	s_or_b64 exec, exec, s[38:39]
.LBB268_44:                             ;   in Loop: Header=BB268_9 Depth=1
	s_or_b64 exec, exec, s[36:37]
.LBB268_45:                             ;   in Loop: Header=BB268_9 Depth=1
	s_or_b64 exec, exec, s[34:35]
	v_lshrrev_b32_e32 v1, 16, v9
	v_cmp_ne_u16_sdwa s[4:5], v1, v2 src0_sel:BYTE_0 src1_sel:DWORD
	s_and_saveexec_b64 s[34:35], s[4:5]
	s_cbranch_execz .LBB268_51
; %bb.46:                               ;   in Loop: Header=BB268_9 Depth=1
	v_cmp_ne_u16_sdwa s[4:5], v1, s42 src0_sel:BYTE_0 src1_sel:DWORD
	v_mov_b32_e32 v26, 0x8000
	s_and_saveexec_b64 s[36:37], s[4:5]
	s_cbranch_execz .LBB268_50
; %bb.47:                               ;   in Loop: Header=BB268_9 Depth=1
	v_bfe_u32 v0, v9, 16, 7
	v_cmp_ne_u32_e64 s[4:5], s43, v0
	v_mov_b32_e32 v26, 0x7c01
	s_and_saveexec_b64 s[38:39], s[4:5]
	s_cbranch_execz .LBB268_49
; %bb.48:                               ;   in Loop: Header=BB268_9 Depth=1
	v_and_b32_e32 v10, 7, v1
	v_ffbh_u32_e32 v3, v10
	v_min_u32_e32 v12, 32, v3
	v_subrev_u32_e32 v3, 28, v12
	v_lshlrev_b64 v[3:4], v3, v[1:2]
	v_lshrrev_b32_e32 v11, 3, v0
	v_sub_u32_e32 v4, 29, v12
	v_cmp_gt_u32_e64 s[4:5], 8, v0
	v_cndmask_b32_e64 v0, v11, v4, s[4:5]
	v_mov_b32_e32 v4, 0x2000
	v_lshl_add_u32 v0, v0, 10, v4
	v_lshlrev_b32_e32 v1, 8, v1
	v_and_b32_e32 v3, 7, v3
	v_and_b32_e32 v0, 0xfc00, v0
	v_cndmask_b32_e64 v3, v10, v3, s[4:5]
	v_and_or_b32 v0, v1, s44, v0
	v_lshl_or_b32 v26, v3, 7, v0
.LBB268_49:                             ;   in Loop: Header=BB268_9 Depth=1
	s_or_b64 exec, exec, s[38:39]
.LBB268_50:                             ;   in Loop: Header=BB268_9 Depth=1
	s_or_b64 exec, exec, s[36:37]
.LBB268_51:                             ;   in Loop: Header=BB268_9 Depth=1
	s_or_b64 exec, exec, s[34:35]
	v_cmp_lt_u32_e64 s[4:5], s45, v9
	v_mov_b32_e32 v29, 0
	v_mov_b32_e32 v28, 0
	s_and_saveexec_b64 s[34:35], s[4:5]
	s_cbranch_execz .LBB268_57
; %bb.52:                               ;   in Loop: Header=BB268_9 Depth=1
	v_lshrrev_b32_e32 v1, 24, v9
	v_cmp_ne_u32_e64 s[4:5], s42, v1
	v_bfrev_b32_e32 v28, 1
	s_and_saveexec_b64 s[36:37], s[4:5]
	s_cbranch_execz .LBB268_56
; %bb.53:                               ;   in Loop: Header=BB268_9 Depth=1
	v_and_b32_e32 v0, 0x7f, v1
	v_cmp_ne_u32_e64 s[4:5], s43, v0
	v_mov_b32_e32 v28, 0x7c010000
	s_and_saveexec_b64 s[38:39], s[4:5]
	s_cbranch_execz .LBB268_55
; %bb.54:                               ;   in Loop: Header=BB268_9 Depth=1
	v_and_b32_e32 v9, 7, v1
	v_ffbh_u32_e32 v3, v9
	v_min_u32_e32 v11, 32, v3
	v_subrev_u32_e32 v3, 28, v11
	v_lshlrev_b64 v[3:4], v3, v[1:2]
	v_lshrrev_b32_e32 v10, 3, v0
	v_sub_u32_e32 v4, 29, v11
	v_cmp_gt_u32_e64 s[4:5], 8, v0
	v_cndmask_b32_e64 v0, v10, v4, s[4:5]
	v_mov_b32_e32 v4, 0x2000
	v_lshlrev_b32_e32 v1, 8, v1
	v_lshl_add_u32 v0, v0, 10, v4
	v_and_b32_e32 v3, 7, v3
	v_and_or_b32 v0, v1, s44, v0
	v_cndmask_b32_e64 v3, v9, v3, s[4:5]
	v_lshlrev_b32_e32 v0, 16, v0
	v_lshl_or_b32 v28, v3, 23, v0
.LBB268_55:                             ;   in Loop: Header=BB268_9 Depth=1
	s_or_b64 exec, exec, s[38:39]
.LBB268_56:                             ;   in Loop: Header=BB268_9 Depth=1
	s_or_b64 exec, exec, s[36:37]
.LBB268_57:                             ;   in Loop: Header=BB268_9 Depth=1
	s_or_b64 exec, exec, s[34:35]
	global_load_dword v9, v[7:8], off offset:512
	s_waitcnt vmcnt(0)
	v_cmp_ne_u16_sdwa s[4:5], v9, v2 src0_sel:BYTE_0 src1_sel:DWORD
	s_and_saveexec_b64 s[34:35], s[4:5]
	s_cbranch_execz .LBB268_63
; %bb.58:                               ;   in Loop: Header=BB268_9 Depth=1
	v_cmp_ne_u16_sdwa s[4:5], v9, s42 src0_sel:BYTE_0 src1_sel:DWORD
	v_mov_b32_e32 v29, 0x8000
	s_and_saveexec_b64 s[36:37], s[4:5]
	s_cbranch_execz .LBB268_62
; %bb.59:                               ;   in Loop: Header=BB268_9 Depth=1
	v_and_b32_e32 v0, 0x7f, v9
	v_cmp_ne_u32_e64 s[4:5], s43, v0
	v_mov_b32_e32 v29, 0x7c01
	s_and_saveexec_b64 s[38:39], s[4:5]
	s_cbranch_execz .LBB268_61
; %bb.60:                               ;   in Loop: Header=BB268_9 Depth=1
	v_and_b32_e32 v1, 7, v9
	v_ffbh_u32_e32 v3, v1
	v_min_u32_e32 v11, 32, v3
	v_lshrrev_b32_e32 v10, 3, v0
	v_subrev_u32_e32 v3, 28, v11
	v_lshlrev_b64 v[3:4], v3, v[9:10]
	v_sub_u32_e32 v4, 29, v11
	v_cmp_gt_u32_e64 s[4:5], 8, v0
	v_cndmask_b32_e64 v0, v10, v4, s[4:5]
	v_mov_b32_e32 v5, 0x2000
	v_lshl_add_u32 v0, v0, 10, v5
	v_lshlrev_b32_e32 v4, 8, v9
	v_and_b32_e32 v3, 7, v3
	v_and_b32_e32 v0, 0xfc00, v0
	v_cndmask_b32_e64 v1, v1, v3, s[4:5]
	v_and_or_b32 v0, v4, s44, v0
	v_lshl_or_b32 v29, v1, 7, v0
.LBB268_61:                             ;   in Loop: Header=BB268_9 Depth=1
	s_or_b64 exec, exec, s[38:39]
.LBB268_62:                             ;   in Loop: Header=BB268_9 Depth=1
	s_or_b64 exec, exec, s[36:37]
.LBB268_63:                             ;   in Loop: Header=BB268_9 Depth=1
	s_or_b64 exec, exec, s[34:35]
	v_lshrrev_b16_e32 v1, 8, v9
	v_cmp_ne_u16_e64 s[4:5], 0, v1
	v_mov_b32_e32 v30, 0
	v_mov_b32_e32 v31, 0
	s_and_saveexec_b64 s[34:35], s[4:5]
	s_cbranch_execz .LBB268_69
; %bb.64:                               ;   in Loop: Header=BB268_9 Depth=1
	v_cmp_ne_u16_e64 s[4:5], s42, v1
	v_bfrev_b32_e32 v31, 1
	s_and_saveexec_b64 s[36:37], s[4:5]
	s_cbranch_execz .LBB268_68
; %bb.65:                               ;   in Loop: Header=BB268_9 Depth=1
	v_and_b32_e32 v0, 0x7f, v1
	v_cmp_ne_u32_e64 s[4:5], s43, v0
	v_mov_b32_e32 v31, 0x7c010000
	s_and_saveexec_b64 s[38:39], s[4:5]
	s_cbranch_execz .LBB268_67
; %bb.66:                               ;   in Loop: Header=BB268_9 Depth=1
	v_and_b32_e32 v10, 7, v1
	v_ffbh_u32_e32 v3, v10
	v_min_u32_e32 v12, 32, v3
	v_subrev_u32_e32 v3, 28, v12
	v_lshlrev_b64 v[3:4], v3, v[1:2]
	v_lshrrev_b32_e32 v11, 3, v0
	v_sub_u32_e32 v4, 29, v12
	v_cmp_gt_u32_e64 s[4:5], 8, v0
	v_cndmask_b32_e64 v0, v11, v4, s[4:5]
	v_mov_b32_e32 v4, 0x2000
	v_lshlrev_b32_e32 v1, 8, v1
	v_lshl_add_u32 v0, v0, 10, v4
	v_and_b32_e32 v3, 7, v3
	v_and_or_b32 v0, v1, s44, v0
	v_cndmask_b32_e64 v3, v10, v3, s[4:5]
	v_lshlrev_b32_e32 v0, 16, v0
	v_lshl_or_b32 v31, v3, 23, v0
.LBB268_67:                             ;   in Loop: Header=BB268_9 Depth=1
	s_or_b64 exec, exec, s[38:39]
.LBB268_68:                             ;   in Loop: Header=BB268_9 Depth=1
	s_or_b64 exec, exec, s[36:37]
.LBB268_69:                             ;   in Loop: Header=BB268_9 Depth=1
	s_or_b64 exec, exec, s[34:35]
	v_lshrrev_b32_e32 v1, 16, v9
	v_cmp_ne_u16_sdwa s[4:5], v1, v2 src0_sel:BYTE_0 src1_sel:DWORD
	s_and_saveexec_b64 s[34:35], s[4:5]
	s_cbranch_execz .LBB268_75
; %bb.70:                               ;   in Loop: Header=BB268_9 Depth=1
	v_cmp_ne_u16_sdwa s[4:5], v1, s42 src0_sel:BYTE_0 src1_sel:DWORD
	v_mov_b32_e32 v30, 0x8000
	s_and_saveexec_b64 s[36:37], s[4:5]
	s_cbranch_execz .LBB268_74
; %bb.71:                               ;   in Loop: Header=BB268_9 Depth=1
	v_bfe_u32 v0, v9, 16, 7
	v_cmp_ne_u32_e64 s[4:5], s43, v0
	v_mov_b32_e32 v30, 0x7c01
	s_and_saveexec_b64 s[38:39], s[4:5]
	s_cbranch_execz .LBB268_73
; %bb.72:                               ;   in Loop: Header=BB268_9 Depth=1
	v_and_b32_e32 v10, 7, v1
	v_ffbh_u32_e32 v3, v10
	v_min_u32_e32 v12, 32, v3
	v_subrev_u32_e32 v3, 28, v12
	v_lshlrev_b64 v[3:4], v3, v[1:2]
	v_lshrrev_b32_e32 v11, 3, v0
	v_sub_u32_e32 v4, 29, v12
	v_cmp_gt_u32_e64 s[4:5], 8, v0
	v_cndmask_b32_e64 v0, v11, v4, s[4:5]
	v_mov_b32_e32 v4, 0x2000
	v_lshl_add_u32 v0, v0, 10, v4
	v_lshlrev_b32_e32 v1, 8, v1
	v_and_b32_e32 v3, 7, v3
	v_and_b32_e32 v0, 0xfc00, v0
	v_cndmask_b32_e64 v3, v10, v3, s[4:5]
	v_and_or_b32 v0, v1, s44, v0
	v_lshl_or_b32 v30, v3, 7, v0
.LBB268_73:                             ;   in Loop: Header=BB268_9 Depth=1
	s_or_b64 exec, exec, s[38:39]
.LBB268_74:                             ;   in Loop: Header=BB268_9 Depth=1
	s_or_b64 exec, exec, s[36:37]
.LBB268_75:                             ;   in Loop: Header=BB268_9 Depth=1
	s_or_b64 exec, exec, s[34:35]
	v_cmp_lt_u32_e64 s[4:5], s45, v9
	v_mov_b32_e32 v33, 0
	v_mov_b32_e32 v32, 0
	s_and_saveexec_b64 s[34:35], s[4:5]
	s_cbranch_execz .LBB268_81
; %bb.76:                               ;   in Loop: Header=BB268_9 Depth=1
	v_lshrrev_b32_e32 v1, 24, v9
	v_cmp_ne_u32_e64 s[4:5], s42, v1
	v_bfrev_b32_e32 v32, 1
	s_and_saveexec_b64 s[36:37], s[4:5]
	s_cbranch_execz .LBB268_80
; %bb.77:                               ;   in Loop: Header=BB268_9 Depth=1
	v_and_b32_e32 v0, 0x7f, v1
	v_cmp_ne_u32_e64 s[4:5], s43, v0
	v_mov_b32_e32 v32, 0x7c010000
	s_and_saveexec_b64 s[38:39], s[4:5]
	s_cbranch_execz .LBB268_79
; %bb.78:                               ;   in Loop: Header=BB268_9 Depth=1
	v_and_b32_e32 v9, 7, v1
	v_ffbh_u32_e32 v3, v9
	v_min_u32_e32 v11, 32, v3
	v_subrev_u32_e32 v3, 28, v11
	v_lshlrev_b64 v[3:4], v3, v[1:2]
	v_lshrrev_b32_e32 v10, 3, v0
	v_sub_u32_e32 v4, 29, v11
	v_cmp_gt_u32_e64 s[4:5], 8, v0
	v_cndmask_b32_e64 v0, v10, v4, s[4:5]
	v_mov_b32_e32 v4, 0x2000
	v_lshlrev_b32_e32 v1, 8, v1
	v_lshl_add_u32 v0, v0, 10, v4
	v_and_b32_e32 v3, 7, v3
	v_and_or_b32 v0, v1, s44, v0
	v_cndmask_b32_e64 v3, v9, v3, s[4:5]
	v_lshlrev_b32_e32 v0, 16, v0
	v_lshl_or_b32 v32, v3, 23, v0
.LBB268_79:                             ;   in Loop: Header=BB268_9 Depth=1
	s_or_b64 exec, exec, s[38:39]
.LBB268_80:                             ;   in Loop: Header=BB268_9 Depth=1
	s_or_b64 exec, exec, s[36:37]
.LBB268_81:                             ;   in Loop: Header=BB268_9 Depth=1
	s_or_b64 exec, exec, s[34:35]
	global_load_dword v9, v[7:8], off offset:520
	s_waitcnt vmcnt(0)
	v_cmp_ne_u16_sdwa s[4:5], v9, v2 src0_sel:BYTE_0 src1_sel:DWORD
	s_and_saveexec_b64 s[34:35], s[4:5]
	s_cbranch_execz .LBB268_87
; %bb.82:                               ;   in Loop: Header=BB268_9 Depth=1
	v_cmp_ne_u16_sdwa s[4:5], v9, s42 src0_sel:BYTE_0 src1_sel:DWORD
	v_mov_b32_e32 v33, 0x8000
	s_and_saveexec_b64 s[36:37], s[4:5]
	s_cbranch_execz .LBB268_86
; %bb.83:                               ;   in Loop: Header=BB268_9 Depth=1
	v_and_b32_e32 v0, 0x7f, v9
	v_cmp_ne_u32_e64 s[4:5], s43, v0
	v_mov_b32_e32 v33, 0x7c01
	s_and_saveexec_b64 s[38:39], s[4:5]
	s_cbranch_execz .LBB268_85
; %bb.84:                               ;   in Loop: Header=BB268_9 Depth=1
	v_and_b32_e32 v1, 7, v9
	v_ffbh_u32_e32 v3, v1
	v_min_u32_e32 v11, 32, v3
	v_lshrrev_b32_e32 v10, 3, v0
	v_subrev_u32_e32 v3, 28, v11
	v_lshlrev_b64 v[3:4], v3, v[9:10]
	v_sub_u32_e32 v4, 29, v11
	v_cmp_gt_u32_e64 s[4:5], 8, v0
	v_cndmask_b32_e64 v0, v10, v4, s[4:5]
	v_mov_b32_e32 v5, 0x2000
	v_lshl_add_u32 v0, v0, 10, v5
	v_lshlrev_b32_e32 v4, 8, v9
	v_and_b32_e32 v3, 7, v3
	v_and_b32_e32 v0, 0xfc00, v0
	v_cndmask_b32_e64 v1, v1, v3, s[4:5]
	v_and_or_b32 v0, v4, s44, v0
	v_lshl_or_b32 v33, v1, 7, v0
.LBB268_85:                             ;   in Loop: Header=BB268_9 Depth=1
	s_or_b64 exec, exec, s[38:39]
.LBB268_86:                             ;   in Loop: Header=BB268_9 Depth=1
	s_or_b64 exec, exec, s[36:37]
.LBB268_87:                             ;   in Loop: Header=BB268_9 Depth=1
	s_or_b64 exec, exec, s[34:35]
	v_lshrrev_b16_e32 v1, 8, v9
	v_cmp_ne_u16_e64 s[4:5], 0, v1
	v_mov_b32_e32 v34, 0
	v_mov_b32_e32 v35, 0
	s_and_saveexec_b64 s[34:35], s[4:5]
	s_cbranch_execz .LBB268_93
; %bb.88:                               ;   in Loop: Header=BB268_9 Depth=1
	v_cmp_ne_u16_e64 s[4:5], s42, v1
	v_bfrev_b32_e32 v35, 1
	s_and_saveexec_b64 s[36:37], s[4:5]
	s_cbranch_execz .LBB268_92
; %bb.89:                               ;   in Loop: Header=BB268_9 Depth=1
	v_and_b32_e32 v0, 0x7f, v1
	v_cmp_ne_u32_e64 s[4:5], s43, v0
	v_mov_b32_e32 v35, 0x7c010000
	s_and_saveexec_b64 s[38:39], s[4:5]
	s_cbranch_execz .LBB268_91
; %bb.90:                               ;   in Loop: Header=BB268_9 Depth=1
	v_and_b32_e32 v10, 7, v1
	v_ffbh_u32_e32 v3, v10
	v_min_u32_e32 v12, 32, v3
	v_subrev_u32_e32 v3, 28, v12
	v_lshlrev_b64 v[3:4], v3, v[1:2]
	v_lshrrev_b32_e32 v11, 3, v0
	v_sub_u32_e32 v4, 29, v12
	v_cmp_gt_u32_e64 s[4:5], 8, v0
	v_cndmask_b32_e64 v0, v11, v4, s[4:5]
	v_mov_b32_e32 v4, 0x2000
	v_lshlrev_b32_e32 v1, 8, v1
	v_lshl_add_u32 v0, v0, 10, v4
	v_and_b32_e32 v3, 7, v3
	v_and_or_b32 v0, v1, s44, v0
	v_cndmask_b32_e64 v3, v10, v3, s[4:5]
	v_lshlrev_b32_e32 v0, 16, v0
	v_lshl_or_b32 v35, v3, 23, v0
.LBB268_91:                             ;   in Loop: Header=BB268_9 Depth=1
	s_or_b64 exec, exec, s[38:39]
.LBB268_92:                             ;   in Loop: Header=BB268_9 Depth=1
	s_or_b64 exec, exec, s[36:37]
.LBB268_93:                             ;   in Loop: Header=BB268_9 Depth=1
	s_or_b64 exec, exec, s[34:35]
	v_lshrrev_b32_e32 v1, 16, v9
	v_cmp_ne_u16_sdwa s[4:5], v1, v2 src0_sel:BYTE_0 src1_sel:DWORD
	s_and_saveexec_b64 s[34:35], s[4:5]
	s_cbranch_execz .LBB268_99
; %bb.94:                               ;   in Loop: Header=BB268_9 Depth=1
	v_cmp_ne_u16_sdwa s[4:5], v1, s42 src0_sel:BYTE_0 src1_sel:DWORD
	v_mov_b32_e32 v34, 0x8000
	s_and_saveexec_b64 s[36:37], s[4:5]
	s_cbranch_execz .LBB268_98
; %bb.95:                               ;   in Loop: Header=BB268_9 Depth=1
	v_bfe_u32 v0, v9, 16, 7
	v_cmp_ne_u32_e64 s[4:5], s43, v0
	v_mov_b32_e32 v34, 0x7c01
	s_and_saveexec_b64 s[38:39], s[4:5]
	s_cbranch_execz .LBB268_97
; %bb.96:                               ;   in Loop: Header=BB268_9 Depth=1
	v_and_b32_e32 v10, 7, v1
	v_ffbh_u32_e32 v3, v10
	v_min_u32_e32 v12, 32, v3
	v_subrev_u32_e32 v3, 28, v12
	v_lshlrev_b64 v[3:4], v3, v[1:2]
	v_lshrrev_b32_e32 v11, 3, v0
	v_sub_u32_e32 v4, 29, v12
	v_cmp_gt_u32_e64 s[4:5], 8, v0
	v_cndmask_b32_e64 v0, v11, v4, s[4:5]
	v_mov_b32_e32 v4, 0x2000
	v_lshl_add_u32 v0, v0, 10, v4
	v_lshlrev_b32_e32 v1, 8, v1
	v_and_b32_e32 v3, 7, v3
	v_and_b32_e32 v0, 0xfc00, v0
	v_cndmask_b32_e64 v3, v10, v3, s[4:5]
	v_and_or_b32 v0, v1, s44, v0
	v_lshl_or_b32 v34, v3, 7, v0
.LBB268_97:                             ;   in Loop: Header=BB268_9 Depth=1
	s_or_b64 exec, exec, s[38:39]
.LBB268_98:                             ;   in Loop: Header=BB268_9 Depth=1
	s_or_b64 exec, exec, s[36:37]
.LBB268_99:                             ;   in Loop: Header=BB268_9 Depth=1
	s_or_b64 exec, exec, s[34:35]
	v_cmp_lt_u32_e64 s[4:5], s45, v9
	v_mov_b32_e32 v37, 0
	v_mov_b32_e32 v36, 0
	s_and_saveexec_b64 s[34:35], s[4:5]
	s_cbranch_execz .LBB268_105
; %bb.100:                              ;   in Loop: Header=BB268_9 Depth=1
	v_lshrrev_b32_e32 v1, 24, v9
	v_cmp_ne_u32_e64 s[4:5], s42, v1
	v_bfrev_b32_e32 v36, 1
	s_and_saveexec_b64 s[36:37], s[4:5]
	s_cbranch_execz .LBB268_104
; %bb.101:                              ;   in Loop: Header=BB268_9 Depth=1
	v_and_b32_e32 v0, 0x7f, v1
	v_cmp_ne_u32_e64 s[4:5], s43, v0
	v_mov_b32_e32 v36, 0x7c010000
	s_and_saveexec_b64 s[38:39], s[4:5]
	s_cbranch_execz .LBB268_103
; %bb.102:                              ;   in Loop: Header=BB268_9 Depth=1
	v_and_b32_e32 v9, 7, v1
	v_ffbh_u32_e32 v3, v9
	v_min_u32_e32 v11, 32, v3
	v_subrev_u32_e32 v3, 28, v11
	v_lshlrev_b64 v[3:4], v3, v[1:2]
	v_lshrrev_b32_e32 v10, 3, v0
	v_sub_u32_e32 v4, 29, v11
	v_cmp_gt_u32_e64 s[4:5], 8, v0
	v_cndmask_b32_e64 v0, v10, v4, s[4:5]
	v_mov_b32_e32 v4, 0x2000
	v_lshlrev_b32_e32 v1, 8, v1
	v_lshl_add_u32 v0, v0, 10, v4
	v_and_b32_e32 v3, 7, v3
	v_and_or_b32 v0, v1, s44, v0
	v_cndmask_b32_e64 v3, v9, v3, s[4:5]
	v_lshlrev_b32_e32 v0, 16, v0
	v_lshl_or_b32 v36, v3, 23, v0
.LBB268_103:                            ;   in Loop: Header=BB268_9 Depth=1
	s_or_b64 exec, exec, s[38:39]
.LBB268_104:                            ;   in Loop: Header=BB268_9 Depth=1
	s_or_b64 exec, exec, s[36:37]
.LBB268_105:                            ;   in Loop: Header=BB268_9 Depth=1
	s_or_b64 exec, exec, s[34:35]
	global_load_dword v9, v[7:8], off offset:1024
	s_waitcnt vmcnt(0)
	v_cmp_ne_u16_sdwa s[4:5], v9, v2 src0_sel:BYTE_0 src1_sel:DWORD
	s_and_saveexec_b64 s[34:35], s[4:5]
	s_cbranch_execz .LBB268_111
; %bb.106:                              ;   in Loop: Header=BB268_9 Depth=1
	v_cmp_ne_u16_sdwa s[4:5], v9, s42 src0_sel:BYTE_0 src1_sel:DWORD
	v_mov_b32_e32 v37, 0x8000
	s_and_saveexec_b64 s[36:37], s[4:5]
	s_cbranch_execz .LBB268_110
; %bb.107:                              ;   in Loop: Header=BB268_9 Depth=1
	v_and_b32_e32 v0, 0x7f, v9
	v_cmp_ne_u32_e64 s[4:5], s43, v0
	v_mov_b32_e32 v37, 0x7c01
	s_and_saveexec_b64 s[38:39], s[4:5]
	s_cbranch_execz .LBB268_109
; %bb.108:                              ;   in Loop: Header=BB268_9 Depth=1
	v_and_b32_e32 v1, 7, v9
	v_ffbh_u32_e32 v3, v1
	v_min_u32_e32 v11, 32, v3
	v_lshrrev_b32_e32 v10, 3, v0
	v_subrev_u32_e32 v3, 28, v11
	v_lshlrev_b64 v[3:4], v3, v[9:10]
	v_sub_u32_e32 v4, 29, v11
	v_cmp_gt_u32_e64 s[4:5], 8, v0
	v_cndmask_b32_e64 v0, v10, v4, s[4:5]
	v_mov_b32_e32 v5, 0x2000
	v_lshl_add_u32 v0, v0, 10, v5
	v_lshlrev_b32_e32 v4, 8, v9
	v_and_b32_e32 v3, 7, v3
	v_and_b32_e32 v0, 0xfc00, v0
	v_cndmask_b32_e64 v1, v1, v3, s[4:5]
	v_and_or_b32 v0, v4, s44, v0
	v_lshl_or_b32 v37, v1, 7, v0
.LBB268_109:                            ;   in Loop: Header=BB268_9 Depth=1
	s_or_b64 exec, exec, s[38:39]
.LBB268_110:                            ;   in Loop: Header=BB268_9 Depth=1
	s_or_b64 exec, exec, s[36:37]
.LBB268_111:                            ;   in Loop: Header=BB268_9 Depth=1
	s_or_b64 exec, exec, s[34:35]
	v_lshrrev_b16_e32 v1, 8, v9
	v_cmp_ne_u16_e64 s[4:5], 0, v1
	v_mov_b32_e32 v38, 0
	v_mov_b32_e32 v39, 0
	s_and_saveexec_b64 s[34:35], s[4:5]
	s_cbranch_execz .LBB268_117
; %bb.112:                              ;   in Loop: Header=BB268_9 Depth=1
	v_cmp_ne_u16_e64 s[4:5], s42, v1
	v_bfrev_b32_e32 v39, 1
	s_and_saveexec_b64 s[36:37], s[4:5]
	s_cbranch_execz .LBB268_116
; %bb.113:                              ;   in Loop: Header=BB268_9 Depth=1
	v_and_b32_e32 v0, 0x7f, v1
	v_cmp_ne_u32_e64 s[4:5], s43, v0
	v_mov_b32_e32 v39, 0x7c010000
	s_and_saveexec_b64 s[38:39], s[4:5]
	s_cbranch_execz .LBB268_115
; %bb.114:                              ;   in Loop: Header=BB268_9 Depth=1
	v_and_b32_e32 v10, 7, v1
	v_ffbh_u32_e32 v3, v10
	v_min_u32_e32 v12, 32, v3
	v_subrev_u32_e32 v3, 28, v12
	v_lshlrev_b64 v[3:4], v3, v[1:2]
	v_lshrrev_b32_e32 v11, 3, v0
	v_sub_u32_e32 v4, 29, v12
	v_cmp_gt_u32_e64 s[4:5], 8, v0
	v_cndmask_b32_e64 v0, v11, v4, s[4:5]
	v_mov_b32_e32 v4, 0x2000
	v_lshlrev_b32_e32 v1, 8, v1
	v_lshl_add_u32 v0, v0, 10, v4
	v_and_b32_e32 v3, 7, v3
	v_and_or_b32 v0, v1, s44, v0
	v_cndmask_b32_e64 v3, v10, v3, s[4:5]
	v_lshlrev_b32_e32 v0, 16, v0
	v_lshl_or_b32 v39, v3, 23, v0
.LBB268_115:                            ;   in Loop: Header=BB268_9 Depth=1
	s_or_b64 exec, exec, s[38:39]
.LBB268_116:                            ;   in Loop: Header=BB268_9 Depth=1
	s_or_b64 exec, exec, s[36:37]
.LBB268_117:                            ;   in Loop: Header=BB268_9 Depth=1
	s_or_b64 exec, exec, s[34:35]
	v_lshrrev_b32_e32 v1, 16, v9
	v_cmp_ne_u16_sdwa s[4:5], v1, v2 src0_sel:BYTE_0 src1_sel:DWORD
	s_and_saveexec_b64 s[34:35], s[4:5]
	s_cbranch_execz .LBB268_123
; %bb.118:                              ;   in Loop: Header=BB268_9 Depth=1
	v_cmp_ne_u16_sdwa s[4:5], v1, s42 src0_sel:BYTE_0 src1_sel:DWORD
	v_mov_b32_e32 v38, 0x8000
	s_and_saveexec_b64 s[36:37], s[4:5]
	s_cbranch_execz .LBB268_122
; %bb.119:                              ;   in Loop: Header=BB268_9 Depth=1
	v_bfe_u32 v0, v9, 16, 7
	v_cmp_ne_u32_e64 s[4:5], s43, v0
	v_mov_b32_e32 v38, 0x7c01
	s_and_saveexec_b64 s[38:39], s[4:5]
	s_cbranch_execz .LBB268_121
; %bb.120:                              ;   in Loop: Header=BB268_9 Depth=1
	v_and_b32_e32 v10, 7, v1
	v_ffbh_u32_e32 v3, v10
	v_min_u32_e32 v12, 32, v3
	v_subrev_u32_e32 v3, 28, v12
	v_lshlrev_b64 v[3:4], v3, v[1:2]
	v_lshrrev_b32_e32 v11, 3, v0
	v_sub_u32_e32 v4, 29, v12
	v_cmp_gt_u32_e64 s[4:5], 8, v0
	v_cndmask_b32_e64 v0, v11, v4, s[4:5]
	v_mov_b32_e32 v4, 0x2000
	v_lshl_add_u32 v0, v0, 10, v4
	v_lshlrev_b32_e32 v1, 8, v1
	v_and_b32_e32 v3, 7, v3
	v_and_b32_e32 v0, 0xfc00, v0
	v_cndmask_b32_e64 v3, v10, v3, s[4:5]
	v_and_or_b32 v0, v1, s44, v0
	v_lshl_or_b32 v38, v3, 7, v0
.LBB268_121:                            ;   in Loop: Header=BB268_9 Depth=1
	s_or_b64 exec, exec, s[38:39]
.LBB268_122:                            ;   in Loop: Header=BB268_9 Depth=1
	s_or_b64 exec, exec, s[36:37]
.LBB268_123:                            ;   in Loop: Header=BB268_9 Depth=1
	s_or_b64 exec, exec, s[34:35]
	v_cmp_lt_u32_e64 s[4:5], s45, v9
	v_mov_b32_e32 v41, 0
	v_mov_b32_e32 v40, 0
	s_and_saveexec_b64 s[34:35], s[4:5]
	s_cbranch_execz .LBB268_129
; %bb.124:                              ;   in Loop: Header=BB268_9 Depth=1
	v_lshrrev_b32_e32 v1, 24, v9
	v_cmp_ne_u32_e64 s[4:5], s42, v1
	v_bfrev_b32_e32 v40, 1
	s_and_saveexec_b64 s[36:37], s[4:5]
	s_cbranch_execz .LBB268_128
; %bb.125:                              ;   in Loop: Header=BB268_9 Depth=1
	v_and_b32_e32 v0, 0x7f, v1
	v_cmp_ne_u32_e64 s[4:5], s43, v0
	v_mov_b32_e32 v40, 0x7c010000
	s_and_saveexec_b64 s[38:39], s[4:5]
	s_cbranch_execz .LBB268_127
; %bb.126:                              ;   in Loop: Header=BB268_9 Depth=1
	v_and_b32_e32 v9, 7, v1
	v_ffbh_u32_e32 v3, v9
	v_min_u32_e32 v11, 32, v3
	v_subrev_u32_e32 v3, 28, v11
	v_lshlrev_b64 v[3:4], v3, v[1:2]
	v_lshrrev_b32_e32 v10, 3, v0
	v_sub_u32_e32 v4, 29, v11
	v_cmp_gt_u32_e64 s[4:5], 8, v0
	v_cndmask_b32_e64 v0, v10, v4, s[4:5]
	v_mov_b32_e32 v4, 0x2000
	v_lshlrev_b32_e32 v1, 8, v1
	v_lshl_add_u32 v0, v0, 10, v4
	v_and_b32_e32 v3, 7, v3
	v_and_or_b32 v0, v1, s44, v0
	v_cndmask_b32_e64 v3, v9, v3, s[4:5]
	v_lshlrev_b32_e32 v0, 16, v0
	v_lshl_or_b32 v40, v3, 23, v0
.LBB268_127:                            ;   in Loop: Header=BB268_9 Depth=1
	s_or_b64 exec, exec, s[38:39]
.LBB268_128:                            ;   in Loop: Header=BB268_9 Depth=1
	s_or_b64 exec, exec, s[36:37]
.LBB268_129:                            ;   in Loop: Header=BB268_9 Depth=1
	s_or_b64 exec, exec, s[34:35]
	global_load_dword v9, v[7:8], off offset:1032
	s_waitcnt vmcnt(0)
	v_cmp_ne_u16_sdwa s[4:5], v9, v2 src0_sel:BYTE_0 src1_sel:DWORD
	s_and_saveexec_b64 s[34:35], s[4:5]
	s_cbranch_execz .LBB268_135
; %bb.130:                              ;   in Loop: Header=BB268_9 Depth=1
	v_cmp_ne_u16_sdwa s[4:5], v9, s42 src0_sel:BYTE_0 src1_sel:DWORD
	v_mov_b32_e32 v41, 0x8000
	s_and_saveexec_b64 s[36:37], s[4:5]
	s_cbranch_execz .LBB268_134
; %bb.131:                              ;   in Loop: Header=BB268_9 Depth=1
	v_and_b32_e32 v0, 0x7f, v9
	v_cmp_ne_u32_e64 s[4:5], s43, v0
	v_mov_b32_e32 v41, 0x7c01
	s_and_saveexec_b64 s[38:39], s[4:5]
	s_cbranch_execz .LBB268_133
; %bb.132:                              ;   in Loop: Header=BB268_9 Depth=1
	v_and_b32_e32 v1, 7, v9
	v_ffbh_u32_e32 v3, v1
	v_min_u32_e32 v11, 32, v3
	v_lshrrev_b32_e32 v10, 3, v0
	v_subrev_u32_e32 v3, 28, v11
	v_lshlrev_b64 v[3:4], v3, v[9:10]
	v_sub_u32_e32 v4, 29, v11
	v_cmp_gt_u32_e64 s[4:5], 8, v0
	v_cndmask_b32_e64 v0, v10, v4, s[4:5]
	v_mov_b32_e32 v5, 0x2000
	v_lshl_add_u32 v0, v0, 10, v5
	v_lshlrev_b32_e32 v4, 8, v9
	v_and_b32_e32 v3, 7, v3
	v_and_b32_e32 v0, 0xfc00, v0
	v_cndmask_b32_e64 v1, v1, v3, s[4:5]
	v_and_or_b32 v0, v4, s44, v0
	v_lshl_or_b32 v41, v1, 7, v0
.LBB268_133:                            ;   in Loop: Header=BB268_9 Depth=1
	s_or_b64 exec, exec, s[38:39]
.LBB268_134:                            ;   in Loop: Header=BB268_9 Depth=1
	s_or_b64 exec, exec, s[36:37]
.LBB268_135:                            ;   in Loop: Header=BB268_9 Depth=1
	s_or_b64 exec, exec, s[34:35]
	v_lshrrev_b16_e32 v1, 8, v9
	v_cmp_ne_u16_e64 s[4:5], 0, v1
	v_mov_b32_e32 v42, 0
	v_mov_b32_e32 v43, 0
	s_and_saveexec_b64 s[34:35], s[4:5]
	s_cbranch_execz .LBB268_141
; %bb.136:                              ;   in Loop: Header=BB268_9 Depth=1
	v_cmp_ne_u16_e64 s[4:5], s42, v1
	v_bfrev_b32_e32 v43, 1
	s_and_saveexec_b64 s[36:37], s[4:5]
	s_cbranch_execz .LBB268_140
; %bb.137:                              ;   in Loop: Header=BB268_9 Depth=1
	v_and_b32_e32 v0, 0x7f, v1
	v_cmp_ne_u32_e64 s[4:5], s43, v0
	v_mov_b32_e32 v43, 0x7c010000
	s_and_saveexec_b64 s[38:39], s[4:5]
	s_cbranch_execz .LBB268_139
; %bb.138:                              ;   in Loop: Header=BB268_9 Depth=1
	v_and_b32_e32 v10, 7, v1
	v_ffbh_u32_e32 v3, v10
	v_min_u32_e32 v12, 32, v3
	v_subrev_u32_e32 v3, 28, v12
	v_lshlrev_b64 v[3:4], v3, v[1:2]
	v_lshrrev_b32_e32 v11, 3, v0
	v_sub_u32_e32 v4, 29, v12
	v_cmp_gt_u32_e64 s[4:5], 8, v0
	v_cndmask_b32_e64 v0, v11, v4, s[4:5]
	v_mov_b32_e32 v4, 0x2000
	v_lshlrev_b32_e32 v1, 8, v1
	v_lshl_add_u32 v0, v0, 10, v4
	v_and_b32_e32 v3, 7, v3
	v_and_or_b32 v0, v1, s44, v0
	v_cndmask_b32_e64 v3, v10, v3, s[4:5]
	v_lshlrev_b32_e32 v0, 16, v0
	v_lshl_or_b32 v43, v3, 23, v0
.LBB268_139:                            ;   in Loop: Header=BB268_9 Depth=1
	s_or_b64 exec, exec, s[38:39]
.LBB268_140:                            ;   in Loop: Header=BB268_9 Depth=1
	s_or_b64 exec, exec, s[36:37]
.LBB268_141:                            ;   in Loop: Header=BB268_9 Depth=1
	s_or_b64 exec, exec, s[34:35]
	v_lshrrev_b32_e32 v1, 16, v9
	v_cmp_ne_u16_sdwa s[4:5], v1, v2 src0_sel:BYTE_0 src1_sel:DWORD
	s_and_saveexec_b64 s[34:35], s[4:5]
	s_cbranch_execz .LBB268_147
; %bb.142:                              ;   in Loop: Header=BB268_9 Depth=1
	v_cmp_ne_u16_sdwa s[4:5], v1, s42 src0_sel:BYTE_0 src1_sel:DWORD
	v_mov_b32_e32 v42, 0x8000
	s_and_saveexec_b64 s[36:37], s[4:5]
	s_cbranch_execz .LBB268_146
; %bb.143:                              ;   in Loop: Header=BB268_9 Depth=1
	v_bfe_u32 v0, v9, 16, 7
	v_cmp_ne_u32_e64 s[4:5], s43, v0
	v_mov_b32_e32 v42, 0x7c01
	s_and_saveexec_b64 s[38:39], s[4:5]
	s_cbranch_execz .LBB268_145
; %bb.144:                              ;   in Loop: Header=BB268_9 Depth=1
	v_and_b32_e32 v10, 7, v1
	v_ffbh_u32_e32 v3, v10
	v_min_u32_e32 v12, 32, v3
	v_subrev_u32_e32 v3, 28, v12
	v_lshlrev_b64 v[3:4], v3, v[1:2]
	v_lshrrev_b32_e32 v11, 3, v0
	v_sub_u32_e32 v4, 29, v12
	v_cmp_gt_u32_e64 s[4:5], 8, v0
	v_cndmask_b32_e64 v0, v11, v4, s[4:5]
	v_mov_b32_e32 v4, 0x2000
	v_lshl_add_u32 v0, v0, 10, v4
	v_lshlrev_b32_e32 v1, 8, v1
	v_and_b32_e32 v3, 7, v3
	v_and_b32_e32 v0, 0xfc00, v0
	v_cndmask_b32_e64 v3, v10, v3, s[4:5]
	v_and_or_b32 v0, v1, s44, v0
	v_lshl_or_b32 v42, v3, 7, v0
.LBB268_145:                            ;   in Loop: Header=BB268_9 Depth=1
	s_or_b64 exec, exec, s[38:39]
.LBB268_146:                            ;   in Loop: Header=BB268_9 Depth=1
	s_or_b64 exec, exec, s[36:37]
.LBB268_147:                            ;   in Loop: Header=BB268_9 Depth=1
	s_or_b64 exec, exec, s[34:35]
	v_cmp_lt_u32_e64 s[4:5], s45, v9
	v_mov_b32_e32 v53, 0
	v_mov_b32_e32 v44, 0
	s_and_saveexec_b64 s[34:35], s[4:5]
	s_cbranch_execz .LBB268_153
; %bb.148:                              ;   in Loop: Header=BB268_9 Depth=1
	v_lshrrev_b32_e32 v1, 24, v9
	v_cmp_ne_u32_e64 s[4:5], s42, v1
	v_bfrev_b32_e32 v44, 1
	s_and_saveexec_b64 s[36:37], s[4:5]
	s_cbranch_execz .LBB268_152
; %bb.149:                              ;   in Loop: Header=BB268_9 Depth=1
	v_and_b32_e32 v0, 0x7f, v1
	v_cmp_ne_u32_e64 s[4:5], s43, v0
	v_mov_b32_e32 v44, 0x7c010000
	s_and_saveexec_b64 s[38:39], s[4:5]
	s_cbranch_execz .LBB268_151
; %bb.150:                              ;   in Loop: Header=BB268_9 Depth=1
	v_and_b32_e32 v9, 7, v1
	v_ffbh_u32_e32 v3, v9
	v_min_u32_e32 v11, 32, v3
	v_subrev_u32_e32 v3, 28, v11
	v_lshlrev_b64 v[3:4], v3, v[1:2]
	v_lshrrev_b32_e32 v10, 3, v0
	v_sub_u32_e32 v4, 29, v11
	v_cmp_gt_u32_e64 s[4:5], 8, v0
	v_cndmask_b32_e64 v0, v10, v4, s[4:5]
	v_mov_b32_e32 v4, 0x2000
	v_lshlrev_b32_e32 v1, 8, v1
	v_lshl_add_u32 v0, v0, 10, v4
	v_and_b32_e32 v3, 7, v3
	v_and_or_b32 v0, v1, s44, v0
	v_cndmask_b32_e64 v3, v9, v3, s[4:5]
	v_lshlrev_b32_e32 v0, 16, v0
	v_lshl_or_b32 v44, v3, 23, v0
.LBB268_151:                            ;   in Loop: Header=BB268_9 Depth=1
	s_or_b64 exec, exec, s[38:39]
.LBB268_152:                            ;   in Loop: Header=BB268_9 Depth=1
	s_or_b64 exec, exec, s[36:37]
.LBB268_153:                            ;   in Loop: Header=BB268_9 Depth=1
	s_or_b64 exec, exec, s[34:35]
	global_load_dword v9, v[7:8], off offset:1536
	s_waitcnt vmcnt(0)
	v_cmp_ne_u16_sdwa s[4:5], v9, v2 src0_sel:BYTE_0 src1_sel:DWORD
	s_and_saveexec_b64 s[34:35], s[4:5]
	s_cbranch_execz .LBB268_159
; %bb.154:                              ;   in Loop: Header=BB268_9 Depth=1
	v_cmp_ne_u16_sdwa s[4:5], v9, s42 src0_sel:BYTE_0 src1_sel:DWORD
	v_mov_b32_e32 v53, 0x8000
	s_and_saveexec_b64 s[36:37], s[4:5]
	s_cbranch_execz .LBB268_158
; %bb.155:                              ;   in Loop: Header=BB268_9 Depth=1
	v_and_b32_e32 v0, 0x7f, v9
	v_cmp_ne_u32_e64 s[4:5], s43, v0
	v_mov_b32_e32 v53, 0x7c01
	s_and_saveexec_b64 s[38:39], s[4:5]
	s_cbranch_execz .LBB268_157
; %bb.156:                              ;   in Loop: Header=BB268_9 Depth=1
	v_and_b32_e32 v1, 7, v9
	v_ffbh_u32_e32 v3, v1
	v_min_u32_e32 v11, 32, v3
	v_lshrrev_b32_e32 v10, 3, v0
	v_subrev_u32_e32 v3, 28, v11
	v_lshlrev_b64 v[3:4], v3, v[9:10]
	v_sub_u32_e32 v4, 29, v11
	v_cmp_gt_u32_e64 s[4:5], 8, v0
	v_cndmask_b32_e64 v0, v10, v4, s[4:5]
	v_mov_b32_e32 v5, 0x2000
	v_lshl_add_u32 v0, v0, 10, v5
	v_lshlrev_b32_e32 v4, 8, v9
	v_and_b32_e32 v3, 7, v3
	v_and_b32_e32 v0, 0xfc00, v0
	v_cndmask_b32_e64 v1, v1, v3, s[4:5]
	v_and_or_b32 v0, v4, s44, v0
	v_lshl_or_b32 v53, v1, 7, v0
.LBB268_157:                            ;   in Loop: Header=BB268_9 Depth=1
	s_or_b64 exec, exec, s[38:39]
.LBB268_158:                            ;   in Loop: Header=BB268_9 Depth=1
	s_or_b64 exec, exec, s[36:37]
.LBB268_159:                            ;   in Loop: Header=BB268_9 Depth=1
	s_or_b64 exec, exec, s[34:35]
	v_lshrrev_b16_e32 v1, 8, v9
	v_cmp_ne_u16_e64 s[4:5], 0, v1
	v_mov_b32_e32 v54, 0
	v_mov_b32_e32 v47, 0
	s_and_saveexec_b64 s[34:35], s[4:5]
	s_cbranch_execz .LBB268_165
; %bb.160:                              ;   in Loop: Header=BB268_9 Depth=1
	v_cmp_ne_u16_e64 s[4:5], s42, v1
	v_bfrev_b32_e32 v47, 1
	s_and_saveexec_b64 s[36:37], s[4:5]
	s_cbranch_execz .LBB268_164
; %bb.161:                              ;   in Loop: Header=BB268_9 Depth=1
	v_and_b32_e32 v0, 0x7f, v1
	v_cmp_ne_u32_e64 s[4:5], s43, v0
	v_mov_b32_e32 v47, 0x7c010000
	s_and_saveexec_b64 s[38:39], s[4:5]
	s_cbranch_execz .LBB268_163
; %bb.162:                              ;   in Loop: Header=BB268_9 Depth=1
	v_and_b32_e32 v10, 7, v1
	v_ffbh_u32_e32 v3, v10
	v_min_u32_e32 v12, 32, v3
	v_subrev_u32_e32 v3, 28, v12
	v_lshlrev_b64 v[3:4], v3, v[1:2]
	v_lshrrev_b32_e32 v11, 3, v0
	v_sub_u32_e32 v4, 29, v12
	v_cmp_gt_u32_e64 s[4:5], 8, v0
	v_cndmask_b32_e64 v0, v11, v4, s[4:5]
	v_mov_b32_e32 v4, 0x2000
	v_lshlrev_b32_e32 v1, 8, v1
	v_lshl_add_u32 v0, v0, 10, v4
	v_and_b32_e32 v3, 7, v3
	v_and_or_b32 v0, v1, s44, v0
	v_cndmask_b32_e64 v3, v10, v3, s[4:5]
	v_lshlrev_b32_e32 v0, 16, v0
	v_lshl_or_b32 v47, v3, 23, v0
.LBB268_163:                            ;   in Loop: Header=BB268_9 Depth=1
	s_or_b64 exec, exec, s[38:39]
.LBB268_164:                            ;   in Loop: Header=BB268_9 Depth=1
	s_or_b64 exec, exec, s[36:37]
.LBB268_165:                            ;   in Loop: Header=BB268_9 Depth=1
	s_or_b64 exec, exec, s[34:35]
	v_lshrrev_b32_e32 v1, 16, v9
	v_cmp_ne_u16_sdwa s[4:5], v1, v2 src0_sel:BYTE_0 src1_sel:DWORD
	s_and_saveexec_b64 s[34:35], s[4:5]
	s_cbranch_execz .LBB268_171
; %bb.166:                              ;   in Loop: Header=BB268_9 Depth=1
	v_cmp_ne_u16_sdwa s[4:5], v1, s42 src0_sel:BYTE_0 src1_sel:DWORD
	v_mov_b32_e32 v54, 0x8000
	s_and_saveexec_b64 s[36:37], s[4:5]
	s_cbranch_execz .LBB268_170
; %bb.167:                              ;   in Loop: Header=BB268_9 Depth=1
	v_bfe_u32 v0, v9, 16, 7
	v_cmp_ne_u32_e64 s[4:5], s43, v0
	v_mov_b32_e32 v54, 0x7c01
	s_and_saveexec_b64 s[38:39], s[4:5]
	s_cbranch_execz .LBB268_169
; %bb.168:                              ;   in Loop: Header=BB268_9 Depth=1
	v_and_b32_e32 v10, 7, v1
	v_ffbh_u32_e32 v3, v10
	v_min_u32_e32 v12, 32, v3
	v_subrev_u32_e32 v3, 28, v12
	v_lshlrev_b64 v[3:4], v3, v[1:2]
	v_lshrrev_b32_e32 v11, 3, v0
	v_sub_u32_e32 v4, 29, v12
	v_cmp_gt_u32_e64 s[4:5], 8, v0
	v_cndmask_b32_e64 v0, v11, v4, s[4:5]
	v_mov_b32_e32 v4, 0x2000
	v_lshl_add_u32 v0, v0, 10, v4
	v_lshlrev_b32_e32 v1, 8, v1
	v_and_b32_e32 v3, 7, v3
	v_and_b32_e32 v0, 0xfc00, v0
	v_cndmask_b32_e64 v3, v10, v3, s[4:5]
	v_and_or_b32 v0, v1, s44, v0
	v_lshl_or_b32 v54, v3, 7, v0
.LBB268_169:                            ;   in Loop: Header=BB268_9 Depth=1
	s_or_b64 exec, exec, s[38:39]
.LBB268_170:                            ;   in Loop: Header=BB268_9 Depth=1
	s_or_b64 exec, exec, s[36:37]
.LBB268_171:                            ;   in Loop: Header=BB268_9 Depth=1
	s_or_b64 exec, exec, s[34:35]
	v_cmp_lt_u32_e64 s[4:5], s45, v9
	v_mov_b32_e32 v5, 0
	v_mov_b32_e32 v48, 0
	s_and_saveexec_b64 s[34:35], s[4:5]
	s_cbranch_execz .LBB268_177
; %bb.172:                              ;   in Loop: Header=BB268_9 Depth=1
	v_lshrrev_b32_e32 v1, 24, v9
	v_cmp_ne_u32_e64 s[4:5], s42, v1
	v_bfrev_b32_e32 v48, 1
	s_and_saveexec_b64 s[36:37], s[4:5]
	s_cbranch_execz .LBB268_176
; %bb.173:                              ;   in Loop: Header=BB268_9 Depth=1
	v_and_b32_e32 v0, 0x7f, v1
	v_cmp_ne_u32_e64 s[4:5], s43, v0
	v_mov_b32_e32 v48, 0x7c010000
	s_and_saveexec_b64 s[38:39], s[4:5]
	s_cbranch_execz .LBB268_175
; %bb.174:                              ;   in Loop: Header=BB268_9 Depth=1
	v_and_b32_e32 v9, 7, v1
	v_ffbh_u32_e32 v3, v9
	v_min_u32_e32 v11, 32, v3
	v_subrev_u32_e32 v3, 28, v11
	v_lshlrev_b64 v[3:4], v3, v[1:2]
	v_lshrrev_b32_e32 v10, 3, v0
	v_sub_u32_e32 v4, 29, v11
	v_cmp_gt_u32_e64 s[4:5], 8, v0
	v_cndmask_b32_e64 v0, v10, v4, s[4:5]
	v_mov_b32_e32 v4, 0x2000
	v_lshlrev_b32_e32 v1, 8, v1
	v_lshl_add_u32 v0, v0, 10, v4
	v_and_b32_e32 v3, 7, v3
	v_and_or_b32 v0, v1, s44, v0
	v_cndmask_b32_e64 v3, v9, v3, s[4:5]
	v_lshlrev_b32_e32 v0, 16, v0
	v_lshl_or_b32 v48, v3, 23, v0
.LBB268_175:                            ;   in Loop: Header=BB268_9 Depth=1
	s_or_b64 exec, exec, s[38:39]
.LBB268_176:                            ;   in Loop: Header=BB268_9 Depth=1
	s_or_b64 exec, exec, s[36:37]
.LBB268_177:                            ;   in Loop: Header=BB268_9 Depth=1
	s_or_b64 exec, exec, s[34:35]
	global_load_dword v9, v[7:8], off offset:1544
	s_waitcnt vmcnt(0)
	v_cmp_ne_u16_sdwa s[4:5], v9, v2 src0_sel:BYTE_0 src1_sel:DWORD
	s_and_saveexec_b64 s[34:35], s[4:5]
	s_cbranch_execz .LBB268_183
; %bb.178:                              ;   in Loop: Header=BB268_9 Depth=1
	v_cmp_ne_u16_sdwa s[4:5], v9, s42 src0_sel:BYTE_0 src1_sel:DWORD
	v_mov_b32_e32 v5, 0x8000
	s_and_saveexec_b64 s[36:37], s[4:5]
	s_cbranch_execz .LBB268_182
; %bb.179:                              ;   in Loop: Header=BB268_9 Depth=1
	v_and_b32_e32 v0, 0x7f, v9
	v_cmp_ne_u32_e64 s[4:5], s43, v0
	v_mov_b32_e32 v5, 0x7c01
	s_and_saveexec_b64 s[38:39], s[4:5]
	s_cbranch_execz .LBB268_181
; %bb.180:                              ;   in Loop: Header=BB268_9 Depth=1
	v_and_b32_e32 v1, 7, v9
	v_ffbh_u32_e32 v3, v1
	v_min_u32_e32 v11, 32, v3
	v_lshrrev_b32_e32 v10, 3, v0
	v_subrev_u32_e32 v3, 28, v11
	v_lshlrev_b64 v[3:4], v3, v[9:10]
	v_sub_u32_e32 v4, 29, v11
	v_cmp_gt_u32_e64 s[4:5], 8, v0
	v_cndmask_b32_e64 v0, v10, v4, s[4:5]
	v_mov_b32_e32 v5, 0x2000
	v_lshl_add_u32 v0, v0, 10, v5
	v_lshlrev_b32_e32 v4, 8, v9
	v_and_b32_e32 v3, 7, v3
	v_and_b32_e32 v0, 0xfc00, v0
	v_cndmask_b32_e64 v1, v1, v3, s[4:5]
	v_and_or_b32 v0, v4, s44, v0
	v_lshl_or_b32 v5, v1, 7, v0
.LBB268_181:                            ;   in Loop: Header=BB268_9 Depth=1
	s_or_b64 exec, exec, s[38:39]
.LBB268_182:                            ;   in Loop: Header=BB268_9 Depth=1
	s_or_b64 exec, exec, s[36:37]
.LBB268_183:                            ;   in Loop: Header=BB268_9 Depth=1
	s_or_b64 exec, exec, s[34:35]
	v_lshrrev_b16_e32 v1, 8, v9
	v_cmp_ne_u16_e64 s[4:5], 0, v1
	v_mov_b32_e32 v6, 0
	v_mov_b32_e32 v51, 0
	s_and_saveexec_b64 s[34:35], s[4:5]
	s_cbranch_execz .LBB268_189
; %bb.184:                              ;   in Loop: Header=BB268_9 Depth=1
	v_cmp_ne_u16_e64 s[4:5], s42, v1
	v_bfrev_b32_e32 v51, 1
	s_and_saveexec_b64 s[36:37], s[4:5]
	s_cbranch_execz .LBB268_188
; %bb.185:                              ;   in Loop: Header=BB268_9 Depth=1
	v_and_b32_e32 v0, 0x7f, v1
	v_cmp_ne_u32_e64 s[4:5], s43, v0
	v_mov_b32_e32 v51, 0x7c010000
	s_and_saveexec_b64 s[38:39], s[4:5]
	s_cbranch_execz .LBB268_187
; %bb.186:                              ;   in Loop: Header=BB268_9 Depth=1
	v_and_b32_e32 v10, 7, v1
	v_ffbh_u32_e32 v3, v10
	v_min_u32_e32 v12, 32, v3
	v_subrev_u32_e32 v3, 28, v12
	v_lshlrev_b64 v[3:4], v3, v[1:2]
	v_lshrrev_b32_e32 v11, 3, v0
	v_sub_u32_e32 v4, 29, v12
	v_cmp_gt_u32_e64 s[4:5], 8, v0
	v_cndmask_b32_e64 v0, v11, v4, s[4:5]
	v_mov_b32_e32 v4, 0x2000
	v_lshlrev_b32_e32 v1, 8, v1
	v_lshl_add_u32 v0, v0, 10, v4
	v_and_b32_e32 v3, 7, v3
	v_and_or_b32 v0, v1, s44, v0
	v_cndmask_b32_e64 v3, v10, v3, s[4:5]
	v_lshlrev_b32_e32 v0, 16, v0
	v_lshl_or_b32 v51, v3, 23, v0
.LBB268_187:                            ;   in Loop: Header=BB268_9 Depth=1
	s_or_b64 exec, exec, s[38:39]
.LBB268_188:                            ;   in Loop: Header=BB268_9 Depth=1
	s_or_b64 exec, exec, s[36:37]
.LBB268_189:                            ;   in Loop: Header=BB268_9 Depth=1
	s_or_b64 exec, exec, s[34:35]
	v_lshrrev_b32_e32 v1, 16, v9
	v_cmp_ne_u16_sdwa s[4:5], v1, v2 src0_sel:BYTE_0 src1_sel:DWORD
	s_and_saveexec_b64 s[34:35], s[4:5]
	s_cbranch_execz .LBB268_195
; %bb.190:                              ;   in Loop: Header=BB268_9 Depth=1
	v_cmp_ne_u16_sdwa s[4:5], v1, s42 src0_sel:BYTE_0 src1_sel:DWORD
	v_mov_b32_e32 v6, 0x8000
	s_and_saveexec_b64 s[36:37], s[4:5]
	s_cbranch_execz .LBB268_194
; %bb.191:                              ;   in Loop: Header=BB268_9 Depth=1
	v_bfe_u32 v0, v9, 16, 7
	v_cmp_ne_u32_e64 s[4:5], s43, v0
	v_mov_b32_e32 v6, 0x7c01
	s_and_saveexec_b64 s[38:39], s[4:5]
	s_cbranch_execz .LBB268_193
; %bb.192:                              ;   in Loop: Header=BB268_9 Depth=1
	v_and_b32_e32 v10, 7, v1
	v_ffbh_u32_e32 v3, v10
	v_min_u32_e32 v12, 32, v3
	v_subrev_u32_e32 v3, 28, v12
	v_lshlrev_b64 v[3:4], v3, v[1:2]
	v_lshrrev_b32_e32 v11, 3, v0
	v_sub_u32_e32 v4, 29, v12
	v_cmp_gt_u32_e64 s[4:5], 8, v0
	v_cndmask_b32_e64 v0, v11, v4, s[4:5]
	v_mov_b32_e32 v4, 0x2000
	v_lshl_add_u32 v0, v0, 10, v4
	v_lshlrev_b32_e32 v1, 8, v1
	v_and_b32_e32 v3, 7, v3
	v_and_b32_e32 v0, 0xfc00, v0
	v_cndmask_b32_e64 v3, v10, v3, s[4:5]
	v_and_or_b32 v0, v1, s44, v0
	v_lshl_or_b32 v6, v3, 7, v0
.LBB268_193:                            ;   in Loop: Header=BB268_9 Depth=1
	s_or_b64 exec, exec, s[38:39]
.LBB268_194:                            ;   in Loop: Header=BB268_9 Depth=1
	s_or_b64 exec, exec, s[36:37]
.LBB268_195:                            ;   in Loop: Header=BB268_9 Depth=1
	s_or_b64 exec, exec, s[34:35]
	v_cmp_lt_u32_e64 s[4:5], s45, v9
	v_mov_b32_e32 v19, 0
	v_mov_b32_e32 v52, 0
	s_and_saveexec_b64 s[34:35], s[4:5]
	s_cbranch_execz .LBB268_201
; %bb.196:                              ;   in Loop: Header=BB268_9 Depth=1
	v_lshrrev_b32_e32 v1, 24, v9
	v_cmp_ne_u32_e64 s[4:5], s42, v1
	v_bfrev_b32_e32 v52, 1
	s_and_saveexec_b64 s[36:37], s[4:5]
	s_cbranch_execz .LBB268_200
; %bb.197:                              ;   in Loop: Header=BB268_9 Depth=1
	v_and_b32_e32 v0, 0x7f, v1
	v_cmp_ne_u32_e64 s[4:5], s43, v0
	v_mov_b32_e32 v52, 0x7c010000
	s_and_saveexec_b64 s[38:39], s[4:5]
	s_cbranch_execz .LBB268_199
; %bb.198:                              ;   in Loop: Header=BB268_9 Depth=1
	v_and_b32_e32 v9, 7, v1
	v_ffbh_u32_e32 v3, v9
	v_min_u32_e32 v11, 32, v3
	v_subrev_u32_e32 v3, 28, v11
	v_lshlrev_b64 v[3:4], v3, v[1:2]
	v_lshrrev_b32_e32 v10, 3, v0
	v_sub_u32_e32 v4, 29, v11
	v_cmp_gt_u32_e64 s[4:5], 8, v0
	v_cndmask_b32_e64 v0, v10, v4, s[4:5]
	v_mov_b32_e32 v4, 0x2000
	v_lshlrev_b32_e32 v1, 8, v1
	v_lshl_add_u32 v0, v0, 10, v4
	v_and_b32_e32 v3, 7, v3
	v_and_or_b32 v0, v1, s44, v0
	v_cndmask_b32_e64 v3, v9, v3, s[4:5]
	v_lshlrev_b32_e32 v0, 16, v0
	v_lshl_or_b32 v52, v3, 23, v0
.LBB268_199:                            ;   in Loop: Header=BB268_9 Depth=1
	s_or_b64 exec, exec, s[38:39]
.LBB268_200:                            ;   in Loop: Header=BB268_9 Depth=1
	s_or_b64 exec, exec, s[36:37]
.LBB268_201:                            ;   in Loop: Header=BB268_9 Depth=1
	s_or_b64 exec, exec, s[34:35]
	global_load_dword v9, v[7:8], off offset:2048
	s_waitcnt vmcnt(0)
	v_cmp_ne_u16_sdwa s[4:5], v9, v2 src0_sel:BYTE_0 src1_sel:DWORD
	s_and_saveexec_b64 s[34:35], s[4:5]
	s_cbranch_execz .LBB268_207
; %bb.202:                              ;   in Loop: Header=BB268_9 Depth=1
	v_cmp_ne_u16_sdwa s[4:5], v9, s42 src0_sel:BYTE_0 src1_sel:DWORD
	v_mov_b32_e32 v19, 0x8000
	s_and_saveexec_b64 s[36:37], s[4:5]
	s_cbranch_execz .LBB268_206
; %bb.203:                              ;   in Loop: Header=BB268_9 Depth=1
	v_and_b32_e32 v0, 0x7f, v9
	v_cmp_ne_u32_e64 s[4:5], s43, v0
	v_mov_b32_e32 v19, 0x7c01
	s_and_saveexec_b64 s[38:39], s[4:5]
	s_cbranch_execz .LBB268_205
; %bb.204:                              ;   in Loop: Header=BB268_9 Depth=1
	v_and_b32_e32 v1, 7, v9
	v_ffbh_u32_e32 v3, v1
	v_min_u32_e32 v11, 32, v3
	v_lshrrev_b32_e32 v10, 3, v0
	v_subrev_u32_e32 v3, 28, v11
	v_lshlrev_b64 v[3:4], v3, v[9:10]
	v_sub_u32_e32 v4, 29, v11
	v_cmp_gt_u32_e64 s[4:5], 8, v0
	v_cndmask_b32_e64 v0, v10, v4, s[4:5]
	v_mov_b32_e32 v10, 0x2000
	v_lshl_add_u32 v0, v0, 10, v10
	v_lshlrev_b32_e32 v4, 8, v9
	v_and_b32_e32 v3, 7, v3
	v_and_b32_e32 v0, 0xfc00, v0
	v_cndmask_b32_e64 v1, v1, v3, s[4:5]
	v_and_or_b32 v0, v4, s44, v0
	v_lshl_or_b32 v19, v1, 7, v0
.LBB268_205:                            ;   in Loop: Header=BB268_9 Depth=1
	s_or_b64 exec, exec, s[38:39]
.LBB268_206:                            ;   in Loop: Header=BB268_9 Depth=1
	s_or_b64 exec, exec, s[36:37]
.LBB268_207:                            ;   in Loop: Header=BB268_9 Depth=1
	s_or_b64 exec, exec, s[34:35]
	v_lshrrev_b16_e32 v1, 8, v9
	v_cmp_ne_u16_e64 s[4:5], 0, v1
	v_mov_b32_e32 v49, 0
	v_mov_b32_e32 v55, 0
	s_and_saveexec_b64 s[34:35], s[4:5]
	s_cbranch_execz .LBB268_213
; %bb.208:                              ;   in Loop: Header=BB268_9 Depth=1
	v_cmp_ne_u16_e64 s[4:5], s42, v1
	v_bfrev_b32_e32 v55, 1
	s_and_saveexec_b64 s[36:37], s[4:5]
	s_cbranch_execz .LBB268_212
; %bb.209:                              ;   in Loop: Header=BB268_9 Depth=1
	v_and_b32_e32 v0, 0x7f, v1
	v_cmp_ne_u32_e64 s[4:5], s43, v0
	v_mov_b32_e32 v55, 0x7c010000
	s_and_saveexec_b64 s[38:39], s[4:5]
	s_cbranch_execz .LBB268_211
; %bb.210:                              ;   in Loop: Header=BB268_9 Depth=1
	v_and_b32_e32 v10, 7, v1
	v_ffbh_u32_e32 v3, v10
	v_min_u32_e32 v12, 32, v3
	v_subrev_u32_e32 v3, 28, v12
	v_lshlrev_b64 v[3:4], v3, v[1:2]
	v_lshrrev_b32_e32 v11, 3, v0
	v_sub_u32_e32 v4, 29, v12
	v_cmp_gt_u32_e64 s[4:5], 8, v0
	v_cndmask_b32_e64 v0, v11, v4, s[4:5]
	v_mov_b32_e32 v4, 0x2000
	v_lshlrev_b32_e32 v1, 8, v1
	v_lshl_add_u32 v0, v0, 10, v4
	v_and_b32_e32 v3, 7, v3
	v_and_or_b32 v0, v1, s44, v0
	v_cndmask_b32_e64 v3, v10, v3, s[4:5]
	v_lshlrev_b32_e32 v0, 16, v0
	v_lshl_or_b32 v55, v3, 23, v0
.LBB268_211:                            ;   in Loop: Header=BB268_9 Depth=1
	s_or_b64 exec, exec, s[38:39]
.LBB268_212:                            ;   in Loop: Header=BB268_9 Depth=1
	s_or_b64 exec, exec, s[36:37]
.LBB268_213:                            ;   in Loop: Header=BB268_9 Depth=1
	s_or_b64 exec, exec, s[34:35]
	v_lshrrev_b32_e32 v1, 16, v9
	v_cmp_ne_u16_sdwa s[4:5], v1, v2 src0_sel:BYTE_0 src1_sel:DWORD
	s_and_saveexec_b64 s[34:35], s[4:5]
	s_cbranch_execz .LBB268_219
; %bb.214:                              ;   in Loop: Header=BB268_9 Depth=1
	v_cmp_ne_u16_sdwa s[4:5], v1, s42 src0_sel:BYTE_0 src1_sel:DWORD
	v_mov_b32_e32 v49, 0x8000
	s_and_saveexec_b64 s[36:37], s[4:5]
	s_cbranch_execz .LBB268_218
; %bb.215:                              ;   in Loop: Header=BB268_9 Depth=1
	v_bfe_u32 v0, v9, 16, 7
	v_cmp_ne_u32_e64 s[4:5], s43, v0
	v_mov_b32_e32 v49, 0x7c01
	s_and_saveexec_b64 s[38:39], s[4:5]
	s_cbranch_execz .LBB268_217
; %bb.216:                              ;   in Loop: Header=BB268_9 Depth=1
	v_and_b32_e32 v10, 7, v1
	v_ffbh_u32_e32 v3, v10
	v_min_u32_e32 v12, 32, v3
	v_subrev_u32_e32 v3, 28, v12
	v_lshlrev_b64 v[3:4], v3, v[1:2]
	v_lshrrev_b32_e32 v11, 3, v0
	v_sub_u32_e32 v4, 29, v12
	v_cmp_gt_u32_e64 s[4:5], 8, v0
	v_cndmask_b32_e64 v0, v11, v4, s[4:5]
	v_mov_b32_e32 v4, 0x2000
	v_lshl_add_u32 v0, v0, 10, v4
	v_lshlrev_b32_e32 v1, 8, v1
	v_and_b32_e32 v3, 7, v3
	v_and_b32_e32 v0, 0xfc00, v0
	v_cndmask_b32_e64 v3, v10, v3, s[4:5]
	v_and_or_b32 v0, v1, s44, v0
	v_lshl_or_b32 v49, v3, 7, v0
.LBB268_217:                            ;   in Loop: Header=BB268_9 Depth=1
	s_or_b64 exec, exec, s[38:39]
.LBB268_218:                            ;   in Loop: Header=BB268_9 Depth=1
	s_or_b64 exec, exec, s[36:37]
.LBB268_219:                            ;   in Loop: Header=BB268_9 Depth=1
	s_or_b64 exec, exec, s[34:35]
	v_cmp_lt_u32_e64 s[4:5], s45, v9
	v_mov_b32_e32 v57, 0
	v_mov_b32_e32 v56, 0
	s_and_saveexec_b64 s[34:35], s[4:5]
	s_cbranch_execz .LBB268_225
; %bb.220:                              ;   in Loop: Header=BB268_9 Depth=1
	v_lshrrev_b32_e32 v1, 24, v9
	v_cmp_ne_u32_e64 s[4:5], s42, v1
	v_bfrev_b32_e32 v56, 1
	s_and_saveexec_b64 s[36:37], s[4:5]
	s_cbranch_execz .LBB268_224
; %bb.221:                              ;   in Loop: Header=BB268_9 Depth=1
	v_and_b32_e32 v0, 0x7f, v1
	v_cmp_ne_u32_e64 s[4:5], s43, v0
	v_mov_b32_e32 v56, 0x7c010000
	s_and_saveexec_b64 s[38:39], s[4:5]
	s_cbranch_execz .LBB268_223
; %bb.222:                              ;   in Loop: Header=BB268_9 Depth=1
	v_and_b32_e32 v9, 7, v1
	v_ffbh_u32_e32 v3, v9
	v_min_u32_e32 v11, 32, v3
	v_subrev_u32_e32 v3, 28, v11
	v_lshlrev_b64 v[3:4], v3, v[1:2]
	v_lshrrev_b32_e32 v10, 3, v0
	v_sub_u32_e32 v4, 29, v11
	v_cmp_gt_u32_e64 s[4:5], 8, v0
	v_cndmask_b32_e64 v0, v10, v4, s[4:5]
	v_mov_b32_e32 v4, 0x2000
	v_lshlrev_b32_e32 v1, 8, v1
	v_lshl_add_u32 v0, v0, 10, v4
	v_and_b32_e32 v3, 7, v3
	v_and_or_b32 v0, v1, s44, v0
	v_cndmask_b32_e64 v3, v9, v3, s[4:5]
	v_lshlrev_b32_e32 v0, 16, v0
	v_lshl_or_b32 v56, v3, 23, v0
.LBB268_223:                            ;   in Loop: Header=BB268_9 Depth=1
	s_or_b64 exec, exec, s[38:39]
.LBB268_224:                            ;   in Loop: Header=BB268_9 Depth=1
	s_or_b64 exec, exec, s[36:37]
.LBB268_225:                            ;   in Loop: Header=BB268_9 Depth=1
	s_or_b64 exec, exec, s[34:35]
	global_load_dword v9, v[7:8], off offset:2056
	s_waitcnt vmcnt(0)
	v_cmp_ne_u16_sdwa s[4:5], v9, v2 src0_sel:BYTE_0 src1_sel:DWORD
	s_and_saveexec_b64 s[34:35], s[4:5]
	s_cbranch_execz .LBB268_231
; %bb.226:                              ;   in Loop: Header=BB268_9 Depth=1
	v_cmp_ne_u16_sdwa s[4:5], v9, s42 src0_sel:BYTE_0 src1_sel:DWORD
	v_mov_b32_e32 v57, 0x8000
	s_and_saveexec_b64 s[36:37], s[4:5]
	s_cbranch_execz .LBB268_230
; %bb.227:                              ;   in Loop: Header=BB268_9 Depth=1
	v_and_b32_e32 v0, 0x7f, v9
	v_cmp_ne_u32_e64 s[4:5], s43, v0
	v_mov_b32_e32 v57, 0x7c01
	s_and_saveexec_b64 s[38:39], s[4:5]
	s_cbranch_execz .LBB268_229
; %bb.228:                              ;   in Loop: Header=BB268_9 Depth=1
	v_and_b32_e32 v1, 7, v9
	v_ffbh_u32_e32 v3, v1
	v_min_u32_e32 v11, 32, v3
	v_lshrrev_b32_e32 v10, 3, v0
	v_subrev_u32_e32 v3, 28, v11
	v_lshlrev_b64 v[3:4], v3, v[9:10]
	v_sub_u32_e32 v4, 29, v11
	v_cmp_gt_u32_e64 s[4:5], 8, v0
	v_cndmask_b32_e64 v0, v10, v4, s[4:5]
	v_mov_b32_e32 v10, 0x2000
	v_lshl_add_u32 v0, v0, 10, v10
	v_lshlrev_b32_e32 v4, 8, v9
	v_and_b32_e32 v3, 7, v3
	v_and_b32_e32 v0, 0xfc00, v0
	v_cndmask_b32_e64 v1, v1, v3, s[4:5]
	v_and_or_b32 v0, v4, s44, v0
	v_lshl_or_b32 v57, v1, 7, v0
.LBB268_229:                            ;   in Loop: Header=BB268_9 Depth=1
	s_or_b64 exec, exec, s[38:39]
.LBB268_230:                            ;   in Loop: Header=BB268_9 Depth=1
	s_or_b64 exec, exec, s[36:37]
.LBB268_231:                            ;   in Loop: Header=BB268_9 Depth=1
	s_or_b64 exec, exec, s[34:35]
	v_lshrrev_b16_e32 v1, 8, v9
	v_cmp_ne_u16_e64 s[4:5], 0, v1
	v_mov_b32_e32 v3, 0
	v_mov_b32_e32 v4, 0
	s_and_saveexec_b64 s[34:35], s[4:5]
	s_cbranch_execz .LBB268_237
; %bb.232:                              ;   in Loop: Header=BB268_9 Depth=1
	v_cmp_ne_u16_e64 s[4:5], s42, v1
	v_bfrev_b32_e32 v4, 1
	s_and_saveexec_b64 s[36:37], s[4:5]
	s_cbranch_execz .LBB268_236
; %bb.233:                              ;   in Loop: Header=BB268_9 Depth=1
	v_and_b32_e32 v0, 0x7f, v1
	v_cmp_ne_u32_e64 s[4:5], s43, v0
	v_mov_b32_e32 v4, 0x7c010000
	s_and_saveexec_b64 s[38:39], s[4:5]
	s_cbranch_execz .LBB268_235
; %bb.234:                              ;   in Loop: Header=BB268_9 Depth=1
	v_and_b32_e32 v4, 7, v1
	v_lshrrev_b32_e32 v12, 3, v0
	v_cmp_gt_u32_e64 s[4:5], 8, v0
	v_ffbh_u32_e32 v0, v4
	v_min_u32_e32 v0, 32, v0
	v_subrev_u32_e32 v10, 28, v0
	v_lshlrev_b64 v[10:11], v10, v[1:2]
	v_sub_u32_e32 v0, 29, v0
	v_cndmask_b32_e64 v0, v12, v0, s[4:5]
	v_mov_b32_e32 v11, 0x2000
	v_lshlrev_b32_e32 v1, 8, v1
	v_lshl_add_u32 v0, v0, 10, v11
	v_and_b32_e32 v10, 7, v10
	v_and_or_b32 v0, v1, s44, v0
	v_cndmask_b32_e64 v4, v4, v10, s[4:5]
	v_lshlrev_b32_e32 v0, 16, v0
	v_lshl_or_b32 v4, v4, 23, v0
.LBB268_235:                            ;   in Loop: Header=BB268_9 Depth=1
	s_or_b64 exec, exec, s[38:39]
.LBB268_236:                            ;   in Loop: Header=BB268_9 Depth=1
	s_or_b64 exec, exec, s[36:37]
.LBB268_237:                            ;   in Loop: Header=BB268_9 Depth=1
	s_or_b64 exec, exec, s[34:35]
	v_lshrrev_b32_e32 v1, 16, v9
	v_cmp_ne_u16_sdwa s[4:5], v1, v2 src0_sel:BYTE_0 src1_sel:DWORD
	s_and_saveexec_b64 s[34:35], s[4:5]
	s_cbranch_execz .LBB268_243
; %bb.238:                              ;   in Loop: Header=BB268_9 Depth=1
	v_cmp_ne_u16_sdwa s[4:5], v1, s42 src0_sel:BYTE_0 src1_sel:DWORD
	v_mov_b32_e32 v3, 0x8000
	s_and_saveexec_b64 s[36:37], s[4:5]
	s_cbranch_execz .LBB268_242
; %bb.239:                              ;   in Loop: Header=BB268_9 Depth=1
	v_bfe_u32 v0, v9, 16, 7
	v_cmp_ne_u32_e64 s[4:5], s43, v0
	v_mov_b32_e32 v3, 0x7c01
	s_and_saveexec_b64 s[38:39], s[4:5]
	s_cbranch_execz .LBB268_241
; %bb.240:                              ;   in Loop: Header=BB268_9 Depth=1
	v_and_b32_e32 v3, 7, v1
	v_lshrrev_b32_e32 v12, 3, v0
	v_cmp_gt_u32_e64 s[4:5], 8, v0
	v_ffbh_u32_e32 v0, v3
	v_min_u32_e32 v0, 32, v0
	v_subrev_u32_e32 v10, 28, v0
	v_lshlrev_b64 v[10:11], v10, v[1:2]
	v_sub_u32_e32 v0, 29, v0
	v_cndmask_b32_e64 v0, v12, v0, s[4:5]
	v_mov_b32_e32 v11, 0x2000
	v_lshl_add_u32 v0, v0, 10, v11
	v_lshlrev_b32_e32 v1, 8, v1
	v_and_b32_e32 v10, 7, v10
	v_and_b32_e32 v0, 0xfc00, v0
	v_cndmask_b32_e64 v3, v3, v10, s[4:5]
	v_and_or_b32 v0, v1, s44, v0
	v_lshl_or_b32 v3, v3, 7, v0
.LBB268_241:                            ;   in Loop: Header=BB268_9 Depth=1
	s_or_b64 exec, exec, s[38:39]
.LBB268_242:                            ;   in Loop: Header=BB268_9 Depth=1
	s_or_b64 exec, exec, s[36:37]
.LBB268_243:                            ;   in Loop: Header=BB268_9 Depth=1
	s_or_b64 exec, exec, s[34:35]
	v_cmp_lt_u32_e64 s[4:5], s45, v9
	v_mov_b32_e32 v10, 0
	v_mov_b32_e32 v0, 0
	s_and_saveexec_b64 s[34:35], s[4:5]
	s_cbranch_execz .LBB268_249
; %bb.244:                              ;   in Loop: Header=BB268_9 Depth=1
	v_lshrrev_b32_e32 v1, 24, v9
	v_cmp_ne_u32_e64 s[4:5], s42, v1
	v_bfrev_b32_e32 v0, 1
	s_and_saveexec_b64 s[36:37], s[4:5]
	s_cbranch_execz .LBB268_248
; %bb.245:                              ;   in Loop: Header=BB268_9 Depth=1
	v_and_b32_e32 v9, 0x7f, v1
	v_cmp_ne_u32_e64 s[4:5], s43, v9
	v_mov_b32_e32 v0, 0x7c010000
	s_and_saveexec_b64 s[38:39], s[4:5]
	s_cbranch_execz .LBB268_247
; %bb.246:                              ;   in Loop: Header=BB268_9 Depth=1
	v_and_b32_e32 v0, 7, v1
	v_lshrrev_b32_e32 v13, 3, v9
	v_cmp_gt_u32_e64 s[4:5], 8, v9
	v_ffbh_u32_e32 v9, v0
	v_min_u32_e32 v9, 32, v9
	v_subrev_u32_e32 v11, 28, v9
	v_lshlrev_b64 v[11:12], v11, v[1:2]
	v_sub_u32_e32 v9, 29, v9
	v_cndmask_b32_e64 v9, v13, v9, s[4:5]
	v_mov_b32_e32 v12, 0x2000
	v_lshlrev_b32_e32 v1, 8, v1
	v_lshl_add_u32 v9, v9, 10, v12
	v_and_b32_e32 v11, 7, v11
	v_and_or_b32 v1, v1, s44, v9
	v_cndmask_b32_e64 v0, v0, v11, s[4:5]
	v_lshlrev_b32_e32 v1, 16, v1
	v_lshl_or_b32 v0, v0, 23, v1
.LBB268_247:                            ;   in Loop: Header=BB268_9 Depth=1
	s_or_b64 exec, exec, s[38:39]
.LBB268_248:                            ;   in Loop: Header=BB268_9 Depth=1
	s_or_b64 exec, exec, s[36:37]
.LBB268_249:                            ;   in Loop: Header=BB268_9 Depth=1
	s_or_b64 exec, exec, s[34:35]
	global_load_dword v9, v[7:8], off offset:2560
	s_waitcnt vmcnt(0)
	v_cmp_ne_u16_sdwa s[4:5], v9, v2 src0_sel:BYTE_0 src1_sel:DWORD
	s_and_saveexec_b64 s[34:35], s[4:5]
	s_cbranch_execz .LBB268_255
; %bb.250:                              ;   in Loop: Header=BB268_9 Depth=1
	v_cmp_ne_u16_sdwa s[4:5], v9, s42 src0_sel:BYTE_0 src1_sel:DWORD
	v_mov_b32_e32 v10, 0x8000
	s_and_saveexec_b64 s[36:37], s[4:5]
	s_cbranch_execz .LBB268_254
; %bb.251:                              ;   in Loop: Header=BB268_9 Depth=1
	v_and_b32_e32 v1, 0x7f, v9
	v_cmp_ne_u32_e64 s[4:5], s43, v1
	v_mov_b32_e32 v10, 0x7c01
	s_and_saveexec_b64 s[38:39], s[4:5]
	s_cbranch_execz .LBB268_253
; %bb.252:                              ;   in Loop: Header=BB268_9 Depth=1
	v_and_b32_e32 v12, 7, v9
	v_lshrrev_b32_e32 v13, 3, v1
	v_cmp_gt_u32_e64 s[4:5], 8, v1
	v_ffbh_u32_e32 v1, v12
	v_min_u32_e32 v1, 32, v1
	v_subrev_u32_e32 v10, 28, v1
	v_sub_u32_e32 v1, 29, v1
	v_lshlrev_b64 v[10:11], v10, v[9:10]
	v_cndmask_b32_e64 v1, v13, v1, s[4:5]
	v_mov_b32_e32 v13, 0x2000
	v_lshl_add_u32 v1, v1, 10, v13
	v_lshlrev_b32_e32 v11, 8, v9
	v_and_b32_e32 v10, 7, v10
	v_and_b32_e32 v1, 0xfc00, v1
	v_cndmask_b32_e64 v10, v12, v10, s[4:5]
	v_and_or_b32 v1, v11, s44, v1
	v_lshl_or_b32 v10, v10, 7, v1
.LBB268_253:                            ;   in Loop: Header=BB268_9 Depth=1
	s_or_b64 exec, exec, s[38:39]
.LBB268_254:                            ;   in Loop: Header=BB268_9 Depth=1
	s_or_b64 exec, exec, s[36:37]
.LBB268_255:                            ;   in Loop: Header=BB268_9 Depth=1
	s_or_b64 exec, exec, s[34:35]
	v_lshrrev_b16_e32 v1, 8, v9
	v_cmp_ne_u16_e64 s[4:5], 0, v1
	v_mov_b32_e32 v14, 0
	v_mov_b32_e32 v12, 0
	s_and_saveexec_b64 s[34:35], s[4:5]
	s_cbranch_execz .LBB268_261
; %bb.256:                              ;   in Loop: Header=BB268_9 Depth=1
	v_cmp_ne_u16_e64 s[4:5], s42, v1
	v_bfrev_b32_e32 v12, 1
	s_and_saveexec_b64 s[36:37], s[4:5]
	s_cbranch_execz .LBB268_260
; %bb.257:                              ;   in Loop: Header=BB268_9 Depth=1
	v_and_b32_e32 v11, 0x7f, v1
	v_cmp_ne_u32_e64 s[4:5], s43, v11
	v_mov_b32_e32 v12, 0x7c010000
	s_and_saveexec_b64 s[38:39], s[4:5]
	s_cbranch_execz .LBB268_259
; %bb.258:                              ;   in Loop: Header=BB268_9 Depth=1
	v_and_b32_e32 v13, 7, v1
	v_lshrrev_b32_e32 v16, 3, v11
	v_cmp_gt_u32_e64 s[4:5], 8, v11
	v_ffbh_u32_e32 v11, v13
	v_min_u32_e32 v17, 32, v11
	v_subrev_u32_e32 v11, 28, v17
	v_lshlrev_b64 v[11:12], v11, v[1:2]
	v_sub_u32_e32 v12, 29, v17
	v_cndmask_b32_e64 v12, v16, v12, s[4:5]
	v_mov_b32_e32 v16, 0x2000
	v_lshlrev_b32_e32 v1, 8, v1
	v_lshl_add_u32 v12, v12, 10, v16
	v_and_b32_e32 v11, 7, v11
	v_and_or_b32 v1, v1, s44, v12
	v_cndmask_b32_e64 v11, v13, v11, s[4:5]
	v_lshlrev_b32_e32 v1, 16, v1
	v_lshl_or_b32 v12, v11, 23, v1
.LBB268_259:                            ;   in Loop: Header=BB268_9 Depth=1
	s_or_b64 exec, exec, s[38:39]
.LBB268_260:                            ;   in Loop: Header=BB268_9 Depth=1
	s_or_b64 exec, exec, s[36:37]
.LBB268_261:                            ;   in Loop: Header=BB268_9 Depth=1
	s_or_b64 exec, exec, s[34:35]
	v_lshrrev_b32_e32 v1, 16, v9
	v_cmp_ne_u16_sdwa s[4:5], v1, v2 src0_sel:BYTE_0 src1_sel:DWORD
	s_and_saveexec_b64 s[34:35], s[4:5]
	s_cbranch_execz .LBB268_267
; %bb.262:                              ;   in Loop: Header=BB268_9 Depth=1
	v_cmp_ne_u16_sdwa s[4:5], v1, s42 src0_sel:BYTE_0 src1_sel:DWORD
	v_mov_b32_e32 v14, 0x8000
	s_and_saveexec_b64 s[36:37], s[4:5]
	s_cbranch_execz .LBB268_266
; %bb.263:                              ;   in Loop: Header=BB268_9 Depth=1
	v_bfe_u32 v11, v9, 16, 7
	v_cmp_ne_u32_e64 s[4:5], s43, v11
	v_mov_b32_e32 v14, 0x7c01
	s_and_saveexec_b64 s[38:39], s[4:5]
	s_cbranch_execz .LBB268_265
; %bb.264:                              ;   in Loop: Header=BB268_9 Depth=1
	v_and_b32_e32 v16, 7, v1
	v_lshrrev_b32_e32 v17, 3, v11
	v_cmp_gt_u32_e64 s[4:5], 8, v11
	v_ffbh_u32_e32 v11, v16
	v_min_u32_e32 v11, 32, v11
	v_subrev_u32_e32 v13, 28, v11
	v_lshlrev_b64 v[13:14], v13, v[1:2]
	v_sub_u32_e32 v11, 29, v11
	v_cndmask_b32_e64 v11, v17, v11, s[4:5]
	v_mov_b32_e32 v14, 0x2000
	v_lshl_add_u32 v11, v11, 10, v14
	v_lshlrev_b32_e32 v1, 8, v1
	v_and_b32_e32 v13, 7, v13
	v_and_b32_e32 v11, 0xfc00, v11
	v_cndmask_b32_e64 v13, v16, v13, s[4:5]
	v_and_or_b32 v1, v1, s44, v11
	v_lshl_or_b32 v14, v13, 7, v1
.LBB268_265:                            ;   in Loop: Header=BB268_9 Depth=1
	s_or_b64 exec, exec, s[38:39]
.LBB268_266:                            ;   in Loop: Header=BB268_9 Depth=1
	s_or_b64 exec, exec, s[36:37]
.LBB268_267:                            ;   in Loop: Header=BB268_9 Depth=1
	s_or_b64 exec, exec, s[34:35]
	v_cmp_lt_u32_e64 s[4:5], s45, v9
	v_mov_b32_e32 v58, 0
	v_mov_b32_e32 v62, 0
	s_and_saveexec_b64 s[34:35], s[4:5]
	s_cbranch_execz .LBB268_273
; %bb.268:                              ;   in Loop: Header=BB268_9 Depth=1
	v_lshrrev_b32_e32 v1, 24, v9
	v_cmp_ne_u32_e64 s[4:5], s42, v1
	v_bfrev_b32_e32 v62, 1
	s_and_saveexec_b64 s[36:37], s[4:5]
	s_cbranch_execz .LBB268_272
; %bb.269:                              ;   in Loop: Header=BB268_9 Depth=1
	v_and_b32_e32 v9, 0x7f, v1
	v_cmp_ne_u32_e64 s[4:5], s43, v9
	v_mov_b32_e32 v62, 0x7c010000
	s_and_saveexec_b64 s[38:39], s[4:5]
	s_cbranch_execz .LBB268_271
; %bb.270:                              ;   in Loop: Header=BB268_9 Depth=1
	v_and_b32_e32 v11, 7, v1
	v_lshrrev_b32_e32 v13, 3, v9
	v_cmp_gt_u32_e64 s[4:5], 8, v9
	v_ffbh_u32_e32 v9, v11
	v_min_u32_e32 v9, 32, v9
	v_subrev_u32_e32 v16, 28, v9
	v_sub_u32_e32 v9, 29, v9
	v_lshlrev_b64 v[17:18], v16, v[1:2]
	v_cndmask_b32_e64 v9, v13, v9, s[4:5]
	v_mov_b32_e32 v13, 0x2000
	v_lshlrev_b32_e32 v1, 8, v1
	v_lshl_add_u32 v9, v9, 10, v13
	v_and_b32_e32 v13, 7, v17
	v_and_or_b32 v1, v1, s44, v9
	v_cndmask_b32_e64 v11, v11, v13, s[4:5]
	v_lshlrev_b32_e32 v1, 16, v1
	v_lshl_or_b32 v62, v11, 23, v1
.LBB268_271:                            ;   in Loop: Header=BB268_9 Depth=1
	s_or_b64 exec, exec, s[38:39]
.LBB268_272:                            ;   in Loop: Header=BB268_9 Depth=1
	s_or_b64 exec, exec, s[36:37]
.LBB268_273:                            ;   in Loop: Header=BB268_9 Depth=1
	s_or_b64 exec, exec, s[34:35]
	global_load_dword v9, v[7:8], off offset:2568
	s_waitcnt vmcnt(0)
	v_cmp_ne_u16_sdwa s[4:5], v9, v2 src0_sel:BYTE_0 src1_sel:DWORD
	s_and_saveexec_b64 s[34:35], s[4:5]
	s_cbranch_execz .LBB268_279
; %bb.274:                              ;   in Loop: Header=BB268_9 Depth=1
	v_cmp_ne_u16_sdwa s[4:5], v9, s42 src0_sel:BYTE_0 src1_sel:DWORD
	v_mov_b32_e32 v58, 0x8000
	s_and_saveexec_b64 s[36:37], s[4:5]
	s_cbranch_execz .LBB268_278
; %bb.275:                              ;   in Loop: Header=BB268_9 Depth=1
	v_and_b32_e32 v1, 0x7f, v9
	v_cmp_ne_u32_e64 s[4:5], s43, v1
	v_mov_b32_e32 v58, 0x7c01
	s_and_saveexec_b64 s[38:39], s[4:5]
	s_cbranch_execz .LBB268_277
; %bb.276:                              ;   in Loop: Header=BB268_9 Depth=1
	v_and_b32_e32 v11, 7, v9
	v_lshrrev_b32_e32 v13, 3, v1
	v_cmp_gt_u32_e64 s[4:5], 8, v1
	v_ffbh_u32_e32 v1, v11
	v_min_u32_e32 v1, 32, v1
	v_subrev_u32_e32 v16, 28, v1
	v_sub_u32_e32 v1, 29, v1
	v_lshlrev_b64 v[17:18], v16, v[9:10]
	v_cndmask_b32_e64 v1, v13, v1, s[4:5]
	v_mov_b32_e32 v16, 0x2000
	v_lshl_add_u32 v1, v1, 10, v16
	v_lshlrev_b32_e32 v13, 8, v9
	v_and_b32_e32 v16, 7, v17
	v_and_b32_e32 v1, 0xfc00, v1
	v_cndmask_b32_e64 v11, v11, v16, s[4:5]
	v_and_or_b32 v1, v13, s44, v1
	v_lshl_or_b32 v58, v11, 7, v1
.LBB268_277:                            ;   in Loop: Header=BB268_9 Depth=1
	s_or_b64 exec, exec, s[38:39]
.LBB268_278:                            ;   in Loop: Header=BB268_9 Depth=1
	s_or_b64 exec, exec, s[36:37]
.LBB268_279:                            ;   in Loop: Header=BB268_9 Depth=1
	s_or_b64 exec, exec, s[34:35]
	v_lshrrev_b16_e32 v1, 8, v9
	v_cmp_ne_u16_e64 s[4:5], 0, v1
	v_mov_b32_e32 v59, 0
	v_mov_b32_e32 v60, 0
	s_and_saveexec_b64 s[34:35], s[4:5]
	s_cbranch_execz .LBB268_285
; %bb.280:                              ;   in Loop: Header=BB268_9 Depth=1
	v_cmp_ne_u16_e64 s[4:5], s42, v1
	v_bfrev_b32_e32 v60, 1
	s_and_saveexec_b64 s[36:37], s[4:5]
	s_cbranch_execz .LBB268_284
; %bb.281:                              ;   in Loop: Header=BB268_9 Depth=1
	v_and_b32_e32 v11, 0x7f, v1
	v_cmp_ne_u32_e64 s[4:5], s43, v11
	v_mov_b32_e32 v60, 0x7c010000
	s_and_saveexec_b64 s[38:39], s[4:5]
	s_cbranch_execz .LBB268_283
; %bb.282:                              ;   in Loop: Header=BB268_9 Depth=1
	v_and_b32_e32 v13, 7, v1
	v_lshrrev_b32_e32 v16, 3, v11
	v_cmp_gt_u32_e64 s[4:5], 8, v11
	v_ffbh_u32_e32 v11, v13
	v_min_u32_e32 v11, 32, v11
	v_subrev_u32_e32 v17, 28, v11
	v_sub_u32_e32 v11, 29, v11
	v_lshlrev_b64 v[17:18], v17, v[1:2]
	v_cndmask_b32_e64 v11, v16, v11, s[4:5]
	v_mov_b32_e32 v16, 0x2000
	v_lshlrev_b32_e32 v1, 8, v1
	v_lshl_add_u32 v11, v11, 10, v16
	v_and_b32_e32 v16, 7, v17
	v_and_or_b32 v1, v1, s44, v11
	v_cndmask_b32_e64 v13, v13, v16, s[4:5]
	v_lshlrev_b32_e32 v1, 16, v1
	v_lshl_or_b32 v60, v13, 23, v1
.LBB268_283:                            ;   in Loop: Header=BB268_9 Depth=1
	s_or_b64 exec, exec, s[38:39]
.LBB268_284:                            ;   in Loop: Header=BB268_9 Depth=1
	s_or_b64 exec, exec, s[36:37]
.LBB268_285:                            ;   in Loop: Header=BB268_9 Depth=1
	s_or_b64 exec, exec, s[34:35]
	v_lshrrev_b32_e32 v1, 16, v9
	v_cmp_ne_u16_sdwa s[4:5], v1, v2 src0_sel:BYTE_0 src1_sel:DWORD
	s_and_saveexec_b64 s[34:35], s[4:5]
	s_cbranch_execz .LBB268_291
; %bb.286:                              ;   in Loop: Header=BB268_9 Depth=1
	v_cmp_ne_u16_sdwa s[4:5], v1, s42 src0_sel:BYTE_0 src1_sel:DWORD
	v_mov_b32_e32 v59, 0x8000
	s_and_saveexec_b64 s[36:37], s[4:5]
	s_cbranch_execz .LBB268_290
; %bb.287:                              ;   in Loop: Header=BB268_9 Depth=1
	v_bfe_u32 v11, v9, 16, 7
	v_cmp_ne_u32_e64 s[4:5], s43, v11
	v_mov_b32_e32 v59, 0x7c01
	s_and_saveexec_b64 s[38:39], s[4:5]
	s_cbranch_execz .LBB268_289
; %bb.288:                              ;   in Loop: Header=BB268_9 Depth=1
	v_and_b32_e32 v13, 7, v1
	v_lshrrev_b32_e32 v16, 3, v11
	v_cmp_gt_u32_e64 s[4:5], 8, v11
	v_ffbh_u32_e32 v11, v13
	v_min_u32_e32 v11, 32, v11
	v_subrev_u32_e32 v17, 28, v11
	v_sub_u32_e32 v11, 29, v11
	v_lshlrev_b64 v[17:18], v17, v[1:2]
	v_cndmask_b32_e64 v11, v16, v11, s[4:5]
	v_mov_b32_e32 v16, 0x2000
	v_lshl_add_u32 v11, v11, 10, v16
	v_lshlrev_b32_e32 v1, 8, v1
	v_and_b32_e32 v16, 7, v17
	v_and_b32_e32 v11, 0xfc00, v11
	v_cndmask_b32_e64 v13, v13, v16, s[4:5]
	v_and_or_b32 v1, v1, s44, v11
	v_lshl_or_b32 v59, v13, 7, v1
.LBB268_289:                            ;   in Loop: Header=BB268_9 Depth=1
	s_or_b64 exec, exec, s[38:39]
.LBB268_290:                            ;   in Loop: Header=BB268_9 Depth=1
	s_or_b64 exec, exec, s[36:37]
.LBB268_291:                            ;   in Loop: Header=BB268_9 Depth=1
	s_or_b64 exec, exec, s[34:35]
	v_cmp_lt_u32_e64 s[4:5], s45, v9
	v_mov_b32_e32 v61, 0
	v_mov_b32_e32 v63, 0
	s_and_saveexec_b64 s[34:35], s[4:5]
	s_cbranch_execz .LBB268_297
; %bb.292:                              ;   in Loop: Header=BB268_9 Depth=1
	v_lshrrev_b32_e32 v1, 24, v9
	v_cmp_ne_u32_e64 s[4:5], s42, v1
	v_bfrev_b32_e32 v63, 1
	s_and_saveexec_b64 s[36:37], s[4:5]
	s_cbranch_execz .LBB268_296
; %bb.293:                              ;   in Loop: Header=BB268_9 Depth=1
	v_and_b32_e32 v9, 0x7f, v1
	v_cmp_ne_u32_e64 s[4:5], s43, v9
	v_mov_b32_e32 v63, 0x7c010000
	s_and_saveexec_b64 s[38:39], s[4:5]
	s_cbranch_execz .LBB268_295
; %bb.294:                              ;   in Loop: Header=BB268_9 Depth=1
	v_and_b32_e32 v11, 7, v1
	v_lshrrev_b32_e32 v13, 3, v9
	v_cmp_gt_u32_e64 s[4:5], 8, v9
	v_ffbh_u32_e32 v9, v11
	v_min_u32_e32 v9, 32, v9
	v_subrev_u32_e32 v16, 28, v9
	v_sub_u32_e32 v9, 29, v9
	v_lshlrev_b64 v[17:18], v16, v[1:2]
	v_cndmask_b32_e64 v9, v13, v9, s[4:5]
	v_mov_b32_e32 v13, 0x2000
	v_lshlrev_b32_e32 v1, 8, v1
	v_lshl_add_u32 v9, v9, 10, v13
	v_and_b32_e32 v13, 7, v17
	v_and_or_b32 v1, v1, s44, v9
	v_cndmask_b32_e64 v11, v11, v13, s[4:5]
	v_lshlrev_b32_e32 v1, 16, v1
	v_lshl_or_b32 v63, v11, 23, v1
.LBB268_295:                            ;   in Loop: Header=BB268_9 Depth=1
	s_or_b64 exec, exec, s[38:39]
.LBB268_296:                            ;   in Loop: Header=BB268_9 Depth=1
	s_or_b64 exec, exec, s[36:37]
.LBB268_297:                            ;   in Loop: Header=BB268_9 Depth=1
	s_or_b64 exec, exec, s[34:35]
	global_load_dword v9, v[7:8], off offset:3072
	s_waitcnt vmcnt(0)
	v_cmp_ne_u16_sdwa s[4:5], v9, v2 src0_sel:BYTE_0 src1_sel:DWORD
	s_and_saveexec_b64 s[34:35], s[4:5]
	s_cbranch_execz .LBB268_303
; %bb.298:                              ;   in Loop: Header=BB268_9 Depth=1
	v_cmp_ne_u16_sdwa s[4:5], v9, s42 src0_sel:BYTE_0 src1_sel:DWORD
	v_mov_b32_e32 v61, 0x8000
	s_and_saveexec_b64 s[36:37], s[4:5]
	s_cbranch_execz .LBB268_302
; %bb.299:                              ;   in Loop: Header=BB268_9 Depth=1
	v_and_b32_e32 v1, 0x7f, v9
	v_cmp_ne_u32_e64 s[4:5], s43, v1
	v_mov_b32_e32 v61, 0x7c01
	s_and_saveexec_b64 s[38:39], s[4:5]
	s_cbranch_execz .LBB268_301
; %bb.300:                              ;   in Loop: Header=BB268_9 Depth=1
	v_and_b32_e32 v11, 7, v9
	v_lshrrev_b32_e32 v13, 3, v1
	v_cmp_gt_u32_e64 s[4:5], 8, v1
	v_ffbh_u32_e32 v1, v11
	v_min_u32_e32 v1, 32, v1
	v_subrev_u32_e32 v16, 28, v1
	v_sub_u32_e32 v1, 29, v1
	v_lshlrev_b64 v[17:18], v16, v[9:10]
	v_cndmask_b32_e64 v1, v13, v1, s[4:5]
	v_mov_b32_e32 v16, 0x2000
	v_lshl_add_u32 v1, v1, 10, v16
	v_lshlrev_b32_e32 v13, 8, v9
	v_and_b32_e32 v16, 7, v17
	v_and_b32_e32 v1, 0xfc00, v1
	v_cndmask_b32_e64 v11, v11, v16, s[4:5]
	v_and_or_b32 v1, v13, s44, v1
	v_lshl_or_b32 v61, v11, 7, v1
.LBB268_301:                            ;   in Loop: Header=BB268_9 Depth=1
	s_or_b64 exec, exec, s[38:39]
.LBB268_302:                            ;   in Loop: Header=BB268_9 Depth=1
	s_or_b64 exec, exec, s[36:37]
.LBB268_303:                            ;   in Loop: Header=BB268_9 Depth=1
	s_or_b64 exec, exec, s[34:35]
	v_lshrrev_b16_e32 v1, 8, v9
	v_cmp_ne_u16_e64 s[4:5], 0, v1
	v_mov_b32_e32 v18, 0
	v_mov_b32_e32 v13, 0
	s_and_saveexec_b64 s[34:35], s[4:5]
	s_cbranch_execz .LBB268_309
; %bb.304:                              ;   in Loop: Header=BB268_9 Depth=1
	v_cmp_ne_u16_e64 s[4:5], s42, v1
	v_bfrev_b32_e32 v13, 1
	s_and_saveexec_b64 s[36:37], s[4:5]
	s_cbranch_execz .LBB268_308
; %bb.305:                              ;   in Loop: Header=BB268_9 Depth=1
	v_and_b32_e32 v11, 0x7f, v1
	v_cmp_ne_u32_e64 s[4:5], s43, v11
	v_mov_b32_e32 v13, 0x7c010000
	s_and_saveexec_b64 s[38:39], s[4:5]
	s_cbranch_execz .LBB268_307
; %bb.306:                              ;   in Loop: Header=BB268_9 Depth=1
	v_and_b32_e32 v13, 7, v1
	v_lshrrev_b32_e32 v16, 3, v11
	v_cmp_gt_u32_e64 s[4:5], 8, v11
	v_ffbh_u32_e32 v11, v13
	v_min_u32_e32 v11, 32, v11
	v_subrev_u32_e32 v17, 28, v11
	v_sub_u32_e32 v11, 29, v11
	v_lshlrev_b64 v[21:22], v17, v[1:2]
	v_cndmask_b32_e64 v11, v16, v11, s[4:5]
	v_mov_b32_e32 v16, 0x2000
	v_lshlrev_b32_e32 v1, 8, v1
	v_lshl_add_u32 v11, v11, 10, v16
	v_and_b32_e32 v16, 7, v21
	v_and_or_b32 v1, v1, s44, v11
	v_cndmask_b32_e64 v13, v13, v16, s[4:5]
	v_lshlrev_b32_e32 v1, 16, v1
	v_lshl_or_b32 v13, v13, 23, v1
.LBB268_307:                            ;   in Loop: Header=BB268_9 Depth=1
	s_or_b64 exec, exec, s[38:39]
.LBB268_308:                            ;   in Loop: Header=BB268_9 Depth=1
	s_or_b64 exec, exec, s[36:37]
.LBB268_309:                            ;   in Loop: Header=BB268_9 Depth=1
	s_or_b64 exec, exec, s[34:35]
	v_lshrrev_b32_e32 v1, 16, v9
	v_cmp_ne_u16_sdwa s[4:5], v1, v2 src0_sel:BYTE_0 src1_sel:DWORD
	s_and_saveexec_b64 s[34:35], s[4:5]
	s_cbranch_execz .LBB268_315
; %bb.310:                              ;   in Loop: Header=BB268_9 Depth=1
	v_cmp_ne_u16_sdwa s[4:5], v1, s42 src0_sel:BYTE_0 src1_sel:DWORD
	v_mov_b32_e32 v18, 0x8000
	s_and_saveexec_b64 s[36:37], s[4:5]
	s_cbranch_execz .LBB268_314
; %bb.311:                              ;   in Loop: Header=BB268_9 Depth=1
	v_bfe_u32 v11, v9, 16, 7
	v_cmp_ne_u32_e64 s[4:5], s43, v11
	v_mov_b32_e32 v18, 0x7c01
	s_and_saveexec_b64 s[38:39], s[4:5]
	s_cbranch_execz .LBB268_313
; %bb.312:                              ;   in Loop: Header=BB268_9 Depth=1
	v_and_b32_e32 v16, 7, v1
	v_lshrrev_b32_e32 v21, 3, v11
	v_cmp_gt_u32_e64 s[4:5], 8, v11
	v_ffbh_u32_e32 v11, v16
	v_min_u32_e32 v11, 32, v11
	v_subrev_u32_e32 v17, 28, v11
	v_lshlrev_b64 v[17:18], v17, v[1:2]
	v_sub_u32_e32 v11, 29, v11
	v_cndmask_b32_e64 v11, v21, v11, s[4:5]
	v_mov_b32_e32 v18, 0x2000
	v_lshl_add_u32 v11, v11, 10, v18
	v_lshlrev_b32_e32 v1, 8, v1
	v_and_b32_e32 v17, 7, v17
	v_and_b32_e32 v11, 0xfc00, v11
	v_cndmask_b32_e64 v16, v16, v17, s[4:5]
	v_and_or_b32 v1, v1, s44, v11
	v_lshl_or_b32 v18, v16, 7, v1
.LBB268_313:                            ;   in Loop: Header=BB268_9 Depth=1
	s_or_b64 exec, exec, s[38:39]
.LBB268_314:                            ;   in Loop: Header=BB268_9 Depth=1
	s_or_b64 exec, exec, s[36:37]
.LBB268_315:                            ;   in Loop: Header=BB268_9 Depth=1
	s_or_b64 exec, exec, s[34:35]
	v_cmp_lt_u32_e64 s[4:5], s45, v9
	v_mov_b32_e32 v21, 0
	v_mov_b32_e32 v22, 0
	s_and_saveexec_b64 s[34:35], s[4:5]
	s_cbranch_execz .LBB268_321
; %bb.316:                              ;   in Loop: Header=BB268_9 Depth=1
	v_lshrrev_b32_e32 v1, 24, v9
	v_cmp_ne_u32_e64 s[4:5], s42, v1
	v_bfrev_b32_e32 v22, 1
	s_and_saveexec_b64 s[36:37], s[4:5]
	s_cbranch_execz .LBB268_320
; %bb.317:                              ;   in Loop: Header=BB268_9 Depth=1
	v_and_b32_e32 v9, 0x7f, v1
	v_cmp_ne_u32_e64 s[4:5], s43, v9
	v_mov_b32_e32 v22, 0x7c010000
	s_and_saveexec_b64 s[38:39], s[4:5]
	s_cbranch_execz .LBB268_319
; %bb.318:                              ;   in Loop: Header=BB268_9 Depth=1
	v_and_b32_e32 v11, 7, v1
	v_lshrrev_b32_e32 v16, 3, v9
	v_cmp_gt_u32_e64 s[4:5], 8, v9
	v_ffbh_u32_e32 v9, v11
	v_min_u32_e32 v9, 32, v9
	v_subrev_u32_e32 v17, 28, v9
	v_sub_u32_e32 v9, 29, v9
	v_lshlrev_b64 v[22:23], v17, v[1:2]
	v_cndmask_b32_e64 v9, v16, v9, s[4:5]
	v_mov_b32_e32 v16, 0x2000
	v_lshlrev_b32_e32 v1, 8, v1
	v_lshl_add_u32 v9, v9, 10, v16
	v_and_b32_e32 v16, 7, v22
	v_and_or_b32 v1, v1, s44, v9
	v_cndmask_b32_e64 v11, v11, v16, s[4:5]
	v_lshlrev_b32_e32 v1, 16, v1
	v_lshl_or_b32 v22, v11, 23, v1
.LBB268_319:                            ;   in Loop: Header=BB268_9 Depth=1
	s_or_b64 exec, exec, s[38:39]
.LBB268_320:                            ;   in Loop: Header=BB268_9 Depth=1
	s_or_b64 exec, exec, s[36:37]
.LBB268_321:                            ;   in Loop: Header=BB268_9 Depth=1
	s_or_b64 exec, exec, s[34:35]
	global_load_dword v7, v[7:8], off offset:3080
	s_waitcnt vmcnt(0)
	v_cmp_ne_u16_sdwa s[4:5], v7, v2 src0_sel:BYTE_0 src1_sel:DWORD
	s_and_saveexec_b64 s[34:35], s[4:5]
	s_cbranch_execz .LBB268_327
; %bb.322:                              ;   in Loop: Header=BB268_9 Depth=1
	v_cmp_ne_u16_sdwa s[4:5], v7, s42 src0_sel:BYTE_0 src1_sel:DWORD
	v_mov_b32_e32 v21, 0x8000
	s_and_saveexec_b64 s[36:37], s[4:5]
	s_cbranch_execz .LBB268_326
; %bb.323:                              ;   in Loop: Header=BB268_9 Depth=1
	v_and_b32_e32 v1, 0x7f, v7
	v_cmp_ne_u32_e64 s[4:5], s43, v1
	v_mov_b32_e32 v21, 0x7c01
	s_and_saveexec_b64 s[38:39], s[4:5]
	s_cbranch_execz .LBB268_325
; %bb.324:                              ;   in Loop: Header=BB268_9 Depth=1
	v_and_b32_e32 v11, 7, v7
	v_lshrrev_b32_e32 v16, 3, v1
	v_cmp_gt_u32_e64 s[4:5], 8, v1
	v_ffbh_u32_e32 v1, v11
	v_min_u32_e32 v1, 32, v1
	v_subrev_u32_e32 v8, 28, v1
	v_sub_u32_e32 v1, 29, v1
	v_lshlrev_b64 v[8:9], v8, v[7:8]
	v_cndmask_b32_e64 v1, v16, v1, s[4:5]
	v_mov_b32_e32 v16, 0x2000
	v_lshl_add_u32 v1, v1, 10, v16
	v_lshlrev_b32_e32 v9, 8, v7
	v_and_b32_e32 v8, 7, v8
	v_and_b32_e32 v1, 0xfc00, v1
	v_cndmask_b32_e64 v8, v11, v8, s[4:5]
	v_and_or_b32 v1, v9, s44, v1
	v_lshl_or_b32 v21, v8, 7, v1
.LBB268_325:                            ;   in Loop: Header=BB268_9 Depth=1
	s_or_b64 exec, exec, s[38:39]
.LBB268_326:                            ;   in Loop: Header=BB268_9 Depth=1
	s_or_b64 exec, exec, s[36:37]
.LBB268_327:                            ;   in Loop: Header=BB268_9 Depth=1
	s_or_b64 exec, exec, s[34:35]
	v_lshrrev_b16_e32 v1, 8, v7
	v_cmp_ne_u16_e64 s[4:5], 0, v1
	v_mov_b32_e32 v11, 0
	v_mov_b32_e32 v23, 0
	s_and_saveexec_b64 s[34:35], s[4:5]
	s_cbranch_execz .LBB268_333
; %bb.328:                              ;   in Loop: Header=BB268_9 Depth=1
	v_cmp_ne_u16_e64 s[4:5], s42, v1
	v_bfrev_b32_e32 v23, 1
	s_and_saveexec_b64 s[36:37], s[4:5]
	s_cbranch_execz .LBB268_332
; %bb.329:                              ;   in Loop: Header=BB268_9 Depth=1
	v_and_b32_e32 v8, 0x7f, v1
	v_cmp_ne_u32_e64 s[4:5], s43, v8
	v_mov_b32_e32 v23, 0x7c010000
	s_and_saveexec_b64 s[38:39], s[4:5]
	s_cbranch_execz .LBB268_331
; %bb.330:                              ;   in Loop: Header=BB268_9 Depth=1
	v_and_b32_e32 v16, 7, v1
	v_lshrrev_b32_e32 v17, 3, v8
	v_cmp_gt_u32_e64 s[4:5], 8, v8
	v_ffbh_u32_e32 v8, v16
	v_min_u32_e32 v23, 32, v8
	v_subrev_u32_e32 v8, 28, v23
	v_lshlrev_b64 v[8:9], v8, v[1:2]
	v_sub_u32_e32 v9, 29, v23
	v_cndmask_b32_e64 v9, v17, v9, s[4:5]
	v_mov_b32_e32 v17, 0x2000
	v_lshlrev_b32_e32 v1, 8, v1
	v_lshl_add_u32 v9, v9, 10, v17
	v_and_b32_e32 v8, 7, v8
	v_and_or_b32 v1, v1, s44, v9
	v_cndmask_b32_e64 v8, v16, v8, s[4:5]
	v_lshlrev_b32_e32 v1, 16, v1
	v_lshl_or_b32 v23, v8, 23, v1
.LBB268_331:                            ;   in Loop: Header=BB268_9 Depth=1
	s_or_b64 exec, exec, s[38:39]
.LBB268_332:                            ;   in Loop: Header=BB268_9 Depth=1
	s_or_b64 exec, exec, s[36:37]
.LBB268_333:                            ;   in Loop: Header=BB268_9 Depth=1
	s_or_b64 exec, exec, s[34:35]
	v_lshrrev_b32_e32 v1, 16, v7
	v_cmp_ne_u16_sdwa s[4:5], v1, v2 src0_sel:BYTE_0 src1_sel:DWORD
	s_and_saveexec_b64 s[34:35], s[4:5]
	s_cbranch_execz .LBB268_339
; %bb.334:                              ;   in Loop: Header=BB268_9 Depth=1
	v_cmp_ne_u16_sdwa s[4:5], v1, s42 src0_sel:BYTE_0 src1_sel:DWORD
	v_mov_b32_e32 v11, 0x8000
	s_and_saveexec_b64 s[36:37], s[4:5]
	s_cbranch_execz .LBB268_338
; %bb.335:                              ;   in Loop: Header=BB268_9 Depth=1
	v_bfe_u32 v8, v7, 16, 7
	v_cmp_ne_u32_e64 s[4:5], s43, v8
	v_mov_b32_e32 v11, 0x7c01
	s_and_saveexec_b64 s[38:39], s[4:5]
	s_cbranch_execz .LBB268_337
; %bb.336:                              ;   in Loop: Header=BB268_9 Depth=1
	v_and_b32_e32 v11, 7, v1
	v_lshrrev_b32_e32 v16, 3, v8
	v_cmp_gt_u32_e64 s[4:5], 8, v8
	v_ffbh_u32_e32 v8, v11
	v_min_u32_e32 v17, 32, v8
	v_subrev_u32_e32 v8, 28, v17
	v_lshlrev_b64 v[8:9], v8, v[1:2]
	v_sub_u32_e32 v9, 29, v17
	v_cndmask_b32_e64 v9, v16, v9, s[4:5]
	v_mov_b32_e32 v16, 0x2000
	v_lshl_add_u32 v9, v9, 10, v16
	v_lshlrev_b32_e32 v1, 8, v1
	v_and_b32_e32 v8, 7, v8
	v_and_b32_e32 v9, 0xfc00, v9
	v_cndmask_b32_e64 v8, v11, v8, s[4:5]
	v_and_or_b32 v1, v1, s44, v9
	v_lshl_or_b32 v11, v8, 7, v1
.LBB268_337:                            ;   in Loop: Header=BB268_9 Depth=1
	s_or_b64 exec, exec, s[38:39]
.LBB268_338:                            ;   in Loop: Header=BB268_9 Depth=1
	s_or_b64 exec, exec, s[36:37]
.LBB268_339:                            ;   in Loop: Header=BB268_9 Depth=1
	s_or_b64 exec, exec, s[34:35]
	v_cmp_lt_u32_e64 s[4:5], s45, v7
	v_mov_b32_e32 v17, 0
	s_and_saveexec_b64 s[34:35], s[4:5]
	s_cbranch_execz .LBB268_345
; %bb.340:                              ;   in Loop: Header=BB268_9 Depth=1
	v_lshrrev_b32_e32 v1, 24, v7
	v_cmp_ne_u32_e64 s[4:5], s42, v1
	v_bfrev_b32_e32 v17, 1
	s_and_saveexec_b64 s[36:37], s[4:5]
	s_cbranch_execz .LBB268_344
; %bb.341:                              ;   in Loop: Header=BB268_9 Depth=1
	v_and_b32_e32 v7, 0x7f, v1
	v_cmp_ne_u32_e64 s[4:5], s43, v7
	v_mov_b32_e32 v17, 0x7c010000
	s_and_saveexec_b64 s[38:39], s[4:5]
	s_cbranch_execz .LBB268_343
; %bb.342:                              ;   in Loop: Header=BB268_9 Depth=1
	v_and_b32_e32 v9, 7, v1
	v_lshrrev_b32_e32 v16, 3, v7
	v_cmp_gt_u32_e64 s[4:5], 8, v7
	v_ffbh_u32_e32 v7, v9
	v_min_u32_e32 v17, 32, v7
	v_subrev_u32_e32 v7, 28, v17
	v_lshlrev_b64 v[7:8], v7, v[1:2]
	v_sub_u32_e32 v8, 29, v17
	v_cndmask_b32_e64 v8, v16, v8, s[4:5]
	v_mov_b32_e32 v16, 0x2000
	v_lshlrev_b32_e32 v1, 8, v1
	v_lshl_add_u32 v8, v8, 10, v16
	v_and_b32_e32 v7, 7, v7
	v_and_or_b32 v1, v1, s44, v8
	v_cndmask_b32_e64 v7, v9, v7, s[4:5]
	v_lshlrev_b32_e32 v1, 16, v1
	v_lshl_or_b32 v17, v7, 23, v1
.LBB268_343:                            ;   in Loop: Header=BB268_9 Depth=1
	s_or_b64 exec, exec, s[38:39]
.LBB268_344:                            ;   in Loop: Header=BB268_9 Depth=1
	s_or_b64 exec, exec, s[36:37]
.LBB268_345:                            ;   in Loop: Header=BB268_9 Depth=1
	s_or_b64 exec, exec, s[34:35]
	v_or_b32_e32 v1, v13, v61
	v_fma_mixlo_f16 v7, v20, v13, 0 op_sel:[0,1,0] op_sel_hi:[0,1,0]
	v_or_b32_e32 v13, v60, v58
	v_fma_mixlo_f16 v61, v20, v13, 0 op_sel_hi:[0,1,0]
	v_or_b32_e32 v13, v63, v59
	v_fma_mixlo_f16 v59, v20, v13, 0 op_sel_hi:[0,1,0]
	v_or_b32_e32 v13, v62, v14
	v_or_b32_e32 v3, v0, v3
	v_fma_mixlo_f16 v9, v20, v0, 0 op_sel:[0,1,0] op_sel_hi:[0,1,0]
	v_or_b32_e32 v0, v55, v19
	v_fma_mixlo_f16 v58, v20, v63, 0 op_sel:[0,1,0] op_sel_hi:[0,1,0]
	v_fma_mixlo_f16 v63, v20, v13, 0 op_sel_hi:[0,1,0]
	v_or_b32_e32 v13, v4, v57
	v_fma_mixlo_f16 v57, v20, v4, 0 op_sel:[0,1,0] op_sel_hi:[0,1,0]
	v_fma_mixlo_f16 v4, v20, v0, 0 op_sel_hi:[0,1,0]
	buffer_load_dword v0, off, s[48:51], 0 offset:4 ; 4-byte Folded Reload
	v_or_b32_e32 v16, v27, v25
	v_fma_mixlo_f16 v1, v20, v1, 0 op_sel_hi:[0,1,0]
	v_fma_mixlo_f16 v25, v20, v16, 0 op_sel_hi:[0,1,0]
	v_or_b32_e32 v16, v28, v26
	buffer_store_dword v1, off, s[48:51], 0 offset:32 ; 4-byte Folded Spill
	v_or_b32_e32 v1, v22, v18
	v_fma_mixlo_f16 v26, v20, v16, 0 op_sel_hi:[0,1,0]
	v_fma_mixlo_f16 v18, v20, v28, 0 op_sel:[0,1,0] op_sel_hi:[0,1,0]
	v_fma_mixlo_f16 v14, v20, v13, 0 op_sel_hi:[0,1,0]
	v_or_b32_e32 v13, v56, v49
	buffer_store_dword v7, off, s[48:51], 0 offset:28 ; 4-byte Folded Spill
	v_fma_mixlo_f16 v1, v20, v1, 0 op_sel_hi:[0,1,0]
	v_fma_mixlo_f16 v7, v20, v13, 0 op_sel_hi:[0,1,0]
	v_or_b32_e32 v13, v51, v5
	buffer_store_dword v1, off, s[48:51], 0 offset:24 ; 4-byte Folded Spill
	v_fma_mixlo_f16 v1, v20, v22, 0 op_sel:[0,1,0] op_sel_hi:[0,1,0]
	v_fma_mixlo_f16 v22, v20, v56, 0 op_sel:[0,1,0] op_sel_hi:[0,1,0]
	v_fma_mixlo_f16 v56, v20, v13, 0 op_sel_hi:[0,1,0]
	v_or_b32_e32 v13, v52, v6
	v_fma_mixlo_f16 v8, v20, v3, 0 op_sel_hi:[0,1,0]
	v_fma_mixlo_f16 v3, v20, v13, 0 op_sel_hi:[0,1,0]
	v_or_b32_e32 v13, v47, v53
	v_fma_mixlo_f16 v6, v20, v52, 0 op_sel:[0,1,0] op_sel_hi:[0,1,0]
	v_fma_mixlo_f16 v52, v20, v13, 0 op_sel_hi:[0,1,0]
	v_or_b32_e32 v13, v48, v54
	buffer_store_dword v1, off, s[48:51], 0 offset:20 ; 4-byte Folded Spill
	v_fma_mixlo_f16 v1, v20, v13, 0 op_sel_hi:[0,1,0]
	v_or_b32_e32 v13, v43, v41
	v_fma_mixlo_f16 v54, v20, v48, 0 op_sel:[0,1,0] op_sel_hi:[0,1,0]
	v_fma_mixlo_f16 v48, v20, v13, 0 op_sel_hi:[0,1,0]
	v_or_b32_e32 v13, v44, v42
	v_fma_mixlo_f16 v42, v20, v13, 0 op_sel_hi:[0,1,0]
	v_or_b32_e32 v13, v39, v37
	v_fma_mixlo_f16 v41, v20, v44, 0 op_sel:[0,1,0] op_sel_hi:[0,1,0]
	v_fma_mixlo_f16 v44, v20, v13, 0 op_sel_hi:[0,1,0]
	v_or_b32_e32 v13, v40, v38
	;; [unrolled: 5-line block ×4, first 2 shown]
	v_fma_mixlo_f16 v29, v20, v32, 0 op_sel:[0,1,0] op_sel_hi:[0,1,0]
	v_or_b32_e32 v10, v12, v10
	v_fma_mixlo_f16 v30, v20, v13, 0 op_sel_hi:[0,1,0]
	v_fma_mixlo_f16 v13, v20, v27, 0 op_sel:[0,1,0] op_sel_hi:[0,1,0]
	v_or_b32_e32 v11, v17, v11
	v_fma_mixlo_f16 v60, v20, v60, 0 op_sel:[0,1,0] op_sel_hi:[0,1,0]
	v_fma_mixlo_f16 v12, v20, v12, 0 op_sel:[0,1,0] op_sel_hi:[0,1,0]
	v_fma_mixlo_f16 v10, v20, v10, 0 op_sel_hi:[0,1,0]
	v_fma_mixlo_f16 v62, v20, v62, 0 op_sel:[0,1,0] op_sel_hi:[0,1,0]
	v_fma_mixlo_f16 v55, v20, v55, 0 op_sel:[0,1,0] op_sel_hi:[0,1,0]
	v_fma_mixlo_f16 v51, v20, v51, 0 op_sel:[0,1,0] op_sel_hi:[0,1,0]
	v_fma_mixlo_f16 v47, v20, v47, 0 op_sel:[0,1,0] op_sel_hi:[0,1,0]
	v_fma_mixlo_f16 v43, v20, v43, 0 op_sel:[0,1,0] op_sel_hi:[0,1,0]
	v_fma_mixlo_f16 v39, v20, v39, 0 op_sel:[0,1,0] op_sel_hi:[0,1,0]
	v_fma_mixlo_f16 v35, v20, v35, 0 op_sel:[0,1,0] op_sel_hi:[0,1,0]
	v_fma_mixlo_f16 v31, v20, v31, 0 op_sel:[0,1,0] op_sel_hi:[0,1,0]
	v_and_b32_e32 v13, 0xffff, v13
	v_and_b32_e32 v1, 0xffff, v1
	;; [unrolled: 1-line block ×3, first 2 shown]
	s_waitcnt vmcnt(4)
	v_or_b32_e32 v16, v0, v50
	v_fma_mixlo_f16 v28, v20, v0, 0 op_sel:[0,1,0] op_sel_hi:[0,1,0]
	buffer_load_dword v0, off, s[48:51], 0  ; 4-byte Folded Reload
	v_fma_mixlo_f16 v32, v20, v16, 0 op_sel_hi:[0,1,0]
	v_fma_mixlo_f16 v50, v20, v23, 0 op_sel:[0,1,0] op_sel_hi:[0,1,0]
	s_waitcnt vmcnt(0)
	v_or_b32_e32 v16, v24, v0
	v_fma_mixlo_f16 v27, v20, v16, 0 op_sel_hi:[0,1,0]
	v_or_b32_e32 v16, v23, v21
	v_fma_mixlo_f16 v24, v20, v24, 0 op_sel:[0,1,0] op_sel_hi:[0,1,0]
	v_fma_mixlo_f16 v23, v20, v16, 0 op_sel_hi:[0,1,0]
	v_fma_mixlo_f16 v21, v20, v11, 0 op_sel_hi:[0,1,0]
	v_fma_mixlo_f16 v20, v20, v17, 0 op_sel:[0,1,0] op_sel_hi:[0,1,0]
	ds_read_b64 v[16:17], v15
	v_and_b32_e32 v11, 0xffff, v28
	s_waitcnt lgkmcnt(0)
	v_and_b32_e32 v5, 0xffff, v16
	v_lshrrev_b32_e32 v0, 16, v16
	;;#ASMSTART
	v_cvt_f32_f16 v19, v5;
	;;#ASMEND
	v_and_b32_e32 v5, 0xffff, v32
	;;#ASMSTART
	v_cvt_f32_f16 v0, v0;
	;;#ASMEND
	;;#ASMSTART
	v_cvt_f32_f16 v5, v5;
	;;#ASMEND
	;; [unrolled: 3-line block ×3, first 2 shown]
	v_lshrrev_b32_e32 v16, 16, v17
	v_and_b32_e32 v11, 0xffff, v17
	;;#ASMSTART
	v_cvt_f32_f16 v11, v11;
	;;#ASMEND
	;;#ASMSTART
	v_cvt_f32_f16 v28, v16;
	;;#ASMEND
	v_and_b32_e32 v16, 0xffff, v27
	;;#ASMSTART
	v_cvt_f32_f16 v27, v16;
	;;#ASMEND
	v_and_b32_e32 v16, 0xffff, v24
	;;#ASMSTART
	v_cvt_f32_f16 v32, v16;
	;;#ASMEND
	ds_read_b64 v[16:17], v15 offset:8
	s_waitcnt lgkmcnt(0)
	v_lshrrev_b32_e32 v24, 16, v16
	v_and_b32_e32 v16, 0xffff, v16
	;;#ASMSTART
	v_cvt_f32_f16 v16, v16;
	;;#ASMEND
	;;#ASMSTART
	v_cvt_f32_f16 v53, v24;
	;;#ASMEND
	v_and_b32_e32 v24, 0xffff, v25
	;;#ASMSTART
	v_cvt_f32_f16 v24, v24;
	;;#ASMEND
	;;#ASMSTART
	v_cvt_f32_f16 v13, v13;
	;;#ASMEND
	v_mul_f32_e32 v24, v16, v24
	v_mul_f32_e32 v25, v53, v13
	v_fmac_f32_e32 v24, v19, v5
	v_fmac_f32_e32 v25, v0, v49
	v_lshrrev_b32_e32 v5, 16, v17
	v_and_b32_e32 v0, 0xffff, v17
	;;#ASMSTART
	v_cvt_f32_f16 v0, v0;
	;;#ASMEND
	;;#ASMSTART
	v_cvt_f32_f16 v13, v5;
	;;#ASMEND
	v_and_b32_e32 v5, 0xffff, v26
	v_and_b32_e32 v16, 0xffff, v18
	;;#ASMSTART
	v_cvt_f32_f16 v5, v5;
	;;#ASMEND
	;;#ASMSTART
	v_cvt_f32_f16 v18, v16;
	;;#ASMEND
	ds_read_b64 v[16:17], v15 offset:16
	v_mul_f32_e32 v26, v0, v5
	v_fmac_f32_e32 v26, v11, v27
	v_mul_f32_e32 v27, v13, v18
	v_and_b32_e32 v11, 0xffff, v36
	s_waitcnt lgkmcnt(0)
	v_lshrrev_b32_e32 v5, 16, v16
	v_and_b32_e32 v0, 0xffff, v16
	v_and_b32_e32 v13, 0xffff, v31
	;;#ASMSTART
	v_cvt_f32_f16 v0, v0;
	;;#ASMEND
	;;#ASMSTART
	v_cvt_f32_f16 v5, v5;
	;;#ASMEND
	;; [unrolled: 3-line block ×4, first 2 shown]
	v_fmac_f32_e32 v24, v0, v11
	v_fmac_f32_e32 v25, v5, v13
	v_lshrrev_b32_e32 v5, 16, v17
	v_and_b32_e32 v0, 0xffff, v17
	v_and_b32_e32 v11, 0xffff, v30
	;; [unrolled: 1-line block ×3, first 2 shown]
	;;#ASMSTART
	v_cvt_f32_f16 v0, v0;
	;;#ASMEND
	;;#ASMSTART
	v_cvt_f32_f16 v5, v5;
	;;#ASMEND
	;; [unrolled: 3-line block ×4, first 2 shown]
	ds_read_b64 v[16:17], v15 offset:24
	v_fmac_f32_e32 v27, v28, v32
	v_fmac_f32_e32 v26, v0, v11
	;; [unrolled: 1-line block ×3, first 2 shown]
	v_and_b32_e32 v11, 0xffff, v40
	s_waitcnt lgkmcnt(0)
	v_lshrrev_b32_e32 v5, 16, v16
	v_and_b32_e32 v0, 0xffff, v16
	v_and_b32_e32 v13, 0xffff, v35
	;;#ASMSTART
	v_cvt_f32_f16 v0, v0;
	;;#ASMEND
	;;#ASMSTART
	v_cvt_f32_f16 v5, v5;
	;;#ASMEND
	;;#ASMSTART
	v_cvt_f32_f16 v11, v11;
	;;#ASMEND
	;;#ASMSTART
	v_cvt_f32_f16 v13, v13;
	;;#ASMEND
	v_fmac_f32_e32 v24, v0, v11
	v_fmac_f32_e32 v25, v5, v13
	v_lshrrev_b32_e32 v5, 16, v17
	v_and_b32_e32 v0, 0xffff, v17
	v_and_b32_e32 v11, 0xffff, v34
	v_and_b32_e32 v13, 0xffff, v33
	;;#ASMSTART
	v_cvt_f32_f16 v0, v0;
	;;#ASMEND
	;;#ASMSTART
	v_cvt_f32_f16 v5, v5;
	;;#ASMEND
	;;#ASMSTART
	v_cvt_f32_f16 v11, v11;
	;;#ASMEND
	;;#ASMSTART
	v_cvt_f32_f16 v13, v13;
	;;#ASMEND
	ds_read_b64 v[16:17], v15 offset:32
	v_fmac_f32_e32 v26, v0, v11
	v_fmac_f32_e32 v27, v5, v13
	v_and_b32_e32 v11, 0xffff, v44
	v_and_b32_e32 v13, 0xffff, v39
	s_waitcnt lgkmcnt(0)
	v_lshrrev_b32_e32 v5, 16, v16
	v_and_b32_e32 v0, 0xffff, v16
	;;#ASMSTART
	v_cvt_f32_f16 v0, v0;
	;;#ASMEND
	;;#ASMSTART
	v_cvt_f32_f16 v5, v5;
	;;#ASMEND
	;;#ASMSTART
	v_cvt_f32_f16 v11, v11;
	;;#ASMEND
	;;#ASMSTART
	v_cvt_f32_f16 v13, v13;
	;;#ASMEND
	v_fmac_f32_e32 v24, v0, v11
	v_fmac_f32_e32 v25, v5, v13
	v_lshrrev_b32_e32 v5, 16, v17
	v_and_b32_e32 v0, 0xffff, v17
	v_and_b32_e32 v11, 0xffff, v38
	v_and_b32_e32 v13, 0xffff, v37
	;;#ASMSTART
	v_cvt_f32_f16 v0, v0;
	;;#ASMEND
	;;#ASMSTART
	v_cvt_f32_f16 v5, v5;
	;;#ASMEND
	;;#ASMSTART
	v_cvt_f32_f16 v11, v11;
	;;#ASMEND
	;;#ASMSTART
	v_cvt_f32_f16 v13, v13;
	;;#ASMEND
	ds_read_b64 v[16:17], v15 offset:40
	v_fmac_f32_e32 v26, v0, v11
	v_fmac_f32_e32 v27, v5, v13
	v_and_b32_e32 v11, 0xffff, v48
	v_and_b32_e32 v13, 0xffff, v43
	s_waitcnt lgkmcnt(0)
	v_lshrrev_b32_e32 v5, 16, v16
	;; [unrolled: 38-line block ×3, first 2 shown]
	v_and_b32_e32 v0, 0xffff, v16
	;;#ASMSTART
	v_cvt_f32_f16 v0, v0;
	;;#ASMEND
	;;#ASMSTART
	v_cvt_f32_f16 v5, v5;
	;;#ASMEND
	;; [unrolled: 3-line block ×4, first 2 shown]
	v_fmac_f32_e32 v24, v0, v11
	v_fmac_f32_e32 v25, v5, v13
	v_lshrrev_b32_e32 v5, 16, v17
	v_and_b32_e32 v0, 0xffff, v17
	v_and_b32_e32 v11, 0xffff, v54
	;;#ASMSTART
	v_cvt_f32_f16 v0, v0;
	;;#ASMEND
	;;#ASMSTART
	v_cvt_f32_f16 v5, v5;
	;;#ASMEND
	;; [unrolled: 3-line block ×4, first 2 shown]
	ds_read_b64 v[16:17], v15 offset:56
	v_fmac_f32_e32 v26, v0, v1
	v_fmac_f32_e32 v27, v5, v11
	v_and_b32_e32 v5, 0xffff, v56
	v_and_b32_e32 v11, 0xffff, v51
	s_waitcnt lgkmcnt(0)
	v_lshrrev_b32_e32 v1, 16, v16
	v_and_b32_e32 v0, 0xffff, v16
	;;#ASMSTART
	v_cvt_f32_f16 v0, v0;
	;;#ASMEND
	;;#ASMSTART
	v_cvt_f32_f16 v1, v1;
	;;#ASMEND
	;; [unrolled: 3-line block ×4, first 2 shown]
	v_fmac_f32_e32 v24, v0, v5
	v_fmac_f32_e32 v25, v1, v11
	v_lshrrev_b32_e32 v1, 16, v17
	v_and_b32_e32 v0, 0xffff, v17
	v_and_b32_e32 v5, 0xffff, v6
	;;#ASMSTART
	v_cvt_f32_f16 v0, v0;
	;;#ASMEND
	;;#ASMSTART
	v_cvt_f32_f16 v1, v1;
	;;#ASMEND
	;;#ASMSTART
	v_cvt_f32_f16 v3, v3;
	;;#ASMEND
	;;#ASMSTART
	v_cvt_f32_f16 v5, v5;
	;;#ASMEND
	ds_read_b64 v[16:17], v15 offset:64
	v_fmac_f32_e32 v26, v0, v3
	v_fmac_f32_e32 v27, v1, v5
	v_and_b32_e32 v3, 0xffff, v4
	v_and_b32_e32 v4, 0xffff, v55
	s_waitcnt lgkmcnt(0)
	v_lshrrev_b32_e32 v1, 16, v16
	v_and_b32_e32 v0, 0xffff, v16
	;;#ASMSTART
	v_cvt_f32_f16 v0, v0;
	;;#ASMEND
	;;#ASMSTART
	v_cvt_f32_f16 v1, v1;
	;;#ASMEND
	;; [unrolled: 3-line block ×4, first 2 shown]
	v_fmac_f32_e32 v24, v0, v3
	v_fmac_f32_e32 v25, v1, v4
	v_lshrrev_b32_e32 v1, 16, v17
	v_and_b32_e32 v0, 0xffff, v17
	v_and_b32_e32 v3, 0xffff, v7
	;; [unrolled: 1-line block ×3, first 2 shown]
	;;#ASMSTART
	v_cvt_f32_f16 v0, v0;
	;;#ASMEND
	;;#ASMSTART
	v_cvt_f32_f16 v1, v1;
	;;#ASMEND
	;; [unrolled: 3-line block ×4, first 2 shown]
	ds_read_b64 v[16:17], v15 offset:72
	v_fmac_f32_e32 v26, v0, v3
	v_fmac_f32_e32 v27, v1, v4
	v_and_b32_e32 v3, 0xffff, v14
	v_and_b32_e32 v4, 0xffff, v57
	s_waitcnt lgkmcnt(0)
	v_lshrrev_b32_e32 v1, 16, v16
	v_and_b32_e32 v0, 0xffff, v16
	;;#ASMSTART
	v_cvt_f32_f16 v0, v0;
	;;#ASMEND
	;;#ASMSTART
	v_cvt_f32_f16 v1, v1;
	;;#ASMEND
	;; [unrolled: 3-line block ×4, first 2 shown]
	v_fmac_f32_e32 v24, v0, v3
	v_fmac_f32_e32 v25, v1, v4
	v_lshrrev_b32_e32 v1, 16, v17
	v_and_b32_e32 v0, 0xffff, v17
	v_and_b32_e32 v3, 0xffff, v8
	;; [unrolled: 1-line block ×3, first 2 shown]
	;;#ASMSTART
	v_cvt_f32_f16 v0, v0;
	;;#ASMEND
	;;#ASMSTART
	v_cvt_f32_f16 v1, v1;
	;;#ASMEND
	;; [unrolled: 3-line block ×4, first 2 shown]
	v_fmac_f32_e32 v26, v0, v3
	v_fmac_f32_e32 v27, v1, v4
	ds_read_b64 v[3:4], v15 offset:80
	v_and_b32_e32 v5, 0xffff, v12
	s_waitcnt lgkmcnt(0)
	v_lshrrev_b32_e32 v1, 16, v3
	v_and_b32_e32 v0, 0xffff, v3
	v_and_b32_e32 v3, 0xffff, v10
	;;#ASMSTART
	v_cvt_f32_f16 v0, v0;
	;;#ASMEND
	;;#ASMSTART
	v_cvt_f32_f16 v1, v1;
	;;#ASMEND
	;; [unrolled: 3-line block ×4, first 2 shown]
	v_fmac_f32_e32 v24, v0, v3
	v_fmac_f32_e32 v25, v1, v5
	v_lshrrev_b32_e32 v1, 16, v4
	v_and_b32_e32 v0, 0xffff, v4
	v_and_b32_e32 v3, 0xffff, v63
	;; [unrolled: 1-line block ×3, first 2 shown]
	;;#ASMSTART
	v_cvt_f32_f16 v0, v0;
	;;#ASMEND
	;;#ASMSTART
	v_cvt_f32_f16 v1, v1;
	;;#ASMEND
	;;#ASMSTART
	v_cvt_f32_f16 v3, v3;
	;;#ASMEND
	;;#ASMSTART
	v_cvt_f32_f16 v4, v4;
	;;#ASMEND
	v_fmac_f32_e32 v26, v0, v3
	v_fmac_f32_e32 v27, v1, v4
	ds_read_b64 v[3:4], v15 offset:88
	v_and_b32_e32 v5, 0xffff, v60
	s_waitcnt lgkmcnt(0)
	v_lshrrev_b32_e32 v1, 16, v3
	v_and_b32_e32 v0, 0xffff, v3
	v_and_b32_e32 v3, 0xffff, v61
	;;#ASMSTART
	v_cvt_f32_f16 v0, v0;
	;;#ASMEND
	;;#ASMSTART
	v_cvt_f32_f16 v1, v1;
	;;#ASMEND
	;;#ASMSTART
	v_cvt_f32_f16 v3, v3;
	;;#ASMEND
	;;#ASMSTART
	v_cvt_f32_f16 v5, v5;
	;;#ASMEND
	v_fmac_f32_e32 v24, v0, v3
	v_fmac_f32_e32 v25, v1, v5
	v_lshrrev_b32_e32 v1, 16, v4
	v_and_b32_e32 v0, 0xffff, v4
	v_and_b32_e32 v3, 0xffff, v59
	;; [unrolled: 1-line block ×3, first 2 shown]
	;;#ASMSTART
	v_cvt_f32_f16 v0, v0;
	;;#ASMEND
	;;#ASMSTART
	v_cvt_f32_f16 v1, v1;
	;;#ASMEND
	;; [unrolled: 3-line block ×4, first 2 shown]
	v_fmac_f32_e32 v26, v0, v3
	v_fmac_f32_e32 v27, v1, v4
	ds_read_b64 v[3:4], v15 offset:96
	s_waitcnt lgkmcnt(0)
	v_lshrrev_b32_e32 v1, 16, v3
	v_and_b32_e32 v0, 0xffff, v3
	;;#ASMSTART
	v_cvt_f32_f16 v0, v0;
	;;#ASMEND
	;;#ASMSTART
	v_cvt_f32_f16 v1, v1;
	;;#ASMEND
	buffer_load_dword v3, off, s[48:51], 0 offset:32 ; 4-byte Folded Reload
	s_waitcnt vmcnt(0)
	v_and_b32_e32 v3, 0xffff, v3
	;;#ASMSTART
	v_cvt_f32_f16 v3, v3;
	;;#ASMEND
	buffer_load_dword v5, off, s[48:51], 0 offset:28 ; 4-byte Folded Reload
	v_fmac_f32_e32 v24, v0, v3
	v_and_b32_e32 v0, 0xffff, v4
	s_waitcnt vmcnt(0)
	v_and_b32_e32 v5, 0xffff, v5
	;;#ASMSTART
	v_cvt_f32_f16 v5, v5;
	;;#ASMEND
	v_fmac_f32_e32 v25, v1, v5
	v_lshrrev_b32_e32 v1, 16, v4
	;;#ASMSTART
	v_cvt_f32_f16 v0, v0;
	;;#ASMEND
	;;#ASMSTART
	v_cvt_f32_f16 v1, v1;
	;;#ASMEND
	buffer_load_dword v3, off, s[48:51], 0 offset:24 ; 4-byte Folded Reload
	v_and_b32_e32 v5, 0xffff, v50
	s_waitcnt vmcnt(0)
	v_and_b32_e32 v3, 0xffff, v3
	;;#ASMSTART
	v_cvt_f32_f16 v3, v3;
	;;#ASMEND
	buffer_load_dword v4, off, s[48:51], 0 offset:20 ; 4-byte Folded Reload
	v_fmac_f32_e32 v26, v0, v3
	s_waitcnt vmcnt(0)
	v_and_b32_e32 v4, 0xffff, v4
	;;#ASMSTART
	v_cvt_f32_f16 v4, v4;
	;;#ASMEND
	v_fmac_f32_e32 v27, v1, v4
	ds_read_b64 v[0:1], v15 offset:104
	v_and_b32_e32 v4, 0xffff, v23
	s_waitcnt lgkmcnt(0)
	v_lshrrev_b32_e32 v3, 16, v0
	v_and_b32_e32 v0, 0xffff, v0
	;;#ASMSTART
	v_cvt_f32_f16 v0, v0;
	;;#ASMEND
	;;#ASMSTART
	v_cvt_f32_f16 v3, v3;
	;;#ASMEND
	;;#ASMSTART
	v_cvt_f32_f16 v4, v4;
	;;#ASMEND
	;;#ASMSTART
	v_cvt_f32_f16 v5, v5;
	;;#ASMEND
	v_fmac_f32_e32 v24, v0, v4
	v_fmac_f32_e32 v25, v3, v5
	v_lshrrev_b32_e32 v3, 16, v1
	v_and_b32_e32 v0, 0xffff, v1
	;;#ASMSTART
	v_cvt_f32_f16 v0, v0;
	;;#ASMEND
	;;#ASMSTART
	v_cvt_f32_f16 v1, v3;
	;;#ASMEND
	v_and_b32_e32 v3, 0xffff, v21
	v_and_b32_e32 v4, 0xffff, v20
	;;#ASMSTART
	v_cvt_f32_f16 v3, v3;
	;;#ASMEND
	;;#ASMSTART
	v_cvt_f32_f16 v4, v4;
	;;#ASMEND
	buffer_load_dword v5, off, s[48:51], 0 offset:36 ; 4-byte Folded Reload
	v_fmac_f32_e32 v26, v0, v3
	v_add_f32_e32 v0, v24, v25
	v_fmac_f32_e32 v27, v1, v4
	v_add_f32_e32 v0, v0, v26
	v_add_f32_e32 v3, v27, v0
	s_waitcnt vmcnt(0)
	v_and_b32_e32 v0, 64, v5
	v_xor_b32_e32 v4, 1, v5
	v_add_u32_e32 v1, 64, v0
	v_cmp_lt_i32_e64 s[4:5], v4, v1
	v_cndmask_b32_e64 v4, v5, v4, s[4:5]
	v_lshlrev_b32_e32 v4, 2, v4
	ds_bpermute_b32 v4, v4, v3
	s_mov_b64 s[34:35], exec
	buffer_load_dword v8, off, s[48:51], 0 offset:16 ; 4-byte Folded Reload
	s_and_b64 s[4:5], s[34:35], vcc
	s_mov_b64 exec, s[4:5]
	s_cbranch_execz .LBB268_8
; %bb.346:                              ;   in Loop: Header=BB268_9 Depth=1
	buffer_load_dword v7, off, s[48:51], 0 offset:8 ; 4-byte Folded Reload
	buffer_load_dword v6, off, s[48:51], 0 offset:40 ; 4-byte Folded Reload
	s_waitcnt lgkmcnt(0)
	v_add_f32_e32 v3, v3, v4
	s_waitcnt vmcnt(1)
	v_add_u32_e32 v5, s41, v7
	v_cmp_gt_i32_e64 s[4:5], s30, v7
	buffer_load_dword v7, off, s[48:51], 0 offset:12 ; 4-byte Folded Reload
	v_cvt_f32_i32_e32 v5, v5
	s_waitcnt vmcnt(1)
	v_max_f32_e32 v4, v6, v6
	v_mul_f32_e32 v5, s33, v5
	v_cndmask_b32_e64 v5, 0, v5, s[2:3]
	v_fmac_f32_e32 v5, s31, v3
	v_cndmask_b32_e64 v3, 0, v5, s[4:5]
	s_waitcnt vmcnt(0)
	ds_write_b32 v7, v3
	v_max_f32_e32 v3, v4, v5
	v_cndmask_b32_e64 v6, v6, v3, s[4:5]
	buffer_store_dword v6, off, s[48:51], 0 offset:40 ; 4-byte Folded Spill
	s_branch .LBB268_8
.LBB268_347:
	s_or_b64 exec, exec, s[18:19]
	buffer_load_dword v45, off, s[48:51], 0 offset:56 ; 4-byte Folded Reload
	buffer_load_dword v11, off, s[48:51], 0 offset:60 ; 4-byte Folded Reload
	;; [unrolled: 1-line block ×4, first 2 shown]
.LBB268_348:
	s_or_b64 exec, exec, s[6:7]
	buffer_load_dword v9, off, s[48:51], 0 offset:36 ; 4-byte Folded Reload
	s_waitcnt vmcnt(1) lgkmcnt(0)
	v_max_f32_e32 v4, v6, v6
	s_waitcnt vmcnt(0)
	v_xor_b32_e32 v2, 32, v9
	v_cmp_lt_i32_e32 vcc, v2, v1
	v_cndmask_b32_e32 v2, v9, v2, vcc
	v_lshlrev_b32_e32 v2, 2, v2
	ds_bpermute_b32 v3, v2, v6
	v_xor_b32_e32 v5, 16, v9
	v_cmp_lt_i32_e32 vcc, v5, v1
	v_xor_b32_e32 v6, 8, v9
	v_xor_b32_e32 v7, 4, v9
	s_waitcnt lgkmcnt(0)
	v_max_f32_e32 v3, v3, v3
	v_max_f32_e32 v4, v4, v3
	v_cndmask_b32_e32 v3, v9, v5, vcc
	v_lshlrev_b32_e32 v3, 2, v3
	ds_bpermute_b32 v5, v3, v4
	v_cmp_lt_i32_e32 vcc, v6, v1
	v_xor_b32_e32 v8, 2, v9
	s_waitcnt lgkmcnt(0)
	v_max_f32_e32 v5, v5, v5
	v_max_f32_e32 v5, v4, v5
	v_cndmask_b32_e32 v4, v9, v6, vcc
	v_lshlrev_b32_e32 v4, 2, v4
	ds_bpermute_b32 v6, v4, v5
	v_cmp_lt_i32_e32 vcc, v7, v1
	s_waitcnt lgkmcnt(0)
	v_max_f32_e32 v6, v6, v6
	v_max_f32_e32 v6, v5, v6
	v_cndmask_b32_e32 v5, v9, v7, vcc
	v_lshlrev_b32_e32 v5, 2, v5
	ds_bpermute_b32 v7, v5, v6
	v_cmp_lt_i32_e32 vcc, v8, v1
	s_waitcnt lgkmcnt(0)
	v_max_f32_e32 v7, v7, v7
	v_max_f32_e32 v7, v6, v7
	v_cndmask_b32_e32 v6, v9, v8, vcc
	v_lshlrev_b32_e32 v15, 2, v6
	buffer_load_dword v6, off, s[48:51], 0 offset:52 ; 4-byte Folded Reload
	ds_bpermute_b32 v8, v15, v7
	s_waitcnt vmcnt(0)
	v_and_b32_e32 v14, 63, v6
	v_cmp_eq_u32_e32 vcc, 0, v14
	v_lshlrev_b32_e32 v6, 2, v45
	s_and_saveexec_b64 s[2:3], vcc
	s_cbranch_execz .LBB268_350
; %bb.349:
	s_waitcnt lgkmcnt(0)
	v_max_f32_e32 v8, v8, v8
	v_max_f32_e32 v7, v7, v7
	;; [unrolled: 1-line block ×3, first 2 shown]
	ds_write_b32 v6, v7 offset:224
.LBB268_350:
	s_or_b64 exec, exec, s[2:3]
	v_cmp_gt_u32_e64 s[2:3], 2, v14
	s_waitcnt lgkmcnt(0)
	v_mov_b32_e32 v8, 0xff7fffff
	v_lshlrev_b32_e32 v7, 2, v14
	s_barrier
	s_and_saveexec_b64 s[4:5], s[2:3]
; %bb.351:
	ds_read_b32 v8, v7 offset:224
; %bb.352:
	s_or_b64 exec, exec, s[4:5]
	buffer_load_dword v10, off, s[48:51], 0 offset:36 ; 4-byte Folded Reload
	v_lshlrev_b32_e32 v0, 2, v0
	s_waitcnt vmcnt(0)
	v_xor_b32_e32 v9, 1, v10
	v_cmp_lt_i32_e64 s[4:5], v9, v1
	v_cndmask_b32_e64 v1, v10, v9, s[4:5]
	v_lshlrev_b32_e32 v16, 2, v1
	s_waitcnt lgkmcnt(0)
	ds_bpermute_b32 v1, v16, v8
	v_max_f32_e32 v8, v8, v8
	s_lshl_b32 s4, s21, 5
	s_min_i32 s31, s4, s30
	s_waitcnt lgkmcnt(0)
	v_max_f32_e32 v1, v1, v1
	v_max_f32_e32 v1, v8, v1
	ds_bpermute_b32 v1, v0, v1
	buffer_load_dword v0, off, s[48:51], 0 offset:52 ; 4-byte Folded Reload
	s_waitcnt vmcnt(0)
	v_cmp_gt_i32_e64 s[4:5], s31, v0
	v_mov_b32_e32 v0, 0
	s_and_saveexec_b64 s[12:13], s[4:5]
	s_cbranch_execz .LBB268_356
; %bb.353:
	buffer_load_dword v9, off, s[48:51], 0 offset:52 ; 4-byte Folded Reload
	v_mov_b32_e32 v0, 0xf0
	s_mov_b64 s[18:19], 0
	s_waitcnt vmcnt(0)
	v_lshl_add_u32 v8, v9, 2, v0
	v_mov_b32_e32 v0, 0
.LBB268_354:                            ; =>This Inner Loop Header: Depth=1
	ds_read_b32 v10, v8
	v_add_u32_e32 v9, 0x80, v9
	v_cmp_le_i32_e64 s[6:7], s31, v9
	s_or_b64 s[18:19], s[6:7], s[18:19]
	s_waitcnt lgkmcnt(0)
	v_sub_f32_e32 v10, v10, v1
	v_mul_f32_e32 v10, 0x3fb8aa3b, v10
	v_exp_f32_e32 v10, v10
	ds_write_b32 v8, v10
	v_add_f32_e32 v0, v0, v10
	v_add_u32_e32 v8, 0x200, v8
	s_andn2_b64 exec, exec, s[18:19]
	s_cbranch_execnz .LBB268_354
; %bb.355:
	s_or_b64 exec, exec, s[18:19]
.LBB268_356:
	s_or_b64 exec, exec, s[12:13]
	s_waitcnt lgkmcnt(0)
	ds_bpermute_b32 v1, v2, v0
	s_waitcnt lgkmcnt(0)
	v_add_f32_e32 v0, v0, v1
	ds_bpermute_b32 v1, v3, v0
	s_waitcnt lgkmcnt(0)
	v_add_f32_e32 v0, v0, v1
	;; [unrolled: 3-line block ×6, first 2 shown]
	s_and_saveexec_b64 s[6:7], vcc
; %bb.357:
	ds_write_b32 v6, v0 offset:232
; %bb.358:
	s_or_b64 exec, exec, s[6:7]
	s_waitcnt lgkmcnt(0)
	s_barrier
	s_and_saveexec_b64 s[6:7], s[2:3]
; %bb.359:
	ds_read_b32 v0, v7 offset:232
; %bb.360:
	s_or_b64 exec, exec, s[6:7]
	buffer_load_dword v2, off, s[48:51], 0 offset:36 ; 4-byte Folded Reload
	s_waitcnt lgkmcnt(0)
	ds_bpermute_b32 v1, v16, v0
	s_waitcnt lgkmcnt(0)
	v_add_f32_e32 v0, v0, v1
	s_waitcnt vmcnt(0)
	v_lshlrev_b32_e32 v2, 2, v2
	v_and_b32_e32 v1, 0xffffff00, v2
	ds_bpermute_b32 v0, v1, v0
	s_and_saveexec_b64 s[2:3], s[4:5]
	s_cbranch_execz .LBB268_363
; %bb.361:
	s_waitcnt lgkmcnt(0)
	v_add_f32_e32 v1, 0x358637bd, v0
	v_div_scale_f32 v0, s[4:5], v1, v1, 1.0
	v_div_scale_f32 v2, vcc, 1.0, v1, 1.0
	s_mov_b64 s[4:5], 0
	v_rcp_f32_e32 v3, v0
	v_fma_f32 v4, -v0, v3, 1.0
	v_fmac_f32_e32 v3, v4, v3
	v_mul_f32_e32 v4, v2, v3
	v_fma_f32 v5, -v0, v4, v2
	v_fmac_f32_e32 v4, v5, v3
	v_fma_f32 v0, -v0, v4, v2
	v_div_fmas_f32 v2, v0, v3, v4
	buffer_load_dword v3, off, s[48:51], 0 offset:52 ; 4-byte Folded Reload
	v_mov_b32_e32 v0, 0xf0
	v_div_fixup_f32 v1, v2, v1, 1.0
	s_waitcnt vmcnt(0)
	v_lshl_add_u32 v0, v3, 2, v0
	v_mov_b32_e32 v2, v3
.LBB268_362:                            ; =>This Inner Loop Header: Depth=1
	ds_read_b32 v3, v0
	v_add_u32_e32 v2, 0x80, v2
	v_cmp_le_i32_e32 vcc, s31, v2
	s_or_b64 s[4:5], vcc, s[4:5]
	s_waitcnt lgkmcnt(0)
	v_mul_f32_e32 v3, v1, v3
	ds_write_b32 v0, v3
	v_add_u32_e32 v0, 0x200, v0
	s_andn2_b64 exec, exec, s[4:5]
	s_cbranch_execnz .LBB268_362
.LBB268_363:
	s_or_b64 exec, exec, s[2:3]
	s_waitcnt lgkmcnt(0)
	s_barrier
	buffer_load_dword v0, off, s[48:51], 0 offset:52 ; 4-byte Folded Reload
	v_mov_b32_e32 v22, 0
	v_mov_b32_e32 v23, 0
	;; [unrolled: 1-line block ×7, first 2 shown]
	s_waitcnt vmcnt(0)
	v_and_b32_e32 v13, 3, v0
	s_and_saveexec_b64 s[2:3], s[0:1]
	s_cbranch_execz .LBB268_717
; %bb.364:
	s_ashr_i32 s0, s16, 31
	s_add_u32 s1, s28, s16
	v_and_b32_e32 v1, 0x1f8, v11
	v_and_b32_e32 v0, 24, v11
	s_addc_u32 s0, s29, s0
	v_add_co_u32_e32 v3, vcc, s1, v1
	v_lshlrev_b32_e32 v1, 5, v45
	s_add_i32 s28, s21, -1
	v_mov_b32_e32 v4, s0
	v_or3_b32 v24, v1, v0, 7
	v_lshlrev_b32_e32 v0, 5, v13
	s_lshl_b64 s[0:1], s[26:27], 2
	v_lshl_or_b32 v0, v45, 7, v0
	s_add_u32 s0, s24, s0
	v_addc_co_u32_e32 v4, vcc, 0, v4, vcc
	v_add_u32_e32 v25, 0xf0, v0
	v_and_b32_e32 v0, 60, v12
	s_addc_u32 s1, s25, s1
	s_mov_b32 s4, -1
	v_mov_b32_e32 v1, s1
	v_add_co_u32_e32 v5, vcc, s0, v0
	s_mov_b32 s31, s17
	s_mov_b32 s5, 0xffffff
	v_mov_b32_e32 v2, 0
	v_addc_co_u32_e32 v6, vcc, 0, v1, vcc
	s_mov_b64 s[6:7], 0
	s_movk_i32 s24, 0x80
	s_movk_i32 s25, 0x7f
	s_mov_b32 s26, 0x8000
	v_mov_b32_e32 v12, 0x2000
	v_mov_b32_e32 v17, 0
	;; [unrolled: 1-line block ×8, first 2 shown]
	s_branch .LBB268_366
.LBB268_365:                            ;   in Loop: Header=BB268_366 Depth=1
	s_or_b64 exec, exec, s[0:1]
	v_add_f32_e32 v0, v0, v45
	v_add_f32_e32 v19, v19, v0
	;; [unrolled: 1-line block ×10, first 2 shown]
	;;#ASMSTART
	v_pk_mul_f16 v0, v33, v7;

	;;#ASMEND
	;;#ASMSTART
	v_pk_mul_f16 v1, v34, v1;

	;;#ASMEND
	;; [unrolled: 4-line block ×4, first 2 shown]
	;;#ASMSTART
	v_pk_add_f16 v0, v0, v1;

	;;#ASMEND
	;;#ASMSTART
	v_pk_add_f16 v0, v0, v7;

	;;#ASMEND
	;; [unrolled: 4-line block ×3, first 2 shown]
	v_mov_b32_e32 v45, v58
	v_lshrrev_b32_e32 v1, 16, v0
	v_and_b32_e32 v0, 0xffff, v0
	v_add_u32_e32 v45, 2, v45
	;;#ASMSTART
	v_cvt_f32_f16 v0, v0;
	;;#ASMEND
	v_cmp_le_i32_e32 vcc, s21, v45
	v_add_f32_e32 v9, v9, v10
	;;#ASMSTART
	v_cvt_f32_f16 v1, v1;
	;;#ASMEND
	v_add_f32_e32 v0, v0, v1
	s_or_b64 s[6:7], vcc, s[6:7]
	v_add_co_u32_e32 v5, vcc, 8, v5
	v_add_f32_e32 v18, v18, v9
	v_add_f32_e32 v17, v17, v0
	v_add_u32_e32 v24, 64, v24
	v_add_u32_e32 v25, 0x100, v25
	v_addc_co_u32_e32 v6, vcc, 0, v6, vcc
	s_andn2_b64 exec, exec, s[6:7]
	s_cbranch_execz .LBB268_716
.LBB268_366:                            ; =>This Inner Loop Header: Depth=1
	global_load_dword v1, v[5:6], off
	ds_read2_b64 v[7:10], v25 offset1:1
	ds_read2_b64 v[26:29], v25 offset0:2 offset1:3
	s_waitcnt lgkmcnt(1)
	;;#ASMSTART
	v_cvt_f16_f32 v0, v7;

	;;#ASMEND
	;;#ASMSTART
	v_cvt_f16_f32 v33, v8;

	;;#ASMEND
	;; [unrolled: 4-line block ×4, first 2 shown]
	s_waitcnt lgkmcnt(0)
	;;#ASMSTART
	v_cvt_f16_f32 v36, v26;

	;;#ASMEND
	;;#ASMSTART
	v_cvt_f16_f32 v37, v27;

	;;#ASMEND
	;; [unrolled: 4-line block ×4, first 2 shown]
	v_mov_b32_e32 v28, 0
	s_waitcnt vmcnt(0)
	v_mad_i64_i32 v[7:8], s[0:1], v1, s31, v[3:4]
	global_load_dwordx2 v[9:10], v[7:8], off
	global_load_dword v27, v2, s[14:15]
	s_waitcnt vmcnt(1)
	v_cmp_ne_u16_sdwa s[12:13], v9, v2 src0_sel:BYTE_0 src1_sel:DWORD
	s_and_saveexec_b64 s[0:1], s[12:13]
	s_cbranch_execz .LBB268_372
; %bb.367:                              ;   in Loop: Header=BB268_366 Depth=1
	v_cmp_ne_u16_sdwa s[16:17], v9, s24 src0_sel:BYTE_0 src1_sel:DWORD
	v_mov_b32_e32 v28, 0x8000
	s_and_saveexec_b64 s[12:13], s[16:17]
	s_cbranch_execz .LBB268_371
; %bb.368:                              ;   in Loop: Header=BB268_366 Depth=1
	v_and_b32_e32 v1, 0x7f, v9
	v_cmp_ne_u32_e32 vcc, s25, v1
	v_mov_b32_e32 v28, 0x7c01
	s_and_saveexec_b64 s[16:17], vcc
	s_cbranch_execz .LBB268_370
; %bb.369:                              ;   in Loop: Header=BB268_366 Depth=1
	v_and_b32_e32 v11, 7, v9
	v_ffbh_u32_e32 v28, v11
	v_min_u32_e32 v30, 32, v28
	v_subrev_u32_e32 v28, 28, v30
	v_lshlrev_b64 v[28:29], v28, v[9:10]
	v_lshrrev_b32_e32 v26, 3, v1
	v_sub_u32_e32 v29, 29, v30
	v_cmp_gt_u32_e32 vcc, 8, v1
	v_cndmask_b32_e32 v1, v26, v29, vcc
	v_lshl_add_u32 v1, v1, 10, v12
	v_lshlrev_b32_e32 v26, 8, v9
	v_and_b32_e32 v28, 7, v28
	v_and_b32_e32 v1, 0xfc00, v1
	v_cndmask_b32_e32 v11, v11, v28, vcc
	v_and_or_b32 v1, v26, s26, v1
	v_lshl_or_b32 v28, v11, 7, v1
.LBB268_370:                            ;   in Loop: Header=BB268_366 Depth=1
	s_or_b64 exec, exec, s[16:17]
.LBB268_371:                            ;   in Loop: Header=BB268_366 Depth=1
	s_or_b64 exec, exec, s[12:13]
.LBB268_372:                            ;   in Loop: Header=BB268_366 Depth=1
	s_or_b64 exec, exec, s[0:1]
	v_lshrrev_b16_e32 v1, 8, v9
	v_cmp_ne_u16_e32 vcc, 0, v1
	v_mov_b32_e32 v30, 0
	v_mov_b32_e32 v29, 0
	s_and_saveexec_b64 s[0:1], vcc
	s_cbranch_execz .LBB268_378
; %bb.373:                              ;   in Loop: Header=BB268_366 Depth=1
	v_cmp_ne_u16_e32 vcc, s24, v1
	v_bfrev_b32_e32 v29, 1
	s_and_saveexec_b64 s[12:13], vcc
	s_cbranch_execz .LBB268_377
; %bb.374:                              ;   in Loop: Header=BB268_366 Depth=1
	v_and_b32_e32 v11, 0x7f, v1
	v_cmp_ne_u32_e32 vcc, s25, v11
	v_mov_b32_e32 v29, 0x7c010000
	s_and_saveexec_b64 s[16:17], vcc
	s_cbranch_execz .LBB268_376
; %bb.375:                              ;   in Loop: Header=BB268_366 Depth=1
	v_and_b32_e32 v26, 7, v1
	v_ffbh_u32_e32 v31, v26
	v_min_u32_e32 v40, 32, v31
	v_subrev_u32_e32 v31, 28, v40
	v_lshlrev_b64 v[31:32], v31, v[1:2]
	v_lshrrev_b32_e32 v29, 3, v11
	v_sub_u32_e32 v32, 29, v40
	v_cmp_gt_u32_e32 vcc, 8, v11
	v_cndmask_b32_e32 v11, v29, v32, vcc
	v_lshlrev_b32_e32 v1, 8, v1
	v_lshl_add_u32 v11, v11, 10, v12
	v_and_b32_e32 v29, 7, v31
	v_and_or_b32 v1, v1, s26, v11
	v_cndmask_b32_e32 v26, v26, v29, vcc
	v_lshlrev_b32_e32 v1, 16, v1
	v_lshl_or_b32 v29, v26, 23, v1
.LBB268_376:                            ;   in Loop: Header=BB268_366 Depth=1
	s_or_b64 exec, exec, s[16:17]
.LBB268_377:                            ;   in Loop: Header=BB268_366 Depth=1
	s_or_b64 exec, exec, s[12:13]
.LBB268_378:                            ;   in Loop: Header=BB268_366 Depth=1
	s_or_b64 exec, exec, s[0:1]
	v_lshrrev_b32_e32 v1, 16, v9
	v_cmp_ne_u16_sdwa s[12:13], v1, v2 src0_sel:BYTE_0 src1_sel:DWORD
	s_and_saveexec_b64 s[0:1], s[12:13]
	s_cbranch_execz .LBB268_384
; %bb.379:                              ;   in Loop: Header=BB268_366 Depth=1
	v_cmp_ne_u16_sdwa s[16:17], v1, s24 src0_sel:BYTE_0 src1_sel:DWORD
	v_mov_b32_e32 v30, 0x8000
	s_and_saveexec_b64 s[12:13], s[16:17]
	s_cbranch_execz .LBB268_383
; %bb.380:                              ;   in Loop: Header=BB268_366 Depth=1
	v_bfe_u32 v11, v9, 16, 7
	v_cmp_ne_u32_e32 vcc, s25, v11
	v_mov_b32_e32 v30, 0x7c01
	s_and_saveexec_b64 s[16:17], vcc
	s_cbranch_execz .LBB268_382
; %bb.381:                              ;   in Loop: Header=BB268_366 Depth=1
	v_and_b32_e32 v26, 7, v1
	v_ffbh_u32_e32 v30, v26
	v_min_u32_e32 v40, 32, v30
	v_subrev_u32_e32 v30, 28, v40
	v_lshlrev_b64 v[30:31], v30, v[1:2]
	v_lshrrev_b32_e32 v32, 3, v11
	v_sub_u32_e32 v31, 29, v40
	v_cmp_gt_u32_e32 vcc, 8, v11
	v_cndmask_b32_e32 v11, v32, v31, vcc
	v_lshl_add_u32 v11, v11, 10, v12
	v_lshlrev_b32_e32 v1, 8, v1
	v_and_b32_e32 v30, 7, v30
	v_and_b32_e32 v11, 0xfc00, v11
	v_cndmask_b32_e32 v26, v26, v30, vcc
	v_and_or_b32 v1, v1, s26, v11
	v_lshl_or_b32 v30, v26, 7, v1
.LBB268_382:                            ;   in Loop: Header=BB268_366 Depth=1
	s_or_b64 exec, exec, s[16:17]
.LBB268_383:                            ;   in Loop: Header=BB268_366 Depth=1
	s_or_b64 exec, exec, s[12:13]
.LBB268_384:                            ;   in Loop: Header=BB268_366 Depth=1
	s_or_b64 exec, exec, s[0:1]
	v_cmp_lt_u32_e32 vcc, s5, v9
	v_mov_b32_e32 v31, 0
	v_mov_b32_e32 v32, 0
	s_and_saveexec_b64 s[0:1], vcc
	s_cbranch_execz .LBB268_390
; %bb.385:                              ;   in Loop: Header=BB268_366 Depth=1
	v_lshrrev_b32_e32 v1, 24, v9
	v_cmp_ne_u32_e32 vcc, s24, v1
	v_bfrev_b32_e32 v32, 1
	s_and_saveexec_b64 s[12:13], vcc
	s_cbranch_execz .LBB268_389
; %bb.386:                              ;   in Loop: Header=BB268_366 Depth=1
	v_and_b32_e32 v11, 0x7f, v1
	v_cmp_ne_u32_e32 vcc, s25, v11
	v_mov_b32_e32 v32, 0x7c010000
	s_and_saveexec_b64 s[16:17], vcc
	s_cbranch_execz .LBB268_388
; %bb.387:                              ;   in Loop: Header=BB268_366 Depth=1
	v_and_b32_e32 v26, 7, v1
	v_ffbh_u32_e32 v40, v26
	v_min_u32_e32 v42, 32, v40
	v_subrev_u32_e32 v40, 28, v42
	v_lshlrev_b64 v[40:41], v40, v[1:2]
	v_lshrrev_b32_e32 v32, 3, v11
	v_sub_u32_e32 v41, 29, v42
	v_cmp_gt_u32_e32 vcc, 8, v11
	v_cndmask_b32_e32 v11, v32, v41, vcc
	v_lshlrev_b32_e32 v1, 8, v1
	v_lshl_add_u32 v11, v11, 10, v12
	v_and_b32_e32 v32, 7, v40
	v_and_or_b32 v1, v1, s26, v11
	v_cndmask_b32_e32 v26, v26, v32, vcc
	v_lshlrev_b32_e32 v1, 16, v1
	v_lshl_or_b32 v32, v26, 23, v1
.LBB268_388:                            ;   in Loop: Header=BB268_366 Depth=1
	s_or_b64 exec, exec, s[16:17]
.LBB268_389:                            ;   in Loop: Header=BB268_366 Depth=1
	s_or_b64 exec, exec, s[12:13]
.LBB268_390:                            ;   in Loop: Header=BB268_366 Depth=1
	s_or_b64 exec, exec, s[0:1]
	v_mov_b32_e32 v1, v10
	v_cmp_ne_u16_sdwa s[12:13], v10, v2 src0_sel:BYTE_0 src1_sel:DWORD
	s_and_saveexec_b64 s[0:1], s[12:13]
	s_cbranch_execz .LBB268_396
; %bb.391:                              ;   in Loop: Header=BB268_366 Depth=1
	v_cmp_ne_u16_sdwa s[16:17], v10, s24 src0_sel:BYTE_0 src1_sel:DWORD
	v_mov_b32_e32 v31, 0x8000
	s_and_saveexec_b64 s[12:13], s[16:17]
	s_cbranch_execz .LBB268_395
; %bb.392:                              ;   in Loop: Header=BB268_366 Depth=1
	v_and_b32_e32 v11, 0x7f, v10
	v_cmp_ne_u32_e32 vcc, s25, v11
	v_mov_b32_e32 v31, 0x7c01
	s_and_saveexec_b64 s[16:17], vcc
	s_cbranch_execz .LBB268_394
; %bb.393:                              ;   in Loop: Header=BB268_366 Depth=1
	v_and_b32_e32 v26, 7, v10
	v_ffbh_u32_e32 v40, v26
	v_min_u32_e32 v42, 32, v40
	v_subrev_u32_e32 v40, 28, v42
	v_lshlrev_b64 v[40:41], v40, v[1:2]
	v_lshrrev_b32_e32 v31, 3, v11
	v_sub_u32_e32 v41, 29, v42
	v_cmp_gt_u32_e32 vcc, 8, v11
	v_cndmask_b32_e32 v11, v31, v41, vcc
	v_lshl_add_u32 v11, v11, 10, v12
	v_lshlrev_b32_e32 v31, 8, v10
	v_and_b32_e32 v40, 7, v40
	v_and_b32_e32 v11, 0xfc00, v11
	v_cndmask_b32_e32 v26, v26, v40, vcc
	v_and_or_b32 v11, v31, s26, v11
	v_lshl_or_b32 v31, v26, 7, v11
.LBB268_394:                            ;   in Loop: Header=BB268_366 Depth=1
	s_or_b64 exec, exec, s[16:17]
.LBB268_395:                            ;   in Loop: Header=BB268_366 Depth=1
	s_or_b64 exec, exec, s[12:13]
.LBB268_396:                            ;   in Loop: Header=BB268_366 Depth=1
	s_or_b64 exec, exec, s[0:1]
	v_lshrrev_b16_e32 v1, 8, v1
	v_cmp_ne_u16_e32 vcc, 0, v1
	v_mov_b32_e32 v11, 0
	v_mov_b32_e32 v40, 0
	s_and_saveexec_b64 s[0:1], vcc
	s_cbranch_execz .LBB268_402
; %bb.397:                              ;   in Loop: Header=BB268_366 Depth=1
	v_cmp_ne_u16_e32 vcc, s24, v1
	v_bfrev_b32_e32 v40, 1
	s_and_saveexec_b64 s[12:13], vcc
	s_cbranch_execz .LBB268_401
; %bb.398:                              ;   in Loop: Header=BB268_366 Depth=1
	v_and_b32_e32 v26, 0x7f, v1
	v_cmp_ne_u32_e32 vcc, s25, v26
	v_mov_b32_e32 v40, 0x7c010000
	s_and_saveexec_b64 s[16:17], vcc
	s_cbranch_execz .LBB268_400
; %bb.399:                              ;   in Loop: Header=BB268_366 Depth=1
	v_and_b32_e32 v42, 7, v1
	v_ffbh_u32_e32 v40, v42
	v_min_u32_e32 v44, 32, v40
	v_subrev_u32_e32 v40, 28, v44
	v_lshlrev_b64 v[40:41], v40, v[1:2]
	v_lshrrev_b32_e32 v43, 3, v26
	v_sub_u32_e32 v41, 29, v44
	v_cmp_gt_u32_e32 vcc, 8, v26
	v_cndmask_b32_e32 v26, v43, v41, vcc
	v_lshlrev_b32_e32 v1, 8, v1
	v_lshl_add_u32 v26, v26, 10, v12
	v_and_b32_e32 v40, 7, v40
	v_and_or_b32 v1, v1, s26, v26
	v_cndmask_b32_e32 v40, v42, v40, vcc
	v_lshlrev_b32_e32 v1, 16, v1
	v_lshl_or_b32 v40, v40, 23, v1
.LBB268_400:                            ;   in Loop: Header=BB268_366 Depth=1
	s_or_b64 exec, exec, s[16:17]
.LBB268_401:                            ;   in Loop: Header=BB268_366 Depth=1
	s_or_b64 exec, exec, s[12:13]
.LBB268_402:                            ;   in Loop: Header=BB268_366 Depth=1
	s_or_b64 exec, exec, s[0:1]
	v_lshrrev_b32_e32 v1, 16, v10
	v_cmp_ne_u16_sdwa s[12:13], v1, v2 src0_sel:BYTE_0 src1_sel:DWORD
	s_and_saveexec_b64 s[0:1], s[12:13]
	s_cbranch_execz .LBB268_408
; %bb.403:                              ;   in Loop: Header=BB268_366 Depth=1
	v_cmp_ne_u16_sdwa s[16:17], v1, s24 src0_sel:BYTE_0 src1_sel:DWORD
	v_mov_b32_e32 v11, 0x8000
	s_and_saveexec_b64 s[12:13], s[16:17]
	s_cbranch_execz .LBB268_407
; %bb.404:                              ;   in Loop: Header=BB268_366 Depth=1
	v_bfe_u32 v26, v10, 16, 7
	v_cmp_ne_u32_e32 vcc, s25, v26
	v_mov_b32_e32 v11, 0x7c01
	s_and_saveexec_b64 s[16:17], vcc
	s_cbranch_execz .LBB268_406
; %bb.405:                              ;   in Loop: Header=BB268_366 Depth=1
	v_and_b32_e32 v11, 7, v1
	v_ffbh_u32_e32 v41, v11
	v_min_u32_e32 v44, 32, v41
	v_subrev_u32_e32 v41, 28, v44
	v_lshlrev_b64 v[41:42], v41, v[1:2]
	v_lshrrev_b32_e32 v43, 3, v26
	v_sub_u32_e32 v42, 29, v44
	v_cmp_gt_u32_e32 vcc, 8, v26
	v_cndmask_b32_e32 v26, v43, v42, vcc
	v_lshl_add_u32 v26, v26, 10, v12
	v_lshlrev_b32_e32 v1, 8, v1
	v_and_b32_e32 v41, 7, v41
	v_and_b32_e32 v26, 0xfc00, v26
	v_cndmask_b32_e32 v11, v11, v41, vcc
	v_and_or_b32 v1, v1, s26, v26
	v_lshl_or_b32 v11, v11, 7, v1
.LBB268_406:                            ;   in Loop: Header=BB268_366 Depth=1
	s_or_b64 exec, exec, s[16:17]
.LBB268_407:                            ;   in Loop: Header=BB268_366 Depth=1
	s_or_b64 exec, exec, s[12:13]
.LBB268_408:                            ;   in Loop: Header=BB268_366 Depth=1
	s_or_b64 exec, exec, s[0:1]
	v_cmp_lt_u64_e32 vcc, s[4:5], v[9:10]
	v_mov_b32_e32 v41, 0
	s_and_saveexec_b64 s[0:1], vcc
	s_cbranch_execz .LBB268_414
; %bb.409:                              ;   in Loop: Header=BB268_366 Depth=1
	v_lshrrev_b32_e32 v1, 24, v10
	v_cmp_ne_u32_e32 vcc, s24, v1
	v_bfrev_b32_e32 v41, 1
	s_and_saveexec_b64 s[12:13], vcc
	s_cbranch_execz .LBB268_413
; %bb.410:                              ;   in Loop: Header=BB268_366 Depth=1
	v_and_b32_e32 v9, 0x7f, v1
	v_cmp_ne_u32_e32 vcc, s25, v9
	v_mov_b32_e32 v41, 0x7c010000
	s_and_saveexec_b64 s[16:17], vcc
	s_cbranch_execz .LBB268_412
; %bb.411:                              ;   in Loop: Header=BB268_366 Depth=1
	v_and_b32_e32 v10, 7, v1
	v_ffbh_u32_e32 v41, v10
	v_min_u32_e32 v43, 32, v41
	v_subrev_u32_e32 v41, 28, v43
	v_lshlrev_b64 v[41:42], v41, v[1:2]
	v_lshrrev_b32_e32 v26, 3, v9
	v_sub_u32_e32 v42, 29, v43
	v_cmp_gt_u32_e32 vcc, 8, v9
	v_cndmask_b32_e32 v9, v26, v42, vcc
	v_lshlrev_b32_e32 v1, 8, v1
	v_lshl_add_u32 v9, v9, 10, v12
	v_and_b32_e32 v26, 7, v41
	v_and_or_b32 v1, v1, s26, v9
	v_cndmask_b32_e32 v10, v10, v26, vcc
	v_lshlrev_b32_e32 v1, 16, v1
	v_lshl_or_b32 v41, v10, 23, v1
.LBB268_412:                            ;   in Loop: Header=BB268_366 Depth=1
	s_or_b64 exec, exec, s[16:17]
.LBB268_413:                            ;   in Loop: Header=BB268_366 Depth=1
	s_or_b64 exec, exec, s[12:13]
.LBB268_414:                            ;   in Loop: Header=BB268_366 Depth=1
	s_or_b64 exec, exec, s[0:1]
	s_waitcnt vmcnt(0)
	v_fma_mixlo_f16 v9, v27, v32, 0 op_sel:[0,1,0] op_sel_hi:[0,1,0]
	v_fma_mixlo_f16 v10, v27, v29, 0 op_sel:[0,1,0] op_sel_hi:[0,1,0]
	v_or_b32_e32 v1, v32, v30
	v_lshlrev_b32_e32 v42, 16, v9
	v_or_b32_e32 v9, v29, v28
	v_lshlrev_b32_e32 v44, 16, v10
	v_or_b32_e32 v10, v40, v31
	v_or_b32_e32 v11, v41, v11
	v_fma_mixlo_f16 v1, v27, v1, 0 op_sel_hi:[0,1,0]
	v_fma_mixlo_f16 v9, v27, v9, 0 op_sel_hi:[0,1,0]
	v_fma_mixlo_f16 v28, v27, v40, 0 op_sel:[0,1,0] op_sel_hi:[0,1,0]
	v_fma_mixlo_f16 v10, v27, v10, 0 op_sel_hi:[0,1,0]
	v_fma_mixlo_f16 v11, v27, v11, 0 op_sel_hi:[0,1,0]
	v_fma_mixlo_f16 v27, v27, v41, 0 op_sel:[0,1,0] op_sel_hi:[0,1,0]
	v_mov_b32_e32 v58, v45
	v_cmp_eq_u32_e32 vcc, s28, v45
	v_and_b32_e32 v43, 0xffff, v1
	v_and_b32_e32 v47, 0xffff, v9
	v_lshlrev_b32_e32 v40, 16, v28
	v_and_b32_e32 v45, 0xffff, v10
	v_lshlrev_b32_e32 v41, 16, v27
	v_and_b32_e32 v46, 0xffff, v11
	v_add_u32_e32 v26, -7, v24
	v_or_b32_e32 v1, v42, v43
	v_or_b32_e32 v9, v44, v47
	;; [unrolled: 1-line block ×4, first 2 shown]
	v_add_u32_e32 v32, -6, v24
	v_add_u32_e32 v31, -5, v24
	;; [unrolled: 1-line block ×6, first 2 shown]
	s_and_saveexec_b64 s[12:13], vcc
	s_cbranch_execz .LBB268_416
; %bb.415:                              ;   in Loop: Header=BB268_366 Depth=1
	v_cmp_gt_i32_e64 s[0:1], s30, v26
	v_cndmask_b32_e64 v1, 0, v47, s[0:1]
	v_cmp_gt_i32_e64 s[0:1], s30, v32
	v_cndmask_b32_e64 v9, 0, v44, s[0:1]
	v_cmp_gt_i32_e64 s[0:1], s30, v31
	v_or_b32_e32 v9, v9, v1
	v_cndmask_b32_e64 v1, 0, v43, s[0:1]
	v_cmp_gt_i32_e64 s[0:1], s30, v30
	v_cndmask_b32_e64 v10, 0, v42, s[0:1]
	v_cmp_gt_i32_e64 s[0:1], s30, v29
	v_or_b32_e32 v1, v10, v1
	;; [unrolled: 5-line block ×3, first 2 shown]
	v_cndmask_b32_e64 v11, 0, v46, s[0:1]
	v_cmp_gt_i32_e64 s[0:1], s30, v24
	v_cndmask_b32_e64 v40, 0, v41, s[0:1]
	v_or_b32_e32 v11, v40, v11
.LBB268_416:                            ;   in Loop: Header=BB268_366 Depth=1
	s_or_b64 exec, exec, s[12:13]
	v_and_b32_e32 v0, 0xffff, v0
	v_lshl_or_b32 v33, v33, 16, v0
	v_and_b32_e32 v0, 0xffff, v34
	v_lshl_or_b32 v34, v35, 16, v0
	;; [unrolled: 2-line block ×4, first 2 shown]
	;;#ASMSTART
	v_pk_mul_f16 v0, v33, v9;

	;;#ASMEND
	;;#ASMSTART
	v_pk_mul_f16 v1, v34, v1;

	;;#ASMEND
	;; [unrolled: 4-line block ×4, first 2 shown]
	;;#ASMSTART
	v_pk_add_f16 v0, v0, v1;

	;;#ASMEND
	;;#ASMSTART
	v_pk_add_f16 v0, v0, v9;

	;;#ASMEND
	;; [unrolled: 4-line block ×3, first 2 shown]
	v_lshrrev_b32_e32 v1, 16, v0
	v_and_b32_e32 v0, 0xffff, v0
	;;#ASMSTART
	v_cvt_f32_f16 v37, v0;
	;;#ASMEND
	;;#ASMSTART
	v_cvt_f32_f16 v38, v1;
	;;#ASMEND
	global_load_dwordx2 v[9:10], v[7:8], off offset:512
	v_mov_b32_e32 v39, 0
	global_load_dword v0, v39, s[14:15]
	v_mov_b32_e32 v40, 0
	s_waitcnt vmcnt(1)
	v_cmp_ne_u16_sdwa s[0:1], v9, v2 src0_sel:BYTE_0 src1_sel:DWORD
	s_and_saveexec_b64 s[12:13], s[0:1]
	s_cbranch_execz .LBB268_422
; %bb.417:                              ;   in Loop: Header=BB268_366 Depth=1
	v_cmp_ne_u16_sdwa s[0:1], v9, s24 src0_sel:BYTE_0 src1_sel:DWORD
	v_mov_b32_e32 v40, 0x8000
	s_and_saveexec_b64 s[16:17], s[0:1]
	s_cbranch_execz .LBB268_421
; %bb.418:                              ;   in Loop: Header=BB268_366 Depth=1
	v_and_b32_e32 v1, 0x7f, v9
	v_cmp_ne_u32_e64 s[0:1], s25, v1
	v_mov_b32_e32 v40, 0x7c01
	s_and_saveexec_b64 s[18:19], s[0:1]
	s_cbranch_execz .LBB268_420
; %bb.419:                              ;   in Loop: Header=BB268_366 Depth=1
	v_and_b32_e32 v11, 7, v9
	v_ffbh_u32_e32 v40, v11
	v_min_u32_e32 v43, 32, v40
	v_subrev_u32_e32 v40, 28, v43
	v_lshlrev_b64 v[40:41], v40, v[9:10]
	v_lshrrev_b32_e32 v42, 3, v1
	v_sub_u32_e32 v41, 29, v43
	v_cmp_gt_u32_e64 s[0:1], 8, v1
	v_cndmask_b32_e64 v1, v42, v41, s[0:1]
	v_lshl_add_u32 v1, v1, 10, v12
	v_lshlrev_b32_e32 v41, 8, v9
	v_and_b32_e32 v40, 7, v40
	v_and_b32_e32 v1, 0xfc00, v1
	v_cndmask_b32_e64 v11, v11, v40, s[0:1]
	v_and_or_b32 v1, v41, s26, v1
	v_lshl_or_b32 v40, v11, 7, v1
.LBB268_420:                            ;   in Loop: Header=BB268_366 Depth=1
	s_or_b64 exec, exec, s[18:19]
.LBB268_421:                            ;   in Loop: Header=BB268_366 Depth=1
	s_or_b64 exec, exec, s[16:17]
.LBB268_422:                            ;   in Loop: Header=BB268_366 Depth=1
	s_or_b64 exec, exec, s[12:13]
	v_lshrrev_b16_e32 v1, 8, v9
	v_cmp_ne_u16_e64 s[0:1], 0, v1
	s_and_saveexec_b64 s[12:13], s[0:1]
	s_cbranch_execz .LBB268_428
; %bb.423:                              ;   in Loop: Header=BB268_366 Depth=1
	v_cmp_ne_u16_e64 s[0:1], s24, v1
	v_bfrev_b32_e32 v39, 1
	s_and_saveexec_b64 s[16:17], s[0:1]
	s_cbranch_execz .LBB268_427
; %bb.424:                              ;   in Loop: Header=BB268_366 Depth=1
	v_and_b32_e32 v11, 0x7f, v1
	v_cmp_ne_u32_e64 s[0:1], s25, v11
	v_mov_b32_e32 v39, 0x7c010000
	s_and_saveexec_b64 s[18:19], s[0:1]
	s_cbranch_execz .LBB268_426
; %bb.425:                              ;   in Loop: Header=BB268_366 Depth=1
	v_and_b32_e32 v39, 7, v1
	v_ffbh_u32_e32 v41, v39
	v_min_u32_e32 v44, 32, v41
	v_subrev_u32_e32 v41, 28, v44
	v_lshlrev_b64 v[41:42], v41, v[1:2]
	v_lshrrev_b32_e32 v43, 3, v11
	v_sub_u32_e32 v42, 29, v44
	v_cmp_gt_u32_e64 s[0:1], 8, v11
	v_cndmask_b32_e64 v11, v43, v42, s[0:1]
	v_lshlrev_b32_e32 v1, 8, v1
	v_lshl_add_u32 v11, v11, 10, v12
	v_and_b32_e32 v41, 7, v41
	v_and_or_b32 v1, v1, s26, v11
	v_cndmask_b32_e64 v39, v39, v41, s[0:1]
	v_lshlrev_b32_e32 v1, 16, v1
	v_lshl_or_b32 v39, v39, 23, v1
.LBB268_426:                            ;   in Loop: Header=BB268_366 Depth=1
	s_or_b64 exec, exec, s[18:19]
.LBB268_427:                            ;   in Loop: Header=BB268_366 Depth=1
	s_or_b64 exec, exec, s[16:17]
.LBB268_428:                            ;   in Loop: Header=BB268_366 Depth=1
	s_or_b64 exec, exec, s[12:13]
	v_lshrrev_b32_e32 v1, 16, v9
	v_cmp_ne_u16_sdwa s[0:1], v1, v2 src0_sel:BYTE_0 src1_sel:DWORD
	v_mov_b32_e32 v41, 0
	v_mov_b32_e32 v42, 0
	s_and_saveexec_b64 s[12:13], s[0:1]
	s_cbranch_execz .LBB268_434
; %bb.429:                              ;   in Loop: Header=BB268_366 Depth=1
	v_cmp_ne_u16_sdwa s[0:1], v1, s24 src0_sel:BYTE_0 src1_sel:DWORD
	v_mov_b32_e32 v42, 0x8000
	s_and_saveexec_b64 s[16:17], s[0:1]
	s_cbranch_execz .LBB268_433
; %bb.430:                              ;   in Loop: Header=BB268_366 Depth=1
	v_bfe_u32 v11, v9, 16, 7
	v_cmp_ne_u32_e64 s[0:1], s25, v11
	v_mov_b32_e32 v42, 0x7c01
	s_and_saveexec_b64 s[18:19], s[0:1]
	s_cbranch_execz .LBB268_432
; %bb.431:                              ;   in Loop: Header=BB268_366 Depth=1
	v_and_b32_e32 v44, 7, v1
	v_ffbh_u32_e32 v42, v44
	v_min_u32_e32 v46, 32, v42
	v_subrev_u32_e32 v42, 28, v46
	v_lshlrev_b64 v[42:43], v42, v[1:2]
	v_lshrrev_b32_e32 v45, 3, v11
	v_sub_u32_e32 v43, 29, v46
	v_cmp_gt_u32_e64 s[0:1], 8, v11
	v_cndmask_b32_e64 v11, v45, v43, s[0:1]
	v_lshl_add_u32 v11, v11, 10, v12
	v_lshlrev_b32_e32 v1, 8, v1
	v_and_b32_e32 v42, 7, v42
	v_and_b32_e32 v11, 0xfc00, v11
	v_cndmask_b32_e64 v42, v44, v42, s[0:1]
	v_and_or_b32 v1, v1, s26, v11
	v_lshl_or_b32 v42, v42, 7, v1
.LBB268_432:                            ;   in Loop: Header=BB268_366 Depth=1
	s_or_b64 exec, exec, s[18:19]
.LBB268_433:                            ;   in Loop: Header=BB268_366 Depth=1
	s_or_b64 exec, exec, s[16:17]
.LBB268_434:                            ;   in Loop: Header=BB268_366 Depth=1
	s_or_b64 exec, exec, s[12:13]
	v_cmp_lt_u32_e64 s[0:1], s5, v9
	s_and_saveexec_b64 s[12:13], s[0:1]
	s_cbranch_execz .LBB268_440
; %bb.435:                              ;   in Loop: Header=BB268_366 Depth=1
	v_lshrrev_b32_e32 v1, 24, v9
	v_cmp_ne_u32_e64 s[0:1], s24, v1
	v_bfrev_b32_e32 v41, 1
	s_and_saveexec_b64 s[16:17], s[0:1]
	s_cbranch_execz .LBB268_439
; %bb.436:                              ;   in Loop: Header=BB268_366 Depth=1
	v_and_b32_e32 v11, 0x7f, v1
	v_cmp_ne_u32_e64 s[0:1], s25, v11
	v_mov_b32_e32 v41, 0x7c010000
	s_and_saveexec_b64 s[18:19], s[0:1]
	s_cbranch_execz .LBB268_438
; %bb.437:                              ;   in Loop: Header=BB268_366 Depth=1
	v_and_b32_e32 v41, 7, v1
	v_ffbh_u32_e32 v43, v41
	v_min_u32_e32 v46, 32, v43
	v_subrev_u32_e32 v43, 28, v46
	v_lshlrev_b64 v[43:44], v43, v[1:2]
	v_lshrrev_b32_e32 v45, 3, v11
	v_sub_u32_e32 v44, 29, v46
	v_cmp_gt_u32_e64 s[0:1], 8, v11
	v_cndmask_b32_e64 v11, v45, v44, s[0:1]
	v_lshlrev_b32_e32 v1, 8, v1
	v_lshl_add_u32 v11, v11, 10, v12
	v_and_b32_e32 v43, 7, v43
	v_and_or_b32 v1, v1, s26, v11
	v_cndmask_b32_e64 v41, v41, v43, s[0:1]
	v_lshlrev_b32_e32 v1, 16, v1
	v_lshl_or_b32 v41, v41, 23, v1
.LBB268_438:                            ;   in Loop: Header=BB268_366 Depth=1
	s_or_b64 exec, exec, s[18:19]
.LBB268_439:                            ;   in Loop: Header=BB268_366 Depth=1
	s_or_b64 exec, exec, s[16:17]
.LBB268_440:                            ;   in Loop: Header=BB268_366 Depth=1
	s_or_b64 exec, exec, s[12:13]
	v_mov_b32_e32 v1, v10
	v_cmp_ne_u16_sdwa s[0:1], v10, v2 src0_sel:BYTE_0 src1_sel:DWORD
	v_mov_b32_e32 v11, 0
	v_mov_b32_e32 v43, 0
	s_and_saveexec_b64 s[12:13], s[0:1]
	s_cbranch_execz .LBB268_446
; %bb.441:                              ;   in Loop: Header=BB268_366 Depth=1
	v_cmp_ne_u16_sdwa s[0:1], v10, s24 src0_sel:BYTE_0 src1_sel:DWORD
	v_mov_b32_e32 v43, 0x8000
	s_and_saveexec_b64 s[16:17], s[0:1]
	s_cbranch_execz .LBB268_445
; %bb.442:                              ;   in Loop: Header=BB268_366 Depth=1
	v_and_b32_e32 v44, 0x7f, v10
	v_cmp_ne_u32_e64 s[0:1], s25, v44
	v_mov_b32_e32 v43, 0x7c01
	s_and_saveexec_b64 s[18:19], s[0:1]
	s_cbranch_execz .LBB268_444
; %bb.443:                              ;   in Loop: Header=BB268_366 Depth=1
	v_and_b32_e32 v43, 7, v10
	v_ffbh_u32_e32 v45, v43
	v_min_u32_e32 v48, 32, v45
	v_subrev_u32_e32 v45, 28, v48
	v_lshlrev_b64 v[45:46], v45, v[1:2]
	v_lshrrev_b32_e32 v47, 3, v44
	v_sub_u32_e32 v46, 29, v48
	v_cmp_gt_u32_e64 s[0:1], 8, v44
	v_cndmask_b32_e64 v44, v47, v46, s[0:1]
	v_lshl_add_u32 v44, v44, 10, v12
	v_lshlrev_b32_e32 v46, 8, v10
	v_and_b32_e32 v45, 7, v45
	v_and_b32_e32 v44, 0xfc00, v44
	v_cndmask_b32_e64 v43, v43, v45, s[0:1]
	v_and_or_b32 v44, v46, s26, v44
	v_lshl_or_b32 v43, v43, 7, v44
.LBB268_444:                            ;   in Loop: Header=BB268_366 Depth=1
	s_or_b64 exec, exec, s[18:19]
.LBB268_445:                            ;   in Loop: Header=BB268_366 Depth=1
	s_or_b64 exec, exec, s[16:17]
.LBB268_446:                            ;   in Loop: Header=BB268_366 Depth=1
	s_or_b64 exec, exec, s[12:13]
	v_lshrrev_b16_e32 v1, 8, v1
	v_cmp_ne_u16_e64 s[0:1], 0, v1
	v_mov_b32_e32 v44, 0
	s_and_saveexec_b64 s[12:13], s[0:1]
	s_cbranch_execz .LBB268_452
; %bb.447:                              ;   in Loop: Header=BB268_366 Depth=1
	v_cmp_ne_u16_e64 s[0:1], s24, v1
	v_bfrev_b32_e32 v44, 1
	s_and_saveexec_b64 s[16:17], s[0:1]
	s_cbranch_execz .LBB268_451
; %bb.448:                              ;   in Loop: Header=BB268_366 Depth=1
	v_and_b32_e32 v45, 0x7f, v1
	v_cmp_ne_u32_e64 s[0:1], s25, v45
	v_mov_b32_e32 v44, 0x7c010000
	s_and_saveexec_b64 s[18:19], s[0:1]
	s_cbranch_execz .LBB268_450
; %bb.449:                              ;   in Loop: Header=BB268_366 Depth=1
	v_and_b32_e32 v44, 7, v1
	v_ffbh_u32_e32 v46, v44
	v_min_u32_e32 v49, 32, v46
	v_subrev_u32_e32 v46, 28, v49
	v_lshlrev_b64 v[46:47], v46, v[1:2]
	v_lshrrev_b32_e32 v48, 3, v45
	v_sub_u32_e32 v47, 29, v49
	v_cmp_gt_u32_e64 s[0:1], 8, v45
	v_cndmask_b32_e64 v45, v48, v47, s[0:1]
	v_lshlrev_b32_e32 v1, 8, v1
	v_lshl_add_u32 v45, v45, 10, v12
	v_and_b32_e32 v46, 7, v46
	v_and_or_b32 v1, v1, s26, v45
	v_cndmask_b32_e64 v44, v44, v46, s[0:1]
	v_lshlrev_b32_e32 v1, 16, v1
	v_lshl_or_b32 v44, v44, 23, v1
.LBB268_450:                            ;   in Loop: Header=BB268_366 Depth=1
	s_or_b64 exec, exec, s[18:19]
.LBB268_451:                            ;   in Loop: Header=BB268_366 Depth=1
	s_or_b64 exec, exec, s[16:17]
.LBB268_452:                            ;   in Loop: Header=BB268_366 Depth=1
	s_or_b64 exec, exec, s[12:13]
	v_lshrrev_b32_e32 v1, 16, v10
	v_cmp_ne_u16_sdwa s[0:1], v1, v2 src0_sel:BYTE_0 src1_sel:DWORD
	s_and_saveexec_b64 s[12:13], s[0:1]
	s_cbranch_execz .LBB268_458
; %bb.453:                              ;   in Loop: Header=BB268_366 Depth=1
	v_cmp_ne_u16_sdwa s[0:1], v1, s24 src0_sel:BYTE_0 src1_sel:DWORD
	v_mov_b32_e32 v11, 0x8000
	s_and_saveexec_b64 s[16:17], s[0:1]
	s_cbranch_execz .LBB268_457
; %bb.454:                              ;   in Loop: Header=BB268_366 Depth=1
	v_bfe_u32 v45, v10, 16, 7
	v_cmp_ne_u32_e64 s[0:1], s25, v45
	v_mov_b32_e32 v11, 0x7c01
	s_and_saveexec_b64 s[18:19], s[0:1]
	s_cbranch_execz .LBB268_456
; %bb.455:                              ;   in Loop: Header=BB268_366 Depth=1
	v_and_b32_e32 v11, 7, v1
	v_ffbh_u32_e32 v46, v11
	v_min_u32_e32 v49, 32, v46
	v_subrev_u32_e32 v46, 28, v49
	v_lshlrev_b64 v[46:47], v46, v[1:2]
	v_lshrrev_b32_e32 v48, 3, v45
	v_sub_u32_e32 v47, 29, v49
	v_cmp_gt_u32_e64 s[0:1], 8, v45
	v_cndmask_b32_e64 v45, v48, v47, s[0:1]
	v_lshl_add_u32 v45, v45, 10, v12
	v_lshlrev_b32_e32 v1, 8, v1
	v_and_b32_e32 v46, 7, v46
	v_and_b32_e32 v45, 0xfc00, v45
	v_cndmask_b32_e64 v11, v11, v46, s[0:1]
	v_and_or_b32 v1, v1, s26, v45
	v_lshl_or_b32 v11, v11, 7, v1
.LBB268_456:                            ;   in Loop: Header=BB268_366 Depth=1
	s_or_b64 exec, exec, s[18:19]
.LBB268_457:                            ;   in Loop: Header=BB268_366 Depth=1
	s_or_b64 exec, exec, s[16:17]
.LBB268_458:                            ;   in Loop: Header=BB268_366 Depth=1
	s_or_b64 exec, exec, s[12:13]
	v_cmp_lt_u64_e64 s[0:1], s[4:5], v[9:10]
	v_mov_b32_e32 v9, 0
	s_and_saveexec_b64 s[12:13], s[0:1]
	s_cbranch_execz .LBB268_464
; %bb.459:                              ;   in Loop: Header=BB268_366 Depth=1
	v_lshrrev_b32_e32 v1, 24, v10
	v_cmp_ne_u32_e64 s[0:1], s24, v1
	v_bfrev_b32_e32 v9, 1
	s_and_saveexec_b64 s[16:17], s[0:1]
	s_cbranch_execz .LBB268_463
; %bb.460:                              ;   in Loop: Header=BB268_366 Depth=1
	v_and_b32_e32 v10, 0x7f, v1
	v_cmp_ne_u32_e64 s[0:1], s25, v10
	v_mov_b32_e32 v9, 0x7c010000
	s_and_saveexec_b64 s[18:19], s[0:1]
	s_cbranch_execz .LBB268_462
; %bb.461:                              ;   in Loop: Header=BB268_366 Depth=1
	v_and_b32_e32 v9, 7, v1
	v_ffbh_u32_e32 v45, v9
	v_min_u32_e32 v48, 32, v45
	v_subrev_u32_e32 v45, 28, v48
	v_lshlrev_b64 v[45:46], v45, v[1:2]
	v_lshrrev_b32_e32 v47, 3, v10
	v_sub_u32_e32 v46, 29, v48
	v_cmp_gt_u32_e64 s[0:1], 8, v10
	v_cndmask_b32_e64 v10, v47, v46, s[0:1]
	v_lshlrev_b32_e32 v1, 8, v1
	v_lshl_add_u32 v10, v10, 10, v12
	v_and_b32_e32 v45, 7, v45
	v_and_or_b32 v1, v1, s26, v10
	v_cndmask_b32_e64 v9, v9, v45, s[0:1]
	v_lshlrev_b32_e32 v1, 16, v1
	v_lshl_or_b32 v9, v9, 23, v1
.LBB268_462:                            ;   in Loop: Header=BB268_366 Depth=1
	s_or_b64 exec, exec, s[18:19]
.LBB268_463:                            ;   in Loop: Header=BB268_366 Depth=1
	s_or_b64 exec, exec, s[16:17]
.LBB268_464:                            ;   in Loop: Header=BB268_366 Depth=1
	s_or_b64 exec, exec, s[12:13]
	s_waitcnt vmcnt(0)
	v_fma_mixlo_f16 v10, v0, v41, 0 op_sel:[0,1,0] op_sel_hi:[0,1,0]
	v_or_b32_e32 v1, v41, v42
	v_lshlrev_b32_e32 v41, 16, v10
	v_or_b32_e32 v10, v39, v40
	v_fma_mixlo_f16 v39, v0, v39, 0 op_sel:[0,1,0] op_sel_hi:[0,1,0]
	v_lshlrev_b32_e32 v45, 16, v39
	v_or_b32_e32 v39, v44, v43
	v_or_b32_e32 v11, v9, v11
	v_fma_mixlo_f16 v1, v0, v1, 0 op_sel_hi:[0,1,0]
	v_fma_mixlo_f16 v10, v0, v10, 0 op_sel_hi:[0,1,0]
	v_fma_mixlo_f16 v40, v0, v44, 0 op_sel:[0,1,0] op_sel_hi:[0,1,0]
	v_fma_mixlo_f16 v39, v0, v39, 0 op_sel_hi:[0,1,0]
	v_fma_mixlo_f16 v11, v0, v11, 0 op_sel_hi:[0,1,0]
	v_fma_mixlo_f16 v0, v0, v9, 0 op_sel:[0,1,0] op_sel_hi:[0,1,0]
	v_and_b32_e32 v42, 0xffff, v1
	v_and_b32_e32 v46, 0xffff, v10
	v_lshlrev_b32_e32 v40, 16, v40
	v_and_b32_e32 v43, 0xffff, v39
	v_lshlrev_b32_e32 v0, 16, v0
	v_and_b32_e32 v9, 0xffff, v11
	v_or_b32_e32 v1, v41, v42
	v_or_b32_e32 v10, v45, v46
	;; [unrolled: 1-line block ×4, first 2 shown]
	s_and_saveexec_b64 s[12:13], vcc
	s_cbranch_execz .LBB268_466
; %bb.465:                              ;   in Loop: Header=BB268_366 Depth=1
	v_cmp_gt_i32_e64 s[0:1], s30, v26
	v_cndmask_b32_e64 v1, 0, v46, s[0:1]
	v_cmp_gt_i32_e64 s[0:1], s30, v32
	v_cndmask_b32_e64 v10, 0, v45, s[0:1]
	v_cmp_gt_i32_e64 s[0:1], s30, v31
	v_or_b32_e32 v10, v10, v1
	v_cndmask_b32_e64 v1, 0, v42, s[0:1]
	v_cmp_gt_i32_e64 s[0:1], s30, v30
	v_cndmask_b32_e64 v11, 0, v41, s[0:1]
	v_cmp_gt_i32_e64 s[0:1], s30, v29
	v_or_b32_e32 v1, v11, v1
	v_cndmask_b32_e64 v11, 0, v43, s[0:1]
	v_cmp_gt_i32_e64 s[0:1], s30, v28
	v_cndmask_b32_e64 v39, 0, v40, s[0:1]
	v_cmp_gt_i32_e64 s[0:1], s30, v27
	;; [unrolled: 2-line block ×3, first 2 shown]
	v_cndmask_b32_e64 v0, 0, v0, s[0:1]
	v_or_b32_e32 v39, v39, v11
	v_or_b32_e32 v11, v0, v9
.LBB268_466:                            ;   in Loop: Header=BB268_366 Depth=1
	s_or_b64 exec, exec, s[12:13]
	;;#ASMSTART
	v_pk_mul_f16 v0, v33, v10;

	;;#ASMEND
	;;#ASMSTART
	v_pk_mul_f16 v1, v34, v1;

	;;#ASMEND
	;; [unrolled: 4-line block ×4, first 2 shown]
	;;#ASMSTART
	v_pk_add_f16 v0, v0, v1;

	;;#ASMEND
	;;#ASMSTART
	v_pk_add_f16 v0, v0, v9;

	;;#ASMEND
	;;#ASMSTART
	v_pk_add_f16 v0, v0, v10;

	;;#ASMEND
	v_lshrrev_b32_e32 v1, 16, v0
	v_and_b32_e32 v0, 0xffff, v0
	;;#ASMSTART
	v_cvt_f32_f16 v39, v0;
	;;#ASMEND
	;;#ASMSTART
	v_cvt_f32_f16 v40, v1;
	;;#ASMEND
	global_load_dwordx2 v[9:10], v[7:8], off offset:1024
	v_mov_b32_e32 v41, 0
	global_load_dword v0, v41, s[14:15]
	v_mov_b32_e32 v42, 0
	s_waitcnt vmcnt(1)
	v_cmp_ne_u16_sdwa s[0:1], v9, v2 src0_sel:BYTE_0 src1_sel:DWORD
	s_and_saveexec_b64 s[12:13], s[0:1]
	s_cbranch_execz .LBB268_472
; %bb.467:                              ;   in Loop: Header=BB268_366 Depth=1
	v_cmp_ne_u16_sdwa s[0:1], v9, s24 src0_sel:BYTE_0 src1_sel:DWORD
	v_mov_b32_e32 v42, 0x8000
	s_and_saveexec_b64 s[16:17], s[0:1]
	s_cbranch_execz .LBB268_471
; %bb.468:                              ;   in Loop: Header=BB268_366 Depth=1
	v_and_b32_e32 v1, 0x7f, v9
	v_cmp_ne_u32_e64 s[0:1], s25, v1
	v_mov_b32_e32 v42, 0x7c01
	s_and_saveexec_b64 s[18:19], s[0:1]
	s_cbranch_execz .LBB268_470
; %bb.469:                              ;   in Loop: Header=BB268_366 Depth=1
	v_and_b32_e32 v11, 7, v9
	v_ffbh_u32_e32 v42, v11
	v_min_u32_e32 v45, 32, v42
	v_subrev_u32_e32 v42, 28, v45
	v_lshlrev_b64 v[42:43], v42, v[9:10]
	v_lshrrev_b32_e32 v44, 3, v1
	v_sub_u32_e32 v43, 29, v45
	v_cmp_gt_u32_e64 s[0:1], 8, v1
	v_cndmask_b32_e64 v1, v44, v43, s[0:1]
	v_lshl_add_u32 v1, v1, 10, v12
	v_lshlrev_b32_e32 v43, 8, v9
	v_and_b32_e32 v42, 7, v42
	v_and_b32_e32 v1, 0xfc00, v1
	v_cndmask_b32_e64 v11, v11, v42, s[0:1]
	v_and_or_b32 v1, v43, s26, v1
	v_lshl_or_b32 v42, v11, 7, v1
.LBB268_470:                            ;   in Loop: Header=BB268_366 Depth=1
	s_or_b64 exec, exec, s[18:19]
.LBB268_471:                            ;   in Loop: Header=BB268_366 Depth=1
	s_or_b64 exec, exec, s[16:17]
.LBB268_472:                            ;   in Loop: Header=BB268_366 Depth=1
	s_or_b64 exec, exec, s[12:13]
	v_lshrrev_b16_e32 v1, 8, v9
	v_cmp_ne_u16_e64 s[0:1], 0, v1
	s_and_saveexec_b64 s[12:13], s[0:1]
	s_cbranch_execz .LBB268_478
; %bb.473:                              ;   in Loop: Header=BB268_366 Depth=1
	v_cmp_ne_u16_e64 s[0:1], s24, v1
	v_bfrev_b32_e32 v41, 1
	s_and_saveexec_b64 s[16:17], s[0:1]
	s_cbranch_execz .LBB268_477
; %bb.474:                              ;   in Loop: Header=BB268_366 Depth=1
	v_and_b32_e32 v11, 0x7f, v1
	v_cmp_ne_u32_e64 s[0:1], s25, v11
	v_mov_b32_e32 v41, 0x7c010000
	s_and_saveexec_b64 s[18:19], s[0:1]
	s_cbranch_execz .LBB268_476
; %bb.475:                              ;   in Loop: Header=BB268_366 Depth=1
	v_and_b32_e32 v41, 7, v1
	v_ffbh_u32_e32 v43, v41
	v_min_u32_e32 v46, 32, v43
	v_subrev_u32_e32 v43, 28, v46
	v_lshlrev_b64 v[43:44], v43, v[1:2]
	v_lshrrev_b32_e32 v45, 3, v11
	v_sub_u32_e32 v44, 29, v46
	v_cmp_gt_u32_e64 s[0:1], 8, v11
	v_cndmask_b32_e64 v11, v45, v44, s[0:1]
	v_lshlrev_b32_e32 v1, 8, v1
	v_lshl_add_u32 v11, v11, 10, v12
	v_and_b32_e32 v43, 7, v43
	v_and_or_b32 v1, v1, s26, v11
	v_cndmask_b32_e64 v41, v41, v43, s[0:1]
	v_lshlrev_b32_e32 v1, 16, v1
	v_lshl_or_b32 v41, v41, 23, v1
.LBB268_476:                            ;   in Loop: Header=BB268_366 Depth=1
	s_or_b64 exec, exec, s[18:19]
.LBB268_477:                            ;   in Loop: Header=BB268_366 Depth=1
	s_or_b64 exec, exec, s[16:17]
.LBB268_478:                            ;   in Loop: Header=BB268_366 Depth=1
	s_or_b64 exec, exec, s[12:13]
	v_lshrrev_b32_e32 v1, 16, v9
	v_cmp_ne_u16_sdwa s[0:1], v1, v2 src0_sel:BYTE_0 src1_sel:DWORD
	v_mov_b32_e32 v43, 0
	v_mov_b32_e32 v44, 0
	s_and_saveexec_b64 s[12:13], s[0:1]
	s_cbranch_execz .LBB268_484
; %bb.479:                              ;   in Loop: Header=BB268_366 Depth=1
	v_cmp_ne_u16_sdwa s[0:1], v1, s24 src0_sel:BYTE_0 src1_sel:DWORD
	v_mov_b32_e32 v44, 0x8000
	s_and_saveexec_b64 s[16:17], s[0:1]
	s_cbranch_execz .LBB268_483
; %bb.480:                              ;   in Loop: Header=BB268_366 Depth=1
	v_bfe_u32 v11, v9, 16, 7
	v_cmp_ne_u32_e64 s[0:1], s25, v11
	v_mov_b32_e32 v44, 0x7c01
	s_and_saveexec_b64 s[18:19], s[0:1]
	s_cbranch_execz .LBB268_482
; %bb.481:                              ;   in Loop: Header=BB268_366 Depth=1
	v_and_b32_e32 v46, 7, v1
	v_ffbh_u32_e32 v44, v46
	v_min_u32_e32 v48, 32, v44
	v_subrev_u32_e32 v44, 28, v48
	v_lshlrev_b64 v[44:45], v44, v[1:2]
	v_lshrrev_b32_e32 v47, 3, v11
	v_sub_u32_e32 v45, 29, v48
	v_cmp_gt_u32_e64 s[0:1], 8, v11
	v_cndmask_b32_e64 v11, v47, v45, s[0:1]
	v_lshl_add_u32 v11, v11, 10, v12
	v_lshlrev_b32_e32 v1, 8, v1
	v_and_b32_e32 v44, 7, v44
	v_and_b32_e32 v11, 0xfc00, v11
	v_cndmask_b32_e64 v44, v46, v44, s[0:1]
	v_and_or_b32 v1, v1, s26, v11
	v_lshl_or_b32 v44, v44, 7, v1
.LBB268_482:                            ;   in Loop: Header=BB268_366 Depth=1
	s_or_b64 exec, exec, s[18:19]
.LBB268_483:                            ;   in Loop: Header=BB268_366 Depth=1
	s_or_b64 exec, exec, s[16:17]
.LBB268_484:                            ;   in Loop: Header=BB268_366 Depth=1
	s_or_b64 exec, exec, s[12:13]
	v_cmp_lt_u32_e64 s[0:1], s5, v9
	s_and_saveexec_b64 s[12:13], s[0:1]
	s_cbranch_execz .LBB268_490
; %bb.485:                              ;   in Loop: Header=BB268_366 Depth=1
	v_lshrrev_b32_e32 v1, 24, v9
	v_cmp_ne_u32_e64 s[0:1], s24, v1
	v_bfrev_b32_e32 v43, 1
	s_and_saveexec_b64 s[16:17], s[0:1]
	s_cbranch_execz .LBB268_489
; %bb.486:                              ;   in Loop: Header=BB268_366 Depth=1
	v_and_b32_e32 v11, 0x7f, v1
	v_cmp_ne_u32_e64 s[0:1], s25, v11
	v_mov_b32_e32 v43, 0x7c010000
	s_and_saveexec_b64 s[18:19], s[0:1]
	s_cbranch_execz .LBB268_488
; %bb.487:                              ;   in Loop: Header=BB268_366 Depth=1
	v_and_b32_e32 v43, 7, v1
	v_ffbh_u32_e32 v45, v43
	v_min_u32_e32 v48, 32, v45
	v_subrev_u32_e32 v45, 28, v48
	v_lshlrev_b64 v[45:46], v45, v[1:2]
	v_lshrrev_b32_e32 v47, 3, v11
	v_sub_u32_e32 v46, 29, v48
	v_cmp_gt_u32_e64 s[0:1], 8, v11
	v_cndmask_b32_e64 v11, v47, v46, s[0:1]
	v_lshlrev_b32_e32 v1, 8, v1
	v_lshl_add_u32 v11, v11, 10, v12
	v_and_b32_e32 v45, 7, v45
	v_and_or_b32 v1, v1, s26, v11
	v_cndmask_b32_e64 v43, v43, v45, s[0:1]
	v_lshlrev_b32_e32 v1, 16, v1
	v_lshl_or_b32 v43, v43, 23, v1
.LBB268_488:                            ;   in Loop: Header=BB268_366 Depth=1
	s_or_b64 exec, exec, s[18:19]
.LBB268_489:                            ;   in Loop: Header=BB268_366 Depth=1
	s_or_b64 exec, exec, s[16:17]
.LBB268_490:                            ;   in Loop: Header=BB268_366 Depth=1
	s_or_b64 exec, exec, s[12:13]
	v_mov_b32_e32 v1, v10
	v_cmp_ne_u16_sdwa s[0:1], v10, v2 src0_sel:BYTE_0 src1_sel:DWORD
	v_mov_b32_e32 v11, 0
	v_mov_b32_e32 v45, 0
	s_and_saveexec_b64 s[12:13], s[0:1]
	s_cbranch_execz .LBB268_496
; %bb.491:                              ;   in Loop: Header=BB268_366 Depth=1
	v_cmp_ne_u16_sdwa s[0:1], v10, s24 src0_sel:BYTE_0 src1_sel:DWORD
	v_mov_b32_e32 v45, 0x8000
	s_and_saveexec_b64 s[16:17], s[0:1]
	s_cbranch_execz .LBB268_495
; %bb.492:                              ;   in Loop: Header=BB268_366 Depth=1
	v_and_b32_e32 v46, 0x7f, v10
	v_cmp_ne_u32_e64 s[0:1], s25, v46
	v_mov_b32_e32 v45, 0x7c01
	s_and_saveexec_b64 s[18:19], s[0:1]
	s_cbranch_execz .LBB268_494
; %bb.493:                              ;   in Loop: Header=BB268_366 Depth=1
	v_and_b32_e32 v45, 7, v10
	v_ffbh_u32_e32 v47, v45
	v_min_u32_e32 v50, 32, v47
	v_subrev_u32_e32 v47, 28, v50
	v_lshlrev_b64 v[47:48], v47, v[1:2]
	v_lshrrev_b32_e32 v49, 3, v46
	v_sub_u32_e32 v48, 29, v50
	v_cmp_gt_u32_e64 s[0:1], 8, v46
	v_cndmask_b32_e64 v46, v49, v48, s[0:1]
	v_lshl_add_u32 v46, v46, 10, v12
	v_lshlrev_b32_e32 v48, 8, v10
	v_and_b32_e32 v47, 7, v47
	v_and_b32_e32 v46, 0xfc00, v46
	v_cndmask_b32_e64 v45, v45, v47, s[0:1]
	v_and_or_b32 v46, v48, s26, v46
	v_lshl_or_b32 v45, v45, 7, v46
.LBB268_494:                            ;   in Loop: Header=BB268_366 Depth=1
	s_or_b64 exec, exec, s[18:19]
.LBB268_495:                            ;   in Loop: Header=BB268_366 Depth=1
	s_or_b64 exec, exec, s[16:17]
.LBB268_496:                            ;   in Loop: Header=BB268_366 Depth=1
	s_or_b64 exec, exec, s[12:13]
	v_lshrrev_b16_e32 v1, 8, v1
	v_cmp_ne_u16_e64 s[0:1], 0, v1
	v_mov_b32_e32 v46, 0
	s_and_saveexec_b64 s[12:13], s[0:1]
	s_cbranch_execz .LBB268_502
; %bb.497:                              ;   in Loop: Header=BB268_366 Depth=1
	v_cmp_ne_u16_e64 s[0:1], s24, v1
	v_bfrev_b32_e32 v46, 1
	s_and_saveexec_b64 s[16:17], s[0:1]
	s_cbranch_execz .LBB268_501
; %bb.498:                              ;   in Loop: Header=BB268_366 Depth=1
	v_and_b32_e32 v47, 0x7f, v1
	v_cmp_ne_u32_e64 s[0:1], s25, v47
	v_mov_b32_e32 v46, 0x7c010000
	s_and_saveexec_b64 s[18:19], s[0:1]
	s_cbranch_execz .LBB268_500
; %bb.499:                              ;   in Loop: Header=BB268_366 Depth=1
	v_and_b32_e32 v46, 7, v1
	v_ffbh_u32_e32 v48, v46
	v_min_u32_e32 v51, 32, v48
	v_subrev_u32_e32 v48, 28, v51
	v_lshlrev_b64 v[48:49], v48, v[1:2]
	v_lshrrev_b32_e32 v50, 3, v47
	v_sub_u32_e32 v49, 29, v51
	v_cmp_gt_u32_e64 s[0:1], 8, v47
	v_cndmask_b32_e64 v47, v50, v49, s[0:1]
	v_lshlrev_b32_e32 v1, 8, v1
	v_lshl_add_u32 v47, v47, 10, v12
	v_and_b32_e32 v48, 7, v48
	v_and_or_b32 v1, v1, s26, v47
	v_cndmask_b32_e64 v46, v46, v48, s[0:1]
	v_lshlrev_b32_e32 v1, 16, v1
	v_lshl_or_b32 v46, v46, 23, v1
.LBB268_500:                            ;   in Loop: Header=BB268_366 Depth=1
	s_or_b64 exec, exec, s[18:19]
.LBB268_501:                            ;   in Loop: Header=BB268_366 Depth=1
	s_or_b64 exec, exec, s[16:17]
.LBB268_502:                            ;   in Loop: Header=BB268_366 Depth=1
	s_or_b64 exec, exec, s[12:13]
	v_lshrrev_b32_e32 v1, 16, v10
	v_cmp_ne_u16_sdwa s[0:1], v1, v2 src0_sel:BYTE_0 src1_sel:DWORD
	s_and_saveexec_b64 s[12:13], s[0:1]
	s_cbranch_execz .LBB268_508
; %bb.503:                              ;   in Loop: Header=BB268_366 Depth=1
	v_cmp_ne_u16_sdwa s[0:1], v1, s24 src0_sel:BYTE_0 src1_sel:DWORD
	v_mov_b32_e32 v11, 0x8000
	s_and_saveexec_b64 s[16:17], s[0:1]
	s_cbranch_execz .LBB268_507
; %bb.504:                              ;   in Loop: Header=BB268_366 Depth=1
	v_bfe_u32 v47, v10, 16, 7
	v_cmp_ne_u32_e64 s[0:1], s25, v47
	v_mov_b32_e32 v11, 0x7c01
	s_and_saveexec_b64 s[18:19], s[0:1]
	s_cbranch_execz .LBB268_506
; %bb.505:                              ;   in Loop: Header=BB268_366 Depth=1
	v_and_b32_e32 v11, 7, v1
	v_ffbh_u32_e32 v48, v11
	v_min_u32_e32 v51, 32, v48
	v_subrev_u32_e32 v48, 28, v51
	v_lshlrev_b64 v[48:49], v48, v[1:2]
	v_lshrrev_b32_e32 v50, 3, v47
	v_sub_u32_e32 v49, 29, v51
	v_cmp_gt_u32_e64 s[0:1], 8, v47
	v_cndmask_b32_e64 v47, v50, v49, s[0:1]
	v_lshl_add_u32 v47, v47, 10, v12
	v_lshlrev_b32_e32 v1, 8, v1
	v_and_b32_e32 v48, 7, v48
	v_and_b32_e32 v47, 0xfc00, v47
	v_cndmask_b32_e64 v11, v11, v48, s[0:1]
	v_and_or_b32 v1, v1, s26, v47
	v_lshl_or_b32 v11, v11, 7, v1
.LBB268_506:                            ;   in Loop: Header=BB268_366 Depth=1
	s_or_b64 exec, exec, s[18:19]
.LBB268_507:                            ;   in Loop: Header=BB268_366 Depth=1
	s_or_b64 exec, exec, s[16:17]
.LBB268_508:                            ;   in Loop: Header=BB268_366 Depth=1
	s_or_b64 exec, exec, s[12:13]
	v_cmp_lt_u64_e64 s[0:1], s[4:5], v[9:10]
	v_mov_b32_e32 v9, 0
	s_and_saveexec_b64 s[12:13], s[0:1]
	s_cbranch_execz .LBB268_514
; %bb.509:                              ;   in Loop: Header=BB268_366 Depth=1
	v_lshrrev_b32_e32 v1, 24, v10
	v_cmp_ne_u32_e64 s[0:1], s24, v1
	v_bfrev_b32_e32 v9, 1
	s_and_saveexec_b64 s[16:17], s[0:1]
	s_cbranch_execz .LBB268_513
; %bb.510:                              ;   in Loop: Header=BB268_366 Depth=1
	v_and_b32_e32 v10, 0x7f, v1
	v_cmp_ne_u32_e64 s[0:1], s25, v10
	v_mov_b32_e32 v9, 0x7c010000
	s_and_saveexec_b64 s[18:19], s[0:1]
	s_cbranch_execz .LBB268_512
; %bb.511:                              ;   in Loop: Header=BB268_366 Depth=1
	v_and_b32_e32 v9, 7, v1
	v_ffbh_u32_e32 v47, v9
	v_min_u32_e32 v50, 32, v47
	v_subrev_u32_e32 v47, 28, v50
	v_lshlrev_b64 v[47:48], v47, v[1:2]
	v_lshrrev_b32_e32 v49, 3, v10
	v_sub_u32_e32 v48, 29, v50
	v_cmp_gt_u32_e64 s[0:1], 8, v10
	v_cndmask_b32_e64 v10, v49, v48, s[0:1]
	v_lshlrev_b32_e32 v1, 8, v1
	v_lshl_add_u32 v10, v10, 10, v12
	v_and_b32_e32 v47, 7, v47
	v_and_or_b32 v1, v1, s26, v10
	v_cndmask_b32_e64 v9, v9, v47, s[0:1]
	v_lshlrev_b32_e32 v1, 16, v1
	v_lshl_or_b32 v9, v9, 23, v1
.LBB268_512:                            ;   in Loop: Header=BB268_366 Depth=1
	s_or_b64 exec, exec, s[18:19]
.LBB268_513:                            ;   in Loop: Header=BB268_366 Depth=1
	s_or_b64 exec, exec, s[16:17]
.LBB268_514:                            ;   in Loop: Header=BB268_366 Depth=1
	s_or_b64 exec, exec, s[12:13]
	s_waitcnt vmcnt(0)
	v_fma_mixlo_f16 v10, v0, v43, 0 op_sel:[0,1,0] op_sel_hi:[0,1,0]
	v_or_b32_e32 v1, v43, v44
	v_lshlrev_b32_e32 v43, 16, v10
	v_or_b32_e32 v10, v41, v42
	v_fma_mixlo_f16 v41, v0, v41, 0 op_sel:[0,1,0] op_sel_hi:[0,1,0]
	v_lshlrev_b32_e32 v47, 16, v41
	v_or_b32_e32 v41, v46, v45
	v_or_b32_e32 v11, v9, v11
	v_fma_mixlo_f16 v1, v0, v1, 0 op_sel_hi:[0,1,0]
	v_fma_mixlo_f16 v10, v0, v10, 0 op_sel_hi:[0,1,0]
	v_fma_mixlo_f16 v42, v0, v46, 0 op_sel:[0,1,0] op_sel_hi:[0,1,0]
	v_fma_mixlo_f16 v41, v0, v41, 0 op_sel_hi:[0,1,0]
	v_fma_mixlo_f16 v11, v0, v11, 0 op_sel_hi:[0,1,0]
	v_fma_mixlo_f16 v0, v0, v9, 0 op_sel:[0,1,0] op_sel_hi:[0,1,0]
	v_and_b32_e32 v44, 0xffff, v1
	v_and_b32_e32 v48, 0xffff, v10
	v_lshlrev_b32_e32 v42, 16, v42
	v_and_b32_e32 v45, 0xffff, v41
	v_lshlrev_b32_e32 v0, 16, v0
	v_and_b32_e32 v9, 0xffff, v11
	v_or_b32_e32 v1, v43, v44
	v_or_b32_e32 v10, v47, v48
	;; [unrolled: 1-line block ×4, first 2 shown]
	s_and_saveexec_b64 s[12:13], vcc
	s_cbranch_execz .LBB268_516
; %bb.515:                              ;   in Loop: Header=BB268_366 Depth=1
	v_cmp_gt_i32_e64 s[0:1], s30, v26
	v_cndmask_b32_e64 v1, 0, v48, s[0:1]
	v_cmp_gt_i32_e64 s[0:1], s30, v32
	v_cndmask_b32_e64 v10, 0, v47, s[0:1]
	v_cmp_gt_i32_e64 s[0:1], s30, v31
	v_or_b32_e32 v10, v10, v1
	v_cndmask_b32_e64 v1, 0, v44, s[0:1]
	v_cmp_gt_i32_e64 s[0:1], s30, v30
	v_cndmask_b32_e64 v11, 0, v43, s[0:1]
	v_cmp_gt_i32_e64 s[0:1], s30, v29
	v_or_b32_e32 v1, v11, v1
	v_cndmask_b32_e64 v11, 0, v45, s[0:1]
	v_cmp_gt_i32_e64 s[0:1], s30, v28
	v_cndmask_b32_e64 v41, 0, v42, s[0:1]
	v_cmp_gt_i32_e64 s[0:1], s30, v27
	;; [unrolled: 2-line block ×3, first 2 shown]
	v_cndmask_b32_e64 v0, 0, v0, s[0:1]
	v_or_b32_e32 v41, v41, v11
	v_or_b32_e32 v11, v0, v9
.LBB268_516:                            ;   in Loop: Header=BB268_366 Depth=1
	s_or_b64 exec, exec, s[12:13]
	;;#ASMSTART
	v_pk_mul_f16 v0, v33, v10;

	;;#ASMEND
	;;#ASMSTART
	v_pk_mul_f16 v1, v34, v1;

	;;#ASMEND
	;; [unrolled: 4-line block ×4, first 2 shown]
	;;#ASMSTART
	v_pk_add_f16 v0, v0, v1;

	;;#ASMEND
	;;#ASMSTART
	v_pk_add_f16 v0, v0, v9;

	;;#ASMEND
	;; [unrolled: 4-line block ×3, first 2 shown]
	v_lshrrev_b32_e32 v1, 16, v0
	v_and_b32_e32 v0, 0xffff, v0
	;;#ASMSTART
	v_cvt_f32_f16 v41, v0;
	;;#ASMEND
	;;#ASMSTART
	v_cvt_f32_f16 v42, v1;
	;;#ASMEND
	global_load_dwordx2 v[9:10], v[7:8], off offset:1536
	v_mov_b32_e32 v43, 0
	global_load_dword v0, v43, s[14:15]
	v_mov_b32_e32 v44, 0
	s_waitcnt vmcnt(1)
	v_cmp_ne_u16_sdwa s[0:1], v9, v2 src0_sel:BYTE_0 src1_sel:DWORD
	s_and_saveexec_b64 s[12:13], s[0:1]
	s_cbranch_execz .LBB268_522
; %bb.517:                              ;   in Loop: Header=BB268_366 Depth=1
	v_cmp_ne_u16_sdwa s[0:1], v9, s24 src0_sel:BYTE_0 src1_sel:DWORD
	v_mov_b32_e32 v44, 0x8000
	s_and_saveexec_b64 s[16:17], s[0:1]
	s_cbranch_execz .LBB268_521
; %bb.518:                              ;   in Loop: Header=BB268_366 Depth=1
	v_and_b32_e32 v1, 0x7f, v9
	v_cmp_ne_u32_e64 s[0:1], s25, v1
	v_mov_b32_e32 v44, 0x7c01
	s_and_saveexec_b64 s[18:19], s[0:1]
	s_cbranch_execz .LBB268_520
; %bb.519:                              ;   in Loop: Header=BB268_366 Depth=1
	v_and_b32_e32 v11, 7, v9
	v_ffbh_u32_e32 v44, v11
	v_min_u32_e32 v47, 32, v44
	v_subrev_u32_e32 v44, 28, v47
	v_lshlrev_b64 v[44:45], v44, v[9:10]
	v_lshrrev_b32_e32 v46, 3, v1
	v_sub_u32_e32 v45, 29, v47
	v_cmp_gt_u32_e64 s[0:1], 8, v1
	v_cndmask_b32_e64 v1, v46, v45, s[0:1]
	v_lshl_add_u32 v1, v1, 10, v12
	v_lshlrev_b32_e32 v45, 8, v9
	v_and_b32_e32 v44, 7, v44
	v_and_b32_e32 v1, 0xfc00, v1
	v_cndmask_b32_e64 v11, v11, v44, s[0:1]
	v_and_or_b32 v1, v45, s26, v1
	v_lshl_or_b32 v44, v11, 7, v1
.LBB268_520:                            ;   in Loop: Header=BB268_366 Depth=1
	s_or_b64 exec, exec, s[18:19]
.LBB268_521:                            ;   in Loop: Header=BB268_366 Depth=1
	s_or_b64 exec, exec, s[16:17]
.LBB268_522:                            ;   in Loop: Header=BB268_366 Depth=1
	s_or_b64 exec, exec, s[12:13]
	v_lshrrev_b16_e32 v1, 8, v9
	v_cmp_ne_u16_e64 s[0:1], 0, v1
	s_and_saveexec_b64 s[12:13], s[0:1]
	s_cbranch_execz .LBB268_528
; %bb.523:                              ;   in Loop: Header=BB268_366 Depth=1
	v_cmp_ne_u16_e64 s[0:1], s24, v1
	v_bfrev_b32_e32 v43, 1
	s_and_saveexec_b64 s[16:17], s[0:1]
	s_cbranch_execz .LBB268_527
; %bb.524:                              ;   in Loop: Header=BB268_366 Depth=1
	v_and_b32_e32 v11, 0x7f, v1
	v_cmp_ne_u32_e64 s[0:1], s25, v11
	v_mov_b32_e32 v43, 0x7c010000
	s_and_saveexec_b64 s[18:19], s[0:1]
	s_cbranch_execz .LBB268_526
; %bb.525:                              ;   in Loop: Header=BB268_366 Depth=1
	v_and_b32_e32 v43, 7, v1
	v_ffbh_u32_e32 v45, v43
	v_min_u32_e32 v48, 32, v45
	v_subrev_u32_e32 v45, 28, v48
	v_lshlrev_b64 v[45:46], v45, v[1:2]
	v_lshrrev_b32_e32 v47, 3, v11
	v_sub_u32_e32 v46, 29, v48
	v_cmp_gt_u32_e64 s[0:1], 8, v11
	v_cndmask_b32_e64 v11, v47, v46, s[0:1]
	v_lshlrev_b32_e32 v1, 8, v1
	v_lshl_add_u32 v11, v11, 10, v12
	v_and_b32_e32 v45, 7, v45
	v_and_or_b32 v1, v1, s26, v11
	v_cndmask_b32_e64 v43, v43, v45, s[0:1]
	v_lshlrev_b32_e32 v1, 16, v1
	v_lshl_or_b32 v43, v43, 23, v1
.LBB268_526:                            ;   in Loop: Header=BB268_366 Depth=1
	s_or_b64 exec, exec, s[18:19]
.LBB268_527:                            ;   in Loop: Header=BB268_366 Depth=1
	s_or_b64 exec, exec, s[16:17]
.LBB268_528:                            ;   in Loop: Header=BB268_366 Depth=1
	s_or_b64 exec, exec, s[12:13]
	v_lshrrev_b32_e32 v1, 16, v9
	v_cmp_ne_u16_sdwa s[0:1], v1, v2 src0_sel:BYTE_0 src1_sel:DWORD
	v_mov_b32_e32 v45, 0
	v_mov_b32_e32 v46, 0
	s_and_saveexec_b64 s[12:13], s[0:1]
	s_cbranch_execz .LBB268_534
; %bb.529:                              ;   in Loop: Header=BB268_366 Depth=1
	v_cmp_ne_u16_sdwa s[0:1], v1, s24 src0_sel:BYTE_0 src1_sel:DWORD
	v_mov_b32_e32 v46, 0x8000
	s_and_saveexec_b64 s[16:17], s[0:1]
	s_cbranch_execz .LBB268_533
; %bb.530:                              ;   in Loop: Header=BB268_366 Depth=1
	v_bfe_u32 v11, v9, 16, 7
	v_cmp_ne_u32_e64 s[0:1], s25, v11
	v_mov_b32_e32 v46, 0x7c01
	s_and_saveexec_b64 s[18:19], s[0:1]
	s_cbranch_execz .LBB268_532
; %bb.531:                              ;   in Loop: Header=BB268_366 Depth=1
	v_and_b32_e32 v48, 7, v1
	v_ffbh_u32_e32 v46, v48
	v_min_u32_e32 v50, 32, v46
	v_subrev_u32_e32 v46, 28, v50
	v_lshlrev_b64 v[46:47], v46, v[1:2]
	v_lshrrev_b32_e32 v49, 3, v11
	v_sub_u32_e32 v47, 29, v50
	v_cmp_gt_u32_e64 s[0:1], 8, v11
	v_cndmask_b32_e64 v11, v49, v47, s[0:1]
	v_lshl_add_u32 v11, v11, 10, v12
	v_lshlrev_b32_e32 v1, 8, v1
	v_and_b32_e32 v46, 7, v46
	v_and_b32_e32 v11, 0xfc00, v11
	v_cndmask_b32_e64 v46, v48, v46, s[0:1]
	v_and_or_b32 v1, v1, s26, v11
	v_lshl_or_b32 v46, v46, 7, v1
.LBB268_532:                            ;   in Loop: Header=BB268_366 Depth=1
	s_or_b64 exec, exec, s[18:19]
.LBB268_533:                            ;   in Loop: Header=BB268_366 Depth=1
	s_or_b64 exec, exec, s[16:17]
.LBB268_534:                            ;   in Loop: Header=BB268_366 Depth=1
	s_or_b64 exec, exec, s[12:13]
	v_cmp_lt_u32_e64 s[0:1], s5, v9
	s_and_saveexec_b64 s[12:13], s[0:1]
	s_cbranch_execz .LBB268_540
; %bb.535:                              ;   in Loop: Header=BB268_366 Depth=1
	v_lshrrev_b32_e32 v1, 24, v9
	v_cmp_ne_u32_e64 s[0:1], s24, v1
	v_bfrev_b32_e32 v45, 1
	s_and_saveexec_b64 s[16:17], s[0:1]
	s_cbranch_execz .LBB268_539
; %bb.536:                              ;   in Loop: Header=BB268_366 Depth=1
	v_and_b32_e32 v11, 0x7f, v1
	v_cmp_ne_u32_e64 s[0:1], s25, v11
	v_mov_b32_e32 v45, 0x7c010000
	s_and_saveexec_b64 s[18:19], s[0:1]
	s_cbranch_execz .LBB268_538
; %bb.537:                              ;   in Loop: Header=BB268_366 Depth=1
	v_and_b32_e32 v45, 7, v1
	v_ffbh_u32_e32 v47, v45
	v_min_u32_e32 v50, 32, v47
	v_subrev_u32_e32 v47, 28, v50
	v_lshlrev_b64 v[47:48], v47, v[1:2]
	v_lshrrev_b32_e32 v49, 3, v11
	v_sub_u32_e32 v48, 29, v50
	v_cmp_gt_u32_e64 s[0:1], 8, v11
	v_cndmask_b32_e64 v11, v49, v48, s[0:1]
	v_lshlrev_b32_e32 v1, 8, v1
	v_lshl_add_u32 v11, v11, 10, v12
	v_and_b32_e32 v47, 7, v47
	v_and_or_b32 v1, v1, s26, v11
	v_cndmask_b32_e64 v45, v45, v47, s[0:1]
	v_lshlrev_b32_e32 v1, 16, v1
	v_lshl_or_b32 v45, v45, 23, v1
.LBB268_538:                            ;   in Loop: Header=BB268_366 Depth=1
	s_or_b64 exec, exec, s[18:19]
.LBB268_539:                            ;   in Loop: Header=BB268_366 Depth=1
	s_or_b64 exec, exec, s[16:17]
.LBB268_540:                            ;   in Loop: Header=BB268_366 Depth=1
	s_or_b64 exec, exec, s[12:13]
	v_mov_b32_e32 v1, v10
	v_cmp_ne_u16_sdwa s[0:1], v10, v2 src0_sel:BYTE_0 src1_sel:DWORD
	v_mov_b32_e32 v11, 0
	v_mov_b32_e32 v47, 0
	s_and_saveexec_b64 s[12:13], s[0:1]
	s_cbranch_execz .LBB268_546
; %bb.541:                              ;   in Loop: Header=BB268_366 Depth=1
	v_cmp_ne_u16_sdwa s[0:1], v10, s24 src0_sel:BYTE_0 src1_sel:DWORD
	v_mov_b32_e32 v47, 0x8000
	s_and_saveexec_b64 s[16:17], s[0:1]
	s_cbranch_execz .LBB268_545
; %bb.542:                              ;   in Loop: Header=BB268_366 Depth=1
	v_and_b32_e32 v48, 0x7f, v10
	v_cmp_ne_u32_e64 s[0:1], s25, v48
	v_mov_b32_e32 v47, 0x7c01
	s_and_saveexec_b64 s[18:19], s[0:1]
	s_cbranch_execz .LBB268_544
; %bb.543:                              ;   in Loop: Header=BB268_366 Depth=1
	v_and_b32_e32 v47, 7, v10
	v_ffbh_u32_e32 v49, v47
	v_min_u32_e32 v52, 32, v49
	v_subrev_u32_e32 v49, 28, v52
	v_lshlrev_b64 v[49:50], v49, v[1:2]
	v_lshrrev_b32_e32 v51, 3, v48
	v_sub_u32_e32 v50, 29, v52
	v_cmp_gt_u32_e64 s[0:1], 8, v48
	v_cndmask_b32_e64 v48, v51, v50, s[0:1]
	v_lshl_add_u32 v48, v48, 10, v12
	v_lshlrev_b32_e32 v50, 8, v10
	v_and_b32_e32 v49, 7, v49
	v_and_b32_e32 v48, 0xfc00, v48
	v_cndmask_b32_e64 v47, v47, v49, s[0:1]
	v_and_or_b32 v48, v50, s26, v48
	v_lshl_or_b32 v47, v47, 7, v48
.LBB268_544:                            ;   in Loop: Header=BB268_366 Depth=1
	s_or_b64 exec, exec, s[18:19]
.LBB268_545:                            ;   in Loop: Header=BB268_366 Depth=1
	s_or_b64 exec, exec, s[16:17]
.LBB268_546:                            ;   in Loop: Header=BB268_366 Depth=1
	s_or_b64 exec, exec, s[12:13]
	v_lshrrev_b16_e32 v1, 8, v1
	v_cmp_ne_u16_e64 s[0:1], 0, v1
	v_mov_b32_e32 v48, 0
	s_and_saveexec_b64 s[12:13], s[0:1]
	s_cbranch_execz .LBB268_552
; %bb.547:                              ;   in Loop: Header=BB268_366 Depth=1
	v_cmp_ne_u16_e64 s[0:1], s24, v1
	v_bfrev_b32_e32 v48, 1
	s_and_saveexec_b64 s[16:17], s[0:1]
	s_cbranch_execz .LBB268_551
; %bb.548:                              ;   in Loop: Header=BB268_366 Depth=1
	v_and_b32_e32 v49, 0x7f, v1
	v_cmp_ne_u32_e64 s[0:1], s25, v49
	v_mov_b32_e32 v48, 0x7c010000
	s_and_saveexec_b64 s[18:19], s[0:1]
	s_cbranch_execz .LBB268_550
; %bb.549:                              ;   in Loop: Header=BB268_366 Depth=1
	v_and_b32_e32 v48, 7, v1
	v_ffbh_u32_e32 v50, v48
	v_min_u32_e32 v53, 32, v50
	v_subrev_u32_e32 v50, 28, v53
	v_lshlrev_b64 v[50:51], v50, v[1:2]
	v_lshrrev_b32_e32 v52, 3, v49
	v_sub_u32_e32 v51, 29, v53
	v_cmp_gt_u32_e64 s[0:1], 8, v49
	v_cndmask_b32_e64 v49, v52, v51, s[0:1]
	v_lshlrev_b32_e32 v1, 8, v1
	v_lshl_add_u32 v49, v49, 10, v12
	v_and_b32_e32 v50, 7, v50
	v_and_or_b32 v1, v1, s26, v49
	v_cndmask_b32_e64 v48, v48, v50, s[0:1]
	v_lshlrev_b32_e32 v1, 16, v1
	v_lshl_or_b32 v48, v48, 23, v1
.LBB268_550:                            ;   in Loop: Header=BB268_366 Depth=1
	s_or_b64 exec, exec, s[18:19]
.LBB268_551:                            ;   in Loop: Header=BB268_366 Depth=1
	s_or_b64 exec, exec, s[16:17]
.LBB268_552:                            ;   in Loop: Header=BB268_366 Depth=1
	s_or_b64 exec, exec, s[12:13]
	v_lshrrev_b32_e32 v1, 16, v10
	v_cmp_ne_u16_sdwa s[0:1], v1, v2 src0_sel:BYTE_0 src1_sel:DWORD
	s_and_saveexec_b64 s[12:13], s[0:1]
	s_cbranch_execz .LBB268_558
; %bb.553:                              ;   in Loop: Header=BB268_366 Depth=1
	v_cmp_ne_u16_sdwa s[0:1], v1, s24 src0_sel:BYTE_0 src1_sel:DWORD
	v_mov_b32_e32 v11, 0x8000
	s_and_saveexec_b64 s[16:17], s[0:1]
	s_cbranch_execz .LBB268_557
; %bb.554:                              ;   in Loop: Header=BB268_366 Depth=1
	v_bfe_u32 v49, v10, 16, 7
	v_cmp_ne_u32_e64 s[0:1], s25, v49
	v_mov_b32_e32 v11, 0x7c01
	s_and_saveexec_b64 s[18:19], s[0:1]
	s_cbranch_execz .LBB268_556
; %bb.555:                              ;   in Loop: Header=BB268_366 Depth=1
	v_and_b32_e32 v11, 7, v1
	v_ffbh_u32_e32 v50, v11
	v_min_u32_e32 v53, 32, v50
	v_subrev_u32_e32 v50, 28, v53
	v_lshlrev_b64 v[50:51], v50, v[1:2]
	v_lshrrev_b32_e32 v52, 3, v49
	v_sub_u32_e32 v51, 29, v53
	v_cmp_gt_u32_e64 s[0:1], 8, v49
	v_cndmask_b32_e64 v49, v52, v51, s[0:1]
	v_lshl_add_u32 v49, v49, 10, v12
	v_lshlrev_b32_e32 v1, 8, v1
	v_and_b32_e32 v50, 7, v50
	v_and_b32_e32 v49, 0xfc00, v49
	v_cndmask_b32_e64 v11, v11, v50, s[0:1]
	v_and_or_b32 v1, v1, s26, v49
	v_lshl_or_b32 v11, v11, 7, v1
.LBB268_556:                            ;   in Loop: Header=BB268_366 Depth=1
	s_or_b64 exec, exec, s[18:19]
.LBB268_557:                            ;   in Loop: Header=BB268_366 Depth=1
	s_or_b64 exec, exec, s[16:17]
.LBB268_558:                            ;   in Loop: Header=BB268_366 Depth=1
	s_or_b64 exec, exec, s[12:13]
	v_cmp_lt_u64_e64 s[0:1], s[4:5], v[9:10]
	v_mov_b32_e32 v9, 0
	s_and_saveexec_b64 s[12:13], s[0:1]
	s_cbranch_execz .LBB268_564
; %bb.559:                              ;   in Loop: Header=BB268_366 Depth=1
	v_lshrrev_b32_e32 v1, 24, v10
	v_cmp_ne_u32_e64 s[0:1], s24, v1
	v_bfrev_b32_e32 v9, 1
	s_and_saveexec_b64 s[16:17], s[0:1]
	s_cbranch_execz .LBB268_563
; %bb.560:                              ;   in Loop: Header=BB268_366 Depth=1
	v_and_b32_e32 v10, 0x7f, v1
	v_cmp_ne_u32_e64 s[0:1], s25, v10
	v_mov_b32_e32 v9, 0x7c010000
	s_and_saveexec_b64 s[18:19], s[0:1]
	s_cbranch_execz .LBB268_562
; %bb.561:                              ;   in Loop: Header=BB268_366 Depth=1
	v_and_b32_e32 v9, 7, v1
	v_ffbh_u32_e32 v49, v9
	v_min_u32_e32 v52, 32, v49
	v_subrev_u32_e32 v49, 28, v52
	v_lshlrev_b64 v[49:50], v49, v[1:2]
	v_lshrrev_b32_e32 v51, 3, v10
	v_sub_u32_e32 v50, 29, v52
	v_cmp_gt_u32_e64 s[0:1], 8, v10
	v_cndmask_b32_e64 v10, v51, v50, s[0:1]
	v_lshlrev_b32_e32 v1, 8, v1
	v_lshl_add_u32 v10, v10, 10, v12
	v_and_b32_e32 v49, 7, v49
	v_and_or_b32 v1, v1, s26, v10
	v_cndmask_b32_e64 v9, v9, v49, s[0:1]
	v_lshlrev_b32_e32 v1, 16, v1
	v_lshl_or_b32 v9, v9, 23, v1
.LBB268_562:                            ;   in Loop: Header=BB268_366 Depth=1
	s_or_b64 exec, exec, s[18:19]
.LBB268_563:                            ;   in Loop: Header=BB268_366 Depth=1
	s_or_b64 exec, exec, s[16:17]
.LBB268_564:                            ;   in Loop: Header=BB268_366 Depth=1
	s_or_b64 exec, exec, s[12:13]
	s_waitcnt vmcnt(0)
	v_fma_mixlo_f16 v10, v0, v45, 0 op_sel:[0,1,0] op_sel_hi:[0,1,0]
	v_or_b32_e32 v1, v45, v46
	v_lshlrev_b32_e32 v45, 16, v10
	v_or_b32_e32 v10, v43, v44
	v_fma_mixlo_f16 v43, v0, v43, 0 op_sel:[0,1,0] op_sel_hi:[0,1,0]
	v_lshlrev_b32_e32 v49, 16, v43
	v_or_b32_e32 v43, v48, v47
	v_or_b32_e32 v11, v9, v11
	v_fma_mixlo_f16 v1, v0, v1, 0 op_sel_hi:[0,1,0]
	v_fma_mixlo_f16 v10, v0, v10, 0 op_sel_hi:[0,1,0]
	v_fma_mixlo_f16 v44, v0, v48, 0 op_sel:[0,1,0] op_sel_hi:[0,1,0]
	v_fma_mixlo_f16 v43, v0, v43, 0 op_sel_hi:[0,1,0]
	v_fma_mixlo_f16 v11, v0, v11, 0 op_sel_hi:[0,1,0]
	v_fma_mixlo_f16 v0, v0, v9, 0 op_sel:[0,1,0] op_sel_hi:[0,1,0]
	v_and_b32_e32 v46, 0xffff, v1
	v_and_b32_e32 v50, 0xffff, v10
	v_lshlrev_b32_e32 v44, 16, v44
	v_and_b32_e32 v47, 0xffff, v43
	v_lshlrev_b32_e32 v0, 16, v0
	v_and_b32_e32 v9, 0xffff, v11
	v_or_b32_e32 v1, v45, v46
	v_or_b32_e32 v10, v49, v50
	;; [unrolled: 1-line block ×4, first 2 shown]
	s_and_saveexec_b64 s[12:13], vcc
	s_cbranch_execz .LBB268_566
; %bb.565:                              ;   in Loop: Header=BB268_366 Depth=1
	v_cmp_gt_i32_e64 s[0:1], s30, v26
	v_cndmask_b32_e64 v1, 0, v50, s[0:1]
	v_cmp_gt_i32_e64 s[0:1], s30, v32
	v_cndmask_b32_e64 v10, 0, v49, s[0:1]
	v_cmp_gt_i32_e64 s[0:1], s30, v31
	v_or_b32_e32 v10, v10, v1
	v_cndmask_b32_e64 v1, 0, v46, s[0:1]
	v_cmp_gt_i32_e64 s[0:1], s30, v30
	v_cndmask_b32_e64 v11, 0, v45, s[0:1]
	v_cmp_gt_i32_e64 s[0:1], s30, v29
	v_or_b32_e32 v1, v11, v1
	v_cndmask_b32_e64 v11, 0, v47, s[0:1]
	v_cmp_gt_i32_e64 s[0:1], s30, v28
	v_cndmask_b32_e64 v43, 0, v44, s[0:1]
	v_cmp_gt_i32_e64 s[0:1], s30, v27
	v_cndmask_b32_e64 v9, 0, v9, s[0:1]
	v_cmp_gt_i32_e64 s[0:1], s30, v24
	v_cndmask_b32_e64 v0, 0, v0, s[0:1]
	v_or_b32_e32 v43, v43, v11
	v_or_b32_e32 v11, v0, v9
.LBB268_566:                            ;   in Loop: Header=BB268_366 Depth=1
	s_or_b64 exec, exec, s[12:13]
	;;#ASMSTART
	v_pk_mul_f16 v0, v33, v10;

	;;#ASMEND
	;;#ASMSTART
	v_pk_mul_f16 v1, v34, v1;

	;;#ASMEND
	;; [unrolled: 4-line block ×4, first 2 shown]
	;;#ASMSTART
	v_pk_add_f16 v0, v0, v1;

	;;#ASMEND
	;;#ASMSTART
	v_pk_add_f16 v0, v0, v9;

	;;#ASMEND
	;; [unrolled: 4-line block ×3, first 2 shown]
	v_lshrrev_b32_e32 v1, 16, v0
	v_and_b32_e32 v0, 0xffff, v0
	;;#ASMSTART
	v_cvt_f32_f16 v43, v0;
	;;#ASMEND
	;;#ASMSTART
	v_cvt_f32_f16 v44, v1;
	;;#ASMEND
	global_load_dwordx2 v[9:10], v[7:8], off offset:2048
	v_mov_b32_e32 v45, 0
	global_load_dword v0, v45, s[14:15]
	v_mov_b32_e32 v46, 0
	s_waitcnt vmcnt(1)
	v_cmp_ne_u16_sdwa s[0:1], v9, v2 src0_sel:BYTE_0 src1_sel:DWORD
	s_and_saveexec_b64 s[12:13], s[0:1]
	s_cbranch_execz .LBB268_572
; %bb.567:                              ;   in Loop: Header=BB268_366 Depth=1
	v_cmp_ne_u16_sdwa s[0:1], v9, s24 src0_sel:BYTE_0 src1_sel:DWORD
	v_mov_b32_e32 v46, 0x8000
	s_and_saveexec_b64 s[16:17], s[0:1]
	s_cbranch_execz .LBB268_571
; %bb.568:                              ;   in Loop: Header=BB268_366 Depth=1
	v_and_b32_e32 v1, 0x7f, v9
	v_cmp_ne_u32_e64 s[0:1], s25, v1
	v_mov_b32_e32 v46, 0x7c01
	s_and_saveexec_b64 s[18:19], s[0:1]
	s_cbranch_execz .LBB268_570
; %bb.569:                              ;   in Loop: Header=BB268_366 Depth=1
	v_and_b32_e32 v11, 7, v9
	v_ffbh_u32_e32 v46, v11
	v_min_u32_e32 v49, 32, v46
	v_subrev_u32_e32 v46, 28, v49
	v_lshlrev_b64 v[46:47], v46, v[9:10]
	v_lshrrev_b32_e32 v48, 3, v1
	v_sub_u32_e32 v47, 29, v49
	v_cmp_gt_u32_e64 s[0:1], 8, v1
	v_cndmask_b32_e64 v1, v48, v47, s[0:1]
	v_lshl_add_u32 v1, v1, 10, v12
	v_lshlrev_b32_e32 v47, 8, v9
	v_and_b32_e32 v46, 7, v46
	v_and_b32_e32 v1, 0xfc00, v1
	v_cndmask_b32_e64 v11, v11, v46, s[0:1]
	v_and_or_b32 v1, v47, s26, v1
	v_lshl_or_b32 v46, v11, 7, v1
.LBB268_570:                            ;   in Loop: Header=BB268_366 Depth=1
	s_or_b64 exec, exec, s[18:19]
.LBB268_571:                            ;   in Loop: Header=BB268_366 Depth=1
	s_or_b64 exec, exec, s[16:17]
.LBB268_572:                            ;   in Loop: Header=BB268_366 Depth=1
	s_or_b64 exec, exec, s[12:13]
	v_lshrrev_b16_e32 v1, 8, v9
	v_cmp_ne_u16_e64 s[0:1], 0, v1
	s_and_saveexec_b64 s[12:13], s[0:1]
	s_cbranch_execz .LBB268_578
; %bb.573:                              ;   in Loop: Header=BB268_366 Depth=1
	v_cmp_ne_u16_e64 s[0:1], s24, v1
	v_bfrev_b32_e32 v45, 1
	s_and_saveexec_b64 s[16:17], s[0:1]
	s_cbranch_execz .LBB268_577
; %bb.574:                              ;   in Loop: Header=BB268_366 Depth=1
	v_and_b32_e32 v11, 0x7f, v1
	v_cmp_ne_u32_e64 s[0:1], s25, v11
	v_mov_b32_e32 v45, 0x7c010000
	s_and_saveexec_b64 s[18:19], s[0:1]
	s_cbranch_execz .LBB268_576
; %bb.575:                              ;   in Loop: Header=BB268_366 Depth=1
	v_and_b32_e32 v45, 7, v1
	v_ffbh_u32_e32 v47, v45
	v_min_u32_e32 v50, 32, v47
	v_subrev_u32_e32 v47, 28, v50
	v_lshlrev_b64 v[47:48], v47, v[1:2]
	v_lshrrev_b32_e32 v49, 3, v11
	v_sub_u32_e32 v48, 29, v50
	v_cmp_gt_u32_e64 s[0:1], 8, v11
	v_cndmask_b32_e64 v11, v49, v48, s[0:1]
	v_lshlrev_b32_e32 v1, 8, v1
	v_lshl_add_u32 v11, v11, 10, v12
	v_and_b32_e32 v47, 7, v47
	v_and_or_b32 v1, v1, s26, v11
	v_cndmask_b32_e64 v45, v45, v47, s[0:1]
	v_lshlrev_b32_e32 v1, 16, v1
	v_lshl_or_b32 v45, v45, 23, v1
.LBB268_576:                            ;   in Loop: Header=BB268_366 Depth=1
	s_or_b64 exec, exec, s[18:19]
.LBB268_577:                            ;   in Loop: Header=BB268_366 Depth=1
	s_or_b64 exec, exec, s[16:17]
.LBB268_578:                            ;   in Loop: Header=BB268_366 Depth=1
	s_or_b64 exec, exec, s[12:13]
	v_lshrrev_b32_e32 v1, 16, v9
	v_cmp_ne_u16_sdwa s[0:1], v1, v2 src0_sel:BYTE_0 src1_sel:DWORD
	v_mov_b32_e32 v47, 0
	v_mov_b32_e32 v48, 0
	s_and_saveexec_b64 s[12:13], s[0:1]
	s_cbranch_execz .LBB268_584
; %bb.579:                              ;   in Loop: Header=BB268_366 Depth=1
	v_cmp_ne_u16_sdwa s[0:1], v1, s24 src0_sel:BYTE_0 src1_sel:DWORD
	v_mov_b32_e32 v48, 0x8000
	s_and_saveexec_b64 s[16:17], s[0:1]
	s_cbranch_execz .LBB268_583
; %bb.580:                              ;   in Loop: Header=BB268_366 Depth=1
	v_bfe_u32 v11, v9, 16, 7
	v_cmp_ne_u32_e64 s[0:1], s25, v11
	v_mov_b32_e32 v48, 0x7c01
	s_and_saveexec_b64 s[18:19], s[0:1]
	s_cbranch_execz .LBB268_582
; %bb.581:                              ;   in Loop: Header=BB268_366 Depth=1
	v_and_b32_e32 v50, 7, v1
	v_ffbh_u32_e32 v48, v50
	v_min_u32_e32 v52, 32, v48
	v_subrev_u32_e32 v48, 28, v52
	v_lshlrev_b64 v[48:49], v48, v[1:2]
	v_lshrrev_b32_e32 v51, 3, v11
	v_sub_u32_e32 v49, 29, v52
	v_cmp_gt_u32_e64 s[0:1], 8, v11
	v_cndmask_b32_e64 v11, v51, v49, s[0:1]
	v_lshl_add_u32 v11, v11, 10, v12
	v_lshlrev_b32_e32 v1, 8, v1
	v_and_b32_e32 v48, 7, v48
	v_and_b32_e32 v11, 0xfc00, v11
	v_cndmask_b32_e64 v48, v50, v48, s[0:1]
	v_and_or_b32 v1, v1, s26, v11
	v_lshl_or_b32 v48, v48, 7, v1
.LBB268_582:                            ;   in Loop: Header=BB268_366 Depth=1
	s_or_b64 exec, exec, s[18:19]
.LBB268_583:                            ;   in Loop: Header=BB268_366 Depth=1
	s_or_b64 exec, exec, s[16:17]
.LBB268_584:                            ;   in Loop: Header=BB268_366 Depth=1
	s_or_b64 exec, exec, s[12:13]
	v_cmp_lt_u32_e64 s[0:1], s5, v9
	s_and_saveexec_b64 s[12:13], s[0:1]
	s_cbranch_execz .LBB268_590
; %bb.585:                              ;   in Loop: Header=BB268_366 Depth=1
	v_lshrrev_b32_e32 v1, 24, v9
	v_cmp_ne_u32_e64 s[0:1], s24, v1
	v_bfrev_b32_e32 v47, 1
	s_and_saveexec_b64 s[16:17], s[0:1]
	s_cbranch_execz .LBB268_589
; %bb.586:                              ;   in Loop: Header=BB268_366 Depth=1
	v_and_b32_e32 v11, 0x7f, v1
	v_cmp_ne_u32_e64 s[0:1], s25, v11
	v_mov_b32_e32 v47, 0x7c010000
	s_and_saveexec_b64 s[18:19], s[0:1]
	s_cbranch_execz .LBB268_588
; %bb.587:                              ;   in Loop: Header=BB268_366 Depth=1
	v_and_b32_e32 v47, 7, v1
	v_ffbh_u32_e32 v49, v47
	v_min_u32_e32 v52, 32, v49
	v_subrev_u32_e32 v49, 28, v52
	v_lshlrev_b64 v[49:50], v49, v[1:2]
	v_lshrrev_b32_e32 v51, 3, v11
	v_sub_u32_e32 v50, 29, v52
	v_cmp_gt_u32_e64 s[0:1], 8, v11
	v_cndmask_b32_e64 v11, v51, v50, s[0:1]
	v_lshlrev_b32_e32 v1, 8, v1
	v_lshl_add_u32 v11, v11, 10, v12
	v_and_b32_e32 v49, 7, v49
	v_and_or_b32 v1, v1, s26, v11
	v_cndmask_b32_e64 v47, v47, v49, s[0:1]
	v_lshlrev_b32_e32 v1, 16, v1
	v_lshl_or_b32 v47, v47, 23, v1
.LBB268_588:                            ;   in Loop: Header=BB268_366 Depth=1
	s_or_b64 exec, exec, s[18:19]
.LBB268_589:                            ;   in Loop: Header=BB268_366 Depth=1
	s_or_b64 exec, exec, s[16:17]
.LBB268_590:                            ;   in Loop: Header=BB268_366 Depth=1
	s_or_b64 exec, exec, s[12:13]
	v_mov_b32_e32 v1, v10
	v_cmp_ne_u16_sdwa s[0:1], v10, v2 src0_sel:BYTE_0 src1_sel:DWORD
	v_mov_b32_e32 v11, 0
	v_mov_b32_e32 v49, 0
	s_and_saveexec_b64 s[12:13], s[0:1]
	s_cbranch_execz .LBB268_596
; %bb.591:                              ;   in Loop: Header=BB268_366 Depth=1
	v_cmp_ne_u16_sdwa s[0:1], v10, s24 src0_sel:BYTE_0 src1_sel:DWORD
	v_mov_b32_e32 v49, 0x8000
	s_and_saveexec_b64 s[16:17], s[0:1]
	s_cbranch_execz .LBB268_595
; %bb.592:                              ;   in Loop: Header=BB268_366 Depth=1
	v_and_b32_e32 v50, 0x7f, v10
	v_cmp_ne_u32_e64 s[0:1], s25, v50
	v_mov_b32_e32 v49, 0x7c01
	s_and_saveexec_b64 s[18:19], s[0:1]
	s_cbranch_execz .LBB268_594
; %bb.593:                              ;   in Loop: Header=BB268_366 Depth=1
	v_and_b32_e32 v49, 7, v10
	v_ffbh_u32_e32 v51, v49
	v_min_u32_e32 v54, 32, v51
	v_subrev_u32_e32 v51, 28, v54
	v_lshlrev_b64 v[51:52], v51, v[1:2]
	v_lshrrev_b32_e32 v53, 3, v50
	v_sub_u32_e32 v52, 29, v54
	v_cmp_gt_u32_e64 s[0:1], 8, v50
	v_cndmask_b32_e64 v50, v53, v52, s[0:1]
	v_lshl_add_u32 v50, v50, 10, v12
	v_lshlrev_b32_e32 v52, 8, v10
	v_and_b32_e32 v51, 7, v51
	v_and_b32_e32 v50, 0xfc00, v50
	v_cndmask_b32_e64 v49, v49, v51, s[0:1]
	v_and_or_b32 v50, v52, s26, v50
	v_lshl_or_b32 v49, v49, 7, v50
.LBB268_594:                            ;   in Loop: Header=BB268_366 Depth=1
	s_or_b64 exec, exec, s[18:19]
.LBB268_595:                            ;   in Loop: Header=BB268_366 Depth=1
	s_or_b64 exec, exec, s[16:17]
.LBB268_596:                            ;   in Loop: Header=BB268_366 Depth=1
	s_or_b64 exec, exec, s[12:13]
	v_lshrrev_b16_e32 v1, 8, v1
	v_cmp_ne_u16_e64 s[0:1], 0, v1
	v_mov_b32_e32 v50, 0
	s_and_saveexec_b64 s[12:13], s[0:1]
	s_cbranch_execz .LBB268_602
; %bb.597:                              ;   in Loop: Header=BB268_366 Depth=1
	v_cmp_ne_u16_e64 s[0:1], s24, v1
	v_bfrev_b32_e32 v50, 1
	s_and_saveexec_b64 s[16:17], s[0:1]
	s_cbranch_execz .LBB268_601
; %bb.598:                              ;   in Loop: Header=BB268_366 Depth=1
	v_and_b32_e32 v51, 0x7f, v1
	v_cmp_ne_u32_e64 s[0:1], s25, v51
	v_mov_b32_e32 v50, 0x7c010000
	s_and_saveexec_b64 s[18:19], s[0:1]
	s_cbranch_execz .LBB268_600
; %bb.599:                              ;   in Loop: Header=BB268_366 Depth=1
	v_and_b32_e32 v50, 7, v1
	v_ffbh_u32_e32 v52, v50
	v_min_u32_e32 v55, 32, v52
	v_subrev_u32_e32 v52, 28, v55
	v_lshlrev_b64 v[52:53], v52, v[1:2]
	v_lshrrev_b32_e32 v54, 3, v51
	v_sub_u32_e32 v53, 29, v55
	v_cmp_gt_u32_e64 s[0:1], 8, v51
	v_cndmask_b32_e64 v51, v54, v53, s[0:1]
	v_lshlrev_b32_e32 v1, 8, v1
	v_lshl_add_u32 v51, v51, 10, v12
	v_and_b32_e32 v52, 7, v52
	v_and_or_b32 v1, v1, s26, v51
	v_cndmask_b32_e64 v50, v50, v52, s[0:1]
	v_lshlrev_b32_e32 v1, 16, v1
	v_lshl_or_b32 v50, v50, 23, v1
.LBB268_600:                            ;   in Loop: Header=BB268_366 Depth=1
	s_or_b64 exec, exec, s[18:19]
.LBB268_601:                            ;   in Loop: Header=BB268_366 Depth=1
	s_or_b64 exec, exec, s[16:17]
.LBB268_602:                            ;   in Loop: Header=BB268_366 Depth=1
	s_or_b64 exec, exec, s[12:13]
	v_lshrrev_b32_e32 v1, 16, v10
	v_cmp_ne_u16_sdwa s[0:1], v1, v2 src0_sel:BYTE_0 src1_sel:DWORD
	s_and_saveexec_b64 s[12:13], s[0:1]
	s_cbranch_execz .LBB268_608
; %bb.603:                              ;   in Loop: Header=BB268_366 Depth=1
	v_cmp_ne_u16_sdwa s[0:1], v1, s24 src0_sel:BYTE_0 src1_sel:DWORD
	v_mov_b32_e32 v11, 0x8000
	s_and_saveexec_b64 s[16:17], s[0:1]
	s_cbranch_execz .LBB268_607
; %bb.604:                              ;   in Loop: Header=BB268_366 Depth=1
	v_bfe_u32 v51, v10, 16, 7
	v_cmp_ne_u32_e64 s[0:1], s25, v51
	v_mov_b32_e32 v11, 0x7c01
	s_and_saveexec_b64 s[18:19], s[0:1]
	s_cbranch_execz .LBB268_606
; %bb.605:                              ;   in Loop: Header=BB268_366 Depth=1
	v_and_b32_e32 v11, 7, v1
	v_ffbh_u32_e32 v52, v11
	v_min_u32_e32 v55, 32, v52
	v_subrev_u32_e32 v52, 28, v55
	v_lshlrev_b64 v[52:53], v52, v[1:2]
	v_lshrrev_b32_e32 v54, 3, v51
	v_sub_u32_e32 v53, 29, v55
	v_cmp_gt_u32_e64 s[0:1], 8, v51
	v_cndmask_b32_e64 v51, v54, v53, s[0:1]
	v_lshl_add_u32 v51, v51, 10, v12
	v_lshlrev_b32_e32 v1, 8, v1
	v_and_b32_e32 v52, 7, v52
	v_and_b32_e32 v51, 0xfc00, v51
	v_cndmask_b32_e64 v11, v11, v52, s[0:1]
	v_and_or_b32 v1, v1, s26, v51
	v_lshl_or_b32 v11, v11, 7, v1
.LBB268_606:                            ;   in Loop: Header=BB268_366 Depth=1
	s_or_b64 exec, exec, s[18:19]
.LBB268_607:                            ;   in Loop: Header=BB268_366 Depth=1
	s_or_b64 exec, exec, s[16:17]
.LBB268_608:                            ;   in Loop: Header=BB268_366 Depth=1
	s_or_b64 exec, exec, s[12:13]
	v_cmp_lt_u64_e64 s[0:1], s[4:5], v[9:10]
	v_mov_b32_e32 v9, 0
	s_and_saveexec_b64 s[12:13], s[0:1]
	s_cbranch_execz .LBB268_614
; %bb.609:                              ;   in Loop: Header=BB268_366 Depth=1
	v_lshrrev_b32_e32 v1, 24, v10
	v_cmp_ne_u32_e64 s[0:1], s24, v1
	v_bfrev_b32_e32 v9, 1
	s_and_saveexec_b64 s[16:17], s[0:1]
	s_cbranch_execz .LBB268_613
; %bb.610:                              ;   in Loop: Header=BB268_366 Depth=1
	v_and_b32_e32 v10, 0x7f, v1
	v_cmp_ne_u32_e64 s[0:1], s25, v10
	v_mov_b32_e32 v9, 0x7c010000
	s_and_saveexec_b64 s[18:19], s[0:1]
	s_cbranch_execz .LBB268_612
; %bb.611:                              ;   in Loop: Header=BB268_366 Depth=1
	v_and_b32_e32 v9, 7, v1
	v_ffbh_u32_e32 v51, v9
	v_min_u32_e32 v54, 32, v51
	v_subrev_u32_e32 v51, 28, v54
	v_lshlrev_b64 v[51:52], v51, v[1:2]
	v_lshrrev_b32_e32 v53, 3, v10
	v_sub_u32_e32 v52, 29, v54
	v_cmp_gt_u32_e64 s[0:1], 8, v10
	v_cndmask_b32_e64 v10, v53, v52, s[0:1]
	v_lshlrev_b32_e32 v1, 8, v1
	v_lshl_add_u32 v10, v10, 10, v12
	v_and_b32_e32 v51, 7, v51
	v_and_or_b32 v1, v1, s26, v10
	v_cndmask_b32_e64 v9, v9, v51, s[0:1]
	v_lshlrev_b32_e32 v1, 16, v1
	v_lshl_or_b32 v9, v9, 23, v1
.LBB268_612:                            ;   in Loop: Header=BB268_366 Depth=1
	s_or_b64 exec, exec, s[18:19]
.LBB268_613:                            ;   in Loop: Header=BB268_366 Depth=1
	s_or_b64 exec, exec, s[16:17]
.LBB268_614:                            ;   in Loop: Header=BB268_366 Depth=1
	s_or_b64 exec, exec, s[12:13]
	s_waitcnt vmcnt(0)
	v_fma_mixlo_f16 v10, v0, v47, 0 op_sel:[0,1,0] op_sel_hi:[0,1,0]
	v_or_b32_e32 v1, v47, v48
	v_lshlrev_b32_e32 v47, 16, v10
	v_or_b32_e32 v10, v45, v46
	v_fma_mixlo_f16 v45, v0, v45, 0 op_sel:[0,1,0] op_sel_hi:[0,1,0]
	v_lshlrev_b32_e32 v51, 16, v45
	v_or_b32_e32 v45, v50, v49
	v_or_b32_e32 v11, v9, v11
	v_fma_mixlo_f16 v1, v0, v1, 0 op_sel_hi:[0,1,0]
	v_fma_mixlo_f16 v10, v0, v10, 0 op_sel_hi:[0,1,0]
	v_fma_mixlo_f16 v46, v0, v50, 0 op_sel:[0,1,0] op_sel_hi:[0,1,0]
	v_fma_mixlo_f16 v45, v0, v45, 0 op_sel_hi:[0,1,0]
	v_fma_mixlo_f16 v11, v0, v11, 0 op_sel_hi:[0,1,0]
	v_fma_mixlo_f16 v0, v0, v9, 0 op_sel:[0,1,0] op_sel_hi:[0,1,0]
	v_and_b32_e32 v48, 0xffff, v1
	v_and_b32_e32 v52, 0xffff, v10
	v_lshlrev_b32_e32 v46, 16, v46
	v_and_b32_e32 v49, 0xffff, v45
	v_lshlrev_b32_e32 v0, 16, v0
	v_and_b32_e32 v9, 0xffff, v11
	v_or_b32_e32 v1, v47, v48
	v_or_b32_e32 v10, v51, v52
	;; [unrolled: 1-line block ×4, first 2 shown]
	s_and_saveexec_b64 s[12:13], vcc
	s_cbranch_execz .LBB268_616
; %bb.615:                              ;   in Loop: Header=BB268_366 Depth=1
	v_cmp_gt_i32_e64 s[0:1], s30, v26
	v_cndmask_b32_e64 v1, 0, v52, s[0:1]
	v_cmp_gt_i32_e64 s[0:1], s30, v32
	v_cndmask_b32_e64 v10, 0, v51, s[0:1]
	v_cmp_gt_i32_e64 s[0:1], s30, v31
	v_or_b32_e32 v10, v10, v1
	v_cndmask_b32_e64 v1, 0, v48, s[0:1]
	v_cmp_gt_i32_e64 s[0:1], s30, v30
	v_cndmask_b32_e64 v11, 0, v47, s[0:1]
	v_cmp_gt_i32_e64 s[0:1], s30, v29
	v_or_b32_e32 v1, v11, v1
	v_cndmask_b32_e64 v11, 0, v49, s[0:1]
	v_cmp_gt_i32_e64 s[0:1], s30, v28
	v_cndmask_b32_e64 v45, 0, v46, s[0:1]
	v_cmp_gt_i32_e64 s[0:1], s30, v27
	;; [unrolled: 2-line block ×3, first 2 shown]
	v_cndmask_b32_e64 v0, 0, v0, s[0:1]
	v_or_b32_e32 v45, v45, v11
	v_or_b32_e32 v11, v0, v9
.LBB268_616:                            ;   in Loop: Header=BB268_366 Depth=1
	s_or_b64 exec, exec, s[12:13]
	;;#ASMSTART
	v_pk_mul_f16 v0, v33, v10;

	;;#ASMEND
	;;#ASMSTART
	v_pk_mul_f16 v1, v34, v1;

	;;#ASMEND
	;; [unrolled: 4-line block ×4, first 2 shown]
	;;#ASMSTART
	v_pk_add_f16 v0, v0, v1;

	;;#ASMEND
	;;#ASMSTART
	v_pk_add_f16 v0, v0, v9;

	;;#ASMEND
	;; [unrolled: 4-line block ×3, first 2 shown]
	v_lshrrev_b32_e32 v1, 16, v0
	v_and_b32_e32 v0, 0xffff, v0
	;;#ASMSTART
	v_cvt_f32_f16 v0, v0;
	;;#ASMEND
	;;#ASMSTART
	v_cvt_f32_f16 v45, v1;
	;;#ASMEND
	global_load_dwordx2 v[9:10], v[7:8], off offset:2560
	v_mov_b32_e32 v47, 0
	global_load_dword v46, v47, s[14:15]
	v_mov_b32_e32 v48, 0
	s_waitcnt vmcnt(1)
	v_cmp_ne_u16_sdwa s[0:1], v9, v2 src0_sel:BYTE_0 src1_sel:DWORD
	s_and_saveexec_b64 s[12:13], s[0:1]
	s_cbranch_execz .LBB268_622
; %bb.617:                              ;   in Loop: Header=BB268_366 Depth=1
	v_cmp_ne_u16_sdwa s[0:1], v9, s24 src0_sel:BYTE_0 src1_sel:DWORD
	v_mov_b32_e32 v48, 0x8000
	s_and_saveexec_b64 s[16:17], s[0:1]
	s_cbranch_execz .LBB268_621
; %bb.618:                              ;   in Loop: Header=BB268_366 Depth=1
	v_and_b32_e32 v1, 0x7f, v9
	v_cmp_ne_u32_e64 s[0:1], s25, v1
	v_mov_b32_e32 v48, 0x7c01
	s_and_saveexec_b64 s[18:19], s[0:1]
	s_cbranch_execz .LBB268_620
; %bb.619:                              ;   in Loop: Header=BB268_366 Depth=1
	v_and_b32_e32 v11, 7, v9
	v_ffbh_u32_e32 v48, v11
	v_min_u32_e32 v51, 32, v48
	v_subrev_u32_e32 v48, 28, v51
	v_lshlrev_b64 v[48:49], v48, v[9:10]
	v_lshrrev_b32_e32 v50, 3, v1
	v_sub_u32_e32 v49, 29, v51
	v_cmp_gt_u32_e64 s[0:1], 8, v1
	v_cndmask_b32_e64 v1, v50, v49, s[0:1]
	v_lshl_add_u32 v1, v1, 10, v12
	v_lshlrev_b32_e32 v49, 8, v9
	v_and_b32_e32 v48, 7, v48
	v_and_b32_e32 v1, 0xfc00, v1
	v_cndmask_b32_e64 v11, v11, v48, s[0:1]
	v_and_or_b32 v1, v49, s26, v1
	v_lshl_or_b32 v48, v11, 7, v1
.LBB268_620:                            ;   in Loop: Header=BB268_366 Depth=1
	s_or_b64 exec, exec, s[18:19]
.LBB268_621:                            ;   in Loop: Header=BB268_366 Depth=1
	s_or_b64 exec, exec, s[16:17]
.LBB268_622:                            ;   in Loop: Header=BB268_366 Depth=1
	s_or_b64 exec, exec, s[12:13]
	v_lshrrev_b16_e32 v1, 8, v9
	v_cmp_ne_u16_e64 s[0:1], 0, v1
	s_and_saveexec_b64 s[12:13], s[0:1]
	s_cbranch_execz .LBB268_628
; %bb.623:                              ;   in Loop: Header=BB268_366 Depth=1
	v_cmp_ne_u16_e64 s[0:1], s24, v1
	v_bfrev_b32_e32 v47, 1
	s_and_saveexec_b64 s[16:17], s[0:1]
	s_cbranch_execz .LBB268_627
; %bb.624:                              ;   in Loop: Header=BB268_366 Depth=1
	v_and_b32_e32 v11, 0x7f, v1
	v_cmp_ne_u32_e64 s[0:1], s25, v11
	v_mov_b32_e32 v47, 0x7c010000
	s_and_saveexec_b64 s[18:19], s[0:1]
	s_cbranch_execz .LBB268_626
; %bb.625:                              ;   in Loop: Header=BB268_366 Depth=1
	v_and_b32_e32 v47, 7, v1
	v_ffbh_u32_e32 v49, v47
	v_min_u32_e32 v52, 32, v49
	v_subrev_u32_e32 v49, 28, v52
	v_lshlrev_b64 v[49:50], v49, v[1:2]
	v_lshrrev_b32_e32 v51, 3, v11
	v_sub_u32_e32 v50, 29, v52
	v_cmp_gt_u32_e64 s[0:1], 8, v11
	v_cndmask_b32_e64 v11, v51, v50, s[0:1]
	v_lshlrev_b32_e32 v1, 8, v1
	v_lshl_add_u32 v11, v11, 10, v12
	v_and_b32_e32 v49, 7, v49
	v_and_or_b32 v1, v1, s26, v11
	v_cndmask_b32_e64 v47, v47, v49, s[0:1]
	v_lshlrev_b32_e32 v1, 16, v1
	v_lshl_or_b32 v47, v47, 23, v1
.LBB268_626:                            ;   in Loop: Header=BB268_366 Depth=1
	s_or_b64 exec, exec, s[18:19]
.LBB268_627:                            ;   in Loop: Header=BB268_366 Depth=1
	s_or_b64 exec, exec, s[16:17]
.LBB268_628:                            ;   in Loop: Header=BB268_366 Depth=1
	s_or_b64 exec, exec, s[12:13]
	v_lshrrev_b32_e32 v1, 16, v9
	v_cmp_ne_u16_sdwa s[0:1], v1, v2 src0_sel:BYTE_0 src1_sel:DWORD
	v_mov_b32_e32 v49, 0
	v_mov_b32_e32 v50, 0
	s_and_saveexec_b64 s[12:13], s[0:1]
	s_cbranch_execz .LBB268_634
; %bb.629:                              ;   in Loop: Header=BB268_366 Depth=1
	v_cmp_ne_u16_sdwa s[0:1], v1, s24 src0_sel:BYTE_0 src1_sel:DWORD
	v_mov_b32_e32 v50, 0x8000
	s_and_saveexec_b64 s[16:17], s[0:1]
	s_cbranch_execz .LBB268_633
; %bb.630:                              ;   in Loop: Header=BB268_366 Depth=1
	v_bfe_u32 v11, v9, 16, 7
	v_cmp_ne_u32_e64 s[0:1], s25, v11
	v_mov_b32_e32 v50, 0x7c01
	s_and_saveexec_b64 s[18:19], s[0:1]
	s_cbranch_execz .LBB268_632
; %bb.631:                              ;   in Loop: Header=BB268_366 Depth=1
	v_and_b32_e32 v52, 7, v1
	v_ffbh_u32_e32 v50, v52
	v_min_u32_e32 v54, 32, v50
	v_subrev_u32_e32 v50, 28, v54
	v_lshlrev_b64 v[50:51], v50, v[1:2]
	v_lshrrev_b32_e32 v53, 3, v11
	v_sub_u32_e32 v51, 29, v54
	v_cmp_gt_u32_e64 s[0:1], 8, v11
	v_cndmask_b32_e64 v11, v53, v51, s[0:1]
	v_lshl_add_u32 v11, v11, 10, v12
	v_lshlrev_b32_e32 v1, 8, v1
	v_and_b32_e32 v50, 7, v50
	v_and_b32_e32 v11, 0xfc00, v11
	v_cndmask_b32_e64 v50, v52, v50, s[0:1]
	v_and_or_b32 v1, v1, s26, v11
	v_lshl_or_b32 v50, v50, 7, v1
.LBB268_632:                            ;   in Loop: Header=BB268_366 Depth=1
	s_or_b64 exec, exec, s[18:19]
.LBB268_633:                            ;   in Loop: Header=BB268_366 Depth=1
	s_or_b64 exec, exec, s[16:17]
.LBB268_634:                            ;   in Loop: Header=BB268_366 Depth=1
	s_or_b64 exec, exec, s[12:13]
	v_cmp_lt_u32_e64 s[0:1], s5, v9
	s_and_saveexec_b64 s[12:13], s[0:1]
	s_cbranch_execz .LBB268_640
; %bb.635:                              ;   in Loop: Header=BB268_366 Depth=1
	v_lshrrev_b32_e32 v1, 24, v9
	v_cmp_ne_u32_e64 s[0:1], s24, v1
	v_bfrev_b32_e32 v49, 1
	s_and_saveexec_b64 s[16:17], s[0:1]
	s_cbranch_execz .LBB268_639
; %bb.636:                              ;   in Loop: Header=BB268_366 Depth=1
	v_and_b32_e32 v11, 0x7f, v1
	v_cmp_ne_u32_e64 s[0:1], s25, v11
	v_mov_b32_e32 v49, 0x7c010000
	s_and_saveexec_b64 s[18:19], s[0:1]
	s_cbranch_execz .LBB268_638
; %bb.637:                              ;   in Loop: Header=BB268_366 Depth=1
	v_and_b32_e32 v49, 7, v1
	v_ffbh_u32_e32 v51, v49
	v_min_u32_e32 v54, 32, v51
	v_subrev_u32_e32 v51, 28, v54
	v_lshlrev_b64 v[51:52], v51, v[1:2]
	v_lshrrev_b32_e32 v53, 3, v11
	v_sub_u32_e32 v52, 29, v54
	v_cmp_gt_u32_e64 s[0:1], 8, v11
	v_cndmask_b32_e64 v11, v53, v52, s[0:1]
	v_lshlrev_b32_e32 v1, 8, v1
	v_lshl_add_u32 v11, v11, 10, v12
	v_and_b32_e32 v51, 7, v51
	v_and_or_b32 v1, v1, s26, v11
	v_cndmask_b32_e64 v49, v49, v51, s[0:1]
	v_lshlrev_b32_e32 v1, 16, v1
	v_lshl_or_b32 v49, v49, 23, v1
.LBB268_638:                            ;   in Loop: Header=BB268_366 Depth=1
	s_or_b64 exec, exec, s[18:19]
.LBB268_639:                            ;   in Loop: Header=BB268_366 Depth=1
	s_or_b64 exec, exec, s[16:17]
.LBB268_640:                            ;   in Loop: Header=BB268_366 Depth=1
	s_or_b64 exec, exec, s[12:13]
	v_mov_b32_e32 v1, v10
	v_cmp_ne_u16_sdwa s[0:1], v10, v2 src0_sel:BYTE_0 src1_sel:DWORD
	v_mov_b32_e32 v11, 0
	v_mov_b32_e32 v51, 0
	s_and_saveexec_b64 s[12:13], s[0:1]
	s_cbranch_execz .LBB268_646
; %bb.641:                              ;   in Loop: Header=BB268_366 Depth=1
	v_cmp_ne_u16_sdwa s[0:1], v10, s24 src0_sel:BYTE_0 src1_sel:DWORD
	v_mov_b32_e32 v51, 0x8000
	s_and_saveexec_b64 s[16:17], s[0:1]
	s_cbranch_execz .LBB268_645
; %bb.642:                              ;   in Loop: Header=BB268_366 Depth=1
	v_and_b32_e32 v52, 0x7f, v10
	v_cmp_ne_u32_e64 s[0:1], s25, v52
	v_mov_b32_e32 v51, 0x7c01
	s_and_saveexec_b64 s[18:19], s[0:1]
	s_cbranch_execz .LBB268_644
; %bb.643:                              ;   in Loop: Header=BB268_366 Depth=1
	v_and_b32_e32 v51, 7, v10
	v_ffbh_u32_e32 v53, v51
	v_min_u32_e32 v56, 32, v53
	v_subrev_u32_e32 v53, 28, v56
	v_lshlrev_b64 v[53:54], v53, v[1:2]
	v_lshrrev_b32_e32 v55, 3, v52
	v_sub_u32_e32 v54, 29, v56
	v_cmp_gt_u32_e64 s[0:1], 8, v52
	v_cndmask_b32_e64 v52, v55, v54, s[0:1]
	v_lshl_add_u32 v52, v52, 10, v12
	v_lshlrev_b32_e32 v54, 8, v10
	v_and_b32_e32 v53, 7, v53
	v_and_b32_e32 v52, 0xfc00, v52
	v_cndmask_b32_e64 v51, v51, v53, s[0:1]
	v_and_or_b32 v52, v54, s26, v52
	v_lshl_or_b32 v51, v51, 7, v52
.LBB268_644:                            ;   in Loop: Header=BB268_366 Depth=1
	s_or_b64 exec, exec, s[18:19]
.LBB268_645:                            ;   in Loop: Header=BB268_366 Depth=1
	s_or_b64 exec, exec, s[16:17]
.LBB268_646:                            ;   in Loop: Header=BB268_366 Depth=1
	s_or_b64 exec, exec, s[12:13]
	v_lshrrev_b16_e32 v1, 8, v1
	v_cmp_ne_u16_e64 s[0:1], 0, v1
	v_mov_b32_e32 v52, 0
	s_and_saveexec_b64 s[12:13], s[0:1]
	s_cbranch_execz .LBB268_652
; %bb.647:                              ;   in Loop: Header=BB268_366 Depth=1
	v_cmp_ne_u16_e64 s[0:1], s24, v1
	v_bfrev_b32_e32 v52, 1
	s_and_saveexec_b64 s[16:17], s[0:1]
	s_cbranch_execz .LBB268_651
; %bb.648:                              ;   in Loop: Header=BB268_366 Depth=1
	v_and_b32_e32 v53, 0x7f, v1
	v_cmp_ne_u32_e64 s[0:1], s25, v53
	v_mov_b32_e32 v52, 0x7c010000
	s_and_saveexec_b64 s[18:19], s[0:1]
	s_cbranch_execz .LBB268_650
; %bb.649:                              ;   in Loop: Header=BB268_366 Depth=1
	v_and_b32_e32 v52, 7, v1
	v_ffbh_u32_e32 v54, v52
	v_min_u32_e32 v57, 32, v54
	v_subrev_u32_e32 v54, 28, v57
	v_lshlrev_b64 v[54:55], v54, v[1:2]
	v_lshrrev_b32_e32 v56, 3, v53
	v_sub_u32_e32 v55, 29, v57
	v_cmp_gt_u32_e64 s[0:1], 8, v53
	v_cndmask_b32_e64 v53, v56, v55, s[0:1]
	v_lshlrev_b32_e32 v1, 8, v1
	v_lshl_add_u32 v53, v53, 10, v12
	v_and_b32_e32 v54, 7, v54
	v_and_or_b32 v1, v1, s26, v53
	v_cndmask_b32_e64 v52, v52, v54, s[0:1]
	v_lshlrev_b32_e32 v1, 16, v1
	v_lshl_or_b32 v52, v52, 23, v1
.LBB268_650:                            ;   in Loop: Header=BB268_366 Depth=1
	s_or_b64 exec, exec, s[18:19]
.LBB268_651:                            ;   in Loop: Header=BB268_366 Depth=1
	s_or_b64 exec, exec, s[16:17]
.LBB268_652:                            ;   in Loop: Header=BB268_366 Depth=1
	s_or_b64 exec, exec, s[12:13]
	v_lshrrev_b32_e32 v1, 16, v10
	v_cmp_ne_u16_sdwa s[0:1], v1, v2 src0_sel:BYTE_0 src1_sel:DWORD
	s_and_saveexec_b64 s[12:13], s[0:1]
	s_cbranch_execz .LBB268_658
; %bb.653:                              ;   in Loop: Header=BB268_366 Depth=1
	v_cmp_ne_u16_sdwa s[0:1], v1, s24 src0_sel:BYTE_0 src1_sel:DWORD
	v_mov_b32_e32 v11, 0x8000
	s_and_saveexec_b64 s[16:17], s[0:1]
	s_cbranch_execz .LBB268_657
; %bb.654:                              ;   in Loop: Header=BB268_366 Depth=1
	v_bfe_u32 v53, v10, 16, 7
	v_cmp_ne_u32_e64 s[0:1], s25, v53
	v_mov_b32_e32 v11, 0x7c01
	s_and_saveexec_b64 s[18:19], s[0:1]
	s_cbranch_execz .LBB268_656
; %bb.655:                              ;   in Loop: Header=BB268_366 Depth=1
	v_and_b32_e32 v11, 7, v1
	v_ffbh_u32_e32 v54, v11
	v_min_u32_e32 v57, 32, v54
	v_subrev_u32_e32 v54, 28, v57
	v_lshlrev_b64 v[54:55], v54, v[1:2]
	v_lshrrev_b32_e32 v56, 3, v53
	v_sub_u32_e32 v55, 29, v57
	v_cmp_gt_u32_e64 s[0:1], 8, v53
	v_cndmask_b32_e64 v53, v56, v55, s[0:1]
	v_lshl_add_u32 v53, v53, 10, v12
	v_lshlrev_b32_e32 v1, 8, v1
	v_and_b32_e32 v54, 7, v54
	v_and_b32_e32 v53, 0xfc00, v53
	v_cndmask_b32_e64 v11, v11, v54, s[0:1]
	v_and_or_b32 v1, v1, s26, v53
	v_lshl_or_b32 v11, v11, 7, v1
.LBB268_656:                            ;   in Loop: Header=BB268_366 Depth=1
	s_or_b64 exec, exec, s[18:19]
.LBB268_657:                            ;   in Loop: Header=BB268_366 Depth=1
	s_or_b64 exec, exec, s[16:17]
.LBB268_658:                            ;   in Loop: Header=BB268_366 Depth=1
	s_or_b64 exec, exec, s[12:13]
	v_cmp_lt_u64_e64 s[0:1], s[4:5], v[9:10]
	v_mov_b32_e32 v9, 0
	s_and_saveexec_b64 s[12:13], s[0:1]
	s_cbranch_execz .LBB268_664
; %bb.659:                              ;   in Loop: Header=BB268_366 Depth=1
	v_lshrrev_b32_e32 v1, 24, v10
	v_cmp_ne_u32_e64 s[0:1], s24, v1
	v_bfrev_b32_e32 v9, 1
	s_and_saveexec_b64 s[16:17], s[0:1]
	s_cbranch_execz .LBB268_663
; %bb.660:                              ;   in Loop: Header=BB268_366 Depth=1
	v_and_b32_e32 v10, 0x7f, v1
	v_cmp_ne_u32_e64 s[0:1], s25, v10
	v_mov_b32_e32 v9, 0x7c010000
	s_and_saveexec_b64 s[18:19], s[0:1]
	s_cbranch_execz .LBB268_662
; %bb.661:                              ;   in Loop: Header=BB268_366 Depth=1
	v_and_b32_e32 v9, 7, v1
	v_ffbh_u32_e32 v53, v9
	v_min_u32_e32 v56, 32, v53
	v_subrev_u32_e32 v53, 28, v56
	v_lshlrev_b64 v[53:54], v53, v[1:2]
	v_lshrrev_b32_e32 v55, 3, v10
	v_sub_u32_e32 v54, 29, v56
	v_cmp_gt_u32_e64 s[0:1], 8, v10
	v_cndmask_b32_e64 v10, v55, v54, s[0:1]
	v_lshlrev_b32_e32 v1, 8, v1
	v_lshl_add_u32 v10, v10, 10, v12
	v_and_b32_e32 v53, 7, v53
	v_and_or_b32 v1, v1, s26, v10
	v_cndmask_b32_e64 v9, v9, v53, s[0:1]
	v_lshlrev_b32_e32 v1, 16, v1
	v_lshl_or_b32 v9, v9, 23, v1
.LBB268_662:                            ;   in Loop: Header=BB268_366 Depth=1
	s_or_b64 exec, exec, s[18:19]
.LBB268_663:                            ;   in Loop: Header=BB268_366 Depth=1
	s_or_b64 exec, exec, s[16:17]
.LBB268_664:                            ;   in Loop: Header=BB268_366 Depth=1
	s_or_b64 exec, exec, s[12:13]
	s_waitcnt vmcnt(0)
	v_fma_mixlo_f16 v10, v46, v49, 0 op_sel:[0,1,0] op_sel_hi:[0,1,0]
	v_or_b32_e32 v1, v49, v50
	v_lshlrev_b32_e32 v49, 16, v10
	v_or_b32_e32 v10, v47, v48
	v_fma_mixlo_f16 v47, v46, v47, 0 op_sel:[0,1,0] op_sel_hi:[0,1,0]
	v_lshlrev_b32_e32 v53, 16, v47
	v_or_b32_e32 v47, v52, v51
	v_or_b32_e32 v11, v9, v11
	v_fma_mixlo_f16 v1, v46, v1, 0 op_sel_hi:[0,1,0]
	v_fma_mixlo_f16 v10, v46, v10, 0 op_sel_hi:[0,1,0]
	v_fma_mixlo_f16 v48, v46, v52, 0 op_sel:[0,1,0] op_sel_hi:[0,1,0]
	v_fma_mixlo_f16 v47, v46, v47, 0 op_sel_hi:[0,1,0]
	v_fma_mixlo_f16 v11, v46, v11, 0 op_sel_hi:[0,1,0]
	v_fma_mixlo_f16 v9, v46, v9, 0 op_sel:[0,1,0] op_sel_hi:[0,1,0]
	v_and_b32_e32 v50, 0xffff, v1
	v_and_b32_e32 v54, 0xffff, v10
	v_lshlrev_b32_e32 v48, 16, v48
	v_and_b32_e32 v51, 0xffff, v47
	v_lshlrev_b32_e32 v9, 16, v9
	v_and_b32_e32 v11, 0xffff, v11
	v_or_b32_e32 v1, v49, v50
	v_or_b32_e32 v10, v53, v54
	;; [unrolled: 1-line block ×4, first 2 shown]
	s_and_saveexec_b64 s[12:13], vcc
	s_cbranch_execz .LBB268_666
; %bb.665:                              ;   in Loop: Header=BB268_366 Depth=1
	v_cmp_gt_i32_e64 s[0:1], s30, v26
	v_cndmask_b32_e64 v1, 0, v54, s[0:1]
	v_cmp_gt_i32_e64 s[0:1], s30, v32
	v_cndmask_b32_e64 v10, 0, v53, s[0:1]
	v_cmp_gt_i32_e64 s[0:1], s30, v31
	v_or_b32_e32 v10, v10, v1
	v_cndmask_b32_e64 v1, 0, v50, s[0:1]
	v_cmp_gt_i32_e64 s[0:1], s30, v30
	v_cndmask_b32_e64 v46, 0, v49, s[0:1]
	v_cmp_gt_i32_e64 s[0:1], s30, v29
	v_or_b32_e32 v1, v46, v1
	v_cndmask_b32_e64 v46, 0, v51, s[0:1]
	v_cmp_gt_i32_e64 s[0:1], s30, v28
	v_cndmask_b32_e64 v47, 0, v48, s[0:1]
	v_cmp_gt_i32_e64 s[0:1], s30, v27
	v_cndmask_b32_e64 v11, 0, v11, s[0:1]
	v_cmp_gt_i32_e64 s[0:1], s30, v24
	v_cndmask_b32_e64 v9, 0, v9, s[0:1]
	v_or_b32_e32 v47, v47, v46
	v_or_b32_e32 v46, v9, v11
.LBB268_666:                            ;   in Loop: Header=BB268_366 Depth=1
	s_or_b64 exec, exec, s[12:13]
	;;#ASMSTART
	v_pk_mul_f16 v9, v33, v10;

	;;#ASMEND
	;;#ASMSTART
	v_pk_mul_f16 v1, v34, v1;

	;;#ASMEND
	;; [unrolled: 4-line block ×4, first 2 shown]
	;;#ASMSTART
	v_pk_add_f16 v1, v9, v1;

	;;#ASMEND
	;;#ASMSTART
	v_pk_add_f16 v1, v1, v10;

	;;#ASMEND
	;; [unrolled: 4-line block ×3, first 2 shown]
	v_lshrrev_b32_e32 v10, 16, v1
	v_and_b32_e32 v1, 0xffff, v1
	;;#ASMSTART
	v_cvt_f32_f16 v9, v1;
	;;#ASMEND
	;;#ASMSTART
	v_cvt_f32_f16 v10, v10;
	;;#ASMEND
	global_load_dwordx2 v[7:8], v[7:8], off offset:3072
	v_mov_b32_e32 v47, 0
	global_load_dword v46, v47, s[14:15]
	v_mov_b32_e32 v48, 0
	s_waitcnt vmcnt(1)
	v_cmp_ne_u16_sdwa s[0:1], v7, v2 src0_sel:BYTE_0 src1_sel:DWORD
	s_and_saveexec_b64 s[12:13], s[0:1]
	s_cbranch_execz .LBB268_672
; %bb.667:                              ;   in Loop: Header=BB268_366 Depth=1
	v_cmp_ne_u16_sdwa s[0:1], v7, s24 src0_sel:BYTE_0 src1_sel:DWORD
	v_mov_b32_e32 v48, 0x8000
	s_and_saveexec_b64 s[16:17], s[0:1]
	s_cbranch_execz .LBB268_671
; %bb.668:                              ;   in Loop: Header=BB268_366 Depth=1
	v_and_b32_e32 v1, 0x7f, v7
	v_cmp_ne_u32_e64 s[0:1], s25, v1
	v_mov_b32_e32 v48, 0x7c01
	s_and_saveexec_b64 s[18:19], s[0:1]
	s_cbranch_execz .LBB268_670
; %bb.669:                              ;   in Loop: Header=BB268_366 Depth=1
	v_and_b32_e32 v11, 7, v7
	v_ffbh_u32_e32 v48, v11
	v_min_u32_e32 v51, 32, v48
	v_subrev_u32_e32 v48, 28, v51
	v_lshlrev_b64 v[48:49], v48, v[7:8]
	v_lshrrev_b32_e32 v50, 3, v1
	v_sub_u32_e32 v49, 29, v51
	v_cmp_gt_u32_e64 s[0:1], 8, v1
	v_cndmask_b32_e64 v1, v50, v49, s[0:1]
	v_lshl_add_u32 v1, v1, 10, v12
	v_lshlrev_b32_e32 v49, 8, v7
	v_and_b32_e32 v48, 7, v48
	v_and_b32_e32 v1, 0xfc00, v1
	v_cndmask_b32_e64 v11, v11, v48, s[0:1]
	v_and_or_b32 v1, v49, s26, v1
	v_lshl_or_b32 v48, v11, 7, v1
.LBB268_670:                            ;   in Loop: Header=BB268_366 Depth=1
	s_or_b64 exec, exec, s[18:19]
.LBB268_671:                            ;   in Loop: Header=BB268_366 Depth=1
	s_or_b64 exec, exec, s[16:17]
.LBB268_672:                            ;   in Loop: Header=BB268_366 Depth=1
	s_or_b64 exec, exec, s[12:13]
	v_lshrrev_b16_e32 v1, 8, v7
	v_cmp_ne_u16_e64 s[0:1], 0, v1
	s_and_saveexec_b64 s[12:13], s[0:1]
	s_cbranch_execz .LBB268_678
; %bb.673:                              ;   in Loop: Header=BB268_366 Depth=1
	v_cmp_ne_u16_e64 s[0:1], s24, v1
	v_bfrev_b32_e32 v47, 1
	s_and_saveexec_b64 s[16:17], s[0:1]
	s_cbranch_execz .LBB268_677
; %bb.674:                              ;   in Loop: Header=BB268_366 Depth=1
	v_and_b32_e32 v11, 0x7f, v1
	v_cmp_ne_u32_e64 s[0:1], s25, v11
	v_mov_b32_e32 v47, 0x7c010000
	s_and_saveexec_b64 s[18:19], s[0:1]
	s_cbranch_execz .LBB268_676
; %bb.675:                              ;   in Loop: Header=BB268_366 Depth=1
	v_and_b32_e32 v47, 7, v1
	v_ffbh_u32_e32 v49, v47
	v_min_u32_e32 v52, 32, v49
	v_subrev_u32_e32 v49, 28, v52
	v_lshlrev_b64 v[49:50], v49, v[1:2]
	v_lshrrev_b32_e32 v51, 3, v11
	v_sub_u32_e32 v50, 29, v52
	v_cmp_gt_u32_e64 s[0:1], 8, v11
	v_cndmask_b32_e64 v11, v51, v50, s[0:1]
	v_lshlrev_b32_e32 v1, 8, v1
	v_lshl_add_u32 v11, v11, 10, v12
	v_and_b32_e32 v49, 7, v49
	v_and_or_b32 v1, v1, s26, v11
	v_cndmask_b32_e64 v47, v47, v49, s[0:1]
	v_lshlrev_b32_e32 v1, 16, v1
	v_lshl_or_b32 v47, v47, 23, v1
.LBB268_676:                            ;   in Loop: Header=BB268_366 Depth=1
	s_or_b64 exec, exec, s[18:19]
.LBB268_677:                            ;   in Loop: Header=BB268_366 Depth=1
	s_or_b64 exec, exec, s[16:17]
.LBB268_678:                            ;   in Loop: Header=BB268_366 Depth=1
	s_or_b64 exec, exec, s[12:13]
	v_lshrrev_b32_e32 v1, 16, v7
	v_cmp_ne_u16_sdwa s[0:1], v1, v2 src0_sel:BYTE_0 src1_sel:DWORD
	v_mov_b32_e32 v49, 0
	v_mov_b32_e32 v50, 0
	s_and_saveexec_b64 s[12:13], s[0:1]
	s_cbranch_execz .LBB268_684
; %bb.679:                              ;   in Loop: Header=BB268_366 Depth=1
	v_cmp_ne_u16_sdwa s[0:1], v1, s24 src0_sel:BYTE_0 src1_sel:DWORD
	v_mov_b32_e32 v50, 0x8000
	s_and_saveexec_b64 s[16:17], s[0:1]
	s_cbranch_execz .LBB268_683
; %bb.680:                              ;   in Loop: Header=BB268_366 Depth=1
	v_bfe_u32 v11, v7, 16, 7
	v_cmp_ne_u32_e64 s[0:1], s25, v11
	v_mov_b32_e32 v50, 0x7c01
	s_and_saveexec_b64 s[18:19], s[0:1]
	s_cbranch_execz .LBB268_682
; %bb.681:                              ;   in Loop: Header=BB268_366 Depth=1
	v_and_b32_e32 v52, 7, v1
	v_ffbh_u32_e32 v50, v52
	v_min_u32_e32 v54, 32, v50
	v_subrev_u32_e32 v50, 28, v54
	v_lshlrev_b64 v[50:51], v50, v[1:2]
	v_lshrrev_b32_e32 v53, 3, v11
	v_sub_u32_e32 v51, 29, v54
	v_cmp_gt_u32_e64 s[0:1], 8, v11
	v_cndmask_b32_e64 v11, v53, v51, s[0:1]
	v_lshl_add_u32 v11, v11, 10, v12
	v_lshlrev_b32_e32 v1, 8, v1
	v_and_b32_e32 v50, 7, v50
	v_and_b32_e32 v11, 0xfc00, v11
	v_cndmask_b32_e64 v50, v52, v50, s[0:1]
	v_and_or_b32 v1, v1, s26, v11
	v_lshl_or_b32 v50, v50, 7, v1
.LBB268_682:                            ;   in Loop: Header=BB268_366 Depth=1
	s_or_b64 exec, exec, s[18:19]
.LBB268_683:                            ;   in Loop: Header=BB268_366 Depth=1
	s_or_b64 exec, exec, s[16:17]
.LBB268_684:                            ;   in Loop: Header=BB268_366 Depth=1
	s_or_b64 exec, exec, s[12:13]
	v_cmp_lt_u32_e64 s[0:1], s5, v7
	s_and_saveexec_b64 s[12:13], s[0:1]
	s_cbranch_execz .LBB268_690
; %bb.685:                              ;   in Loop: Header=BB268_366 Depth=1
	v_lshrrev_b32_e32 v1, 24, v7
	v_cmp_ne_u32_e64 s[0:1], s24, v1
	v_bfrev_b32_e32 v49, 1
	s_and_saveexec_b64 s[16:17], s[0:1]
	s_cbranch_execz .LBB268_689
; %bb.686:                              ;   in Loop: Header=BB268_366 Depth=1
	v_and_b32_e32 v11, 0x7f, v1
	v_cmp_ne_u32_e64 s[0:1], s25, v11
	v_mov_b32_e32 v49, 0x7c010000
	s_and_saveexec_b64 s[18:19], s[0:1]
	s_cbranch_execz .LBB268_688
; %bb.687:                              ;   in Loop: Header=BB268_366 Depth=1
	v_and_b32_e32 v49, 7, v1
	v_ffbh_u32_e32 v51, v49
	v_min_u32_e32 v54, 32, v51
	v_subrev_u32_e32 v51, 28, v54
	v_lshlrev_b64 v[51:52], v51, v[1:2]
	v_lshrrev_b32_e32 v53, 3, v11
	v_sub_u32_e32 v52, 29, v54
	v_cmp_gt_u32_e64 s[0:1], 8, v11
	v_cndmask_b32_e64 v11, v53, v52, s[0:1]
	v_lshlrev_b32_e32 v1, 8, v1
	v_lshl_add_u32 v11, v11, 10, v12
	v_and_b32_e32 v51, 7, v51
	v_and_or_b32 v1, v1, s26, v11
	v_cndmask_b32_e64 v49, v49, v51, s[0:1]
	v_lshlrev_b32_e32 v1, 16, v1
	v_lshl_or_b32 v49, v49, 23, v1
.LBB268_688:                            ;   in Loop: Header=BB268_366 Depth=1
	s_or_b64 exec, exec, s[18:19]
.LBB268_689:                            ;   in Loop: Header=BB268_366 Depth=1
	s_or_b64 exec, exec, s[16:17]
.LBB268_690:                            ;   in Loop: Header=BB268_366 Depth=1
	s_or_b64 exec, exec, s[12:13]
	v_mov_b32_e32 v1, v8
	v_cmp_ne_u16_sdwa s[0:1], v8, v2 src0_sel:BYTE_0 src1_sel:DWORD
	v_mov_b32_e32 v11, 0
	v_mov_b32_e32 v51, 0
	s_and_saveexec_b64 s[12:13], s[0:1]
	s_cbranch_execz .LBB268_696
; %bb.691:                              ;   in Loop: Header=BB268_366 Depth=1
	v_cmp_ne_u16_sdwa s[0:1], v8, s24 src0_sel:BYTE_0 src1_sel:DWORD
	v_mov_b32_e32 v51, 0x8000
	s_and_saveexec_b64 s[16:17], s[0:1]
	s_cbranch_execz .LBB268_695
; %bb.692:                              ;   in Loop: Header=BB268_366 Depth=1
	v_and_b32_e32 v52, 0x7f, v8
	v_cmp_ne_u32_e64 s[0:1], s25, v52
	v_mov_b32_e32 v51, 0x7c01
	s_and_saveexec_b64 s[18:19], s[0:1]
	s_cbranch_execz .LBB268_694
; %bb.693:                              ;   in Loop: Header=BB268_366 Depth=1
	v_and_b32_e32 v51, 7, v8
	v_ffbh_u32_e32 v53, v51
	v_min_u32_e32 v56, 32, v53
	v_subrev_u32_e32 v53, 28, v56
	v_lshlrev_b64 v[53:54], v53, v[1:2]
	v_lshrrev_b32_e32 v55, 3, v52
	v_sub_u32_e32 v54, 29, v56
	v_cmp_gt_u32_e64 s[0:1], 8, v52
	v_cndmask_b32_e64 v52, v55, v54, s[0:1]
	v_lshl_add_u32 v52, v52, 10, v12
	v_lshlrev_b32_e32 v54, 8, v8
	v_and_b32_e32 v53, 7, v53
	v_and_b32_e32 v52, 0xfc00, v52
	v_cndmask_b32_e64 v51, v51, v53, s[0:1]
	v_and_or_b32 v52, v54, s26, v52
	v_lshl_or_b32 v51, v51, 7, v52
.LBB268_694:                            ;   in Loop: Header=BB268_366 Depth=1
	s_or_b64 exec, exec, s[18:19]
.LBB268_695:                            ;   in Loop: Header=BB268_366 Depth=1
	s_or_b64 exec, exec, s[16:17]
.LBB268_696:                            ;   in Loop: Header=BB268_366 Depth=1
	s_or_b64 exec, exec, s[12:13]
	v_lshrrev_b16_e32 v1, 8, v1
	v_cmp_ne_u16_e64 s[0:1], 0, v1
	v_mov_b32_e32 v52, 0
	s_and_saveexec_b64 s[12:13], s[0:1]
	s_cbranch_execz .LBB268_702
; %bb.697:                              ;   in Loop: Header=BB268_366 Depth=1
	v_cmp_ne_u16_e64 s[0:1], s24, v1
	v_bfrev_b32_e32 v52, 1
	s_and_saveexec_b64 s[16:17], s[0:1]
	s_cbranch_execz .LBB268_701
; %bb.698:                              ;   in Loop: Header=BB268_366 Depth=1
	v_and_b32_e32 v53, 0x7f, v1
	v_cmp_ne_u32_e64 s[0:1], s25, v53
	v_mov_b32_e32 v52, 0x7c010000
	s_and_saveexec_b64 s[18:19], s[0:1]
	s_cbranch_execz .LBB268_700
; %bb.699:                              ;   in Loop: Header=BB268_366 Depth=1
	v_and_b32_e32 v52, 7, v1
	v_ffbh_u32_e32 v54, v52
	v_min_u32_e32 v57, 32, v54
	v_subrev_u32_e32 v54, 28, v57
	v_lshlrev_b64 v[54:55], v54, v[1:2]
	v_lshrrev_b32_e32 v56, 3, v53
	v_sub_u32_e32 v55, 29, v57
	v_cmp_gt_u32_e64 s[0:1], 8, v53
	v_cndmask_b32_e64 v53, v56, v55, s[0:1]
	v_lshlrev_b32_e32 v1, 8, v1
	v_lshl_add_u32 v53, v53, 10, v12
	v_and_b32_e32 v54, 7, v54
	v_and_or_b32 v1, v1, s26, v53
	v_cndmask_b32_e64 v52, v52, v54, s[0:1]
	v_lshlrev_b32_e32 v1, 16, v1
	v_lshl_or_b32 v52, v52, 23, v1
.LBB268_700:                            ;   in Loop: Header=BB268_366 Depth=1
	s_or_b64 exec, exec, s[18:19]
.LBB268_701:                            ;   in Loop: Header=BB268_366 Depth=1
	s_or_b64 exec, exec, s[16:17]
.LBB268_702:                            ;   in Loop: Header=BB268_366 Depth=1
	s_or_b64 exec, exec, s[12:13]
	v_lshrrev_b32_e32 v1, 16, v8
	v_cmp_ne_u16_sdwa s[0:1], v1, v2 src0_sel:BYTE_0 src1_sel:DWORD
	s_and_saveexec_b64 s[12:13], s[0:1]
	s_cbranch_execz .LBB268_708
; %bb.703:                              ;   in Loop: Header=BB268_366 Depth=1
	v_cmp_ne_u16_sdwa s[0:1], v1, s24 src0_sel:BYTE_0 src1_sel:DWORD
	v_mov_b32_e32 v11, 0x8000
	s_and_saveexec_b64 s[16:17], s[0:1]
	s_cbranch_execz .LBB268_707
; %bb.704:                              ;   in Loop: Header=BB268_366 Depth=1
	v_bfe_u32 v53, v8, 16, 7
	v_cmp_ne_u32_e64 s[0:1], s25, v53
	v_mov_b32_e32 v11, 0x7c01
	s_and_saveexec_b64 s[18:19], s[0:1]
	s_cbranch_execz .LBB268_706
; %bb.705:                              ;   in Loop: Header=BB268_366 Depth=1
	v_and_b32_e32 v11, 7, v1
	v_ffbh_u32_e32 v54, v11
	v_min_u32_e32 v57, 32, v54
	v_subrev_u32_e32 v54, 28, v57
	v_lshlrev_b64 v[54:55], v54, v[1:2]
	v_lshrrev_b32_e32 v56, 3, v53
	v_sub_u32_e32 v55, 29, v57
	v_cmp_gt_u32_e64 s[0:1], 8, v53
	v_cndmask_b32_e64 v53, v56, v55, s[0:1]
	v_lshl_add_u32 v53, v53, 10, v12
	v_lshlrev_b32_e32 v1, 8, v1
	v_and_b32_e32 v54, 7, v54
	v_and_b32_e32 v53, 0xfc00, v53
	v_cndmask_b32_e64 v11, v11, v54, s[0:1]
	v_and_or_b32 v1, v1, s26, v53
	v_lshl_or_b32 v11, v11, 7, v1
.LBB268_706:                            ;   in Loop: Header=BB268_366 Depth=1
	s_or_b64 exec, exec, s[18:19]
.LBB268_707:                            ;   in Loop: Header=BB268_366 Depth=1
	s_or_b64 exec, exec, s[16:17]
.LBB268_708:                            ;   in Loop: Header=BB268_366 Depth=1
	s_or_b64 exec, exec, s[12:13]
	v_cmp_lt_u64_e64 s[0:1], s[4:5], v[7:8]
	v_mov_b32_e32 v53, 0
	s_and_saveexec_b64 s[12:13], s[0:1]
	s_cbranch_execz .LBB268_714
; %bb.709:                              ;   in Loop: Header=BB268_366 Depth=1
	v_lshrrev_b32_e32 v1, 24, v8
	v_cmp_ne_u32_e64 s[0:1], s24, v1
	v_bfrev_b32_e32 v53, 1
	s_and_saveexec_b64 s[16:17], s[0:1]
	s_cbranch_execz .LBB268_713
; %bb.710:                              ;   in Loop: Header=BB268_366 Depth=1
	v_and_b32_e32 v7, 0x7f, v1
	v_cmp_ne_u32_e64 s[0:1], s25, v7
	v_mov_b32_e32 v53, 0x7c010000
	s_and_saveexec_b64 s[18:19], s[0:1]
	s_cbranch_execz .LBB268_712
; %bb.711:                              ;   in Loop: Header=BB268_366 Depth=1
	v_and_b32_e32 v8, 7, v1
	v_ffbh_u32_e32 v53, v8
	v_min_u32_e32 v56, 32, v53
	v_subrev_u32_e32 v53, 28, v56
	v_lshlrev_b64 v[53:54], v53, v[1:2]
	v_lshrrev_b32_e32 v55, 3, v7
	v_sub_u32_e32 v54, 29, v56
	v_cmp_gt_u32_e64 s[0:1], 8, v7
	v_cndmask_b32_e64 v7, v55, v54, s[0:1]
	v_lshlrev_b32_e32 v1, 8, v1
	v_lshl_add_u32 v7, v7, 10, v12
	v_and_b32_e32 v53, 7, v53
	v_and_or_b32 v1, v1, s26, v7
	v_cndmask_b32_e64 v8, v8, v53, s[0:1]
	v_lshlrev_b32_e32 v1, 16, v1
	v_lshl_or_b32 v53, v8, 23, v1
.LBB268_712:                            ;   in Loop: Header=BB268_366 Depth=1
	s_or_b64 exec, exec, s[18:19]
.LBB268_713:                            ;   in Loop: Header=BB268_366 Depth=1
	s_or_b64 exec, exec, s[16:17]
.LBB268_714:                            ;   in Loop: Header=BB268_366 Depth=1
	s_or_b64 exec, exec, s[12:13]
	s_waitcnt vmcnt(0)
	v_fma_mixlo_f16 v7, v46, v49, 0 op_sel:[0,1,0] op_sel_hi:[0,1,0]
	v_fma_mixlo_f16 v8, v46, v47, 0 op_sel:[0,1,0] op_sel_hi:[0,1,0]
	v_or_b32_e32 v1, v49, v50
	v_lshlrev_b32_e32 v49, 16, v7
	v_or_b32_e32 v7, v47, v48
	v_lshlrev_b32_e32 v48, 16, v8
	v_or_b32_e32 v8, v52, v51
	v_or_b32_e32 v11, v53, v11
	v_fma_mixlo_f16 v1, v46, v1, 0 op_sel_hi:[0,1,0]
	v_fma_mixlo_f16 v7, v46, v7, 0 op_sel_hi:[0,1,0]
	v_fma_mixlo_f16 v47, v46, v52, 0 op_sel:[0,1,0] op_sel_hi:[0,1,0]
	v_fma_mixlo_f16 v8, v46, v8, 0 op_sel_hi:[0,1,0]
	v_fma_mixlo_f16 v11, v46, v11, 0 op_sel_hi:[0,1,0]
	v_fma_mixlo_f16 v46, v46, v53, 0 op_sel:[0,1,0] op_sel_hi:[0,1,0]
	v_and_b32_e32 v50, 0xffff, v1
	v_and_b32_e32 v54, 0xffff, v7
	v_lshlrev_b32_e32 v47, 16, v47
	v_and_b32_e32 v51, 0xffff, v8
	v_lshlrev_b32_e32 v46, 16, v46
	v_and_b32_e32 v52, 0xffff, v11
	v_or_b32_e32 v1, v49, v50
	v_or_b32_e32 v7, v48, v54
	;; [unrolled: 1-line block ×4, first 2 shown]
	s_and_saveexec_b64 s[0:1], vcc
	s_cbranch_execz .LBB268_365
; %bb.715:                              ;   in Loop: Header=BB268_366 Depth=1
	v_cmp_gt_i32_e32 vcc, s30, v26
	v_cndmask_b32_e32 v1, 0, v54, vcc
	v_cmp_gt_i32_e32 vcc, s30, v32
	v_cndmask_b32_e32 v7, 0, v48, vcc
	v_cmp_gt_i32_e32 vcc, s30, v31
	v_or_b32_e32 v7, v7, v1
	v_cndmask_b32_e32 v1, 0, v50, vcc
	v_cmp_gt_i32_e32 vcc, s30, v30
	v_cndmask_b32_e32 v8, 0, v49, vcc
	v_cmp_gt_i32_e32 vcc, s30, v29
	v_or_b32_e32 v1, v8, v1
	;; [unrolled: 5-line block ×3, first 2 shown]
	v_cndmask_b32_e32 v11, 0, v52, vcc
	v_cmp_gt_i32_e32 vcc, s30, v24
	v_cndmask_b32_e32 v26, 0, v46, vcc
	v_or_b32_e32 v11, v26, v11
	s_branch .LBB268_365
.LBB268_716:
	s_or_b64 exec, exec, s[6:7]
.LBB268_717:
	s_or_b64 exec, exec, s[2:3]
	ds_bpermute_b32 v0, v15, v22
	ds_bpermute_b32 v1, v15, v23
	;; [unrolled: 1-line block ×3, first 2 shown]
	s_waitcnt lgkmcnt(0)
	s_barrier
	v_add_f32_e32 v0, v22, v0
	v_add_f32_e32 v3, v23, v1
	ds_bpermute_b32 v1, v16, v0
	ds_bpermute_b32 v4, v16, v3
	s_waitcnt lgkmcnt(0)
	ds_bpermute_b32 v2, v15, v21
	ds_bpermute_b32 v8, v15, v17
	v_add_f32_e32 v1, v0, v1
	v_add_f32_e32 v0, v3, v4
	ds_bpermute_b32 v3, v15, v19
	v_add_f32_e32 v4, v20, v5
	ds_bpermute_b32 v5, v15, v18
	ds_bpermute_b32 v7, v16, v4
	s_waitcnt lgkmcnt(4)
	v_add_f32_e32 v2, v21, v2
	s_waitcnt lgkmcnt(2)
	v_add_f32_e32 v3, v19, v3
	ds_bpermute_b32 v9, v16, v3
	s_waitcnt lgkmcnt(2)
	v_add_f32_e32 v10, v18, v5
	s_waitcnt lgkmcnt(1)
	v_add_f32_e32 v5, v4, v7
	v_add_f32_e32 v8, v17, v8
	ds_bpermute_b32 v6, v16, v2
	s_waitcnt lgkmcnt(1)
	v_add_f32_e32 v4, v3, v9
	buffer_load_dword v9, off, s[48:51], 0 offset:52 ; 4-byte Folded Reload
	ds_bpermute_b32 v12, v16, v8
	ds_bpermute_b32 v11, v16, v10
	s_waitcnt lgkmcnt(2)
	v_add_f32_e32 v6, v2, v6
	s_waitcnt lgkmcnt(1)
	v_add_f32_e32 v2, v8, v12
	;; [unrolled: 2-line block ×3, first 2 shown]
	s_waitcnt vmcnt(0)
	v_and_b32_e32 v8, 0x3c3, v9
	v_cmp_eq_u32_e32 vcc, 64, v8
	s_and_saveexec_b64 s[0:1], vcc
	s_cbranch_execz .LBB268_719
; %bb.718:
	v_add_u32_e32 v7, 0xf0, v14
	ds_write2_b32 v7, v1, v0 offset1:16
	ds_write2_b32 v7, v6, v5 offset0:32 offset1:48
	ds_write2_b32 v7, v4, v3 offset0:64 offset1:80
	ds_write_b32 v7, v2 offset:384
.LBB268_719:
	s_or_b64 exec, exec, s[0:1]
	v_cmp_gt_u32_e32 vcc, 64, v9
	v_lshrrev_b32_e32 v7, 2, v9
	s_waitcnt lgkmcnt(0)
	s_barrier
	s_and_saveexec_b64 s[0:1], vcc
	s_cbranch_execz .LBB268_729
; %bb.720:
	v_mov_b32_e32 v9, 0xf0
	v_cmp_eq_u32_e32 vcc, 0, v13
	v_lshl_add_u32 v9, v7, 2, v9
	s_and_saveexec_b64 s[2:3], vcc
	s_cbranch_execnz .LBB268_732
; %bb.721:
	s_or_b64 exec, exec, s[2:3]
	s_and_saveexec_b64 s[2:3], vcc
	s_cbranch_execnz .LBB268_733
.LBB268_722:
	s_or_b64 exec, exec, s[2:3]
	s_and_saveexec_b64 s[2:3], vcc
	s_cbranch_execnz .LBB268_734
.LBB268_723:
	s_or_b64 exec, exec, s[2:3]
	s_and_saveexec_b64 s[2:3], vcc
	s_cbranch_execnz .LBB268_735
.LBB268_724:
	s_or_b64 exec, exec, s[2:3]
	s_and_saveexec_b64 s[2:3], vcc
	s_cbranch_execnz .LBB268_736
.LBB268_725:
	s_or_b64 exec, exec, s[2:3]
	s_and_saveexec_b64 s[2:3], vcc
	s_cbranch_execnz .LBB268_737
.LBB268_726:
	s_or_b64 exec, exec, s[2:3]
	s_and_saveexec_b64 s[2:3], vcc
	s_cbranch_execz .LBB268_728
.LBB268_727:
	ds_read_b32 v9, v9 offset:384
	s_waitcnt lgkmcnt(0)
	v_add_f32_e32 v2, v2, v9
.LBB268_728:
	s_or_b64 exec, exec, s[2:3]
.LBB268_729:
	s_or_b64 exec, exec, s[0:1]
	v_cmp_eq_u32_e32 vcc, 0, v8
	s_barrier
	s_and_saveexec_b64 s[0:1], vcc
	s_cbranch_execz .LBB268_731
; %bb.730:
	s_mul_i32 s0, s10, s11
	s_mul_i32 s0, s0, s9
	s_mulk_i32 s0, 0x70
	s_ashr_i32 s1, s0, 31
	s_lshl_b64 s[0:1], s[0:1], 1
	s_add_u32 s2, s22, s0
	s_mul_i32 s0, s11, s20
	s_addc_u32 s3, s23, s1
	s_ashr_i32 s1, s0, 31
	s_lshl_b64 s[0:1], s[0:1], 1
	s_add_u32 s2, s2, s0
	s_mul_i32 s0, s8, 0x70
	s_addc_u32 s3, s3, s1
	s_ashr_i32 s1, s0, 31
	s_lshl_b64 s[0:1], s[0:1], 1
	s_add_u32 s0, s2, s0
	s_addc_u32 s1, s3, s1
	v_lshlrev_b32_e32 v7, 1, v7
	;;#ASMSTART
	v_cvt_f16_f32 v1, v1;

	;;#ASMEND
	global_store_short v7, v1, s[0:1]
	;;#ASMSTART
	v_cvt_f16_f32 v0, v0;

	;;#ASMEND
	global_store_short v7, v0, s[0:1] offset:32
	;;#ASMSTART
	v_cvt_f16_f32 v0, v6;

	;;#ASMEND
	global_store_short v7, v0, s[0:1] offset:64
	;; [unrolled: 5-line block ×6, first 2 shown]
.LBB268_731:
	s_endpgm
.LBB268_732:
	ds_read_b32 v10, v9
	s_waitcnt lgkmcnt(0)
	v_add_f32_e32 v1, v1, v10
	s_or_b64 exec, exec, s[2:3]
	s_and_saveexec_b64 s[2:3], vcc
	s_cbranch_execz .LBB268_722
.LBB268_733:
	ds_read_b32 v10, v9 offset:64
	s_waitcnt lgkmcnt(0)
	v_add_f32_e32 v0, v0, v10
	s_or_b64 exec, exec, s[2:3]
	s_and_saveexec_b64 s[2:3], vcc
	s_cbranch_execz .LBB268_723
.LBB268_734:
	ds_read_b32 v10, v9 offset:128
	s_waitcnt lgkmcnt(0)
	v_add_f32_e32 v6, v6, v10
	s_or_b64 exec, exec, s[2:3]
	s_and_saveexec_b64 s[2:3], vcc
	s_cbranch_execz .LBB268_724
.LBB268_735:
	ds_read_b32 v10, v9 offset:192
	s_waitcnt lgkmcnt(0)
	v_add_f32_e32 v5, v5, v10
	s_or_b64 exec, exec, s[2:3]
	s_and_saveexec_b64 s[2:3], vcc
	s_cbranch_execz .LBB268_725
.LBB268_736:
	ds_read_b32 v10, v9 offset:256
	s_waitcnt lgkmcnt(0)
	v_add_f32_e32 v4, v4, v10
	s_or_b64 exec, exec, s[2:3]
	s_and_saveexec_b64 s[2:3], vcc
	s_cbranch_execz .LBB268_726
.LBB268_737:
	ds_read_b32 v10, v9 offset:320
	s_waitcnt lgkmcnt(0)
	v_add_f32_e32 v3, v3, v10
	s_or_b64 exec, exec, s[2:3]
	s_and_saveexec_b64 s[2:3], vcc
	s_cbranch_execnz .LBB268_727
	s_branch .LBB268_728
	.section	.rodata,"a",@progbits
	.p2align	6, 0x0
	.amdhsa_kernel _ZN4vllm25paged_attention_v1_kernelIthLi112ELi32ELi128ELNS_18Fp8KVCacheDataTypeE1ELb0EEEvPT_PKS2_PKT0_S8_ifPKiSA_iPKfiiiSC_SC_iiiii
		.amdhsa_group_segment_fixed_size 240
		.amdhsa_private_segment_fixed_size 72
		.amdhsa_kernarg_size 384
		.amdhsa_user_sgpr_count 6
		.amdhsa_user_sgpr_private_segment_buffer 1
		.amdhsa_user_sgpr_dispatch_ptr 0
		.amdhsa_user_sgpr_queue_ptr 0
		.amdhsa_user_sgpr_kernarg_segment_ptr 1
		.amdhsa_user_sgpr_dispatch_id 0
		.amdhsa_user_sgpr_flat_scratch_init 0
		.amdhsa_user_sgpr_private_segment_size 0
		.amdhsa_uses_dynamic_stack 0
		.amdhsa_system_sgpr_private_segment_wavefront_offset 1
		.amdhsa_system_sgpr_workgroup_id_x 1
		.amdhsa_system_sgpr_workgroup_id_y 1
		.amdhsa_system_sgpr_workgroup_id_z 1
		.amdhsa_system_sgpr_workgroup_info 0
		.amdhsa_system_vgpr_workitem_id 0
		.amdhsa_next_free_vgpr 64
		.amdhsa_next_free_sgpr 52
		.amdhsa_reserve_vcc 1
		.amdhsa_reserve_flat_scratch 0
		.amdhsa_float_round_mode_32 0
		.amdhsa_float_round_mode_16_64 0
		.amdhsa_float_denorm_mode_32 3
		.amdhsa_float_denorm_mode_16_64 3
		.amdhsa_dx10_clamp 1
		.amdhsa_ieee_mode 1
		.amdhsa_fp16_overflow 0
		.amdhsa_exception_fp_ieee_invalid_op 0
		.amdhsa_exception_fp_denorm_src 0
		.amdhsa_exception_fp_ieee_div_zero 0
		.amdhsa_exception_fp_ieee_overflow 0
		.amdhsa_exception_fp_ieee_underflow 0
		.amdhsa_exception_fp_ieee_inexact 0
		.amdhsa_exception_int_div_zero 0
	.end_amdhsa_kernel
	.section	.text._ZN4vllm25paged_attention_v1_kernelIthLi112ELi32ELi128ELNS_18Fp8KVCacheDataTypeE1ELb0EEEvPT_PKS2_PKT0_S8_ifPKiSA_iPKfiiiSC_SC_iiiii,"axG",@progbits,_ZN4vllm25paged_attention_v1_kernelIthLi112ELi32ELi128ELNS_18Fp8KVCacheDataTypeE1ELb0EEEvPT_PKS2_PKT0_S8_ifPKiSA_iPKfiiiSC_SC_iiiii,comdat
.Lfunc_end268:
	.size	_ZN4vllm25paged_attention_v1_kernelIthLi112ELi32ELi128ELNS_18Fp8KVCacheDataTypeE1ELb0EEEvPT_PKS2_PKT0_S8_ifPKiSA_iPKfiiiSC_SC_iiiii, .Lfunc_end268-_ZN4vllm25paged_attention_v1_kernelIthLi112ELi32ELi128ELNS_18Fp8KVCacheDataTypeE1ELb0EEEvPT_PKS2_PKT0_S8_ifPKiSA_iPKfiiiSC_SC_iiiii
                                        ; -- End function
	.set _ZN4vllm25paged_attention_v1_kernelIthLi112ELi32ELi128ELNS_18Fp8KVCacheDataTypeE1ELb0EEEvPT_PKS2_PKT0_S8_ifPKiSA_iPKfiiiSC_SC_iiiii.num_vgpr, 64
	.set _ZN4vllm25paged_attention_v1_kernelIthLi112ELi32ELi128ELNS_18Fp8KVCacheDataTypeE1ELb0EEEvPT_PKS2_PKT0_S8_ifPKiSA_iPKfiiiSC_SC_iiiii.num_agpr, 0
	.set _ZN4vllm25paged_attention_v1_kernelIthLi112ELi32ELi128ELNS_18Fp8KVCacheDataTypeE1ELb0EEEvPT_PKS2_PKT0_S8_ifPKiSA_iPKfiiiSC_SC_iiiii.numbered_sgpr, 52
	.set _ZN4vllm25paged_attention_v1_kernelIthLi112ELi32ELi128ELNS_18Fp8KVCacheDataTypeE1ELb0EEEvPT_PKS2_PKT0_S8_ifPKiSA_iPKfiiiSC_SC_iiiii.num_named_barrier, 0
	.set _ZN4vllm25paged_attention_v1_kernelIthLi112ELi32ELi128ELNS_18Fp8KVCacheDataTypeE1ELb0EEEvPT_PKS2_PKT0_S8_ifPKiSA_iPKfiiiSC_SC_iiiii.private_seg_size, 72
	.set _ZN4vllm25paged_attention_v1_kernelIthLi112ELi32ELi128ELNS_18Fp8KVCacheDataTypeE1ELb0EEEvPT_PKS2_PKT0_S8_ifPKiSA_iPKfiiiSC_SC_iiiii.uses_vcc, 1
	.set _ZN4vllm25paged_attention_v1_kernelIthLi112ELi32ELi128ELNS_18Fp8KVCacheDataTypeE1ELb0EEEvPT_PKS2_PKT0_S8_ifPKiSA_iPKfiiiSC_SC_iiiii.uses_flat_scratch, 0
	.set _ZN4vllm25paged_attention_v1_kernelIthLi112ELi32ELi128ELNS_18Fp8KVCacheDataTypeE1ELb0EEEvPT_PKS2_PKT0_S8_ifPKiSA_iPKfiiiSC_SC_iiiii.has_dyn_sized_stack, 0
	.set _ZN4vllm25paged_attention_v1_kernelIthLi112ELi32ELi128ELNS_18Fp8KVCacheDataTypeE1ELb0EEEvPT_PKS2_PKT0_S8_ifPKiSA_iPKfiiiSC_SC_iiiii.has_recursion, 0
	.set _ZN4vllm25paged_attention_v1_kernelIthLi112ELi32ELi128ELNS_18Fp8KVCacheDataTypeE1ELb0EEEvPT_PKS2_PKT0_S8_ifPKiSA_iPKfiiiSC_SC_iiiii.has_indirect_call, 0
	.section	.AMDGPU.csdata,"",@progbits
; Kernel info:
; codeLenInByte = 30216
; TotalNumSgprs: 56
; NumVgprs: 64
; ScratchSize: 72
; MemoryBound: 0
; FloatMode: 240
; IeeeMode: 1
; LDSByteSize: 240 bytes/workgroup (compile time only)
; SGPRBlocks: 6
; VGPRBlocks: 15
; NumSGPRsForWavesPerEU: 56
; NumVGPRsForWavesPerEU: 64
; Occupancy: 4
; WaveLimiterHint : 1
; COMPUTE_PGM_RSRC2:SCRATCH_EN: 1
; COMPUTE_PGM_RSRC2:USER_SGPR: 6
; COMPUTE_PGM_RSRC2:TRAP_HANDLER: 0
; COMPUTE_PGM_RSRC2:TGID_X_EN: 1
; COMPUTE_PGM_RSRC2:TGID_Y_EN: 1
; COMPUTE_PGM_RSRC2:TGID_Z_EN: 1
; COMPUTE_PGM_RSRC2:TIDIG_COMP_CNT: 0
	.section	.text._ZN4vllm25paged_attention_v1_kernelIthLi120ELi32ELi128ELNS_18Fp8KVCacheDataTypeE1ELb0EEEvPT_PKS2_PKT0_S8_ifPKiSA_iPKfiiiSC_SC_iiiii,"axG",@progbits,_ZN4vllm25paged_attention_v1_kernelIthLi120ELi32ELi128ELNS_18Fp8KVCacheDataTypeE1ELb0EEEvPT_PKS2_PKT0_S8_ifPKiSA_iPKfiiiSC_SC_iiiii,comdat
	.protected	_ZN4vllm25paged_attention_v1_kernelIthLi120ELi32ELi128ELNS_18Fp8KVCacheDataTypeE1ELb0EEEvPT_PKS2_PKT0_S8_ifPKiSA_iPKfiiiSC_SC_iiiii ; -- Begin function _ZN4vllm25paged_attention_v1_kernelIthLi120ELi32ELi128ELNS_18Fp8KVCacheDataTypeE1ELb0EEEvPT_PKS2_PKT0_S8_ifPKiSA_iPKfiiiSC_SC_iiiii
	.globl	_ZN4vllm25paged_attention_v1_kernelIthLi120ELi32ELi128ELNS_18Fp8KVCacheDataTypeE1ELb0EEEvPT_PKS2_PKT0_S8_ifPKiSA_iPKfiiiSC_SC_iiiii
	.p2align	8
	.type	_ZN4vllm25paged_attention_v1_kernelIthLi120ELi32ELi128ELNS_18Fp8KVCacheDataTypeE1ELb0EEEvPT_PKS2_PKT0_S8_ifPKiSA_iPKfiiiSC_SC_iiiii,@function
_ZN4vllm25paged_attention_v1_kernelIthLi120ELi32ELi128ELNS_18Fp8KVCacheDataTypeE1ELb0EEEvPT_PKS2_PKT0_S8_ifPKiSA_iPKfiiiSC_SC_iiiii: ; @_ZN4vllm25paged_attention_v1_kernelIthLi120ELi32ELi128ELNS_18Fp8KVCacheDataTypeE1ELb0EEEvPT_PKS2_PKT0_S8_ifPKiSA_iPKfiiiSC_SC_iiiii
; %bb.0:
	s_mov_b64 s[50:51], s[2:3]
	s_mov_b64 s[48:49], s[0:1]
	s_add_u32 s48, s48, s9
	s_load_dword s9, s[4:5], 0x80
	s_load_dwordx2 s[0:1], s[4:5], 0x30
	s_load_dwordx2 s[30:31], s[4:5], 0x20
	s_addc_u32 s49, s49, 0
	s_mov_b32 s10, s7
	s_ashr_i32 s11, s7, 31
	s_lshl_b64 s[2:3], s[10:11], 2
	s_waitcnt lgkmcnt(0)
	s_add_u32 s0, s0, s2
	s_addc_u32 s1, s1, s3
	s_abs_i32 s2, s30
	v_mov_b32_e32 v57, v0
	v_cvt_f32_u32_e32 v0, s2
	s_sub_i32 s11, 0, s2
	s_abs_i32 s7, s9
	s_xor_b32 s3, s9, s30
	v_rcp_iflag_f32_e32 v0, v0
	s_ashr_i32 s3, s3, 31
	s_mov_b32 s33, 0
	v_mul_f32_e32 v0, 0x4f7ffffe, v0
	v_cvt_u32_f32_e32 v0, v0
	v_readfirstlane_b32 s12, v0
	s_mul_i32 s11, s11, s12
	s_mul_hi_u32 s11, s12, s11
	s_add_i32 s12, s12, s11
	s_mul_hi_u32 s11, s7, s12
	s_mul_i32 s12, s11, s2
	s_sub_i32 s7, s7, s12
	s_add_i32 s12, s11, 1
	s_sub_i32 s13, s7, s2
	s_cmp_ge_u32 s7, s2
	s_cselect_b32 s11, s12, s11
	s_cselect_b32 s7, s13, s7
	s_add_i32 s12, s11, 1
	s_cmp_ge_u32 s7, s2
	s_cselect_b32 s2, s12, s11
	s_xor_b32 s2, s2, s3
	s_sub_i32 s14, s2, s3
	s_abs_i32 s11, s14
	v_cvt_f32_u32_e32 v0, s11
	s_load_dwordx2 s[2:3], s[4:5], 0x40
	s_sub_i32 s7, 0, s11
	s_abs_i32 s12, s6
	v_rcp_iflag_f32_e32 v0, v0
	v_mul_f32_e32 v0, 0x4f7ffffe, v0
	v_cvt_u32_f32_e32 v0, v0
	v_readfirstlane_b32 s13, v0
	s_mul_i32 s7, s7, s13
	s_mul_hi_u32 s7, s13, s7
	s_add_i32 s13, s13, s7
	s_waitcnt lgkmcnt(0)
	s_cmp_eq_u64 s[2:3], 0
	s_mul_hi_u32 s13, s12, s13
	s_cbranch_scc1 .LBB269_2
; %bb.1:
	s_ashr_i32 s7, s6, 31
	s_lshl_b64 s[16:17], s[6:7], 2
	s_add_u32 s2, s2, s16
	s_addc_u32 s3, s3, s17
	s_load_dword s33, s[2:3], 0x0
.LBB269_2:
	s_load_dword s30, s[0:1], 0x0
	s_load_dwordx4 s[16:19], s[4:5], 0x48
	s_ashr_i32 s2, s6, 31
	s_ashr_i32 s3, s14, 31
	v_and_b32_e32 v0, 1, v57
	s_movk_i32 s7, 0x78
	s_mul_i32 s20, s6, 0x78
	v_cmp_gt_u32_e32 vcc, 30, v57
	v_lshlrev_b32_e32 v1, 3, v57
	buffer_store_dword v1, off, s[48:51], 0 offset:92 ; 4-byte Folded Spill
	s_and_saveexec_b64 s[0:1], vcc
	s_cbranch_execz .LBB269_4
; %bb.3:
	s_load_dwordx2 s[14:15], s[4:5], 0x8
	s_waitcnt lgkmcnt(0)
	s_mul_i32 s22, s16, s10
	s_ashr_i32 s23, s22, 31
	s_lshl_b64 s[22:23], s[22:23], 1
	v_lshlrev_b32_e32 v1, 3, v57
	s_add_u32 s6, s14, s22
	s_addc_u32 s16, s15, s23
	s_ashr_i32 s21, s20, 31
	s_lshl_b64 s[14:15], s[20:21], 1
	s_add_u32 s14, s6, s14
	s_addc_u32 s15, s16, s15
	global_load_dwordx2 v[1:2], v1, s[14:15]
	v_lshlrev_b32_e32 v3, 2, v57
	v_and_b32_e32 v3, 0xff8, v3
	v_mad_u32_u24 v3, v0, s7, v3
	s_waitcnt vmcnt(0)
	ds_write_b64 v3, v[1:2]
.LBB269_4:
	s_or_b64 exec, exec, s[0:1]
	s_waitcnt lgkmcnt(0)
	s_add_i32 s1, s30, 31
	s_ashr_i32 s6, s1, 31
	s_lshr_b32 s6, s6, 27
	s_add_i32 s1, s1, s6
	s_ashr_i32 s21, s1, 5
	s_xor_b32 s1, s2, s3
	s_mul_i32 s2, s13, s11
	s_sub_i32 s2, s12, s2
	s_add_i32 s3, s13, 1
	s_sub_i32 s6, s2, s11
	s_load_dwordx2 s[24:25], s[4:5], 0x28
	s_load_dword s0, s[4:5], 0x38
	s_cmp_ge_u32 s2, s11
	s_cselect_b32 s3, s3, s13
	s_cselect_b32 s2, s6, s2
	s_add_i32 s6, s3, 1
	s_cmp_ge_u32 s2, s11
	s_cselect_b32 s2, s6, s3
	v_lshrrev_b32_e32 v58, 6, v57
	s_xor_b32 s2, s2, s1
	s_waitcnt lgkmcnt(0)
	s_mul_i32 s26, s0, s10
	s_sub_i32 s16, s2, s1
	s_ashr_i32 s27, s26, 31
	v_cmp_le_i32_e64 s[0:1], s21, v58
	v_mbcnt_lo_u32_b32 v4, -1, 0
                                        ; implicit-def: $vgpr1
	s_waitcnt vmcnt(0)
	s_barrier
                                        ; kill: killed $vgpr1
                                        ; implicit-def: $vgpr1
                                        ; implicit-def: $vgpr3
	s_and_saveexec_b64 s[2:3], s[0:1]
	s_xor_b64 s[2:3], exec, s[2:3]
	s_cbranch_execz .LBB269_6
; %bb.5:
	v_mbcnt_hi_u32_b32 v0, -1, v4
	v_and_b32_e32 v1, 64, v0
	v_add_u32_e32 v3, 64, v1
	buffer_store_dword v0, off, s[48:51], 0 offset:72 ; 4-byte Folded Spill
                                        ; implicit-def: $vgpr0
                                        ; implicit-def: $vgpr4
.LBB269_6:
	s_or_saveexec_b64 s[6:7], s[2:3]
	s_load_dwordx2 s[22:23], s[4:5], 0x0
	s_load_dwordx2 s[28:29], s[4:5], 0x18
	s_load_dword s11, s[4:5], 0x88
	s_load_dwordx4 s[12:15], s[4:5], 0x58
	v_mov_b32_e32 v5, 0xff7fffff
	s_mul_i32 s16, s16, s18
	v_lshrrev_b32_e32 v2, 4, v57
	buffer_store_dword v2, off, s[48:51], 0 offset:88 ; 4-byte Folded Spill
	s_xor_b64 exec, exec, s[6:7]
	s_cbranch_execz .LBB269_372
; %bb.7:
	s_load_dwordx2 s[2:3], s[4:5], 0x10
	s_ashr_i32 s4, s16, 31
	v_bfe_u32 v1, v57, 1, 5
	v_lshlrev_b32_e32 v3, 4, v1
	v_lshlrev_b32_e32 v6, 2, v0
	s_waitcnt lgkmcnt(0)
	s_add_u32 s2, s2, s16
	s_addc_u32 s3, s3, s4
	v_mov_b32_e32 v5, s3
	v_add_co_u32_e32 v3, vcc, s2, v3
	v_addc_co_u32_e32 v5, vcc, 0, v5, vcc
	v_add_co_u32_e64 v6, s[4:5], v3, v6
	v_mul_u32_u24_e32 v15, 0x78, v0
	v_cmp_eq_u32_e32 vcc, 0, v0
	v_addc_co_u32_e64 v7, s[4:5], 0, v5, s[4:5]
	v_lshl_or_b32 v0, v58, 5, v1
	buffer_store_dword v57, off, s[48:51], 0 offset:96 ; 4-byte Folded Spill
	buffer_store_dword v6, off, s[48:51], 0 offset:80 ; 4-byte Folded Spill
	s_nop 0
	buffer_store_dword v7, off, s[48:51], 0 offset:84 ; 4-byte Folded Spill
	buffer_store_dword v0, off, s[48:51], 0 offset:24 ; 4-byte Folded Spill
	v_lshlrev_b32_e32 v0, 2, v1
	v_lshl_or_b32 v0, v58, 7, v0
	v_add_u32_e32 v0, 0x100, v0
	buffer_store_dword v0, off, s[48:51], 0 offset:28 ; 4-byte Folded Spill
	buffer_load_dword v0, off, s[48:51], 0 offset:88 ; 4-byte Folded Reload
	s_sub_i32 s41, 1, s30
	s_lshl_b64 s[4:5], s[26:27], 2
	s_add_u32 s4, s24, s4
	s_addc_u32 s5, s25, s5
	v_mov_b32_e32 v1, s5
	s_mov_b32 s40, s17
	v_mov_b32_e32 v2, 0
	v_cmp_neq_f32_e64 s[2:3], s33, 0
	s_mov_b64 s[18:19], 0
	s_movk_i32 s42, 0x80
	s_movk_i32 s43, 0x7f
	s_mov_b32 s44, 0x8000
	s_mov_b32 s45, 0xffffff
	s_waitcnt vmcnt(0)
	v_and_b32_e32 v0, 60, v0
	v_add_co_u32_e64 v57, s[4:5], s4, v0
	v_mov_b32_e32 v0, v58
	v_addc_co_u32_e64 v58, s[4:5], 0, v1, s[4:5]
	v_mov_b32_e32 v1, 0xff7fffff
	buffer_store_dword v1, off, s[48:51], 0 offset:76 ; 4-byte Folded Spill
	v_mbcnt_hi_u32_b32 v1, -1, v4
	v_mov_b32_e32 v8, v0
	buffer_store_dword v1, off, s[48:51], 0 offset:72 ; 4-byte Folded Spill
	buffer_store_dword v0, off, s[48:51], 0 offset:100 ; 4-byte Folded Spill
	s_branch .LBB269_9
.LBB269_8:                              ;   in Loop: Header=BB269_9 Depth=1
	s_or_b64 exec, exec, s[34:35]
	buffer_load_dword v0, off, s[48:51], 0 offset:24 ; 4-byte Folded Reload
	s_waitcnt vmcnt(1)
	v_add_u32_e32 v8, 2, v8
	v_cmp_le_i32_e64 s[4:5], s21, v8
	s_or_b64 s[18:19], s[4:5], s[18:19]
	v_add_co_u32_e64 v57, s[4:5], 8, v57
	v_addc_co_u32_e64 v58, s[4:5], 0, v58, s[4:5]
	s_waitcnt vmcnt(0)
	v_add_u32_e32 v0, 64, v0
	buffer_store_dword v0, off, s[48:51], 0 offset:24 ; 4-byte Folded Spill
	buffer_load_dword v0, off, s[48:51], 0 offset:28 ; 4-byte Folded Reload
	s_waitcnt vmcnt(0)
	v_add_u32_e32 v0, 0x100, v0
	buffer_store_dword v0, off, s[48:51], 0 offset:28 ; 4-byte Folded Spill
	s_andn2_b64 exec, exec, s[18:19]
	s_cbranch_execz .LBB269_371
.LBB269_9:                              ; =>This Inner Loop Header: Depth=1
	buffer_store_dword v8, off, s[48:51], 0 offset:36 ; 4-byte Folded Spill
	global_load_dword v0, v[57:58], off
	buffer_load_dword v3, off, s[48:51], 0 offset:80 ; 4-byte Folded Reload
	s_waitcnt lgkmcnt(0)
	buffer_load_dword v4, off, s[48:51], 0 offset:84 ; 4-byte Folded Reload
	v_mov_b32_e32 v61, 0
	s_waitcnt vmcnt(0)
	v_mad_i64_i32 v[7:8], s[4:5], v0, s40, v[3:4]
	global_load_dword v9, v[7:8], off
	global_load_dword v20, v2, s[12:13]
	s_waitcnt vmcnt(1)
	v_cmp_ne_u16_sdwa s[4:5], v9, v2 src0_sel:BYTE_0 src1_sel:DWORD
	s_and_saveexec_b64 s[34:35], s[4:5]
	s_cbranch_execz .LBB269_15
; %bb.10:                               ;   in Loop: Header=BB269_9 Depth=1
	v_cmp_ne_u16_sdwa s[4:5], v9, s42 src0_sel:BYTE_0 src1_sel:DWORD
	v_mov_b32_e32 v61, 0x8000
	s_and_saveexec_b64 s[36:37], s[4:5]
	s_cbranch_execz .LBB269_14
; %bb.11:                               ;   in Loop: Header=BB269_9 Depth=1
	v_and_b32_e32 v0, 0x7f, v9
	v_cmp_ne_u32_e64 s[4:5], s43, v0
	v_mov_b32_e32 v61, 0x7c01
	s_and_saveexec_b64 s[38:39], s[4:5]
	s_cbranch_execz .LBB269_13
; %bb.12:                               ;   in Loop: Header=BB269_9 Depth=1
	v_and_b32_e32 v1, 7, v9
	v_ffbh_u32_e32 v3, v1
	v_min_u32_e32 v11, 32, v3
	v_lshrrev_b32_e32 v10, 3, v0
	v_subrev_u32_e32 v3, 28, v11
	v_lshlrev_b64 v[3:4], v3, v[9:10]
	v_sub_u32_e32 v4, 29, v11
	v_cmp_gt_u32_e64 s[4:5], 8, v0
	v_cndmask_b32_e64 v0, v10, v4, s[4:5]
	v_mov_b32_e32 v5, 0x2000
	v_lshl_add_u32 v0, v0, 10, v5
	v_lshlrev_b32_e32 v4, 8, v9
	v_and_b32_e32 v3, 7, v3
	v_and_b32_e32 v0, 0xfc00, v0
	v_cndmask_b32_e64 v1, v1, v3, s[4:5]
	v_and_or_b32 v0, v4, s44, v0
	v_lshl_or_b32 v61, v1, 7, v0
.LBB269_13:                             ;   in Loop: Header=BB269_9 Depth=1
	s_or_b64 exec, exec, s[38:39]
.LBB269_14:                             ;   in Loop: Header=BB269_9 Depth=1
	s_or_b64 exec, exec, s[36:37]
.LBB269_15:                             ;   in Loop: Header=BB269_9 Depth=1
	s_or_b64 exec, exec, s[34:35]
	v_lshrrev_b16_e32 v1, 8, v9
	v_cmp_ne_u16_e64 s[4:5], 0, v1
	v_mov_b32_e32 v19, 0
	v_mov_b32_e32 v24, 0
	s_and_saveexec_b64 s[34:35], s[4:5]
	s_cbranch_execz .LBB269_21
; %bb.16:                               ;   in Loop: Header=BB269_9 Depth=1
	v_cmp_ne_u16_e64 s[4:5], s42, v1
	v_bfrev_b32_e32 v24, 1
	s_and_saveexec_b64 s[36:37], s[4:5]
	s_cbranch_execz .LBB269_20
; %bb.17:                               ;   in Loop: Header=BB269_9 Depth=1
	v_and_b32_e32 v0, 0x7f, v1
	v_cmp_ne_u32_e64 s[4:5], s43, v0
	v_mov_b32_e32 v24, 0x7c010000
	s_and_saveexec_b64 s[38:39], s[4:5]
	s_cbranch_execz .LBB269_19
; %bb.18:                               ;   in Loop: Header=BB269_9 Depth=1
	v_and_b32_e32 v10, 7, v1
	v_ffbh_u32_e32 v3, v10
	v_min_u32_e32 v12, 32, v3
	v_subrev_u32_e32 v3, 28, v12
	v_lshlrev_b64 v[3:4], v3, v[1:2]
	v_lshrrev_b32_e32 v11, 3, v0
	v_sub_u32_e32 v4, 29, v12
	v_cmp_gt_u32_e64 s[4:5], 8, v0
	v_cndmask_b32_e64 v0, v11, v4, s[4:5]
	v_mov_b32_e32 v4, 0x2000
	v_lshlrev_b32_e32 v1, 8, v1
	v_lshl_add_u32 v0, v0, 10, v4
	v_and_b32_e32 v3, 7, v3
	v_and_or_b32 v0, v1, s44, v0
	v_cndmask_b32_e64 v3, v10, v3, s[4:5]
	v_lshlrev_b32_e32 v0, 16, v0
	v_lshl_or_b32 v24, v3, 23, v0
.LBB269_19:                             ;   in Loop: Header=BB269_9 Depth=1
	s_or_b64 exec, exec, s[38:39]
.LBB269_20:                             ;   in Loop: Header=BB269_9 Depth=1
	s_or_b64 exec, exec, s[36:37]
.LBB269_21:                             ;   in Loop: Header=BB269_9 Depth=1
	s_or_b64 exec, exec, s[34:35]
	v_lshrrev_b32_e32 v1, 16, v9
	v_cmp_ne_u16_sdwa s[4:5], v1, v2 src0_sel:BYTE_0 src1_sel:DWORD
	s_and_saveexec_b64 s[34:35], s[4:5]
	s_cbranch_execz .LBB269_27
; %bb.22:                               ;   in Loop: Header=BB269_9 Depth=1
	v_cmp_ne_u16_sdwa s[4:5], v1, s42 src0_sel:BYTE_0 src1_sel:DWORD
	v_mov_b32_e32 v19, 0x8000
	s_and_saveexec_b64 s[36:37], s[4:5]
	s_cbranch_execz .LBB269_26
; %bb.23:                               ;   in Loop: Header=BB269_9 Depth=1
	v_bfe_u32 v0, v9, 16, 7
	v_cmp_ne_u32_e64 s[4:5], s43, v0
	v_mov_b32_e32 v19, 0x7c01
	s_and_saveexec_b64 s[38:39], s[4:5]
	s_cbranch_execz .LBB269_25
; %bb.24:                               ;   in Loop: Header=BB269_9 Depth=1
	v_and_b32_e32 v10, 7, v1
	v_ffbh_u32_e32 v3, v10
	v_min_u32_e32 v12, 32, v3
	v_subrev_u32_e32 v3, 28, v12
	v_lshlrev_b64 v[3:4], v3, v[1:2]
	v_lshrrev_b32_e32 v11, 3, v0
	v_sub_u32_e32 v4, 29, v12
	v_cmp_gt_u32_e64 s[4:5], 8, v0
	v_cndmask_b32_e64 v0, v11, v4, s[4:5]
	v_mov_b32_e32 v4, 0x2000
	v_lshl_add_u32 v0, v0, 10, v4
	v_lshlrev_b32_e32 v1, 8, v1
	v_and_b32_e32 v3, 7, v3
	v_and_b32_e32 v0, 0xfc00, v0
	v_cndmask_b32_e64 v3, v10, v3, s[4:5]
	v_and_or_b32 v0, v1, s44, v0
	v_lshl_or_b32 v19, v3, 7, v0
.LBB269_25:                             ;   in Loop: Header=BB269_9 Depth=1
	s_or_b64 exec, exec, s[38:39]
.LBB269_26:                             ;   in Loop: Header=BB269_9 Depth=1
	s_or_b64 exec, exec, s[36:37]
.LBB269_27:                             ;   in Loop: Header=BB269_9 Depth=1
	s_or_b64 exec, exec, s[34:35]
	v_cmp_lt_u32_e64 s[4:5], s45, v9
	v_mov_b32_e32 v49, 0
	v_mov_b32_e32 v28, 0
	s_and_saveexec_b64 s[34:35], s[4:5]
	s_cbranch_execz .LBB269_33
; %bb.28:                               ;   in Loop: Header=BB269_9 Depth=1
	v_lshrrev_b32_e32 v1, 24, v9
	v_cmp_ne_u32_e64 s[4:5], s42, v1
	v_bfrev_b32_e32 v28, 1
	s_and_saveexec_b64 s[36:37], s[4:5]
	s_cbranch_execz .LBB269_32
; %bb.29:                               ;   in Loop: Header=BB269_9 Depth=1
	v_and_b32_e32 v0, 0x7f, v1
	v_cmp_ne_u32_e64 s[4:5], s43, v0
	v_mov_b32_e32 v28, 0x7c010000
	s_and_saveexec_b64 s[38:39], s[4:5]
	s_cbranch_execz .LBB269_31
; %bb.30:                               ;   in Loop: Header=BB269_9 Depth=1
	v_and_b32_e32 v9, 7, v1
	v_ffbh_u32_e32 v3, v9
	v_min_u32_e32 v11, 32, v3
	v_subrev_u32_e32 v3, 28, v11
	v_lshlrev_b64 v[3:4], v3, v[1:2]
	v_lshrrev_b32_e32 v10, 3, v0
	v_sub_u32_e32 v4, 29, v11
	v_cmp_gt_u32_e64 s[4:5], 8, v0
	v_cndmask_b32_e64 v0, v10, v4, s[4:5]
	v_mov_b32_e32 v4, 0x2000
	v_lshlrev_b32_e32 v1, 8, v1
	v_lshl_add_u32 v0, v0, 10, v4
	v_and_b32_e32 v3, 7, v3
	v_and_or_b32 v0, v1, s44, v0
	v_cndmask_b32_e64 v3, v9, v3, s[4:5]
	v_lshlrev_b32_e32 v0, 16, v0
	v_lshl_or_b32 v28, v3, 23, v0
.LBB269_31:                             ;   in Loop: Header=BB269_9 Depth=1
	s_or_b64 exec, exec, s[38:39]
.LBB269_32:                             ;   in Loop: Header=BB269_9 Depth=1
	s_or_b64 exec, exec, s[36:37]
.LBB269_33:                             ;   in Loop: Header=BB269_9 Depth=1
	s_or_b64 exec, exec, s[34:35]
	global_load_dword v9, v[7:8], off offset:8
	s_waitcnt vmcnt(0)
	v_cmp_ne_u16_sdwa s[4:5], v9, v2 src0_sel:BYTE_0 src1_sel:DWORD
	s_and_saveexec_b64 s[34:35], s[4:5]
	s_cbranch_execz .LBB269_39
; %bb.34:                               ;   in Loop: Header=BB269_9 Depth=1
	v_cmp_ne_u16_sdwa s[4:5], v9, s42 src0_sel:BYTE_0 src1_sel:DWORD
	v_mov_b32_e32 v49, 0x8000
	s_and_saveexec_b64 s[36:37], s[4:5]
	s_cbranch_execz .LBB269_38
; %bb.35:                               ;   in Loop: Header=BB269_9 Depth=1
	v_and_b32_e32 v0, 0x7f, v9
	v_cmp_ne_u32_e64 s[4:5], s43, v0
	v_mov_b32_e32 v49, 0x7c01
	s_and_saveexec_b64 s[38:39], s[4:5]
	s_cbranch_execz .LBB269_37
; %bb.36:                               ;   in Loop: Header=BB269_9 Depth=1
	v_and_b32_e32 v1, 7, v9
	v_ffbh_u32_e32 v3, v1
	v_min_u32_e32 v11, 32, v3
	v_lshrrev_b32_e32 v10, 3, v0
	v_subrev_u32_e32 v3, 28, v11
	v_lshlrev_b64 v[3:4], v3, v[9:10]
	v_sub_u32_e32 v4, 29, v11
	v_cmp_gt_u32_e64 s[4:5], 8, v0
	v_cndmask_b32_e64 v0, v10, v4, s[4:5]
	v_mov_b32_e32 v5, 0x2000
	v_lshl_add_u32 v0, v0, 10, v5
	v_lshlrev_b32_e32 v4, 8, v9
	v_and_b32_e32 v3, 7, v3
	v_and_b32_e32 v0, 0xfc00, v0
	v_cndmask_b32_e64 v1, v1, v3, s[4:5]
	v_and_or_b32 v0, v4, s44, v0
	v_lshl_or_b32 v49, v1, 7, v0
.LBB269_37:                             ;   in Loop: Header=BB269_9 Depth=1
	s_or_b64 exec, exec, s[38:39]
.LBB269_38:                             ;   in Loop: Header=BB269_9 Depth=1
	s_or_b64 exec, exec, s[36:37]
.LBB269_39:                             ;   in Loop: Header=BB269_9 Depth=1
	s_or_b64 exec, exec, s[34:35]
	v_lshrrev_b16_e32 v1, 8, v9
	v_cmp_ne_u16_e64 s[4:5], 0, v1
	v_mov_b32_e32 v53, 0
	v_mov_b32_e32 v0, 0
	buffer_store_dword v0, off, s[48:51], 0 ; 4-byte Folded Spill
	s_and_saveexec_b64 s[34:35], s[4:5]
	s_cbranch_execz .LBB269_45
; %bb.40:                               ;   in Loop: Header=BB269_9 Depth=1
	v_cmp_ne_u16_e64 s[4:5], s42, v1
	v_bfrev_b32_e32 v0, 1
	buffer_store_dword v0, off, s[48:51], 0 ; 4-byte Folded Spill
	s_and_saveexec_b64 s[36:37], s[4:5]
	s_cbranch_execz .LBB269_44
; %bb.41:                               ;   in Loop: Header=BB269_9 Depth=1
	v_and_b32_e32 v0, 0x7f, v1
	v_cmp_ne_u32_e64 s[4:5], s43, v0
	v_mov_b32_e32 v3, 0x7c010000
	buffer_store_dword v3, off, s[48:51], 0 ; 4-byte Folded Spill
	s_and_saveexec_b64 s[38:39], s[4:5]
	s_cbranch_execz .LBB269_43
; %bb.42:                               ;   in Loop: Header=BB269_9 Depth=1
	v_and_b32_e32 v10, 7, v1
	v_ffbh_u32_e32 v3, v10
	v_min_u32_e32 v12, 32, v3
	v_subrev_u32_e32 v3, 28, v12
	v_lshlrev_b64 v[3:4], v3, v[1:2]
	v_lshrrev_b32_e32 v11, 3, v0
	v_sub_u32_e32 v4, 29, v12
	v_cmp_gt_u32_e64 s[4:5], 8, v0
	v_cndmask_b32_e64 v0, v11, v4, s[4:5]
	v_mov_b32_e32 v4, 0x2000
	v_lshlrev_b32_e32 v1, 8, v1
	v_lshl_add_u32 v0, v0, 10, v4
	v_and_b32_e32 v3, 7, v3
	v_and_or_b32 v0, v1, s44, v0
	v_cndmask_b32_e64 v3, v10, v3, s[4:5]
	v_lshlrev_b32_e32 v0, 16, v0
	v_lshl_or_b32 v0, v3, 23, v0
	buffer_store_dword v0, off, s[48:51], 0 ; 4-byte Folded Spill
.LBB269_43:                             ;   in Loop: Header=BB269_9 Depth=1
	s_or_b64 exec, exec, s[38:39]
.LBB269_44:                             ;   in Loop: Header=BB269_9 Depth=1
	s_or_b64 exec, exec, s[36:37]
.LBB269_45:                             ;   in Loop: Header=BB269_9 Depth=1
	s_or_b64 exec, exec, s[34:35]
	v_lshrrev_b32_e32 v1, 16, v9
	v_cmp_ne_u16_sdwa s[4:5], v1, v2 src0_sel:BYTE_0 src1_sel:DWORD
	s_and_saveexec_b64 s[34:35], s[4:5]
	s_cbranch_execz .LBB269_51
; %bb.46:                               ;   in Loop: Header=BB269_9 Depth=1
	v_cmp_ne_u16_sdwa s[4:5], v1, s42 src0_sel:BYTE_0 src1_sel:DWORD
	v_mov_b32_e32 v53, 0x8000
	s_and_saveexec_b64 s[36:37], s[4:5]
	s_cbranch_execz .LBB269_50
; %bb.47:                               ;   in Loop: Header=BB269_9 Depth=1
	v_bfe_u32 v0, v9, 16, 7
	v_cmp_ne_u32_e64 s[4:5], s43, v0
	v_mov_b32_e32 v53, 0x7c01
	s_and_saveexec_b64 s[38:39], s[4:5]
	s_cbranch_execz .LBB269_49
; %bb.48:                               ;   in Loop: Header=BB269_9 Depth=1
	v_and_b32_e32 v10, 7, v1
	v_ffbh_u32_e32 v3, v10
	v_min_u32_e32 v12, 32, v3
	v_subrev_u32_e32 v3, 28, v12
	v_lshlrev_b64 v[3:4], v3, v[1:2]
	v_lshrrev_b32_e32 v11, 3, v0
	v_sub_u32_e32 v4, 29, v12
	v_cmp_gt_u32_e64 s[4:5], 8, v0
	v_cndmask_b32_e64 v0, v11, v4, s[4:5]
	v_mov_b32_e32 v4, 0x2000
	v_lshl_add_u32 v0, v0, 10, v4
	v_lshlrev_b32_e32 v1, 8, v1
	v_and_b32_e32 v3, 7, v3
	v_and_b32_e32 v0, 0xfc00, v0
	v_cndmask_b32_e64 v3, v10, v3, s[4:5]
	v_and_or_b32 v0, v1, s44, v0
	v_lshl_or_b32 v53, v3, 7, v0
.LBB269_49:                             ;   in Loop: Header=BB269_9 Depth=1
	s_or_b64 exec, exec, s[38:39]
.LBB269_50:                             ;   in Loop: Header=BB269_9 Depth=1
	s_or_b64 exec, exec, s[36:37]
.LBB269_51:                             ;   in Loop: Header=BB269_9 Depth=1
	s_or_b64 exec, exec, s[34:35]
	v_cmp_lt_u32_e64 s[4:5], s45, v9
	v_mov_b32_e32 v27, 0
	v_mov_b32_e32 v0, 0
	buffer_store_dword v0, off, s[48:51], 0 offset:32 ; 4-byte Folded Spill
	s_and_saveexec_b64 s[34:35], s[4:5]
	s_cbranch_execz .LBB269_57
; %bb.52:                               ;   in Loop: Header=BB269_9 Depth=1
	v_lshrrev_b32_e32 v1, 24, v9
	v_cmp_ne_u32_e64 s[4:5], s42, v1
	v_bfrev_b32_e32 v3, 1
	s_and_saveexec_b64 s[36:37], s[4:5]
	s_cbranch_execz .LBB269_56
; %bb.53:                               ;   in Loop: Header=BB269_9 Depth=1
	v_and_b32_e32 v0, 0x7f, v1
	v_cmp_ne_u32_e64 s[4:5], s43, v0
	v_mov_b32_e32 v3, 0x7c010000
	s_and_saveexec_b64 s[38:39], s[4:5]
	s_cbranch_execz .LBB269_55
; %bb.54:                               ;   in Loop: Header=BB269_9 Depth=1
	v_and_b32_e32 v9, 7, v1
	v_ffbh_u32_e32 v3, v9
	v_min_u32_e32 v11, 32, v3
	v_subrev_u32_e32 v3, 28, v11
	v_lshlrev_b64 v[3:4], v3, v[1:2]
	v_lshrrev_b32_e32 v10, 3, v0
	v_sub_u32_e32 v4, 29, v11
	v_cmp_gt_u32_e64 s[4:5], 8, v0
	v_cndmask_b32_e64 v0, v10, v4, s[4:5]
	v_mov_b32_e32 v4, 0x2000
	v_lshlrev_b32_e32 v1, 8, v1
	v_lshl_add_u32 v0, v0, 10, v4
	v_and_b32_e32 v3, 7, v3
	v_and_or_b32 v0, v1, s44, v0
	v_cndmask_b32_e64 v3, v9, v3, s[4:5]
	v_lshlrev_b32_e32 v0, 16, v0
	v_lshl_or_b32 v3, v3, 23, v0
.LBB269_55:                             ;   in Loop: Header=BB269_9 Depth=1
	s_or_b64 exec, exec, s[38:39]
.LBB269_56:                             ;   in Loop: Header=BB269_9 Depth=1
	s_or_b64 exec, exec, s[36:37]
	buffer_store_dword v3, off, s[48:51], 0 offset:32 ; 4-byte Folded Spill
.LBB269_57:                             ;   in Loop: Header=BB269_9 Depth=1
	s_or_b64 exec, exec, s[34:35]
	global_load_dword v9, v[7:8], off offset:512
	s_waitcnt vmcnt(0)
	v_cmp_ne_u16_sdwa s[4:5], v9, v2 src0_sel:BYTE_0 src1_sel:DWORD
	s_and_saveexec_b64 s[34:35], s[4:5]
	s_cbranch_execz .LBB269_63
; %bb.58:                               ;   in Loop: Header=BB269_9 Depth=1
	v_cmp_ne_u16_sdwa s[4:5], v9, s42 src0_sel:BYTE_0 src1_sel:DWORD
	v_mov_b32_e32 v27, 0x8000
	s_and_saveexec_b64 s[36:37], s[4:5]
	s_cbranch_execz .LBB269_62
; %bb.59:                               ;   in Loop: Header=BB269_9 Depth=1
	v_and_b32_e32 v0, 0x7f, v9
	v_cmp_ne_u32_e64 s[4:5], s43, v0
	v_mov_b32_e32 v27, 0x7c01
	s_and_saveexec_b64 s[38:39], s[4:5]
	s_cbranch_execz .LBB269_61
; %bb.60:                               ;   in Loop: Header=BB269_9 Depth=1
	v_and_b32_e32 v1, 7, v9
	v_ffbh_u32_e32 v3, v1
	v_min_u32_e32 v11, 32, v3
	v_lshrrev_b32_e32 v10, 3, v0
	v_subrev_u32_e32 v3, 28, v11
	v_lshlrev_b64 v[3:4], v3, v[9:10]
	v_sub_u32_e32 v4, 29, v11
	v_cmp_gt_u32_e64 s[4:5], 8, v0
	v_cndmask_b32_e64 v0, v10, v4, s[4:5]
	v_mov_b32_e32 v5, 0x2000
	v_lshl_add_u32 v0, v0, 10, v5
	v_lshlrev_b32_e32 v4, 8, v9
	v_and_b32_e32 v3, 7, v3
	v_and_b32_e32 v0, 0xfc00, v0
	v_cndmask_b32_e64 v1, v1, v3, s[4:5]
	v_and_or_b32 v0, v4, s44, v0
	v_lshl_or_b32 v27, v1, 7, v0
.LBB269_61:                             ;   in Loop: Header=BB269_9 Depth=1
	s_or_b64 exec, exec, s[38:39]
.LBB269_62:                             ;   in Loop: Header=BB269_9 Depth=1
	s_or_b64 exec, exec, s[36:37]
.LBB269_63:                             ;   in Loop: Header=BB269_9 Depth=1
	s_or_b64 exec, exec, s[34:35]
	v_lshrrev_b16_e32 v1, 8, v9
	v_cmp_ne_u16_e64 s[4:5], 0, v1
	v_mov_b32_e32 v0, 0
	v_mov_b32_e32 v31, 0
	buffer_store_dword v0, off, s[48:51], 0 offset:4 ; 4-byte Folded Spill
	s_and_saveexec_b64 s[34:35], s[4:5]
	s_cbranch_execz .LBB269_69
; %bb.64:                               ;   in Loop: Header=BB269_9 Depth=1
	v_cmp_ne_u16_e64 s[4:5], s42, v1
	v_bfrev_b32_e32 v31, 1
	s_and_saveexec_b64 s[36:37], s[4:5]
	s_cbranch_execz .LBB269_68
; %bb.65:                               ;   in Loop: Header=BB269_9 Depth=1
	v_and_b32_e32 v0, 0x7f, v1
	v_cmp_ne_u32_e64 s[4:5], s43, v0
	v_mov_b32_e32 v31, 0x7c010000
	s_and_saveexec_b64 s[38:39], s[4:5]
	s_cbranch_execz .LBB269_67
; %bb.66:                               ;   in Loop: Header=BB269_9 Depth=1
	v_and_b32_e32 v10, 7, v1
	v_ffbh_u32_e32 v3, v10
	v_min_u32_e32 v12, 32, v3
	v_subrev_u32_e32 v3, 28, v12
	v_lshlrev_b64 v[3:4], v3, v[1:2]
	v_lshrrev_b32_e32 v11, 3, v0
	v_sub_u32_e32 v4, 29, v12
	v_cmp_gt_u32_e64 s[4:5], 8, v0
	v_cndmask_b32_e64 v0, v11, v4, s[4:5]
	v_mov_b32_e32 v4, 0x2000
	v_lshlrev_b32_e32 v1, 8, v1
	v_lshl_add_u32 v0, v0, 10, v4
	v_and_b32_e32 v3, 7, v3
	v_and_or_b32 v0, v1, s44, v0
	v_cndmask_b32_e64 v3, v10, v3, s[4:5]
	v_lshlrev_b32_e32 v0, 16, v0
	v_lshl_or_b32 v31, v3, 23, v0
.LBB269_67:                             ;   in Loop: Header=BB269_9 Depth=1
	s_or_b64 exec, exec, s[38:39]
.LBB269_68:                             ;   in Loop: Header=BB269_9 Depth=1
	s_or_b64 exec, exec, s[36:37]
.LBB269_69:                             ;   in Loop: Header=BB269_9 Depth=1
	s_or_b64 exec, exec, s[34:35]
	v_lshrrev_b32_e32 v1, 16, v9
	v_cmp_ne_u16_sdwa s[4:5], v1, v2 src0_sel:BYTE_0 src1_sel:DWORD
	s_and_saveexec_b64 s[34:35], s[4:5]
	s_cbranch_execz .LBB269_75
; %bb.70:                               ;   in Loop: Header=BB269_9 Depth=1
	v_cmp_ne_u16_sdwa s[4:5], v1, s42 src0_sel:BYTE_0 src1_sel:DWORD
	v_mov_b32_e32 v0, 0x8000
	buffer_store_dword v0, off, s[48:51], 0 offset:4 ; 4-byte Folded Spill
	s_and_saveexec_b64 s[36:37], s[4:5]
	s_cbranch_execz .LBB269_74
; %bb.71:                               ;   in Loop: Header=BB269_9 Depth=1
	v_bfe_u32 v0, v9, 16, 7
	v_cmp_ne_u32_e64 s[4:5], s43, v0
	v_mov_b32_e32 v3, 0x7c01
	buffer_store_dword v3, off, s[48:51], 0 offset:4 ; 4-byte Folded Spill
	s_and_saveexec_b64 s[38:39], s[4:5]
	s_cbranch_execz .LBB269_73
; %bb.72:                               ;   in Loop: Header=BB269_9 Depth=1
	v_and_b32_e32 v10, 7, v1
	v_ffbh_u32_e32 v3, v10
	v_min_u32_e32 v12, 32, v3
	v_subrev_u32_e32 v3, 28, v12
	v_lshlrev_b64 v[3:4], v3, v[1:2]
	v_lshrrev_b32_e32 v11, 3, v0
	v_sub_u32_e32 v4, 29, v12
	v_cmp_gt_u32_e64 s[4:5], 8, v0
	v_cndmask_b32_e64 v0, v11, v4, s[4:5]
	v_mov_b32_e32 v4, 0x2000
	v_lshl_add_u32 v0, v0, 10, v4
	v_lshlrev_b32_e32 v1, 8, v1
	v_and_b32_e32 v3, 7, v3
	v_and_b32_e32 v0, 0xfc00, v0
	v_cndmask_b32_e64 v3, v10, v3, s[4:5]
	v_and_or_b32 v0, v1, s44, v0
	v_lshl_or_b32 v0, v3, 7, v0
	buffer_store_dword v0, off, s[48:51], 0 offset:4 ; 4-byte Folded Spill
.LBB269_73:                             ;   in Loop: Header=BB269_9 Depth=1
	s_or_b64 exec, exec, s[38:39]
.LBB269_74:                             ;   in Loop: Header=BB269_9 Depth=1
	s_or_b64 exec, exec, s[36:37]
.LBB269_75:                             ;   in Loop: Header=BB269_9 Depth=1
	s_or_b64 exec, exec, s[34:35]
	v_cmp_lt_u32_e64 s[4:5], s45, v9
	v_mov_b32_e32 v33, 0
	v_mov_b32_e32 v30, 0
	s_and_saveexec_b64 s[34:35], s[4:5]
	s_cbranch_execz .LBB269_81
; %bb.76:                               ;   in Loop: Header=BB269_9 Depth=1
	v_lshrrev_b32_e32 v1, 24, v9
	v_cmp_ne_u32_e64 s[4:5], s42, v1
	v_bfrev_b32_e32 v30, 1
	s_and_saveexec_b64 s[36:37], s[4:5]
	s_cbranch_execz .LBB269_80
; %bb.77:                               ;   in Loop: Header=BB269_9 Depth=1
	v_and_b32_e32 v0, 0x7f, v1
	v_cmp_ne_u32_e64 s[4:5], s43, v0
	v_mov_b32_e32 v30, 0x7c010000
	s_and_saveexec_b64 s[38:39], s[4:5]
	s_cbranch_execz .LBB269_79
; %bb.78:                               ;   in Loop: Header=BB269_9 Depth=1
	v_and_b32_e32 v9, 7, v1
	v_ffbh_u32_e32 v3, v9
	v_min_u32_e32 v11, 32, v3
	v_subrev_u32_e32 v3, 28, v11
	v_lshlrev_b64 v[3:4], v3, v[1:2]
	v_lshrrev_b32_e32 v10, 3, v0
	v_sub_u32_e32 v4, 29, v11
	v_cmp_gt_u32_e64 s[4:5], 8, v0
	v_cndmask_b32_e64 v0, v10, v4, s[4:5]
	v_mov_b32_e32 v4, 0x2000
	v_lshlrev_b32_e32 v1, 8, v1
	v_lshl_add_u32 v0, v0, 10, v4
	v_and_b32_e32 v3, 7, v3
	v_and_or_b32 v0, v1, s44, v0
	v_cndmask_b32_e64 v3, v9, v3, s[4:5]
	v_lshlrev_b32_e32 v0, 16, v0
	v_lshl_or_b32 v30, v3, 23, v0
.LBB269_79:                             ;   in Loop: Header=BB269_9 Depth=1
	s_or_b64 exec, exec, s[38:39]
.LBB269_80:                             ;   in Loop: Header=BB269_9 Depth=1
	s_or_b64 exec, exec, s[36:37]
.LBB269_81:                             ;   in Loop: Header=BB269_9 Depth=1
	s_or_b64 exec, exec, s[34:35]
	global_load_dword v9, v[7:8], off offset:520
	s_waitcnt vmcnt(0)
	v_cmp_ne_u16_sdwa s[4:5], v9, v2 src0_sel:BYTE_0 src1_sel:DWORD
	s_and_saveexec_b64 s[34:35], s[4:5]
	s_cbranch_execz .LBB269_87
; %bb.82:                               ;   in Loop: Header=BB269_9 Depth=1
	v_cmp_ne_u16_sdwa s[4:5], v9, s42 src0_sel:BYTE_0 src1_sel:DWORD
	v_mov_b32_e32 v33, 0x8000
	s_and_saveexec_b64 s[36:37], s[4:5]
	s_cbranch_execz .LBB269_86
; %bb.83:                               ;   in Loop: Header=BB269_9 Depth=1
	v_and_b32_e32 v0, 0x7f, v9
	v_cmp_ne_u32_e64 s[4:5], s43, v0
	v_mov_b32_e32 v33, 0x7c01
	s_and_saveexec_b64 s[38:39], s[4:5]
	s_cbranch_execz .LBB269_85
; %bb.84:                               ;   in Loop: Header=BB269_9 Depth=1
	v_and_b32_e32 v1, 7, v9
	v_ffbh_u32_e32 v3, v1
	v_min_u32_e32 v11, 32, v3
	v_lshrrev_b32_e32 v10, 3, v0
	v_subrev_u32_e32 v3, 28, v11
	v_lshlrev_b64 v[3:4], v3, v[9:10]
	v_sub_u32_e32 v4, 29, v11
	v_cmp_gt_u32_e64 s[4:5], 8, v0
	v_cndmask_b32_e64 v0, v10, v4, s[4:5]
	v_mov_b32_e32 v5, 0x2000
	v_lshl_add_u32 v0, v0, 10, v5
	v_lshlrev_b32_e32 v4, 8, v9
	v_and_b32_e32 v3, 7, v3
	v_and_b32_e32 v0, 0xfc00, v0
	v_cndmask_b32_e64 v1, v1, v3, s[4:5]
	v_and_or_b32 v0, v4, s44, v0
	v_lshl_or_b32 v33, v1, 7, v0
.LBB269_85:                             ;   in Loop: Header=BB269_9 Depth=1
	s_or_b64 exec, exec, s[38:39]
.LBB269_86:                             ;   in Loop: Header=BB269_9 Depth=1
	s_or_b64 exec, exec, s[36:37]
.LBB269_87:                             ;   in Loop: Header=BB269_9 Depth=1
	s_or_b64 exec, exec, s[34:35]
	v_lshrrev_b16_e32 v1, 8, v9
	v_cmp_ne_u16_e64 s[4:5], 0, v1
	v_mov_b32_e32 v0, 0
	v_mov_b32_e32 v35, 0
	buffer_store_dword v0, off, s[48:51], 0 offset:8 ; 4-byte Folded Spill
	s_and_saveexec_b64 s[34:35], s[4:5]
	s_cbranch_execz .LBB269_93
; %bb.88:                               ;   in Loop: Header=BB269_9 Depth=1
	v_cmp_ne_u16_e64 s[4:5], s42, v1
	v_bfrev_b32_e32 v35, 1
	s_and_saveexec_b64 s[36:37], s[4:5]
	s_cbranch_execz .LBB269_92
; %bb.89:                               ;   in Loop: Header=BB269_9 Depth=1
	v_and_b32_e32 v0, 0x7f, v1
	v_cmp_ne_u32_e64 s[4:5], s43, v0
	v_mov_b32_e32 v35, 0x7c010000
	s_and_saveexec_b64 s[38:39], s[4:5]
	s_cbranch_execz .LBB269_91
; %bb.90:                               ;   in Loop: Header=BB269_9 Depth=1
	v_and_b32_e32 v10, 7, v1
	v_ffbh_u32_e32 v3, v10
	v_min_u32_e32 v12, 32, v3
	v_subrev_u32_e32 v3, 28, v12
	v_lshlrev_b64 v[3:4], v3, v[1:2]
	v_lshrrev_b32_e32 v11, 3, v0
	v_sub_u32_e32 v4, 29, v12
	v_cmp_gt_u32_e64 s[4:5], 8, v0
	v_cndmask_b32_e64 v0, v11, v4, s[4:5]
	v_mov_b32_e32 v4, 0x2000
	v_lshlrev_b32_e32 v1, 8, v1
	v_lshl_add_u32 v0, v0, 10, v4
	v_and_b32_e32 v3, 7, v3
	v_and_or_b32 v0, v1, s44, v0
	v_cndmask_b32_e64 v3, v10, v3, s[4:5]
	v_lshlrev_b32_e32 v0, 16, v0
	v_lshl_or_b32 v35, v3, 23, v0
.LBB269_91:                             ;   in Loop: Header=BB269_9 Depth=1
	s_or_b64 exec, exec, s[38:39]
.LBB269_92:                             ;   in Loop: Header=BB269_9 Depth=1
	s_or_b64 exec, exec, s[36:37]
.LBB269_93:                             ;   in Loop: Header=BB269_9 Depth=1
	s_or_b64 exec, exec, s[34:35]
	v_lshrrev_b32_e32 v1, 16, v9
	v_cmp_ne_u16_sdwa s[4:5], v1, v2 src0_sel:BYTE_0 src1_sel:DWORD
	s_and_saveexec_b64 s[34:35], s[4:5]
	s_cbranch_execz .LBB269_99
; %bb.94:                               ;   in Loop: Header=BB269_9 Depth=1
	v_cmp_ne_u16_sdwa s[4:5], v1, s42 src0_sel:BYTE_0 src1_sel:DWORD
	v_mov_b32_e32 v0, 0x8000
	buffer_store_dword v0, off, s[48:51], 0 offset:8 ; 4-byte Folded Spill
	s_and_saveexec_b64 s[36:37], s[4:5]
	s_cbranch_execz .LBB269_98
; %bb.95:                               ;   in Loop: Header=BB269_9 Depth=1
	v_bfe_u32 v0, v9, 16, 7
	v_cmp_ne_u32_e64 s[4:5], s43, v0
	v_mov_b32_e32 v3, 0x7c01
	buffer_store_dword v3, off, s[48:51], 0 offset:8 ; 4-byte Folded Spill
	s_and_saveexec_b64 s[38:39], s[4:5]
	s_cbranch_execz .LBB269_97
; %bb.96:                               ;   in Loop: Header=BB269_9 Depth=1
	v_and_b32_e32 v10, 7, v1
	v_ffbh_u32_e32 v3, v10
	v_min_u32_e32 v12, 32, v3
	v_subrev_u32_e32 v3, 28, v12
	v_lshlrev_b64 v[3:4], v3, v[1:2]
	v_lshrrev_b32_e32 v11, 3, v0
	v_sub_u32_e32 v4, 29, v12
	v_cmp_gt_u32_e64 s[4:5], 8, v0
	v_cndmask_b32_e64 v0, v11, v4, s[4:5]
	v_mov_b32_e32 v4, 0x2000
	v_lshl_add_u32 v0, v0, 10, v4
	v_lshlrev_b32_e32 v1, 8, v1
	v_and_b32_e32 v3, 7, v3
	v_and_b32_e32 v0, 0xfc00, v0
	v_cndmask_b32_e64 v3, v10, v3, s[4:5]
	v_and_or_b32 v0, v1, s44, v0
	v_lshl_or_b32 v0, v3, 7, v0
	buffer_store_dword v0, off, s[48:51], 0 offset:8 ; 4-byte Folded Spill
.LBB269_97:                             ;   in Loop: Header=BB269_9 Depth=1
	s_or_b64 exec, exec, s[38:39]
.LBB269_98:                             ;   in Loop: Header=BB269_9 Depth=1
	s_or_b64 exec, exec, s[36:37]
.LBB269_99:                             ;   in Loop: Header=BB269_9 Depth=1
	s_or_b64 exec, exec, s[34:35]
	v_cmp_lt_u32_e64 s[4:5], s45, v9
	v_mov_b32_e32 v0, 0
	v_mov_b32_e32 v36, 0
	buffer_store_dword v0, off, s[48:51], 0 offset:12 ; 4-byte Folded Spill
	s_and_saveexec_b64 s[34:35], s[4:5]
	s_cbranch_execz .LBB269_105
; %bb.100:                              ;   in Loop: Header=BB269_9 Depth=1
	v_lshrrev_b32_e32 v1, 24, v9
	v_cmp_ne_u32_e64 s[4:5], s42, v1
	v_bfrev_b32_e32 v36, 1
	s_and_saveexec_b64 s[36:37], s[4:5]
	s_cbranch_execz .LBB269_104
; %bb.101:                              ;   in Loop: Header=BB269_9 Depth=1
	v_and_b32_e32 v0, 0x7f, v1
	v_cmp_ne_u32_e64 s[4:5], s43, v0
	v_mov_b32_e32 v36, 0x7c010000
	s_and_saveexec_b64 s[38:39], s[4:5]
	s_cbranch_execz .LBB269_103
; %bb.102:                              ;   in Loop: Header=BB269_9 Depth=1
	v_and_b32_e32 v9, 7, v1
	v_ffbh_u32_e32 v3, v9
	v_min_u32_e32 v11, 32, v3
	v_subrev_u32_e32 v3, 28, v11
	v_lshlrev_b64 v[3:4], v3, v[1:2]
	v_lshrrev_b32_e32 v10, 3, v0
	v_sub_u32_e32 v4, 29, v11
	v_cmp_gt_u32_e64 s[4:5], 8, v0
	v_cndmask_b32_e64 v0, v10, v4, s[4:5]
	v_mov_b32_e32 v4, 0x2000
	v_lshlrev_b32_e32 v1, 8, v1
	v_lshl_add_u32 v0, v0, 10, v4
	v_and_b32_e32 v3, 7, v3
	v_and_or_b32 v0, v1, s44, v0
	v_cndmask_b32_e64 v3, v9, v3, s[4:5]
	v_lshlrev_b32_e32 v0, 16, v0
	v_lshl_or_b32 v36, v3, 23, v0
.LBB269_103:                            ;   in Loop: Header=BB269_9 Depth=1
	s_or_b64 exec, exec, s[38:39]
.LBB269_104:                            ;   in Loop: Header=BB269_9 Depth=1
	s_or_b64 exec, exec, s[36:37]
.LBB269_105:                            ;   in Loop: Header=BB269_9 Depth=1
	s_or_b64 exec, exec, s[34:35]
	global_load_dword v9, v[7:8], off offset:1024
	s_waitcnt vmcnt(0)
	v_cmp_ne_u16_sdwa s[4:5], v9, v2 src0_sel:BYTE_0 src1_sel:DWORD
	s_and_saveexec_b64 s[34:35], s[4:5]
	s_cbranch_execz .LBB269_111
; %bb.106:                              ;   in Loop: Header=BB269_9 Depth=1
	v_cmp_ne_u16_sdwa s[4:5], v9, s42 src0_sel:BYTE_0 src1_sel:DWORD
	v_mov_b32_e32 v0, 0x8000
	buffer_store_dword v0, off, s[48:51], 0 offset:12 ; 4-byte Folded Spill
	s_and_saveexec_b64 s[36:37], s[4:5]
	s_cbranch_execz .LBB269_110
; %bb.107:                              ;   in Loop: Header=BB269_9 Depth=1
	v_and_b32_e32 v0, 0x7f, v9
	v_cmp_ne_u32_e64 s[4:5], s43, v0
	v_mov_b32_e32 v1, 0x7c01
	buffer_store_dword v1, off, s[48:51], 0 offset:12 ; 4-byte Folded Spill
	s_and_saveexec_b64 s[38:39], s[4:5]
	s_cbranch_execz .LBB269_109
; %bb.108:                              ;   in Loop: Header=BB269_9 Depth=1
	v_and_b32_e32 v1, 7, v9
	v_ffbh_u32_e32 v3, v1
	v_min_u32_e32 v11, 32, v3
	v_lshrrev_b32_e32 v10, 3, v0
	v_subrev_u32_e32 v3, 28, v11
	v_lshlrev_b64 v[3:4], v3, v[9:10]
	v_sub_u32_e32 v4, 29, v11
	v_cmp_gt_u32_e64 s[4:5], 8, v0
	v_cndmask_b32_e64 v0, v10, v4, s[4:5]
	v_mov_b32_e32 v5, 0x2000
	v_lshl_add_u32 v0, v0, 10, v5
	v_lshlrev_b32_e32 v4, 8, v9
	v_and_b32_e32 v3, 7, v3
	v_and_b32_e32 v0, 0xfc00, v0
	v_cndmask_b32_e64 v1, v1, v3, s[4:5]
	v_and_or_b32 v0, v4, s44, v0
	v_lshl_or_b32 v0, v1, 7, v0
	buffer_store_dword v0, off, s[48:51], 0 offset:12 ; 4-byte Folded Spill
.LBB269_109:                            ;   in Loop: Header=BB269_9 Depth=1
	s_or_b64 exec, exec, s[38:39]
.LBB269_110:                            ;   in Loop: Header=BB269_9 Depth=1
	s_or_b64 exec, exec, s[36:37]
.LBB269_111:                            ;   in Loop: Header=BB269_9 Depth=1
	s_or_b64 exec, exec, s[34:35]
	v_lshrrev_b16_e32 v1, 8, v9
	v_cmp_ne_u16_e64 s[4:5], 0, v1
	v_mov_b32_e32 v0, 0
	v_mov_b32_e32 v39, 0
	buffer_store_dword v0, off, s[48:51], 0 offset:16 ; 4-byte Folded Spill
	s_and_saveexec_b64 s[34:35], s[4:5]
	s_cbranch_execz .LBB269_117
; %bb.112:                              ;   in Loop: Header=BB269_9 Depth=1
	v_cmp_ne_u16_e64 s[4:5], s42, v1
	v_bfrev_b32_e32 v39, 1
	s_and_saveexec_b64 s[36:37], s[4:5]
	s_cbranch_execz .LBB269_116
; %bb.113:                              ;   in Loop: Header=BB269_9 Depth=1
	v_and_b32_e32 v0, 0x7f, v1
	v_cmp_ne_u32_e64 s[4:5], s43, v0
	v_mov_b32_e32 v39, 0x7c010000
	s_and_saveexec_b64 s[38:39], s[4:5]
	s_cbranch_execz .LBB269_115
; %bb.114:                              ;   in Loop: Header=BB269_9 Depth=1
	v_and_b32_e32 v10, 7, v1
	v_ffbh_u32_e32 v3, v10
	v_min_u32_e32 v12, 32, v3
	v_subrev_u32_e32 v3, 28, v12
	v_lshlrev_b64 v[3:4], v3, v[1:2]
	v_lshrrev_b32_e32 v11, 3, v0
	v_sub_u32_e32 v4, 29, v12
	v_cmp_gt_u32_e64 s[4:5], 8, v0
	v_cndmask_b32_e64 v0, v11, v4, s[4:5]
	v_mov_b32_e32 v4, 0x2000
	v_lshlrev_b32_e32 v1, 8, v1
	v_lshl_add_u32 v0, v0, 10, v4
	v_and_b32_e32 v3, 7, v3
	v_and_or_b32 v0, v1, s44, v0
	v_cndmask_b32_e64 v3, v10, v3, s[4:5]
	v_lshlrev_b32_e32 v0, 16, v0
	v_lshl_or_b32 v39, v3, 23, v0
.LBB269_115:                            ;   in Loop: Header=BB269_9 Depth=1
	s_or_b64 exec, exec, s[38:39]
.LBB269_116:                            ;   in Loop: Header=BB269_9 Depth=1
	s_or_b64 exec, exec, s[36:37]
.LBB269_117:                            ;   in Loop: Header=BB269_9 Depth=1
	s_or_b64 exec, exec, s[34:35]
	v_lshrrev_b32_e32 v1, 16, v9
	v_cmp_ne_u16_sdwa s[4:5], v1, v2 src0_sel:BYTE_0 src1_sel:DWORD
	s_and_saveexec_b64 s[34:35], s[4:5]
	s_cbranch_execz .LBB269_123
; %bb.118:                              ;   in Loop: Header=BB269_9 Depth=1
	v_cmp_ne_u16_sdwa s[4:5], v1, s42 src0_sel:BYTE_0 src1_sel:DWORD
	v_mov_b32_e32 v0, 0x8000
	buffer_store_dword v0, off, s[48:51], 0 offset:16 ; 4-byte Folded Spill
	s_and_saveexec_b64 s[36:37], s[4:5]
	s_cbranch_execz .LBB269_122
; %bb.119:                              ;   in Loop: Header=BB269_9 Depth=1
	v_bfe_u32 v0, v9, 16, 7
	v_cmp_ne_u32_e64 s[4:5], s43, v0
	v_mov_b32_e32 v3, 0x7c01
	buffer_store_dword v3, off, s[48:51], 0 offset:16 ; 4-byte Folded Spill
	s_and_saveexec_b64 s[38:39], s[4:5]
	s_cbranch_execz .LBB269_121
; %bb.120:                              ;   in Loop: Header=BB269_9 Depth=1
	v_and_b32_e32 v10, 7, v1
	v_ffbh_u32_e32 v3, v10
	v_min_u32_e32 v12, 32, v3
	v_subrev_u32_e32 v3, 28, v12
	v_lshlrev_b64 v[3:4], v3, v[1:2]
	v_lshrrev_b32_e32 v11, 3, v0
	v_sub_u32_e32 v4, 29, v12
	v_cmp_gt_u32_e64 s[4:5], 8, v0
	v_cndmask_b32_e64 v0, v11, v4, s[4:5]
	v_mov_b32_e32 v4, 0x2000
	v_lshl_add_u32 v0, v0, 10, v4
	v_lshlrev_b32_e32 v1, 8, v1
	v_and_b32_e32 v3, 7, v3
	v_and_b32_e32 v0, 0xfc00, v0
	v_cndmask_b32_e64 v3, v10, v3, s[4:5]
	v_and_or_b32 v0, v1, s44, v0
	v_lshl_or_b32 v0, v3, 7, v0
	buffer_store_dword v0, off, s[48:51], 0 offset:16 ; 4-byte Folded Spill
.LBB269_121:                            ;   in Loop: Header=BB269_9 Depth=1
	s_or_b64 exec, exec, s[38:39]
.LBB269_122:                            ;   in Loop: Header=BB269_9 Depth=1
	s_or_b64 exec, exec, s[36:37]
.LBB269_123:                            ;   in Loop: Header=BB269_9 Depth=1
	s_or_b64 exec, exec, s[34:35]
	v_cmp_lt_u32_e64 s[4:5], s45, v9
	v_mov_b32_e32 v0, 0
	v_mov_b32_e32 v40, 0
	buffer_store_dword v0, off, s[48:51], 0 offset:20 ; 4-byte Folded Spill
	s_and_saveexec_b64 s[34:35], s[4:5]
	s_cbranch_execz .LBB269_129
; %bb.124:                              ;   in Loop: Header=BB269_9 Depth=1
	v_lshrrev_b32_e32 v1, 24, v9
	v_cmp_ne_u32_e64 s[4:5], s42, v1
	v_bfrev_b32_e32 v40, 1
	s_and_saveexec_b64 s[36:37], s[4:5]
	s_cbranch_execz .LBB269_128
; %bb.125:                              ;   in Loop: Header=BB269_9 Depth=1
	v_and_b32_e32 v0, 0x7f, v1
	v_cmp_ne_u32_e64 s[4:5], s43, v0
	v_mov_b32_e32 v40, 0x7c010000
	s_and_saveexec_b64 s[38:39], s[4:5]
	s_cbranch_execz .LBB269_127
; %bb.126:                              ;   in Loop: Header=BB269_9 Depth=1
	v_and_b32_e32 v9, 7, v1
	v_ffbh_u32_e32 v3, v9
	v_min_u32_e32 v11, 32, v3
	v_subrev_u32_e32 v3, 28, v11
	v_lshlrev_b64 v[3:4], v3, v[1:2]
	v_lshrrev_b32_e32 v10, 3, v0
	v_sub_u32_e32 v4, 29, v11
	v_cmp_gt_u32_e64 s[4:5], 8, v0
	v_cndmask_b32_e64 v0, v10, v4, s[4:5]
	v_mov_b32_e32 v4, 0x2000
	v_lshlrev_b32_e32 v1, 8, v1
	v_lshl_add_u32 v0, v0, 10, v4
	v_and_b32_e32 v3, 7, v3
	v_and_or_b32 v0, v1, s44, v0
	v_cndmask_b32_e64 v3, v9, v3, s[4:5]
	v_lshlrev_b32_e32 v0, 16, v0
	v_lshl_or_b32 v40, v3, 23, v0
.LBB269_127:                            ;   in Loop: Header=BB269_9 Depth=1
	s_or_b64 exec, exec, s[38:39]
.LBB269_128:                            ;   in Loop: Header=BB269_9 Depth=1
	s_or_b64 exec, exec, s[36:37]
.LBB269_129:                            ;   in Loop: Header=BB269_9 Depth=1
	s_or_b64 exec, exec, s[34:35]
	global_load_dword v9, v[7:8], off offset:1032
	s_waitcnt vmcnt(0)
	v_cmp_ne_u16_sdwa s[4:5], v9, v2 src0_sel:BYTE_0 src1_sel:DWORD
	s_and_saveexec_b64 s[34:35], s[4:5]
	s_cbranch_execz .LBB269_135
; %bb.130:                              ;   in Loop: Header=BB269_9 Depth=1
	v_cmp_ne_u16_sdwa s[4:5], v9, s42 src0_sel:BYTE_0 src1_sel:DWORD
	v_mov_b32_e32 v0, 0x8000
	buffer_store_dword v0, off, s[48:51], 0 offset:20 ; 4-byte Folded Spill
	s_and_saveexec_b64 s[36:37], s[4:5]
	s_cbranch_execz .LBB269_134
; %bb.131:                              ;   in Loop: Header=BB269_9 Depth=1
	v_and_b32_e32 v0, 0x7f, v9
	v_cmp_ne_u32_e64 s[4:5], s43, v0
	v_mov_b32_e32 v1, 0x7c01
	buffer_store_dword v1, off, s[48:51], 0 offset:20 ; 4-byte Folded Spill
	s_and_saveexec_b64 s[38:39], s[4:5]
	s_cbranch_execz .LBB269_133
; %bb.132:                              ;   in Loop: Header=BB269_9 Depth=1
	v_and_b32_e32 v1, 7, v9
	v_ffbh_u32_e32 v3, v1
	v_min_u32_e32 v11, 32, v3
	v_lshrrev_b32_e32 v10, 3, v0
	v_subrev_u32_e32 v3, 28, v11
	v_lshlrev_b64 v[3:4], v3, v[9:10]
	v_sub_u32_e32 v4, 29, v11
	v_cmp_gt_u32_e64 s[4:5], 8, v0
	v_cndmask_b32_e64 v0, v10, v4, s[4:5]
	v_mov_b32_e32 v5, 0x2000
	v_lshl_add_u32 v0, v0, 10, v5
	v_lshlrev_b32_e32 v4, 8, v9
	v_and_b32_e32 v3, 7, v3
	v_and_b32_e32 v0, 0xfc00, v0
	v_cndmask_b32_e64 v1, v1, v3, s[4:5]
	v_and_or_b32 v0, v4, s44, v0
	v_lshl_or_b32 v0, v1, 7, v0
	buffer_store_dword v0, off, s[48:51], 0 offset:20 ; 4-byte Folded Spill
.LBB269_133:                            ;   in Loop: Header=BB269_9 Depth=1
	s_or_b64 exec, exec, s[38:39]
.LBB269_134:                            ;   in Loop: Header=BB269_9 Depth=1
	s_or_b64 exec, exec, s[36:37]
.LBB269_135:                            ;   in Loop: Header=BB269_9 Depth=1
	s_or_b64 exec, exec, s[34:35]
	v_lshrrev_b16_e32 v1, 8, v9
	v_cmp_ne_u16_e64 s[4:5], 0, v1
	v_mov_b32_e32 v42, 0
	v_mov_b32_e32 v43, 0
	s_and_saveexec_b64 s[34:35], s[4:5]
	s_cbranch_execz .LBB269_141
; %bb.136:                              ;   in Loop: Header=BB269_9 Depth=1
	v_cmp_ne_u16_e64 s[4:5], s42, v1
	v_bfrev_b32_e32 v43, 1
	s_and_saveexec_b64 s[36:37], s[4:5]
	s_cbranch_execz .LBB269_140
; %bb.137:                              ;   in Loop: Header=BB269_9 Depth=1
	v_and_b32_e32 v0, 0x7f, v1
	v_cmp_ne_u32_e64 s[4:5], s43, v0
	v_mov_b32_e32 v43, 0x7c010000
	s_and_saveexec_b64 s[38:39], s[4:5]
	s_cbranch_execz .LBB269_139
; %bb.138:                              ;   in Loop: Header=BB269_9 Depth=1
	v_and_b32_e32 v10, 7, v1
	v_ffbh_u32_e32 v3, v10
	v_min_u32_e32 v12, 32, v3
	v_subrev_u32_e32 v3, 28, v12
	v_lshlrev_b64 v[3:4], v3, v[1:2]
	v_lshrrev_b32_e32 v11, 3, v0
	v_sub_u32_e32 v4, 29, v12
	v_cmp_gt_u32_e64 s[4:5], 8, v0
	v_cndmask_b32_e64 v0, v11, v4, s[4:5]
	v_mov_b32_e32 v4, 0x2000
	v_lshlrev_b32_e32 v1, 8, v1
	v_lshl_add_u32 v0, v0, 10, v4
	v_and_b32_e32 v3, 7, v3
	v_and_or_b32 v0, v1, s44, v0
	v_cndmask_b32_e64 v3, v10, v3, s[4:5]
	v_lshlrev_b32_e32 v0, 16, v0
	v_lshl_or_b32 v43, v3, 23, v0
.LBB269_139:                            ;   in Loop: Header=BB269_9 Depth=1
	s_or_b64 exec, exec, s[38:39]
.LBB269_140:                            ;   in Loop: Header=BB269_9 Depth=1
	s_or_b64 exec, exec, s[36:37]
.LBB269_141:                            ;   in Loop: Header=BB269_9 Depth=1
	s_or_b64 exec, exec, s[34:35]
	v_lshrrev_b32_e32 v1, 16, v9
	v_cmp_ne_u16_sdwa s[4:5], v1, v2 src0_sel:BYTE_0 src1_sel:DWORD
	s_and_saveexec_b64 s[34:35], s[4:5]
	s_cbranch_execz .LBB269_147
; %bb.142:                              ;   in Loop: Header=BB269_9 Depth=1
	v_cmp_ne_u16_sdwa s[4:5], v1, s42 src0_sel:BYTE_0 src1_sel:DWORD
	v_mov_b32_e32 v42, 0x8000
	s_and_saveexec_b64 s[36:37], s[4:5]
	s_cbranch_execz .LBB269_146
; %bb.143:                              ;   in Loop: Header=BB269_9 Depth=1
	v_bfe_u32 v0, v9, 16, 7
	v_cmp_ne_u32_e64 s[4:5], s43, v0
	v_mov_b32_e32 v42, 0x7c01
	s_and_saveexec_b64 s[38:39], s[4:5]
	s_cbranch_execz .LBB269_145
; %bb.144:                              ;   in Loop: Header=BB269_9 Depth=1
	v_and_b32_e32 v10, 7, v1
	v_ffbh_u32_e32 v3, v10
	v_min_u32_e32 v12, 32, v3
	v_subrev_u32_e32 v3, 28, v12
	v_lshlrev_b64 v[3:4], v3, v[1:2]
	v_lshrrev_b32_e32 v11, 3, v0
	v_sub_u32_e32 v4, 29, v12
	v_cmp_gt_u32_e64 s[4:5], 8, v0
	v_cndmask_b32_e64 v0, v11, v4, s[4:5]
	v_mov_b32_e32 v4, 0x2000
	v_lshl_add_u32 v0, v0, 10, v4
	v_lshlrev_b32_e32 v1, 8, v1
	v_and_b32_e32 v3, 7, v3
	v_and_b32_e32 v0, 0xfc00, v0
	v_cndmask_b32_e64 v3, v10, v3, s[4:5]
	v_and_or_b32 v0, v1, s44, v0
	v_lshl_or_b32 v42, v3, 7, v0
.LBB269_145:                            ;   in Loop: Header=BB269_9 Depth=1
	s_or_b64 exec, exec, s[38:39]
.LBB269_146:                            ;   in Loop: Header=BB269_9 Depth=1
	s_or_b64 exec, exec, s[36:37]
.LBB269_147:                            ;   in Loop: Header=BB269_9 Depth=1
	s_or_b64 exec, exec, s[34:35]
	v_cmp_lt_u32_e64 s[4:5], s45, v9
	v_mov_b32_e32 v38, 0
	v_mov_b32_e32 v44, 0
	s_and_saveexec_b64 s[34:35], s[4:5]
	s_cbranch_execz .LBB269_153
; %bb.148:                              ;   in Loop: Header=BB269_9 Depth=1
	v_lshrrev_b32_e32 v1, 24, v9
	v_cmp_ne_u32_e64 s[4:5], s42, v1
	v_bfrev_b32_e32 v44, 1
	s_and_saveexec_b64 s[36:37], s[4:5]
	s_cbranch_execz .LBB269_152
; %bb.149:                              ;   in Loop: Header=BB269_9 Depth=1
	v_and_b32_e32 v0, 0x7f, v1
	v_cmp_ne_u32_e64 s[4:5], s43, v0
	v_mov_b32_e32 v44, 0x7c010000
	s_and_saveexec_b64 s[38:39], s[4:5]
	s_cbranch_execz .LBB269_151
; %bb.150:                              ;   in Loop: Header=BB269_9 Depth=1
	v_and_b32_e32 v9, 7, v1
	v_ffbh_u32_e32 v3, v9
	v_min_u32_e32 v11, 32, v3
	v_subrev_u32_e32 v3, 28, v11
	v_lshlrev_b64 v[3:4], v3, v[1:2]
	v_lshrrev_b32_e32 v10, 3, v0
	v_sub_u32_e32 v4, 29, v11
	v_cmp_gt_u32_e64 s[4:5], 8, v0
	v_cndmask_b32_e64 v0, v10, v4, s[4:5]
	v_mov_b32_e32 v4, 0x2000
	v_lshlrev_b32_e32 v1, 8, v1
	v_lshl_add_u32 v0, v0, 10, v4
	v_and_b32_e32 v3, 7, v3
	v_and_or_b32 v0, v1, s44, v0
	v_cndmask_b32_e64 v3, v9, v3, s[4:5]
	v_lshlrev_b32_e32 v0, 16, v0
	v_lshl_or_b32 v44, v3, 23, v0
.LBB269_151:                            ;   in Loop: Header=BB269_9 Depth=1
	s_or_b64 exec, exec, s[38:39]
.LBB269_152:                            ;   in Loop: Header=BB269_9 Depth=1
	s_or_b64 exec, exec, s[36:37]
.LBB269_153:                            ;   in Loop: Header=BB269_9 Depth=1
	s_or_b64 exec, exec, s[34:35]
	global_load_dword v9, v[7:8], off offset:1536
	s_waitcnt vmcnt(0)
	v_cmp_ne_u16_sdwa s[4:5], v9, v2 src0_sel:BYTE_0 src1_sel:DWORD
	s_and_saveexec_b64 s[34:35], s[4:5]
	s_cbranch_execz .LBB269_159
; %bb.154:                              ;   in Loop: Header=BB269_9 Depth=1
	v_cmp_ne_u16_sdwa s[4:5], v9, s42 src0_sel:BYTE_0 src1_sel:DWORD
	v_mov_b32_e32 v38, 0x8000
	s_and_saveexec_b64 s[36:37], s[4:5]
	s_cbranch_execz .LBB269_158
; %bb.155:                              ;   in Loop: Header=BB269_9 Depth=1
	v_and_b32_e32 v0, 0x7f, v9
	v_cmp_ne_u32_e64 s[4:5], s43, v0
	v_mov_b32_e32 v38, 0x7c01
	s_and_saveexec_b64 s[38:39], s[4:5]
	s_cbranch_execz .LBB269_157
; %bb.156:                              ;   in Loop: Header=BB269_9 Depth=1
	v_and_b32_e32 v1, 7, v9
	v_ffbh_u32_e32 v3, v1
	v_min_u32_e32 v11, 32, v3
	v_lshrrev_b32_e32 v10, 3, v0
	v_subrev_u32_e32 v3, 28, v11
	v_lshlrev_b64 v[3:4], v3, v[9:10]
	v_sub_u32_e32 v4, 29, v11
	v_cmp_gt_u32_e64 s[4:5], 8, v0
	v_cndmask_b32_e64 v0, v10, v4, s[4:5]
	v_mov_b32_e32 v5, 0x2000
	v_lshl_add_u32 v0, v0, 10, v5
	v_lshlrev_b32_e32 v4, 8, v9
	v_and_b32_e32 v3, 7, v3
	v_and_b32_e32 v0, 0xfc00, v0
	v_cndmask_b32_e64 v1, v1, v3, s[4:5]
	v_and_or_b32 v0, v4, s44, v0
	v_lshl_or_b32 v38, v1, 7, v0
.LBB269_157:                            ;   in Loop: Header=BB269_9 Depth=1
	s_or_b64 exec, exec, s[38:39]
.LBB269_158:                            ;   in Loop: Header=BB269_9 Depth=1
	s_or_b64 exec, exec, s[36:37]
.LBB269_159:                            ;   in Loop: Header=BB269_9 Depth=1
	s_or_b64 exec, exec, s[34:35]
	v_lshrrev_b16_e32 v1, 8, v9
	v_cmp_ne_u16_e64 s[4:5], 0, v1
	v_mov_b32_e32 v50, 0
	v_mov_b32_e32 v47, 0
	s_and_saveexec_b64 s[34:35], s[4:5]
	s_cbranch_execz .LBB269_165
; %bb.160:                              ;   in Loop: Header=BB269_9 Depth=1
	v_cmp_ne_u16_e64 s[4:5], s42, v1
	v_bfrev_b32_e32 v47, 1
	s_and_saveexec_b64 s[36:37], s[4:5]
	s_cbranch_execz .LBB269_164
; %bb.161:                              ;   in Loop: Header=BB269_9 Depth=1
	v_and_b32_e32 v0, 0x7f, v1
	v_cmp_ne_u32_e64 s[4:5], s43, v0
	v_mov_b32_e32 v47, 0x7c010000
	s_and_saveexec_b64 s[38:39], s[4:5]
	s_cbranch_execz .LBB269_163
; %bb.162:                              ;   in Loop: Header=BB269_9 Depth=1
	v_and_b32_e32 v10, 7, v1
	v_ffbh_u32_e32 v3, v10
	v_min_u32_e32 v12, 32, v3
	v_subrev_u32_e32 v3, 28, v12
	v_lshlrev_b64 v[3:4], v3, v[1:2]
	v_lshrrev_b32_e32 v11, 3, v0
	v_sub_u32_e32 v4, 29, v12
	v_cmp_gt_u32_e64 s[4:5], 8, v0
	v_cndmask_b32_e64 v0, v11, v4, s[4:5]
	v_mov_b32_e32 v4, 0x2000
	v_lshlrev_b32_e32 v1, 8, v1
	v_lshl_add_u32 v0, v0, 10, v4
	v_and_b32_e32 v3, 7, v3
	v_and_or_b32 v0, v1, s44, v0
	v_cndmask_b32_e64 v3, v10, v3, s[4:5]
	v_lshlrev_b32_e32 v0, 16, v0
	v_lshl_or_b32 v47, v3, 23, v0
.LBB269_163:                            ;   in Loop: Header=BB269_9 Depth=1
	s_or_b64 exec, exec, s[38:39]
.LBB269_164:                            ;   in Loop: Header=BB269_9 Depth=1
	s_or_b64 exec, exec, s[36:37]
.LBB269_165:                            ;   in Loop: Header=BB269_9 Depth=1
	s_or_b64 exec, exec, s[34:35]
	v_lshrrev_b32_e32 v1, 16, v9
	v_cmp_ne_u16_sdwa s[4:5], v1, v2 src0_sel:BYTE_0 src1_sel:DWORD
	s_and_saveexec_b64 s[34:35], s[4:5]
	s_cbranch_execz .LBB269_171
; %bb.166:                              ;   in Loop: Header=BB269_9 Depth=1
	v_cmp_ne_u16_sdwa s[4:5], v1, s42 src0_sel:BYTE_0 src1_sel:DWORD
	v_mov_b32_e32 v50, 0x8000
	s_and_saveexec_b64 s[36:37], s[4:5]
	s_cbranch_execz .LBB269_170
; %bb.167:                              ;   in Loop: Header=BB269_9 Depth=1
	v_bfe_u32 v0, v9, 16, 7
	v_cmp_ne_u32_e64 s[4:5], s43, v0
	v_mov_b32_e32 v50, 0x7c01
	s_and_saveexec_b64 s[38:39], s[4:5]
	s_cbranch_execz .LBB269_169
; %bb.168:                              ;   in Loop: Header=BB269_9 Depth=1
	v_and_b32_e32 v10, 7, v1
	v_ffbh_u32_e32 v3, v10
	v_min_u32_e32 v12, 32, v3
	v_subrev_u32_e32 v3, 28, v12
	v_lshlrev_b64 v[3:4], v3, v[1:2]
	v_lshrrev_b32_e32 v11, 3, v0
	v_sub_u32_e32 v4, 29, v12
	v_cmp_gt_u32_e64 s[4:5], 8, v0
	v_cndmask_b32_e64 v0, v11, v4, s[4:5]
	v_mov_b32_e32 v4, 0x2000
	v_lshl_add_u32 v0, v0, 10, v4
	v_lshlrev_b32_e32 v1, 8, v1
	v_and_b32_e32 v3, 7, v3
	v_and_b32_e32 v0, 0xfc00, v0
	v_cndmask_b32_e64 v3, v10, v3, s[4:5]
	v_and_or_b32 v0, v1, s44, v0
	v_lshl_or_b32 v50, v3, 7, v0
.LBB269_169:                            ;   in Loop: Header=BB269_9 Depth=1
	s_or_b64 exec, exec, s[38:39]
.LBB269_170:                            ;   in Loop: Header=BB269_9 Depth=1
	s_or_b64 exec, exec, s[36:37]
.LBB269_171:                            ;   in Loop: Header=BB269_9 Depth=1
	s_or_b64 exec, exec, s[34:35]
	v_cmp_lt_u32_e64 s[4:5], s45, v9
	v_mov_b32_e32 v41, 0
	v_mov_b32_e32 v48, 0
	s_and_saveexec_b64 s[34:35], s[4:5]
	s_cbranch_execz .LBB269_177
; %bb.172:                              ;   in Loop: Header=BB269_9 Depth=1
	v_lshrrev_b32_e32 v1, 24, v9
	v_cmp_ne_u32_e64 s[4:5], s42, v1
	v_bfrev_b32_e32 v48, 1
	s_and_saveexec_b64 s[36:37], s[4:5]
	s_cbranch_execz .LBB269_176
; %bb.173:                              ;   in Loop: Header=BB269_9 Depth=1
	v_and_b32_e32 v0, 0x7f, v1
	v_cmp_ne_u32_e64 s[4:5], s43, v0
	v_mov_b32_e32 v48, 0x7c010000
	s_and_saveexec_b64 s[38:39], s[4:5]
	s_cbranch_execz .LBB269_175
; %bb.174:                              ;   in Loop: Header=BB269_9 Depth=1
	v_and_b32_e32 v9, 7, v1
	v_ffbh_u32_e32 v3, v9
	v_min_u32_e32 v11, 32, v3
	v_subrev_u32_e32 v3, 28, v11
	v_lshlrev_b64 v[3:4], v3, v[1:2]
	v_lshrrev_b32_e32 v10, 3, v0
	v_sub_u32_e32 v4, 29, v11
	v_cmp_gt_u32_e64 s[4:5], 8, v0
	v_cndmask_b32_e64 v0, v10, v4, s[4:5]
	v_mov_b32_e32 v4, 0x2000
	v_lshlrev_b32_e32 v1, 8, v1
	v_lshl_add_u32 v0, v0, 10, v4
	v_and_b32_e32 v3, 7, v3
	v_and_or_b32 v0, v1, s44, v0
	v_cndmask_b32_e64 v3, v9, v3, s[4:5]
	v_lshlrev_b32_e32 v0, 16, v0
	v_lshl_or_b32 v48, v3, 23, v0
.LBB269_175:                            ;   in Loop: Header=BB269_9 Depth=1
	s_or_b64 exec, exec, s[38:39]
.LBB269_176:                            ;   in Loop: Header=BB269_9 Depth=1
	s_or_b64 exec, exec, s[36:37]
.LBB269_177:                            ;   in Loop: Header=BB269_9 Depth=1
	s_or_b64 exec, exec, s[34:35]
	global_load_dword v9, v[7:8], off offset:1544
	s_waitcnt vmcnt(0)
	v_cmp_ne_u16_sdwa s[4:5], v9, v2 src0_sel:BYTE_0 src1_sel:DWORD
	s_and_saveexec_b64 s[34:35], s[4:5]
	s_cbranch_execz .LBB269_183
; %bb.178:                              ;   in Loop: Header=BB269_9 Depth=1
	v_cmp_ne_u16_sdwa s[4:5], v9, s42 src0_sel:BYTE_0 src1_sel:DWORD
	v_mov_b32_e32 v41, 0x8000
	s_and_saveexec_b64 s[36:37], s[4:5]
	s_cbranch_execz .LBB269_182
; %bb.179:                              ;   in Loop: Header=BB269_9 Depth=1
	v_and_b32_e32 v0, 0x7f, v9
	v_cmp_ne_u32_e64 s[4:5], s43, v0
	v_mov_b32_e32 v41, 0x7c01
	s_and_saveexec_b64 s[38:39], s[4:5]
	s_cbranch_execz .LBB269_181
; %bb.180:                              ;   in Loop: Header=BB269_9 Depth=1
	v_and_b32_e32 v1, 7, v9
	v_ffbh_u32_e32 v3, v1
	v_min_u32_e32 v11, 32, v3
	v_lshrrev_b32_e32 v10, 3, v0
	v_subrev_u32_e32 v3, 28, v11
	v_lshlrev_b64 v[3:4], v3, v[9:10]
	v_sub_u32_e32 v4, 29, v11
	v_cmp_gt_u32_e64 s[4:5], 8, v0
	v_cndmask_b32_e64 v0, v10, v4, s[4:5]
	v_mov_b32_e32 v5, 0x2000
	v_lshl_add_u32 v0, v0, 10, v5
	v_lshlrev_b32_e32 v4, 8, v9
	v_and_b32_e32 v3, 7, v3
	v_and_b32_e32 v0, 0xfc00, v0
	v_cndmask_b32_e64 v1, v1, v3, s[4:5]
	v_and_or_b32 v0, v4, s44, v0
	v_lshl_or_b32 v41, v1, 7, v0
.LBB269_181:                            ;   in Loop: Header=BB269_9 Depth=1
	s_or_b64 exec, exec, s[38:39]
.LBB269_182:                            ;   in Loop: Header=BB269_9 Depth=1
	s_or_b64 exec, exec, s[36:37]
.LBB269_183:                            ;   in Loop: Header=BB269_9 Depth=1
	s_or_b64 exec, exec, s[34:35]
	v_lshrrev_b16_e32 v1, 8, v9
	v_cmp_ne_u16_e64 s[4:5], 0, v1
	v_mov_b32_e32 v54, 0
	v_mov_b32_e32 v51, 0
	s_and_saveexec_b64 s[34:35], s[4:5]
	s_cbranch_execz .LBB269_189
; %bb.184:                              ;   in Loop: Header=BB269_9 Depth=1
	v_cmp_ne_u16_e64 s[4:5], s42, v1
	v_bfrev_b32_e32 v51, 1
	s_and_saveexec_b64 s[36:37], s[4:5]
	s_cbranch_execz .LBB269_188
; %bb.185:                              ;   in Loop: Header=BB269_9 Depth=1
	v_and_b32_e32 v0, 0x7f, v1
	v_cmp_ne_u32_e64 s[4:5], s43, v0
	v_mov_b32_e32 v51, 0x7c010000
	s_and_saveexec_b64 s[38:39], s[4:5]
	s_cbranch_execz .LBB269_187
; %bb.186:                              ;   in Loop: Header=BB269_9 Depth=1
	v_and_b32_e32 v10, 7, v1
	v_ffbh_u32_e32 v3, v10
	v_min_u32_e32 v12, 32, v3
	v_subrev_u32_e32 v3, 28, v12
	v_lshlrev_b64 v[3:4], v3, v[1:2]
	v_lshrrev_b32_e32 v11, 3, v0
	v_sub_u32_e32 v4, 29, v12
	v_cmp_gt_u32_e64 s[4:5], 8, v0
	v_cndmask_b32_e64 v0, v11, v4, s[4:5]
	v_mov_b32_e32 v4, 0x2000
	v_lshlrev_b32_e32 v1, 8, v1
	v_lshl_add_u32 v0, v0, 10, v4
	v_and_b32_e32 v3, 7, v3
	v_and_or_b32 v0, v1, s44, v0
	v_cndmask_b32_e64 v3, v10, v3, s[4:5]
	v_lshlrev_b32_e32 v0, 16, v0
	v_lshl_or_b32 v51, v3, 23, v0
.LBB269_187:                            ;   in Loop: Header=BB269_9 Depth=1
	s_or_b64 exec, exec, s[38:39]
.LBB269_188:                            ;   in Loop: Header=BB269_9 Depth=1
	s_or_b64 exec, exec, s[36:37]
.LBB269_189:                            ;   in Loop: Header=BB269_9 Depth=1
	s_or_b64 exec, exec, s[34:35]
	v_lshrrev_b32_e32 v1, 16, v9
	v_cmp_ne_u16_sdwa s[4:5], v1, v2 src0_sel:BYTE_0 src1_sel:DWORD
	s_and_saveexec_b64 s[34:35], s[4:5]
	s_cbranch_execz .LBB269_195
; %bb.190:                              ;   in Loop: Header=BB269_9 Depth=1
	v_cmp_ne_u16_sdwa s[4:5], v1, s42 src0_sel:BYTE_0 src1_sel:DWORD
	v_mov_b32_e32 v54, 0x8000
	s_and_saveexec_b64 s[36:37], s[4:5]
	s_cbranch_execz .LBB269_194
; %bb.191:                              ;   in Loop: Header=BB269_9 Depth=1
	v_bfe_u32 v0, v9, 16, 7
	v_cmp_ne_u32_e64 s[4:5], s43, v0
	v_mov_b32_e32 v54, 0x7c01
	s_and_saveexec_b64 s[38:39], s[4:5]
	s_cbranch_execz .LBB269_193
; %bb.192:                              ;   in Loop: Header=BB269_9 Depth=1
	v_and_b32_e32 v10, 7, v1
	v_ffbh_u32_e32 v3, v10
	v_min_u32_e32 v12, 32, v3
	v_subrev_u32_e32 v3, 28, v12
	v_lshlrev_b64 v[3:4], v3, v[1:2]
	v_lshrrev_b32_e32 v11, 3, v0
	v_sub_u32_e32 v4, 29, v12
	v_cmp_gt_u32_e64 s[4:5], 8, v0
	v_cndmask_b32_e64 v0, v11, v4, s[4:5]
	v_mov_b32_e32 v4, 0x2000
	v_lshl_add_u32 v0, v0, 10, v4
	v_lshlrev_b32_e32 v1, 8, v1
	v_and_b32_e32 v3, 7, v3
	v_and_b32_e32 v0, 0xfc00, v0
	v_cndmask_b32_e64 v3, v10, v3, s[4:5]
	v_and_or_b32 v0, v1, s44, v0
	v_lshl_or_b32 v54, v3, 7, v0
.LBB269_193:                            ;   in Loop: Header=BB269_9 Depth=1
	s_or_b64 exec, exec, s[38:39]
.LBB269_194:                            ;   in Loop: Header=BB269_9 Depth=1
	s_or_b64 exec, exec, s[36:37]
.LBB269_195:                            ;   in Loop: Header=BB269_9 Depth=1
	s_or_b64 exec, exec, s[34:35]
	v_cmp_lt_u32_e64 s[4:5], s45, v9
	v_mov_b32_e32 v5, 0
	v_mov_b32_e32 v52, 0
	s_and_saveexec_b64 s[34:35], s[4:5]
	s_cbranch_execz .LBB269_201
; %bb.196:                              ;   in Loop: Header=BB269_9 Depth=1
	v_lshrrev_b32_e32 v1, 24, v9
	v_cmp_ne_u32_e64 s[4:5], s42, v1
	v_bfrev_b32_e32 v52, 1
	s_and_saveexec_b64 s[36:37], s[4:5]
	s_cbranch_execz .LBB269_200
; %bb.197:                              ;   in Loop: Header=BB269_9 Depth=1
	v_and_b32_e32 v0, 0x7f, v1
	v_cmp_ne_u32_e64 s[4:5], s43, v0
	v_mov_b32_e32 v52, 0x7c010000
	s_and_saveexec_b64 s[38:39], s[4:5]
	s_cbranch_execz .LBB269_199
; %bb.198:                              ;   in Loop: Header=BB269_9 Depth=1
	v_and_b32_e32 v9, 7, v1
	v_ffbh_u32_e32 v3, v9
	v_min_u32_e32 v11, 32, v3
	v_subrev_u32_e32 v3, 28, v11
	v_lshlrev_b64 v[3:4], v3, v[1:2]
	v_lshrrev_b32_e32 v10, 3, v0
	v_sub_u32_e32 v4, 29, v11
	v_cmp_gt_u32_e64 s[4:5], 8, v0
	v_cndmask_b32_e64 v0, v10, v4, s[4:5]
	v_mov_b32_e32 v4, 0x2000
	v_lshlrev_b32_e32 v1, 8, v1
	v_lshl_add_u32 v0, v0, 10, v4
	v_and_b32_e32 v3, 7, v3
	v_and_or_b32 v0, v1, s44, v0
	v_cndmask_b32_e64 v3, v9, v3, s[4:5]
	v_lshlrev_b32_e32 v0, 16, v0
	v_lshl_or_b32 v52, v3, 23, v0
.LBB269_199:                            ;   in Loop: Header=BB269_9 Depth=1
	s_or_b64 exec, exec, s[38:39]
.LBB269_200:                            ;   in Loop: Header=BB269_9 Depth=1
	s_or_b64 exec, exec, s[36:37]
.LBB269_201:                            ;   in Loop: Header=BB269_9 Depth=1
	s_or_b64 exec, exec, s[34:35]
	global_load_dword v9, v[7:8], off offset:2048
	s_waitcnt vmcnt(0)
	v_cmp_ne_u16_sdwa s[4:5], v9, v2 src0_sel:BYTE_0 src1_sel:DWORD
	s_and_saveexec_b64 s[34:35], s[4:5]
	s_cbranch_execz .LBB269_207
; %bb.202:                              ;   in Loop: Header=BB269_9 Depth=1
	v_cmp_ne_u16_sdwa s[4:5], v9, s42 src0_sel:BYTE_0 src1_sel:DWORD
	v_mov_b32_e32 v5, 0x8000
	s_and_saveexec_b64 s[36:37], s[4:5]
	s_cbranch_execz .LBB269_206
; %bb.203:                              ;   in Loop: Header=BB269_9 Depth=1
	v_and_b32_e32 v0, 0x7f, v9
	v_cmp_ne_u32_e64 s[4:5], s43, v0
	v_mov_b32_e32 v5, 0x7c01
	s_and_saveexec_b64 s[38:39], s[4:5]
	s_cbranch_execz .LBB269_205
; %bb.204:                              ;   in Loop: Header=BB269_9 Depth=1
	v_and_b32_e32 v1, 7, v9
	v_ffbh_u32_e32 v3, v1
	v_min_u32_e32 v11, 32, v3
	v_lshrrev_b32_e32 v10, 3, v0
	v_subrev_u32_e32 v3, 28, v11
	v_lshlrev_b64 v[3:4], v3, v[9:10]
	v_sub_u32_e32 v4, 29, v11
	v_cmp_gt_u32_e64 s[4:5], 8, v0
	v_cndmask_b32_e64 v0, v10, v4, s[4:5]
	v_mov_b32_e32 v5, 0x2000
	v_lshl_add_u32 v0, v0, 10, v5
	v_lshlrev_b32_e32 v4, 8, v9
	v_and_b32_e32 v3, 7, v3
	v_and_b32_e32 v0, 0xfc00, v0
	v_cndmask_b32_e64 v1, v1, v3, s[4:5]
	v_and_or_b32 v0, v4, s44, v0
	v_lshl_or_b32 v5, v1, 7, v0
.LBB269_205:                            ;   in Loop: Header=BB269_9 Depth=1
	s_or_b64 exec, exec, s[38:39]
.LBB269_206:                            ;   in Loop: Header=BB269_9 Depth=1
	s_or_b64 exec, exec, s[36:37]
.LBB269_207:                            ;   in Loop: Header=BB269_9 Depth=1
	s_or_b64 exec, exec, s[34:35]
	v_lshrrev_b16_e32 v1, 8, v9
	v_cmp_ne_u16_e64 s[4:5], 0, v1
	v_mov_b32_e32 v37, 0
	v_mov_b32_e32 v55, 0
	s_and_saveexec_b64 s[34:35], s[4:5]
	s_cbranch_execz .LBB269_213
; %bb.208:                              ;   in Loop: Header=BB269_9 Depth=1
	v_cmp_ne_u16_e64 s[4:5], s42, v1
	v_bfrev_b32_e32 v55, 1
	s_and_saveexec_b64 s[36:37], s[4:5]
	s_cbranch_execz .LBB269_212
; %bb.209:                              ;   in Loop: Header=BB269_9 Depth=1
	v_and_b32_e32 v0, 0x7f, v1
	v_cmp_ne_u32_e64 s[4:5], s43, v0
	v_mov_b32_e32 v55, 0x7c010000
	s_and_saveexec_b64 s[38:39], s[4:5]
	s_cbranch_execz .LBB269_211
; %bb.210:                              ;   in Loop: Header=BB269_9 Depth=1
	v_and_b32_e32 v10, 7, v1
	v_ffbh_u32_e32 v3, v10
	v_min_u32_e32 v12, 32, v3
	v_subrev_u32_e32 v3, 28, v12
	v_lshlrev_b64 v[3:4], v3, v[1:2]
	v_lshrrev_b32_e32 v11, 3, v0
	v_sub_u32_e32 v4, 29, v12
	v_cmp_gt_u32_e64 s[4:5], 8, v0
	v_cndmask_b32_e64 v0, v11, v4, s[4:5]
	v_mov_b32_e32 v4, 0x2000
	v_lshlrev_b32_e32 v1, 8, v1
	v_lshl_add_u32 v0, v0, 10, v4
	v_and_b32_e32 v3, 7, v3
	v_and_or_b32 v0, v1, s44, v0
	v_cndmask_b32_e64 v3, v10, v3, s[4:5]
	v_lshlrev_b32_e32 v0, 16, v0
	v_lshl_or_b32 v55, v3, 23, v0
.LBB269_211:                            ;   in Loop: Header=BB269_9 Depth=1
	s_or_b64 exec, exec, s[38:39]
.LBB269_212:                            ;   in Loop: Header=BB269_9 Depth=1
	s_or_b64 exec, exec, s[36:37]
.LBB269_213:                            ;   in Loop: Header=BB269_9 Depth=1
	s_or_b64 exec, exec, s[34:35]
	v_lshrrev_b32_e32 v1, 16, v9
	v_cmp_ne_u16_sdwa s[4:5], v1, v2 src0_sel:BYTE_0 src1_sel:DWORD
	s_and_saveexec_b64 s[34:35], s[4:5]
	s_cbranch_execz .LBB269_219
; %bb.214:                              ;   in Loop: Header=BB269_9 Depth=1
	v_cmp_ne_u16_sdwa s[4:5], v1, s42 src0_sel:BYTE_0 src1_sel:DWORD
	v_mov_b32_e32 v37, 0x8000
	s_and_saveexec_b64 s[36:37], s[4:5]
	s_cbranch_execz .LBB269_218
; %bb.215:                              ;   in Loop: Header=BB269_9 Depth=1
	v_bfe_u32 v0, v9, 16, 7
	v_cmp_ne_u32_e64 s[4:5], s43, v0
	v_mov_b32_e32 v37, 0x7c01
	s_and_saveexec_b64 s[38:39], s[4:5]
	s_cbranch_execz .LBB269_217
; %bb.216:                              ;   in Loop: Header=BB269_9 Depth=1
	v_and_b32_e32 v10, 7, v1
	v_ffbh_u32_e32 v3, v10
	v_min_u32_e32 v12, 32, v3
	v_subrev_u32_e32 v3, 28, v12
	v_lshlrev_b64 v[3:4], v3, v[1:2]
	v_lshrrev_b32_e32 v11, 3, v0
	v_sub_u32_e32 v4, 29, v12
	v_cmp_gt_u32_e64 s[4:5], 8, v0
	v_cndmask_b32_e64 v0, v11, v4, s[4:5]
	v_mov_b32_e32 v4, 0x2000
	v_lshl_add_u32 v0, v0, 10, v4
	v_lshlrev_b32_e32 v1, 8, v1
	v_and_b32_e32 v3, 7, v3
	v_and_b32_e32 v0, 0xfc00, v0
	v_cndmask_b32_e64 v3, v10, v3, s[4:5]
	v_and_or_b32 v0, v1, s44, v0
	v_lshl_or_b32 v37, v3, 7, v0
.LBB269_217:                            ;   in Loop: Header=BB269_9 Depth=1
	s_or_b64 exec, exec, s[38:39]
.LBB269_218:                            ;   in Loop: Header=BB269_9 Depth=1
	s_or_b64 exec, exec, s[36:37]
.LBB269_219:                            ;   in Loop: Header=BB269_9 Depth=1
	s_or_b64 exec, exec, s[34:35]
	v_cmp_lt_u32_e64 s[4:5], s45, v9
	v_mov_b32_e32 v45, 0
	v_mov_b32_e32 v56, 0
	s_and_saveexec_b64 s[34:35], s[4:5]
	s_cbranch_execz .LBB269_225
; %bb.220:                              ;   in Loop: Header=BB269_9 Depth=1
	v_lshrrev_b32_e32 v1, 24, v9
	v_cmp_ne_u32_e64 s[4:5], s42, v1
	v_bfrev_b32_e32 v56, 1
	s_and_saveexec_b64 s[36:37], s[4:5]
	s_cbranch_execz .LBB269_224
; %bb.221:                              ;   in Loop: Header=BB269_9 Depth=1
	v_and_b32_e32 v0, 0x7f, v1
	v_cmp_ne_u32_e64 s[4:5], s43, v0
	v_mov_b32_e32 v56, 0x7c010000
	s_and_saveexec_b64 s[38:39], s[4:5]
	s_cbranch_execz .LBB269_223
; %bb.222:                              ;   in Loop: Header=BB269_9 Depth=1
	v_and_b32_e32 v9, 7, v1
	v_ffbh_u32_e32 v3, v9
	v_min_u32_e32 v11, 32, v3
	v_subrev_u32_e32 v3, 28, v11
	v_lshlrev_b64 v[3:4], v3, v[1:2]
	v_lshrrev_b32_e32 v10, 3, v0
	v_sub_u32_e32 v4, 29, v11
	v_cmp_gt_u32_e64 s[4:5], 8, v0
	v_cndmask_b32_e64 v0, v10, v4, s[4:5]
	v_mov_b32_e32 v4, 0x2000
	v_lshlrev_b32_e32 v1, 8, v1
	v_lshl_add_u32 v0, v0, 10, v4
	v_and_b32_e32 v3, 7, v3
	v_and_or_b32 v0, v1, s44, v0
	v_cndmask_b32_e64 v3, v9, v3, s[4:5]
	v_lshlrev_b32_e32 v0, 16, v0
	v_lshl_or_b32 v56, v3, 23, v0
.LBB269_223:                            ;   in Loop: Header=BB269_9 Depth=1
	s_or_b64 exec, exec, s[38:39]
.LBB269_224:                            ;   in Loop: Header=BB269_9 Depth=1
	s_or_b64 exec, exec, s[36:37]
.LBB269_225:                            ;   in Loop: Header=BB269_9 Depth=1
	s_or_b64 exec, exec, s[34:35]
	global_load_dword v9, v[7:8], off offset:2056
	s_waitcnt vmcnt(0)
	v_cmp_ne_u16_sdwa s[4:5], v9, v2 src0_sel:BYTE_0 src1_sel:DWORD
	s_and_saveexec_b64 s[34:35], s[4:5]
	s_cbranch_execz .LBB269_231
; %bb.226:                              ;   in Loop: Header=BB269_9 Depth=1
	v_cmp_ne_u16_sdwa s[4:5], v9, s42 src0_sel:BYTE_0 src1_sel:DWORD
	v_mov_b32_e32 v45, 0x8000
	s_and_saveexec_b64 s[36:37], s[4:5]
	s_cbranch_execz .LBB269_230
; %bb.227:                              ;   in Loop: Header=BB269_9 Depth=1
	v_and_b32_e32 v0, 0x7f, v9
	v_cmp_ne_u32_e64 s[4:5], s43, v0
	v_mov_b32_e32 v45, 0x7c01
	s_and_saveexec_b64 s[38:39], s[4:5]
	s_cbranch_execz .LBB269_229
; %bb.228:                              ;   in Loop: Header=BB269_9 Depth=1
	v_and_b32_e32 v1, 7, v9
	v_ffbh_u32_e32 v3, v1
	v_min_u32_e32 v11, 32, v3
	v_lshrrev_b32_e32 v10, 3, v0
	v_subrev_u32_e32 v3, 28, v11
	v_lshlrev_b64 v[3:4], v3, v[9:10]
	v_sub_u32_e32 v4, 29, v11
	v_cmp_gt_u32_e64 s[4:5], 8, v0
	v_cndmask_b32_e64 v0, v10, v4, s[4:5]
	v_mov_b32_e32 v6, 0x2000
	v_lshl_add_u32 v0, v0, 10, v6
	v_lshlrev_b32_e32 v4, 8, v9
	v_and_b32_e32 v3, 7, v3
	v_and_b32_e32 v0, 0xfc00, v0
	v_cndmask_b32_e64 v1, v1, v3, s[4:5]
	v_and_or_b32 v0, v4, s44, v0
	v_lshl_or_b32 v45, v1, 7, v0
.LBB269_229:                            ;   in Loop: Header=BB269_9 Depth=1
	s_or_b64 exec, exec, s[38:39]
.LBB269_230:                            ;   in Loop: Header=BB269_9 Depth=1
	s_or_b64 exec, exec, s[36:37]
.LBB269_231:                            ;   in Loop: Header=BB269_9 Depth=1
	s_or_b64 exec, exec, s[34:35]
	v_lshrrev_b16_e32 v1, 8, v9
	v_cmp_ne_u16_e64 s[4:5], 0, v1
	v_mov_b32_e32 v46, 0
	v_mov_b32_e32 v59, 0
	s_and_saveexec_b64 s[34:35], s[4:5]
	s_cbranch_execz .LBB269_237
; %bb.232:                              ;   in Loop: Header=BB269_9 Depth=1
	v_cmp_ne_u16_e64 s[4:5], s42, v1
	v_bfrev_b32_e32 v59, 1
	s_and_saveexec_b64 s[36:37], s[4:5]
	s_cbranch_execz .LBB269_236
; %bb.233:                              ;   in Loop: Header=BB269_9 Depth=1
	v_and_b32_e32 v0, 0x7f, v1
	v_cmp_ne_u32_e64 s[4:5], s43, v0
	v_mov_b32_e32 v59, 0x7c010000
	s_and_saveexec_b64 s[38:39], s[4:5]
	s_cbranch_execz .LBB269_235
; %bb.234:                              ;   in Loop: Header=BB269_9 Depth=1
	v_and_b32_e32 v10, 7, v1
	v_lshrrev_b32_e32 v11, 3, v0
	v_cmp_gt_u32_e64 s[4:5], 8, v0
	v_ffbh_u32_e32 v0, v10
	v_min_u32_e32 v0, 32, v0
	v_subrev_u32_e32 v3, 28, v0
	v_lshlrev_b64 v[3:4], v3, v[1:2]
	v_sub_u32_e32 v0, 29, v0
	v_cndmask_b32_e64 v0, v11, v0, s[4:5]
	v_mov_b32_e32 v4, 0x2000
	v_lshlrev_b32_e32 v1, 8, v1
	v_lshl_add_u32 v0, v0, 10, v4
	v_and_b32_e32 v3, 7, v3
	v_and_or_b32 v0, v1, s44, v0
	v_cndmask_b32_e64 v3, v10, v3, s[4:5]
	v_lshlrev_b32_e32 v0, 16, v0
	v_lshl_or_b32 v59, v3, 23, v0
.LBB269_235:                            ;   in Loop: Header=BB269_9 Depth=1
	s_or_b64 exec, exec, s[38:39]
.LBB269_236:                            ;   in Loop: Header=BB269_9 Depth=1
	s_or_b64 exec, exec, s[36:37]
.LBB269_237:                            ;   in Loop: Header=BB269_9 Depth=1
	s_or_b64 exec, exec, s[34:35]
	v_lshrrev_b32_e32 v1, 16, v9
	v_cmp_ne_u16_sdwa s[4:5], v1, v2 src0_sel:BYTE_0 src1_sel:DWORD
	s_and_saveexec_b64 s[34:35], s[4:5]
	s_cbranch_execz .LBB269_243
; %bb.238:                              ;   in Loop: Header=BB269_9 Depth=1
	v_cmp_ne_u16_sdwa s[4:5], v1, s42 src0_sel:BYTE_0 src1_sel:DWORD
	v_mov_b32_e32 v46, 0x8000
	s_and_saveexec_b64 s[36:37], s[4:5]
	s_cbranch_execz .LBB269_242
; %bb.239:                              ;   in Loop: Header=BB269_9 Depth=1
	v_bfe_u32 v0, v9, 16, 7
	v_cmp_ne_u32_e64 s[4:5], s43, v0
	v_mov_b32_e32 v46, 0x7c01
	s_and_saveexec_b64 s[38:39], s[4:5]
	s_cbranch_execz .LBB269_241
; %bb.240:                              ;   in Loop: Header=BB269_9 Depth=1
	v_and_b32_e32 v10, 7, v1
	v_lshrrev_b32_e32 v11, 3, v0
	v_cmp_gt_u32_e64 s[4:5], 8, v0
	v_ffbh_u32_e32 v0, v10
	v_min_u32_e32 v0, 32, v0
	v_subrev_u32_e32 v3, 28, v0
	v_lshlrev_b64 v[3:4], v3, v[1:2]
	v_sub_u32_e32 v0, 29, v0
	v_cndmask_b32_e64 v0, v11, v0, s[4:5]
	v_mov_b32_e32 v4, 0x2000
	v_lshl_add_u32 v0, v0, 10, v4
	v_lshlrev_b32_e32 v1, 8, v1
	v_and_b32_e32 v3, 7, v3
	v_and_b32_e32 v0, 0xfc00, v0
	v_cndmask_b32_e64 v3, v10, v3, s[4:5]
	v_and_or_b32 v0, v1, s44, v0
	v_lshl_or_b32 v46, v3, 7, v0
.LBB269_241:                            ;   in Loop: Header=BB269_9 Depth=1
	s_or_b64 exec, exec, s[38:39]
.LBB269_242:                            ;   in Loop: Header=BB269_9 Depth=1
	s_or_b64 exec, exec, s[36:37]
.LBB269_243:                            ;   in Loop: Header=BB269_9 Depth=1
	s_or_b64 exec, exec, s[34:35]
	v_cmp_lt_u32_e64 s[4:5], s45, v9
	v_mov_b32_e32 v0, 0
	v_mov_b32_e32 v4, 0
	s_and_saveexec_b64 s[34:35], s[4:5]
	s_cbranch_execz .LBB269_249
; %bb.244:                              ;   in Loop: Header=BB269_9 Depth=1
	v_lshrrev_b32_e32 v1, 24, v9
	v_cmp_ne_u32_e64 s[4:5], s42, v1
	v_bfrev_b32_e32 v4, 1
	s_and_saveexec_b64 s[36:37], s[4:5]
	s_cbranch_execz .LBB269_248
; %bb.245:                              ;   in Loop: Header=BB269_9 Depth=1
	v_and_b32_e32 v3, 0x7f, v1
	v_cmp_ne_u32_e64 s[4:5], s43, v3
	v_mov_b32_e32 v4, 0x7c010000
	s_and_saveexec_b64 s[38:39], s[4:5]
	s_cbranch_execz .LBB269_247
; %bb.246:                              ;   in Loop: Header=BB269_9 Depth=1
	v_and_b32_e32 v9, 7, v1
	v_lshrrev_b32_e32 v10, 3, v3
	v_cmp_gt_u32_e64 s[4:5], 8, v3
	v_ffbh_u32_e32 v3, v9
	v_min_u32_e32 v11, 32, v3
	v_subrev_u32_e32 v3, 28, v11
	v_lshlrev_b64 v[3:4], v3, v[1:2]
	v_sub_u32_e32 v4, 29, v11
	v_cndmask_b32_e64 v4, v10, v4, s[4:5]
	v_mov_b32_e32 v6, 0x2000
	v_lshlrev_b32_e32 v1, 8, v1
	v_lshl_add_u32 v4, v4, 10, v6
	v_and_b32_e32 v3, 7, v3
	v_and_or_b32 v1, v1, s44, v4
	v_cndmask_b32_e64 v3, v9, v3, s[4:5]
	v_lshlrev_b32_e32 v1, 16, v1
	v_lshl_or_b32 v4, v3, 23, v1
.LBB269_247:                            ;   in Loop: Header=BB269_9 Depth=1
	s_or_b64 exec, exec, s[38:39]
.LBB269_248:                            ;   in Loop: Header=BB269_9 Depth=1
	s_or_b64 exec, exec, s[36:37]
.LBB269_249:                            ;   in Loop: Header=BB269_9 Depth=1
	s_or_b64 exec, exec, s[34:35]
	global_load_dword v9, v[7:8], off offset:2560
	s_waitcnt vmcnt(0)
	v_cmp_ne_u16_sdwa s[4:5], v9, v2 src0_sel:BYTE_0 src1_sel:DWORD
	s_and_saveexec_b64 s[34:35], s[4:5]
	s_cbranch_execz .LBB269_255
; %bb.250:                              ;   in Loop: Header=BB269_9 Depth=1
	v_cmp_ne_u16_sdwa s[4:5], v9, s42 src0_sel:BYTE_0 src1_sel:DWORD
	v_mov_b32_e32 v0, 0x8000
	s_and_saveexec_b64 s[36:37], s[4:5]
	s_cbranch_execz .LBB269_254
; %bb.251:                              ;   in Loop: Header=BB269_9 Depth=1
	v_and_b32_e32 v1, 0x7f, v9
	v_cmp_ne_u32_e64 s[4:5], s43, v1
	v_mov_b32_e32 v0, 0x7c01
	s_and_saveexec_b64 s[38:39], s[4:5]
	s_cbranch_execz .LBB269_253
; %bb.252:                              ;   in Loop: Header=BB269_9 Depth=1
	v_and_b32_e32 v3, 7, v9
	v_ffbh_u32_e32 v0, v3
	v_min_u32_e32 v11, 32, v0
	v_lshrrev_b32_e32 v10, 3, v1
	v_subrev_u32_e32 v0, 28, v11
	v_cmp_gt_u32_e64 s[4:5], 8, v1
	v_lshlrev_b64 v[0:1], v0, v[9:10]
	v_sub_u32_e32 v1, 29, v11
	v_cndmask_b32_e64 v1, v10, v1, s[4:5]
	v_mov_b32_e32 v6, 0x2000
	v_lshl_add_u32 v1, v1, 10, v6
	v_lshlrev_b32_e32 v10, 8, v9
	v_and_b32_e32 v0, 7, v0
	v_and_b32_e32 v1, 0xfc00, v1
	v_cndmask_b32_e64 v0, v3, v0, s[4:5]
	v_and_or_b32 v1, v10, s44, v1
	v_lshl_or_b32 v0, v0, 7, v1
.LBB269_253:                            ;   in Loop: Header=BB269_9 Depth=1
	s_or_b64 exec, exec, s[38:39]
.LBB269_254:                            ;   in Loop: Header=BB269_9 Depth=1
	s_or_b64 exec, exec, s[36:37]
.LBB269_255:                            ;   in Loop: Header=BB269_9 Depth=1
	s_or_b64 exec, exec, s[34:35]
	v_lshrrev_b16_e32 v1, 8, v9
	v_cmp_ne_u16_e64 s[4:5], 0, v1
	v_mov_b32_e32 v13, 0
	v_mov_b32_e32 v25, 0
	s_and_saveexec_b64 s[34:35], s[4:5]
	s_cbranch_execz .LBB269_261
; %bb.256:                              ;   in Loop: Header=BB269_9 Depth=1
	v_cmp_ne_u16_e64 s[4:5], s42, v1
	v_bfrev_b32_e32 v25, 1
	s_and_saveexec_b64 s[36:37], s[4:5]
	s_cbranch_execz .LBB269_260
; %bb.257:                              ;   in Loop: Header=BB269_9 Depth=1
	v_and_b32_e32 v3, 0x7f, v1
	v_cmp_ne_u32_e64 s[4:5], s43, v3
	v_mov_b32_e32 v25, 0x7c010000
	s_and_saveexec_b64 s[38:39], s[4:5]
	s_cbranch_execz .LBB269_259
; %bb.258:                              ;   in Loop: Header=BB269_9 Depth=1
	v_and_b32_e32 v12, 7, v1
	v_lshrrev_b32_e32 v14, 3, v3
	v_cmp_gt_u32_e64 s[4:5], 8, v3
	v_ffbh_u32_e32 v3, v12
	v_min_u32_e32 v3, 32, v3
	v_subrev_u32_e32 v10, 28, v3
	v_sub_u32_e32 v3, 29, v3
	v_lshlrev_b64 v[10:11], v10, v[1:2]
	v_cndmask_b32_e64 v3, v14, v3, s[4:5]
	v_mov_b32_e32 v6, 0x2000
	v_lshlrev_b32_e32 v1, 8, v1
	v_lshl_add_u32 v3, v3, 10, v6
	v_and_b32_e32 v10, 7, v10
	v_and_or_b32 v1, v1, s44, v3
	v_cndmask_b32_e64 v10, v12, v10, s[4:5]
	v_lshlrev_b32_e32 v1, 16, v1
	v_lshl_or_b32 v25, v10, 23, v1
.LBB269_259:                            ;   in Loop: Header=BB269_9 Depth=1
	s_or_b64 exec, exec, s[38:39]
.LBB269_260:                            ;   in Loop: Header=BB269_9 Depth=1
	s_or_b64 exec, exec, s[36:37]
.LBB269_261:                            ;   in Loop: Header=BB269_9 Depth=1
	s_or_b64 exec, exec, s[34:35]
	v_lshrrev_b32_e32 v1, 16, v9
	v_cmp_ne_u16_sdwa s[4:5], v1, v2 src0_sel:BYTE_0 src1_sel:DWORD
	s_and_saveexec_b64 s[34:35], s[4:5]
	s_cbranch_execz .LBB269_267
; %bb.262:                              ;   in Loop: Header=BB269_9 Depth=1
	v_cmp_ne_u16_sdwa s[4:5], v1, s42 src0_sel:BYTE_0 src1_sel:DWORD
	v_mov_b32_e32 v13, 0x8000
	s_and_saveexec_b64 s[36:37], s[4:5]
	s_cbranch_execz .LBB269_266
; %bb.263:                              ;   in Loop: Header=BB269_9 Depth=1
	v_bfe_u32 v3, v9, 16, 7
	v_cmp_ne_u32_e64 s[4:5], s43, v3
	v_mov_b32_e32 v13, 0x7c01
	s_and_saveexec_b64 s[38:39], s[4:5]
	s_cbranch_execz .LBB269_265
; %bb.264:                              ;   in Loop: Header=BB269_9 Depth=1
	v_and_b32_e32 v12, 7, v1
	v_lshrrev_b32_e32 v13, 3, v3
	v_cmp_gt_u32_e64 s[4:5], 8, v3
	v_ffbh_u32_e32 v3, v12
	v_min_u32_e32 v3, 32, v3
	v_subrev_u32_e32 v10, 28, v3
	v_sub_u32_e32 v3, 29, v3
	v_lshlrev_b64 v[10:11], v10, v[1:2]
	v_cndmask_b32_e64 v3, v13, v3, s[4:5]
	v_mov_b32_e32 v6, 0x2000
	v_lshl_add_u32 v3, v3, 10, v6
	v_lshlrev_b32_e32 v1, 8, v1
	v_and_b32_e32 v10, 7, v10
	v_and_b32_e32 v3, 0xfc00, v3
	v_cndmask_b32_e64 v10, v12, v10, s[4:5]
	v_and_or_b32 v1, v1, s44, v3
	v_lshl_or_b32 v13, v10, 7, v1
.LBB269_265:                            ;   in Loop: Header=BB269_9 Depth=1
	s_or_b64 exec, exec, s[38:39]
.LBB269_266:                            ;   in Loop: Header=BB269_9 Depth=1
	s_or_b64 exec, exec, s[36:37]
.LBB269_267:                            ;   in Loop: Header=BB269_9 Depth=1
	s_or_b64 exec, exec, s[34:35]
	v_cmp_lt_u32_e64 s[4:5], s45, v9
	v_mov_b32_e32 v3, 0
	v_mov_b32_e32 v29, 0
	s_and_saveexec_b64 s[34:35], s[4:5]
	s_cbranch_execz .LBB269_273
; %bb.268:                              ;   in Loop: Header=BB269_9 Depth=1
	v_lshrrev_b32_e32 v1, 24, v9
	v_cmp_ne_u32_e64 s[4:5], s42, v1
	v_bfrev_b32_e32 v29, 1
	s_and_saveexec_b64 s[36:37], s[4:5]
	s_cbranch_execz .LBB269_272
; %bb.269:                              ;   in Loop: Header=BB269_9 Depth=1
	v_and_b32_e32 v9, 0x7f, v1
	v_cmp_ne_u32_e64 s[4:5], s43, v9
	v_mov_b32_e32 v29, 0x7c010000
	s_and_saveexec_b64 s[38:39], s[4:5]
	s_cbranch_execz .LBB269_271
; %bb.270:                              ;   in Loop: Header=BB269_9 Depth=1
	v_and_b32_e32 v11, 7, v1
	v_lshrrev_b32_e32 v12, 3, v9
	v_cmp_gt_u32_e64 s[4:5], 8, v9
	v_ffbh_u32_e32 v9, v11
	v_min_u32_e32 v14, 32, v9
	v_subrev_u32_e32 v9, 28, v14
	v_lshlrev_b64 v[9:10], v9, v[1:2]
	v_sub_u32_e32 v10, 29, v14
	v_cndmask_b32_e64 v10, v12, v10, s[4:5]
	v_mov_b32_e32 v6, 0x2000
	v_lshlrev_b32_e32 v1, 8, v1
	v_lshl_add_u32 v10, v10, 10, v6
	v_and_b32_e32 v9, 7, v9
	v_and_or_b32 v1, v1, s44, v10
	v_cndmask_b32_e64 v9, v11, v9, s[4:5]
	v_lshlrev_b32_e32 v1, 16, v1
	v_lshl_or_b32 v29, v9, 23, v1
.LBB269_271:                            ;   in Loop: Header=BB269_9 Depth=1
	s_or_b64 exec, exec, s[38:39]
.LBB269_272:                            ;   in Loop: Header=BB269_9 Depth=1
	s_or_b64 exec, exec, s[36:37]
.LBB269_273:                            ;   in Loop: Header=BB269_9 Depth=1
	s_or_b64 exec, exec, s[34:35]
	global_load_dword v9, v[7:8], off offset:2568
	s_waitcnt vmcnt(0)
	v_cmp_ne_u16_sdwa s[4:5], v9, v2 src0_sel:BYTE_0 src1_sel:DWORD
	s_and_saveexec_b64 s[34:35], s[4:5]
	s_cbranch_execz .LBB269_279
; %bb.274:                              ;   in Loop: Header=BB269_9 Depth=1
	v_cmp_ne_u16_sdwa s[4:5], v9, s42 src0_sel:BYTE_0 src1_sel:DWORD
	v_mov_b32_e32 v3, 0x8000
	s_and_saveexec_b64 s[36:37], s[4:5]
	s_cbranch_execz .LBB269_278
; %bb.275:                              ;   in Loop: Header=BB269_9 Depth=1
	v_and_b32_e32 v1, 0x7f, v9
	v_cmp_ne_u32_e64 s[4:5], s43, v1
	v_mov_b32_e32 v3, 0x7c01
	s_and_saveexec_b64 s[38:39], s[4:5]
	s_cbranch_execz .LBB269_277
; %bb.276:                              ;   in Loop: Header=BB269_9 Depth=1
	v_and_b32_e32 v3, 7, v9
	v_lshrrev_b32_e32 v12, 3, v1
	v_cmp_gt_u32_e64 s[4:5], 8, v1
	v_ffbh_u32_e32 v1, v3
	v_min_u32_e32 v1, 32, v1
	v_subrev_u32_e32 v10, 28, v1
	v_sub_u32_e32 v1, 29, v1
	v_lshlrev_b64 v[10:11], v10, v[9:10]
	v_cndmask_b32_e64 v1, v12, v1, s[4:5]
	v_mov_b32_e32 v6, 0x2000
	v_lshl_add_u32 v1, v1, 10, v6
	v_lshlrev_b32_e32 v11, 8, v9
	v_and_b32_e32 v10, 7, v10
	v_and_b32_e32 v1, 0xfc00, v1
	v_cndmask_b32_e64 v3, v3, v10, s[4:5]
	v_and_or_b32 v1, v11, s44, v1
	v_lshl_or_b32 v3, v3, 7, v1
.LBB269_277:                            ;   in Loop: Header=BB269_9 Depth=1
	s_or_b64 exec, exec, s[38:39]
.LBB269_278:                            ;   in Loop: Header=BB269_9 Depth=1
	s_or_b64 exec, exec, s[36:37]
.LBB269_279:                            ;   in Loop: Header=BB269_9 Depth=1
	s_or_b64 exec, exec, s[34:35]
	v_lshrrev_b16_e32 v1, 8, v9
	v_cmp_ne_u16_e64 s[4:5], 0, v1
	v_mov_b32_e32 v14, 0
	v_mov_b32_e32 v12, 0
	s_and_saveexec_b64 s[34:35], s[4:5]
	s_cbranch_execz .LBB269_285
; %bb.280:                              ;   in Loop: Header=BB269_9 Depth=1
	v_cmp_ne_u16_e64 s[4:5], s42, v1
	v_bfrev_b32_e32 v12, 1
	s_and_saveexec_b64 s[36:37], s[4:5]
	s_cbranch_execz .LBB269_284
; %bb.281:                              ;   in Loop: Header=BB269_9 Depth=1
	v_and_b32_e32 v10, 0x7f, v1
	v_cmp_ne_u32_e64 s[4:5], s43, v10
	v_mov_b32_e32 v12, 0x7c010000
	s_and_saveexec_b64 s[38:39], s[4:5]
	s_cbranch_execz .LBB269_283
; %bb.282:                              ;   in Loop: Header=BB269_9 Depth=1
	v_and_b32_e32 v12, 7, v1
	v_lshrrev_b32_e32 v16, 3, v10
	v_cmp_gt_u32_e64 s[4:5], 8, v10
	v_ffbh_u32_e32 v10, v12
	v_min_u32_e32 v17, 32, v10
	v_subrev_u32_e32 v10, 28, v17
	v_lshlrev_b64 v[10:11], v10, v[1:2]
	v_sub_u32_e32 v11, 29, v17
	v_cndmask_b32_e64 v11, v16, v11, s[4:5]
	v_mov_b32_e32 v6, 0x2000
	v_lshlrev_b32_e32 v1, 8, v1
	v_lshl_add_u32 v11, v11, 10, v6
	v_and_b32_e32 v10, 7, v10
	v_and_or_b32 v1, v1, s44, v11
	v_cndmask_b32_e64 v10, v12, v10, s[4:5]
	v_lshlrev_b32_e32 v1, 16, v1
	v_lshl_or_b32 v12, v10, 23, v1
.LBB269_283:                            ;   in Loop: Header=BB269_9 Depth=1
	s_or_b64 exec, exec, s[38:39]
.LBB269_284:                            ;   in Loop: Header=BB269_9 Depth=1
	s_or_b64 exec, exec, s[36:37]
.LBB269_285:                            ;   in Loop: Header=BB269_9 Depth=1
	s_or_b64 exec, exec, s[34:35]
	v_lshrrev_b32_e32 v1, 16, v9
	v_cmp_ne_u16_sdwa s[4:5], v1, v2 src0_sel:BYTE_0 src1_sel:DWORD
	s_and_saveexec_b64 s[34:35], s[4:5]
	s_cbranch_execz .LBB269_291
; %bb.286:                              ;   in Loop: Header=BB269_9 Depth=1
	v_cmp_ne_u16_sdwa s[4:5], v1, s42 src0_sel:BYTE_0 src1_sel:DWORD
	v_mov_b32_e32 v14, 0x8000
	s_and_saveexec_b64 s[36:37], s[4:5]
	s_cbranch_execz .LBB269_290
; %bb.287:                              ;   in Loop: Header=BB269_9 Depth=1
	v_bfe_u32 v10, v9, 16, 7
	v_cmp_ne_u32_e64 s[4:5], s43, v10
	v_mov_b32_e32 v14, 0x7c01
	s_and_saveexec_b64 s[38:39], s[4:5]
	s_cbranch_execz .LBB269_289
; %bb.288:                              ;   in Loop: Header=BB269_9 Depth=1
	v_and_b32_e32 v14, 7, v1
	v_lshrrev_b32_e32 v16, 3, v10
	v_cmp_gt_u32_e64 s[4:5], 8, v10
	v_ffbh_u32_e32 v10, v14
	v_min_u32_e32 v17, 32, v10
	v_subrev_u32_e32 v10, 28, v17
	v_lshlrev_b64 v[10:11], v10, v[1:2]
	v_sub_u32_e32 v11, 29, v17
	v_cndmask_b32_e64 v11, v16, v11, s[4:5]
	v_mov_b32_e32 v6, 0x2000
	v_lshl_add_u32 v11, v11, 10, v6
	v_lshlrev_b32_e32 v1, 8, v1
	v_and_b32_e32 v10, 7, v10
	v_and_b32_e32 v11, 0xfc00, v11
	v_cndmask_b32_e64 v10, v14, v10, s[4:5]
	v_and_or_b32 v1, v1, s44, v11
	v_lshl_or_b32 v14, v10, 7, v1
.LBB269_289:                            ;   in Loop: Header=BB269_9 Depth=1
	s_or_b64 exec, exec, s[38:39]
.LBB269_290:                            ;   in Loop: Header=BB269_9 Depth=1
	s_or_b64 exec, exec, s[36:37]
.LBB269_291:                            ;   in Loop: Header=BB269_9 Depth=1
	s_or_b64 exec, exec, s[34:35]
	v_cmp_lt_u32_e64 s[4:5], s45, v9
	v_mov_b32_e32 v10, 0
	v_mov_b32_e32 v26, 0
	s_and_saveexec_b64 s[34:35], s[4:5]
	s_cbranch_execz .LBB269_297
; %bb.292:                              ;   in Loop: Header=BB269_9 Depth=1
	v_lshrrev_b32_e32 v1, 24, v9
	v_cmp_ne_u32_e64 s[4:5], s42, v1
	v_bfrev_b32_e32 v26, 1
	s_and_saveexec_b64 s[36:37], s[4:5]
	s_cbranch_execz .LBB269_296
; %bb.293:                              ;   in Loop: Header=BB269_9 Depth=1
	v_and_b32_e32 v9, 0x7f, v1
	v_cmp_ne_u32_e64 s[4:5], s43, v9
	v_mov_b32_e32 v26, 0x7c010000
	s_and_saveexec_b64 s[38:39], s[4:5]
	s_cbranch_execz .LBB269_295
; %bb.294:                              ;   in Loop: Header=BB269_9 Depth=1
	v_and_b32_e32 v11, 7, v1
	v_lshrrev_b32_e32 v18, 3, v9
	v_cmp_gt_u32_e64 s[4:5], 8, v9
	v_ffbh_u32_e32 v9, v11
	v_min_u32_e32 v9, 32, v9
	v_subrev_u32_e32 v16, 28, v9
	v_sub_u32_e32 v9, 29, v9
	v_lshlrev_b64 v[16:17], v16, v[1:2]
	v_cndmask_b32_e64 v9, v18, v9, s[4:5]
	v_mov_b32_e32 v6, 0x2000
	v_lshlrev_b32_e32 v1, 8, v1
	v_lshl_add_u32 v9, v9, 10, v6
	v_and_b32_e32 v16, 7, v16
	v_and_or_b32 v1, v1, s44, v9
	v_cndmask_b32_e64 v11, v11, v16, s[4:5]
	v_lshlrev_b32_e32 v1, 16, v1
	v_lshl_or_b32 v26, v11, 23, v1
.LBB269_295:                            ;   in Loop: Header=BB269_9 Depth=1
	s_or_b64 exec, exec, s[38:39]
.LBB269_296:                            ;   in Loop: Header=BB269_9 Depth=1
	s_or_b64 exec, exec, s[36:37]
.LBB269_297:                            ;   in Loop: Header=BB269_9 Depth=1
	s_or_b64 exec, exec, s[34:35]
	global_load_dword v9, v[7:8], off offset:3072
	s_waitcnt vmcnt(0)
	v_cmp_ne_u16_sdwa s[4:5], v9, v2 src0_sel:BYTE_0 src1_sel:DWORD
	s_and_saveexec_b64 s[34:35], s[4:5]
	s_cbranch_execz .LBB269_303
; %bb.298:                              ;   in Loop: Header=BB269_9 Depth=1
	v_cmp_ne_u16_sdwa s[4:5], v9, s42 src0_sel:BYTE_0 src1_sel:DWORD
	v_mov_b32_e32 v10, 0x8000
	s_and_saveexec_b64 s[36:37], s[4:5]
	s_cbranch_execz .LBB269_302
; %bb.299:                              ;   in Loop: Header=BB269_9 Depth=1
	v_and_b32_e32 v1, 0x7f, v9
	v_cmp_ne_u32_e64 s[4:5], s43, v1
	v_mov_b32_e32 v10, 0x7c01
	s_and_saveexec_b64 s[38:39], s[4:5]
	s_cbranch_execz .LBB269_301
; %bb.300:                              ;   in Loop: Header=BB269_9 Depth=1
	v_and_b32_e32 v16, 7, v9
	v_lshrrev_b32_e32 v17, 3, v1
	v_cmp_gt_u32_e64 s[4:5], 8, v1
	v_ffbh_u32_e32 v1, v16
	v_min_u32_e32 v1, 32, v1
	v_subrev_u32_e32 v10, 28, v1
	v_sub_u32_e32 v1, 29, v1
	v_lshlrev_b64 v[10:11], v10, v[9:10]
	v_cndmask_b32_e64 v1, v17, v1, s[4:5]
	v_mov_b32_e32 v6, 0x2000
	v_lshl_add_u32 v1, v1, 10, v6
	v_lshlrev_b32_e32 v11, 8, v9
	v_and_b32_e32 v10, 7, v10
	v_and_b32_e32 v1, 0xfc00, v1
	v_cndmask_b32_e64 v10, v16, v10, s[4:5]
	v_and_or_b32 v1, v11, s44, v1
	v_lshl_or_b32 v10, v10, 7, v1
.LBB269_301:                            ;   in Loop: Header=BB269_9 Depth=1
	s_or_b64 exec, exec, s[38:39]
.LBB269_302:                            ;   in Loop: Header=BB269_9 Depth=1
	s_or_b64 exec, exec, s[36:37]
.LBB269_303:                            ;   in Loop: Header=BB269_9 Depth=1
	s_or_b64 exec, exec, s[34:35]
	v_lshrrev_b16_e32 v1, 8, v9
	v_cmp_ne_u16_e64 s[4:5], 0, v1
	v_mov_b32_e32 v18, 0
	v_mov_b32_e32 v11, 0
	s_and_saveexec_b64 s[34:35], s[4:5]
	s_cbranch_execz .LBB269_309
; %bb.304:                              ;   in Loop: Header=BB269_9 Depth=1
	v_cmp_ne_u16_e64 s[4:5], s42, v1
	v_bfrev_b32_e32 v11, 1
	s_and_saveexec_b64 s[36:37], s[4:5]
	s_cbranch_execz .LBB269_308
; %bb.305:                              ;   in Loop: Header=BB269_9 Depth=1
	v_and_b32_e32 v16, 0x7f, v1
	v_cmp_ne_u32_e64 s[4:5], s43, v16
	v_mov_b32_e32 v11, 0x7c010000
	s_and_saveexec_b64 s[38:39], s[4:5]
	s_cbranch_execz .LBB269_307
; %bb.306:                              ;   in Loop: Header=BB269_9 Depth=1
	v_and_b32_e32 v11, 7, v1
	v_lshrrev_b32_e32 v21, 3, v16
	v_cmp_gt_u32_e64 s[4:5], 8, v16
	v_ffbh_u32_e32 v16, v11
	v_min_u32_e32 v22, 32, v16
	v_subrev_u32_e32 v16, 28, v22
	v_lshlrev_b64 v[16:17], v16, v[1:2]
	v_sub_u32_e32 v17, 29, v22
	v_cndmask_b32_e64 v17, v21, v17, s[4:5]
	v_mov_b32_e32 v6, 0x2000
	v_lshlrev_b32_e32 v1, 8, v1
	v_lshl_add_u32 v17, v17, 10, v6
	v_and_b32_e32 v16, 7, v16
	v_and_or_b32 v1, v1, s44, v17
	v_cndmask_b32_e64 v11, v11, v16, s[4:5]
	v_lshlrev_b32_e32 v1, 16, v1
	v_lshl_or_b32 v11, v11, 23, v1
.LBB269_307:                            ;   in Loop: Header=BB269_9 Depth=1
	s_or_b64 exec, exec, s[38:39]
.LBB269_308:                            ;   in Loop: Header=BB269_9 Depth=1
	s_or_b64 exec, exec, s[36:37]
.LBB269_309:                            ;   in Loop: Header=BB269_9 Depth=1
	s_or_b64 exec, exec, s[34:35]
	v_lshrrev_b32_e32 v1, 16, v9
	v_cmp_ne_u16_sdwa s[4:5], v1, v2 src0_sel:BYTE_0 src1_sel:DWORD
	s_and_saveexec_b64 s[34:35], s[4:5]
	s_cbranch_execz .LBB269_315
; %bb.310:                              ;   in Loop: Header=BB269_9 Depth=1
	v_cmp_ne_u16_sdwa s[4:5], v1, s42 src0_sel:BYTE_0 src1_sel:DWORD
	v_mov_b32_e32 v18, 0x8000
	s_and_saveexec_b64 s[36:37], s[4:5]
	s_cbranch_execz .LBB269_314
; %bb.311:                              ;   in Loop: Header=BB269_9 Depth=1
	v_bfe_u32 v16, v9, 16, 7
	v_cmp_ne_u32_e64 s[4:5], s43, v16
	v_mov_b32_e32 v18, 0x7c01
	s_and_saveexec_b64 s[38:39], s[4:5]
	s_cbranch_execz .LBB269_313
; %bb.312:                              ;   in Loop: Header=BB269_9 Depth=1
	v_and_b32_e32 v18, 7, v1
	v_lshrrev_b32_e32 v21, 3, v16
	v_cmp_gt_u32_e64 s[4:5], 8, v16
	v_ffbh_u32_e32 v16, v18
	v_min_u32_e32 v22, 32, v16
	v_subrev_u32_e32 v16, 28, v22
	v_lshlrev_b64 v[16:17], v16, v[1:2]
	v_sub_u32_e32 v17, 29, v22
	v_cndmask_b32_e64 v17, v21, v17, s[4:5]
	v_mov_b32_e32 v6, 0x2000
	v_lshl_add_u32 v17, v17, 10, v6
	v_lshlrev_b32_e32 v1, 8, v1
	v_and_b32_e32 v16, 7, v16
	v_and_b32_e32 v17, 0xfc00, v17
	v_cndmask_b32_e64 v16, v18, v16, s[4:5]
	v_and_or_b32 v1, v1, s44, v17
	v_lshl_or_b32 v18, v16, 7, v1
.LBB269_313:                            ;   in Loop: Header=BB269_9 Depth=1
	s_or_b64 exec, exec, s[38:39]
.LBB269_314:                            ;   in Loop: Header=BB269_9 Depth=1
	s_or_b64 exec, exec, s[36:37]
.LBB269_315:                            ;   in Loop: Header=BB269_9 Depth=1
	s_or_b64 exec, exec, s[34:35]
	v_cmp_lt_u32_e64 s[4:5], s45, v9
	v_mov_b32_e32 v60, 0
	v_mov_b32_e32 v62, 0
	s_and_saveexec_b64 s[34:35], s[4:5]
	s_cbranch_execz .LBB269_321
; %bb.316:                              ;   in Loop: Header=BB269_9 Depth=1
	v_lshrrev_b32_e32 v1, 24, v9
	v_cmp_ne_u32_e64 s[4:5], s42, v1
	v_bfrev_b32_e32 v62, 1
	s_and_saveexec_b64 s[36:37], s[4:5]
	s_cbranch_execz .LBB269_320
; %bb.317:                              ;   in Loop: Header=BB269_9 Depth=1
	v_and_b32_e32 v9, 0x7f, v1
	v_cmp_ne_u32_e64 s[4:5], s43, v9
	v_mov_b32_e32 v62, 0x7c010000
	s_and_saveexec_b64 s[38:39], s[4:5]
	s_cbranch_execz .LBB269_319
; %bb.318:                              ;   in Loop: Header=BB269_9 Depth=1
	v_and_b32_e32 v21, 7, v1
	v_lshrrev_b32_e32 v22, 3, v9
	v_cmp_gt_u32_e64 s[4:5], 8, v9
	v_ffbh_u32_e32 v9, v21
	v_min_u32_e32 v9, 32, v9
	v_subrev_u32_e32 v16, 28, v9
	v_sub_u32_e32 v9, 29, v9
	v_lshlrev_b64 v[16:17], v16, v[1:2]
	v_cndmask_b32_e64 v9, v22, v9, s[4:5]
	v_mov_b32_e32 v6, 0x2000
	v_lshlrev_b32_e32 v1, 8, v1
	v_lshl_add_u32 v9, v9, 10, v6
	v_and_b32_e32 v16, 7, v16
	v_and_or_b32 v1, v1, s44, v9
	v_cndmask_b32_e64 v16, v21, v16, s[4:5]
	v_lshlrev_b32_e32 v1, 16, v1
	v_lshl_or_b32 v62, v16, 23, v1
.LBB269_319:                            ;   in Loop: Header=BB269_9 Depth=1
	s_or_b64 exec, exec, s[38:39]
.LBB269_320:                            ;   in Loop: Header=BB269_9 Depth=1
	s_or_b64 exec, exec, s[36:37]
.LBB269_321:                            ;   in Loop: Header=BB269_9 Depth=1
	s_or_b64 exec, exec, s[34:35]
	global_load_dword v9, v[7:8], off offset:3080
	s_waitcnt vmcnt(0)
	v_cmp_ne_u16_sdwa s[4:5], v9, v2 src0_sel:BYTE_0 src1_sel:DWORD
	s_and_saveexec_b64 s[34:35], s[4:5]
	s_cbranch_execz .LBB269_327
; %bb.322:                              ;   in Loop: Header=BB269_9 Depth=1
	v_cmp_ne_u16_sdwa s[4:5], v9, s42 src0_sel:BYTE_0 src1_sel:DWORD
	v_mov_b32_e32 v60, 0x8000
	s_and_saveexec_b64 s[36:37], s[4:5]
	s_cbranch_execz .LBB269_326
; %bb.323:                              ;   in Loop: Header=BB269_9 Depth=1
	v_and_b32_e32 v1, 0x7f, v9
	v_cmp_ne_u32_e64 s[4:5], s43, v1
	v_mov_b32_e32 v60, 0x7c01
	s_and_saveexec_b64 s[38:39], s[4:5]
	s_cbranch_execz .LBB269_325
; %bb.324:                              ;   in Loop: Header=BB269_9 Depth=1
	v_and_b32_e32 v21, 7, v9
	v_lshrrev_b32_e32 v22, 3, v1
	v_cmp_gt_u32_e64 s[4:5], 8, v1
	v_ffbh_u32_e32 v1, v21
	v_min_u32_e32 v1, 32, v1
	v_subrev_u32_e32 v16, 28, v1
	v_sub_u32_e32 v1, 29, v1
	v_lshlrev_b64 v[16:17], v16, v[9:10]
	v_cndmask_b32_e64 v1, v22, v1, s[4:5]
	v_mov_b32_e32 v6, 0x2000
	v_lshl_add_u32 v1, v1, 10, v6
	v_lshlrev_b32_e32 v17, 8, v9
	v_and_b32_e32 v16, 7, v16
	v_and_b32_e32 v1, 0xfc00, v1
	v_cndmask_b32_e64 v16, v21, v16, s[4:5]
	v_and_or_b32 v1, v17, s44, v1
	v_lshl_or_b32 v60, v16, 7, v1
.LBB269_325:                            ;   in Loop: Header=BB269_9 Depth=1
	s_or_b64 exec, exec, s[38:39]
.LBB269_326:                            ;   in Loop: Header=BB269_9 Depth=1
	s_or_b64 exec, exec, s[36:37]
.LBB269_327:                            ;   in Loop: Header=BB269_9 Depth=1
	s_or_b64 exec, exec, s[34:35]
	v_lshrrev_b16_e32 v1, 8, v9
	v_cmp_ne_u16_e64 s[4:5], 0, v1
	v_mov_b32_e32 v17, 0
	v_mov_b32_e32 v32, 0
	s_and_saveexec_b64 s[34:35], s[4:5]
	s_cbranch_execz .LBB269_333
; %bb.328:                              ;   in Loop: Header=BB269_9 Depth=1
	v_cmp_ne_u16_e64 s[4:5], s42, v1
	v_bfrev_b32_e32 v32, 1
	s_and_saveexec_b64 s[36:37], s[4:5]
	s_cbranch_execz .LBB269_332
; %bb.329:                              ;   in Loop: Header=BB269_9 Depth=1
	v_and_b32_e32 v16, 0x7f, v1
	v_cmp_ne_u32_e64 s[4:5], s43, v16
	v_mov_b32_e32 v32, 0x7c010000
	s_and_saveexec_b64 s[38:39], s[4:5]
	s_cbranch_execz .LBB269_331
; %bb.330:                              ;   in Loop: Header=BB269_9 Depth=1
	v_and_b32_e32 v21, 7, v1
	v_lshrrev_b32_e32 v22, 3, v16
	v_cmp_gt_u32_e64 s[4:5], 8, v16
	v_ffbh_u32_e32 v16, v21
	v_min_u32_e32 v16, 32, v16
	v_subrev_u32_e32 v23, 28, v16
	v_mov_b32_e32 v6, v33
	v_lshlrev_b64 v[32:33], v23, v[1:2]
	v_sub_u32_e32 v16, 29, v16
	v_mov_b32_e32 v33, v6
	v_cndmask_b32_e64 v16, v22, v16, s[4:5]
	v_mov_b32_e32 v6, 0x2000
	v_lshlrev_b32_e32 v1, 8, v1
	v_lshl_add_u32 v16, v16, 10, v6
	v_and_b32_e32 v22, 7, v32
	v_and_or_b32 v1, v1, s44, v16
	v_cndmask_b32_e64 v21, v21, v22, s[4:5]
	v_lshlrev_b32_e32 v1, 16, v1
	v_lshl_or_b32 v32, v21, 23, v1
.LBB269_331:                            ;   in Loop: Header=BB269_9 Depth=1
	s_or_b64 exec, exec, s[38:39]
.LBB269_332:                            ;   in Loop: Header=BB269_9 Depth=1
	s_or_b64 exec, exec, s[36:37]
.LBB269_333:                            ;   in Loop: Header=BB269_9 Depth=1
	s_or_b64 exec, exec, s[34:35]
	v_lshrrev_b32_e32 v1, 16, v9
	v_cmp_ne_u16_sdwa s[4:5], v1, v2 src0_sel:BYTE_0 src1_sel:DWORD
	s_and_saveexec_b64 s[34:35], s[4:5]
	s_cbranch_execz .LBB269_339
; %bb.334:                              ;   in Loop: Header=BB269_9 Depth=1
	v_cmp_ne_u16_sdwa s[4:5], v1, s42 src0_sel:BYTE_0 src1_sel:DWORD
	v_mov_b32_e32 v17, 0x8000
	s_and_saveexec_b64 s[36:37], s[4:5]
	s_cbranch_execz .LBB269_338
; %bb.335:                              ;   in Loop: Header=BB269_9 Depth=1
	v_bfe_u32 v16, v9, 16, 7
	v_cmp_ne_u32_e64 s[4:5], s43, v16
	v_mov_b32_e32 v17, 0x7c01
	s_and_saveexec_b64 s[38:39], s[4:5]
	s_cbranch_execz .LBB269_337
; %bb.336:                              ;   in Loop: Header=BB269_9 Depth=1
	v_and_b32_e32 v21, 7, v1
	v_lshrrev_b32_e32 v22, 3, v16
	v_cmp_gt_u32_e64 s[4:5], 8, v16
	v_ffbh_u32_e32 v16, v21
	v_min_u32_e32 v23, 32, v16
	v_subrev_u32_e32 v16, 28, v23
	v_lshlrev_b64 v[16:17], v16, v[1:2]
	v_sub_u32_e32 v17, 29, v23
	v_cndmask_b32_e64 v17, v22, v17, s[4:5]
	v_mov_b32_e32 v6, 0x2000
	v_lshl_add_u32 v17, v17, 10, v6
	v_lshlrev_b32_e32 v1, 8, v1
	v_and_b32_e32 v16, 7, v16
	v_and_b32_e32 v17, 0xfc00, v17
	v_cndmask_b32_e64 v16, v21, v16, s[4:5]
	v_and_or_b32 v1, v1, s44, v17
	v_lshl_or_b32 v17, v16, 7, v1
.LBB269_337:                            ;   in Loop: Header=BB269_9 Depth=1
	s_or_b64 exec, exec, s[38:39]
.LBB269_338:                            ;   in Loop: Header=BB269_9 Depth=1
	s_or_b64 exec, exec, s[36:37]
.LBB269_339:                            ;   in Loop: Header=BB269_9 Depth=1
	s_or_b64 exec, exec, s[34:35]
	v_cmp_lt_u32_e64 s[4:5], s45, v9
	v_mov_b32_e32 v21, 0
	v_mov_b32_e32 v16, 0
	s_and_saveexec_b64 s[34:35], s[4:5]
	s_cbranch_execz .LBB269_345
; %bb.340:                              ;   in Loop: Header=BB269_9 Depth=1
	v_lshrrev_b32_e32 v1, 24, v9
	v_cmp_ne_u32_e64 s[4:5], s42, v1
	v_bfrev_b32_e32 v16, 1
	s_and_saveexec_b64 s[36:37], s[4:5]
	s_cbranch_execz .LBB269_344
; %bb.341:                              ;   in Loop: Header=BB269_9 Depth=1
	v_and_b32_e32 v9, 0x7f, v1
	v_cmp_ne_u32_e64 s[4:5], s43, v9
	v_mov_b32_e32 v16, 0x7c010000
	s_and_saveexec_b64 s[38:39], s[4:5]
	s_cbranch_execz .LBB269_343
; %bb.342:                              ;   in Loop: Header=BB269_9 Depth=1
	v_and_b32_e32 v16, 7, v1
	v_lshrrev_b32_e32 v22, 3, v9
	v_cmp_gt_u32_e64 s[4:5], 8, v9
	v_ffbh_u32_e32 v9, v16
	v_min_u32_e32 v9, 32, v9
	v_subrev_u32_e32 v23, 28, v9
	v_sub_u32_e32 v9, 29, v9
	v_mov_b32_e32 v63, v33
	v_lshlrev_b64 v[33:34], v23, v[1:2]
	v_cndmask_b32_e64 v9, v22, v9, s[4:5]
	v_mov_b32_e32 v6, 0x2000
	v_lshlrev_b32_e32 v1, 8, v1
	v_lshl_add_u32 v9, v9, 10, v6
	v_and_b32_e32 v22, 7, v33
	v_and_or_b32 v1, v1, s44, v9
	v_cndmask_b32_e64 v16, v16, v22, s[4:5]
	v_lshlrev_b32_e32 v1, 16, v1
	v_mov_b32_e32 v33, v63
	v_lshl_or_b32 v16, v16, 23, v1
.LBB269_343:                            ;   in Loop: Header=BB269_9 Depth=1
	s_or_b64 exec, exec, s[38:39]
.LBB269_344:                            ;   in Loop: Header=BB269_9 Depth=1
	s_or_b64 exec, exec, s[36:37]
.LBB269_345:                            ;   in Loop: Header=BB269_9 Depth=1
	s_or_b64 exec, exec, s[34:35]
	global_load_dword v7, v[7:8], off offset:3584
	s_waitcnt vmcnt(0)
	v_cmp_ne_u16_sdwa s[4:5], v7, v2 src0_sel:BYTE_0 src1_sel:DWORD
	s_and_saveexec_b64 s[34:35], s[4:5]
	s_cbranch_execz .LBB269_351
; %bb.346:                              ;   in Loop: Header=BB269_9 Depth=1
	v_cmp_ne_u16_sdwa s[4:5], v7, s42 src0_sel:BYTE_0 src1_sel:DWORD
	v_mov_b32_e32 v21, 0x8000
	s_and_saveexec_b64 s[36:37], s[4:5]
	s_cbranch_execz .LBB269_350
; %bb.347:                              ;   in Loop: Header=BB269_9 Depth=1
	v_and_b32_e32 v1, 0x7f, v7
	v_cmp_ne_u32_e64 s[4:5], s43, v1
	v_mov_b32_e32 v21, 0x7c01
	s_and_saveexec_b64 s[38:39], s[4:5]
	s_cbranch_execz .LBB269_349
; %bb.348:                              ;   in Loop: Header=BB269_9 Depth=1
	v_and_b32_e32 v21, 7, v7
	v_lshrrev_b32_e32 v22, 3, v1
	v_cmp_gt_u32_e64 s[4:5], 8, v1
	v_ffbh_u32_e32 v1, v21
	v_min_u32_e32 v1, 32, v1
	v_subrev_u32_e32 v8, 28, v1
	v_sub_u32_e32 v1, 29, v1
	v_lshlrev_b64 v[8:9], v8, v[7:8]
	v_cndmask_b32_e64 v1, v22, v1, s[4:5]
	v_mov_b32_e32 v6, 0x2000
	v_lshl_add_u32 v1, v1, 10, v6
	v_lshlrev_b32_e32 v9, 8, v7
	v_and_b32_e32 v8, 7, v8
	v_and_b32_e32 v1, 0xfc00, v1
	v_cndmask_b32_e64 v8, v21, v8, s[4:5]
	v_and_or_b32 v1, v9, s44, v1
	v_lshl_or_b32 v21, v8, 7, v1
.LBB269_349:                            ;   in Loop: Header=BB269_9 Depth=1
	s_or_b64 exec, exec, s[38:39]
.LBB269_350:                            ;   in Loop: Header=BB269_9 Depth=1
	s_or_b64 exec, exec, s[36:37]
.LBB269_351:                            ;   in Loop: Header=BB269_9 Depth=1
	s_or_b64 exec, exec, s[34:35]
	v_lshrrev_b16_e32 v1, 8, v7
	v_cmp_ne_u16_e64 s[4:5], 0, v1
	v_mov_b32_e32 v9, 0
	v_mov_b32_e32 v23, 0
	s_and_saveexec_b64 s[34:35], s[4:5]
	s_cbranch_execz .LBB269_357
; %bb.352:                              ;   in Loop: Header=BB269_9 Depth=1
	v_cmp_ne_u16_e64 s[4:5], s42, v1
	v_bfrev_b32_e32 v23, 1
	s_and_saveexec_b64 s[36:37], s[4:5]
	s_cbranch_execz .LBB269_356
; %bb.353:                              ;   in Loop: Header=BB269_9 Depth=1
	v_and_b32_e32 v8, 0x7f, v1
	v_cmp_ne_u32_e64 s[4:5], s43, v8
	v_mov_b32_e32 v23, 0x7c010000
	s_and_saveexec_b64 s[38:39], s[4:5]
	s_cbranch_execz .LBB269_355
; %bb.354:                              ;   in Loop: Header=BB269_9 Depth=1
	v_and_b32_e32 v22, 7, v1
	v_lshrrev_b32_e32 v23, 3, v8
	v_cmp_gt_u32_e64 s[4:5], 8, v8
	v_ffbh_u32_e32 v8, v22
	v_min_u32_e32 v8, 32, v8
	v_mov_b32_e32 v63, v33
	v_subrev_u32_e32 v33, 28, v8
	v_sub_u32_e32 v8, 29, v8
	v_lshlrev_b64 v[33:34], v33, v[1:2]
	v_cndmask_b32_e64 v8, v23, v8, s[4:5]
	v_mov_b32_e32 v6, 0x2000
	v_lshlrev_b32_e32 v1, 8, v1
	v_lshl_add_u32 v8, v8, 10, v6
	v_and_b32_e32 v23, 7, v33
	v_and_or_b32 v1, v1, s44, v8
	v_cndmask_b32_e64 v22, v22, v23, s[4:5]
	v_lshlrev_b32_e32 v1, 16, v1
	v_mov_b32_e32 v33, v63
	v_lshl_or_b32 v23, v22, 23, v1
.LBB269_355:                            ;   in Loop: Header=BB269_9 Depth=1
	s_or_b64 exec, exec, s[38:39]
.LBB269_356:                            ;   in Loop: Header=BB269_9 Depth=1
	s_or_b64 exec, exec, s[36:37]
.LBB269_357:                            ;   in Loop: Header=BB269_9 Depth=1
	s_or_b64 exec, exec, s[34:35]
	v_lshrrev_b32_e32 v1, 16, v7
	v_cmp_ne_u16_sdwa s[4:5], v1, v2 src0_sel:BYTE_0 src1_sel:DWORD
	s_and_saveexec_b64 s[34:35], s[4:5]
	s_cbranch_execz .LBB269_363
; %bb.358:                              ;   in Loop: Header=BB269_9 Depth=1
	v_cmp_ne_u16_sdwa s[4:5], v1, s42 src0_sel:BYTE_0 src1_sel:DWORD
	v_mov_b32_e32 v9, 0x8000
	s_and_saveexec_b64 s[36:37], s[4:5]
	s_cbranch_execz .LBB269_362
; %bb.359:                              ;   in Loop: Header=BB269_9 Depth=1
	v_bfe_u32 v8, v7, 16, 7
	v_cmp_ne_u32_e64 s[4:5], s43, v8
	v_mov_b32_e32 v9, 0x7c01
	s_and_saveexec_b64 s[38:39], s[4:5]
	s_cbranch_execz .LBB269_361
; %bb.360:                              ;   in Loop: Header=BB269_9 Depth=1
	v_and_b32_e32 v22, 7, v1
	v_mov_b32_e32 v6, v33
	v_lshrrev_b32_e32 v33, 3, v8
	v_cmp_gt_u32_e64 s[4:5], 8, v8
	v_ffbh_u32_e32 v8, v22
	v_min_u32_e32 v34, 32, v8
	v_subrev_u32_e32 v8, 28, v34
	v_lshlrev_b64 v[8:9], v8, v[1:2]
	v_sub_u32_e32 v9, 29, v34
	v_cndmask_b32_e64 v9, v33, v9, s[4:5]
	v_mov_b32_e32 v33, v6
	v_mov_b32_e32 v6, 0x2000
	v_lshl_add_u32 v9, v9, 10, v6
	v_lshlrev_b32_e32 v1, 8, v1
	v_and_b32_e32 v8, 7, v8
	v_and_b32_e32 v9, 0xfc00, v9
	v_cndmask_b32_e64 v8, v22, v8, s[4:5]
	v_and_or_b32 v1, v1, s44, v9
	v_lshl_or_b32 v9, v8, 7, v1
.LBB269_361:                            ;   in Loop: Header=BB269_9 Depth=1
	s_or_b64 exec, exec, s[38:39]
.LBB269_362:                            ;   in Loop: Header=BB269_9 Depth=1
	s_or_b64 exec, exec, s[36:37]
.LBB269_363:                            ;   in Loop: Header=BB269_9 Depth=1
	s_or_b64 exec, exec, s[34:35]
	v_mov_b32_e32 v63, v19
	v_mov_b32_e32 v19, v61
	v_cmp_lt_u32_e64 s[4:5], s45, v7
	v_mov_b32_e32 v61, 0
	s_and_saveexec_b64 s[34:35], s[4:5]
	s_cbranch_execz .LBB269_369
; %bb.364:                              ;   in Loop: Header=BB269_9 Depth=1
	v_lshrrev_b32_e32 v1, 24, v7
	v_cmp_ne_u32_e64 s[4:5], s42, v1
	v_bfrev_b32_e32 v61, 1
	s_and_saveexec_b64 s[36:37], s[4:5]
	s_cbranch_execz .LBB269_368
; %bb.365:                              ;   in Loop: Header=BB269_9 Depth=1
	v_and_b32_e32 v7, 0x7f, v1
	v_cmp_ne_u32_e64 s[4:5], s43, v7
	v_mov_b32_e32 v61, 0x7c010000
	s_and_saveexec_b64 s[38:39], s[4:5]
	s_cbranch_execz .LBB269_367
; %bb.366:                              ;   in Loop: Header=BB269_9 Depth=1
	v_and_b32_e32 v22, 7, v1
	v_mov_b32_e32 v6, v33
	v_lshrrev_b32_e32 v33, 3, v7
	v_cmp_gt_u32_e64 s[4:5], 8, v7
	v_ffbh_u32_e32 v7, v22
	v_min_u32_e32 v34, 32, v7
	v_subrev_u32_e32 v7, 28, v34
	v_lshlrev_b64 v[7:8], v7, v[1:2]
	v_sub_u32_e32 v8, 29, v34
	v_cndmask_b32_e64 v8, v33, v8, s[4:5]
	v_mov_b32_e32 v33, v6
	v_mov_b32_e32 v6, 0x2000
	v_lshlrev_b32_e32 v1, 8, v1
	v_lshl_add_u32 v8, v8, 10, v6
	v_and_b32_e32 v7, 7, v7
	v_and_or_b32 v1, v1, s44, v8
	v_cndmask_b32_e64 v7, v22, v7, s[4:5]
	v_lshlrev_b32_e32 v1, 16, v1
	v_lshl_or_b32 v61, v7, 23, v1
.LBB269_367:                            ;   in Loop: Header=BB269_9 Depth=1
	s_or_b64 exec, exec, s[38:39]
.LBB269_368:                            ;   in Loop: Header=BB269_9 Depth=1
	s_or_b64 exec, exec, s[36:37]
.LBB269_369:                            ;   in Loop: Header=BB269_9 Depth=1
	s_or_b64 exec, exec, s[34:35]
	v_or_b32_e32 v1, v32, v60
	v_fma_mixlo_f16 v1, v20, v1, 0 op_sel_hi:[0,1,0]
	buffer_store_dword v1, off, s[48:51], 0 offset:52 ; 4-byte Folded Spill
	v_or_b32_e32 v1, v16, v17
	v_fma_mixlo_f16 v1, v20, v1, 0 op_sel_hi:[0,1,0]
	buffer_store_dword v1, off, s[48:51], 0 offset:44 ; 4-byte Folded Spill
	v_fma_mixlo_f16 v1, v20, v16, 0 op_sel:[0,1,0] op_sel_hi:[0,1,0]
	buffer_store_dword v1, off, s[48:51], 0 offset:40 ; 4-byte Folded Spill
	v_or_b32_e32 v1, v11, v10
	v_fma_mixlo_f16 v1, v20, v1, 0 op_sel_hi:[0,1,0]
	buffer_store_dword v1, off, s[48:51], 0 offset:68 ; 4-byte Folded Spill
	v_or_b32_e32 v1, v62, v18
	v_fma_mixlo_f16 v1, v20, v1, 0 op_sel_hi:[0,1,0]
	buffer_store_dword v1, off, s[48:51], 0 offset:60 ; 4-byte Folded Spill
	v_fma_mixlo_f16 v1, v20, v62, 0 op_sel:[0,1,0] op_sel_hi:[0,1,0]
	buffer_store_dword v1, off, s[48:51], 0 offset:56 ; 4-byte Folded Spill
	v_or_b32_e32 v1, v12, v3
	v_or_b32_e32 v0, v25, v0
	v_fma_mixlo_f16 v18, v20, v1, 0 op_sel_hi:[0,1,0]
	v_or_b32_e32 v1, v26, v14
	v_fma_mixlo_f16 v62, v20, v26, 0 op_sel:[0,1,0] op_sel_hi:[0,1,0]
	v_fma_mixlo_f16 v26, v20, v0, 0 op_sel_hi:[0,1,0]
	v_or_b32_e32 v0, v29, v13
	v_fma_mixlo_f16 v13, v20, v0, 0 op_sel_hi:[0,1,0]
	v_or_b32_e32 v0, v59, v45
	v_fma_mixlo_f16 v6, v20, v32, 0 op_sel:[0,1,0] op_sel_hi:[0,1,0]
	v_fma_mixlo_f16 v14, v20, v29, 0 op_sel:[0,1,0] op_sel_hi:[0,1,0]
	v_fma_mixlo_f16 v29, v20, v0, 0 op_sel_hi:[0,1,0]
	v_or_b32_e32 v0, v4, v46
	buffer_store_dword v6, off, s[48:51], 0 offset:48 ; 4-byte Folded Spill
	v_fma_mixlo_f16 v6, v20, v11, 0 op_sel:[0,1,0] op_sel_hi:[0,1,0]
	v_fma_mixlo_f16 v46, v20, v0, 0 op_sel_hi:[0,1,0]
	v_or_b32_e32 v0, v55, v5
	buffer_store_dword v6, off, s[48:51], 0 offset:64 ; 4-byte Folded Spill
	v_fma_mixlo_f16 v6, v20, v0, 0 op_sel_hi:[0,1,0]
	v_or_b32_e32 v0, v56, v37
	v_fma_mixlo_f16 v10, v20, v0, 0 op_sel_hi:[0,1,0]
	v_or_b32_e32 v0, v51, v41
	v_fma_mixlo_f16 v11, v20, v56, 0 op_sel:[0,1,0] op_sel_hi:[0,1,0]
	v_fma_mixlo_f16 v56, v20, v0, 0 op_sel_hi:[0,1,0]
	v_or_b32_e32 v0, v52, v54
	v_fma_mixlo_f16 v22, v20, v12, 0 op_sel:[0,1,0] op_sel_hi:[0,1,0]
	v_fma_mixlo_f16 v12, v20, v4, 0 op_sel:[0,1,0] op_sel_hi:[0,1,0]
	v_fma_mixlo_f16 v4, v20, v0, 0 op_sel_hi:[0,1,0]
	v_or_b32_e32 v0, v47, v38
	v_fma_mixlo_f16 v54, v20, v52, 0 op_sel:[0,1,0] op_sel_hi:[0,1,0]
	v_fma_mixlo_f16 v52, v20, v0, 0 op_sel_hi:[0,1,0]
	v_or_b32_e32 v0, v48, v50
	v_fma_mixlo_f16 v3, v20, v0, 0 op_sel_hi:[0,1,0]
	buffer_load_dword v0, off, s[48:51], 0 offset:20 ; 4-byte Folded Reload
	v_fma_mixlo_f16 v50, v20, v48, 0 op_sel:[0,1,0] op_sel_hi:[0,1,0]
	v_fma_mixlo_f16 v41, v20, v44, 0 op_sel:[0,1,0] op_sel_hi:[0,1,0]
	;; [unrolled: 1-line block ×3, first 2 shown]
	v_fma_mixlo_f16 v60, v20, v1, 0 op_sel_hi:[0,1,0]
	v_fma_mixlo_f16 v17, v20, v31, 0 op_sel:[0,1,0] op_sel_hi:[0,1,0]
	v_fma_mixlo_f16 v16, v20, v24, 0 op_sel:[0,1,0] op_sel_hi:[0,1,0]
	;; [unrolled: 1-line block ×7, first 2 shown]
	v_and_b32_e32 v3, 0xffff, v3
	buffer_load_dword v1, off, s[48:51], 0  ; 4-byte Folded Reload
	s_waitcnt vmcnt(1)
	v_or_b32_e32 v0, v43, v0
	v_fma_mixlo_f16 v48, v20, v0, 0 op_sel_hi:[0,1,0]
	v_or_b32_e32 v0, v44, v42
	v_fma_mixlo_f16 v42, v20, v0, 0 op_sel_hi:[0,1,0]
	buffer_load_dword v0, off, s[48:51], 0 offset:12 ; 4-byte Folded Reload
	v_fma_mixlo_f16 v43, v20, v43, 0 op_sel:[0,1,0] op_sel_hi:[0,1,0]
	s_waitcnt vmcnt(0)
	v_or_b32_e32 v0, v39, v0
	v_fma_mixlo_f16 v44, v20, v0, 0 op_sel_hi:[0,1,0]
	buffer_load_dword v0, off, s[48:51], 0 offset:16 ; 4-byte Folded Reload
	v_fma_mixlo_f16 v39, v20, v39, 0 op_sel:[0,1,0] op_sel_hi:[0,1,0]
	s_waitcnt vmcnt(0)
	v_or_b32_e32 v0, v40, v0
	v_fma_mixlo_f16 v38, v20, v0, 0 op_sel_hi:[0,1,0]
	v_or_b32_e32 v0, v35, v33
	v_fma_mixlo_f16 v40, v20, v0, 0 op_sel_hi:[0,1,0]
	buffer_load_dword v0, off, s[48:51], 0 offset:8 ; 4-byte Folded Reload
	v_fma_mixlo_f16 v33, v20, v36, 0 op_sel:[0,1,0] op_sel_hi:[0,1,0]
	v_fma_mixlo_f16 v35, v20, v35, 0 op_sel:[0,1,0] op_sel_hi:[0,1,0]
	s_waitcnt vmcnt(0)
	v_or_b32_e32 v0, v36, v0
	v_fma_mixlo_f16 v34, v20, v0, 0 op_sel_hi:[0,1,0]
	v_or_b32_e32 v0, v31, v27
	v_fma_mixlo_f16 v32, v20, v0, 0 op_sel_hi:[0,1,0]
	buffer_load_dword v0, off, s[48:51], 0 offset:4 ; 4-byte Folded Reload
	v_fma_mixlo_f16 v31, v20, v30, 0 op_sel:[0,1,0] op_sel_hi:[0,1,0]
	v_fma_mixlo_f16 v27, v20, v1, 0 op_sel:[0,1,0] op_sel_hi:[0,1,0]
	v_and_b32_e32 v27, 0xffff, v27
	s_waitcnt vmcnt(0)
	v_or_b32_e32 v0, v30, v0
	v_fma_mixlo_f16 v36, v20, v0, 0 op_sel_hi:[0,1,0]
	v_or_b32_e32 v0, v1, v49
	buffer_load_dword v1, off, s[48:51], 0 offset:32 ; 4-byte Folded Reload
	v_fma_mixlo_f16 v30, v20, v0, 0 op_sel_hi:[0,1,0]
	s_waitcnt vmcnt(0)
	v_or_b32_e32 v0, v1, v53
	v_fma_mixlo_f16 v8, v20, v0, 0 op_sel_hi:[0,1,0]
	v_fma_mixlo_f16 v7, v20, v1, 0 op_sel:[0,1,0] op_sel_hi:[0,1,0]
	v_or_b32_e32 v0, v24, v19
	v_mov_b32_e32 v1, v28
	v_fma_mixlo_f16 v19, v20, v0, 0 op_sel_hi:[0,1,0]
	v_or_b32_e32 v0, v1, v63
	v_fma_mixlo_f16 v28, v20, v0, 0 op_sel_hi:[0,1,0]
	v_or_b32_e32 v0, v23, v21
	v_fma_mixlo_f16 v21, v20, v23, 0 op_sel:[0,1,0] op_sel_hi:[0,1,0]
	v_fma_mixlo_f16 v23, v20, v0, 0 op_sel_hi:[0,1,0]
	v_or_b32_e32 v0, v61, v9
	v_fma_mixlo_f16 v24, v20, v1, 0 op_sel:[0,1,0] op_sel_hi:[0,1,0]
	v_fma_mixlo_f16 v63, v20, v0, 0 op_sel_hi:[0,1,0]
	ds_read_b64 v[0:1], v15
	v_fma_mixlo_f16 v20, v20, v61, 0 op_sel:[0,1,0] op_sel_hi:[0,1,0]
	v_and_b32_e32 v8, 0xffff, v8
	v_and_b32_e32 v7, 0xffff, v7
	s_waitcnt lgkmcnt(0)
	v_lshrrev_b32_e32 v5, 16, v0
	v_and_b32_e32 v0, 0xffff, v0
	;;#ASMSTART
	v_cvt_f32_f16 v9, v0;
	;;#ASMEND
	v_and_b32_e32 v0, 0xffff, v19
	;;#ASMSTART
	v_cvt_f32_f16 v61, v5;
	;;#ASMEND
	;;#ASMSTART
	v_cvt_f32_f16 v19, v0;
	;;#ASMEND
	v_and_b32_e32 v0, 0xffff, v16
	;;#ASMSTART
	v_cvt_f32_f16 v16, v0;
	;;#ASMEND
	v_lshrrev_b32_e32 v0, 16, v1
	v_and_b32_e32 v1, 0xffff, v1
	;;#ASMSTART
	v_cvt_f32_f16 v5, v1;
	;;#ASMEND
	;;#ASMSTART
	v_cvt_f32_f16 v53, v0;
	;;#ASMEND
	v_and_b32_e32 v0, 0xffff, v28
	;;#ASMSTART
	v_cvt_f32_f16 v49, v0;
	;;#ASMEND
	v_and_b32_e32 v0, 0xffff, v24
	;;#ASMSTART
	v_cvt_f32_f16 v45, v0;
	;;#ASMEND
	ds_read_b64 v[0:1], v15 offset:8
	s_waitcnt lgkmcnt(0)
	v_lshrrev_b32_e32 v24, 16, v0
	v_and_b32_e32 v0, 0xffff, v0
	;;#ASMSTART
	v_cvt_f32_f16 v0, v0;
	;;#ASMEND
	;;#ASMSTART
	v_cvt_f32_f16 v28, v24;
	;;#ASMEND
	v_and_b32_e32 v24, 0xffff, v30
	;;#ASMSTART
	v_cvt_f32_f16 v24, v24;
	;;#ASMEND
	v_mul_f32_e32 v24, v0, v24
	v_and_b32_e32 v0, 0xffff, v1
	;;#ASMSTART
	v_cvt_f32_f16 v27, v27;
	;;#ASMEND
	v_fmac_f32_e32 v24, v9, v19
	v_lshrrev_b32_e32 v9, 16, v1
	;;#ASMSTART
	v_cvt_f32_f16 v0, v0;
	;;#ASMEND
	;;#ASMSTART
	v_cvt_f32_f16 v1, v9;
	;;#ASMEND
	;; [unrolled: 3-line block ×4, first 2 shown]
	v_mul_f32_e32 v27, v28, v27
	v_mul_f32_e32 v28, v0, v8
	;; [unrolled: 1-line block ×3, first 2 shown]
	ds_read_b64 v[7:8], v15 offset:16
	v_fmac_f32_e32 v27, v61, v16
	v_fmac_f32_e32 v28, v5, v49
	v_and_b32_e32 v5, 0xffff, v17
	v_fmac_f32_e32 v30, v53, v45
	s_waitcnt lgkmcnt(0)
	v_lshrrev_b32_e32 v1, 16, v7
	v_and_b32_e32 v0, 0xffff, v7
	;;#ASMSTART
	v_cvt_f32_f16 v0, v0;
	;;#ASMEND
	;;#ASMSTART
	v_cvt_f32_f16 v7, v1;
	;;#ASMEND
	v_and_b32_e32 v1, 0xffff, v32
	;;#ASMSTART
	v_cvt_f32_f16 v1, v1;
	;;#ASMEND
	v_fmac_f32_e32 v24, v0, v1
	v_lshrrev_b32_e32 v1, 16, v8
	v_and_b32_e32 v0, 0xffff, v8
	;;#ASMSTART
	v_cvt_f32_f16 v9, v5;
	;;#ASMEND
	v_fmac_f32_e32 v27, v7, v9
	;;#ASMSTART
	v_cvt_f32_f16 v0, v0;
	;;#ASMEND
	;;#ASMSTART
	v_cvt_f32_f16 v1, v1;
	;;#ASMEND
	v_and_b32_e32 v5, 0xffff, v36
	v_and_b32_e32 v7, 0xffff, v31
	;;#ASMSTART
	v_cvt_f32_f16 v5, v5;
	;;#ASMEND
	;;#ASMSTART
	v_cvt_f32_f16 v7, v7;
	;;#ASMEND
	v_fmac_f32_e32 v28, v0, v5
	v_fmac_f32_e32 v30, v1, v7
	ds_read_b64 v[0:1], v15 offset:24
	v_and_b32_e32 v7, 0xffff, v40
	v_and_b32_e32 v8, 0xffff, v35
	s_waitcnt lgkmcnt(0)
	v_lshrrev_b32_e32 v5, 16, v0
	v_and_b32_e32 v0, 0xffff, v0
	;;#ASMSTART
	v_cvt_f32_f16 v0, v0;
	;;#ASMEND
	;;#ASMSTART
	v_cvt_f32_f16 v5, v5;
	;;#ASMEND
	;;#ASMSTART
	v_cvt_f32_f16 v7, v7;
	;;#ASMEND
	;;#ASMSTART
	v_cvt_f32_f16 v8, v8;
	;;#ASMEND
	v_fmac_f32_e32 v24, v0, v7
	v_fmac_f32_e32 v27, v5, v8
	v_lshrrev_b32_e32 v5, 16, v1
	v_and_b32_e32 v0, 0xffff, v1
	;;#ASMSTART
	v_cvt_f32_f16 v0, v0;
	;;#ASMEND
	;;#ASMSTART
	v_cvt_f32_f16 v1, v5;
	;;#ASMEND
	v_and_b32_e32 v5, 0xffff, v34
	v_and_b32_e32 v7, 0xffff, v33
	;;#ASMSTART
	v_cvt_f32_f16 v5, v5;
	;;#ASMEND
	;;#ASMSTART
	v_cvt_f32_f16 v7, v7;
	;;#ASMEND
	v_fmac_f32_e32 v28, v0, v5
	v_fmac_f32_e32 v30, v1, v7
	ds_read_b64 v[0:1], v15 offset:32
	v_and_b32_e32 v7, 0xffff, v44
	v_and_b32_e32 v8, 0xffff, v39
	s_waitcnt lgkmcnt(0)
	v_lshrrev_b32_e32 v5, 16, v0
	v_and_b32_e32 v0, 0xffff, v0
	;;#ASMSTART
	v_cvt_f32_f16 v0, v0;
	;;#ASMEND
	;;#ASMSTART
	v_cvt_f32_f16 v5, v5;
	;;#ASMEND
	;;#ASMSTART
	v_cvt_f32_f16 v7, v7;
	;;#ASMEND
	;;#ASMSTART
	v_cvt_f32_f16 v8, v8;
	;;#ASMEND
	v_fmac_f32_e32 v24, v0, v7
	v_fmac_f32_e32 v27, v5, v8
	v_lshrrev_b32_e32 v5, 16, v1
	v_and_b32_e32 v0, 0xffff, v1
	;; [unrolled: 38-line block ×4, first 2 shown]
	;;#ASMSTART
	v_cvt_f32_f16 v0, v0;
	;;#ASMEND
	;;#ASMSTART
	v_cvt_f32_f16 v1, v5;
	;;#ASMEND
	v_and_b32_e32 v5, 0xffff, v50
	;;#ASMSTART
	v_cvt_f32_f16 v3, v3;
	;;#ASMEND
	;;#ASMSTART
	v_cvt_f32_f16 v5, v5;
	;;#ASMEND
	v_fmac_f32_e32 v28, v0, v3
	v_fmac_f32_e32 v30, v1, v5
	ds_read_b64 v[0:1], v15 offset:56
	v_and_b32_e32 v5, 0xffff, v56
	v_and_b32_e32 v7, 0xffff, v51
	s_waitcnt lgkmcnt(0)
	v_lshrrev_b32_e32 v3, 16, v0
	v_and_b32_e32 v0, 0xffff, v0
	;;#ASMSTART
	v_cvt_f32_f16 v0, v0;
	;;#ASMEND
	;;#ASMSTART
	v_cvt_f32_f16 v3, v3;
	;;#ASMEND
	;;#ASMSTART
	v_cvt_f32_f16 v5, v5;
	;;#ASMEND
	;;#ASMSTART
	v_cvt_f32_f16 v7, v7;
	;;#ASMEND
	v_fmac_f32_e32 v24, v0, v5
	v_fmac_f32_e32 v27, v3, v7
	v_lshrrev_b32_e32 v3, 16, v1
	v_and_b32_e32 v0, 0xffff, v1
	;;#ASMSTART
	v_cvt_f32_f16 v0, v0;
	;;#ASMEND
	;;#ASMSTART
	v_cvt_f32_f16 v1, v3;
	;;#ASMEND
	v_and_b32_e32 v3, 0xffff, v4
	v_and_b32_e32 v4, 0xffff, v54
	;;#ASMSTART
	v_cvt_f32_f16 v3, v3;
	;;#ASMEND
	;;#ASMSTART
	v_cvt_f32_f16 v4, v4;
	;;#ASMEND
	v_fmac_f32_e32 v28, v0, v3
	v_fmac_f32_e32 v30, v1, v4
	ds_read_b64 v[0:1], v15 offset:64
	v_and_b32_e32 v4, 0xffff, v6
	v_and_b32_e32 v5, 0xffff, v55
	s_waitcnt lgkmcnt(0)
	v_lshrrev_b32_e32 v3, 16, v0
	v_and_b32_e32 v0, 0xffff, v0
	;;#ASMSTART
	v_cvt_f32_f16 v0, v0;
	;;#ASMEND
	;;#ASMSTART
	v_cvt_f32_f16 v3, v3;
	;;#ASMEND
	;;#ASMSTART
	v_cvt_f32_f16 v4, v4;
	;;#ASMEND
	;;#ASMSTART
	v_cvt_f32_f16 v5, v5;
	;;#ASMEND
	v_fmac_f32_e32 v24, v0, v4
	v_fmac_f32_e32 v27, v3, v5
	v_lshrrev_b32_e32 v3, 16, v1
	v_and_b32_e32 v0, 0xffff, v1
	;;#ASMSTART
	v_cvt_f32_f16 v0, v0;
	;;#ASMEND
	;;#ASMSTART
	v_cvt_f32_f16 v1, v3;
	;;#ASMEND
	v_and_b32_e32 v3, 0xffff, v10
	;; [unrolled: 38-line block ×5, first 2 shown]
	v_and_b32_e32 v4, 0xffff, v62
	;;#ASMSTART
	v_cvt_f32_f16 v3, v3;
	;;#ASMEND
	;;#ASMSTART
	v_cvt_f32_f16 v4, v4;
	;;#ASMEND
	v_fmac_f32_e32 v28, v0, v3
	v_fmac_f32_e32 v30, v1, v4
	ds_read_b64 v[0:1], v15 offset:96
	s_waitcnt lgkmcnt(0)
	v_lshrrev_b32_e32 v3, 16, v0
	v_and_b32_e32 v0, 0xffff, v0
	;;#ASMSTART
	v_cvt_f32_f16 v0, v0;
	;;#ASMEND
	;;#ASMSTART
	v_cvt_f32_f16 v3, v3;
	;;#ASMEND
	buffer_load_dword v4, off, s[48:51], 0 offset:68 ; 4-byte Folded Reload
	s_waitcnt vmcnt(0)
	v_and_b32_e32 v4, 0xffff, v4
	;;#ASMSTART
	v_cvt_f32_f16 v4, v4;
	;;#ASMEND
	buffer_load_dword v5, off, s[48:51], 0 offset:64 ; 4-byte Folded Reload
	v_fmac_f32_e32 v24, v0, v4
	v_and_b32_e32 v0, 0xffff, v1
	s_waitcnt vmcnt(0)
	v_and_b32_e32 v5, 0xffff, v5
	;;#ASMSTART
	v_cvt_f32_f16 v5, v5;
	;;#ASMEND
	v_fmac_f32_e32 v27, v3, v5
	v_lshrrev_b32_e32 v3, 16, v1
	;;#ASMSTART
	v_cvt_f32_f16 v0, v0;
	;;#ASMEND
	;;#ASMSTART
	v_cvt_f32_f16 v1, v3;
	;;#ASMEND
	buffer_load_dword v3, off, s[48:51], 0 offset:60 ; 4-byte Folded Reload
	s_waitcnt vmcnt(0)
	v_and_b32_e32 v3, 0xffff, v3
	;;#ASMSTART
	v_cvt_f32_f16 v3, v3;
	;;#ASMEND
	buffer_load_dword v4, off, s[48:51], 0 offset:56 ; 4-byte Folded Reload
	v_fmac_f32_e32 v28, v0, v3
	s_waitcnt vmcnt(0)
	v_and_b32_e32 v4, 0xffff, v4
	;;#ASMSTART
	v_cvt_f32_f16 v4, v4;
	;;#ASMEND
	v_fmac_f32_e32 v30, v1, v4
	ds_read_b64 v[0:1], v15 offset:104
	s_waitcnt lgkmcnt(0)
	v_lshrrev_b32_e32 v3, 16, v0
	v_and_b32_e32 v0, 0xffff, v0
	;;#ASMSTART
	v_cvt_f32_f16 v0, v0;
	;;#ASMEND
	;;#ASMSTART
	v_cvt_f32_f16 v3, v3;
	;;#ASMEND
	buffer_load_dword v4, off, s[48:51], 0 offset:52 ; 4-byte Folded Reload
	s_waitcnt vmcnt(0)
	v_and_b32_e32 v4, 0xffff, v4
	;;#ASMSTART
	v_cvt_f32_f16 v4, v4;
	;;#ASMEND
	buffer_load_dword v5, off, s[48:51], 0 offset:48 ; 4-byte Folded Reload
	v_fmac_f32_e32 v24, v0, v4
	v_and_b32_e32 v0, 0xffff, v1
	s_waitcnt vmcnt(0)
	v_and_b32_e32 v5, 0xffff, v5
	;;#ASMSTART
	v_cvt_f32_f16 v5, v5;
	;;#ASMEND
	v_fmac_f32_e32 v27, v3, v5
	v_lshrrev_b32_e32 v3, 16, v1
	;;#ASMSTART
	v_cvt_f32_f16 v0, v0;
	;;#ASMEND
	;;#ASMSTART
	v_cvt_f32_f16 v1, v3;
	;;#ASMEND
	buffer_load_dword v3, off, s[48:51], 0 offset:44 ; 4-byte Folded Reload
	v_and_b32_e32 v5, 0xffff, v21
	s_waitcnt vmcnt(0)
	v_and_b32_e32 v3, 0xffff, v3
	;;#ASMSTART
	v_cvt_f32_f16 v3, v3;
	;;#ASMEND
	buffer_load_dword v4, off, s[48:51], 0 offset:40 ; 4-byte Folded Reload
	v_fmac_f32_e32 v28, v0, v3
	s_waitcnt vmcnt(0)
	v_and_b32_e32 v4, 0xffff, v4
	;;#ASMSTART
	v_cvt_f32_f16 v4, v4;
	;;#ASMEND
	v_fmac_f32_e32 v30, v1, v4
	ds_read_b64 v[0:1], v15 offset:112
	v_and_b32_e32 v4, 0xffff, v23
	s_waitcnt lgkmcnt(0)
	v_lshrrev_b32_e32 v3, 16, v0
	v_and_b32_e32 v0, 0xffff, v0
	;;#ASMSTART
	v_cvt_f32_f16 v0, v0;
	;;#ASMEND
	;;#ASMSTART
	v_cvt_f32_f16 v3, v3;
	;;#ASMEND
	;; [unrolled: 3-line block ×4, first 2 shown]
	v_fmac_f32_e32 v24, v0, v4
	v_fmac_f32_e32 v27, v3, v5
	v_lshrrev_b32_e32 v3, 16, v1
	v_and_b32_e32 v0, 0xffff, v1
	;;#ASMSTART
	v_cvt_f32_f16 v0, v0;
	;;#ASMEND
	;;#ASMSTART
	v_cvt_f32_f16 v1, v3;
	;;#ASMEND
	v_and_b32_e32 v3, 0xffff, v63
	v_and_b32_e32 v4, 0xffff, v20
	;;#ASMSTART
	v_cvt_f32_f16 v3, v3;
	;;#ASMEND
	;;#ASMSTART
	v_cvt_f32_f16 v4, v4;
	;;#ASMEND
	buffer_load_dword v5, off, s[48:51], 0 offset:72 ; 4-byte Folded Reload
	v_fmac_f32_e32 v30, v1, v4
	v_fmac_f32_e32 v28, v0, v3
	v_add_f32_e32 v0, v24, v27
	v_add_f32_e32 v0, v0, v28
	;; [unrolled: 1-line block ×3, first 2 shown]
	s_waitcnt vmcnt(0)
	v_and_b32_e32 v1, 64, v5
	v_xor_b32_e32 v4, 1, v5
	v_add_u32_e32 v3, 64, v1
	v_cmp_lt_i32_e64 s[4:5], v4, v3
	v_cndmask_b32_e64 v4, v5, v4, s[4:5]
	v_lshlrev_b32_e32 v4, 2, v4
	ds_bpermute_b32 v4, v4, v0
	s_mov_b64 s[34:35], exec
	buffer_load_dword v8, off, s[48:51], 0 offset:36 ; 4-byte Folded Reload
	s_and_b64 s[4:5], s[34:35], vcc
	s_mov_b64 exec, s[4:5]
	s_cbranch_execz .LBB269_8
; %bb.370:                              ;   in Loop: Header=BB269_9 Depth=1
	buffer_load_dword v7, off, s[48:51], 0 offset:24 ; 4-byte Folded Reload
	buffer_load_dword v6, off, s[48:51], 0 offset:76 ; 4-byte Folded Reload
	s_waitcnt lgkmcnt(0)
	v_add_f32_e32 v0, v0, v4
	s_waitcnt vmcnt(1)
	v_add_u32_e32 v5, s41, v7
	v_cmp_gt_i32_e64 s[4:5], s30, v7
	buffer_load_dword v7, off, s[48:51], 0 offset:28 ; 4-byte Folded Reload
	v_cvt_f32_i32_e32 v5, v5
	s_waitcnt vmcnt(1)
	v_max_f32_e32 v4, v6, v6
	v_mul_f32_e32 v5, s33, v5
	v_cndmask_b32_e64 v5, 0, v5, s[2:3]
	v_fmac_f32_e32 v5, s31, v0
	v_cndmask_b32_e64 v0, 0, v5, s[4:5]
	s_waitcnt vmcnt(0)
	ds_write_b32 v7, v0
	v_max_f32_e32 v0, v4, v5
	v_cndmask_b32_e64 v6, v6, v0, s[4:5]
	buffer_store_dword v6, off, s[48:51], 0 offset:76 ; 4-byte Folded Spill
	s_branch .LBB269_8
.LBB269_371:
	s_or_b64 exec, exec, s[18:19]
	buffer_load_dword v57, off, s[48:51], 0 offset:96 ; 4-byte Folded Reload
	buffer_load_dword v58, off, s[48:51], 0 offset:100 ; 4-byte Folded Reload
	;; [unrolled: 1-line block ×3, first 2 shown]
.LBB269_372:
	s_or_b64 exec, exec, s[6:7]
	buffer_load_dword v10, off, s[48:51], 0 offset:72 ; 4-byte Folded Reload
	s_waitcnt vmcnt(1) lgkmcnt(0)
	v_max_f32_e32 v4, v5, v5
	s_waitcnt vmcnt(0)
	v_xor_b32_e32 v0, 32, v10
	v_cmp_lt_i32_e32 vcc, v0, v3
	v_cndmask_b32_e32 v0, v10, v0, vcc
	v_lshlrev_b32_e32 v2, 2, v0
	ds_bpermute_b32 v0, v2, v5
	v_xor_b32_e32 v5, 16, v10
	v_cmp_lt_i32_e32 vcc, v5, v3
	v_xor_b32_e32 v6, 8, v10
	v_xor_b32_e32 v7, 4, v10
	s_waitcnt lgkmcnt(0)
	v_max_f32_e32 v0, v0, v0
	v_max_f32_e32 v0, v4, v0
	v_cndmask_b32_e32 v4, v10, v5, vcc
	v_lshlrev_b32_e32 v4, 2, v4
	ds_bpermute_b32 v5, v4, v0
	v_cmp_lt_i32_e32 vcc, v6, v3
	v_xor_b32_e32 v9, 2, v10
	s_waitcnt lgkmcnt(0)
	v_max_f32_e32 v5, v5, v5
	v_max_f32_e32 v0, v0, v5
	v_cndmask_b32_e32 v5, v10, v6, vcc
	v_lshlrev_b32_e32 v5, 2, v5
	ds_bpermute_b32 v6, v5, v0
	v_cmp_lt_i32_e32 vcc, v7, v3
	s_waitcnt lgkmcnt(0)
	v_max_f32_e32 v6, v6, v6
	v_max_f32_e32 v0, v0, v6
	v_cndmask_b32_e32 v6, v10, v7, vcc
	v_lshlrev_b32_e32 v6, 2, v6
	ds_bpermute_b32 v7, v6, v0
	v_cmp_lt_i32_e32 vcc, v9, v3
	s_waitcnt lgkmcnt(0)
	v_max_f32_e32 v7, v7, v7
	v_max_f32_e32 v8, v0, v7
	v_cndmask_b32_e32 v0, v10, v9, vcc
	v_lshlrev_b32_e32 v14, 2, v0
	ds_bpermute_b32 v9, v14, v8
	v_and_b32_e32 v0, 63, v57
	v_cmp_eq_u32_e32 vcc, 0, v0
	v_lshlrev_b32_e32 v7, 2, v58
	s_and_saveexec_b64 s[2:3], vcc
	s_cbranch_execz .LBB269_374
; %bb.373:
	s_waitcnt lgkmcnt(0)
	v_max_f32_e32 v9, v9, v9
	v_max_f32_e32 v8, v8, v8
	;; [unrolled: 1-line block ×3, first 2 shown]
	ds_write_b32 v7, v8 offset:240
.LBB269_374:
	s_or_b64 exec, exec, s[2:3]
	v_cmp_gt_u32_e64 s[2:3], 2, v0
	s_waitcnt lgkmcnt(0)
	v_mov_b32_e32 v9, 0xff7fffff
	v_lshlrev_b32_e32 v8, 2, v0
	s_barrier
	s_and_saveexec_b64 s[4:5], s[2:3]
; %bb.375:
	ds_read_b32 v9, v8 offset:240
; %bb.376:
	s_or_b64 exec, exec, s[4:5]
	buffer_load_dword v11, off, s[48:51], 0 offset:72 ; 4-byte Folded Reload
	v_lshlrev_b32_e32 v1, 2, v1
	s_waitcnt vmcnt(0)
	v_xor_b32_e32 v10, 1, v11
	v_cmp_lt_i32_e64 s[4:5], v10, v3
	v_cndmask_b32_e64 v3, v11, v10, s[4:5]
	v_lshlrev_b32_e32 v15, 2, v3
	s_waitcnt lgkmcnt(0)
	ds_bpermute_b32 v3, v15, v9
	v_max_f32_e32 v9, v9, v9
	s_lshl_b32 s4, s21, 5
	s_min_i32 s31, s4, s30
	v_cmp_gt_i32_e64 s[4:5], s31, v57
	s_waitcnt lgkmcnt(0)
	v_max_f32_e32 v3, v3, v3
	v_max_f32_e32 v3, v9, v3
	ds_bpermute_b32 v3, v1, v3
	v_mov_b32_e32 v1, 0
	s_and_saveexec_b64 s[12:13], s[4:5]
	s_cbranch_execz .LBB269_380
; %bb.377:
	v_mov_b32_e32 v1, 0x100
	v_lshl_add_u32 v9, v57, 2, v1
	v_mov_b32_e32 v1, 0
	s_mov_b64 s[18:19], 0
	v_mov_b32_e32 v10, v57
.LBB269_378:                            ; =>This Inner Loop Header: Depth=1
	ds_read_b32 v11, v9
	v_add_u32_e32 v10, 0x80, v10
	v_cmp_le_i32_e64 s[6:7], s31, v10
	s_or_b64 s[18:19], s[6:7], s[18:19]
	s_waitcnt lgkmcnt(0)
	v_sub_f32_e32 v11, v11, v3
	v_mul_f32_e32 v11, 0x3fb8aa3b, v11
	v_exp_f32_e32 v11, v11
	ds_write_b32 v9, v11
	v_add_f32_e32 v1, v1, v11
	v_add_u32_e32 v9, 0x200, v9
	s_andn2_b64 exec, exec, s[18:19]
	s_cbranch_execnz .LBB269_378
; %bb.379:
	s_or_b64 exec, exec, s[18:19]
.LBB269_380:
	s_or_b64 exec, exec, s[12:13]
	ds_bpermute_b32 v2, v2, v1
	s_waitcnt lgkmcnt(0)
	v_add_f32_e32 v1, v1, v2
	ds_bpermute_b32 v2, v4, v1
	s_waitcnt lgkmcnt(0)
	v_add_f32_e32 v1, v1, v2
	;; [unrolled: 3-line block ×6, first 2 shown]
	s_and_saveexec_b64 s[6:7], vcc
; %bb.381:
	ds_write_b32 v7, v1 offset:248
; %bb.382:
	s_or_b64 exec, exec, s[6:7]
	s_waitcnt lgkmcnt(0)
	s_barrier
	s_and_saveexec_b64 s[6:7], s[2:3]
; %bb.383:
	ds_read_b32 v1, v8 offset:248
; %bb.384:
	s_or_b64 exec, exec, s[6:7]
	buffer_load_dword v3, off, s[48:51], 0 offset:72 ; 4-byte Folded Reload
	s_waitcnt lgkmcnt(0)
	ds_bpermute_b32 v2, v15, v1
	s_waitcnt lgkmcnt(0)
	v_add_f32_e32 v1, v1, v2
	s_waitcnt vmcnt(0)
	v_lshlrev_b32_e32 v3, 2, v3
	v_and_b32_e32 v2, 0xffffff00, v3
	ds_bpermute_b32 v1, v2, v1
	s_and_saveexec_b64 s[2:3], s[4:5]
	s_cbranch_execz .LBB269_387
; %bb.385:
	s_waitcnt lgkmcnt(0)
	v_add_f32_e32 v2, 0x358637bd, v1
	v_div_scale_f32 v1, s[4:5], v2, v2, 1.0
	v_div_scale_f32 v3, vcc, 1.0, v2, 1.0
	s_mov_b64 s[4:5], 0
	v_rcp_f32_e32 v4, v1
	v_fma_f32 v5, -v1, v4, 1.0
	v_fmac_f32_e32 v4, v5, v4
	v_mul_f32_e32 v5, v3, v4
	v_fma_f32 v6, -v1, v5, v3
	v_fmac_f32_e32 v5, v6, v4
	v_fma_f32 v1, -v1, v5, v3
	v_div_fmas_f32 v3, v1, v4, v5
	v_mov_b32_e32 v1, 0x100
	v_lshl_add_u32 v1, v57, 2, v1
	v_div_fixup_f32 v2, v3, v2, 1.0
	v_mov_b32_e32 v3, v57
.LBB269_386:                            ; =>This Inner Loop Header: Depth=1
	ds_read_b32 v4, v1
	v_add_u32_e32 v3, 0x80, v3
	v_cmp_le_i32_e32 vcc, s31, v3
	s_or_b64 s[4:5], vcc, s[4:5]
	s_waitcnt lgkmcnt(0)
	v_mul_f32_e32 v4, v2, v4
	ds_write_b32 v1, v4
	v_add_u32_e32 v1, 0x200, v1
	s_andn2_b64 exec, exec, s[4:5]
	s_cbranch_execnz .LBB269_386
.LBB269_387:
	s_or_b64 exec, exec, s[2:3]
	v_lshrrev_b32_e32 v16, 2, v0
	s_waitcnt lgkmcnt(0)
	s_barrier
	s_and_saveexec_b64 s[2:3], s[0:1]
	s_xor_b64 s[0:1], exec, s[2:3]
; %bb.388:
	v_lshrrev_b32_e32 v16, 2, v0
                                        ; implicit-def: $vgpr0
                                        ; implicit-def: $vgpr58
                                        ; kill: killed $vgpr0
                                        ; implicit-def: $vgpr0
                                        ; kill: killed $vgpr0
; %bb.389:
	s_or_saveexec_b64 s[4:5], s[0:1]
	v_mov_b32_e32 v24, 0
	v_and_b32_e32 v17, 3, v57
	v_mov_b32_e32 v25, 0
	v_mov_b32_e32 v23, 0
	;; [unrolled: 1-line block ×7, first 2 shown]
	s_xor_b64 exec, exec, s[4:5]
	s_cbranch_execz .LBB269_795
; %bb.390:
	buffer_load_dword v0, off, s[48:51], 0 offset:92 ; 4-byte Folded Reload
	s_ashr_i32 s0, s16, 31
	s_add_u32 s2, s28, s16
	s_addc_u32 s3, s29, s0
	v_or_b32_e32 v1, 0x70, v16
	s_movk_i32 s0, 0x78
	v_cmp_gt_u32_e32 vcc, s0, v1
	s_add_i32 s28, s21, -1
	s_lshl_b64 s[0:1], s[26:27], 2
	s_add_u32 s0, s24, s0
	s_addc_u32 s1, s25, s1
	s_mov_b32 s6, -1
	v_mov_b32_e32 v6, s3
	s_mov_b32 s31, s17
	s_mov_b32 s7, 0xffffff
	v_mov_b32_e32 v2, 0
	s_mov_b64 s[12:13], 0
	v_mov_b32_e32 v5, s2
	s_movk_i32 s29, 0x80
	s_movk_i32 s33, 0x7f
	s_mov_b32 s34, 0x8000
	v_mov_b32_e32 v30, 0x2000
	v_mov_b32_e32 v19, 0
	;; [unrolled: 1-line block ×9, first 2 shown]
	s_waitcnt vmcnt(0)
	v_and_b32_e32 v0, 24, v0
	v_lshl_or_b32 v27, v1, 5, v0
	v_lshlrev_b32_e32 v1, 5, v58
	v_lshl_or_b32 v26, v16, 5, v0
	v_or3_b32 v28, v1, v0, 7
	v_lshlrev_b32_e32 v0, 5, v17
	v_lshl_or_b32 v0, v58, 7, v0
	v_add_u32_e32 v29, 0x100, v0
	buffer_load_dword v0, off, s[48:51], 0 offset:88 ; 4-byte Folded Reload
	v_mov_b32_e32 v1, s1
	s_waitcnt vmcnt(0)
	v_and_b32_e32 v0, 60, v0
	v_add_co_u32_e64 v3, s[0:1], s0, v0
	v_addc_co_u32_e64 v4, s[0:1], 0, v1, s[0:1]
	s_branch .LBB269_393
.LBB269_391:                            ;   in Loop: Header=BB269_393 Depth=1
	s_or_b64 exec, exec, s[2:3]
	;;#ASMSTART
	v_pk_mul_f16 v7, v37, v7;

	;;#ASMEND
	;;#ASMSTART
	v_pk_mul_f16 v1, v36, v1;

	;;#ASMEND
	;; [unrolled: 4-line block ×4, first 2 shown]
	;;#ASMSTART
	v_pk_add_f16 v1, v7, v1;

	;;#ASMEND
	;;#ASMSTART
	v_pk_add_f16 v1, v1, v8;

	;;#ASMEND
	;; [unrolled: 4-line block ×3, first 2 shown]
	v_lshrrev_b32_e32 v7, 16, v1
	v_and_b32_e32 v1, 0xffff, v1
	;;#ASMSTART
	v_cvt_f32_f16 v1, v1;
	;;#ASMEND
	;;#ASMSTART
	v_cvt_f32_f16 v7, v7;
	;;#ASMEND
	v_add_f32_e32 v1, v1, v7
	v_add_f32_e32 v19, v19, v1
.LBB269_392:                            ;   in Loop: Header=BB269_393 Depth=1
	s_or_b64 exec, exec, s[16:17]
	v_add_f32_e32 v0, v0, v11
	v_add_f32_e32 v20, v20, v0
	;; [unrolled: 1-line block ×7, first 2 shown]
	v_add_u32_e32 v58, 2, v58
	v_add_f32_e32 v23, v23, v0
	v_add_f32_e32 v0, v38, v39
	v_cmp_le_i32_e64 s[0:1], s21, v58
	v_add_f32_e32 v1, v9, v10
	v_add_f32_e32 v25, v25, v0
	;; [unrolled: 1-line block ×3, first 2 shown]
	s_or_b64 s[12:13], s[0:1], s[12:13]
	v_add_co_u32_e64 v3, s[0:1], 8, v3
	v_add_f32_e32 v18, v18, v1
	v_add_f32_e32 v24, v24, v0
	v_add_u32_e32 v28, 64, v28
	v_add_u32_e32 v29, 0x100, v29
	v_addc_co_u32_e64 v4, s[0:1], 0, v4, s[0:1]
	s_andn2_b64 exec, exec, s[12:13]
	s_cbranch_execz .LBB269_794
.LBB269_393:                            ; =>This Inner Loop Header: Depth=1
	global_load_dword v1, v[3:4], off
	ds_read2_b64 v[7:10], v29 offset1:1
	ds_read2_b64 v[34:37], v29 offset0:2 offset1:3
	s_waitcnt lgkmcnt(1)
	;;#ASMSTART
	v_cvt_f16_f32 v0, v7;

	;;#ASMEND
	;;#ASMSTART
	v_cvt_f16_f32 v13, v8;

	;;#ASMEND
	;; [unrolled: 4-line block ×4, first 2 shown]
	s_waitcnt lgkmcnt(0)
	;;#ASMSTART
	v_cvt_f16_f32 v34, v34;

	;;#ASMEND
	;;#ASMSTART
	v_cvt_f16_f32 v35, v35;

	;;#ASMEND
	;;#ASMSTART
	v_cvt_f16_f32 v38, v36;

	;;#ASMEND
	;;#ASMSTART
	v_cvt_f16_f32 v39, v37;

	;;#ASMEND
	v_mov_b32_e32 v37, 0
	s_waitcnt vmcnt(0)
	v_mad_i64_i32 v[7:8], s[0:1], v1, s31, v[5:6]
	v_add_co_u32_e64 v9, s[0:1], v7, v26
	v_addc_co_u32_e64 v10, s[0:1], 0, v8, s[0:1]
	global_load_dwordx2 v[11:12], v[9:10], off
	global_load_dword v36, v2, s[14:15]
	s_waitcnt vmcnt(1)
	v_cmp_ne_u16_sdwa s[0:1], v11, v2 src0_sel:BYTE_0 src1_sel:DWORD
	s_and_saveexec_b64 s[2:3], s[0:1]
	s_cbranch_execz .LBB269_399
; %bb.394:                              ;   in Loop: Header=BB269_393 Depth=1
	v_cmp_ne_u16_sdwa s[0:1], v11, s29 src0_sel:BYTE_0 src1_sel:DWORD
	v_mov_b32_e32 v37, 0x8000
	s_and_saveexec_b64 s[16:17], s[0:1]
	s_cbranch_execz .LBB269_398
; %bb.395:                              ;   in Loop: Header=BB269_393 Depth=1
	v_and_b32_e32 v1, 0x7f, v11
	v_cmp_ne_u32_e64 s[0:1], s33, v1
	v_mov_b32_e32 v37, 0x7c01
	s_and_saveexec_b64 s[18:19], s[0:1]
	s_cbranch_execz .LBB269_397
; %bb.396:                              ;   in Loop: Header=BB269_393 Depth=1
	v_and_b32_e32 v31, 7, v11
	v_ffbh_u32_e32 v40, v31
	v_min_u32_e32 v42, 32, v40
	v_subrev_u32_e32 v40, 28, v42
	v_lshlrev_b64 v[40:41], v40, v[11:12]
	v_lshrrev_b32_e32 v37, 3, v1
	v_sub_u32_e32 v41, 29, v42
	v_cmp_gt_u32_e64 s[0:1], 8, v1
	v_cndmask_b32_e64 v1, v37, v41, s[0:1]
	v_lshl_add_u32 v1, v1, 10, v30
	v_lshlrev_b32_e32 v37, 8, v11
	v_and_b32_e32 v40, 7, v40
	v_and_b32_e32 v1, 0xfc00, v1
	v_cndmask_b32_e64 v31, v31, v40, s[0:1]
	v_and_or_b32 v1, v37, s34, v1
	v_lshl_or_b32 v37, v31, 7, v1
.LBB269_397:                            ;   in Loop: Header=BB269_393 Depth=1
	s_or_b64 exec, exec, s[18:19]
.LBB269_398:                            ;   in Loop: Header=BB269_393 Depth=1
	s_or_b64 exec, exec, s[16:17]
.LBB269_399:                            ;   in Loop: Header=BB269_393 Depth=1
	s_or_b64 exec, exec, s[2:3]
	v_lshrrev_b16_e32 v1, 8, v11
	v_cmp_ne_u16_e64 s[0:1], 0, v1
	v_mov_b32_e32 v41, 0
	v_mov_b32_e32 v40, 0
	s_and_saveexec_b64 s[2:3], s[0:1]
	s_cbranch_execz .LBB269_405
; %bb.400:                              ;   in Loop: Header=BB269_393 Depth=1
	v_cmp_ne_u16_e64 s[0:1], s29, v1
	v_bfrev_b32_e32 v40, 1
	s_and_saveexec_b64 s[16:17], s[0:1]
	s_cbranch_execz .LBB269_404
; %bb.401:                              ;   in Loop: Header=BB269_393 Depth=1
	v_and_b32_e32 v31, 0x7f, v1
	v_cmp_ne_u32_e64 s[0:1], s33, v31
	v_mov_b32_e32 v40, 0x7c010000
	s_and_saveexec_b64 s[18:19], s[0:1]
	s_cbranch_execz .LBB269_403
; %bb.402:                              ;   in Loop: Header=BB269_393 Depth=1
	v_and_b32_e32 v40, 7, v1
	v_ffbh_u32_e32 v42, v40
	v_min_u32_e32 v45, 32, v42
	v_subrev_u32_e32 v42, 28, v45
	v_lshlrev_b64 v[42:43], v42, v[1:2]
	v_lshrrev_b32_e32 v44, 3, v31
	v_sub_u32_e32 v43, 29, v45
	v_cmp_gt_u32_e64 s[0:1], 8, v31
	v_cndmask_b32_e64 v31, v44, v43, s[0:1]
	v_lshlrev_b32_e32 v1, 8, v1
	v_lshl_add_u32 v31, v31, 10, v30
	v_and_b32_e32 v42, 7, v42
	v_and_or_b32 v1, v1, s34, v31
	v_cndmask_b32_e64 v40, v40, v42, s[0:1]
	v_lshlrev_b32_e32 v1, 16, v1
	v_lshl_or_b32 v40, v40, 23, v1
.LBB269_403:                            ;   in Loop: Header=BB269_393 Depth=1
	s_or_b64 exec, exec, s[18:19]
.LBB269_404:                            ;   in Loop: Header=BB269_393 Depth=1
	s_or_b64 exec, exec, s[16:17]
.LBB269_405:                            ;   in Loop: Header=BB269_393 Depth=1
	s_or_b64 exec, exec, s[2:3]
	v_lshrrev_b32_e32 v1, 16, v11
	v_cmp_ne_u16_sdwa s[0:1], v1, v2 src0_sel:BYTE_0 src1_sel:DWORD
	s_and_saveexec_b64 s[2:3], s[0:1]
	s_cbranch_execz .LBB269_411
; %bb.406:                              ;   in Loop: Header=BB269_393 Depth=1
	v_cmp_ne_u16_sdwa s[0:1], v1, s29 src0_sel:BYTE_0 src1_sel:DWORD
	v_mov_b32_e32 v41, 0x8000
	s_and_saveexec_b64 s[16:17], s[0:1]
	s_cbranch_execz .LBB269_410
; %bb.407:                              ;   in Loop: Header=BB269_393 Depth=1
	v_bfe_u32 v31, v11, 16, 7
	v_cmp_ne_u32_e64 s[0:1], s33, v31
	v_mov_b32_e32 v41, 0x7c01
	s_and_saveexec_b64 s[18:19], s[0:1]
	s_cbranch_execz .LBB269_409
; %bb.408:                              ;   in Loop: Header=BB269_393 Depth=1
	v_and_b32_e32 v43, 7, v1
	v_ffbh_u32_e32 v41, v43
	v_min_u32_e32 v45, 32, v41
	v_subrev_u32_e32 v41, 28, v45
	v_lshlrev_b64 v[41:42], v41, v[1:2]
	v_lshrrev_b32_e32 v44, 3, v31
	v_sub_u32_e32 v42, 29, v45
	v_cmp_gt_u32_e64 s[0:1], 8, v31
	v_cndmask_b32_e64 v31, v44, v42, s[0:1]
	v_lshl_add_u32 v31, v31, 10, v30
	v_lshlrev_b32_e32 v1, 8, v1
	v_and_b32_e32 v41, 7, v41
	v_and_b32_e32 v31, 0xfc00, v31
	v_cndmask_b32_e64 v41, v43, v41, s[0:1]
	v_and_or_b32 v1, v1, s34, v31
	v_lshl_or_b32 v41, v41, 7, v1
.LBB269_409:                            ;   in Loop: Header=BB269_393 Depth=1
	s_or_b64 exec, exec, s[18:19]
.LBB269_410:                            ;   in Loop: Header=BB269_393 Depth=1
	s_or_b64 exec, exec, s[16:17]
.LBB269_411:                            ;   in Loop: Header=BB269_393 Depth=1
	s_or_b64 exec, exec, s[2:3]
	v_cmp_lt_u32_e64 s[0:1], s7, v11
	v_mov_b32_e32 v42, 0
	v_mov_b32_e32 v43, 0
	s_and_saveexec_b64 s[2:3], s[0:1]
	s_cbranch_execz .LBB269_417
; %bb.412:                              ;   in Loop: Header=BB269_393 Depth=1
	v_lshrrev_b32_e32 v1, 24, v11
	v_cmp_ne_u32_e64 s[0:1], s29, v1
	v_bfrev_b32_e32 v43, 1
	s_and_saveexec_b64 s[16:17], s[0:1]
	s_cbranch_execz .LBB269_416
; %bb.413:                              ;   in Loop: Header=BB269_393 Depth=1
	v_and_b32_e32 v31, 0x7f, v1
	v_cmp_ne_u32_e64 s[0:1], s33, v31
	v_mov_b32_e32 v43, 0x7c010000
	s_and_saveexec_b64 s[18:19], s[0:1]
	s_cbranch_execz .LBB269_415
; %bb.414:                              ;   in Loop: Header=BB269_393 Depth=1
	v_and_b32_e32 v45, 7, v1
	v_ffbh_u32_e32 v43, v45
	v_min_u32_e32 v47, 32, v43
	v_subrev_u32_e32 v43, 28, v47
	v_lshlrev_b64 v[43:44], v43, v[1:2]
	v_lshrrev_b32_e32 v46, 3, v31
	v_sub_u32_e32 v44, 29, v47
	v_cmp_gt_u32_e64 s[0:1], 8, v31
	v_cndmask_b32_e64 v31, v46, v44, s[0:1]
	v_lshlrev_b32_e32 v1, 8, v1
	v_lshl_add_u32 v31, v31, 10, v30
	v_and_b32_e32 v43, 7, v43
	v_and_or_b32 v1, v1, s34, v31
	v_cndmask_b32_e64 v43, v45, v43, s[0:1]
	v_lshlrev_b32_e32 v1, 16, v1
	v_lshl_or_b32 v43, v43, 23, v1
.LBB269_415:                            ;   in Loop: Header=BB269_393 Depth=1
	s_or_b64 exec, exec, s[18:19]
.LBB269_416:                            ;   in Loop: Header=BB269_393 Depth=1
	s_or_b64 exec, exec, s[16:17]
.LBB269_417:                            ;   in Loop: Header=BB269_393 Depth=1
	s_or_b64 exec, exec, s[2:3]
	v_mov_b32_e32 v1, v12
	v_cmp_ne_u16_sdwa s[0:1], v12, v2 src0_sel:BYTE_0 src1_sel:DWORD
	s_and_saveexec_b64 s[2:3], s[0:1]
	s_cbranch_execz .LBB269_423
; %bb.418:                              ;   in Loop: Header=BB269_393 Depth=1
	v_cmp_ne_u16_sdwa s[0:1], v12, s29 src0_sel:BYTE_0 src1_sel:DWORD
	v_mov_b32_e32 v42, 0x8000
	s_and_saveexec_b64 s[16:17], s[0:1]
	s_cbranch_execz .LBB269_422
; %bb.419:                              ;   in Loop: Header=BB269_393 Depth=1
	v_and_b32_e32 v31, 0x7f, v12
	v_cmp_ne_u32_e64 s[0:1], s33, v31
	v_mov_b32_e32 v42, 0x7c01
	s_and_saveexec_b64 s[18:19], s[0:1]
	s_cbranch_execz .LBB269_421
; %bb.420:                              ;   in Loop: Header=BB269_393 Depth=1
	v_and_b32_e32 v42, 7, v12
	v_ffbh_u32_e32 v44, v42
	v_min_u32_e32 v47, 32, v44
	v_subrev_u32_e32 v44, 28, v47
	v_lshlrev_b64 v[44:45], v44, v[1:2]
	v_lshrrev_b32_e32 v46, 3, v31
	v_sub_u32_e32 v45, 29, v47
	v_cmp_gt_u32_e64 s[0:1], 8, v31
	v_cndmask_b32_e64 v31, v46, v45, s[0:1]
	v_lshl_add_u32 v31, v31, 10, v30
	v_lshlrev_b32_e32 v45, 8, v12
	v_and_b32_e32 v44, 7, v44
	v_and_b32_e32 v31, 0xfc00, v31
	v_cndmask_b32_e64 v42, v42, v44, s[0:1]
	v_and_or_b32 v31, v45, s34, v31
	v_lshl_or_b32 v42, v42, 7, v31
.LBB269_421:                            ;   in Loop: Header=BB269_393 Depth=1
	s_or_b64 exec, exec, s[18:19]
.LBB269_422:                            ;   in Loop: Header=BB269_393 Depth=1
	s_or_b64 exec, exec, s[16:17]
.LBB269_423:                            ;   in Loop: Header=BB269_393 Depth=1
	s_or_b64 exec, exec, s[2:3]
	v_lshrrev_b16_e32 v1, 8, v1
	v_cmp_ne_u16_e64 s[0:1], 0, v1
	v_mov_b32_e32 v44, 0
	v_mov_b32_e32 v45, 0
	s_and_saveexec_b64 s[2:3], s[0:1]
	s_cbranch_execz .LBB269_429
; %bb.424:                              ;   in Loop: Header=BB269_393 Depth=1
	v_cmp_ne_u16_e64 s[0:1], s29, v1
	v_bfrev_b32_e32 v45, 1
	s_and_saveexec_b64 s[16:17], s[0:1]
	s_cbranch_execz .LBB269_428
; %bb.425:                              ;   in Loop: Header=BB269_393 Depth=1
	v_and_b32_e32 v31, 0x7f, v1
	v_cmp_ne_u32_e64 s[0:1], s33, v31
	v_mov_b32_e32 v45, 0x7c010000
	s_and_saveexec_b64 s[18:19], s[0:1]
	s_cbranch_execz .LBB269_427
; %bb.426:                              ;   in Loop: Header=BB269_393 Depth=1
	v_and_b32_e32 v47, 7, v1
	v_ffbh_u32_e32 v45, v47
	v_min_u32_e32 v49, 32, v45
	v_subrev_u32_e32 v45, 28, v49
	v_lshlrev_b64 v[45:46], v45, v[1:2]
	v_lshrrev_b32_e32 v48, 3, v31
	v_sub_u32_e32 v46, 29, v49
	v_cmp_gt_u32_e64 s[0:1], 8, v31
	v_cndmask_b32_e64 v31, v48, v46, s[0:1]
	v_lshlrev_b32_e32 v1, 8, v1
	v_lshl_add_u32 v31, v31, 10, v30
	v_and_b32_e32 v45, 7, v45
	v_and_or_b32 v1, v1, s34, v31
	v_cndmask_b32_e64 v45, v47, v45, s[0:1]
	v_lshlrev_b32_e32 v1, 16, v1
	v_lshl_or_b32 v45, v45, 23, v1
.LBB269_427:                            ;   in Loop: Header=BB269_393 Depth=1
	s_or_b64 exec, exec, s[18:19]
.LBB269_428:                            ;   in Loop: Header=BB269_393 Depth=1
	s_or_b64 exec, exec, s[16:17]
.LBB269_429:                            ;   in Loop: Header=BB269_393 Depth=1
	s_or_b64 exec, exec, s[2:3]
	v_lshrrev_b32_e32 v1, 16, v12
	v_cmp_ne_u16_sdwa s[0:1], v1, v2 src0_sel:BYTE_0 src1_sel:DWORD
	s_and_saveexec_b64 s[2:3], s[0:1]
	s_cbranch_execz .LBB269_435
; %bb.430:                              ;   in Loop: Header=BB269_393 Depth=1
	v_cmp_ne_u16_sdwa s[0:1], v1, s29 src0_sel:BYTE_0 src1_sel:DWORD
	v_mov_b32_e32 v44, 0x8000
	s_and_saveexec_b64 s[16:17], s[0:1]
	s_cbranch_execz .LBB269_434
; %bb.431:                              ;   in Loop: Header=BB269_393 Depth=1
	v_bfe_u32 v31, v12, 16, 7
	v_cmp_ne_u32_e64 s[0:1], s33, v31
	v_mov_b32_e32 v44, 0x7c01
	s_and_saveexec_b64 s[18:19], s[0:1]
	s_cbranch_execz .LBB269_433
; %bb.432:                              ;   in Loop: Header=BB269_393 Depth=1
	v_and_b32_e32 v44, 7, v1
	v_ffbh_u32_e32 v46, v44
	v_min_u32_e32 v49, 32, v46
	v_subrev_u32_e32 v46, 28, v49
	v_lshlrev_b64 v[46:47], v46, v[1:2]
	v_lshrrev_b32_e32 v48, 3, v31
	v_sub_u32_e32 v47, 29, v49
	v_cmp_gt_u32_e64 s[0:1], 8, v31
	v_cndmask_b32_e64 v31, v48, v47, s[0:1]
	v_lshl_add_u32 v31, v31, 10, v30
	v_lshlrev_b32_e32 v1, 8, v1
	v_and_b32_e32 v46, 7, v46
	v_and_b32_e32 v31, 0xfc00, v31
	v_cndmask_b32_e64 v44, v44, v46, s[0:1]
	v_and_or_b32 v1, v1, s34, v31
	v_lshl_or_b32 v44, v44, 7, v1
.LBB269_433:                            ;   in Loop: Header=BB269_393 Depth=1
	s_or_b64 exec, exec, s[18:19]
.LBB269_434:                            ;   in Loop: Header=BB269_393 Depth=1
	s_or_b64 exec, exec, s[16:17]
.LBB269_435:                            ;   in Loop: Header=BB269_393 Depth=1
	s_or_b64 exec, exec, s[2:3]
	v_cmp_lt_u64_e64 s[0:1], s[6:7], v[11:12]
	v_mov_b32_e32 v46, 0
	s_and_saveexec_b64 s[2:3], s[0:1]
	s_cbranch_execz .LBB269_441
; %bb.436:                              ;   in Loop: Header=BB269_393 Depth=1
	v_lshrrev_b32_e32 v1, 24, v12
	v_cmp_ne_u32_e64 s[0:1], s29, v1
	v_bfrev_b32_e32 v46, 1
	s_and_saveexec_b64 s[16:17], s[0:1]
	s_cbranch_execz .LBB269_440
; %bb.437:                              ;   in Loop: Header=BB269_393 Depth=1
	v_and_b32_e32 v11, 0x7f, v1
	v_cmp_ne_u32_e64 s[0:1], s33, v11
	v_mov_b32_e32 v46, 0x7c010000
	s_and_saveexec_b64 s[18:19], s[0:1]
	s_cbranch_execz .LBB269_439
; %bb.438:                              ;   in Loop: Header=BB269_393 Depth=1
	v_and_b32_e32 v12, 7, v1
	v_ffbh_u32_e32 v46, v12
	v_min_u32_e32 v48, 32, v46
	v_subrev_u32_e32 v46, 28, v48
	v_lshlrev_b64 v[46:47], v46, v[1:2]
	v_lshrrev_b32_e32 v31, 3, v11
	v_sub_u32_e32 v47, 29, v48
	v_cmp_gt_u32_e64 s[0:1], 8, v11
	v_cndmask_b32_e64 v11, v31, v47, s[0:1]
	v_lshlrev_b32_e32 v1, 8, v1
	v_lshl_add_u32 v11, v11, 10, v30
	v_and_b32_e32 v31, 7, v46
	v_and_or_b32 v1, v1, s34, v11
	v_cndmask_b32_e64 v12, v12, v31, s[0:1]
	v_lshlrev_b32_e32 v1, 16, v1
	v_lshl_or_b32 v46, v12, 23, v1
.LBB269_439:                            ;   in Loop: Header=BB269_393 Depth=1
	s_or_b64 exec, exec, s[18:19]
.LBB269_440:                            ;   in Loop: Header=BB269_393 Depth=1
	s_or_b64 exec, exec, s[16:17]
.LBB269_441:                            ;   in Loop: Header=BB269_393 Depth=1
	s_or_b64 exec, exec, s[2:3]
	s_waitcnt vmcnt(0)
	v_fma_mixlo_f16 v11, v36, v43, 0 op_sel:[0,1,0] op_sel_hi:[0,1,0]
	v_or_b32_e32 v1, v43, v41
	v_lshlrev_b32_e32 v12, 16, v11
	v_or_b32_e32 v11, v40, v37
	v_fma_mixlo_f16 v37, v36, v40, 0 op_sel:[0,1,0] op_sel_hi:[0,1,0]
	v_or_b32_e32 v40, v45, v42
	v_or_b32_e32 v42, v46, v44
	v_fma_mixlo_f16 v1, v36, v1, 0 op_sel_hi:[0,1,0]
	v_lshlrev_b32_e32 v47, 16, v37
	v_fma_mixlo_f16 v11, v36, v11, 0 op_sel_hi:[0,1,0]
	v_fma_mixlo_f16 v37, v36, v45, 0 op_sel:[0,1,0] op_sel_hi:[0,1,0]
	v_fma_mixlo_f16 v40, v36, v40, 0 op_sel_hi:[0,1,0]
	v_fma_mixlo_f16 v42, v36, v42, 0 op_sel_hi:[0,1,0]
	v_fma_mixlo_f16 v36, v36, v46, 0 op_sel:[0,1,0] op_sel_hi:[0,1,0]
	v_and_b32_e32 v41, 0xffff, v1
	v_and_b32_e32 v48, 0xffff, v11
	v_lshlrev_b32_e32 v37, 16, v37
	v_and_b32_e32 v43, 0xffff, v40
	v_lshlrev_b32_e32 v36, 16, v36
	v_and_b32_e32 v42, 0xffff, v42
	v_add_u32_e32 v31, -7, v28
	v_cmp_eq_u32_e64 s[0:1], s28, v58
	v_or_b32_e32 v1, v12, v41
	v_or_b32_e32 v11, v47, v48
	;; [unrolled: 1-line block ×4, first 2 shown]
	s_and_saveexec_b64 s[16:17], s[0:1]
	s_cbranch_execz .LBB269_443
; %bb.442:                              ;   in Loop: Header=BB269_393 Depth=1
	v_cmp_gt_i32_e64 s[2:3], s30, v31
	v_add_u32_e32 v11, -6, v28
	v_cndmask_b32_e64 v1, 0, v48, s[2:3]
	v_cmp_gt_i32_e64 s[2:3], s30, v11
	v_cndmask_b32_e64 v11, 0, v47, s[2:3]
	v_or_b32_e32 v11, v11, v1
	v_add_u32_e32 v1, -5, v28
	v_cmp_gt_i32_e64 s[2:3], s30, v1
	v_add_u32_e32 v40, -4, v28
	v_cndmask_b32_e64 v1, 0, v41, s[2:3]
	v_cmp_gt_i32_e64 s[2:3], s30, v40
	v_cndmask_b32_e64 v12, 0, v12, s[2:3]
	v_or_b32_e32 v1, v12, v1
	v_add_u32_e32 v12, -3, v28
	;; [unrolled: 7-line block ×3, first 2 shown]
	v_cmp_gt_i32_e64 s[2:3], s30, v12
	v_cndmask_b32_e64 v12, 0, v42, s[2:3]
	v_cmp_gt_i32_e64 s[2:3], s30, v28
	v_cndmask_b32_e64 v36, 0, v36, s[2:3]
	v_or_b32_e32 v44, v36, v12
.LBB269_443:                            ;   in Loop: Header=BB269_393 Depth=1
	s_or_b64 exec, exec, s[16:17]
	v_and_b32_e32 v0, 0xffff, v0
	v_lshl_or_b32 v37, v13, 16, v0
	v_and_b32_e32 v0, 0xffff, v32
	v_lshl_or_b32 v36, v33, 16, v0
	;; [unrolled: 2-line block ×4, first 2 shown]
	;;#ASMSTART
	v_pk_mul_f16 v0, v37, v11;

	;;#ASMEND
	;;#ASMSTART
	v_pk_mul_f16 v1, v36, v1;

	;;#ASMEND
	;; [unrolled: 4-line block ×4, first 2 shown]
	;;#ASMSTART
	v_pk_add_f16 v0, v0, v1;

	;;#ASMEND
	;;#ASMSTART
	v_pk_add_f16 v0, v0, v11;

	;;#ASMEND
	;; [unrolled: 4-line block ×3, first 2 shown]
	v_lshrrev_b32_e32 v1, 16, v0
	v_and_b32_e32 v0, 0xffff, v0
	;;#ASMSTART
	v_cvt_f32_f16 v32, v0;
	;;#ASMEND
	;;#ASMSTART
	v_cvt_f32_f16 v33, v1;
	;;#ASMEND
	global_load_dwordx2 v[11:12], v[9:10], off offset:512
	v_mov_b32_e32 v13, 0
	global_load_dword v0, v13, s[14:15]
	v_mov_b32_e32 v38, 0
	s_waitcnt vmcnt(1)
	v_cmp_ne_u16_sdwa s[2:3], v11, v2 src0_sel:BYTE_0 src1_sel:DWORD
	s_and_saveexec_b64 s[16:17], s[2:3]
	s_cbranch_execz .LBB269_449
; %bb.444:                              ;   in Loop: Header=BB269_393 Depth=1
	v_cmp_ne_u16_sdwa s[2:3], v11, s29 src0_sel:BYTE_0 src1_sel:DWORD
	v_mov_b32_e32 v38, 0x8000
	s_and_saveexec_b64 s[18:19], s[2:3]
	s_cbranch_execz .LBB269_448
; %bb.445:                              ;   in Loop: Header=BB269_393 Depth=1
	v_and_b32_e32 v1, 0x7f, v11
	v_cmp_ne_u32_e64 s[2:3], s33, v1
	v_mov_b32_e32 v38, 0x7c01
	s_and_saveexec_b64 s[24:25], s[2:3]
	s_cbranch_execz .LBB269_447
; %bb.446:                              ;   in Loop: Header=BB269_393 Depth=1
	v_and_b32_e32 v40, 7, v11
	v_ffbh_u32_e32 v38, v40
	v_min_u32_e32 v42, 32, v38
	v_subrev_u32_e32 v38, 28, v42
	v_lshlrev_b64 v[38:39], v38, v[11:12]
	v_lshrrev_b32_e32 v41, 3, v1
	v_sub_u32_e32 v39, 29, v42
	v_cmp_gt_u32_e64 s[2:3], 8, v1
	v_cndmask_b32_e64 v1, v41, v39, s[2:3]
	v_lshl_add_u32 v1, v1, 10, v30
	v_lshlrev_b32_e32 v39, 8, v11
	v_and_b32_e32 v38, 7, v38
	v_and_b32_e32 v1, 0xfc00, v1
	v_cndmask_b32_e64 v38, v40, v38, s[2:3]
	v_and_or_b32 v1, v39, s34, v1
	v_lshl_or_b32 v38, v38, 7, v1
.LBB269_447:                            ;   in Loop: Header=BB269_393 Depth=1
	s_or_b64 exec, exec, s[24:25]
.LBB269_448:                            ;   in Loop: Header=BB269_393 Depth=1
	s_or_b64 exec, exec, s[18:19]
.LBB269_449:                            ;   in Loop: Header=BB269_393 Depth=1
	s_or_b64 exec, exec, s[16:17]
	v_lshrrev_b16_e32 v1, 8, v11
	v_cmp_ne_u16_e64 s[2:3], 0, v1
	s_and_saveexec_b64 s[16:17], s[2:3]
	s_cbranch_execz .LBB269_455
; %bb.450:                              ;   in Loop: Header=BB269_393 Depth=1
	v_cmp_ne_u16_e64 s[2:3], s29, v1
	v_bfrev_b32_e32 v13, 1
	s_and_saveexec_b64 s[18:19], s[2:3]
	s_cbranch_execz .LBB269_454
; %bb.451:                              ;   in Loop: Header=BB269_393 Depth=1
	v_and_b32_e32 v39, 0x7f, v1
	v_cmp_ne_u32_e64 s[2:3], s33, v39
	v_mov_b32_e32 v13, 0x7c010000
	s_and_saveexec_b64 s[24:25], s[2:3]
	s_cbranch_execz .LBB269_453
; %bb.452:                              ;   in Loop: Header=BB269_393 Depth=1
	v_and_b32_e32 v13, 7, v1
	v_ffbh_u32_e32 v40, v13
	v_min_u32_e32 v43, 32, v40
	v_subrev_u32_e32 v40, 28, v43
	v_lshlrev_b64 v[40:41], v40, v[1:2]
	v_lshrrev_b32_e32 v42, 3, v39
	v_sub_u32_e32 v41, 29, v43
	v_cmp_gt_u32_e64 s[2:3], 8, v39
	v_cndmask_b32_e64 v39, v42, v41, s[2:3]
	v_lshlrev_b32_e32 v1, 8, v1
	v_lshl_add_u32 v39, v39, 10, v30
	v_and_b32_e32 v40, 7, v40
	v_and_or_b32 v1, v1, s34, v39
	v_cndmask_b32_e64 v13, v13, v40, s[2:3]
	v_lshlrev_b32_e32 v1, 16, v1
	v_lshl_or_b32 v13, v13, 23, v1
.LBB269_453:                            ;   in Loop: Header=BB269_393 Depth=1
	s_or_b64 exec, exec, s[24:25]
.LBB269_454:                            ;   in Loop: Header=BB269_393 Depth=1
	s_or_b64 exec, exec, s[18:19]
.LBB269_455:                            ;   in Loop: Header=BB269_393 Depth=1
	s_or_b64 exec, exec, s[16:17]
	v_lshrrev_b32_e32 v1, 16, v11
	v_cmp_ne_u16_sdwa s[2:3], v1, v2 src0_sel:BYTE_0 src1_sel:DWORD
	v_mov_b32_e32 v39, 0
	v_mov_b32_e32 v40, 0
	s_and_saveexec_b64 s[16:17], s[2:3]
	s_cbranch_execz .LBB269_461
; %bb.456:                              ;   in Loop: Header=BB269_393 Depth=1
	v_cmp_ne_u16_sdwa s[2:3], v1, s29 src0_sel:BYTE_0 src1_sel:DWORD
	v_mov_b32_e32 v40, 0x8000
	s_and_saveexec_b64 s[18:19], s[2:3]
	s_cbranch_execz .LBB269_460
; %bb.457:                              ;   in Loop: Header=BB269_393 Depth=1
	v_bfe_u32 v41, v11, 16, 7
	v_cmp_ne_u32_e64 s[2:3], s33, v41
	v_mov_b32_e32 v40, 0x7c01
	s_and_saveexec_b64 s[24:25], s[2:3]
	s_cbranch_execz .LBB269_459
; %bb.458:                              ;   in Loop: Header=BB269_393 Depth=1
	v_and_b32_e32 v40, 7, v1
	v_ffbh_u32_e32 v42, v40
	v_min_u32_e32 v45, 32, v42
	v_subrev_u32_e32 v42, 28, v45
	v_lshlrev_b64 v[42:43], v42, v[1:2]
	v_lshrrev_b32_e32 v44, 3, v41
	v_sub_u32_e32 v43, 29, v45
	v_cmp_gt_u32_e64 s[2:3], 8, v41
	v_cndmask_b32_e64 v41, v44, v43, s[2:3]
	v_lshl_add_u32 v41, v41, 10, v30
	v_lshlrev_b32_e32 v1, 8, v1
	v_and_b32_e32 v42, 7, v42
	v_and_b32_e32 v41, 0xfc00, v41
	v_cndmask_b32_e64 v40, v40, v42, s[2:3]
	v_and_or_b32 v1, v1, s34, v41
	v_lshl_or_b32 v40, v40, 7, v1
.LBB269_459:                            ;   in Loop: Header=BB269_393 Depth=1
	s_or_b64 exec, exec, s[24:25]
.LBB269_460:                            ;   in Loop: Header=BB269_393 Depth=1
	s_or_b64 exec, exec, s[18:19]
.LBB269_461:                            ;   in Loop: Header=BB269_393 Depth=1
	s_or_b64 exec, exec, s[16:17]
	v_cmp_lt_u32_e64 s[2:3], s7, v11
	s_and_saveexec_b64 s[16:17], s[2:3]
	s_cbranch_execz .LBB269_467
; %bb.462:                              ;   in Loop: Header=BB269_393 Depth=1
	v_lshrrev_b32_e32 v1, 24, v11
	v_cmp_ne_u32_e64 s[2:3], s29, v1
	v_bfrev_b32_e32 v39, 1
	s_and_saveexec_b64 s[18:19], s[2:3]
	s_cbranch_execz .LBB269_466
; %bb.463:                              ;   in Loop: Header=BB269_393 Depth=1
	v_and_b32_e32 v41, 0x7f, v1
	v_cmp_ne_u32_e64 s[2:3], s33, v41
	v_mov_b32_e32 v39, 0x7c010000
	s_and_saveexec_b64 s[24:25], s[2:3]
	s_cbranch_execz .LBB269_465
; %bb.464:                              ;   in Loop: Header=BB269_393 Depth=1
	v_and_b32_e32 v39, 7, v1
	v_ffbh_u32_e32 v42, v39
	v_min_u32_e32 v45, 32, v42
	v_subrev_u32_e32 v42, 28, v45
	v_lshlrev_b64 v[42:43], v42, v[1:2]
	v_lshrrev_b32_e32 v44, 3, v41
	v_sub_u32_e32 v43, 29, v45
	v_cmp_gt_u32_e64 s[2:3], 8, v41
	v_cndmask_b32_e64 v41, v44, v43, s[2:3]
	v_lshlrev_b32_e32 v1, 8, v1
	v_lshl_add_u32 v41, v41, 10, v30
	v_and_b32_e32 v42, 7, v42
	v_and_or_b32 v1, v1, s34, v41
	v_cndmask_b32_e64 v39, v39, v42, s[2:3]
	v_lshlrev_b32_e32 v1, 16, v1
	v_lshl_or_b32 v39, v39, 23, v1
.LBB269_465:                            ;   in Loop: Header=BB269_393 Depth=1
	s_or_b64 exec, exec, s[24:25]
.LBB269_466:                            ;   in Loop: Header=BB269_393 Depth=1
	s_or_b64 exec, exec, s[18:19]
.LBB269_467:                            ;   in Loop: Header=BB269_393 Depth=1
	s_or_b64 exec, exec, s[16:17]
	v_mov_b32_e32 v1, v12
	v_cmp_ne_u16_sdwa s[2:3], v12, v2 src0_sel:BYTE_0 src1_sel:DWORD
	v_mov_b32_e32 v41, 0
	v_mov_b32_e32 v42, 0
	s_and_saveexec_b64 s[16:17], s[2:3]
	s_cbranch_execz .LBB269_473
; %bb.468:                              ;   in Loop: Header=BB269_393 Depth=1
	v_cmp_ne_u16_sdwa s[2:3], v12, s29 src0_sel:BYTE_0 src1_sel:DWORD
	v_mov_b32_e32 v42, 0x8000
	s_and_saveexec_b64 s[18:19], s[2:3]
	s_cbranch_execz .LBB269_472
; %bb.469:                              ;   in Loop: Header=BB269_393 Depth=1
	v_and_b32_e32 v43, 0x7f, v12
	v_cmp_ne_u32_e64 s[2:3], s33, v43
	v_mov_b32_e32 v42, 0x7c01
	s_and_saveexec_b64 s[24:25], s[2:3]
	s_cbranch_execz .LBB269_471
; %bb.470:                              ;   in Loop: Header=BB269_393 Depth=1
	v_and_b32_e32 v42, 7, v12
	v_ffbh_u32_e32 v44, v42
	v_min_u32_e32 v47, 32, v44
	v_subrev_u32_e32 v44, 28, v47
	v_lshlrev_b64 v[44:45], v44, v[1:2]
	v_lshrrev_b32_e32 v46, 3, v43
	v_sub_u32_e32 v45, 29, v47
	v_cmp_gt_u32_e64 s[2:3], 8, v43
	v_cndmask_b32_e64 v43, v46, v45, s[2:3]
	v_lshl_add_u32 v43, v43, 10, v30
	v_lshlrev_b32_e32 v45, 8, v12
	v_and_b32_e32 v44, 7, v44
	v_and_b32_e32 v43, 0xfc00, v43
	v_cndmask_b32_e64 v42, v42, v44, s[2:3]
	v_and_or_b32 v43, v45, s34, v43
	v_lshl_or_b32 v42, v42, 7, v43
.LBB269_471:                            ;   in Loop: Header=BB269_393 Depth=1
	s_or_b64 exec, exec, s[24:25]
.LBB269_472:                            ;   in Loop: Header=BB269_393 Depth=1
	s_or_b64 exec, exec, s[18:19]
.LBB269_473:                            ;   in Loop: Header=BB269_393 Depth=1
	s_or_b64 exec, exec, s[16:17]
	v_lshrrev_b16_e32 v1, 8, v1
	v_cmp_ne_u16_e64 s[2:3], 0, v1
	v_mov_b32_e32 v43, 0
	s_and_saveexec_b64 s[16:17], s[2:3]
	s_cbranch_execz .LBB269_479
; %bb.474:                              ;   in Loop: Header=BB269_393 Depth=1
	v_cmp_ne_u16_e64 s[2:3], s29, v1
	v_bfrev_b32_e32 v43, 1
	s_and_saveexec_b64 s[18:19], s[2:3]
	s_cbranch_execz .LBB269_478
; %bb.475:                              ;   in Loop: Header=BB269_393 Depth=1
	v_and_b32_e32 v44, 0x7f, v1
	v_cmp_ne_u32_e64 s[2:3], s33, v44
	v_mov_b32_e32 v43, 0x7c010000
	s_and_saveexec_b64 s[24:25], s[2:3]
	s_cbranch_execz .LBB269_477
; %bb.476:                              ;   in Loop: Header=BB269_393 Depth=1
	v_and_b32_e32 v43, 7, v1
	v_ffbh_u32_e32 v45, v43
	v_min_u32_e32 v48, 32, v45
	v_subrev_u32_e32 v45, 28, v48
	v_lshlrev_b64 v[45:46], v45, v[1:2]
	v_lshrrev_b32_e32 v47, 3, v44
	v_sub_u32_e32 v46, 29, v48
	v_cmp_gt_u32_e64 s[2:3], 8, v44
	v_cndmask_b32_e64 v44, v47, v46, s[2:3]
	v_lshlrev_b32_e32 v1, 8, v1
	v_lshl_add_u32 v44, v44, 10, v30
	v_and_b32_e32 v45, 7, v45
	v_and_or_b32 v1, v1, s34, v44
	v_cndmask_b32_e64 v43, v43, v45, s[2:3]
	v_lshlrev_b32_e32 v1, 16, v1
	v_lshl_or_b32 v43, v43, 23, v1
.LBB269_477:                            ;   in Loop: Header=BB269_393 Depth=1
	s_or_b64 exec, exec, s[24:25]
.LBB269_478:                            ;   in Loop: Header=BB269_393 Depth=1
	s_or_b64 exec, exec, s[18:19]
.LBB269_479:                            ;   in Loop: Header=BB269_393 Depth=1
	s_or_b64 exec, exec, s[16:17]
	v_lshrrev_b32_e32 v1, 16, v12
	v_cmp_ne_u16_sdwa s[2:3], v1, v2 src0_sel:BYTE_0 src1_sel:DWORD
	s_and_saveexec_b64 s[16:17], s[2:3]
	s_cbranch_execz .LBB269_485
; %bb.480:                              ;   in Loop: Header=BB269_393 Depth=1
	v_cmp_ne_u16_sdwa s[2:3], v1, s29 src0_sel:BYTE_0 src1_sel:DWORD
	v_mov_b32_e32 v41, 0x8000
	s_and_saveexec_b64 s[18:19], s[2:3]
	s_cbranch_execz .LBB269_484
; %bb.481:                              ;   in Loop: Header=BB269_393 Depth=1
	v_bfe_u32 v44, v12, 16, 7
	v_cmp_ne_u32_e64 s[2:3], s33, v44
	v_mov_b32_e32 v41, 0x7c01
	s_and_saveexec_b64 s[24:25], s[2:3]
	s_cbranch_execz .LBB269_483
; %bb.482:                              ;   in Loop: Header=BB269_393 Depth=1
	v_and_b32_e32 v41, 7, v1
	v_ffbh_u32_e32 v45, v41
	v_min_u32_e32 v48, 32, v45
	v_subrev_u32_e32 v45, 28, v48
	v_lshlrev_b64 v[45:46], v45, v[1:2]
	v_lshrrev_b32_e32 v47, 3, v44
	v_sub_u32_e32 v46, 29, v48
	v_cmp_gt_u32_e64 s[2:3], 8, v44
	v_cndmask_b32_e64 v44, v47, v46, s[2:3]
	v_lshl_add_u32 v44, v44, 10, v30
	v_lshlrev_b32_e32 v1, 8, v1
	v_and_b32_e32 v45, 7, v45
	v_and_b32_e32 v44, 0xfc00, v44
	v_cndmask_b32_e64 v41, v41, v45, s[2:3]
	v_and_or_b32 v1, v1, s34, v44
	v_lshl_or_b32 v41, v41, 7, v1
.LBB269_483:                            ;   in Loop: Header=BB269_393 Depth=1
	s_or_b64 exec, exec, s[24:25]
.LBB269_484:                            ;   in Loop: Header=BB269_393 Depth=1
	s_or_b64 exec, exec, s[18:19]
.LBB269_485:                            ;   in Loop: Header=BB269_393 Depth=1
	s_or_b64 exec, exec, s[16:17]
	v_cmp_lt_u64_e64 s[2:3], s[6:7], v[11:12]
	v_mov_b32_e32 v44, 0
	s_and_saveexec_b64 s[16:17], s[2:3]
	s_cbranch_execz .LBB269_491
; %bb.486:                              ;   in Loop: Header=BB269_393 Depth=1
	v_lshrrev_b32_e32 v1, 24, v12
	v_cmp_ne_u32_e64 s[2:3], s29, v1
	v_bfrev_b32_e32 v44, 1
	s_and_saveexec_b64 s[18:19], s[2:3]
	s_cbranch_execz .LBB269_490
; %bb.487:                              ;   in Loop: Header=BB269_393 Depth=1
	v_and_b32_e32 v11, 0x7f, v1
	v_cmp_ne_u32_e64 s[2:3], s33, v11
	v_mov_b32_e32 v44, 0x7c010000
	s_and_saveexec_b64 s[24:25], s[2:3]
	s_cbranch_execz .LBB269_489
; %bb.488:                              ;   in Loop: Header=BB269_393 Depth=1
	v_and_b32_e32 v12, 7, v1
	v_ffbh_u32_e32 v44, v12
	v_min_u32_e32 v47, 32, v44
	v_subrev_u32_e32 v44, 28, v47
	v_lshlrev_b64 v[44:45], v44, v[1:2]
	v_lshrrev_b32_e32 v46, 3, v11
	v_sub_u32_e32 v45, 29, v47
	v_cmp_gt_u32_e64 s[2:3], 8, v11
	v_cndmask_b32_e64 v11, v46, v45, s[2:3]
	v_lshlrev_b32_e32 v1, 8, v1
	v_lshl_add_u32 v11, v11, 10, v30
	v_and_b32_e32 v44, 7, v44
	v_and_or_b32 v1, v1, s34, v11
	v_cndmask_b32_e64 v12, v12, v44, s[2:3]
	v_lshlrev_b32_e32 v1, 16, v1
	v_lshl_or_b32 v44, v12, 23, v1
.LBB269_489:                            ;   in Loop: Header=BB269_393 Depth=1
	s_or_b64 exec, exec, s[24:25]
.LBB269_490:                            ;   in Loop: Header=BB269_393 Depth=1
	s_or_b64 exec, exec, s[18:19]
.LBB269_491:                            ;   in Loop: Header=BB269_393 Depth=1
	s_or_b64 exec, exec, s[16:17]
	s_waitcnt vmcnt(0)
	v_fma_mixlo_f16 v11, v0, v39, 0 op_sel:[0,1,0] op_sel_hi:[0,1,0]
	v_or_b32_e32 v1, v39, v40
	v_lshlrev_b32_e32 v12, 16, v11
	v_or_b32_e32 v11, v13, v38
	v_fma_mixlo_f16 v13, v0, v13, 0 op_sel:[0,1,0] op_sel_hi:[0,1,0]
	v_or_b32_e32 v38, v43, v42
	v_or_b32_e32 v40, v44, v41
	v_fma_mixlo_f16 v1, v0, v1, 0 op_sel_hi:[0,1,0]
	v_lshlrev_b32_e32 v45, 16, v13
	v_fma_mixlo_f16 v11, v0, v11, 0 op_sel_hi:[0,1,0]
	v_fma_mixlo_f16 v13, v0, v43, 0 op_sel:[0,1,0] op_sel_hi:[0,1,0]
	v_fma_mixlo_f16 v38, v0, v38, 0 op_sel_hi:[0,1,0]
	v_fma_mixlo_f16 v40, v0, v40, 0 op_sel_hi:[0,1,0]
	v_fma_mixlo_f16 v0, v0, v44, 0 op_sel:[0,1,0] op_sel_hi:[0,1,0]
	v_and_b32_e32 v39, 0xffff, v1
	v_and_b32_e32 v46, 0xffff, v11
	v_lshlrev_b32_e32 v13, 16, v13
	v_and_b32_e32 v42, 0xffff, v38
	v_lshlrev_b32_e32 v0, 16, v0
	v_and_b32_e32 v40, 0xffff, v40
	v_or_b32_e32 v1, v12, v39
	v_or_b32_e32 v11, v45, v46
	;; [unrolled: 1-line block ×4, first 2 shown]
	s_and_saveexec_b64 s[16:17], s[0:1]
	s_cbranch_execz .LBB269_493
; %bb.492:                              ;   in Loop: Header=BB269_393 Depth=1
	v_cmp_gt_i32_e64 s[2:3], s30, v31
	v_add_u32_e32 v11, -6, v28
	v_cndmask_b32_e64 v1, 0, v46, s[2:3]
	v_cmp_gt_i32_e64 s[2:3], s30, v11
	v_cndmask_b32_e64 v11, 0, v45, s[2:3]
	v_or_b32_e32 v11, v11, v1
	v_add_u32_e32 v1, -5, v28
	v_cmp_gt_i32_e64 s[2:3], s30, v1
	v_add_u32_e32 v38, -4, v28
	v_cndmask_b32_e64 v1, 0, v39, s[2:3]
	v_cmp_gt_i32_e64 s[2:3], s30, v38
	v_cndmask_b32_e64 v12, 0, v12, s[2:3]
	v_or_b32_e32 v1, v12, v1
	v_add_u32_e32 v12, -3, v28
	;; [unrolled: 7-line block ×3, first 2 shown]
	v_cmp_gt_i32_e64 s[2:3], s30, v12
	v_cndmask_b32_e64 v12, 0, v40, s[2:3]
	v_cmp_gt_i32_e64 s[2:3], s30, v28
	v_cndmask_b32_e64 v0, 0, v0, s[2:3]
	v_or_b32_e32 v41, v0, v12
.LBB269_493:                            ;   in Loop: Header=BB269_393 Depth=1
	s_or_b64 exec, exec, s[16:17]
	;;#ASMSTART
	v_pk_mul_f16 v0, v37, v11;

	;;#ASMEND
	;;#ASMSTART
	v_pk_mul_f16 v1, v36, v1;

	;;#ASMEND
	;;#ASMSTART
	v_pk_mul_f16 v11, v35, v38;

	;;#ASMEND
	;;#ASMSTART
	v_pk_mul_f16 v12, v34, v41;

	;;#ASMEND
	;;#ASMSTART
	v_pk_add_f16 v0, v0, v1;

	;;#ASMEND
	;;#ASMSTART
	v_pk_add_f16 v0, v0, v11;

	;;#ASMEND
	;; [unrolled: 4-line block ×3, first 2 shown]
	v_lshrrev_b32_e32 v1, 16, v0
	v_and_b32_e32 v0, 0xffff, v0
	;;#ASMSTART
	v_cvt_f32_f16 v38, v0;
	;;#ASMEND
	;;#ASMSTART
	v_cvt_f32_f16 v39, v1;
	;;#ASMEND
	global_load_dwordx2 v[11:12], v[9:10], off offset:1024
	v_mov_b32_e32 v13, 0
	global_load_dword v0, v13, s[14:15]
	v_mov_b32_e32 v40, 0
	s_waitcnt vmcnt(1)
	v_cmp_ne_u16_sdwa s[2:3], v11, v2 src0_sel:BYTE_0 src1_sel:DWORD
	s_and_saveexec_b64 s[16:17], s[2:3]
	s_cbranch_execz .LBB269_499
; %bb.494:                              ;   in Loop: Header=BB269_393 Depth=1
	v_cmp_ne_u16_sdwa s[2:3], v11, s29 src0_sel:BYTE_0 src1_sel:DWORD
	v_mov_b32_e32 v40, 0x8000
	s_and_saveexec_b64 s[18:19], s[2:3]
	s_cbranch_execz .LBB269_498
; %bb.495:                              ;   in Loop: Header=BB269_393 Depth=1
	v_and_b32_e32 v1, 0x7f, v11
	v_cmp_ne_u32_e64 s[2:3], s33, v1
	v_mov_b32_e32 v40, 0x7c01
	s_and_saveexec_b64 s[24:25], s[2:3]
	s_cbranch_execz .LBB269_497
; %bb.496:                              ;   in Loop: Header=BB269_393 Depth=1
	v_and_b32_e32 v42, 7, v11
	v_ffbh_u32_e32 v40, v42
	v_min_u32_e32 v44, 32, v40
	v_subrev_u32_e32 v40, 28, v44
	v_lshlrev_b64 v[40:41], v40, v[11:12]
	v_lshrrev_b32_e32 v43, 3, v1
	v_sub_u32_e32 v41, 29, v44
	v_cmp_gt_u32_e64 s[2:3], 8, v1
	v_cndmask_b32_e64 v1, v43, v41, s[2:3]
	v_lshl_add_u32 v1, v1, 10, v30
	v_lshlrev_b32_e32 v41, 8, v11
	v_and_b32_e32 v40, 7, v40
	v_and_b32_e32 v1, 0xfc00, v1
	v_cndmask_b32_e64 v40, v42, v40, s[2:3]
	v_and_or_b32 v1, v41, s34, v1
	v_lshl_or_b32 v40, v40, 7, v1
.LBB269_497:                            ;   in Loop: Header=BB269_393 Depth=1
	s_or_b64 exec, exec, s[24:25]
.LBB269_498:                            ;   in Loop: Header=BB269_393 Depth=1
	s_or_b64 exec, exec, s[18:19]
.LBB269_499:                            ;   in Loop: Header=BB269_393 Depth=1
	s_or_b64 exec, exec, s[16:17]
	v_lshrrev_b16_e32 v1, 8, v11
	v_cmp_ne_u16_e64 s[2:3], 0, v1
	s_and_saveexec_b64 s[16:17], s[2:3]
	s_cbranch_execz .LBB269_505
; %bb.500:                              ;   in Loop: Header=BB269_393 Depth=1
	v_cmp_ne_u16_e64 s[2:3], s29, v1
	v_bfrev_b32_e32 v13, 1
	s_and_saveexec_b64 s[18:19], s[2:3]
	s_cbranch_execz .LBB269_504
; %bb.501:                              ;   in Loop: Header=BB269_393 Depth=1
	v_and_b32_e32 v41, 0x7f, v1
	v_cmp_ne_u32_e64 s[2:3], s33, v41
	v_mov_b32_e32 v13, 0x7c010000
	s_and_saveexec_b64 s[24:25], s[2:3]
	s_cbranch_execz .LBB269_503
; %bb.502:                              ;   in Loop: Header=BB269_393 Depth=1
	v_and_b32_e32 v13, 7, v1
	v_ffbh_u32_e32 v42, v13
	v_min_u32_e32 v45, 32, v42
	v_subrev_u32_e32 v42, 28, v45
	v_lshlrev_b64 v[42:43], v42, v[1:2]
	v_lshrrev_b32_e32 v44, 3, v41
	v_sub_u32_e32 v43, 29, v45
	v_cmp_gt_u32_e64 s[2:3], 8, v41
	v_cndmask_b32_e64 v41, v44, v43, s[2:3]
	v_lshlrev_b32_e32 v1, 8, v1
	v_lshl_add_u32 v41, v41, 10, v30
	v_and_b32_e32 v42, 7, v42
	v_and_or_b32 v1, v1, s34, v41
	v_cndmask_b32_e64 v13, v13, v42, s[2:3]
	v_lshlrev_b32_e32 v1, 16, v1
	v_lshl_or_b32 v13, v13, 23, v1
.LBB269_503:                            ;   in Loop: Header=BB269_393 Depth=1
	s_or_b64 exec, exec, s[24:25]
.LBB269_504:                            ;   in Loop: Header=BB269_393 Depth=1
	s_or_b64 exec, exec, s[18:19]
.LBB269_505:                            ;   in Loop: Header=BB269_393 Depth=1
	s_or_b64 exec, exec, s[16:17]
	v_lshrrev_b32_e32 v1, 16, v11
	v_cmp_ne_u16_sdwa s[2:3], v1, v2 src0_sel:BYTE_0 src1_sel:DWORD
	v_mov_b32_e32 v41, 0
	v_mov_b32_e32 v42, 0
	s_and_saveexec_b64 s[16:17], s[2:3]
	s_cbranch_execz .LBB269_511
; %bb.506:                              ;   in Loop: Header=BB269_393 Depth=1
	v_cmp_ne_u16_sdwa s[2:3], v1, s29 src0_sel:BYTE_0 src1_sel:DWORD
	v_mov_b32_e32 v42, 0x8000
	s_and_saveexec_b64 s[18:19], s[2:3]
	s_cbranch_execz .LBB269_510
; %bb.507:                              ;   in Loop: Header=BB269_393 Depth=1
	v_bfe_u32 v43, v11, 16, 7
	v_cmp_ne_u32_e64 s[2:3], s33, v43
	v_mov_b32_e32 v42, 0x7c01
	s_and_saveexec_b64 s[24:25], s[2:3]
	s_cbranch_execz .LBB269_509
; %bb.508:                              ;   in Loop: Header=BB269_393 Depth=1
	v_and_b32_e32 v42, 7, v1
	v_ffbh_u32_e32 v44, v42
	v_min_u32_e32 v47, 32, v44
	v_subrev_u32_e32 v44, 28, v47
	v_lshlrev_b64 v[44:45], v44, v[1:2]
	v_lshrrev_b32_e32 v46, 3, v43
	v_sub_u32_e32 v45, 29, v47
	v_cmp_gt_u32_e64 s[2:3], 8, v43
	v_cndmask_b32_e64 v43, v46, v45, s[2:3]
	v_lshl_add_u32 v43, v43, 10, v30
	v_lshlrev_b32_e32 v1, 8, v1
	v_and_b32_e32 v44, 7, v44
	v_and_b32_e32 v43, 0xfc00, v43
	v_cndmask_b32_e64 v42, v42, v44, s[2:3]
	v_and_or_b32 v1, v1, s34, v43
	v_lshl_or_b32 v42, v42, 7, v1
.LBB269_509:                            ;   in Loop: Header=BB269_393 Depth=1
	s_or_b64 exec, exec, s[24:25]
.LBB269_510:                            ;   in Loop: Header=BB269_393 Depth=1
	s_or_b64 exec, exec, s[18:19]
.LBB269_511:                            ;   in Loop: Header=BB269_393 Depth=1
	s_or_b64 exec, exec, s[16:17]
	v_cmp_lt_u32_e64 s[2:3], s7, v11
	s_and_saveexec_b64 s[16:17], s[2:3]
	s_cbranch_execz .LBB269_517
; %bb.512:                              ;   in Loop: Header=BB269_393 Depth=1
	v_lshrrev_b32_e32 v1, 24, v11
	v_cmp_ne_u32_e64 s[2:3], s29, v1
	v_bfrev_b32_e32 v41, 1
	s_and_saveexec_b64 s[18:19], s[2:3]
	s_cbranch_execz .LBB269_516
; %bb.513:                              ;   in Loop: Header=BB269_393 Depth=1
	v_and_b32_e32 v43, 0x7f, v1
	v_cmp_ne_u32_e64 s[2:3], s33, v43
	v_mov_b32_e32 v41, 0x7c010000
	s_and_saveexec_b64 s[24:25], s[2:3]
	s_cbranch_execz .LBB269_515
; %bb.514:                              ;   in Loop: Header=BB269_393 Depth=1
	v_and_b32_e32 v41, 7, v1
	v_ffbh_u32_e32 v44, v41
	v_min_u32_e32 v47, 32, v44
	v_subrev_u32_e32 v44, 28, v47
	v_lshlrev_b64 v[44:45], v44, v[1:2]
	v_lshrrev_b32_e32 v46, 3, v43
	v_sub_u32_e32 v45, 29, v47
	v_cmp_gt_u32_e64 s[2:3], 8, v43
	v_cndmask_b32_e64 v43, v46, v45, s[2:3]
	v_lshlrev_b32_e32 v1, 8, v1
	v_lshl_add_u32 v43, v43, 10, v30
	v_and_b32_e32 v44, 7, v44
	v_and_or_b32 v1, v1, s34, v43
	v_cndmask_b32_e64 v41, v41, v44, s[2:3]
	v_lshlrev_b32_e32 v1, 16, v1
	v_lshl_or_b32 v41, v41, 23, v1
.LBB269_515:                            ;   in Loop: Header=BB269_393 Depth=1
	s_or_b64 exec, exec, s[24:25]
.LBB269_516:                            ;   in Loop: Header=BB269_393 Depth=1
	s_or_b64 exec, exec, s[18:19]
.LBB269_517:                            ;   in Loop: Header=BB269_393 Depth=1
	s_or_b64 exec, exec, s[16:17]
	v_mov_b32_e32 v1, v12
	v_cmp_ne_u16_sdwa s[2:3], v12, v2 src0_sel:BYTE_0 src1_sel:DWORD
	v_mov_b32_e32 v43, 0
	v_mov_b32_e32 v44, 0
	s_and_saveexec_b64 s[16:17], s[2:3]
	s_cbranch_execz .LBB269_523
; %bb.518:                              ;   in Loop: Header=BB269_393 Depth=1
	v_cmp_ne_u16_sdwa s[2:3], v12, s29 src0_sel:BYTE_0 src1_sel:DWORD
	v_mov_b32_e32 v44, 0x8000
	s_and_saveexec_b64 s[18:19], s[2:3]
	s_cbranch_execz .LBB269_522
; %bb.519:                              ;   in Loop: Header=BB269_393 Depth=1
	v_and_b32_e32 v45, 0x7f, v12
	v_cmp_ne_u32_e64 s[2:3], s33, v45
	v_mov_b32_e32 v44, 0x7c01
	s_and_saveexec_b64 s[24:25], s[2:3]
	s_cbranch_execz .LBB269_521
; %bb.520:                              ;   in Loop: Header=BB269_393 Depth=1
	v_and_b32_e32 v44, 7, v12
	v_ffbh_u32_e32 v46, v44
	v_min_u32_e32 v49, 32, v46
	v_subrev_u32_e32 v46, 28, v49
	v_lshlrev_b64 v[46:47], v46, v[1:2]
	v_lshrrev_b32_e32 v48, 3, v45
	v_sub_u32_e32 v47, 29, v49
	v_cmp_gt_u32_e64 s[2:3], 8, v45
	v_cndmask_b32_e64 v45, v48, v47, s[2:3]
	v_lshl_add_u32 v45, v45, 10, v30
	v_lshlrev_b32_e32 v47, 8, v12
	v_and_b32_e32 v46, 7, v46
	v_and_b32_e32 v45, 0xfc00, v45
	v_cndmask_b32_e64 v44, v44, v46, s[2:3]
	v_and_or_b32 v45, v47, s34, v45
	v_lshl_or_b32 v44, v44, 7, v45
.LBB269_521:                            ;   in Loop: Header=BB269_393 Depth=1
	s_or_b64 exec, exec, s[24:25]
.LBB269_522:                            ;   in Loop: Header=BB269_393 Depth=1
	s_or_b64 exec, exec, s[18:19]
.LBB269_523:                            ;   in Loop: Header=BB269_393 Depth=1
	s_or_b64 exec, exec, s[16:17]
	v_lshrrev_b16_e32 v1, 8, v1
	v_cmp_ne_u16_e64 s[2:3], 0, v1
	v_mov_b32_e32 v45, 0
	s_and_saveexec_b64 s[16:17], s[2:3]
	s_cbranch_execz .LBB269_529
; %bb.524:                              ;   in Loop: Header=BB269_393 Depth=1
	v_cmp_ne_u16_e64 s[2:3], s29, v1
	v_bfrev_b32_e32 v45, 1
	s_and_saveexec_b64 s[18:19], s[2:3]
	s_cbranch_execz .LBB269_528
; %bb.525:                              ;   in Loop: Header=BB269_393 Depth=1
	v_and_b32_e32 v46, 0x7f, v1
	v_cmp_ne_u32_e64 s[2:3], s33, v46
	v_mov_b32_e32 v45, 0x7c010000
	s_and_saveexec_b64 s[24:25], s[2:3]
	s_cbranch_execz .LBB269_527
; %bb.526:                              ;   in Loop: Header=BB269_393 Depth=1
	v_and_b32_e32 v45, 7, v1
	v_ffbh_u32_e32 v47, v45
	v_min_u32_e32 v50, 32, v47
	v_subrev_u32_e32 v47, 28, v50
	v_lshlrev_b64 v[47:48], v47, v[1:2]
	v_lshrrev_b32_e32 v49, 3, v46
	v_sub_u32_e32 v48, 29, v50
	v_cmp_gt_u32_e64 s[2:3], 8, v46
	v_cndmask_b32_e64 v46, v49, v48, s[2:3]
	v_lshlrev_b32_e32 v1, 8, v1
	v_lshl_add_u32 v46, v46, 10, v30
	v_and_b32_e32 v47, 7, v47
	v_and_or_b32 v1, v1, s34, v46
	v_cndmask_b32_e64 v45, v45, v47, s[2:3]
	v_lshlrev_b32_e32 v1, 16, v1
	v_lshl_or_b32 v45, v45, 23, v1
.LBB269_527:                            ;   in Loop: Header=BB269_393 Depth=1
	s_or_b64 exec, exec, s[24:25]
.LBB269_528:                            ;   in Loop: Header=BB269_393 Depth=1
	s_or_b64 exec, exec, s[18:19]
.LBB269_529:                            ;   in Loop: Header=BB269_393 Depth=1
	s_or_b64 exec, exec, s[16:17]
	v_lshrrev_b32_e32 v1, 16, v12
	v_cmp_ne_u16_sdwa s[2:3], v1, v2 src0_sel:BYTE_0 src1_sel:DWORD
	s_and_saveexec_b64 s[16:17], s[2:3]
	s_cbranch_execz .LBB269_535
; %bb.530:                              ;   in Loop: Header=BB269_393 Depth=1
	v_cmp_ne_u16_sdwa s[2:3], v1, s29 src0_sel:BYTE_0 src1_sel:DWORD
	v_mov_b32_e32 v43, 0x8000
	s_and_saveexec_b64 s[18:19], s[2:3]
	s_cbranch_execz .LBB269_534
; %bb.531:                              ;   in Loop: Header=BB269_393 Depth=1
	v_bfe_u32 v46, v12, 16, 7
	v_cmp_ne_u32_e64 s[2:3], s33, v46
	v_mov_b32_e32 v43, 0x7c01
	s_and_saveexec_b64 s[24:25], s[2:3]
	s_cbranch_execz .LBB269_533
; %bb.532:                              ;   in Loop: Header=BB269_393 Depth=1
	v_and_b32_e32 v43, 7, v1
	v_ffbh_u32_e32 v47, v43
	v_min_u32_e32 v50, 32, v47
	v_subrev_u32_e32 v47, 28, v50
	v_lshlrev_b64 v[47:48], v47, v[1:2]
	v_lshrrev_b32_e32 v49, 3, v46
	v_sub_u32_e32 v48, 29, v50
	v_cmp_gt_u32_e64 s[2:3], 8, v46
	v_cndmask_b32_e64 v46, v49, v48, s[2:3]
	v_lshl_add_u32 v46, v46, 10, v30
	v_lshlrev_b32_e32 v1, 8, v1
	v_and_b32_e32 v47, 7, v47
	v_and_b32_e32 v46, 0xfc00, v46
	v_cndmask_b32_e64 v43, v43, v47, s[2:3]
	v_and_or_b32 v1, v1, s34, v46
	v_lshl_or_b32 v43, v43, 7, v1
.LBB269_533:                            ;   in Loop: Header=BB269_393 Depth=1
	s_or_b64 exec, exec, s[24:25]
.LBB269_534:                            ;   in Loop: Header=BB269_393 Depth=1
	s_or_b64 exec, exec, s[18:19]
.LBB269_535:                            ;   in Loop: Header=BB269_393 Depth=1
	s_or_b64 exec, exec, s[16:17]
	v_cmp_lt_u64_e64 s[2:3], s[6:7], v[11:12]
	v_mov_b32_e32 v46, 0
	s_and_saveexec_b64 s[16:17], s[2:3]
	s_cbranch_execz .LBB269_541
; %bb.536:                              ;   in Loop: Header=BB269_393 Depth=1
	v_lshrrev_b32_e32 v1, 24, v12
	v_cmp_ne_u32_e64 s[2:3], s29, v1
	v_bfrev_b32_e32 v46, 1
	s_and_saveexec_b64 s[18:19], s[2:3]
	s_cbranch_execz .LBB269_540
; %bb.537:                              ;   in Loop: Header=BB269_393 Depth=1
	v_and_b32_e32 v11, 0x7f, v1
	v_cmp_ne_u32_e64 s[2:3], s33, v11
	v_mov_b32_e32 v46, 0x7c010000
	s_and_saveexec_b64 s[24:25], s[2:3]
	s_cbranch_execz .LBB269_539
; %bb.538:                              ;   in Loop: Header=BB269_393 Depth=1
	v_and_b32_e32 v12, 7, v1
	v_ffbh_u32_e32 v46, v12
	v_min_u32_e32 v49, 32, v46
	v_subrev_u32_e32 v46, 28, v49
	v_lshlrev_b64 v[46:47], v46, v[1:2]
	v_lshrrev_b32_e32 v48, 3, v11
	v_sub_u32_e32 v47, 29, v49
	v_cmp_gt_u32_e64 s[2:3], 8, v11
	v_cndmask_b32_e64 v11, v48, v47, s[2:3]
	v_lshlrev_b32_e32 v1, 8, v1
	v_lshl_add_u32 v11, v11, 10, v30
	v_and_b32_e32 v46, 7, v46
	v_and_or_b32 v1, v1, s34, v11
	v_cndmask_b32_e64 v12, v12, v46, s[2:3]
	v_lshlrev_b32_e32 v1, 16, v1
	v_lshl_or_b32 v46, v12, 23, v1
.LBB269_539:                            ;   in Loop: Header=BB269_393 Depth=1
	s_or_b64 exec, exec, s[24:25]
.LBB269_540:                            ;   in Loop: Header=BB269_393 Depth=1
	s_or_b64 exec, exec, s[18:19]
.LBB269_541:                            ;   in Loop: Header=BB269_393 Depth=1
	s_or_b64 exec, exec, s[16:17]
	s_waitcnt vmcnt(0)
	v_fma_mixlo_f16 v11, v0, v41, 0 op_sel:[0,1,0] op_sel_hi:[0,1,0]
	v_or_b32_e32 v1, v41, v42
	v_lshlrev_b32_e32 v12, 16, v11
	v_or_b32_e32 v11, v13, v40
	v_fma_mixlo_f16 v13, v0, v13, 0 op_sel:[0,1,0] op_sel_hi:[0,1,0]
	v_or_b32_e32 v40, v45, v44
	v_or_b32_e32 v42, v46, v43
	v_fma_mixlo_f16 v1, v0, v1, 0 op_sel_hi:[0,1,0]
	v_lshlrev_b32_e32 v47, 16, v13
	v_fma_mixlo_f16 v11, v0, v11, 0 op_sel_hi:[0,1,0]
	v_fma_mixlo_f16 v13, v0, v45, 0 op_sel:[0,1,0] op_sel_hi:[0,1,0]
	v_fma_mixlo_f16 v40, v0, v40, 0 op_sel_hi:[0,1,0]
	v_fma_mixlo_f16 v42, v0, v42, 0 op_sel_hi:[0,1,0]
	v_fma_mixlo_f16 v0, v0, v46, 0 op_sel:[0,1,0] op_sel_hi:[0,1,0]
	v_and_b32_e32 v41, 0xffff, v1
	v_and_b32_e32 v48, 0xffff, v11
	v_lshlrev_b32_e32 v13, 16, v13
	v_and_b32_e32 v44, 0xffff, v40
	v_lshlrev_b32_e32 v0, 16, v0
	v_and_b32_e32 v42, 0xffff, v42
	v_or_b32_e32 v1, v12, v41
	v_or_b32_e32 v11, v47, v48
	;; [unrolled: 1-line block ×4, first 2 shown]
	s_and_saveexec_b64 s[16:17], s[0:1]
	s_cbranch_execz .LBB269_543
; %bb.542:                              ;   in Loop: Header=BB269_393 Depth=1
	v_cmp_gt_i32_e64 s[2:3], s30, v31
	v_add_u32_e32 v11, -6, v28
	v_cndmask_b32_e64 v1, 0, v48, s[2:3]
	v_cmp_gt_i32_e64 s[2:3], s30, v11
	v_cndmask_b32_e64 v11, 0, v47, s[2:3]
	v_or_b32_e32 v11, v11, v1
	v_add_u32_e32 v1, -5, v28
	v_cmp_gt_i32_e64 s[2:3], s30, v1
	v_add_u32_e32 v40, -4, v28
	v_cndmask_b32_e64 v1, 0, v41, s[2:3]
	v_cmp_gt_i32_e64 s[2:3], s30, v40
	v_cndmask_b32_e64 v12, 0, v12, s[2:3]
	v_or_b32_e32 v1, v12, v1
	v_add_u32_e32 v12, -3, v28
	;; [unrolled: 7-line block ×3, first 2 shown]
	v_cmp_gt_i32_e64 s[2:3], s30, v12
	v_cndmask_b32_e64 v12, 0, v42, s[2:3]
	v_cmp_gt_i32_e64 s[2:3], s30, v28
	v_cndmask_b32_e64 v0, 0, v0, s[2:3]
	v_or_b32_e32 v43, v0, v12
.LBB269_543:                            ;   in Loop: Header=BB269_393 Depth=1
	s_or_b64 exec, exec, s[16:17]
	;;#ASMSTART
	v_pk_mul_f16 v0, v37, v11;

	;;#ASMEND
	;;#ASMSTART
	v_pk_mul_f16 v1, v36, v1;

	;;#ASMEND
	;; [unrolled: 4-line block ×4, first 2 shown]
	;;#ASMSTART
	v_pk_add_f16 v0, v0, v1;

	;;#ASMEND
	;;#ASMSTART
	v_pk_add_f16 v0, v0, v11;

	;;#ASMEND
	;; [unrolled: 4-line block ×3, first 2 shown]
	v_lshrrev_b32_e32 v1, 16, v0
	v_and_b32_e32 v0, 0xffff, v0
	;;#ASMSTART
	v_cvt_f32_f16 v40, v0;
	;;#ASMEND
	;;#ASMSTART
	v_cvt_f32_f16 v41, v1;
	;;#ASMEND
	global_load_dwordx2 v[11:12], v[9:10], off offset:1536
	v_mov_b32_e32 v13, 0
	global_load_dword v0, v13, s[14:15]
	v_mov_b32_e32 v42, 0
	s_waitcnt vmcnt(1)
	v_cmp_ne_u16_sdwa s[2:3], v11, v2 src0_sel:BYTE_0 src1_sel:DWORD
	s_and_saveexec_b64 s[16:17], s[2:3]
	s_cbranch_execz .LBB269_549
; %bb.544:                              ;   in Loop: Header=BB269_393 Depth=1
	v_cmp_ne_u16_sdwa s[2:3], v11, s29 src0_sel:BYTE_0 src1_sel:DWORD
	v_mov_b32_e32 v42, 0x8000
	s_and_saveexec_b64 s[18:19], s[2:3]
	s_cbranch_execz .LBB269_548
; %bb.545:                              ;   in Loop: Header=BB269_393 Depth=1
	v_and_b32_e32 v1, 0x7f, v11
	v_cmp_ne_u32_e64 s[2:3], s33, v1
	v_mov_b32_e32 v42, 0x7c01
	s_and_saveexec_b64 s[24:25], s[2:3]
	s_cbranch_execz .LBB269_547
; %bb.546:                              ;   in Loop: Header=BB269_393 Depth=1
	v_and_b32_e32 v44, 7, v11
	v_ffbh_u32_e32 v42, v44
	v_min_u32_e32 v46, 32, v42
	v_subrev_u32_e32 v42, 28, v46
	v_lshlrev_b64 v[42:43], v42, v[11:12]
	v_lshrrev_b32_e32 v45, 3, v1
	v_sub_u32_e32 v43, 29, v46
	v_cmp_gt_u32_e64 s[2:3], 8, v1
	v_cndmask_b32_e64 v1, v45, v43, s[2:3]
	v_lshl_add_u32 v1, v1, 10, v30
	v_lshlrev_b32_e32 v43, 8, v11
	v_and_b32_e32 v42, 7, v42
	v_and_b32_e32 v1, 0xfc00, v1
	v_cndmask_b32_e64 v42, v44, v42, s[2:3]
	v_and_or_b32 v1, v43, s34, v1
	v_lshl_or_b32 v42, v42, 7, v1
.LBB269_547:                            ;   in Loop: Header=BB269_393 Depth=1
	s_or_b64 exec, exec, s[24:25]
.LBB269_548:                            ;   in Loop: Header=BB269_393 Depth=1
	s_or_b64 exec, exec, s[18:19]
.LBB269_549:                            ;   in Loop: Header=BB269_393 Depth=1
	s_or_b64 exec, exec, s[16:17]
	v_lshrrev_b16_e32 v1, 8, v11
	v_cmp_ne_u16_e64 s[2:3], 0, v1
	s_and_saveexec_b64 s[16:17], s[2:3]
	s_cbranch_execz .LBB269_555
; %bb.550:                              ;   in Loop: Header=BB269_393 Depth=1
	v_cmp_ne_u16_e64 s[2:3], s29, v1
	v_bfrev_b32_e32 v13, 1
	s_and_saveexec_b64 s[18:19], s[2:3]
	s_cbranch_execz .LBB269_554
; %bb.551:                              ;   in Loop: Header=BB269_393 Depth=1
	v_and_b32_e32 v43, 0x7f, v1
	v_cmp_ne_u32_e64 s[2:3], s33, v43
	v_mov_b32_e32 v13, 0x7c010000
	s_and_saveexec_b64 s[24:25], s[2:3]
	s_cbranch_execz .LBB269_553
; %bb.552:                              ;   in Loop: Header=BB269_393 Depth=1
	v_and_b32_e32 v13, 7, v1
	v_ffbh_u32_e32 v44, v13
	v_min_u32_e32 v47, 32, v44
	v_subrev_u32_e32 v44, 28, v47
	v_lshlrev_b64 v[44:45], v44, v[1:2]
	v_lshrrev_b32_e32 v46, 3, v43
	v_sub_u32_e32 v45, 29, v47
	v_cmp_gt_u32_e64 s[2:3], 8, v43
	v_cndmask_b32_e64 v43, v46, v45, s[2:3]
	v_lshlrev_b32_e32 v1, 8, v1
	v_lshl_add_u32 v43, v43, 10, v30
	v_and_b32_e32 v44, 7, v44
	v_and_or_b32 v1, v1, s34, v43
	v_cndmask_b32_e64 v13, v13, v44, s[2:3]
	v_lshlrev_b32_e32 v1, 16, v1
	v_lshl_or_b32 v13, v13, 23, v1
.LBB269_553:                            ;   in Loop: Header=BB269_393 Depth=1
	s_or_b64 exec, exec, s[24:25]
.LBB269_554:                            ;   in Loop: Header=BB269_393 Depth=1
	s_or_b64 exec, exec, s[18:19]
.LBB269_555:                            ;   in Loop: Header=BB269_393 Depth=1
	s_or_b64 exec, exec, s[16:17]
	v_lshrrev_b32_e32 v1, 16, v11
	v_cmp_ne_u16_sdwa s[2:3], v1, v2 src0_sel:BYTE_0 src1_sel:DWORD
	v_mov_b32_e32 v43, 0
	v_mov_b32_e32 v44, 0
	s_and_saveexec_b64 s[16:17], s[2:3]
	s_cbranch_execz .LBB269_561
; %bb.556:                              ;   in Loop: Header=BB269_393 Depth=1
	v_cmp_ne_u16_sdwa s[2:3], v1, s29 src0_sel:BYTE_0 src1_sel:DWORD
	v_mov_b32_e32 v44, 0x8000
	s_and_saveexec_b64 s[18:19], s[2:3]
	s_cbranch_execz .LBB269_560
; %bb.557:                              ;   in Loop: Header=BB269_393 Depth=1
	v_bfe_u32 v45, v11, 16, 7
	v_cmp_ne_u32_e64 s[2:3], s33, v45
	v_mov_b32_e32 v44, 0x7c01
	s_and_saveexec_b64 s[24:25], s[2:3]
	s_cbranch_execz .LBB269_559
; %bb.558:                              ;   in Loop: Header=BB269_393 Depth=1
	v_and_b32_e32 v44, 7, v1
	v_ffbh_u32_e32 v46, v44
	v_min_u32_e32 v49, 32, v46
	v_subrev_u32_e32 v46, 28, v49
	v_lshlrev_b64 v[46:47], v46, v[1:2]
	v_lshrrev_b32_e32 v48, 3, v45
	v_sub_u32_e32 v47, 29, v49
	v_cmp_gt_u32_e64 s[2:3], 8, v45
	v_cndmask_b32_e64 v45, v48, v47, s[2:3]
	v_lshl_add_u32 v45, v45, 10, v30
	v_lshlrev_b32_e32 v1, 8, v1
	v_and_b32_e32 v46, 7, v46
	v_and_b32_e32 v45, 0xfc00, v45
	v_cndmask_b32_e64 v44, v44, v46, s[2:3]
	v_and_or_b32 v1, v1, s34, v45
	v_lshl_or_b32 v44, v44, 7, v1
.LBB269_559:                            ;   in Loop: Header=BB269_393 Depth=1
	s_or_b64 exec, exec, s[24:25]
.LBB269_560:                            ;   in Loop: Header=BB269_393 Depth=1
	s_or_b64 exec, exec, s[18:19]
.LBB269_561:                            ;   in Loop: Header=BB269_393 Depth=1
	s_or_b64 exec, exec, s[16:17]
	v_cmp_lt_u32_e64 s[2:3], s7, v11
	s_and_saveexec_b64 s[16:17], s[2:3]
	s_cbranch_execz .LBB269_567
; %bb.562:                              ;   in Loop: Header=BB269_393 Depth=1
	v_lshrrev_b32_e32 v1, 24, v11
	v_cmp_ne_u32_e64 s[2:3], s29, v1
	v_bfrev_b32_e32 v43, 1
	s_and_saveexec_b64 s[18:19], s[2:3]
	s_cbranch_execz .LBB269_566
; %bb.563:                              ;   in Loop: Header=BB269_393 Depth=1
	v_and_b32_e32 v45, 0x7f, v1
	v_cmp_ne_u32_e64 s[2:3], s33, v45
	v_mov_b32_e32 v43, 0x7c010000
	s_and_saveexec_b64 s[24:25], s[2:3]
	s_cbranch_execz .LBB269_565
; %bb.564:                              ;   in Loop: Header=BB269_393 Depth=1
	v_and_b32_e32 v43, 7, v1
	v_ffbh_u32_e32 v46, v43
	v_min_u32_e32 v49, 32, v46
	v_subrev_u32_e32 v46, 28, v49
	v_lshlrev_b64 v[46:47], v46, v[1:2]
	v_lshrrev_b32_e32 v48, 3, v45
	v_sub_u32_e32 v47, 29, v49
	v_cmp_gt_u32_e64 s[2:3], 8, v45
	v_cndmask_b32_e64 v45, v48, v47, s[2:3]
	v_lshlrev_b32_e32 v1, 8, v1
	v_lshl_add_u32 v45, v45, 10, v30
	v_and_b32_e32 v46, 7, v46
	v_and_or_b32 v1, v1, s34, v45
	v_cndmask_b32_e64 v43, v43, v46, s[2:3]
	v_lshlrev_b32_e32 v1, 16, v1
	v_lshl_or_b32 v43, v43, 23, v1
.LBB269_565:                            ;   in Loop: Header=BB269_393 Depth=1
	s_or_b64 exec, exec, s[24:25]
.LBB269_566:                            ;   in Loop: Header=BB269_393 Depth=1
	s_or_b64 exec, exec, s[18:19]
.LBB269_567:                            ;   in Loop: Header=BB269_393 Depth=1
	s_or_b64 exec, exec, s[16:17]
	v_mov_b32_e32 v1, v12
	v_cmp_ne_u16_sdwa s[2:3], v12, v2 src0_sel:BYTE_0 src1_sel:DWORD
	v_mov_b32_e32 v45, 0
	v_mov_b32_e32 v46, 0
	s_and_saveexec_b64 s[16:17], s[2:3]
	s_cbranch_execz .LBB269_573
; %bb.568:                              ;   in Loop: Header=BB269_393 Depth=1
	v_cmp_ne_u16_sdwa s[2:3], v12, s29 src0_sel:BYTE_0 src1_sel:DWORD
	v_mov_b32_e32 v46, 0x8000
	s_and_saveexec_b64 s[18:19], s[2:3]
	s_cbranch_execz .LBB269_572
; %bb.569:                              ;   in Loop: Header=BB269_393 Depth=1
	v_and_b32_e32 v47, 0x7f, v12
	v_cmp_ne_u32_e64 s[2:3], s33, v47
	v_mov_b32_e32 v46, 0x7c01
	s_and_saveexec_b64 s[24:25], s[2:3]
	s_cbranch_execz .LBB269_571
; %bb.570:                              ;   in Loop: Header=BB269_393 Depth=1
	v_and_b32_e32 v46, 7, v12
	v_ffbh_u32_e32 v48, v46
	v_min_u32_e32 v51, 32, v48
	v_subrev_u32_e32 v48, 28, v51
	v_lshlrev_b64 v[48:49], v48, v[1:2]
	v_lshrrev_b32_e32 v50, 3, v47
	v_sub_u32_e32 v49, 29, v51
	v_cmp_gt_u32_e64 s[2:3], 8, v47
	v_cndmask_b32_e64 v47, v50, v49, s[2:3]
	v_lshl_add_u32 v47, v47, 10, v30
	v_lshlrev_b32_e32 v49, 8, v12
	v_and_b32_e32 v48, 7, v48
	v_and_b32_e32 v47, 0xfc00, v47
	v_cndmask_b32_e64 v46, v46, v48, s[2:3]
	v_and_or_b32 v47, v49, s34, v47
	v_lshl_or_b32 v46, v46, 7, v47
.LBB269_571:                            ;   in Loop: Header=BB269_393 Depth=1
	s_or_b64 exec, exec, s[24:25]
.LBB269_572:                            ;   in Loop: Header=BB269_393 Depth=1
	s_or_b64 exec, exec, s[18:19]
.LBB269_573:                            ;   in Loop: Header=BB269_393 Depth=1
	s_or_b64 exec, exec, s[16:17]
	v_lshrrev_b16_e32 v1, 8, v1
	v_cmp_ne_u16_e64 s[2:3], 0, v1
	v_mov_b32_e32 v47, 0
	s_and_saveexec_b64 s[16:17], s[2:3]
	s_cbranch_execz .LBB269_579
; %bb.574:                              ;   in Loop: Header=BB269_393 Depth=1
	v_cmp_ne_u16_e64 s[2:3], s29, v1
	v_bfrev_b32_e32 v47, 1
	s_and_saveexec_b64 s[18:19], s[2:3]
	s_cbranch_execz .LBB269_578
; %bb.575:                              ;   in Loop: Header=BB269_393 Depth=1
	v_and_b32_e32 v48, 0x7f, v1
	v_cmp_ne_u32_e64 s[2:3], s33, v48
	v_mov_b32_e32 v47, 0x7c010000
	s_and_saveexec_b64 s[24:25], s[2:3]
	s_cbranch_execz .LBB269_577
; %bb.576:                              ;   in Loop: Header=BB269_393 Depth=1
	v_and_b32_e32 v47, 7, v1
	v_ffbh_u32_e32 v49, v47
	v_min_u32_e32 v52, 32, v49
	v_subrev_u32_e32 v49, 28, v52
	v_lshlrev_b64 v[49:50], v49, v[1:2]
	v_lshrrev_b32_e32 v51, 3, v48
	v_sub_u32_e32 v50, 29, v52
	v_cmp_gt_u32_e64 s[2:3], 8, v48
	v_cndmask_b32_e64 v48, v51, v50, s[2:3]
	v_lshlrev_b32_e32 v1, 8, v1
	v_lshl_add_u32 v48, v48, 10, v30
	v_and_b32_e32 v49, 7, v49
	v_and_or_b32 v1, v1, s34, v48
	v_cndmask_b32_e64 v47, v47, v49, s[2:3]
	v_lshlrev_b32_e32 v1, 16, v1
	v_lshl_or_b32 v47, v47, 23, v1
.LBB269_577:                            ;   in Loop: Header=BB269_393 Depth=1
	s_or_b64 exec, exec, s[24:25]
.LBB269_578:                            ;   in Loop: Header=BB269_393 Depth=1
	s_or_b64 exec, exec, s[18:19]
.LBB269_579:                            ;   in Loop: Header=BB269_393 Depth=1
	s_or_b64 exec, exec, s[16:17]
	v_lshrrev_b32_e32 v1, 16, v12
	v_cmp_ne_u16_sdwa s[2:3], v1, v2 src0_sel:BYTE_0 src1_sel:DWORD
	s_and_saveexec_b64 s[16:17], s[2:3]
	s_cbranch_execz .LBB269_585
; %bb.580:                              ;   in Loop: Header=BB269_393 Depth=1
	v_cmp_ne_u16_sdwa s[2:3], v1, s29 src0_sel:BYTE_0 src1_sel:DWORD
	v_mov_b32_e32 v45, 0x8000
	s_and_saveexec_b64 s[18:19], s[2:3]
	s_cbranch_execz .LBB269_584
; %bb.581:                              ;   in Loop: Header=BB269_393 Depth=1
	v_bfe_u32 v48, v12, 16, 7
	v_cmp_ne_u32_e64 s[2:3], s33, v48
	v_mov_b32_e32 v45, 0x7c01
	s_and_saveexec_b64 s[24:25], s[2:3]
	s_cbranch_execz .LBB269_583
; %bb.582:                              ;   in Loop: Header=BB269_393 Depth=1
	v_and_b32_e32 v45, 7, v1
	v_ffbh_u32_e32 v49, v45
	v_min_u32_e32 v52, 32, v49
	v_subrev_u32_e32 v49, 28, v52
	v_lshlrev_b64 v[49:50], v49, v[1:2]
	v_lshrrev_b32_e32 v51, 3, v48
	v_sub_u32_e32 v50, 29, v52
	v_cmp_gt_u32_e64 s[2:3], 8, v48
	v_cndmask_b32_e64 v48, v51, v50, s[2:3]
	v_lshl_add_u32 v48, v48, 10, v30
	v_lshlrev_b32_e32 v1, 8, v1
	v_and_b32_e32 v49, 7, v49
	v_and_b32_e32 v48, 0xfc00, v48
	v_cndmask_b32_e64 v45, v45, v49, s[2:3]
	v_and_or_b32 v1, v1, s34, v48
	v_lshl_or_b32 v45, v45, 7, v1
.LBB269_583:                            ;   in Loop: Header=BB269_393 Depth=1
	s_or_b64 exec, exec, s[24:25]
.LBB269_584:                            ;   in Loop: Header=BB269_393 Depth=1
	s_or_b64 exec, exec, s[18:19]
.LBB269_585:                            ;   in Loop: Header=BB269_393 Depth=1
	s_or_b64 exec, exec, s[16:17]
	v_cmp_lt_u64_e64 s[2:3], s[6:7], v[11:12]
	v_mov_b32_e32 v48, 0
	s_and_saveexec_b64 s[16:17], s[2:3]
	s_cbranch_execz .LBB269_591
; %bb.586:                              ;   in Loop: Header=BB269_393 Depth=1
	v_lshrrev_b32_e32 v1, 24, v12
	v_cmp_ne_u32_e64 s[2:3], s29, v1
	v_bfrev_b32_e32 v48, 1
	s_and_saveexec_b64 s[18:19], s[2:3]
	s_cbranch_execz .LBB269_590
; %bb.587:                              ;   in Loop: Header=BB269_393 Depth=1
	v_and_b32_e32 v11, 0x7f, v1
	v_cmp_ne_u32_e64 s[2:3], s33, v11
	v_mov_b32_e32 v48, 0x7c010000
	s_and_saveexec_b64 s[24:25], s[2:3]
	s_cbranch_execz .LBB269_589
; %bb.588:                              ;   in Loop: Header=BB269_393 Depth=1
	v_and_b32_e32 v12, 7, v1
	v_ffbh_u32_e32 v48, v12
	v_min_u32_e32 v51, 32, v48
	v_subrev_u32_e32 v48, 28, v51
	v_lshlrev_b64 v[48:49], v48, v[1:2]
	v_lshrrev_b32_e32 v50, 3, v11
	v_sub_u32_e32 v49, 29, v51
	v_cmp_gt_u32_e64 s[2:3], 8, v11
	v_cndmask_b32_e64 v11, v50, v49, s[2:3]
	v_lshlrev_b32_e32 v1, 8, v1
	v_lshl_add_u32 v11, v11, 10, v30
	v_and_b32_e32 v48, 7, v48
	v_and_or_b32 v1, v1, s34, v11
	v_cndmask_b32_e64 v12, v12, v48, s[2:3]
	v_lshlrev_b32_e32 v1, 16, v1
	v_lshl_or_b32 v48, v12, 23, v1
.LBB269_589:                            ;   in Loop: Header=BB269_393 Depth=1
	s_or_b64 exec, exec, s[24:25]
.LBB269_590:                            ;   in Loop: Header=BB269_393 Depth=1
	s_or_b64 exec, exec, s[18:19]
.LBB269_591:                            ;   in Loop: Header=BB269_393 Depth=1
	s_or_b64 exec, exec, s[16:17]
	s_waitcnt vmcnt(0)
	v_fma_mixlo_f16 v11, v0, v43, 0 op_sel:[0,1,0] op_sel_hi:[0,1,0]
	v_or_b32_e32 v1, v43, v44
	v_lshlrev_b32_e32 v12, 16, v11
	v_or_b32_e32 v11, v13, v42
	v_fma_mixlo_f16 v13, v0, v13, 0 op_sel:[0,1,0] op_sel_hi:[0,1,0]
	v_or_b32_e32 v42, v47, v46
	v_or_b32_e32 v44, v48, v45
	v_fma_mixlo_f16 v1, v0, v1, 0 op_sel_hi:[0,1,0]
	v_lshlrev_b32_e32 v49, 16, v13
	v_fma_mixlo_f16 v11, v0, v11, 0 op_sel_hi:[0,1,0]
	v_fma_mixlo_f16 v13, v0, v47, 0 op_sel:[0,1,0] op_sel_hi:[0,1,0]
	v_fma_mixlo_f16 v42, v0, v42, 0 op_sel_hi:[0,1,0]
	v_fma_mixlo_f16 v44, v0, v44, 0 op_sel_hi:[0,1,0]
	v_fma_mixlo_f16 v0, v0, v48, 0 op_sel:[0,1,0] op_sel_hi:[0,1,0]
	v_and_b32_e32 v43, 0xffff, v1
	v_and_b32_e32 v50, 0xffff, v11
	v_lshlrev_b32_e32 v13, 16, v13
	v_and_b32_e32 v46, 0xffff, v42
	v_lshlrev_b32_e32 v0, 16, v0
	v_and_b32_e32 v44, 0xffff, v44
	v_or_b32_e32 v1, v12, v43
	v_or_b32_e32 v11, v49, v50
	;; [unrolled: 1-line block ×4, first 2 shown]
	s_and_saveexec_b64 s[16:17], s[0:1]
	s_cbranch_execz .LBB269_593
; %bb.592:                              ;   in Loop: Header=BB269_393 Depth=1
	v_cmp_gt_i32_e64 s[2:3], s30, v31
	v_add_u32_e32 v11, -6, v28
	v_cndmask_b32_e64 v1, 0, v50, s[2:3]
	v_cmp_gt_i32_e64 s[2:3], s30, v11
	v_cndmask_b32_e64 v11, 0, v49, s[2:3]
	v_or_b32_e32 v11, v11, v1
	v_add_u32_e32 v1, -5, v28
	v_cmp_gt_i32_e64 s[2:3], s30, v1
	v_add_u32_e32 v42, -4, v28
	v_cndmask_b32_e64 v1, 0, v43, s[2:3]
	v_cmp_gt_i32_e64 s[2:3], s30, v42
	v_cndmask_b32_e64 v12, 0, v12, s[2:3]
	v_or_b32_e32 v1, v12, v1
	v_add_u32_e32 v12, -3, v28
	;; [unrolled: 7-line block ×3, first 2 shown]
	v_cmp_gt_i32_e64 s[2:3], s30, v12
	v_cndmask_b32_e64 v12, 0, v44, s[2:3]
	v_cmp_gt_i32_e64 s[2:3], s30, v28
	v_cndmask_b32_e64 v0, 0, v0, s[2:3]
	v_or_b32_e32 v45, v0, v12
.LBB269_593:                            ;   in Loop: Header=BB269_393 Depth=1
	s_or_b64 exec, exec, s[16:17]
	;;#ASMSTART
	v_pk_mul_f16 v0, v37, v11;

	;;#ASMEND
	;;#ASMSTART
	v_pk_mul_f16 v1, v36, v1;

	;;#ASMEND
	;; [unrolled: 4-line block ×4, first 2 shown]
	;;#ASMSTART
	v_pk_add_f16 v0, v0, v1;

	;;#ASMEND
	;;#ASMSTART
	v_pk_add_f16 v0, v0, v11;

	;;#ASMEND
	;; [unrolled: 4-line block ×3, first 2 shown]
	v_lshrrev_b32_e32 v1, 16, v0
	v_and_b32_e32 v0, 0xffff, v0
	;;#ASMSTART
	v_cvt_f32_f16 v42, v0;
	;;#ASMEND
	;;#ASMSTART
	v_cvt_f32_f16 v43, v1;
	;;#ASMEND
	global_load_dwordx2 v[11:12], v[9:10], off offset:2048
	v_mov_b32_e32 v13, 0
	global_load_dword v0, v13, s[14:15]
	v_mov_b32_e32 v44, 0
	s_waitcnt vmcnt(1)
	v_cmp_ne_u16_sdwa s[2:3], v11, v2 src0_sel:BYTE_0 src1_sel:DWORD
	s_and_saveexec_b64 s[16:17], s[2:3]
	s_cbranch_execz .LBB269_599
; %bb.594:                              ;   in Loop: Header=BB269_393 Depth=1
	v_cmp_ne_u16_sdwa s[2:3], v11, s29 src0_sel:BYTE_0 src1_sel:DWORD
	v_mov_b32_e32 v44, 0x8000
	s_and_saveexec_b64 s[18:19], s[2:3]
	s_cbranch_execz .LBB269_598
; %bb.595:                              ;   in Loop: Header=BB269_393 Depth=1
	v_and_b32_e32 v1, 0x7f, v11
	v_cmp_ne_u32_e64 s[2:3], s33, v1
	v_mov_b32_e32 v44, 0x7c01
	s_and_saveexec_b64 s[24:25], s[2:3]
	s_cbranch_execz .LBB269_597
; %bb.596:                              ;   in Loop: Header=BB269_393 Depth=1
	v_and_b32_e32 v46, 7, v11
	v_ffbh_u32_e32 v44, v46
	v_min_u32_e32 v48, 32, v44
	v_subrev_u32_e32 v44, 28, v48
	v_lshlrev_b64 v[44:45], v44, v[11:12]
	v_lshrrev_b32_e32 v47, 3, v1
	v_sub_u32_e32 v45, 29, v48
	v_cmp_gt_u32_e64 s[2:3], 8, v1
	v_cndmask_b32_e64 v1, v47, v45, s[2:3]
	v_lshl_add_u32 v1, v1, 10, v30
	v_lshlrev_b32_e32 v45, 8, v11
	v_and_b32_e32 v44, 7, v44
	v_and_b32_e32 v1, 0xfc00, v1
	v_cndmask_b32_e64 v44, v46, v44, s[2:3]
	v_and_or_b32 v1, v45, s34, v1
	v_lshl_or_b32 v44, v44, 7, v1
.LBB269_597:                            ;   in Loop: Header=BB269_393 Depth=1
	s_or_b64 exec, exec, s[24:25]
.LBB269_598:                            ;   in Loop: Header=BB269_393 Depth=1
	s_or_b64 exec, exec, s[18:19]
.LBB269_599:                            ;   in Loop: Header=BB269_393 Depth=1
	s_or_b64 exec, exec, s[16:17]
	v_lshrrev_b16_e32 v1, 8, v11
	v_cmp_ne_u16_e64 s[2:3], 0, v1
	s_and_saveexec_b64 s[16:17], s[2:3]
	s_cbranch_execz .LBB269_605
; %bb.600:                              ;   in Loop: Header=BB269_393 Depth=1
	v_cmp_ne_u16_e64 s[2:3], s29, v1
	v_bfrev_b32_e32 v13, 1
	s_and_saveexec_b64 s[18:19], s[2:3]
	s_cbranch_execz .LBB269_604
; %bb.601:                              ;   in Loop: Header=BB269_393 Depth=1
	v_and_b32_e32 v45, 0x7f, v1
	v_cmp_ne_u32_e64 s[2:3], s33, v45
	v_mov_b32_e32 v13, 0x7c010000
	s_and_saveexec_b64 s[24:25], s[2:3]
	s_cbranch_execz .LBB269_603
; %bb.602:                              ;   in Loop: Header=BB269_393 Depth=1
	v_and_b32_e32 v13, 7, v1
	v_ffbh_u32_e32 v46, v13
	v_min_u32_e32 v49, 32, v46
	v_subrev_u32_e32 v46, 28, v49
	v_lshlrev_b64 v[46:47], v46, v[1:2]
	v_lshrrev_b32_e32 v48, 3, v45
	v_sub_u32_e32 v47, 29, v49
	v_cmp_gt_u32_e64 s[2:3], 8, v45
	v_cndmask_b32_e64 v45, v48, v47, s[2:3]
	v_lshlrev_b32_e32 v1, 8, v1
	v_lshl_add_u32 v45, v45, 10, v30
	v_and_b32_e32 v46, 7, v46
	v_and_or_b32 v1, v1, s34, v45
	v_cndmask_b32_e64 v13, v13, v46, s[2:3]
	v_lshlrev_b32_e32 v1, 16, v1
	v_lshl_or_b32 v13, v13, 23, v1
.LBB269_603:                            ;   in Loop: Header=BB269_393 Depth=1
	s_or_b64 exec, exec, s[24:25]
.LBB269_604:                            ;   in Loop: Header=BB269_393 Depth=1
	s_or_b64 exec, exec, s[18:19]
.LBB269_605:                            ;   in Loop: Header=BB269_393 Depth=1
	s_or_b64 exec, exec, s[16:17]
	v_lshrrev_b32_e32 v1, 16, v11
	v_cmp_ne_u16_sdwa s[2:3], v1, v2 src0_sel:BYTE_0 src1_sel:DWORD
	v_mov_b32_e32 v45, 0
	v_mov_b32_e32 v46, 0
	s_and_saveexec_b64 s[16:17], s[2:3]
	s_cbranch_execz .LBB269_611
; %bb.606:                              ;   in Loop: Header=BB269_393 Depth=1
	v_cmp_ne_u16_sdwa s[2:3], v1, s29 src0_sel:BYTE_0 src1_sel:DWORD
	v_mov_b32_e32 v46, 0x8000
	s_and_saveexec_b64 s[18:19], s[2:3]
	s_cbranch_execz .LBB269_610
; %bb.607:                              ;   in Loop: Header=BB269_393 Depth=1
	v_bfe_u32 v47, v11, 16, 7
	v_cmp_ne_u32_e64 s[2:3], s33, v47
	v_mov_b32_e32 v46, 0x7c01
	s_and_saveexec_b64 s[24:25], s[2:3]
	s_cbranch_execz .LBB269_609
; %bb.608:                              ;   in Loop: Header=BB269_393 Depth=1
	v_and_b32_e32 v46, 7, v1
	v_ffbh_u32_e32 v48, v46
	v_min_u32_e32 v51, 32, v48
	v_subrev_u32_e32 v48, 28, v51
	v_lshlrev_b64 v[48:49], v48, v[1:2]
	v_lshrrev_b32_e32 v50, 3, v47
	v_sub_u32_e32 v49, 29, v51
	v_cmp_gt_u32_e64 s[2:3], 8, v47
	v_cndmask_b32_e64 v47, v50, v49, s[2:3]
	v_lshl_add_u32 v47, v47, 10, v30
	v_lshlrev_b32_e32 v1, 8, v1
	v_and_b32_e32 v48, 7, v48
	v_and_b32_e32 v47, 0xfc00, v47
	v_cndmask_b32_e64 v46, v46, v48, s[2:3]
	v_and_or_b32 v1, v1, s34, v47
	v_lshl_or_b32 v46, v46, 7, v1
.LBB269_609:                            ;   in Loop: Header=BB269_393 Depth=1
	s_or_b64 exec, exec, s[24:25]
.LBB269_610:                            ;   in Loop: Header=BB269_393 Depth=1
	s_or_b64 exec, exec, s[18:19]
.LBB269_611:                            ;   in Loop: Header=BB269_393 Depth=1
	s_or_b64 exec, exec, s[16:17]
	v_cmp_lt_u32_e64 s[2:3], s7, v11
	s_and_saveexec_b64 s[16:17], s[2:3]
	s_cbranch_execz .LBB269_617
; %bb.612:                              ;   in Loop: Header=BB269_393 Depth=1
	v_lshrrev_b32_e32 v1, 24, v11
	v_cmp_ne_u32_e64 s[2:3], s29, v1
	v_bfrev_b32_e32 v45, 1
	s_and_saveexec_b64 s[18:19], s[2:3]
	s_cbranch_execz .LBB269_616
; %bb.613:                              ;   in Loop: Header=BB269_393 Depth=1
	v_and_b32_e32 v47, 0x7f, v1
	v_cmp_ne_u32_e64 s[2:3], s33, v47
	v_mov_b32_e32 v45, 0x7c010000
	s_and_saveexec_b64 s[24:25], s[2:3]
	s_cbranch_execz .LBB269_615
; %bb.614:                              ;   in Loop: Header=BB269_393 Depth=1
	v_and_b32_e32 v45, 7, v1
	v_ffbh_u32_e32 v48, v45
	v_min_u32_e32 v51, 32, v48
	v_subrev_u32_e32 v48, 28, v51
	v_lshlrev_b64 v[48:49], v48, v[1:2]
	v_lshrrev_b32_e32 v50, 3, v47
	v_sub_u32_e32 v49, 29, v51
	v_cmp_gt_u32_e64 s[2:3], 8, v47
	v_cndmask_b32_e64 v47, v50, v49, s[2:3]
	v_lshlrev_b32_e32 v1, 8, v1
	v_lshl_add_u32 v47, v47, 10, v30
	v_and_b32_e32 v48, 7, v48
	v_and_or_b32 v1, v1, s34, v47
	v_cndmask_b32_e64 v45, v45, v48, s[2:3]
	v_lshlrev_b32_e32 v1, 16, v1
	v_lshl_or_b32 v45, v45, 23, v1
.LBB269_615:                            ;   in Loop: Header=BB269_393 Depth=1
	s_or_b64 exec, exec, s[24:25]
.LBB269_616:                            ;   in Loop: Header=BB269_393 Depth=1
	s_or_b64 exec, exec, s[18:19]
.LBB269_617:                            ;   in Loop: Header=BB269_393 Depth=1
	s_or_b64 exec, exec, s[16:17]
	v_mov_b32_e32 v1, v12
	v_cmp_ne_u16_sdwa s[2:3], v12, v2 src0_sel:BYTE_0 src1_sel:DWORD
	v_mov_b32_e32 v47, 0
	v_mov_b32_e32 v48, 0
	s_and_saveexec_b64 s[16:17], s[2:3]
	s_cbranch_execz .LBB269_623
; %bb.618:                              ;   in Loop: Header=BB269_393 Depth=1
	v_cmp_ne_u16_sdwa s[2:3], v12, s29 src0_sel:BYTE_0 src1_sel:DWORD
	v_mov_b32_e32 v48, 0x8000
	s_and_saveexec_b64 s[18:19], s[2:3]
	s_cbranch_execz .LBB269_622
; %bb.619:                              ;   in Loop: Header=BB269_393 Depth=1
	v_and_b32_e32 v49, 0x7f, v12
	v_cmp_ne_u32_e64 s[2:3], s33, v49
	v_mov_b32_e32 v48, 0x7c01
	s_and_saveexec_b64 s[24:25], s[2:3]
	s_cbranch_execz .LBB269_621
; %bb.620:                              ;   in Loop: Header=BB269_393 Depth=1
	v_and_b32_e32 v48, 7, v12
	v_ffbh_u32_e32 v50, v48
	v_min_u32_e32 v53, 32, v50
	v_subrev_u32_e32 v50, 28, v53
	v_lshlrev_b64 v[50:51], v50, v[1:2]
	v_lshrrev_b32_e32 v52, 3, v49
	v_sub_u32_e32 v51, 29, v53
	v_cmp_gt_u32_e64 s[2:3], 8, v49
	v_cndmask_b32_e64 v49, v52, v51, s[2:3]
	v_lshl_add_u32 v49, v49, 10, v30
	v_lshlrev_b32_e32 v51, 8, v12
	v_and_b32_e32 v50, 7, v50
	v_and_b32_e32 v49, 0xfc00, v49
	v_cndmask_b32_e64 v48, v48, v50, s[2:3]
	v_and_or_b32 v49, v51, s34, v49
	v_lshl_or_b32 v48, v48, 7, v49
.LBB269_621:                            ;   in Loop: Header=BB269_393 Depth=1
	s_or_b64 exec, exec, s[24:25]
.LBB269_622:                            ;   in Loop: Header=BB269_393 Depth=1
	s_or_b64 exec, exec, s[18:19]
.LBB269_623:                            ;   in Loop: Header=BB269_393 Depth=1
	s_or_b64 exec, exec, s[16:17]
	v_lshrrev_b16_e32 v1, 8, v1
	v_cmp_ne_u16_e64 s[2:3], 0, v1
	v_mov_b32_e32 v49, 0
	s_and_saveexec_b64 s[16:17], s[2:3]
	s_cbranch_execz .LBB269_629
; %bb.624:                              ;   in Loop: Header=BB269_393 Depth=1
	v_cmp_ne_u16_e64 s[2:3], s29, v1
	v_bfrev_b32_e32 v49, 1
	s_and_saveexec_b64 s[18:19], s[2:3]
	s_cbranch_execz .LBB269_628
; %bb.625:                              ;   in Loop: Header=BB269_393 Depth=1
	v_and_b32_e32 v50, 0x7f, v1
	v_cmp_ne_u32_e64 s[2:3], s33, v50
	v_mov_b32_e32 v49, 0x7c010000
	s_and_saveexec_b64 s[24:25], s[2:3]
	s_cbranch_execz .LBB269_627
; %bb.626:                              ;   in Loop: Header=BB269_393 Depth=1
	v_and_b32_e32 v49, 7, v1
	v_ffbh_u32_e32 v51, v49
	v_min_u32_e32 v54, 32, v51
	v_subrev_u32_e32 v51, 28, v54
	v_lshlrev_b64 v[51:52], v51, v[1:2]
	v_lshrrev_b32_e32 v53, 3, v50
	v_sub_u32_e32 v52, 29, v54
	v_cmp_gt_u32_e64 s[2:3], 8, v50
	v_cndmask_b32_e64 v50, v53, v52, s[2:3]
	v_lshlrev_b32_e32 v1, 8, v1
	v_lshl_add_u32 v50, v50, 10, v30
	v_and_b32_e32 v51, 7, v51
	v_and_or_b32 v1, v1, s34, v50
	v_cndmask_b32_e64 v49, v49, v51, s[2:3]
	v_lshlrev_b32_e32 v1, 16, v1
	v_lshl_or_b32 v49, v49, 23, v1
.LBB269_627:                            ;   in Loop: Header=BB269_393 Depth=1
	s_or_b64 exec, exec, s[24:25]
.LBB269_628:                            ;   in Loop: Header=BB269_393 Depth=1
	s_or_b64 exec, exec, s[18:19]
.LBB269_629:                            ;   in Loop: Header=BB269_393 Depth=1
	s_or_b64 exec, exec, s[16:17]
	v_lshrrev_b32_e32 v1, 16, v12
	v_cmp_ne_u16_sdwa s[2:3], v1, v2 src0_sel:BYTE_0 src1_sel:DWORD
	s_and_saveexec_b64 s[16:17], s[2:3]
	s_cbranch_execz .LBB269_635
; %bb.630:                              ;   in Loop: Header=BB269_393 Depth=1
	v_cmp_ne_u16_sdwa s[2:3], v1, s29 src0_sel:BYTE_0 src1_sel:DWORD
	v_mov_b32_e32 v47, 0x8000
	s_and_saveexec_b64 s[18:19], s[2:3]
	s_cbranch_execz .LBB269_634
; %bb.631:                              ;   in Loop: Header=BB269_393 Depth=1
	v_bfe_u32 v50, v12, 16, 7
	v_cmp_ne_u32_e64 s[2:3], s33, v50
	v_mov_b32_e32 v47, 0x7c01
	s_and_saveexec_b64 s[24:25], s[2:3]
	s_cbranch_execz .LBB269_633
; %bb.632:                              ;   in Loop: Header=BB269_393 Depth=1
	v_and_b32_e32 v47, 7, v1
	v_ffbh_u32_e32 v51, v47
	v_min_u32_e32 v54, 32, v51
	v_subrev_u32_e32 v51, 28, v54
	v_lshlrev_b64 v[51:52], v51, v[1:2]
	v_lshrrev_b32_e32 v53, 3, v50
	v_sub_u32_e32 v52, 29, v54
	v_cmp_gt_u32_e64 s[2:3], 8, v50
	v_cndmask_b32_e64 v50, v53, v52, s[2:3]
	v_lshl_add_u32 v50, v50, 10, v30
	v_lshlrev_b32_e32 v1, 8, v1
	v_and_b32_e32 v51, 7, v51
	v_and_b32_e32 v50, 0xfc00, v50
	v_cndmask_b32_e64 v47, v47, v51, s[2:3]
	v_and_or_b32 v1, v1, s34, v50
	v_lshl_or_b32 v47, v47, 7, v1
.LBB269_633:                            ;   in Loop: Header=BB269_393 Depth=1
	s_or_b64 exec, exec, s[24:25]
.LBB269_634:                            ;   in Loop: Header=BB269_393 Depth=1
	s_or_b64 exec, exec, s[18:19]
.LBB269_635:                            ;   in Loop: Header=BB269_393 Depth=1
	s_or_b64 exec, exec, s[16:17]
	v_cmp_lt_u64_e64 s[2:3], s[6:7], v[11:12]
	v_mov_b32_e32 v50, 0
	s_and_saveexec_b64 s[16:17], s[2:3]
	s_cbranch_execz .LBB269_641
; %bb.636:                              ;   in Loop: Header=BB269_393 Depth=1
	v_lshrrev_b32_e32 v1, 24, v12
	v_cmp_ne_u32_e64 s[2:3], s29, v1
	v_bfrev_b32_e32 v50, 1
	s_and_saveexec_b64 s[18:19], s[2:3]
	s_cbranch_execz .LBB269_640
; %bb.637:                              ;   in Loop: Header=BB269_393 Depth=1
	v_and_b32_e32 v11, 0x7f, v1
	v_cmp_ne_u32_e64 s[2:3], s33, v11
	v_mov_b32_e32 v50, 0x7c010000
	s_and_saveexec_b64 s[24:25], s[2:3]
	s_cbranch_execz .LBB269_639
; %bb.638:                              ;   in Loop: Header=BB269_393 Depth=1
	v_and_b32_e32 v12, 7, v1
	v_ffbh_u32_e32 v50, v12
	v_min_u32_e32 v53, 32, v50
	v_subrev_u32_e32 v50, 28, v53
	v_lshlrev_b64 v[50:51], v50, v[1:2]
	v_lshrrev_b32_e32 v52, 3, v11
	v_sub_u32_e32 v51, 29, v53
	v_cmp_gt_u32_e64 s[2:3], 8, v11
	v_cndmask_b32_e64 v11, v52, v51, s[2:3]
	v_lshlrev_b32_e32 v1, 8, v1
	v_lshl_add_u32 v11, v11, 10, v30
	v_and_b32_e32 v50, 7, v50
	v_and_or_b32 v1, v1, s34, v11
	v_cndmask_b32_e64 v12, v12, v50, s[2:3]
	v_lshlrev_b32_e32 v1, 16, v1
	v_lshl_or_b32 v50, v12, 23, v1
.LBB269_639:                            ;   in Loop: Header=BB269_393 Depth=1
	s_or_b64 exec, exec, s[24:25]
.LBB269_640:                            ;   in Loop: Header=BB269_393 Depth=1
	s_or_b64 exec, exec, s[18:19]
.LBB269_641:                            ;   in Loop: Header=BB269_393 Depth=1
	s_or_b64 exec, exec, s[16:17]
	s_waitcnt vmcnt(0)
	v_fma_mixlo_f16 v11, v0, v45, 0 op_sel:[0,1,0] op_sel_hi:[0,1,0]
	v_or_b32_e32 v1, v45, v46
	v_lshlrev_b32_e32 v12, 16, v11
	v_or_b32_e32 v11, v13, v44
	v_fma_mixlo_f16 v13, v0, v13, 0 op_sel:[0,1,0] op_sel_hi:[0,1,0]
	v_or_b32_e32 v44, v49, v48
	v_or_b32_e32 v46, v50, v47
	v_fma_mixlo_f16 v1, v0, v1, 0 op_sel_hi:[0,1,0]
	v_lshlrev_b32_e32 v51, 16, v13
	v_fma_mixlo_f16 v11, v0, v11, 0 op_sel_hi:[0,1,0]
	v_fma_mixlo_f16 v13, v0, v49, 0 op_sel:[0,1,0] op_sel_hi:[0,1,0]
	v_fma_mixlo_f16 v44, v0, v44, 0 op_sel_hi:[0,1,0]
	v_fma_mixlo_f16 v46, v0, v46, 0 op_sel_hi:[0,1,0]
	v_fma_mixlo_f16 v0, v0, v50, 0 op_sel:[0,1,0] op_sel_hi:[0,1,0]
	v_and_b32_e32 v45, 0xffff, v1
	v_and_b32_e32 v52, 0xffff, v11
	v_lshlrev_b32_e32 v13, 16, v13
	v_and_b32_e32 v48, 0xffff, v44
	v_lshlrev_b32_e32 v0, 16, v0
	v_and_b32_e32 v46, 0xffff, v46
	v_or_b32_e32 v1, v12, v45
	v_or_b32_e32 v11, v51, v52
	;; [unrolled: 1-line block ×4, first 2 shown]
	s_and_saveexec_b64 s[16:17], s[0:1]
	s_cbranch_execz .LBB269_643
; %bb.642:                              ;   in Loop: Header=BB269_393 Depth=1
	v_cmp_gt_i32_e64 s[2:3], s30, v31
	v_add_u32_e32 v11, -6, v28
	v_cndmask_b32_e64 v1, 0, v52, s[2:3]
	v_cmp_gt_i32_e64 s[2:3], s30, v11
	v_cndmask_b32_e64 v11, 0, v51, s[2:3]
	v_or_b32_e32 v11, v11, v1
	v_add_u32_e32 v1, -5, v28
	v_cmp_gt_i32_e64 s[2:3], s30, v1
	v_add_u32_e32 v44, -4, v28
	v_cndmask_b32_e64 v1, 0, v45, s[2:3]
	v_cmp_gt_i32_e64 s[2:3], s30, v44
	v_cndmask_b32_e64 v12, 0, v12, s[2:3]
	v_or_b32_e32 v1, v12, v1
	v_add_u32_e32 v12, -3, v28
	;; [unrolled: 7-line block ×3, first 2 shown]
	v_cmp_gt_i32_e64 s[2:3], s30, v12
	v_cndmask_b32_e64 v12, 0, v46, s[2:3]
	v_cmp_gt_i32_e64 s[2:3], s30, v28
	v_cndmask_b32_e64 v0, 0, v0, s[2:3]
	v_or_b32_e32 v47, v0, v12
.LBB269_643:                            ;   in Loop: Header=BB269_393 Depth=1
	s_or_b64 exec, exec, s[16:17]
	;;#ASMSTART
	v_pk_mul_f16 v0, v37, v11;

	;;#ASMEND
	;;#ASMSTART
	v_pk_mul_f16 v1, v36, v1;

	;;#ASMEND
	;; [unrolled: 4-line block ×4, first 2 shown]
	;;#ASMSTART
	v_pk_add_f16 v0, v0, v1;

	;;#ASMEND
	;;#ASMSTART
	v_pk_add_f16 v0, v0, v11;

	;;#ASMEND
	;; [unrolled: 4-line block ×3, first 2 shown]
	v_lshrrev_b32_e32 v1, 16, v0
	v_and_b32_e32 v0, 0xffff, v0
	;;#ASMSTART
	v_cvt_f32_f16 v44, v0;
	;;#ASMEND
	;;#ASMSTART
	v_cvt_f32_f16 v45, v1;
	;;#ASMEND
	global_load_dwordx2 v[11:12], v[9:10], off offset:2560
	v_mov_b32_e32 v13, 0
	global_load_dword v0, v13, s[14:15]
	v_mov_b32_e32 v46, 0
	s_waitcnt vmcnt(1)
	v_cmp_ne_u16_sdwa s[2:3], v11, v2 src0_sel:BYTE_0 src1_sel:DWORD
	s_and_saveexec_b64 s[16:17], s[2:3]
	s_cbranch_execz .LBB269_649
; %bb.644:                              ;   in Loop: Header=BB269_393 Depth=1
	v_cmp_ne_u16_sdwa s[2:3], v11, s29 src0_sel:BYTE_0 src1_sel:DWORD
	v_mov_b32_e32 v46, 0x8000
	s_and_saveexec_b64 s[18:19], s[2:3]
	s_cbranch_execz .LBB269_648
; %bb.645:                              ;   in Loop: Header=BB269_393 Depth=1
	v_and_b32_e32 v1, 0x7f, v11
	v_cmp_ne_u32_e64 s[2:3], s33, v1
	v_mov_b32_e32 v46, 0x7c01
	s_and_saveexec_b64 s[24:25], s[2:3]
	s_cbranch_execz .LBB269_647
; %bb.646:                              ;   in Loop: Header=BB269_393 Depth=1
	v_and_b32_e32 v48, 7, v11
	v_ffbh_u32_e32 v46, v48
	v_min_u32_e32 v50, 32, v46
	v_subrev_u32_e32 v46, 28, v50
	v_lshlrev_b64 v[46:47], v46, v[11:12]
	v_lshrrev_b32_e32 v49, 3, v1
	v_sub_u32_e32 v47, 29, v50
	v_cmp_gt_u32_e64 s[2:3], 8, v1
	v_cndmask_b32_e64 v1, v49, v47, s[2:3]
	v_lshl_add_u32 v1, v1, 10, v30
	v_lshlrev_b32_e32 v47, 8, v11
	v_and_b32_e32 v46, 7, v46
	v_and_b32_e32 v1, 0xfc00, v1
	v_cndmask_b32_e64 v46, v48, v46, s[2:3]
	v_and_or_b32 v1, v47, s34, v1
	v_lshl_or_b32 v46, v46, 7, v1
.LBB269_647:                            ;   in Loop: Header=BB269_393 Depth=1
	s_or_b64 exec, exec, s[24:25]
.LBB269_648:                            ;   in Loop: Header=BB269_393 Depth=1
	s_or_b64 exec, exec, s[18:19]
.LBB269_649:                            ;   in Loop: Header=BB269_393 Depth=1
	s_or_b64 exec, exec, s[16:17]
	v_lshrrev_b16_e32 v1, 8, v11
	v_cmp_ne_u16_e64 s[2:3], 0, v1
	s_and_saveexec_b64 s[16:17], s[2:3]
	s_cbranch_execz .LBB269_655
; %bb.650:                              ;   in Loop: Header=BB269_393 Depth=1
	v_cmp_ne_u16_e64 s[2:3], s29, v1
	v_bfrev_b32_e32 v13, 1
	s_and_saveexec_b64 s[18:19], s[2:3]
	s_cbranch_execz .LBB269_654
; %bb.651:                              ;   in Loop: Header=BB269_393 Depth=1
	v_and_b32_e32 v47, 0x7f, v1
	v_cmp_ne_u32_e64 s[2:3], s33, v47
	v_mov_b32_e32 v13, 0x7c010000
	s_and_saveexec_b64 s[24:25], s[2:3]
	s_cbranch_execz .LBB269_653
; %bb.652:                              ;   in Loop: Header=BB269_393 Depth=1
	v_and_b32_e32 v13, 7, v1
	v_ffbh_u32_e32 v48, v13
	v_min_u32_e32 v51, 32, v48
	v_subrev_u32_e32 v48, 28, v51
	v_lshlrev_b64 v[48:49], v48, v[1:2]
	v_lshrrev_b32_e32 v50, 3, v47
	v_sub_u32_e32 v49, 29, v51
	v_cmp_gt_u32_e64 s[2:3], 8, v47
	v_cndmask_b32_e64 v47, v50, v49, s[2:3]
	v_lshlrev_b32_e32 v1, 8, v1
	v_lshl_add_u32 v47, v47, 10, v30
	v_and_b32_e32 v48, 7, v48
	v_and_or_b32 v1, v1, s34, v47
	v_cndmask_b32_e64 v13, v13, v48, s[2:3]
	v_lshlrev_b32_e32 v1, 16, v1
	v_lshl_or_b32 v13, v13, 23, v1
.LBB269_653:                            ;   in Loop: Header=BB269_393 Depth=1
	s_or_b64 exec, exec, s[24:25]
.LBB269_654:                            ;   in Loop: Header=BB269_393 Depth=1
	s_or_b64 exec, exec, s[18:19]
.LBB269_655:                            ;   in Loop: Header=BB269_393 Depth=1
	s_or_b64 exec, exec, s[16:17]
	v_lshrrev_b32_e32 v1, 16, v11
	v_cmp_ne_u16_sdwa s[2:3], v1, v2 src0_sel:BYTE_0 src1_sel:DWORD
	v_mov_b32_e32 v47, 0
	v_mov_b32_e32 v48, 0
	s_and_saveexec_b64 s[16:17], s[2:3]
	s_cbranch_execz .LBB269_661
; %bb.656:                              ;   in Loop: Header=BB269_393 Depth=1
	v_cmp_ne_u16_sdwa s[2:3], v1, s29 src0_sel:BYTE_0 src1_sel:DWORD
	v_mov_b32_e32 v48, 0x8000
	s_and_saveexec_b64 s[18:19], s[2:3]
	s_cbranch_execz .LBB269_660
; %bb.657:                              ;   in Loop: Header=BB269_393 Depth=1
	v_bfe_u32 v49, v11, 16, 7
	v_cmp_ne_u32_e64 s[2:3], s33, v49
	v_mov_b32_e32 v48, 0x7c01
	s_and_saveexec_b64 s[24:25], s[2:3]
	s_cbranch_execz .LBB269_659
; %bb.658:                              ;   in Loop: Header=BB269_393 Depth=1
	v_and_b32_e32 v48, 7, v1
	v_ffbh_u32_e32 v50, v48
	v_min_u32_e32 v53, 32, v50
	v_subrev_u32_e32 v50, 28, v53
	v_lshlrev_b64 v[50:51], v50, v[1:2]
	v_lshrrev_b32_e32 v52, 3, v49
	v_sub_u32_e32 v51, 29, v53
	v_cmp_gt_u32_e64 s[2:3], 8, v49
	v_cndmask_b32_e64 v49, v52, v51, s[2:3]
	v_lshl_add_u32 v49, v49, 10, v30
	v_lshlrev_b32_e32 v1, 8, v1
	v_and_b32_e32 v50, 7, v50
	v_and_b32_e32 v49, 0xfc00, v49
	v_cndmask_b32_e64 v48, v48, v50, s[2:3]
	v_and_or_b32 v1, v1, s34, v49
	v_lshl_or_b32 v48, v48, 7, v1
.LBB269_659:                            ;   in Loop: Header=BB269_393 Depth=1
	s_or_b64 exec, exec, s[24:25]
.LBB269_660:                            ;   in Loop: Header=BB269_393 Depth=1
	s_or_b64 exec, exec, s[18:19]
.LBB269_661:                            ;   in Loop: Header=BB269_393 Depth=1
	s_or_b64 exec, exec, s[16:17]
	v_cmp_lt_u32_e64 s[2:3], s7, v11
	s_and_saveexec_b64 s[16:17], s[2:3]
	s_cbranch_execz .LBB269_667
; %bb.662:                              ;   in Loop: Header=BB269_393 Depth=1
	v_lshrrev_b32_e32 v1, 24, v11
	v_cmp_ne_u32_e64 s[2:3], s29, v1
	v_bfrev_b32_e32 v47, 1
	s_and_saveexec_b64 s[18:19], s[2:3]
	s_cbranch_execz .LBB269_666
; %bb.663:                              ;   in Loop: Header=BB269_393 Depth=1
	v_and_b32_e32 v49, 0x7f, v1
	v_cmp_ne_u32_e64 s[2:3], s33, v49
	v_mov_b32_e32 v47, 0x7c010000
	s_and_saveexec_b64 s[24:25], s[2:3]
	s_cbranch_execz .LBB269_665
; %bb.664:                              ;   in Loop: Header=BB269_393 Depth=1
	v_and_b32_e32 v47, 7, v1
	v_ffbh_u32_e32 v50, v47
	v_min_u32_e32 v53, 32, v50
	v_subrev_u32_e32 v50, 28, v53
	v_lshlrev_b64 v[50:51], v50, v[1:2]
	v_lshrrev_b32_e32 v52, 3, v49
	v_sub_u32_e32 v51, 29, v53
	v_cmp_gt_u32_e64 s[2:3], 8, v49
	v_cndmask_b32_e64 v49, v52, v51, s[2:3]
	v_lshlrev_b32_e32 v1, 8, v1
	v_lshl_add_u32 v49, v49, 10, v30
	v_and_b32_e32 v50, 7, v50
	v_and_or_b32 v1, v1, s34, v49
	v_cndmask_b32_e64 v47, v47, v50, s[2:3]
	v_lshlrev_b32_e32 v1, 16, v1
	v_lshl_or_b32 v47, v47, 23, v1
.LBB269_665:                            ;   in Loop: Header=BB269_393 Depth=1
	s_or_b64 exec, exec, s[24:25]
.LBB269_666:                            ;   in Loop: Header=BB269_393 Depth=1
	s_or_b64 exec, exec, s[18:19]
.LBB269_667:                            ;   in Loop: Header=BB269_393 Depth=1
	s_or_b64 exec, exec, s[16:17]
	v_mov_b32_e32 v1, v12
	v_cmp_ne_u16_sdwa s[2:3], v12, v2 src0_sel:BYTE_0 src1_sel:DWORD
	v_mov_b32_e32 v49, 0
	v_mov_b32_e32 v50, 0
	s_and_saveexec_b64 s[16:17], s[2:3]
	s_cbranch_execz .LBB269_673
; %bb.668:                              ;   in Loop: Header=BB269_393 Depth=1
	v_cmp_ne_u16_sdwa s[2:3], v12, s29 src0_sel:BYTE_0 src1_sel:DWORD
	v_mov_b32_e32 v50, 0x8000
	s_and_saveexec_b64 s[18:19], s[2:3]
	s_cbranch_execz .LBB269_672
; %bb.669:                              ;   in Loop: Header=BB269_393 Depth=1
	v_and_b32_e32 v51, 0x7f, v12
	v_cmp_ne_u32_e64 s[2:3], s33, v51
	v_mov_b32_e32 v50, 0x7c01
	s_and_saveexec_b64 s[24:25], s[2:3]
	s_cbranch_execz .LBB269_671
; %bb.670:                              ;   in Loop: Header=BB269_393 Depth=1
	v_and_b32_e32 v50, 7, v12
	v_ffbh_u32_e32 v52, v50
	v_min_u32_e32 v55, 32, v52
	v_subrev_u32_e32 v52, 28, v55
	v_lshlrev_b64 v[52:53], v52, v[1:2]
	v_lshrrev_b32_e32 v54, 3, v51
	v_sub_u32_e32 v53, 29, v55
	v_cmp_gt_u32_e64 s[2:3], 8, v51
	v_cndmask_b32_e64 v51, v54, v53, s[2:3]
	v_lshl_add_u32 v51, v51, 10, v30
	v_lshlrev_b32_e32 v53, 8, v12
	v_and_b32_e32 v52, 7, v52
	v_and_b32_e32 v51, 0xfc00, v51
	v_cndmask_b32_e64 v50, v50, v52, s[2:3]
	v_and_or_b32 v51, v53, s34, v51
	v_lshl_or_b32 v50, v50, 7, v51
.LBB269_671:                            ;   in Loop: Header=BB269_393 Depth=1
	s_or_b64 exec, exec, s[24:25]
.LBB269_672:                            ;   in Loop: Header=BB269_393 Depth=1
	s_or_b64 exec, exec, s[18:19]
.LBB269_673:                            ;   in Loop: Header=BB269_393 Depth=1
	s_or_b64 exec, exec, s[16:17]
	v_lshrrev_b16_e32 v1, 8, v1
	v_cmp_ne_u16_e64 s[2:3], 0, v1
	v_mov_b32_e32 v51, 0
	s_and_saveexec_b64 s[16:17], s[2:3]
	s_cbranch_execz .LBB269_679
; %bb.674:                              ;   in Loop: Header=BB269_393 Depth=1
	v_cmp_ne_u16_e64 s[2:3], s29, v1
	v_bfrev_b32_e32 v51, 1
	s_and_saveexec_b64 s[18:19], s[2:3]
	s_cbranch_execz .LBB269_678
; %bb.675:                              ;   in Loop: Header=BB269_393 Depth=1
	v_and_b32_e32 v52, 0x7f, v1
	v_cmp_ne_u32_e64 s[2:3], s33, v52
	v_mov_b32_e32 v51, 0x7c010000
	s_and_saveexec_b64 s[24:25], s[2:3]
	s_cbranch_execz .LBB269_677
; %bb.676:                              ;   in Loop: Header=BB269_393 Depth=1
	v_and_b32_e32 v51, 7, v1
	v_ffbh_u32_e32 v53, v51
	v_min_u32_e32 v56, 32, v53
	v_subrev_u32_e32 v53, 28, v56
	v_lshlrev_b64 v[53:54], v53, v[1:2]
	v_lshrrev_b32_e32 v55, 3, v52
	v_sub_u32_e32 v54, 29, v56
	v_cmp_gt_u32_e64 s[2:3], 8, v52
	v_cndmask_b32_e64 v52, v55, v54, s[2:3]
	v_lshlrev_b32_e32 v1, 8, v1
	v_lshl_add_u32 v52, v52, 10, v30
	v_and_b32_e32 v53, 7, v53
	v_and_or_b32 v1, v1, s34, v52
	v_cndmask_b32_e64 v51, v51, v53, s[2:3]
	v_lshlrev_b32_e32 v1, 16, v1
	v_lshl_or_b32 v51, v51, 23, v1
.LBB269_677:                            ;   in Loop: Header=BB269_393 Depth=1
	s_or_b64 exec, exec, s[24:25]
.LBB269_678:                            ;   in Loop: Header=BB269_393 Depth=1
	s_or_b64 exec, exec, s[18:19]
.LBB269_679:                            ;   in Loop: Header=BB269_393 Depth=1
	s_or_b64 exec, exec, s[16:17]
	v_lshrrev_b32_e32 v1, 16, v12
	v_cmp_ne_u16_sdwa s[2:3], v1, v2 src0_sel:BYTE_0 src1_sel:DWORD
	s_and_saveexec_b64 s[16:17], s[2:3]
	s_cbranch_execz .LBB269_685
; %bb.680:                              ;   in Loop: Header=BB269_393 Depth=1
	v_cmp_ne_u16_sdwa s[2:3], v1, s29 src0_sel:BYTE_0 src1_sel:DWORD
	v_mov_b32_e32 v49, 0x8000
	s_and_saveexec_b64 s[18:19], s[2:3]
	s_cbranch_execz .LBB269_684
; %bb.681:                              ;   in Loop: Header=BB269_393 Depth=1
	v_bfe_u32 v52, v12, 16, 7
	v_cmp_ne_u32_e64 s[2:3], s33, v52
	v_mov_b32_e32 v49, 0x7c01
	s_and_saveexec_b64 s[24:25], s[2:3]
	s_cbranch_execz .LBB269_683
; %bb.682:                              ;   in Loop: Header=BB269_393 Depth=1
	v_and_b32_e32 v49, 7, v1
	v_ffbh_u32_e32 v53, v49
	v_min_u32_e32 v56, 32, v53
	v_subrev_u32_e32 v53, 28, v56
	v_lshlrev_b64 v[53:54], v53, v[1:2]
	v_lshrrev_b32_e32 v55, 3, v52
	v_sub_u32_e32 v54, 29, v56
	v_cmp_gt_u32_e64 s[2:3], 8, v52
	v_cndmask_b32_e64 v52, v55, v54, s[2:3]
	v_lshl_add_u32 v52, v52, 10, v30
	v_lshlrev_b32_e32 v1, 8, v1
	v_and_b32_e32 v53, 7, v53
	v_and_b32_e32 v52, 0xfc00, v52
	v_cndmask_b32_e64 v49, v49, v53, s[2:3]
	v_and_or_b32 v1, v1, s34, v52
	v_lshl_or_b32 v49, v49, 7, v1
.LBB269_683:                            ;   in Loop: Header=BB269_393 Depth=1
	s_or_b64 exec, exec, s[24:25]
.LBB269_684:                            ;   in Loop: Header=BB269_393 Depth=1
	s_or_b64 exec, exec, s[18:19]
.LBB269_685:                            ;   in Loop: Header=BB269_393 Depth=1
	s_or_b64 exec, exec, s[16:17]
	v_cmp_lt_u64_e64 s[2:3], s[6:7], v[11:12]
	v_mov_b32_e32 v52, 0
	s_and_saveexec_b64 s[16:17], s[2:3]
	s_cbranch_execz .LBB269_691
; %bb.686:                              ;   in Loop: Header=BB269_393 Depth=1
	v_lshrrev_b32_e32 v1, 24, v12
	v_cmp_ne_u32_e64 s[2:3], s29, v1
	v_bfrev_b32_e32 v52, 1
	s_and_saveexec_b64 s[18:19], s[2:3]
	s_cbranch_execz .LBB269_690
; %bb.687:                              ;   in Loop: Header=BB269_393 Depth=1
	v_and_b32_e32 v11, 0x7f, v1
	v_cmp_ne_u32_e64 s[2:3], s33, v11
	v_mov_b32_e32 v52, 0x7c010000
	s_and_saveexec_b64 s[24:25], s[2:3]
	s_cbranch_execz .LBB269_689
; %bb.688:                              ;   in Loop: Header=BB269_393 Depth=1
	v_and_b32_e32 v12, 7, v1
	v_ffbh_u32_e32 v52, v12
	v_min_u32_e32 v55, 32, v52
	v_subrev_u32_e32 v52, 28, v55
	v_lshlrev_b64 v[52:53], v52, v[1:2]
	v_lshrrev_b32_e32 v54, 3, v11
	v_sub_u32_e32 v53, 29, v55
	v_cmp_gt_u32_e64 s[2:3], 8, v11
	v_cndmask_b32_e64 v11, v54, v53, s[2:3]
	v_lshlrev_b32_e32 v1, 8, v1
	v_lshl_add_u32 v11, v11, 10, v30
	v_and_b32_e32 v52, 7, v52
	v_and_or_b32 v1, v1, s34, v11
	v_cndmask_b32_e64 v12, v12, v52, s[2:3]
	v_lshlrev_b32_e32 v1, 16, v1
	v_lshl_or_b32 v52, v12, 23, v1
.LBB269_689:                            ;   in Loop: Header=BB269_393 Depth=1
	s_or_b64 exec, exec, s[24:25]
.LBB269_690:                            ;   in Loop: Header=BB269_393 Depth=1
	s_or_b64 exec, exec, s[18:19]
.LBB269_691:                            ;   in Loop: Header=BB269_393 Depth=1
	s_or_b64 exec, exec, s[16:17]
	s_waitcnt vmcnt(0)
	v_fma_mixlo_f16 v11, v0, v47, 0 op_sel:[0,1,0] op_sel_hi:[0,1,0]
	v_or_b32_e32 v1, v47, v48
	v_lshlrev_b32_e32 v12, 16, v11
	v_or_b32_e32 v11, v13, v46
	v_fma_mixlo_f16 v13, v0, v13, 0 op_sel:[0,1,0] op_sel_hi:[0,1,0]
	v_or_b32_e32 v46, v51, v50
	v_or_b32_e32 v48, v52, v49
	v_fma_mixlo_f16 v1, v0, v1, 0 op_sel_hi:[0,1,0]
	v_lshlrev_b32_e32 v53, 16, v13
	v_fma_mixlo_f16 v11, v0, v11, 0 op_sel_hi:[0,1,0]
	v_fma_mixlo_f16 v13, v0, v51, 0 op_sel:[0,1,0] op_sel_hi:[0,1,0]
	v_fma_mixlo_f16 v46, v0, v46, 0 op_sel_hi:[0,1,0]
	v_fma_mixlo_f16 v48, v0, v48, 0 op_sel_hi:[0,1,0]
	v_fma_mixlo_f16 v0, v0, v52, 0 op_sel:[0,1,0] op_sel_hi:[0,1,0]
	v_and_b32_e32 v47, 0xffff, v1
	v_and_b32_e32 v54, 0xffff, v11
	v_lshlrev_b32_e32 v13, 16, v13
	v_and_b32_e32 v50, 0xffff, v46
	v_lshlrev_b32_e32 v0, 16, v0
	v_and_b32_e32 v48, 0xffff, v48
	v_or_b32_e32 v1, v12, v47
	v_or_b32_e32 v11, v53, v54
	;; [unrolled: 1-line block ×4, first 2 shown]
	s_and_saveexec_b64 s[16:17], s[0:1]
	s_cbranch_execz .LBB269_693
; %bb.692:                              ;   in Loop: Header=BB269_393 Depth=1
	v_cmp_gt_i32_e64 s[2:3], s30, v31
	v_add_u32_e32 v11, -6, v28
	v_cndmask_b32_e64 v1, 0, v54, s[2:3]
	v_cmp_gt_i32_e64 s[2:3], s30, v11
	v_cndmask_b32_e64 v11, 0, v53, s[2:3]
	v_or_b32_e32 v11, v11, v1
	v_add_u32_e32 v1, -5, v28
	v_cmp_gt_i32_e64 s[2:3], s30, v1
	v_add_u32_e32 v46, -4, v28
	v_cndmask_b32_e64 v1, 0, v47, s[2:3]
	v_cmp_gt_i32_e64 s[2:3], s30, v46
	v_cndmask_b32_e64 v12, 0, v12, s[2:3]
	v_or_b32_e32 v1, v12, v1
	v_add_u32_e32 v12, -3, v28
	;; [unrolled: 7-line block ×3, first 2 shown]
	v_cmp_gt_i32_e64 s[2:3], s30, v12
	v_cndmask_b32_e64 v12, 0, v48, s[2:3]
	v_cmp_gt_i32_e64 s[2:3], s30, v28
	v_cndmask_b32_e64 v0, 0, v0, s[2:3]
	v_or_b32_e32 v49, v0, v12
.LBB269_693:                            ;   in Loop: Header=BB269_393 Depth=1
	s_or_b64 exec, exec, s[16:17]
	;;#ASMSTART
	v_pk_mul_f16 v0, v37, v11;

	;;#ASMEND
	;;#ASMSTART
	v_pk_mul_f16 v1, v36, v1;

	;;#ASMEND
	;; [unrolled: 4-line block ×4, first 2 shown]
	;;#ASMSTART
	v_pk_add_f16 v0, v0, v1;

	;;#ASMEND
	;;#ASMSTART
	v_pk_add_f16 v0, v0, v11;

	;;#ASMEND
	;; [unrolled: 4-line block ×3, first 2 shown]
	v_lshrrev_b32_e32 v1, 16, v0
	v_and_b32_e32 v0, 0xffff, v0
	;;#ASMSTART
	v_cvt_f32_f16 v0, v0;
	;;#ASMEND
	;;#ASMSTART
	v_cvt_f32_f16 v11, v1;
	;;#ASMEND
	global_load_dwordx2 v[9:10], v[9:10], off offset:3072
	v_mov_b32_e32 v13, 0
	global_load_dword v12, v13, s[14:15]
	v_mov_b32_e32 v46, 0
	s_waitcnt vmcnt(1)
	v_cmp_ne_u16_sdwa s[2:3], v9, v2 src0_sel:BYTE_0 src1_sel:DWORD
	s_and_saveexec_b64 s[16:17], s[2:3]
	s_cbranch_execz .LBB269_699
; %bb.694:                              ;   in Loop: Header=BB269_393 Depth=1
	v_cmp_ne_u16_sdwa s[2:3], v9, s29 src0_sel:BYTE_0 src1_sel:DWORD
	v_mov_b32_e32 v46, 0x8000
	s_and_saveexec_b64 s[18:19], s[2:3]
	s_cbranch_execz .LBB269_698
; %bb.695:                              ;   in Loop: Header=BB269_393 Depth=1
	v_and_b32_e32 v1, 0x7f, v9
	v_cmp_ne_u32_e64 s[2:3], s33, v1
	v_mov_b32_e32 v46, 0x7c01
	s_and_saveexec_b64 s[24:25], s[2:3]
	s_cbranch_execz .LBB269_697
; %bb.696:                              ;   in Loop: Header=BB269_393 Depth=1
	v_and_b32_e32 v48, 7, v9
	v_ffbh_u32_e32 v46, v48
	v_min_u32_e32 v50, 32, v46
	v_subrev_u32_e32 v46, 28, v50
	v_lshlrev_b64 v[46:47], v46, v[9:10]
	v_lshrrev_b32_e32 v49, 3, v1
	v_sub_u32_e32 v47, 29, v50
	v_cmp_gt_u32_e64 s[2:3], 8, v1
	v_cndmask_b32_e64 v1, v49, v47, s[2:3]
	v_lshl_add_u32 v1, v1, 10, v30
	v_lshlrev_b32_e32 v47, 8, v9
	v_and_b32_e32 v46, 7, v46
	v_and_b32_e32 v1, 0xfc00, v1
	v_cndmask_b32_e64 v46, v48, v46, s[2:3]
	v_and_or_b32 v1, v47, s34, v1
	v_lshl_or_b32 v46, v46, 7, v1
.LBB269_697:                            ;   in Loop: Header=BB269_393 Depth=1
	s_or_b64 exec, exec, s[24:25]
.LBB269_698:                            ;   in Loop: Header=BB269_393 Depth=1
	s_or_b64 exec, exec, s[18:19]
.LBB269_699:                            ;   in Loop: Header=BB269_393 Depth=1
	s_or_b64 exec, exec, s[16:17]
	v_lshrrev_b16_e32 v1, 8, v9
	v_cmp_ne_u16_e64 s[2:3], 0, v1
	s_and_saveexec_b64 s[16:17], s[2:3]
	s_cbranch_execz .LBB269_705
; %bb.700:                              ;   in Loop: Header=BB269_393 Depth=1
	v_cmp_ne_u16_e64 s[2:3], s29, v1
	v_bfrev_b32_e32 v13, 1
	s_and_saveexec_b64 s[18:19], s[2:3]
	s_cbranch_execz .LBB269_704
; %bb.701:                              ;   in Loop: Header=BB269_393 Depth=1
	v_and_b32_e32 v47, 0x7f, v1
	v_cmp_ne_u32_e64 s[2:3], s33, v47
	v_mov_b32_e32 v13, 0x7c010000
	s_and_saveexec_b64 s[24:25], s[2:3]
	s_cbranch_execz .LBB269_703
; %bb.702:                              ;   in Loop: Header=BB269_393 Depth=1
	v_and_b32_e32 v13, 7, v1
	v_ffbh_u32_e32 v48, v13
	v_min_u32_e32 v51, 32, v48
	v_subrev_u32_e32 v48, 28, v51
	v_lshlrev_b64 v[48:49], v48, v[1:2]
	v_lshrrev_b32_e32 v50, 3, v47
	v_sub_u32_e32 v49, 29, v51
	v_cmp_gt_u32_e64 s[2:3], 8, v47
	v_cndmask_b32_e64 v47, v50, v49, s[2:3]
	v_lshlrev_b32_e32 v1, 8, v1
	v_lshl_add_u32 v47, v47, 10, v30
	v_and_b32_e32 v48, 7, v48
	v_and_or_b32 v1, v1, s34, v47
	v_cndmask_b32_e64 v13, v13, v48, s[2:3]
	v_lshlrev_b32_e32 v1, 16, v1
	v_lshl_or_b32 v13, v13, 23, v1
.LBB269_703:                            ;   in Loop: Header=BB269_393 Depth=1
	s_or_b64 exec, exec, s[24:25]
.LBB269_704:                            ;   in Loop: Header=BB269_393 Depth=1
	s_or_b64 exec, exec, s[18:19]
.LBB269_705:                            ;   in Loop: Header=BB269_393 Depth=1
	s_or_b64 exec, exec, s[16:17]
	v_lshrrev_b32_e32 v1, 16, v9
	v_cmp_ne_u16_sdwa s[2:3], v1, v2 src0_sel:BYTE_0 src1_sel:DWORD
	v_mov_b32_e32 v47, 0
	v_mov_b32_e32 v48, 0
	s_and_saveexec_b64 s[16:17], s[2:3]
	s_cbranch_execz .LBB269_711
; %bb.706:                              ;   in Loop: Header=BB269_393 Depth=1
	v_cmp_ne_u16_sdwa s[2:3], v1, s29 src0_sel:BYTE_0 src1_sel:DWORD
	v_mov_b32_e32 v48, 0x8000
	s_and_saveexec_b64 s[18:19], s[2:3]
	s_cbranch_execz .LBB269_710
; %bb.707:                              ;   in Loop: Header=BB269_393 Depth=1
	v_bfe_u32 v49, v9, 16, 7
	v_cmp_ne_u32_e64 s[2:3], s33, v49
	v_mov_b32_e32 v48, 0x7c01
	s_and_saveexec_b64 s[24:25], s[2:3]
	s_cbranch_execz .LBB269_709
; %bb.708:                              ;   in Loop: Header=BB269_393 Depth=1
	v_and_b32_e32 v48, 7, v1
	v_ffbh_u32_e32 v50, v48
	v_min_u32_e32 v53, 32, v50
	v_subrev_u32_e32 v50, 28, v53
	v_lshlrev_b64 v[50:51], v50, v[1:2]
	v_lshrrev_b32_e32 v52, 3, v49
	v_sub_u32_e32 v51, 29, v53
	v_cmp_gt_u32_e64 s[2:3], 8, v49
	v_cndmask_b32_e64 v49, v52, v51, s[2:3]
	v_lshl_add_u32 v49, v49, 10, v30
	v_lshlrev_b32_e32 v1, 8, v1
	v_and_b32_e32 v50, 7, v50
	v_and_b32_e32 v49, 0xfc00, v49
	v_cndmask_b32_e64 v48, v48, v50, s[2:3]
	v_and_or_b32 v1, v1, s34, v49
	v_lshl_or_b32 v48, v48, 7, v1
.LBB269_709:                            ;   in Loop: Header=BB269_393 Depth=1
	s_or_b64 exec, exec, s[24:25]
.LBB269_710:                            ;   in Loop: Header=BB269_393 Depth=1
	s_or_b64 exec, exec, s[18:19]
.LBB269_711:                            ;   in Loop: Header=BB269_393 Depth=1
	s_or_b64 exec, exec, s[16:17]
	v_cmp_lt_u32_e64 s[2:3], s7, v9
	s_and_saveexec_b64 s[16:17], s[2:3]
	s_cbranch_execz .LBB269_717
; %bb.712:                              ;   in Loop: Header=BB269_393 Depth=1
	v_lshrrev_b32_e32 v1, 24, v9
	v_cmp_ne_u32_e64 s[2:3], s29, v1
	v_bfrev_b32_e32 v47, 1
	s_and_saveexec_b64 s[18:19], s[2:3]
	s_cbranch_execz .LBB269_716
; %bb.713:                              ;   in Loop: Header=BB269_393 Depth=1
	v_and_b32_e32 v49, 0x7f, v1
	v_cmp_ne_u32_e64 s[2:3], s33, v49
	v_mov_b32_e32 v47, 0x7c010000
	s_and_saveexec_b64 s[24:25], s[2:3]
	s_cbranch_execz .LBB269_715
; %bb.714:                              ;   in Loop: Header=BB269_393 Depth=1
	v_and_b32_e32 v47, 7, v1
	v_ffbh_u32_e32 v50, v47
	v_min_u32_e32 v53, 32, v50
	v_subrev_u32_e32 v50, 28, v53
	v_lshlrev_b64 v[50:51], v50, v[1:2]
	v_lshrrev_b32_e32 v52, 3, v49
	v_sub_u32_e32 v51, 29, v53
	v_cmp_gt_u32_e64 s[2:3], 8, v49
	v_cndmask_b32_e64 v49, v52, v51, s[2:3]
	v_lshlrev_b32_e32 v1, 8, v1
	v_lshl_add_u32 v49, v49, 10, v30
	v_and_b32_e32 v50, 7, v50
	v_and_or_b32 v1, v1, s34, v49
	v_cndmask_b32_e64 v47, v47, v50, s[2:3]
	v_lshlrev_b32_e32 v1, 16, v1
	v_lshl_or_b32 v47, v47, 23, v1
.LBB269_715:                            ;   in Loop: Header=BB269_393 Depth=1
	s_or_b64 exec, exec, s[24:25]
.LBB269_716:                            ;   in Loop: Header=BB269_393 Depth=1
	s_or_b64 exec, exec, s[18:19]
.LBB269_717:                            ;   in Loop: Header=BB269_393 Depth=1
	s_or_b64 exec, exec, s[16:17]
	v_mov_b32_e32 v1, v10
	v_cmp_ne_u16_sdwa s[2:3], v10, v2 src0_sel:BYTE_0 src1_sel:DWORD
	v_mov_b32_e32 v49, 0
	v_mov_b32_e32 v50, 0
	s_and_saveexec_b64 s[16:17], s[2:3]
	s_cbranch_execz .LBB269_723
; %bb.718:                              ;   in Loop: Header=BB269_393 Depth=1
	v_cmp_ne_u16_sdwa s[2:3], v10, s29 src0_sel:BYTE_0 src1_sel:DWORD
	v_mov_b32_e32 v50, 0x8000
	s_and_saveexec_b64 s[18:19], s[2:3]
	s_cbranch_execz .LBB269_722
; %bb.719:                              ;   in Loop: Header=BB269_393 Depth=1
	v_and_b32_e32 v51, 0x7f, v10
	v_cmp_ne_u32_e64 s[2:3], s33, v51
	v_mov_b32_e32 v50, 0x7c01
	s_and_saveexec_b64 s[24:25], s[2:3]
	s_cbranch_execz .LBB269_721
; %bb.720:                              ;   in Loop: Header=BB269_393 Depth=1
	v_and_b32_e32 v50, 7, v10
	v_ffbh_u32_e32 v52, v50
	v_min_u32_e32 v55, 32, v52
	v_subrev_u32_e32 v52, 28, v55
	v_lshlrev_b64 v[52:53], v52, v[1:2]
	v_lshrrev_b32_e32 v54, 3, v51
	v_sub_u32_e32 v53, 29, v55
	v_cmp_gt_u32_e64 s[2:3], 8, v51
	v_cndmask_b32_e64 v51, v54, v53, s[2:3]
	v_lshl_add_u32 v51, v51, 10, v30
	v_lshlrev_b32_e32 v53, 8, v10
	v_and_b32_e32 v52, 7, v52
	v_and_b32_e32 v51, 0xfc00, v51
	v_cndmask_b32_e64 v50, v50, v52, s[2:3]
	v_and_or_b32 v51, v53, s34, v51
	v_lshl_or_b32 v50, v50, 7, v51
.LBB269_721:                            ;   in Loop: Header=BB269_393 Depth=1
	s_or_b64 exec, exec, s[24:25]
.LBB269_722:                            ;   in Loop: Header=BB269_393 Depth=1
	s_or_b64 exec, exec, s[18:19]
.LBB269_723:                            ;   in Loop: Header=BB269_393 Depth=1
	s_or_b64 exec, exec, s[16:17]
	v_lshrrev_b16_e32 v1, 8, v1
	v_cmp_ne_u16_e64 s[2:3], 0, v1
	v_mov_b32_e32 v51, 0
	s_and_saveexec_b64 s[16:17], s[2:3]
	s_cbranch_execz .LBB269_729
; %bb.724:                              ;   in Loop: Header=BB269_393 Depth=1
	v_cmp_ne_u16_e64 s[2:3], s29, v1
	v_bfrev_b32_e32 v51, 1
	s_and_saveexec_b64 s[18:19], s[2:3]
	s_cbranch_execz .LBB269_728
; %bb.725:                              ;   in Loop: Header=BB269_393 Depth=1
	v_and_b32_e32 v52, 0x7f, v1
	v_cmp_ne_u32_e64 s[2:3], s33, v52
	v_mov_b32_e32 v51, 0x7c010000
	s_and_saveexec_b64 s[24:25], s[2:3]
	s_cbranch_execz .LBB269_727
; %bb.726:                              ;   in Loop: Header=BB269_393 Depth=1
	v_and_b32_e32 v51, 7, v1
	v_ffbh_u32_e32 v53, v51
	v_min_u32_e32 v56, 32, v53
	v_subrev_u32_e32 v53, 28, v56
	v_lshlrev_b64 v[53:54], v53, v[1:2]
	v_lshrrev_b32_e32 v55, 3, v52
	v_sub_u32_e32 v54, 29, v56
	v_cmp_gt_u32_e64 s[2:3], 8, v52
	v_cndmask_b32_e64 v52, v55, v54, s[2:3]
	v_lshlrev_b32_e32 v1, 8, v1
	v_lshl_add_u32 v52, v52, 10, v30
	v_and_b32_e32 v53, 7, v53
	v_and_or_b32 v1, v1, s34, v52
	v_cndmask_b32_e64 v51, v51, v53, s[2:3]
	v_lshlrev_b32_e32 v1, 16, v1
	v_lshl_or_b32 v51, v51, 23, v1
.LBB269_727:                            ;   in Loop: Header=BB269_393 Depth=1
	s_or_b64 exec, exec, s[24:25]
.LBB269_728:                            ;   in Loop: Header=BB269_393 Depth=1
	s_or_b64 exec, exec, s[18:19]
.LBB269_729:                            ;   in Loop: Header=BB269_393 Depth=1
	s_or_b64 exec, exec, s[16:17]
	v_lshrrev_b32_e32 v1, 16, v10
	v_cmp_ne_u16_sdwa s[2:3], v1, v2 src0_sel:BYTE_0 src1_sel:DWORD
	s_and_saveexec_b64 s[16:17], s[2:3]
	s_cbranch_execz .LBB269_735
; %bb.730:                              ;   in Loop: Header=BB269_393 Depth=1
	v_cmp_ne_u16_sdwa s[2:3], v1, s29 src0_sel:BYTE_0 src1_sel:DWORD
	v_mov_b32_e32 v49, 0x8000
	s_and_saveexec_b64 s[18:19], s[2:3]
	s_cbranch_execz .LBB269_734
; %bb.731:                              ;   in Loop: Header=BB269_393 Depth=1
	v_bfe_u32 v52, v10, 16, 7
	v_cmp_ne_u32_e64 s[2:3], s33, v52
	v_mov_b32_e32 v49, 0x7c01
	s_and_saveexec_b64 s[24:25], s[2:3]
	s_cbranch_execz .LBB269_733
; %bb.732:                              ;   in Loop: Header=BB269_393 Depth=1
	v_and_b32_e32 v49, 7, v1
	v_ffbh_u32_e32 v53, v49
	v_min_u32_e32 v56, 32, v53
	v_subrev_u32_e32 v53, 28, v56
	v_lshlrev_b64 v[53:54], v53, v[1:2]
	v_lshrrev_b32_e32 v55, 3, v52
	v_sub_u32_e32 v54, 29, v56
	v_cmp_gt_u32_e64 s[2:3], 8, v52
	v_cndmask_b32_e64 v52, v55, v54, s[2:3]
	v_lshl_add_u32 v52, v52, 10, v30
	v_lshlrev_b32_e32 v1, 8, v1
	v_and_b32_e32 v53, 7, v53
	v_and_b32_e32 v52, 0xfc00, v52
	v_cndmask_b32_e64 v49, v49, v53, s[2:3]
	v_and_or_b32 v1, v1, s34, v52
	v_lshl_or_b32 v49, v49, 7, v1
.LBB269_733:                            ;   in Loop: Header=BB269_393 Depth=1
	s_or_b64 exec, exec, s[24:25]
.LBB269_734:                            ;   in Loop: Header=BB269_393 Depth=1
	s_or_b64 exec, exec, s[18:19]
.LBB269_735:                            ;   in Loop: Header=BB269_393 Depth=1
	s_or_b64 exec, exec, s[16:17]
	v_cmp_lt_u64_e64 s[2:3], s[6:7], v[9:10]
	v_mov_b32_e32 v52, 0
	s_and_saveexec_b64 s[16:17], s[2:3]
	s_cbranch_execz .LBB269_741
; %bb.736:                              ;   in Loop: Header=BB269_393 Depth=1
	v_lshrrev_b32_e32 v1, 24, v10
	v_cmp_ne_u32_e64 s[2:3], s29, v1
	v_bfrev_b32_e32 v52, 1
	s_and_saveexec_b64 s[18:19], s[2:3]
	s_cbranch_execz .LBB269_740
; %bb.737:                              ;   in Loop: Header=BB269_393 Depth=1
	v_and_b32_e32 v9, 0x7f, v1
	v_cmp_ne_u32_e64 s[2:3], s33, v9
	v_mov_b32_e32 v52, 0x7c010000
	s_and_saveexec_b64 s[24:25], s[2:3]
	s_cbranch_execz .LBB269_739
; %bb.738:                              ;   in Loop: Header=BB269_393 Depth=1
	v_and_b32_e32 v10, 7, v1
	v_ffbh_u32_e32 v52, v10
	v_min_u32_e32 v55, 32, v52
	v_subrev_u32_e32 v52, 28, v55
	v_lshlrev_b64 v[52:53], v52, v[1:2]
	v_lshrrev_b32_e32 v54, 3, v9
	v_sub_u32_e32 v53, 29, v55
	v_cmp_gt_u32_e64 s[2:3], 8, v9
	v_cndmask_b32_e64 v9, v54, v53, s[2:3]
	v_lshlrev_b32_e32 v1, 8, v1
	v_lshl_add_u32 v9, v9, 10, v30
	v_and_b32_e32 v52, 7, v52
	v_and_or_b32 v1, v1, s34, v9
	v_cndmask_b32_e64 v10, v10, v52, s[2:3]
	v_lshlrev_b32_e32 v1, 16, v1
	v_lshl_or_b32 v52, v10, 23, v1
.LBB269_739:                            ;   in Loop: Header=BB269_393 Depth=1
	s_or_b64 exec, exec, s[24:25]
.LBB269_740:                            ;   in Loop: Header=BB269_393 Depth=1
	s_or_b64 exec, exec, s[18:19]
.LBB269_741:                            ;   in Loop: Header=BB269_393 Depth=1
	s_or_b64 exec, exec, s[16:17]
	s_waitcnt vmcnt(0)
	v_fma_mixlo_f16 v9, v12, v47, 0 op_sel:[0,1,0] op_sel_hi:[0,1,0]
	v_or_b32_e32 v1, v47, v48
	v_lshlrev_b32_e32 v10, 16, v9
	v_or_b32_e32 v9, v13, v46
	v_fma_mixlo_f16 v13, v12, v13, 0 op_sel:[0,1,0] op_sel_hi:[0,1,0]
	v_or_b32_e32 v46, v51, v50
	v_or_b32_e32 v48, v52, v49
	v_fma_mixlo_f16 v1, v12, v1, 0 op_sel_hi:[0,1,0]
	v_lshlrev_b32_e32 v53, 16, v13
	v_fma_mixlo_f16 v9, v12, v9, 0 op_sel_hi:[0,1,0]
	v_fma_mixlo_f16 v13, v12, v51, 0 op_sel:[0,1,0] op_sel_hi:[0,1,0]
	v_fma_mixlo_f16 v46, v12, v46, 0 op_sel_hi:[0,1,0]
	v_fma_mixlo_f16 v48, v12, v48, 0 op_sel_hi:[0,1,0]
	v_fma_mixlo_f16 v12, v12, v52, 0 op_sel:[0,1,0] op_sel_hi:[0,1,0]
	v_and_b32_e32 v47, 0xffff, v1
	v_and_b32_e32 v54, 0xffff, v9
	v_lshlrev_b32_e32 v13, 16, v13
	v_and_b32_e32 v50, 0xffff, v46
	v_lshlrev_b32_e32 v12, 16, v12
	v_and_b32_e32 v48, 0xffff, v48
	v_or_b32_e32 v1, v10, v47
	v_or_b32_e32 v9, v53, v54
	v_or_b32_e32 v46, v13, v50
	v_or_b32_e32 v49, v12, v48
	s_and_saveexec_b64 s[16:17], s[0:1]
	s_cbranch_execz .LBB269_743
; %bb.742:                              ;   in Loop: Header=BB269_393 Depth=1
	v_cmp_gt_i32_e64 s[2:3], s30, v31
	v_add_u32_e32 v9, -6, v28
	v_cndmask_b32_e64 v1, 0, v54, s[2:3]
	v_cmp_gt_i32_e64 s[2:3], s30, v9
	v_cndmask_b32_e64 v9, 0, v53, s[2:3]
	v_or_b32_e32 v9, v9, v1
	v_add_u32_e32 v1, -5, v28
	v_cmp_gt_i32_e64 s[2:3], s30, v1
	v_add_u32_e32 v46, -4, v28
	v_cndmask_b32_e64 v1, 0, v47, s[2:3]
	v_cmp_gt_i32_e64 s[2:3], s30, v46
	v_cndmask_b32_e64 v10, 0, v10, s[2:3]
	v_or_b32_e32 v1, v10, v1
	v_add_u32_e32 v10, -3, v28
	;; [unrolled: 7-line block ×3, first 2 shown]
	v_cmp_gt_i32_e64 s[2:3], s30, v10
	v_cndmask_b32_e64 v10, 0, v48, s[2:3]
	v_cmp_gt_i32_e64 s[2:3], s30, v28
	v_cndmask_b32_e64 v12, 0, v12, s[2:3]
	v_or_b32_e32 v49, v12, v10
.LBB269_743:                            ;   in Loop: Header=BB269_393 Depth=1
	s_or_b64 exec, exec, s[16:17]
	;;#ASMSTART
	v_pk_mul_f16 v9, v37, v9;

	;;#ASMEND
	;;#ASMSTART
	v_pk_mul_f16 v1, v36, v1;

	;;#ASMEND
	;; [unrolled: 4-line block ×4, first 2 shown]
	;;#ASMSTART
	v_pk_add_f16 v1, v9, v1;

	;;#ASMEND
	;;#ASMSTART
	v_pk_add_f16 v1, v1, v10;

	;;#ASMEND
	;; [unrolled: 4-line block ×3, first 2 shown]
	v_lshrrev_b32_e32 v10, 16, v1
	v_and_b32_e32 v1, 0xffff, v1
	;;#ASMSTART
	v_cvt_f32_f16 v9, v1;
	;;#ASMEND
	;;#ASMSTART
	v_cvt_f32_f16 v10, v10;
	;;#ASMEND
	s_and_saveexec_b64 s[16:17], vcc
	s_cbranch_execz .LBB269_392
; %bb.744:                              ;   in Loop: Header=BB269_393 Depth=1
	v_add_co_u32_e64 v7, s[2:3], v7, v27
	v_addc_co_u32_e64 v8, s[2:3], 0, v8, s[2:3]
	global_load_dwordx2 v[7:8], v[7:8], off
	v_mov_b32_e32 v13, 0
	global_load_dword v12, v13, s[14:15]
	v_mov_b32_e32 v46, 0
	s_waitcnt vmcnt(1)
	v_cmp_ne_u16_sdwa s[2:3], v7, v2 src0_sel:BYTE_0 src1_sel:DWORD
	s_and_saveexec_b64 s[18:19], s[2:3]
	s_cbranch_execz .LBB269_750
; %bb.745:                              ;   in Loop: Header=BB269_393 Depth=1
	v_cmp_ne_u16_sdwa s[2:3], v7, s29 src0_sel:BYTE_0 src1_sel:DWORD
	v_mov_b32_e32 v46, 0x8000
	s_and_saveexec_b64 s[24:25], s[2:3]
	s_cbranch_execz .LBB269_749
; %bb.746:                              ;   in Loop: Header=BB269_393 Depth=1
	v_and_b32_e32 v1, 0x7f, v7
	v_cmp_ne_u32_e64 s[2:3], s33, v1
	v_mov_b32_e32 v46, 0x7c01
	s_and_saveexec_b64 s[26:27], s[2:3]
	s_cbranch_execz .LBB269_748
; %bb.747:                              ;   in Loop: Header=BB269_393 Depth=1
	v_and_b32_e32 v48, 7, v7
	v_ffbh_u32_e32 v46, v48
	v_min_u32_e32 v50, 32, v46
	v_subrev_u32_e32 v46, 28, v50
	v_lshlrev_b64 v[46:47], v46, v[7:8]
	v_lshrrev_b32_e32 v49, 3, v1
	v_sub_u32_e32 v47, 29, v50
	v_cmp_gt_u32_e64 s[2:3], 8, v1
	v_cndmask_b32_e64 v1, v49, v47, s[2:3]
	v_lshl_add_u32 v1, v1, 10, v30
	v_lshlrev_b32_e32 v47, 8, v7
	v_and_b32_e32 v46, 7, v46
	v_and_b32_e32 v1, 0xfc00, v1
	v_cndmask_b32_e64 v46, v48, v46, s[2:3]
	v_and_or_b32 v1, v47, s34, v1
	v_lshl_or_b32 v46, v46, 7, v1
.LBB269_748:                            ;   in Loop: Header=BB269_393 Depth=1
	s_or_b64 exec, exec, s[26:27]
.LBB269_749:                            ;   in Loop: Header=BB269_393 Depth=1
	s_or_b64 exec, exec, s[24:25]
.LBB269_750:                            ;   in Loop: Header=BB269_393 Depth=1
	s_or_b64 exec, exec, s[18:19]
	v_lshrrev_b16_e32 v1, 8, v7
	v_cmp_ne_u16_e64 s[2:3], 0, v1
	s_and_saveexec_b64 s[18:19], s[2:3]
	s_cbranch_execz .LBB269_756
; %bb.751:                              ;   in Loop: Header=BB269_393 Depth=1
	v_cmp_ne_u16_e64 s[2:3], s29, v1
	v_bfrev_b32_e32 v13, 1
	s_and_saveexec_b64 s[24:25], s[2:3]
	s_cbranch_execz .LBB269_755
; %bb.752:                              ;   in Loop: Header=BB269_393 Depth=1
	v_and_b32_e32 v47, 0x7f, v1
	v_cmp_ne_u32_e64 s[2:3], s33, v47
	v_mov_b32_e32 v13, 0x7c010000
	s_and_saveexec_b64 s[26:27], s[2:3]
	s_cbranch_execz .LBB269_754
; %bb.753:                              ;   in Loop: Header=BB269_393 Depth=1
	v_and_b32_e32 v13, 7, v1
	v_ffbh_u32_e32 v48, v13
	v_min_u32_e32 v51, 32, v48
	v_subrev_u32_e32 v48, 28, v51
	v_lshlrev_b64 v[48:49], v48, v[1:2]
	v_lshrrev_b32_e32 v50, 3, v47
	v_sub_u32_e32 v49, 29, v51
	v_cmp_gt_u32_e64 s[2:3], 8, v47
	v_cndmask_b32_e64 v47, v50, v49, s[2:3]
	v_lshlrev_b32_e32 v1, 8, v1
	v_lshl_add_u32 v47, v47, 10, v30
	v_and_b32_e32 v48, 7, v48
	v_and_or_b32 v1, v1, s34, v47
	v_cndmask_b32_e64 v13, v13, v48, s[2:3]
	v_lshlrev_b32_e32 v1, 16, v1
	v_lshl_or_b32 v13, v13, 23, v1
.LBB269_754:                            ;   in Loop: Header=BB269_393 Depth=1
	s_or_b64 exec, exec, s[26:27]
.LBB269_755:                            ;   in Loop: Header=BB269_393 Depth=1
	s_or_b64 exec, exec, s[24:25]
.LBB269_756:                            ;   in Loop: Header=BB269_393 Depth=1
	s_or_b64 exec, exec, s[18:19]
	v_lshrrev_b32_e32 v1, 16, v7
	v_cmp_ne_u16_sdwa s[2:3], v1, v2 src0_sel:BYTE_0 src1_sel:DWORD
	v_mov_b32_e32 v47, 0
	v_mov_b32_e32 v48, 0
	s_and_saveexec_b64 s[18:19], s[2:3]
	s_cbranch_execz .LBB269_762
; %bb.757:                              ;   in Loop: Header=BB269_393 Depth=1
	v_cmp_ne_u16_sdwa s[2:3], v1, s29 src0_sel:BYTE_0 src1_sel:DWORD
	v_mov_b32_e32 v48, 0x8000
	s_and_saveexec_b64 s[24:25], s[2:3]
	s_cbranch_execz .LBB269_761
; %bb.758:                              ;   in Loop: Header=BB269_393 Depth=1
	v_bfe_u32 v49, v7, 16, 7
	v_cmp_ne_u32_e64 s[2:3], s33, v49
	v_mov_b32_e32 v48, 0x7c01
	s_and_saveexec_b64 s[26:27], s[2:3]
	s_cbranch_execz .LBB269_760
; %bb.759:                              ;   in Loop: Header=BB269_393 Depth=1
	v_and_b32_e32 v48, 7, v1
	v_ffbh_u32_e32 v50, v48
	v_min_u32_e32 v53, 32, v50
	v_subrev_u32_e32 v50, 28, v53
	v_lshlrev_b64 v[50:51], v50, v[1:2]
	v_lshrrev_b32_e32 v52, 3, v49
	v_sub_u32_e32 v51, 29, v53
	v_cmp_gt_u32_e64 s[2:3], 8, v49
	v_cndmask_b32_e64 v49, v52, v51, s[2:3]
	v_lshl_add_u32 v49, v49, 10, v30
	v_lshlrev_b32_e32 v1, 8, v1
	v_and_b32_e32 v50, 7, v50
	v_and_b32_e32 v49, 0xfc00, v49
	v_cndmask_b32_e64 v48, v48, v50, s[2:3]
	v_and_or_b32 v1, v1, s34, v49
	v_lshl_or_b32 v48, v48, 7, v1
.LBB269_760:                            ;   in Loop: Header=BB269_393 Depth=1
	s_or_b64 exec, exec, s[26:27]
.LBB269_761:                            ;   in Loop: Header=BB269_393 Depth=1
	s_or_b64 exec, exec, s[24:25]
.LBB269_762:                            ;   in Loop: Header=BB269_393 Depth=1
	s_or_b64 exec, exec, s[18:19]
	v_cmp_lt_u32_e64 s[2:3], s7, v7
	s_and_saveexec_b64 s[18:19], s[2:3]
	s_cbranch_execz .LBB269_768
; %bb.763:                              ;   in Loop: Header=BB269_393 Depth=1
	v_lshrrev_b32_e32 v1, 24, v7
	v_cmp_ne_u32_e64 s[2:3], s29, v1
	v_bfrev_b32_e32 v47, 1
	s_and_saveexec_b64 s[24:25], s[2:3]
	s_cbranch_execz .LBB269_767
; %bb.764:                              ;   in Loop: Header=BB269_393 Depth=1
	v_and_b32_e32 v49, 0x7f, v1
	v_cmp_ne_u32_e64 s[2:3], s33, v49
	v_mov_b32_e32 v47, 0x7c010000
	s_and_saveexec_b64 s[26:27], s[2:3]
	s_cbranch_execz .LBB269_766
; %bb.765:                              ;   in Loop: Header=BB269_393 Depth=1
	v_and_b32_e32 v47, 7, v1
	v_ffbh_u32_e32 v50, v47
	v_min_u32_e32 v53, 32, v50
	v_subrev_u32_e32 v50, 28, v53
	v_lshlrev_b64 v[50:51], v50, v[1:2]
	v_lshrrev_b32_e32 v52, 3, v49
	v_sub_u32_e32 v51, 29, v53
	v_cmp_gt_u32_e64 s[2:3], 8, v49
	v_cndmask_b32_e64 v49, v52, v51, s[2:3]
	v_lshlrev_b32_e32 v1, 8, v1
	v_lshl_add_u32 v49, v49, 10, v30
	v_and_b32_e32 v50, 7, v50
	v_and_or_b32 v1, v1, s34, v49
	v_cndmask_b32_e64 v47, v47, v50, s[2:3]
	v_lshlrev_b32_e32 v1, 16, v1
	v_lshl_or_b32 v47, v47, 23, v1
.LBB269_766:                            ;   in Loop: Header=BB269_393 Depth=1
	s_or_b64 exec, exec, s[26:27]
.LBB269_767:                            ;   in Loop: Header=BB269_393 Depth=1
	s_or_b64 exec, exec, s[24:25]
.LBB269_768:                            ;   in Loop: Header=BB269_393 Depth=1
	s_or_b64 exec, exec, s[18:19]
	v_mov_b32_e32 v1, v8
	v_cmp_ne_u16_sdwa s[2:3], v8, v2 src0_sel:BYTE_0 src1_sel:DWORD
	v_mov_b32_e32 v49, 0
	v_mov_b32_e32 v50, 0
	s_and_saveexec_b64 s[18:19], s[2:3]
	s_cbranch_execz .LBB269_774
; %bb.769:                              ;   in Loop: Header=BB269_393 Depth=1
	v_cmp_ne_u16_sdwa s[2:3], v8, s29 src0_sel:BYTE_0 src1_sel:DWORD
	v_mov_b32_e32 v50, 0x8000
	s_and_saveexec_b64 s[24:25], s[2:3]
	s_cbranch_execz .LBB269_773
; %bb.770:                              ;   in Loop: Header=BB269_393 Depth=1
	v_and_b32_e32 v51, 0x7f, v8
	v_cmp_ne_u32_e64 s[2:3], s33, v51
	v_mov_b32_e32 v50, 0x7c01
	s_and_saveexec_b64 s[26:27], s[2:3]
	s_cbranch_execz .LBB269_772
; %bb.771:                              ;   in Loop: Header=BB269_393 Depth=1
	v_and_b32_e32 v50, 7, v8
	v_ffbh_u32_e32 v52, v50
	v_min_u32_e32 v55, 32, v52
	v_subrev_u32_e32 v52, 28, v55
	v_lshlrev_b64 v[52:53], v52, v[1:2]
	v_lshrrev_b32_e32 v54, 3, v51
	v_sub_u32_e32 v53, 29, v55
	v_cmp_gt_u32_e64 s[2:3], 8, v51
	v_cndmask_b32_e64 v51, v54, v53, s[2:3]
	v_lshl_add_u32 v51, v51, 10, v30
	v_lshlrev_b32_e32 v53, 8, v8
	v_and_b32_e32 v52, 7, v52
	v_and_b32_e32 v51, 0xfc00, v51
	v_cndmask_b32_e64 v50, v50, v52, s[2:3]
	v_and_or_b32 v51, v53, s34, v51
	v_lshl_or_b32 v50, v50, 7, v51
.LBB269_772:                            ;   in Loop: Header=BB269_393 Depth=1
	s_or_b64 exec, exec, s[26:27]
.LBB269_773:                            ;   in Loop: Header=BB269_393 Depth=1
	s_or_b64 exec, exec, s[24:25]
.LBB269_774:                            ;   in Loop: Header=BB269_393 Depth=1
	s_or_b64 exec, exec, s[18:19]
	v_lshrrev_b16_e32 v1, 8, v1
	v_cmp_ne_u16_e64 s[2:3], 0, v1
	v_mov_b32_e32 v51, 0
	s_and_saveexec_b64 s[18:19], s[2:3]
	s_cbranch_execz .LBB269_780
; %bb.775:                              ;   in Loop: Header=BB269_393 Depth=1
	v_cmp_ne_u16_e64 s[2:3], s29, v1
	v_bfrev_b32_e32 v51, 1
	s_and_saveexec_b64 s[24:25], s[2:3]
	s_cbranch_execz .LBB269_779
; %bb.776:                              ;   in Loop: Header=BB269_393 Depth=1
	v_and_b32_e32 v52, 0x7f, v1
	v_cmp_ne_u32_e64 s[2:3], s33, v52
	v_mov_b32_e32 v51, 0x7c010000
	s_and_saveexec_b64 s[26:27], s[2:3]
	s_cbranch_execz .LBB269_778
; %bb.777:                              ;   in Loop: Header=BB269_393 Depth=1
	v_and_b32_e32 v51, 7, v1
	v_ffbh_u32_e32 v53, v51
	v_min_u32_e32 v56, 32, v53
	v_subrev_u32_e32 v53, 28, v56
	v_lshlrev_b64 v[53:54], v53, v[1:2]
	v_lshrrev_b32_e32 v55, 3, v52
	v_sub_u32_e32 v54, 29, v56
	v_cmp_gt_u32_e64 s[2:3], 8, v52
	v_cndmask_b32_e64 v52, v55, v54, s[2:3]
	v_lshlrev_b32_e32 v1, 8, v1
	v_lshl_add_u32 v52, v52, 10, v30
	v_and_b32_e32 v53, 7, v53
	v_and_or_b32 v1, v1, s34, v52
	v_cndmask_b32_e64 v51, v51, v53, s[2:3]
	v_lshlrev_b32_e32 v1, 16, v1
	v_lshl_or_b32 v51, v51, 23, v1
.LBB269_778:                            ;   in Loop: Header=BB269_393 Depth=1
	s_or_b64 exec, exec, s[26:27]
.LBB269_779:                            ;   in Loop: Header=BB269_393 Depth=1
	s_or_b64 exec, exec, s[24:25]
.LBB269_780:                            ;   in Loop: Header=BB269_393 Depth=1
	s_or_b64 exec, exec, s[18:19]
	v_lshrrev_b32_e32 v1, 16, v8
	v_cmp_ne_u16_sdwa s[2:3], v1, v2 src0_sel:BYTE_0 src1_sel:DWORD
	s_and_saveexec_b64 s[18:19], s[2:3]
	s_cbranch_execz .LBB269_786
; %bb.781:                              ;   in Loop: Header=BB269_393 Depth=1
	v_cmp_ne_u16_sdwa s[2:3], v1, s29 src0_sel:BYTE_0 src1_sel:DWORD
	v_mov_b32_e32 v49, 0x8000
	s_and_saveexec_b64 s[24:25], s[2:3]
	s_cbranch_execz .LBB269_785
; %bb.782:                              ;   in Loop: Header=BB269_393 Depth=1
	v_bfe_u32 v52, v8, 16, 7
	v_cmp_ne_u32_e64 s[2:3], s33, v52
	v_mov_b32_e32 v49, 0x7c01
	s_and_saveexec_b64 s[26:27], s[2:3]
	s_cbranch_execz .LBB269_784
; %bb.783:                              ;   in Loop: Header=BB269_393 Depth=1
	v_and_b32_e32 v49, 7, v1
	v_ffbh_u32_e32 v53, v49
	v_min_u32_e32 v56, 32, v53
	v_subrev_u32_e32 v53, 28, v56
	v_lshlrev_b64 v[53:54], v53, v[1:2]
	v_lshrrev_b32_e32 v55, 3, v52
	v_sub_u32_e32 v54, 29, v56
	v_cmp_gt_u32_e64 s[2:3], 8, v52
	v_cndmask_b32_e64 v52, v55, v54, s[2:3]
	v_lshl_add_u32 v52, v52, 10, v30
	v_lshlrev_b32_e32 v1, 8, v1
	v_and_b32_e32 v53, 7, v53
	v_and_b32_e32 v52, 0xfc00, v52
	v_cndmask_b32_e64 v49, v49, v53, s[2:3]
	v_and_or_b32 v1, v1, s34, v52
	v_lshl_or_b32 v49, v49, 7, v1
.LBB269_784:                            ;   in Loop: Header=BB269_393 Depth=1
	s_or_b64 exec, exec, s[26:27]
.LBB269_785:                            ;   in Loop: Header=BB269_393 Depth=1
	s_or_b64 exec, exec, s[24:25]
.LBB269_786:                            ;   in Loop: Header=BB269_393 Depth=1
	s_or_b64 exec, exec, s[18:19]
	v_cmp_lt_u64_e64 s[2:3], s[6:7], v[7:8]
	v_mov_b32_e32 v52, 0
	s_and_saveexec_b64 s[18:19], s[2:3]
	s_cbranch_execz .LBB269_792
; %bb.787:                              ;   in Loop: Header=BB269_393 Depth=1
	v_lshrrev_b32_e32 v1, 24, v8
	v_cmp_ne_u32_e64 s[2:3], s29, v1
	v_bfrev_b32_e32 v52, 1
	s_and_saveexec_b64 s[24:25], s[2:3]
	s_cbranch_execz .LBB269_791
; %bb.788:                              ;   in Loop: Header=BB269_393 Depth=1
	v_and_b32_e32 v7, 0x7f, v1
	v_cmp_ne_u32_e64 s[2:3], s33, v7
	v_mov_b32_e32 v52, 0x7c010000
	s_and_saveexec_b64 s[26:27], s[2:3]
	s_cbranch_execz .LBB269_790
; %bb.789:                              ;   in Loop: Header=BB269_393 Depth=1
	v_and_b32_e32 v8, 7, v1
	v_ffbh_u32_e32 v52, v8
	v_min_u32_e32 v55, 32, v52
	v_subrev_u32_e32 v52, 28, v55
	v_lshlrev_b64 v[52:53], v52, v[1:2]
	v_lshrrev_b32_e32 v54, 3, v7
	v_sub_u32_e32 v53, 29, v55
	v_cmp_gt_u32_e64 s[2:3], 8, v7
	v_cndmask_b32_e64 v7, v54, v53, s[2:3]
	v_lshlrev_b32_e32 v1, 8, v1
	v_lshl_add_u32 v7, v7, 10, v30
	v_and_b32_e32 v52, 7, v52
	v_and_or_b32 v1, v1, s34, v7
	v_cndmask_b32_e64 v8, v8, v52, s[2:3]
	v_lshlrev_b32_e32 v1, 16, v1
	v_lshl_or_b32 v52, v8, 23, v1
.LBB269_790:                            ;   in Loop: Header=BB269_393 Depth=1
	s_or_b64 exec, exec, s[26:27]
.LBB269_791:                            ;   in Loop: Header=BB269_393 Depth=1
	s_or_b64 exec, exec, s[24:25]
.LBB269_792:                            ;   in Loop: Header=BB269_393 Depth=1
	s_or_b64 exec, exec, s[18:19]
	s_waitcnt vmcnt(0)
	v_fma_mixlo_f16 v7, v12, v47, 0 op_sel:[0,1,0] op_sel_hi:[0,1,0]
	v_lshlrev_b32_e32 v8, 16, v7
	v_or_b32_e32 v7, v13, v46
	v_fma_mixlo_f16 v13, v12, v13, 0 op_sel:[0,1,0] op_sel_hi:[0,1,0]
	v_or_b32_e32 v1, v47, v48
	v_lshlrev_b32_e32 v53, 16, v13
	v_or_b32_e32 v13, v51, v50
	v_or_b32_e32 v48, v52, v49
	v_fma_mixlo_f16 v1, v12, v1, 0 op_sel_hi:[0,1,0]
	v_fma_mixlo_f16 v7, v12, v7, 0 op_sel_hi:[0,1,0]
	v_fma_mixlo_f16 v46, v12, v51, 0 op_sel:[0,1,0] op_sel_hi:[0,1,0]
	v_fma_mixlo_f16 v13, v12, v13, 0 op_sel_hi:[0,1,0]
	v_fma_mixlo_f16 v48, v12, v48, 0 op_sel_hi:[0,1,0]
	v_fma_mixlo_f16 v12, v12, v52, 0 op_sel:[0,1,0] op_sel_hi:[0,1,0]
	v_and_b32_e32 v47, 0xffff, v1
	v_and_b32_e32 v54, 0xffff, v7
	v_lshlrev_b32_e32 v46, 16, v46
	v_and_b32_e32 v50, 0xffff, v13
	v_lshlrev_b32_e32 v12, 16, v12
	v_and_b32_e32 v48, 0xffff, v48
	v_or_b32_e32 v1, v8, v47
	v_or_b32_e32 v7, v53, v54
	;; [unrolled: 1-line block ×4, first 2 shown]
	s_and_saveexec_b64 s[2:3], s[0:1]
	s_cbranch_execz .LBB269_391
; %bb.793:                              ;   in Loop: Header=BB269_393 Depth=1
	v_cmp_gt_i32_e64 s[0:1], s30, v31
	v_add_u32_e32 v7, -6, v28
	v_cndmask_b32_e64 v1, 0, v54, s[0:1]
	v_cmp_gt_i32_e64 s[0:1], s30, v7
	v_cndmask_b32_e64 v7, 0, v53, s[0:1]
	v_or_b32_e32 v7, v7, v1
	v_add_u32_e32 v1, -5, v28
	v_cmp_gt_i32_e64 s[0:1], s30, v1
	v_add_u32_e32 v13, -4, v28
	v_cndmask_b32_e64 v1, 0, v47, s[0:1]
	v_cmp_gt_i32_e64 s[0:1], s30, v13
	v_cndmask_b32_e64 v8, 0, v8, s[0:1]
	v_or_b32_e32 v1, v8, v1
	v_add_u32_e32 v8, -3, v28
	;; [unrolled: 7-line block ×3, first 2 shown]
	v_cmp_gt_i32_e64 s[0:1], s30, v8
	v_cndmask_b32_e64 v8, 0, v48, s[0:1]
	v_cmp_gt_i32_e64 s[0:1], s30, v28
	v_cndmask_b32_e64 v12, 0, v12, s[0:1]
	v_or_b32_e32 v49, v12, v8
	s_branch .LBB269_391
.LBB269_794:
	s_or_b64 exec, exec, s[12:13]
.LBB269_795:
	s_or_b64 exec, exec, s[4:5]
	ds_bpermute_b32 v0, v14, v24
	ds_bpermute_b32 v1, v14, v25
	;; [unrolled: 1-line block ×5, first 2 shown]
	s_waitcnt lgkmcnt(4)
	v_add_f32_e32 v0, v24, v0
	s_waitcnt lgkmcnt(3)
	v_add_f32_e32 v1, v25, v1
	ds_bpermute_b32 v3, v15, v0
	s_waitcnt lgkmcnt(3)
	v_add_f32_e32 v2, v23, v2
	ds_bpermute_b32 v4, v15, v1
	ds_bpermute_b32 v5, v15, v2
	s_waitcnt lgkmcnt(3)
	v_add_f32_e32 v9, v19, v9
	s_waitcnt lgkmcnt(2)
	v_add_f32_e32 v8, v0, v3
	ds_bpermute_b32 v0, v14, v21
	s_waitcnt lgkmcnt(2)
	v_add_f32_e32 v6, v1, v4
	s_waitcnt lgkmcnt(1)
	v_add_f32_e32 v4, v2, v5
	ds_bpermute_b32 v3, v14, v20
	ds_bpermute_b32 v5, v14, v18
	s_waitcnt lgkmcnt(2)
	v_add_f32_e32 v0, v21, v0
	v_add_f32_e32 v1, v22, v7
	ds_bpermute_b32 v7, v15, v0
	s_waitcnt lgkmcnt(2)
	v_add_f32_e32 v10, v20, v3
	s_waitcnt lgkmcnt(1)
	v_add_f32_e32 v12, v18, v5
	ds_bpermute_b32 v2, v15, v1
	ds_bpermute_b32 v11, v15, v10
	;; [unrolled: 1-line block ×4, first 2 shown]
	s_waitcnt lgkmcnt(4)
	v_add_f32_e32 v3, v0, v7
	v_and_b32_e32 v7, 0x3c0, v57
	s_waitcnt lgkmcnt(3)
	v_add_f32_e32 v5, v1, v2
	s_waitcnt lgkmcnt(2)
	v_add_f32_e32 v2, v10, v11
	;; [unrolled: 2-line block ×4, first 2 shown]
	v_cmp_eq_u32_e64 s[0:1], 64, v7
	v_cmp_eq_u32_e32 vcc, 0, v17
	s_barrier
	s_and_saveexec_b64 s[2:3], s[0:1]
	s_cbranch_execz .LBB269_800
; %bb.796:
	s_and_saveexec_b64 s[0:1], vcc
	s_cbranch_execz .LBB269_798
; %bb.797:
	v_mov_b32_e32 v7, 0x100
	v_lshl_add_u32 v7, v16, 2, v7
	ds_write2_b32 v7, v8, v6 offset1:16
	ds_write2_b32 v7, v4, v5 offset0:32 offset1:48
	ds_write2_b32 v7, v3, v2 offset0:64 offset1:80
	ds_write_b32 v7, v1 offset:384
.LBB269_798:
	s_or_b64 exec, exec, s[0:1]
	v_or_b32_e32 v7, 0x70, v16
	s_movk_i32 s0, 0x78
	v_cmp_gt_u32_e64 s[0:1], s0, v7
	s_and_b64 s[0:1], vcc, s[0:1]
	s_and_b64 exec, exec, s[0:1]
; %bb.799:
	v_mov_b32_e32 v7, 0x100
	v_lshl_add_u32 v7, v16, 2, v7
	ds_write_b32 v7, v0 offset:448
.LBB269_800:
	s_or_b64 exec, exec, s[2:3]
	v_cmp_gt_u32_e64 s[0:1], 64, v57
	v_lshrrev_b32_e32 v7, 2, v57
	s_waitcnt lgkmcnt(0)
	s_barrier
	s_and_saveexec_b64 s[4:5], s[0:1]
	s_cbranch_execz .LBB269_818
; %bb.801:
	s_and_saveexec_b64 s[2:3], vcc
	s_cbranch_execz .LBB269_803
; %bb.802:
	v_mov_b32_e32 v9, 0x100
	v_lshl_add_u32 v9, v7, 2, v9
	ds_read_b32 v9, v9
	s_waitcnt lgkmcnt(0)
	v_add_f32_e32 v8, v8, v9
.LBB269_803:
	s_or_b64 exec, exec, s[2:3]
	v_or_b32_e32 v9, 16, v7
	s_movk_i32 s6, 0x78
	v_cmp_gt_u32_e64 s[2:3], s6, v9
	s_and_b64 s[12:13], vcc, s[2:3]
	s_and_saveexec_b64 s[2:3], s[12:13]
	s_cbranch_execz .LBB269_805
; %bb.804:
	v_mov_b32_e32 v9, 0x100
	v_lshl_add_u32 v9, v7, 2, v9
	ds_read_b32 v9, v9 offset:64
	s_waitcnt lgkmcnt(0)
	v_add_f32_e32 v6, v6, v9
.LBB269_805:
	s_or_b64 exec, exec, s[2:3]
	v_or_b32_e32 v9, 32, v7
	v_cmp_gt_u32_e64 s[2:3], s6, v9
	s_and_b64 s[6:7], vcc, s[2:3]
	s_and_saveexec_b64 s[2:3], s[6:7]
	s_cbranch_execz .LBB269_807
; %bb.806:
	v_mov_b32_e32 v9, 0x100
	v_lshl_add_u32 v9, v7, 2, v9
	ds_read_b32 v9, v9 offset:128
	s_waitcnt lgkmcnt(0)
	v_add_f32_e32 v4, v4, v9
.LBB269_807:
	s_or_b64 exec, exec, s[2:3]
	v_or_b32_e32 v9, 48, v7
	s_movk_i32 s6, 0x78
	v_cmp_gt_u32_e64 s[2:3], s6, v9
	s_and_b64 s[12:13], vcc, s[2:3]
	s_and_saveexec_b64 s[2:3], s[12:13]
	s_cbranch_execz .LBB269_809
; %bb.808:
	v_mov_b32_e32 v9, 0x100
	v_lshl_add_u32 v9, v7, 2, v9
	ds_read_b32 v9, v9 offset:192
	s_waitcnt lgkmcnt(0)
	v_add_f32_e32 v5, v5, v9
.LBB269_809:
	s_or_b64 exec, exec, s[2:3]
	v_or_b32_e32 v9, 64, v7
	v_cmp_gt_u32_e64 s[2:3], s6, v9
	s_and_b64 s[6:7], vcc, s[2:3]
	s_and_saveexec_b64 s[2:3], s[6:7]
	s_cbranch_execz .LBB269_811
; %bb.810:
	v_mov_b32_e32 v9, 0x100
	v_lshl_add_u32 v9, v7, 2, v9
	ds_read_b32 v9, v9 offset:256
	s_waitcnt lgkmcnt(0)
	v_add_f32_e32 v3, v3, v9
.LBB269_811:
	;; [unrolled: 27-line block ×3, first 2 shown]
	s_or_b64 exec, exec, s[2:3]
	v_or_b32_e32 v9, 0x70, v7
	s_movk_i32 s2, 0x78
	v_cmp_gt_u32_e64 s[2:3], s2, v9
	s_and_b64 s[6:7], vcc, s[2:3]
	s_and_saveexec_b64 s[2:3], s[6:7]
	s_cbranch_execz .LBB269_817
; %bb.816:
	v_mov_b32_e32 v9, 0x100
	v_lshl_add_u32 v9, v7, 2, v9
	ds_read_b32 v9, v9 offset:448
	s_waitcnt lgkmcnt(0)
	v_add_f32_e32 v0, v0, v9
.LBB269_817:
	s_or_b64 exec, exec, s[2:3]
.LBB269_818:
	s_or_b64 exec, exec, s[4:5]
	s_barrier
	s_and_saveexec_b64 s[2:3], s[0:1]
	s_cbranch_execz .LBB269_835
; %bb.819:
	s_mul_i32 s0, s10, s11
	s_mul_i32 s0, s0, s9
	s_mulk_i32 s0, 0x78
	s_ashr_i32 s1, s0, 31
	s_lshl_b64 s[0:1], s[0:1], 1
	s_add_u32 s2, s22, s0
	s_mul_i32 s0, s11, s20
	s_addc_u32 s3, s23, s1
	s_ashr_i32 s1, s0, 31
	s_lshl_b64 s[0:1], s[0:1], 1
	s_add_u32 s2, s2, s0
	s_mul_i32 s0, s8, 0x78
	s_addc_u32 s3, s3, s1
	s_ashr_i32 s1, s0, 31
	s_lshl_b64 s[0:1], s[0:1], 1
	s_add_u32 s2, s2, s0
	s_movk_i32 s4, 0x78
	s_addc_u32 s3, s3, s1
	v_lshlrev_b32_e32 v9, 1, v7
	s_and_saveexec_b64 s[0:1], vcc
	s_cbranch_execz .LBB269_821
; %bb.820:
	;;#ASMSTART
	v_cvt_f16_f32 v8, v8;

	;;#ASMEND
	global_store_short v9, v8, s[2:3]
.LBB269_821:
	s_or_b64 exec, exec, s[0:1]
	v_or_b32_e32 v8, 16, v7
	v_cmp_gt_u32_e64 s[0:1], s4, v8
	s_and_b64 s[4:5], vcc, s[0:1]
	s_and_saveexec_b64 s[0:1], s[4:5]
	s_cbranch_execz .LBB269_823
; %bb.822:
	;;#ASMSTART
	v_cvt_f16_f32 v6, v6;

	;;#ASMEND
	global_store_short v9, v6, s[2:3] offset:32
.LBB269_823:
	s_or_b64 exec, exec, s[0:1]
	v_or_b32_e32 v6, 32, v7
	s_movk_i32 s4, 0x78
	v_cmp_gt_u32_e64 s[0:1], s4, v6
	s_and_b64 s[6:7], vcc, s[0:1]
	s_and_saveexec_b64 s[0:1], s[6:7]
	s_cbranch_execz .LBB269_825
; %bb.824:
	;;#ASMSTART
	v_cvt_f16_f32 v4, v4;

	;;#ASMEND
	global_store_short v9, v4, s[2:3] offset:64
.LBB269_825:
	s_or_b64 exec, exec, s[0:1]
	v_or_b32_e32 v4, 48, v7
	v_cmp_gt_u32_e64 s[0:1], s4, v4
	s_and_b64 s[4:5], vcc, s[0:1]
	s_and_saveexec_b64 s[0:1], s[4:5]
	s_cbranch_execz .LBB269_827
; %bb.826:
	;;#ASMSTART
	v_cvt_f16_f32 v4, v5;

	;;#ASMEND
	global_store_short v9, v4, s[2:3] offset:96
.LBB269_827:
	s_or_b64 exec, exec, s[0:1]
	v_or_b32_e32 v4, 64, v7
	s_movk_i32 s4, 0x78
	v_cmp_gt_u32_e64 s[0:1], s4, v4
	s_and_b64 s[6:7], vcc, s[0:1]
	s_and_saveexec_b64 s[0:1], s[6:7]
	s_cbranch_execz .LBB269_829
; %bb.828:
	;;#ASMSTART
	v_cvt_f16_f32 v3, v3;

	;;#ASMEND
	global_store_short v9, v3, s[2:3] offset:128
.LBB269_829:
	;; [unrolled: 27-line block ×3, first 2 shown]
	s_or_b64 exec, exec, s[0:1]
	v_or_b32_e32 v1, 0x70, v7
	v_cmp_gt_u32_e64 s[0:1], s4, v1
	s_and_b64 s[0:1], vcc, s[0:1]
	s_and_b64 exec, exec, s[0:1]
	s_cbranch_execz .LBB269_835
; %bb.834:
	;;#ASMSTART
	v_cvt_f16_f32 v0, v0;

	;;#ASMEND
	global_store_short v9, v0, s[2:3] offset:224
.LBB269_835:
	s_endpgm
	.section	.rodata,"a",@progbits
	.p2align	6, 0x0
	.amdhsa_kernel _ZN4vllm25paged_attention_v1_kernelIthLi120ELi32ELi128ELNS_18Fp8KVCacheDataTypeE1ELb0EEEvPT_PKS2_PKT0_S8_ifPKiSA_iPKfiiiSC_SC_iiiii
		.amdhsa_group_segment_fixed_size 256
		.amdhsa_private_segment_fixed_size 108
		.amdhsa_kernarg_size 384
		.amdhsa_user_sgpr_count 6
		.amdhsa_user_sgpr_private_segment_buffer 1
		.amdhsa_user_sgpr_dispatch_ptr 0
		.amdhsa_user_sgpr_queue_ptr 0
		.amdhsa_user_sgpr_kernarg_segment_ptr 1
		.amdhsa_user_sgpr_dispatch_id 0
		.amdhsa_user_sgpr_flat_scratch_init 0
		.amdhsa_user_sgpr_private_segment_size 0
		.amdhsa_uses_dynamic_stack 0
		.amdhsa_system_sgpr_private_segment_wavefront_offset 1
		.amdhsa_system_sgpr_workgroup_id_x 1
		.amdhsa_system_sgpr_workgroup_id_y 1
		.amdhsa_system_sgpr_workgroup_id_z 1
		.amdhsa_system_sgpr_workgroup_info 0
		.amdhsa_system_vgpr_workitem_id 0
		.amdhsa_next_free_vgpr 64
		.amdhsa_next_free_sgpr 52
		.amdhsa_reserve_vcc 1
		.amdhsa_reserve_flat_scratch 0
		.amdhsa_float_round_mode_32 0
		.amdhsa_float_round_mode_16_64 0
		.amdhsa_float_denorm_mode_32 3
		.amdhsa_float_denorm_mode_16_64 3
		.amdhsa_dx10_clamp 1
		.amdhsa_ieee_mode 1
		.amdhsa_fp16_overflow 0
		.amdhsa_exception_fp_ieee_invalid_op 0
		.amdhsa_exception_fp_denorm_src 0
		.amdhsa_exception_fp_ieee_div_zero 0
		.amdhsa_exception_fp_ieee_overflow 0
		.amdhsa_exception_fp_ieee_underflow 0
		.amdhsa_exception_fp_ieee_inexact 0
		.amdhsa_exception_int_div_zero 0
	.end_amdhsa_kernel
	.section	.text._ZN4vllm25paged_attention_v1_kernelIthLi120ELi32ELi128ELNS_18Fp8KVCacheDataTypeE1ELb0EEEvPT_PKS2_PKT0_S8_ifPKiSA_iPKfiiiSC_SC_iiiii,"axG",@progbits,_ZN4vllm25paged_attention_v1_kernelIthLi120ELi32ELi128ELNS_18Fp8KVCacheDataTypeE1ELb0EEEvPT_PKS2_PKT0_S8_ifPKiSA_iPKfiiiSC_SC_iiiii,comdat
.Lfunc_end269:
	.size	_ZN4vllm25paged_attention_v1_kernelIthLi120ELi32ELi128ELNS_18Fp8KVCacheDataTypeE1ELb0EEEvPT_PKS2_PKT0_S8_ifPKiSA_iPKfiiiSC_SC_iiiii, .Lfunc_end269-_ZN4vllm25paged_attention_v1_kernelIthLi120ELi32ELi128ELNS_18Fp8KVCacheDataTypeE1ELb0EEEvPT_PKS2_PKT0_S8_ifPKiSA_iPKfiiiSC_SC_iiiii
                                        ; -- End function
	.set _ZN4vllm25paged_attention_v1_kernelIthLi120ELi32ELi128ELNS_18Fp8KVCacheDataTypeE1ELb0EEEvPT_PKS2_PKT0_S8_ifPKiSA_iPKfiiiSC_SC_iiiii.num_vgpr, 64
	.set _ZN4vllm25paged_attention_v1_kernelIthLi120ELi32ELi128ELNS_18Fp8KVCacheDataTypeE1ELb0EEEvPT_PKS2_PKT0_S8_ifPKiSA_iPKfiiiSC_SC_iiiii.num_agpr, 0
	.set _ZN4vllm25paged_attention_v1_kernelIthLi120ELi32ELi128ELNS_18Fp8KVCacheDataTypeE1ELb0EEEvPT_PKS2_PKT0_S8_ifPKiSA_iPKfiiiSC_SC_iiiii.numbered_sgpr, 52
	.set _ZN4vllm25paged_attention_v1_kernelIthLi120ELi32ELi128ELNS_18Fp8KVCacheDataTypeE1ELb0EEEvPT_PKS2_PKT0_S8_ifPKiSA_iPKfiiiSC_SC_iiiii.num_named_barrier, 0
	.set _ZN4vllm25paged_attention_v1_kernelIthLi120ELi32ELi128ELNS_18Fp8KVCacheDataTypeE1ELb0EEEvPT_PKS2_PKT0_S8_ifPKiSA_iPKfiiiSC_SC_iiiii.private_seg_size, 108
	.set _ZN4vllm25paged_attention_v1_kernelIthLi120ELi32ELi128ELNS_18Fp8KVCacheDataTypeE1ELb0EEEvPT_PKS2_PKT0_S8_ifPKiSA_iPKfiiiSC_SC_iiiii.uses_vcc, 1
	.set _ZN4vllm25paged_attention_v1_kernelIthLi120ELi32ELi128ELNS_18Fp8KVCacheDataTypeE1ELb0EEEvPT_PKS2_PKT0_S8_ifPKiSA_iPKfiiiSC_SC_iiiii.uses_flat_scratch, 0
	.set _ZN4vllm25paged_attention_v1_kernelIthLi120ELi32ELi128ELNS_18Fp8KVCacheDataTypeE1ELb0EEEvPT_PKS2_PKT0_S8_ifPKiSA_iPKfiiiSC_SC_iiiii.has_dyn_sized_stack, 0
	.set _ZN4vllm25paged_attention_v1_kernelIthLi120ELi32ELi128ELNS_18Fp8KVCacheDataTypeE1ELb0EEEvPT_PKS2_PKT0_S8_ifPKiSA_iPKfiiiSC_SC_iiiii.has_recursion, 0
	.set _ZN4vllm25paged_attention_v1_kernelIthLi120ELi32ELi128ELNS_18Fp8KVCacheDataTypeE1ELb0EEEvPT_PKS2_PKT0_S8_ifPKiSA_iPKfiiiSC_SC_iiiii.has_indirect_call, 0
	.section	.AMDGPU.csdata,"",@progbits
; Kernel info:
; codeLenInByte = 34428
; TotalNumSgprs: 56
; NumVgprs: 64
; ScratchSize: 108
; MemoryBound: 0
; FloatMode: 240
; IeeeMode: 1
; LDSByteSize: 256 bytes/workgroup (compile time only)
; SGPRBlocks: 6
; VGPRBlocks: 15
; NumSGPRsForWavesPerEU: 56
; NumVGPRsForWavesPerEU: 64
; Occupancy: 4
; WaveLimiterHint : 1
; COMPUTE_PGM_RSRC2:SCRATCH_EN: 1
; COMPUTE_PGM_RSRC2:USER_SGPR: 6
; COMPUTE_PGM_RSRC2:TRAP_HANDLER: 0
; COMPUTE_PGM_RSRC2:TGID_X_EN: 1
; COMPUTE_PGM_RSRC2:TGID_Y_EN: 1
; COMPUTE_PGM_RSRC2:TGID_Z_EN: 1
; COMPUTE_PGM_RSRC2:TIDIG_COMP_CNT: 0
	.section	.text._ZN4vllm25paged_attention_v1_kernelIthLi128ELi32ELi128ELNS_18Fp8KVCacheDataTypeE1ELb0EEEvPT_PKS2_PKT0_S8_ifPKiSA_iPKfiiiSC_SC_iiiii,"axG",@progbits,_ZN4vllm25paged_attention_v1_kernelIthLi128ELi32ELi128ELNS_18Fp8KVCacheDataTypeE1ELb0EEEvPT_PKS2_PKT0_S8_ifPKiSA_iPKfiiiSC_SC_iiiii,comdat
	.protected	_ZN4vllm25paged_attention_v1_kernelIthLi128ELi32ELi128ELNS_18Fp8KVCacheDataTypeE1ELb0EEEvPT_PKS2_PKT0_S8_ifPKiSA_iPKfiiiSC_SC_iiiii ; -- Begin function _ZN4vllm25paged_attention_v1_kernelIthLi128ELi32ELi128ELNS_18Fp8KVCacheDataTypeE1ELb0EEEvPT_PKS2_PKT0_S8_ifPKiSA_iPKfiiiSC_SC_iiiii
	.globl	_ZN4vllm25paged_attention_v1_kernelIthLi128ELi32ELi128ELNS_18Fp8KVCacheDataTypeE1ELb0EEEvPT_PKS2_PKT0_S8_ifPKiSA_iPKfiiiSC_SC_iiiii
	.p2align	8
	.type	_ZN4vllm25paged_attention_v1_kernelIthLi128ELi32ELi128ELNS_18Fp8KVCacheDataTypeE1ELb0EEEvPT_PKS2_PKT0_S8_ifPKiSA_iPKfiiiSC_SC_iiiii,@function
_ZN4vllm25paged_attention_v1_kernelIthLi128ELi32ELi128ELNS_18Fp8KVCacheDataTypeE1ELb0EEEvPT_PKS2_PKT0_S8_ifPKiSA_iPKfiiiSC_SC_iiiii: ; @_ZN4vllm25paged_attention_v1_kernelIthLi128ELi32ELi128ELNS_18Fp8KVCacheDataTypeE1ELb0EEEvPT_PKS2_PKT0_S8_ifPKiSA_iPKfiiiSC_SC_iiiii
; %bb.0:
	s_mov_b64 s[50:51], s[2:3]
	s_mov_b64 s[48:49], s[0:1]
	s_add_u32 s48, s48, s9
	s_load_dword s9, s[4:5], 0x80
	s_load_dwordx2 s[0:1], s[4:5], 0x30
	s_load_dwordx2 s[30:31], s[4:5], 0x20
	s_addc_u32 s49, s49, 0
	s_mov_b32 s10, s7
	s_ashr_i32 s11, s7, 31
	s_lshl_b64 s[2:3], s[10:11], 2
	s_waitcnt lgkmcnt(0)
	s_add_u32 s0, s0, s2
	s_addc_u32 s1, s1, s3
	s_abs_i32 s2, s30
	v_mov_b32_e32 v5, v0
	v_cvt_f32_u32_e32 v0, s2
	s_sub_i32 s11, 0, s2
	s_abs_i32 s7, s9
	s_xor_b32 s3, s9, s30
	v_rcp_iflag_f32_e32 v0, v0
	s_ashr_i32 s3, s3, 31
	s_mov_b32 s33, 0
	v_mul_f32_e32 v0, 0x4f7ffffe, v0
	v_cvt_u32_f32_e32 v0, v0
	v_readfirstlane_b32 s12, v0
	s_mul_i32 s11, s11, s12
	s_mul_hi_u32 s11, s12, s11
	s_add_i32 s12, s12, s11
	s_mul_hi_u32 s11, s7, s12
	s_mul_i32 s12, s11, s2
	s_sub_i32 s7, s7, s12
	s_add_i32 s12, s11, 1
	s_sub_i32 s13, s7, s2
	s_cmp_ge_u32 s7, s2
	s_cselect_b32 s11, s12, s11
	s_cselect_b32 s7, s13, s7
	s_add_i32 s12, s11, 1
	s_cmp_ge_u32 s7, s2
	s_cselect_b32 s2, s12, s11
	s_xor_b32 s2, s2, s3
	s_sub_i32 s14, s2, s3
	s_abs_i32 s11, s14
	v_cvt_f32_u32_e32 v0, s11
	s_load_dwordx2 s[2:3], s[4:5], 0x40
	s_sub_i32 s7, 0, s11
	s_abs_i32 s12, s6
	v_rcp_iflag_f32_e32 v0, v0
	v_mul_f32_e32 v0, 0x4f7ffffe, v0
	v_cvt_u32_f32_e32 v0, v0
	v_readfirstlane_b32 s13, v0
	s_mul_i32 s7, s7, s13
	s_mul_hi_u32 s7, s13, s7
	s_add_i32 s13, s13, s7
	s_waitcnt lgkmcnt(0)
	s_cmp_eq_u64 s[2:3], 0
	s_mul_hi_u32 s13, s12, s13
	s_cbranch_scc1 .LBB270_2
; %bb.1:
	s_ashr_i32 s7, s6, 31
	s_lshl_b64 s[16:17], s[6:7], 2
	s_add_u32 s2, s2, s16
	s_addc_u32 s3, s3, s17
	s_load_dword s33, s[2:3], 0x0
.LBB270_2:
	s_load_dword s30, s[0:1], 0x0
	s_load_dwordx4 s[16:19], s[4:5], 0x48
	s_ashr_i32 s2, s6, 31
	s_ashr_i32 s3, s14, 31
	v_and_b32_e32 v3, 1, v5
	s_lshl_b32 s20, s6, 7
	v_cmp_gt_u32_e32 vcc, 32, v5
	v_lshlrev_b32_e32 v11, 3, v5
	s_and_saveexec_b64 s[0:1], vcc
	s_cbranch_execz .LBB270_4
; %bb.3:
	s_load_dwordx2 s[6:7], s[4:5], 0x8
	s_waitcnt lgkmcnt(0)
	s_mul_i32 s14, s16, s10
	s_ashr_i32 s15, s14, 31
	s_lshl_b64 s[14:15], s[14:15], 1
	v_lshlrev_b32_e32 v2, 2, v5
	s_add_u32 s14, s6, s14
	s_addc_u32 s15, s7, s15
	s_ashr_i32 s21, s20, 31
	s_lshl_b64 s[6:7], s[20:21], 1
	s_add_u32 s6, s14, s6
	s_addc_u32 s7, s15, s7
	global_load_dwordx2 v[0:1], v11, s[6:7]
	v_and_b32_e32 v2, 0xff8, v2
	v_lshl_add_u32 v2, v3, 7, v2
	s_waitcnt vmcnt(0)
	ds_write_b64 v2, v[0:1]
.LBB270_4:
	s_or_b64 exec, exec, s[0:1]
	s_waitcnt lgkmcnt(0)
	s_add_i32 s1, s30, 31
	s_ashr_i32 s6, s1, 31
	s_lshr_b32 s6, s6, 27
	s_add_i32 s1, s1, s6
	s_ashr_i32 s21, s1, 5
	s_xor_b32 s1, s2, s3
	s_mul_i32 s2, s13, s11
	s_sub_i32 s2, s12, s2
	s_add_i32 s3, s13, 1
	s_sub_i32 s6, s2, s11
	s_load_dwordx2 s[24:25], s[4:5], 0x28
	s_load_dword s0, s[4:5], 0x38
	s_cmp_ge_u32 s2, s11
	s_cselect_b32 s3, s3, s13
	s_cselect_b32 s2, s6, s2
	s_add_i32 s6, s3, 1
	s_cmp_ge_u32 s2, s11
	s_cselect_b32 s2, s6, s3
	v_lshrrev_b32_e32 v46, 6, v5
	s_xor_b32 s2, s2, s1
	s_waitcnt lgkmcnt(0)
	s_mul_i32 s26, s0, s10
	s_sub_i32 s16, s2, s1
	s_ashr_i32 s27, s26, 31
	v_cmp_gt_i32_e64 s[0:1], s21, v46
	v_cmp_le_i32_e32 vcc, s21, v46
	v_mbcnt_lo_u32_b32 v4, -1, 0
                                        ; implicit-def: $vgpr0
	s_barrier
                                        ; kill: killed $vgpr0
                                        ; implicit-def: $vgpr0
                                        ; implicit-def: $vgpr1
	s_and_saveexec_b64 s[2:3], vcc
	s_xor_b64 s[2:3], exec, s[2:3]
	s_cbranch_execz .LBB270_6
; %bb.5:
	v_mbcnt_hi_u32_b32 v0, -1, v4
	buffer_store_dword v0, off, s[48:51], 0 offset:96 ; 4-byte Folded Spill
	v_and_b32_e32 v0, 64, v0
	v_add_u32_e32 v1, 64, v0
                                        ; implicit-def: $vgpr3
                                        ; implicit-def: $vgpr4
.LBB270_6:
	s_or_saveexec_b64 s[6:7], s[2:3]
	s_load_dwordx2 s[22:23], s[4:5], 0x0
	s_load_dwordx2 s[28:29], s[4:5], 0x18
	s_load_dword s11, s[4:5], 0x88
	s_load_dwordx4 s[12:15], s[4:5], 0x58
	v_mov_b32_e32 v6, 0xff7fffff
	s_mul_i32 s16, s16, s18
	v_lshrrev_b32_e32 v12, 4, v5
	buffer_store_dword v5, off, s[48:51], 0 offset:112 ; 4-byte Folded Spill
	s_xor_b64 exec, exec, s[6:7]
	s_cbranch_execz .LBB270_396
; %bb.7:
	s_load_dwordx2 s[2:3], s[4:5], 0x10
	s_ashr_i32 s4, s16, 31
	v_bfe_u32 v0, v5, 1, 5
	v_lshlrev_b32_e32 v1, 4, v0
	v_lshlrev_b32_e32 v6, 2, v3
	s_waitcnt lgkmcnt(0)
	s_add_u32 s2, s2, s16
	s_addc_u32 s3, s3, s4
	v_mov_b32_e32 v5, s3
	v_add_co_u32_e32 v1, vcc, s2, v1
	v_addc_co_u32_e32 v5, vcc, 0, v5, vcc
	v_add_co_u32_e64 v6, s[4:5], v1, v6
	v_addc_co_u32_e64 v7, s[4:5], 0, v5, s[4:5]
	v_lshl_or_b32 v1, v46, 5, v0
	v_lshlrev_b32_e32 v0, 2, v0
	s_sub_i32 s41, 1, s30
	v_lshl_or_b32 v0, v46, 7, v0
	s_lshl_b64 s[4:5], s[26:27], 2
	v_add_u32_e32 v0, 0x110, v0
	s_add_u32 s4, s24, s4
	buffer_store_dword v11, off, s[48:51], 0 offset:120 ; 4-byte Folded Spill
	buffer_store_dword v6, off, s[48:51], 0 offset:104 ; 4-byte Folded Spill
	s_nop 0
	buffer_store_dword v7, off, s[48:51], 0 offset:108 ; 4-byte Folded Spill
	buffer_store_dword v1, off, s[48:51], 0 offset:32 ; 4-byte Folded Spill
	;; [unrolled: 1-line block ×4, first 2 shown]
	v_and_b32_e32 v0, 60, v12
	s_addc_u32 s5, s25, s5
	v_lshlrev_b32_e32 v15, 7, v3
	v_cmp_eq_u32_e32 vcc, 0, v3
	v_mov_b32_e32 v1, s5
	v_mov_b32_e32 v3, v46
	v_add_co_u32_e64 v46, s[4:5], s4, v0
	v_mov_b32_e32 v0, 0xff7fffff
	s_mov_b32 s40, s17
	v_mov_b32_e32 v2, 0
	v_cmp_neq_f32_e64 s[2:3], s33, 0
	v_addc_co_u32_e64 v47, s[4:5], 0, v1, s[4:5]
	buffer_store_dword v0, off, s[48:51], 0 offset:100 ; 4-byte Folded Spill
	s_mov_b64 s[18:19], 0
	s_movk_i32 s42, 0x80
	s_movk_i32 s43, 0x7f
	s_mov_b32 s44, 0x8000
	s_mov_b32 s45, 0xffffff
	v_mbcnt_hi_u32_b32 v0, -1, v4
	v_mov_b32_e32 v8, v3
	buffer_store_dword v0, off, s[48:51], 0 offset:96 ; 4-byte Folded Spill
	buffer_store_dword v3, off, s[48:51], 0 offset:116 ; 4-byte Folded Spill
	s_branch .LBB270_9
.LBB270_8:                              ;   in Loop: Header=BB270_9 Depth=1
	s_or_b64 exec, exec, s[34:35]
	buffer_load_dword v3, off, s[48:51], 0 offset:32 ; 4-byte Folded Reload
	s_waitcnt vmcnt(1)
	v_add_u32_e32 v8, 2, v8
	v_cmp_le_i32_e64 s[4:5], s21, v8
	s_or_b64 s[18:19], s[4:5], s[18:19]
	v_add_co_u32_e64 v46, s[4:5], 8, v46
	v_addc_co_u32_e64 v47, s[4:5], 0, v47, s[4:5]
	s_waitcnt vmcnt(0)
	v_add_u32_e32 v3, 64, v3
	buffer_store_dword v3, off, s[48:51], 0 offset:32 ; 4-byte Folded Spill
	buffer_load_dword v3, off, s[48:51], 0 offset:36 ; 4-byte Folded Reload
	s_waitcnt vmcnt(0)
	v_add_u32_e32 v3, 0x100, v3
	buffer_store_dword v3, off, s[48:51], 0 offset:36 ; 4-byte Folded Spill
	s_andn2_b64 exec, exec, s[18:19]
	s_cbranch_execz .LBB270_395
.LBB270_9:                              ; =>This Inner Loop Header: Depth=1
	buffer_store_dword v8, off, s[48:51], 0 offset:48 ; 4-byte Folded Spill
	global_load_dword v0, v[46:47], off
	buffer_load_dword v3, off, s[48:51], 0 offset:104 ; 4-byte Folded Reload
	s_waitcnt lgkmcnt(0)
	buffer_load_dword v4, off, s[48:51], 0 offset:108 ; 4-byte Folded Reload
	v_mov_b32_e32 v37, 0
	s_waitcnt vmcnt(0)
	v_mad_i64_i32 v[7:8], s[4:5], v0, s40, v[3:4]
	global_load_dword v9, v[7:8], off
	global_load_dword v20, v2, s[12:13]
	s_waitcnt vmcnt(1)
	v_cmp_ne_u16_sdwa s[4:5], v9, v2 src0_sel:BYTE_0 src1_sel:DWORD
	s_and_saveexec_b64 s[34:35], s[4:5]
	s_cbranch_execz .LBB270_15
; %bb.10:                               ;   in Loop: Header=BB270_9 Depth=1
	v_cmp_ne_u16_sdwa s[4:5], v9, s42 src0_sel:BYTE_0 src1_sel:DWORD
	v_mov_b32_e32 v37, 0x8000
	s_and_saveexec_b64 s[36:37], s[4:5]
	s_cbranch_execz .LBB270_14
; %bb.11:                               ;   in Loop: Header=BB270_9 Depth=1
	v_and_b32_e32 v0, 0x7f, v9
	v_cmp_ne_u32_e64 s[4:5], s43, v0
	v_mov_b32_e32 v37, 0x7c01
	s_and_saveexec_b64 s[38:39], s[4:5]
	s_cbranch_execz .LBB270_13
; %bb.12:                               ;   in Loop: Header=BB270_9 Depth=1
	v_and_b32_e32 v1, 7, v9
	v_ffbh_u32_e32 v3, v1
	v_min_u32_e32 v6, 32, v3
	v_subrev_u32_e32 v3, 28, v6
	v_lshlrev_b64 v[3:4], v3, v[9:10]
	v_lshrrev_b32_e32 v5, 3, v0
	v_sub_u32_e32 v4, 29, v6
	v_cmp_gt_u32_e64 s[4:5], 8, v0
	v_cndmask_b32_e64 v0, v5, v4, s[4:5]
	v_mov_b32_e32 v5, 0x2000
	v_lshl_add_u32 v0, v0, 10, v5
	v_lshlrev_b32_e32 v4, 8, v9
	v_and_b32_e32 v3, 7, v3
	v_and_b32_e32 v0, 0xfc00, v0
	v_cndmask_b32_e64 v1, v1, v3, s[4:5]
	v_and_or_b32 v0, v4, s44, v0
	v_lshl_or_b32 v37, v1, 7, v0
.LBB270_13:                             ;   in Loop: Header=BB270_9 Depth=1
	s_or_b64 exec, exec, s[38:39]
.LBB270_14:                             ;   in Loop: Header=BB270_9 Depth=1
	s_or_b64 exec, exec, s[36:37]
.LBB270_15:                             ;   in Loop: Header=BB270_9 Depth=1
	s_or_b64 exec, exec, s[34:35]
	v_lshrrev_b16_e32 v1, 8, v9
	v_cmp_ne_u16_e64 s[4:5], 0, v1
	v_mov_b32_e32 v63, 0
	v_mov_b32_e32 v0, 0
	buffer_store_dword v0, off, s[48:51], 0 ; 4-byte Folded Spill
	s_and_saveexec_b64 s[34:35], s[4:5]
	s_cbranch_execz .LBB270_21
; %bb.16:                               ;   in Loop: Header=BB270_9 Depth=1
	v_cmp_ne_u16_e64 s[4:5], s42, v1
	v_bfrev_b32_e32 v0, 1
	buffer_store_dword v0, off, s[48:51], 0 ; 4-byte Folded Spill
	s_and_saveexec_b64 s[36:37], s[4:5]
	s_cbranch_execz .LBB270_20
; %bb.17:                               ;   in Loop: Header=BB270_9 Depth=1
	v_and_b32_e32 v0, 0x7f, v1
	v_cmp_ne_u32_e64 s[4:5], s43, v0
	v_mov_b32_e32 v3, 0x7c010000
	buffer_store_dword v3, off, s[48:51], 0 ; 4-byte Folded Spill
	s_and_saveexec_b64 s[38:39], s[4:5]
	s_cbranch_execz .LBB270_19
; %bb.18:                               ;   in Loop: Header=BB270_9 Depth=1
	v_and_b32_e32 v5, 7, v1
	v_ffbh_u32_e32 v3, v5
	v_min_u32_e32 v10, 32, v3
	v_subrev_u32_e32 v3, 28, v10
	v_lshlrev_b64 v[3:4], v3, v[1:2]
	v_lshrrev_b32_e32 v6, 3, v0
	v_sub_u32_e32 v4, 29, v10
	v_cmp_gt_u32_e64 s[4:5], 8, v0
	v_cndmask_b32_e64 v0, v6, v4, s[4:5]
	v_mov_b32_e32 v4, 0x2000
	v_lshlrev_b32_e32 v1, 8, v1
	v_lshl_add_u32 v0, v0, 10, v4
	v_and_b32_e32 v3, 7, v3
	v_and_or_b32 v0, v1, s44, v0
	v_cndmask_b32_e64 v3, v5, v3, s[4:5]
	v_lshlrev_b32_e32 v0, 16, v0
	v_lshl_or_b32 v0, v3, 23, v0
	buffer_store_dword v0, off, s[48:51], 0 ; 4-byte Folded Spill
.LBB270_19:                             ;   in Loop: Header=BB270_9 Depth=1
	s_or_b64 exec, exec, s[38:39]
.LBB270_20:                             ;   in Loop: Header=BB270_9 Depth=1
	s_or_b64 exec, exec, s[36:37]
.LBB270_21:                             ;   in Loop: Header=BB270_9 Depth=1
	s_or_b64 exec, exec, s[34:35]
	v_lshrrev_b32_e32 v1, 16, v9
	v_cmp_ne_u16_sdwa s[4:5], v1, v2 src0_sel:BYTE_0 src1_sel:DWORD
	s_and_saveexec_b64 s[34:35], s[4:5]
	s_cbranch_execz .LBB270_27
; %bb.22:                               ;   in Loop: Header=BB270_9 Depth=1
	v_cmp_ne_u16_sdwa s[4:5], v1, s42 src0_sel:BYTE_0 src1_sel:DWORD
	v_mov_b32_e32 v63, 0x8000
	s_and_saveexec_b64 s[36:37], s[4:5]
	s_cbranch_execz .LBB270_26
; %bb.23:                               ;   in Loop: Header=BB270_9 Depth=1
	v_bfe_u32 v0, v9, 16, 7
	v_cmp_ne_u32_e64 s[4:5], s43, v0
	v_mov_b32_e32 v63, 0x7c01
	s_and_saveexec_b64 s[38:39], s[4:5]
	s_cbranch_execz .LBB270_25
; %bb.24:                               ;   in Loop: Header=BB270_9 Depth=1
	v_and_b32_e32 v5, 7, v1
	v_ffbh_u32_e32 v3, v5
	v_min_u32_e32 v10, 32, v3
	v_subrev_u32_e32 v3, 28, v10
	v_lshlrev_b64 v[3:4], v3, v[1:2]
	v_lshrrev_b32_e32 v6, 3, v0
	v_sub_u32_e32 v4, 29, v10
	v_cmp_gt_u32_e64 s[4:5], 8, v0
	v_cndmask_b32_e64 v0, v6, v4, s[4:5]
	v_mov_b32_e32 v4, 0x2000
	v_lshl_add_u32 v0, v0, 10, v4
	v_lshlrev_b32_e32 v1, 8, v1
	v_and_b32_e32 v3, 7, v3
	v_and_b32_e32 v0, 0xfc00, v0
	v_cndmask_b32_e64 v3, v5, v3, s[4:5]
	v_and_or_b32 v0, v1, s44, v0
	v_lshl_or_b32 v63, v3, 7, v0
.LBB270_25:                             ;   in Loop: Header=BB270_9 Depth=1
	s_or_b64 exec, exec, s[38:39]
.LBB270_26:                             ;   in Loop: Header=BB270_9 Depth=1
	s_or_b64 exec, exec, s[36:37]
.LBB270_27:                             ;   in Loop: Header=BB270_9 Depth=1
	s_or_b64 exec, exec, s[34:35]
	v_mov_b32_e32 v0, 0
	v_cmp_lt_u32_e64 s[4:5], s45, v9
	buffer_store_dword v0, off, s[48:51], 0 offset:4 ; 4-byte Folded Spill
	v_mov_b32_e32 v0, 0
	buffer_store_dword v0, off, s[48:51], 0 offset:40 ; 4-byte Folded Spill
	s_and_saveexec_b64 s[34:35], s[4:5]
	s_cbranch_execz .LBB270_33
; %bb.28:                               ;   in Loop: Header=BB270_9 Depth=1
	v_lshrrev_b32_e32 v1, 24, v9
	v_cmp_ne_u32_e64 s[4:5], s42, v1
	v_bfrev_b32_e32 v3, 1
	s_and_saveexec_b64 s[36:37], s[4:5]
	s_cbranch_execz .LBB270_32
; %bb.29:                               ;   in Loop: Header=BB270_9 Depth=1
	v_and_b32_e32 v0, 0x7f, v1
	v_cmp_ne_u32_e64 s[4:5], s43, v0
	v_mov_b32_e32 v3, 0x7c010000
	s_and_saveexec_b64 s[38:39], s[4:5]
	s_cbranch_execz .LBB270_31
; %bb.30:                               ;   in Loop: Header=BB270_9 Depth=1
	v_and_b32_e32 v5, 7, v1
	v_ffbh_u32_e32 v3, v5
	v_min_u32_e32 v9, 32, v3
	v_subrev_u32_e32 v3, 28, v9
	v_lshlrev_b64 v[3:4], v3, v[1:2]
	v_lshrrev_b32_e32 v6, 3, v0
	v_sub_u32_e32 v4, 29, v9
	v_cmp_gt_u32_e64 s[4:5], 8, v0
	v_cndmask_b32_e64 v0, v6, v4, s[4:5]
	v_mov_b32_e32 v4, 0x2000
	v_lshlrev_b32_e32 v1, 8, v1
	v_lshl_add_u32 v0, v0, 10, v4
	v_and_b32_e32 v3, 7, v3
	v_and_or_b32 v0, v1, s44, v0
	v_cndmask_b32_e64 v3, v5, v3, s[4:5]
	v_lshlrev_b32_e32 v0, 16, v0
	v_lshl_or_b32 v3, v3, 23, v0
.LBB270_31:                             ;   in Loop: Header=BB270_9 Depth=1
	s_or_b64 exec, exec, s[38:39]
.LBB270_32:                             ;   in Loop: Header=BB270_9 Depth=1
	s_or_b64 exec, exec, s[36:37]
	buffer_store_dword v3, off, s[48:51], 0 offset:40 ; 4-byte Folded Spill
.LBB270_33:                             ;   in Loop: Header=BB270_9 Depth=1
	s_or_b64 exec, exec, s[34:35]
	global_load_dword v9, v[7:8], off offset:8
	s_waitcnt vmcnt(0)
	v_cmp_ne_u16_sdwa s[4:5], v9, v2 src0_sel:BYTE_0 src1_sel:DWORD
	s_and_saveexec_b64 s[34:35], s[4:5]
	s_cbranch_execz .LBB270_39
; %bb.34:                               ;   in Loop: Header=BB270_9 Depth=1
	v_cmp_ne_u16_sdwa s[4:5], v9, s42 src0_sel:BYTE_0 src1_sel:DWORD
	v_mov_b32_e32 v0, 0x8000
	buffer_store_dword v0, off, s[48:51], 0 offset:4 ; 4-byte Folded Spill
	s_and_saveexec_b64 s[36:37], s[4:5]
	s_cbranch_execz .LBB270_38
; %bb.35:                               ;   in Loop: Header=BB270_9 Depth=1
	v_and_b32_e32 v0, 0x7f, v9
	v_cmp_ne_u32_e64 s[4:5], s43, v0
	v_mov_b32_e32 v1, 0x7c01
	buffer_store_dword v1, off, s[48:51], 0 offset:4 ; 4-byte Folded Spill
	s_and_saveexec_b64 s[38:39], s[4:5]
	s_cbranch_execz .LBB270_37
; %bb.36:                               ;   in Loop: Header=BB270_9 Depth=1
	v_and_b32_e32 v1, 7, v9
	v_ffbh_u32_e32 v3, v1
	v_min_u32_e32 v6, 32, v3
	v_subrev_u32_e32 v3, 28, v6
	v_lshlrev_b64 v[3:4], v3, v[9:10]
	v_lshrrev_b32_e32 v5, 3, v0
	v_sub_u32_e32 v4, 29, v6
	v_cmp_gt_u32_e64 s[4:5], 8, v0
	v_cndmask_b32_e64 v0, v5, v4, s[4:5]
	v_mov_b32_e32 v5, 0x2000
	v_lshl_add_u32 v0, v0, 10, v5
	v_lshlrev_b32_e32 v4, 8, v9
	v_and_b32_e32 v3, 7, v3
	v_and_b32_e32 v0, 0xfc00, v0
	v_cndmask_b32_e64 v1, v1, v3, s[4:5]
	v_and_or_b32 v0, v4, s44, v0
	v_lshl_or_b32 v0, v1, 7, v0
	buffer_store_dword v0, off, s[48:51], 0 offset:4 ; 4-byte Folded Spill
.LBB270_37:                             ;   in Loop: Header=BB270_9 Depth=1
	s_or_b64 exec, exec, s[38:39]
.LBB270_38:                             ;   in Loop: Header=BB270_9 Depth=1
	s_or_b64 exec, exec, s[36:37]
.LBB270_39:                             ;   in Loop: Header=BB270_9 Depth=1
	s_or_b64 exec, exec, s[34:35]
	v_lshrrev_b16_e32 v1, 8, v9
	v_mov_b32_e32 v0, 0
	v_cmp_ne_u16_e64 s[4:5], 0, v1
	buffer_store_dword v0, off, s[48:51], 0 offset:8 ; 4-byte Folded Spill
	v_mov_b32_e32 v0, 0
	buffer_store_dword v0, off, s[48:51], 0 offset:12 ; 4-byte Folded Spill
	s_and_saveexec_b64 s[34:35], s[4:5]
	s_cbranch_execz .LBB270_45
; %bb.40:                               ;   in Loop: Header=BB270_9 Depth=1
	v_cmp_ne_u16_e64 s[4:5], s42, v1
	v_bfrev_b32_e32 v0, 1
	buffer_store_dword v0, off, s[48:51], 0 offset:12 ; 4-byte Folded Spill
	s_and_saveexec_b64 s[36:37], s[4:5]
	s_cbranch_execz .LBB270_44
; %bb.41:                               ;   in Loop: Header=BB270_9 Depth=1
	v_and_b32_e32 v0, 0x7f, v1
	v_cmp_ne_u32_e64 s[4:5], s43, v0
	v_mov_b32_e32 v3, 0x7c010000
	buffer_store_dword v3, off, s[48:51], 0 offset:12 ; 4-byte Folded Spill
	s_and_saveexec_b64 s[38:39], s[4:5]
	s_cbranch_execz .LBB270_43
; %bb.42:                               ;   in Loop: Header=BB270_9 Depth=1
	v_and_b32_e32 v5, 7, v1
	v_ffbh_u32_e32 v3, v5
	v_min_u32_e32 v10, 32, v3
	v_subrev_u32_e32 v3, 28, v10
	v_lshlrev_b64 v[3:4], v3, v[1:2]
	v_lshrrev_b32_e32 v6, 3, v0
	v_sub_u32_e32 v4, 29, v10
	v_cmp_gt_u32_e64 s[4:5], 8, v0
	v_cndmask_b32_e64 v0, v6, v4, s[4:5]
	v_mov_b32_e32 v4, 0x2000
	v_lshlrev_b32_e32 v1, 8, v1
	v_lshl_add_u32 v0, v0, 10, v4
	v_and_b32_e32 v3, 7, v3
	v_and_or_b32 v0, v1, s44, v0
	v_cndmask_b32_e64 v3, v5, v3, s[4:5]
	v_lshlrev_b32_e32 v0, 16, v0
	v_lshl_or_b32 v0, v3, 23, v0
	buffer_store_dword v0, off, s[48:51], 0 offset:12 ; 4-byte Folded Spill
.LBB270_43:                             ;   in Loop: Header=BB270_9 Depth=1
	s_or_b64 exec, exec, s[38:39]
.LBB270_44:                             ;   in Loop: Header=BB270_9 Depth=1
	s_or_b64 exec, exec, s[36:37]
.LBB270_45:                             ;   in Loop: Header=BB270_9 Depth=1
	s_or_b64 exec, exec, s[34:35]
	v_lshrrev_b32_e32 v1, 16, v9
	v_cmp_ne_u16_sdwa s[4:5], v1, v2 src0_sel:BYTE_0 src1_sel:DWORD
	s_and_saveexec_b64 s[34:35], s[4:5]
	s_cbranch_execz .LBB270_51
; %bb.46:                               ;   in Loop: Header=BB270_9 Depth=1
	v_cmp_ne_u16_sdwa s[4:5], v1, s42 src0_sel:BYTE_0 src1_sel:DWORD
	v_mov_b32_e32 v0, 0x8000
	buffer_store_dword v0, off, s[48:51], 0 offset:8 ; 4-byte Folded Spill
	s_and_saveexec_b64 s[36:37], s[4:5]
	s_cbranch_execz .LBB270_50
; %bb.47:                               ;   in Loop: Header=BB270_9 Depth=1
	v_bfe_u32 v0, v9, 16, 7
	v_cmp_ne_u32_e64 s[4:5], s43, v0
	v_mov_b32_e32 v3, 0x7c01
	buffer_store_dword v3, off, s[48:51], 0 offset:8 ; 4-byte Folded Spill
	s_and_saveexec_b64 s[38:39], s[4:5]
	s_cbranch_execz .LBB270_49
; %bb.48:                               ;   in Loop: Header=BB270_9 Depth=1
	v_and_b32_e32 v5, 7, v1
	v_ffbh_u32_e32 v3, v5
	v_min_u32_e32 v10, 32, v3
	v_subrev_u32_e32 v3, 28, v10
	v_lshlrev_b64 v[3:4], v3, v[1:2]
	v_lshrrev_b32_e32 v6, 3, v0
	v_sub_u32_e32 v4, 29, v10
	v_cmp_gt_u32_e64 s[4:5], 8, v0
	v_cndmask_b32_e64 v0, v6, v4, s[4:5]
	v_mov_b32_e32 v4, 0x2000
	v_lshl_add_u32 v0, v0, 10, v4
	v_lshlrev_b32_e32 v1, 8, v1
	v_and_b32_e32 v3, 7, v3
	v_and_b32_e32 v0, 0xfc00, v0
	v_cndmask_b32_e64 v3, v5, v3, s[4:5]
	v_and_or_b32 v0, v1, s44, v0
	v_lshl_or_b32 v0, v3, 7, v0
	buffer_store_dword v0, off, s[48:51], 0 offset:8 ; 4-byte Folded Spill
.LBB270_49:                             ;   in Loop: Header=BB270_9 Depth=1
	s_or_b64 exec, exec, s[38:39]
.LBB270_50:                             ;   in Loop: Header=BB270_9 Depth=1
	s_or_b64 exec, exec, s[36:37]
.LBB270_51:                             ;   in Loop: Header=BB270_9 Depth=1
	s_or_b64 exec, exec, s[34:35]
	v_mov_b32_e32 v0, 0
	v_cmp_lt_u32_e64 s[4:5], s45, v9
	buffer_store_dword v0, off, s[48:51], 0 offset:16 ; 4-byte Folded Spill
	v_mov_b32_e32 v0, 0
	buffer_store_dword v0, off, s[48:51], 0 offset:44 ; 4-byte Folded Spill
	s_and_saveexec_b64 s[34:35], s[4:5]
	s_cbranch_execz .LBB270_57
; %bb.52:                               ;   in Loop: Header=BB270_9 Depth=1
	v_lshrrev_b32_e32 v1, 24, v9
	v_cmp_ne_u32_e64 s[4:5], s42, v1
	v_bfrev_b32_e32 v3, 1
	s_and_saveexec_b64 s[36:37], s[4:5]
	s_cbranch_execz .LBB270_56
; %bb.53:                               ;   in Loop: Header=BB270_9 Depth=1
	v_and_b32_e32 v0, 0x7f, v1
	v_cmp_ne_u32_e64 s[4:5], s43, v0
	v_mov_b32_e32 v3, 0x7c010000
	s_and_saveexec_b64 s[38:39], s[4:5]
	s_cbranch_execz .LBB270_55
; %bb.54:                               ;   in Loop: Header=BB270_9 Depth=1
	v_and_b32_e32 v5, 7, v1
	v_ffbh_u32_e32 v3, v5
	v_min_u32_e32 v9, 32, v3
	v_subrev_u32_e32 v3, 28, v9
	v_lshlrev_b64 v[3:4], v3, v[1:2]
	v_lshrrev_b32_e32 v6, 3, v0
	v_sub_u32_e32 v4, 29, v9
	v_cmp_gt_u32_e64 s[4:5], 8, v0
	v_cndmask_b32_e64 v0, v6, v4, s[4:5]
	v_mov_b32_e32 v4, 0x2000
	v_lshlrev_b32_e32 v1, 8, v1
	v_lshl_add_u32 v0, v0, 10, v4
	v_and_b32_e32 v3, 7, v3
	v_and_or_b32 v0, v1, s44, v0
	v_cndmask_b32_e64 v3, v5, v3, s[4:5]
	v_lshlrev_b32_e32 v0, 16, v0
	v_lshl_or_b32 v3, v3, 23, v0
.LBB270_55:                             ;   in Loop: Header=BB270_9 Depth=1
	s_or_b64 exec, exec, s[38:39]
.LBB270_56:                             ;   in Loop: Header=BB270_9 Depth=1
	s_or_b64 exec, exec, s[36:37]
	buffer_store_dword v3, off, s[48:51], 0 offset:44 ; 4-byte Folded Spill
.LBB270_57:                             ;   in Loop: Header=BB270_9 Depth=1
	s_or_b64 exec, exec, s[34:35]
	global_load_dword v9, v[7:8], off offset:512
	s_waitcnt vmcnt(0)
	v_cmp_ne_u16_sdwa s[4:5], v9, v2 src0_sel:BYTE_0 src1_sel:DWORD
	s_and_saveexec_b64 s[34:35], s[4:5]
	s_cbranch_execz .LBB270_63
; %bb.58:                               ;   in Loop: Header=BB270_9 Depth=1
	v_cmp_ne_u16_sdwa s[4:5], v9, s42 src0_sel:BYTE_0 src1_sel:DWORD
	v_mov_b32_e32 v0, 0x8000
	buffer_store_dword v0, off, s[48:51], 0 offset:16 ; 4-byte Folded Spill
	s_and_saveexec_b64 s[36:37], s[4:5]
	s_cbranch_execz .LBB270_62
; %bb.59:                               ;   in Loop: Header=BB270_9 Depth=1
	v_and_b32_e32 v0, 0x7f, v9
	v_cmp_ne_u32_e64 s[4:5], s43, v0
	v_mov_b32_e32 v1, 0x7c01
	buffer_store_dword v1, off, s[48:51], 0 offset:16 ; 4-byte Folded Spill
	s_and_saveexec_b64 s[38:39], s[4:5]
	s_cbranch_execz .LBB270_61
; %bb.60:                               ;   in Loop: Header=BB270_9 Depth=1
	v_and_b32_e32 v1, 7, v9
	v_ffbh_u32_e32 v3, v1
	v_min_u32_e32 v6, 32, v3
	v_subrev_u32_e32 v3, 28, v6
	v_lshlrev_b64 v[3:4], v3, v[9:10]
	v_lshrrev_b32_e32 v5, 3, v0
	v_sub_u32_e32 v4, 29, v6
	v_cmp_gt_u32_e64 s[4:5], 8, v0
	v_cndmask_b32_e64 v0, v5, v4, s[4:5]
	v_mov_b32_e32 v5, 0x2000
	v_lshl_add_u32 v0, v0, 10, v5
	v_lshlrev_b32_e32 v4, 8, v9
	v_and_b32_e32 v3, 7, v3
	v_and_b32_e32 v0, 0xfc00, v0
	v_cndmask_b32_e64 v1, v1, v3, s[4:5]
	v_and_or_b32 v0, v4, s44, v0
	v_lshl_or_b32 v0, v1, 7, v0
	buffer_store_dword v0, off, s[48:51], 0 offset:16 ; 4-byte Folded Spill
.LBB270_61:                             ;   in Loop: Header=BB270_9 Depth=1
	s_or_b64 exec, exec, s[38:39]
.LBB270_62:                             ;   in Loop: Header=BB270_9 Depth=1
	s_or_b64 exec, exec, s[36:37]
.LBB270_63:                             ;   in Loop: Header=BB270_9 Depth=1
	s_or_b64 exec, exec, s[34:35]
	v_lshrrev_b16_e32 v1, 8, v9
	v_cmp_ne_u16_e64 s[4:5], 0, v1
	v_mov_b32_e32 v0, 0
	v_mov_b32_e32 v31, 0
	buffer_store_dword v0, off, s[48:51], 0 offset:20 ; 4-byte Folded Spill
	s_and_saveexec_b64 s[34:35], s[4:5]
	s_cbranch_execz .LBB270_69
; %bb.64:                               ;   in Loop: Header=BB270_9 Depth=1
	v_cmp_ne_u16_e64 s[4:5], s42, v1
	v_bfrev_b32_e32 v31, 1
	s_and_saveexec_b64 s[36:37], s[4:5]
	s_cbranch_execz .LBB270_68
; %bb.65:                               ;   in Loop: Header=BB270_9 Depth=1
	v_and_b32_e32 v0, 0x7f, v1
	v_cmp_ne_u32_e64 s[4:5], s43, v0
	v_mov_b32_e32 v31, 0x7c010000
	s_and_saveexec_b64 s[38:39], s[4:5]
	s_cbranch_execz .LBB270_67
; %bb.66:                               ;   in Loop: Header=BB270_9 Depth=1
	v_and_b32_e32 v5, 7, v1
	v_ffbh_u32_e32 v3, v5
	v_min_u32_e32 v10, 32, v3
	v_subrev_u32_e32 v3, 28, v10
	v_lshlrev_b64 v[3:4], v3, v[1:2]
	v_lshrrev_b32_e32 v6, 3, v0
	v_sub_u32_e32 v4, 29, v10
	v_cmp_gt_u32_e64 s[4:5], 8, v0
	v_cndmask_b32_e64 v0, v6, v4, s[4:5]
	v_mov_b32_e32 v4, 0x2000
	v_lshlrev_b32_e32 v1, 8, v1
	v_lshl_add_u32 v0, v0, 10, v4
	v_and_b32_e32 v3, 7, v3
	v_and_or_b32 v0, v1, s44, v0
	v_cndmask_b32_e64 v3, v5, v3, s[4:5]
	v_lshlrev_b32_e32 v0, 16, v0
	v_lshl_or_b32 v31, v3, 23, v0
.LBB270_67:                             ;   in Loop: Header=BB270_9 Depth=1
	s_or_b64 exec, exec, s[38:39]
.LBB270_68:                             ;   in Loop: Header=BB270_9 Depth=1
	s_or_b64 exec, exec, s[36:37]
.LBB270_69:                             ;   in Loop: Header=BB270_9 Depth=1
	s_or_b64 exec, exec, s[34:35]
	v_lshrrev_b32_e32 v1, 16, v9
	v_cmp_ne_u16_sdwa s[4:5], v1, v2 src0_sel:BYTE_0 src1_sel:DWORD
	s_and_saveexec_b64 s[34:35], s[4:5]
	s_cbranch_execz .LBB270_75
; %bb.70:                               ;   in Loop: Header=BB270_9 Depth=1
	v_cmp_ne_u16_sdwa s[4:5], v1, s42 src0_sel:BYTE_0 src1_sel:DWORD
	v_mov_b32_e32 v0, 0x8000
	buffer_store_dword v0, off, s[48:51], 0 offset:20 ; 4-byte Folded Spill
	s_and_saveexec_b64 s[36:37], s[4:5]
	s_cbranch_execz .LBB270_74
; %bb.71:                               ;   in Loop: Header=BB270_9 Depth=1
	v_bfe_u32 v0, v9, 16, 7
	v_cmp_ne_u32_e64 s[4:5], s43, v0
	v_mov_b32_e32 v3, 0x7c01
	buffer_store_dword v3, off, s[48:51], 0 offset:20 ; 4-byte Folded Spill
	s_and_saveexec_b64 s[38:39], s[4:5]
	s_cbranch_execz .LBB270_73
; %bb.72:                               ;   in Loop: Header=BB270_9 Depth=1
	v_and_b32_e32 v5, 7, v1
	v_ffbh_u32_e32 v3, v5
	v_min_u32_e32 v10, 32, v3
	v_subrev_u32_e32 v3, 28, v10
	v_lshlrev_b64 v[3:4], v3, v[1:2]
	v_lshrrev_b32_e32 v6, 3, v0
	v_sub_u32_e32 v4, 29, v10
	v_cmp_gt_u32_e64 s[4:5], 8, v0
	v_cndmask_b32_e64 v0, v6, v4, s[4:5]
	v_mov_b32_e32 v4, 0x2000
	v_lshl_add_u32 v0, v0, 10, v4
	v_lshlrev_b32_e32 v1, 8, v1
	v_and_b32_e32 v3, 7, v3
	v_and_b32_e32 v0, 0xfc00, v0
	v_cndmask_b32_e64 v3, v5, v3, s[4:5]
	v_and_or_b32 v0, v1, s44, v0
	v_lshl_or_b32 v0, v3, 7, v0
	buffer_store_dword v0, off, s[48:51], 0 offset:20 ; 4-byte Folded Spill
.LBB270_73:                             ;   in Loop: Header=BB270_9 Depth=1
	s_or_b64 exec, exec, s[38:39]
.LBB270_74:                             ;   in Loop: Header=BB270_9 Depth=1
	s_or_b64 exec, exec, s[36:37]
.LBB270_75:                             ;   in Loop: Header=BB270_9 Depth=1
	s_or_b64 exec, exec, s[34:35]
	v_cmp_lt_u32_e64 s[4:5], s45, v9
	v_mov_b32_e32 v32, 0
	v_mov_b32_e32 v27, 0
	s_and_saveexec_b64 s[34:35], s[4:5]
	s_cbranch_execz .LBB270_81
; %bb.76:                               ;   in Loop: Header=BB270_9 Depth=1
	v_lshrrev_b32_e32 v1, 24, v9
	v_cmp_ne_u32_e64 s[4:5], s42, v1
	v_bfrev_b32_e32 v27, 1
	s_and_saveexec_b64 s[36:37], s[4:5]
	s_cbranch_execz .LBB270_80
; %bb.77:                               ;   in Loop: Header=BB270_9 Depth=1
	v_and_b32_e32 v0, 0x7f, v1
	v_cmp_ne_u32_e64 s[4:5], s43, v0
	v_mov_b32_e32 v27, 0x7c010000
	s_and_saveexec_b64 s[38:39], s[4:5]
	s_cbranch_execz .LBB270_79
; %bb.78:                               ;   in Loop: Header=BB270_9 Depth=1
	v_and_b32_e32 v5, 7, v1
	v_ffbh_u32_e32 v3, v5
	v_min_u32_e32 v9, 32, v3
	v_subrev_u32_e32 v3, 28, v9
	v_lshlrev_b64 v[3:4], v3, v[1:2]
	v_lshrrev_b32_e32 v6, 3, v0
	v_sub_u32_e32 v4, 29, v9
	v_cmp_gt_u32_e64 s[4:5], 8, v0
	v_cndmask_b32_e64 v0, v6, v4, s[4:5]
	v_mov_b32_e32 v4, 0x2000
	v_lshlrev_b32_e32 v1, 8, v1
	v_lshl_add_u32 v0, v0, 10, v4
	v_and_b32_e32 v3, 7, v3
	v_and_or_b32 v0, v1, s44, v0
	v_cndmask_b32_e64 v3, v5, v3, s[4:5]
	v_lshlrev_b32_e32 v0, 16, v0
	v_lshl_or_b32 v27, v3, 23, v0
.LBB270_79:                             ;   in Loop: Header=BB270_9 Depth=1
	s_or_b64 exec, exec, s[38:39]
.LBB270_80:                             ;   in Loop: Header=BB270_9 Depth=1
	s_or_b64 exec, exec, s[36:37]
.LBB270_81:                             ;   in Loop: Header=BB270_9 Depth=1
	s_or_b64 exec, exec, s[34:35]
	global_load_dword v9, v[7:8], off offset:520
	s_waitcnt vmcnt(0)
	v_cmp_ne_u16_sdwa s[4:5], v9, v2 src0_sel:BYTE_0 src1_sel:DWORD
	s_and_saveexec_b64 s[34:35], s[4:5]
	s_cbranch_execz .LBB270_87
; %bb.82:                               ;   in Loop: Header=BB270_9 Depth=1
	v_cmp_ne_u16_sdwa s[4:5], v9, s42 src0_sel:BYTE_0 src1_sel:DWORD
	v_mov_b32_e32 v32, 0x8000
	s_and_saveexec_b64 s[36:37], s[4:5]
	s_cbranch_execz .LBB270_86
; %bb.83:                               ;   in Loop: Header=BB270_9 Depth=1
	v_and_b32_e32 v0, 0x7f, v9
	v_cmp_ne_u32_e64 s[4:5], s43, v0
	v_mov_b32_e32 v32, 0x7c01
	s_and_saveexec_b64 s[38:39], s[4:5]
	s_cbranch_execz .LBB270_85
; %bb.84:                               ;   in Loop: Header=BB270_9 Depth=1
	v_and_b32_e32 v1, 7, v9
	v_ffbh_u32_e32 v3, v1
	v_min_u32_e32 v6, 32, v3
	v_subrev_u32_e32 v3, 28, v6
	v_lshlrev_b64 v[3:4], v3, v[9:10]
	v_lshrrev_b32_e32 v5, 3, v0
	v_sub_u32_e32 v4, 29, v6
	v_cmp_gt_u32_e64 s[4:5], 8, v0
	v_cndmask_b32_e64 v0, v5, v4, s[4:5]
	v_mov_b32_e32 v5, 0x2000
	v_lshl_add_u32 v0, v0, 10, v5
	v_lshlrev_b32_e32 v4, 8, v9
	v_and_b32_e32 v3, 7, v3
	v_and_b32_e32 v0, 0xfc00, v0
	v_cndmask_b32_e64 v1, v1, v3, s[4:5]
	v_and_or_b32 v0, v4, s44, v0
	v_lshl_or_b32 v32, v1, 7, v0
.LBB270_85:                             ;   in Loop: Header=BB270_9 Depth=1
	s_or_b64 exec, exec, s[38:39]
.LBB270_86:                             ;   in Loop: Header=BB270_9 Depth=1
	s_or_b64 exec, exec, s[36:37]
.LBB270_87:                             ;   in Loop: Header=BB270_9 Depth=1
	s_or_b64 exec, exec, s[34:35]
	v_lshrrev_b16_e32 v1, 8, v9
	v_cmp_ne_u16_e64 s[4:5], 0, v1
	v_mov_b32_e32 v28, 0
	v_mov_b32_e32 v35, 0
	s_and_saveexec_b64 s[34:35], s[4:5]
	s_cbranch_execz .LBB270_93
; %bb.88:                               ;   in Loop: Header=BB270_9 Depth=1
	v_cmp_ne_u16_e64 s[4:5], s42, v1
	v_bfrev_b32_e32 v35, 1
	s_and_saveexec_b64 s[36:37], s[4:5]
	s_cbranch_execz .LBB270_92
; %bb.89:                               ;   in Loop: Header=BB270_9 Depth=1
	v_and_b32_e32 v0, 0x7f, v1
	v_cmp_ne_u32_e64 s[4:5], s43, v0
	v_mov_b32_e32 v35, 0x7c010000
	s_and_saveexec_b64 s[38:39], s[4:5]
	s_cbranch_execz .LBB270_91
; %bb.90:                               ;   in Loop: Header=BB270_9 Depth=1
	v_and_b32_e32 v5, 7, v1
	v_ffbh_u32_e32 v3, v5
	v_min_u32_e32 v10, 32, v3
	v_subrev_u32_e32 v3, 28, v10
	v_lshlrev_b64 v[3:4], v3, v[1:2]
	v_lshrrev_b32_e32 v6, 3, v0
	v_sub_u32_e32 v4, 29, v10
	v_cmp_gt_u32_e64 s[4:5], 8, v0
	v_cndmask_b32_e64 v0, v6, v4, s[4:5]
	v_mov_b32_e32 v4, 0x2000
	v_lshlrev_b32_e32 v1, 8, v1
	v_lshl_add_u32 v0, v0, 10, v4
	v_and_b32_e32 v3, 7, v3
	v_and_or_b32 v0, v1, s44, v0
	v_cndmask_b32_e64 v3, v5, v3, s[4:5]
	v_lshlrev_b32_e32 v0, 16, v0
	v_lshl_or_b32 v35, v3, 23, v0
.LBB270_91:                             ;   in Loop: Header=BB270_9 Depth=1
	s_or_b64 exec, exec, s[38:39]
.LBB270_92:                             ;   in Loop: Header=BB270_9 Depth=1
	s_or_b64 exec, exec, s[36:37]
.LBB270_93:                             ;   in Loop: Header=BB270_9 Depth=1
	s_or_b64 exec, exec, s[34:35]
	v_lshrrev_b32_e32 v1, 16, v9
	v_cmp_ne_u16_sdwa s[4:5], v1, v2 src0_sel:BYTE_0 src1_sel:DWORD
	s_and_saveexec_b64 s[34:35], s[4:5]
	s_cbranch_execz .LBB270_99
; %bb.94:                               ;   in Loop: Header=BB270_9 Depth=1
	v_cmp_ne_u16_sdwa s[4:5], v1, s42 src0_sel:BYTE_0 src1_sel:DWORD
	v_mov_b32_e32 v28, 0x8000
	s_and_saveexec_b64 s[36:37], s[4:5]
	s_cbranch_execz .LBB270_98
; %bb.95:                               ;   in Loop: Header=BB270_9 Depth=1
	v_bfe_u32 v0, v9, 16, 7
	v_cmp_ne_u32_e64 s[4:5], s43, v0
	v_mov_b32_e32 v28, 0x7c01
	s_and_saveexec_b64 s[38:39], s[4:5]
	s_cbranch_execz .LBB270_97
; %bb.96:                               ;   in Loop: Header=BB270_9 Depth=1
	v_and_b32_e32 v5, 7, v1
	v_ffbh_u32_e32 v3, v5
	v_min_u32_e32 v10, 32, v3
	v_subrev_u32_e32 v3, 28, v10
	v_lshlrev_b64 v[3:4], v3, v[1:2]
	v_lshrrev_b32_e32 v6, 3, v0
	v_sub_u32_e32 v4, 29, v10
	v_cmp_gt_u32_e64 s[4:5], 8, v0
	v_cndmask_b32_e64 v0, v6, v4, s[4:5]
	v_mov_b32_e32 v4, 0x2000
	v_lshl_add_u32 v0, v0, 10, v4
	v_lshlrev_b32_e32 v1, 8, v1
	v_and_b32_e32 v3, 7, v3
	v_and_b32_e32 v0, 0xfc00, v0
	v_cndmask_b32_e64 v3, v5, v3, s[4:5]
	v_and_or_b32 v0, v1, s44, v0
	v_lshl_or_b32 v28, v3, 7, v0
.LBB270_97:                             ;   in Loop: Header=BB270_9 Depth=1
	s_or_b64 exec, exec, s[38:39]
.LBB270_98:                             ;   in Loop: Header=BB270_9 Depth=1
	s_or_b64 exec, exec, s[36:37]
.LBB270_99:                             ;   in Loop: Header=BB270_9 Depth=1
	s_or_b64 exec, exec, s[34:35]
	v_cmp_lt_u32_e64 s[4:5], s45, v9
	v_mov_b32_e32 v0, 0
	v_mov_b32_e32 v36, 0
	buffer_store_dword v0, off, s[48:51], 0 offset:24 ; 4-byte Folded Spill
	s_and_saveexec_b64 s[34:35], s[4:5]
	s_cbranch_execz .LBB270_105
; %bb.100:                              ;   in Loop: Header=BB270_9 Depth=1
	v_lshrrev_b32_e32 v1, 24, v9
	v_cmp_ne_u32_e64 s[4:5], s42, v1
	v_bfrev_b32_e32 v36, 1
	s_and_saveexec_b64 s[36:37], s[4:5]
	s_cbranch_execz .LBB270_104
; %bb.101:                              ;   in Loop: Header=BB270_9 Depth=1
	v_and_b32_e32 v0, 0x7f, v1
	v_cmp_ne_u32_e64 s[4:5], s43, v0
	v_mov_b32_e32 v36, 0x7c010000
	s_and_saveexec_b64 s[38:39], s[4:5]
	s_cbranch_execz .LBB270_103
; %bb.102:                              ;   in Loop: Header=BB270_9 Depth=1
	v_and_b32_e32 v5, 7, v1
	v_ffbh_u32_e32 v3, v5
	v_min_u32_e32 v9, 32, v3
	v_subrev_u32_e32 v3, 28, v9
	v_lshlrev_b64 v[3:4], v3, v[1:2]
	v_lshrrev_b32_e32 v6, 3, v0
	v_sub_u32_e32 v4, 29, v9
	v_cmp_gt_u32_e64 s[4:5], 8, v0
	v_cndmask_b32_e64 v0, v6, v4, s[4:5]
	v_mov_b32_e32 v4, 0x2000
	v_lshlrev_b32_e32 v1, 8, v1
	v_lshl_add_u32 v0, v0, 10, v4
	v_and_b32_e32 v3, 7, v3
	v_and_or_b32 v0, v1, s44, v0
	v_cndmask_b32_e64 v3, v5, v3, s[4:5]
	v_lshlrev_b32_e32 v0, 16, v0
	v_lshl_or_b32 v36, v3, 23, v0
.LBB270_103:                            ;   in Loop: Header=BB270_9 Depth=1
	s_or_b64 exec, exec, s[38:39]
.LBB270_104:                            ;   in Loop: Header=BB270_9 Depth=1
	s_or_b64 exec, exec, s[36:37]
.LBB270_105:                            ;   in Loop: Header=BB270_9 Depth=1
	s_or_b64 exec, exec, s[34:35]
	global_load_dword v9, v[7:8], off offset:1024
	s_waitcnt vmcnt(0)
	v_cmp_ne_u16_sdwa s[4:5], v9, v2 src0_sel:BYTE_0 src1_sel:DWORD
	s_and_saveexec_b64 s[34:35], s[4:5]
	s_cbranch_execz .LBB270_111
; %bb.106:                              ;   in Loop: Header=BB270_9 Depth=1
	v_cmp_ne_u16_sdwa s[4:5], v9, s42 src0_sel:BYTE_0 src1_sel:DWORD
	v_mov_b32_e32 v0, 0x8000
	buffer_store_dword v0, off, s[48:51], 0 offset:24 ; 4-byte Folded Spill
	s_and_saveexec_b64 s[36:37], s[4:5]
	s_cbranch_execz .LBB270_110
; %bb.107:                              ;   in Loop: Header=BB270_9 Depth=1
	v_and_b32_e32 v0, 0x7f, v9
	v_cmp_ne_u32_e64 s[4:5], s43, v0
	v_mov_b32_e32 v1, 0x7c01
	buffer_store_dword v1, off, s[48:51], 0 offset:24 ; 4-byte Folded Spill
	s_and_saveexec_b64 s[38:39], s[4:5]
	s_cbranch_execz .LBB270_109
; %bb.108:                              ;   in Loop: Header=BB270_9 Depth=1
	v_and_b32_e32 v1, 7, v9
	v_ffbh_u32_e32 v3, v1
	v_min_u32_e32 v6, 32, v3
	v_subrev_u32_e32 v3, 28, v6
	v_lshlrev_b64 v[3:4], v3, v[9:10]
	v_lshrrev_b32_e32 v5, 3, v0
	v_sub_u32_e32 v4, 29, v6
	v_cmp_gt_u32_e64 s[4:5], 8, v0
	v_cndmask_b32_e64 v0, v5, v4, s[4:5]
	v_mov_b32_e32 v5, 0x2000
	v_lshl_add_u32 v0, v0, 10, v5
	v_lshlrev_b32_e32 v4, 8, v9
	v_and_b32_e32 v3, 7, v3
	v_and_b32_e32 v0, 0xfc00, v0
	v_cndmask_b32_e64 v1, v1, v3, s[4:5]
	v_and_or_b32 v0, v4, s44, v0
	v_lshl_or_b32 v0, v1, 7, v0
	buffer_store_dword v0, off, s[48:51], 0 offset:24 ; 4-byte Folded Spill
.LBB270_109:                            ;   in Loop: Header=BB270_9 Depth=1
	s_or_b64 exec, exec, s[38:39]
.LBB270_110:                            ;   in Loop: Header=BB270_9 Depth=1
	s_or_b64 exec, exec, s[36:37]
.LBB270_111:                            ;   in Loop: Header=BB270_9 Depth=1
	s_or_b64 exec, exec, s[34:35]
	v_lshrrev_b16_e32 v1, 8, v9
	v_cmp_ne_u16_e64 s[4:5], 0, v1
	v_mov_b32_e32 v0, 0
	v_mov_b32_e32 v39, 0
	buffer_store_dword v0, off, s[48:51], 0 offset:28 ; 4-byte Folded Spill
	s_and_saveexec_b64 s[34:35], s[4:5]
	s_cbranch_execz .LBB270_117
; %bb.112:                              ;   in Loop: Header=BB270_9 Depth=1
	v_cmp_ne_u16_e64 s[4:5], s42, v1
	v_bfrev_b32_e32 v39, 1
	s_and_saveexec_b64 s[36:37], s[4:5]
	s_cbranch_execz .LBB270_116
; %bb.113:                              ;   in Loop: Header=BB270_9 Depth=1
	v_and_b32_e32 v0, 0x7f, v1
	v_cmp_ne_u32_e64 s[4:5], s43, v0
	v_mov_b32_e32 v39, 0x7c010000
	s_and_saveexec_b64 s[38:39], s[4:5]
	s_cbranch_execz .LBB270_115
; %bb.114:                              ;   in Loop: Header=BB270_9 Depth=1
	v_and_b32_e32 v5, 7, v1
	v_ffbh_u32_e32 v3, v5
	v_min_u32_e32 v10, 32, v3
	v_subrev_u32_e32 v3, 28, v10
	v_lshlrev_b64 v[3:4], v3, v[1:2]
	v_lshrrev_b32_e32 v6, 3, v0
	v_sub_u32_e32 v4, 29, v10
	v_cmp_gt_u32_e64 s[4:5], 8, v0
	v_cndmask_b32_e64 v0, v6, v4, s[4:5]
	v_mov_b32_e32 v4, 0x2000
	v_lshlrev_b32_e32 v1, 8, v1
	v_lshl_add_u32 v0, v0, 10, v4
	v_and_b32_e32 v3, 7, v3
	v_and_or_b32 v0, v1, s44, v0
	v_cndmask_b32_e64 v3, v5, v3, s[4:5]
	v_lshlrev_b32_e32 v0, 16, v0
	v_lshl_or_b32 v39, v3, 23, v0
.LBB270_115:                            ;   in Loop: Header=BB270_9 Depth=1
	s_or_b64 exec, exec, s[38:39]
.LBB270_116:                            ;   in Loop: Header=BB270_9 Depth=1
	s_or_b64 exec, exec, s[36:37]
.LBB270_117:                            ;   in Loop: Header=BB270_9 Depth=1
	s_or_b64 exec, exec, s[34:35]
	v_lshrrev_b32_e32 v1, 16, v9
	v_cmp_ne_u16_sdwa s[4:5], v1, v2 src0_sel:BYTE_0 src1_sel:DWORD
	s_and_saveexec_b64 s[34:35], s[4:5]
	s_cbranch_execz .LBB270_123
; %bb.118:                              ;   in Loop: Header=BB270_9 Depth=1
	v_cmp_ne_u16_sdwa s[4:5], v1, s42 src0_sel:BYTE_0 src1_sel:DWORD
	v_mov_b32_e32 v0, 0x8000
	buffer_store_dword v0, off, s[48:51], 0 offset:28 ; 4-byte Folded Spill
	s_and_saveexec_b64 s[36:37], s[4:5]
	s_cbranch_execz .LBB270_122
; %bb.119:                              ;   in Loop: Header=BB270_9 Depth=1
	v_bfe_u32 v0, v9, 16, 7
	v_cmp_ne_u32_e64 s[4:5], s43, v0
	v_mov_b32_e32 v3, 0x7c01
	buffer_store_dword v3, off, s[48:51], 0 offset:28 ; 4-byte Folded Spill
	s_and_saveexec_b64 s[38:39], s[4:5]
	s_cbranch_execz .LBB270_121
; %bb.120:                              ;   in Loop: Header=BB270_9 Depth=1
	v_and_b32_e32 v5, 7, v1
	v_ffbh_u32_e32 v3, v5
	v_min_u32_e32 v10, 32, v3
	v_subrev_u32_e32 v3, 28, v10
	v_lshlrev_b64 v[3:4], v3, v[1:2]
	v_lshrrev_b32_e32 v6, 3, v0
	v_sub_u32_e32 v4, 29, v10
	v_cmp_gt_u32_e64 s[4:5], 8, v0
	v_cndmask_b32_e64 v0, v6, v4, s[4:5]
	v_mov_b32_e32 v4, 0x2000
	v_lshl_add_u32 v0, v0, 10, v4
	v_lshlrev_b32_e32 v1, 8, v1
	v_and_b32_e32 v3, 7, v3
	v_and_b32_e32 v0, 0xfc00, v0
	v_cndmask_b32_e64 v3, v5, v3, s[4:5]
	v_and_or_b32 v0, v1, s44, v0
	v_lshl_or_b32 v0, v3, 7, v0
	buffer_store_dword v0, off, s[48:51], 0 offset:28 ; 4-byte Folded Spill
.LBB270_121:                            ;   in Loop: Header=BB270_9 Depth=1
	s_or_b64 exec, exec, s[38:39]
.LBB270_122:                            ;   in Loop: Header=BB270_9 Depth=1
	s_or_b64 exec, exec, s[36:37]
.LBB270_123:                            ;   in Loop: Header=BB270_9 Depth=1
	s_or_b64 exec, exec, s[34:35]
	v_cmp_lt_u32_e64 s[4:5], s45, v9
	v_mov_b32_e32 v41, 0
	v_mov_b32_e32 v40, 0
	s_and_saveexec_b64 s[34:35], s[4:5]
	s_cbranch_execz .LBB270_129
; %bb.124:                              ;   in Loop: Header=BB270_9 Depth=1
	v_lshrrev_b32_e32 v1, 24, v9
	v_cmp_ne_u32_e64 s[4:5], s42, v1
	v_bfrev_b32_e32 v40, 1
	s_and_saveexec_b64 s[36:37], s[4:5]
	s_cbranch_execz .LBB270_128
; %bb.125:                              ;   in Loop: Header=BB270_9 Depth=1
	v_and_b32_e32 v0, 0x7f, v1
	v_cmp_ne_u32_e64 s[4:5], s43, v0
	v_mov_b32_e32 v40, 0x7c010000
	s_and_saveexec_b64 s[38:39], s[4:5]
	s_cbranch_execz .LBB270_127
; %bb.126:                              ;   in Loop: Header=BB270_9 Depth=1
	v_and_b32_e32 v5, 7, v1
	v_ffbh_u32_e32 v3, v5
	v_min_u32_e32 v9, 32, v3
	v_subrev_u32_e32 v3, 28, v9
	v_lshlrev_b64 v[3:4], v3, v[1:2]
	v_lshrrev_b32_e32 v6, 3, v0
	v_sub_u32_e32 v4, 29, v9
	v_cmp_gt_u32_e64 s[4:5], 8, v0
	v_cndmask_b32_e64 v0, v6, v4, s[4:5]
	v_mov_b32_e32 v4, 0x2000
	v_lshlrev_b32_e32 v1, 8, v1
	v_lshl_add_u32 v0, v0, 10, v4
	v_and_b32_e32 v3, 7, v3
	v_and_or_b32 v0, v1, s44, v0
	v_cndmask_b32_e64 v3, v5, v3, s[4:5]
	v_lshlrev_b32_e32 v0, 16, v0
	v_lshl_or_b32 v40, v3, 23, v0
.LBB270_127:                            ;   in Loop: Header=BB270_9 Depth=1
	s_or_b64 exec, exec, s[38:39]
.LBB270_128:                            ;   in Loop: Header=BB270_9 Depth=1
	s_or_b64 exec, exec, s[36:37]
.LBB270_129:                            ;   in Loop: Header=BB270_9 Depth=1
	s_or_b64 exec, exec, s[34:35]
	global_load_dword v9, v[7:8], off offset:1032
	s_waitcnt vmcnt(0)
	v_cmp_ne_u16_sdwa s[4:5], v9, v2 src0_sel:BYTE_0 src1_sel:DWORD
	s_and_saveexec_b64 s[34:35], s[4:5]
	s_cbranch_execz .LBB270_135
; %bb.130:                              ;   in Loop: Header=BB270_9 Depth=1
	v_cmp_ne_u16_sdwa s[4:5], v9, s42 src0_sel:BYTE_0 src1_sel:DWORD
	v_mov_b32_e32 v41, 0x8000
	s_and_saveexec_b64 s[36:37], s[4:5]
	s_cbranch_execz .LBB270_134
; %bb.131:                              ;   in Loop: Header=BB270_9 Depth=1
	v_and_b32_e32 v0, 0x7f, v9
	v_cmp_ne_u32_e64 s[4:5], s43, v0
	v_mov_b32_e32 v41, 0x7c01
	s_and_saveexec_b64 s[38:39], s[4:5]
	s_cbranch_execz .LBB270_133
; %bb.132:                              ;   in Loop: Header=BB270_9 Depth=1
	v_and_b32_e32 v1, 7, v9
	v_ffbh_u32_e32 v3, v1
	v_min_u32_e32 v6, 32, v3
	v_subrev_u32_e32 v3, 28, v6
	v_lshlrev_b64 v[3:4], v3, v[9:10]
	v_lshrrev_b32_e32 v5, 3, v0
	v_sub_u32_e32 v4, 29, v6
	v_cmp_gt_u32_e64 s[4:5], 8, v0
	v_cndmask_b32_e64 v0, v5, v4, s[4:5]
	v_mov_b32_e32 v5, 0x2000
	v_lshl_add_u32 v0, v0, 10, v5
	v_lshlrev_b32_e32 v4, 8, v9
	v_and_b32_e32 v3, 7, v3
	v_and_b32_e32 v0, 0xfc00, v0
	v_cndmask_b32_e64 v1, v1, v3, s[4:5]
	v_and_or_b32 v0, v4, s44, v0
	v_lshl_or_b32 v41, v1, 7, v0
.LBB270_133:                            ;   in Loop: Header=BB270_9 Depth=1
	s_or_b64 exec, exec, s[38:39]
.LBB270_134:                            ;   in Loop: Header=BB270_9 Depth=1
	s_or_b64 exec, exec, s[36:37]
.LBB270_135:                            ;   in Loop: Header=BB270_9 Depth=1
	s_or_b64 exec, exec, s[34:35]
	v_lshrrev_b16_e32 v1, 8, v9
	v_cmp_ne_u16_e64 s[4:5], 0, v1
	v_mov_b32_e32 v42, 0
	v_mov_b32_e32 v43, 0
	s_and_saveexec_b64 s[34:35], s[4:5]
	s_cbranch_execz .LBB270_141
; %bb.136:                              ;   in Loop: Header=BB270_9 Depth=1
	v_cmp_ne_u16_e64 s[4:5], s42, v1
	v_bfrev_b32_e32 v43, 1
	s_and_saveexec_b64 s[36:37], s[4:5]
	s_cbranch_execz .LBB270_140
; %bb.137:                              ;   in Loop: Header=BB270_9 Depth=1
	v_and_b32_e32 v0, 0x7f, v1
	v_cmp_ne_u32_e64 s[4:5], s43, v0
	v_mov_b32_e32 v43, 0x7c010000
	s_and_saveexec_b64 s[38:39], s[4:5]
	s_cbranch_execz .LBB270_139
; %bb.138:                              ;   in Loop: Header=BB270_9 Depth=1
	v_and_b32_e32 v5, 7, v1
	v_ffbh_u32_e32 v3, v5
	v_min_u32_e32 v10, 32, v3
	v_subrev_u32_e32 v3, 28, v10
	v_lshlrev_b64 v[3:4], v3, v[1:2]
	v_lshrrev_b32_e32 v6, 3, v0
	v_sub_u32_e32 v4, 29, v10
	v_cmp_gt_u32_e64 s[4:5], 8, v0
	v_cndmask_b32_e64 v0, v6, v4, s[4:5]
	v_mov_b32_e32 v4, 0x2000
	v_lshlrev_b32_e32 v1, 8, v1
	v_lshl_add_u32 v0, v0, 10, v4
	v_and_b32_e32 v3, 7, v3
	v_and_or_b32 v0, v1, s44, v0
	v_cndmask_b32_e64 v3, v5, v3, s[4:5]
	v_lshlrev_b32_e32 v0, 16, v0
	v_lshl_or_b32 v43, v3, 23, v0
.LBB270_139:                            ;   in Loop: Header=BB270_9 Depth=1
	s_or_b64 exec, exec, s[38:39]
.LBB270_140:                            ;   in Loop: Header=BB270_9 Depth=1
	s_or_b64 exec, exec, s[36:37]
.LBB270_141:                            ;   in Loop: Header=BB270_9 Depth=1
	s_or_b64 exec, exec, s[34:35]
	v_lshrrev_b32_e32 v1, 16, v9
	v_cmp_ne_u16_sdwa s[4:5], v1, v2 src0_sel:BYTE_0 src1_sel:DWORD
	s_and_saveexec_b64 s[34:35], s[4:5]
	s_cbranch_execz .LBB270_147
; %bb.142:                              ;   in Loop: Header=BB270_9 Depth=1
	v_cmp_ne_u16_sdwa s[4:5], v1, s42 src0_sel:BYTE_0 src1_sel:DWORD
	v_mov_b32_e32 v42, 0x8000
	s_and_saveexec_b64 s[36:37], s[4:5]
	s_cbranch_execz .LBB270_146
; %bb.143:                              ;   in Loop: Header=BB270_9 Depth=1
	v_bfe_u32 v0, v9, 16, 7
	v_cmp_ne_u32_e64 s[4:5], s43, v0
	v_mov_b32_e32 v42, 0x7c01
	s_and_saveexec_b64 s[38:39], s[4:5]
	s_cbranch_execz .LBB270_145
; %bb.144:                              ;   in Loop: Header=BB270_9 Depth=1
	v_and_b32_e32 v5, 7, v1
	v_ffbh_u32_e32 v3, v5
	v_min_u32_e32 v10, 32, v3
	v_subrev_u32_e32 v3, 28, v10
	v_lshlrev_b64 v[3:4], v3, v[1:2]
	v_lshrrev_b32_e32 v6, 3, v0
	v_sub_u32_e32 v4, 29, v10
	v_cmp_gt_u32_e64 s[4:5], 8, v0
	v_cndmask_b32_e64 v0, v6, v4, s[4:5]
	v_mov_b32_e32 v4, 0x2000
	v_lshl_add_u32 v0, v0, 10, v4
	v_lshlrev_b32_e32 v1, 8, v1
	v_and_b32_e32 v3, 7, v3
	v_and_b32_e32 v0, 0xfc00, v0
	v_cndmask_b32_e64 v3, v5, v3, s[4:5]
	v_and_or_b32 v0, v1, s44, v0
	v_lshl_or_b32 v42, v3, 7, v0
.LBB270_145:                            ;   in Loop: Header=BB270_9 Depth=1
	s_or_b64 exec, exec, s[38:39]
.LBB270_146:                            ;   in Loop: Header=BB270_9 Depth=1
	s_or_b64 exec, exec, s[36:37]
.LBB270_147:                            ;   in Loop: Header=BB270_9 Depth=1
	s_or_b64 exec, exec, s[34:35]
	v_cmp_lt_u32_e64 s[4:5], s45, v9
	v_mov_b32_e32 v50, 0
	v_mov_b32_e32 v44, 0
	s_and_saveexec_b64 s[34:35], s[4:5]
	s_cbranch_execz .LBB270_153
; %bb.148:                              ;   in Loop: Header=BB270_9 Depth=1
	v_lshrrev_b32_e32 v1, 24, v9
	v_cmp_ne_u32_e64 s[4:5], s42, v1
	v_bfrev_b32_e32 v44, 1
	s_and_saveexec_b64 s[36:37], s[4:5]
	s_cbranch_execz .LBB270_152
; %bb.149:                              ;   in Loop: Header=BB270_9 Depth=1
	v_and_b32_e32 v0, 0x7f, v1
	v_cmp_ne_u32_e64 s[4:5], s43, v0
	v_mov_b32_e32 v44, 0x7c010000
	s_and_saveexec_b64 s[38:39], s[4:5]
	s_cbranch_execz .LBB270_151
; %bb.150:                              ;   in Loop: Header=BB270_9 Depth=1
	v_and_b32_e32 v5, 7, v1
	v_ffbh_u32_e32 v3, v5
	v_min_u32_e32 v9, 32, v3
	v_subrev_u32_e32 v3, 28, v9
	v_lshlrev_b64 v[3:4], v3, v[1:2]
	v_lshrrev_b32_e32 v6, 3, v0
	v_sub_u32_e32 v4, 29, v9
	v_cmp_gt_u32_e64 s[4:5], 8, v0
	v_cndmask_b32_e64 v0, v6, v4, s[4:5]
	v_mov_b32_e32 v4, 0x2000
	v_lshlrev_b32_e32 v1, 8, v1
	v_lshl_add_u32 v0, v0, 10, v4
	v_and_b32_e32 v3, 7, v3
	v_and_or_b32 v0, v1, s44, v0
	v_cndmask_b32_e64 v3, v5, v3, s[4:5]
	v_lshlrev_b32_e32 v0, 16, v0
	v_lshl_or_b32 v44, v3, 23, v0
.LBB270_151:                            ;   in Loop: Header=BB270_9 Depth=1
	s_or_b64 exec, exec, s[38:39]
.LBB270_152:                            ;   in Loop: Header=BB270_9 Depth=1
	s_or_b64 exec, exec, s[36:37]
.LBB270_153:                            ;   in Loop: Header=BB270_9 Depth=1
	s_or_b64 exec, exec, s[34:35]
	global_load_dword v9, v[7:8], off offset:1536
	s_waitcnt vmcnt(0)
	v_cmp_ne_u16_sdwa s[4:5], v9, v2 src0_sel:BYTE_0 src1_sel:DWORD
	s_and_saveexec_b64 s[34:35], s[4:5]
	s_cbranch_execz .LBB270_159
; %bb.154:                              ;   in Loop: Header=BB270_9 Depth=1
	v_cmp_ne_u16_sdwa s[4:5], v9, s42 src0_sel:BYTE_0 src1_sel:DWORD
	v_mov_b32_e32 v50, 0x8000
	s_and_saveexec_b64 s[36:37], s[4:5]
	s_cbranch_execz .LBB270_158
; %bb.155:                              ;   in Loop: Header=BB270_9 Depth=1
	v_and_b32_e32 v0, 0x7f, v9
	v_cmp_ne_u32_e64 s[4:5], s43, v0
	v_mov_b32_e32 v50, 0x7c01
	s_and_saveexec_b64 s[38:39], s[4:5]
	s_cbranch_execz .LBB270_157
; %bb.156:                              ;   in Loop: Header=BB270_9 Depth=1
	v_and_b32_e32 v1, 7, v9
	v_ffbh_u32_e32 v3, v1
	v_min_u32_e32 v6, 32, v3
	v_subrev_u32_e32 v3, 28, v6
	v_lshlrev_b64 v[3:4], v3, v[9:10]
	v_lshrrev_b32_e32 v5, 3, v0
	v_sub_u32_e32 v4, 29, v6
	v_cmp_gt_u32_e64 s[4:5], 8, v0
	v_cndmask_b32_e64 v0, v5, v4, s[4:5]
	v_mov_b32_e32 v5, 0x2000
	v_lshl_add_u32 v0, v0, 10, v5
	v_lshlrev_b32_e32 v4, 8, v9
	v_and_b32_e32 v3, 7, v3
	v_and_b32_e32 v0, 0xfc00, v0
	v_cndmask_b32_e64 v1, v1, v3, s[4:5]
	v_and_or_b32 v0, v4, s44, v0
	v_lshl_or_b32 v50, v1, 7, v0
.LBB270_157:                            ;   in Loop: Header=BB270_9 Depth=1
	s_or_b64 exec, exec, s[38:39]
.LBB270_158:                            ;   in Loop: Header=BB270_9 Depth=1
	s_or_b64 exec, exec, s[36:37]
.LBB270_159:                            ;   in Loop: Header=BB270_9 Depth=1
	s_or_b64 exec, exec, s[34:35]
	v_lshrrev_b16_e32 v1, 8, v9
	v_cmp_ne_u16_e64 s[4:5], 0, v1
	v_mov_b32_e32 v51, 0
	v_mov_b32_e32 v45, 0
	s_and_saveexec_b64 s[34:35], s[4:5]
	s_cbranch_execz .LBB270_165
; %bb.160:                              ;   in Loop: Header=BB270_9 Depth=1
	v_cmp_ne_u16_e64 s[4:5], s42, v1
	v_bfrev_b32_e32 v45, 1
	s_and_saveexec_b64 s[36:37], s[4:5]
	s_cbranch_execz .LBB270_164
; %bb.161:                              ;   in Loop: Header=BB270_9 Depth=1
	v_and_b32_e32 v0, 0x7f, v1
	v_cmp_ne_u32_e64 s[4:5], s43, v0
	v_mov_b32_e32 v45, 0x7c010000
	s_and_saveexec_b64 s[38:39], s[4:5]
	s_cbranch_execz .LBB270_163
; %bb.162:                              ;   in Loop: Header=BB270_9 Depth=1
	v_and_b32_e32 v5, 7, v1
	v_ffbh_u32_e32 v3, v5
	v_min_u32_e32 v10, 32, v3
	v_subrev_u32_e32 v3, 28, v10
	v_lshlrev_b64 v[3:4], v3, v[1:2]
	v_lshrrev_b32_e32 v6, 3, v0
	v_sub_u32_e32 v4, 29, v10
	v_cmp_gt_u32_e64 s[4:5], 8, v0
	v_cndmask_b32_e64 v0, v6, v4, s[4:5]
	v_mov_b32_e32 v4, 0x2000
	v_lshlrev_b32_e32 v1, 8, v1
	v_lshl_add_u32 v0, v0, 10, v4
	v_and_b32_e32 v3, 7, v3
	v_and_or_b32 v0, v1, s44, v0
	v_cndmask_b32_e64 v3, v5, v3, s[4:5]
	v_lshlrev_b32_e32 v0, 16, v0
	v_lshl_or_b32 v45, v3, 23, v0
.LBB270_163:                            ;   in Loop: Header=BB270_9 Depth=1
	s_or_b64 exec, exec, s[38:39]
.LBB270_164:                            ;   in Loop: Header=BB270_9 Depth=1
	s_or_b64 exec, exec, s[36:37]
.LBB270_165:                            ;   in Loop: Header=BB270_9 Depth=1
	s_or_b64 exec, exec, s[34:35]
	v_lshrrev_b32_e32 v1, 16, v9
	v_cmp_ne_u16_sdwa s[4:5], v1, v2 src0_sel:BYTE_0 src1_sel:DWORD
	s_and_saveexec_b64 s[34:35], s[4:5]
	s_cbranch_execz .LBB270_171
; %bb.166:                              ;   in Loop: Header=BB270_9 Depth=1
	v_cmp_ne_u16_sdwa s[4:5], v1, s42 src0_sel:BYTE_0 src1_sel:DWORD
	v_mov_b32_e32 v51, 0x8000
	s_and_saveexec_b64 s[36:37], s[4:5]
	s_cbranch_execz .LBB270_170
; %bb.167:                              ;   in Loop: Header=BB270_9 Depth=1
	v_bfe_u32 v0, v9, 16, 7
	v_cmp_ne_u32_e64 s[4:5], s43, v0
	v_mov_b32_e32 v51, 0x7c01
	s_and_saveexec_b64 s[38:39], s[4:5]
	s_cbranch_execz .LBB270_169
; %bb.168:                              ;   in Loop: Header=BB270_9 Depth=1
	v_and_b32_e32 v5, 7, v1
	v_ffbh_u32_e32 v3, v5
	v_min_u32_e32 v10, 32, v3
	v_subrev_u32_e32 v3, 28, v10
	v_lshlrev_b64 v[3:4], v3, v[1:2]
	v_lshrrev_b32_e32 v6, 3, v0
	v_sub_u32_e32 v4, 29, v10
	v_cmp_gt_u32_e64 s[4:5], 8, v0
	v_cndmask_b32_e64 v0, v6, v4, s[4:5]
	v_mov_b32_e32 v4, 0x2000
	v_lshl_add_u32 v0, v0, 10, v4
	v_lshlrev_b32_e32 v1, 8, v1
	v_and_b32_e32 v3, 7, v3
	v_and_b32_e32 v0, 0xfc00, v0
	v_cndmask_b32_e64 v3, v5, v3, s[4:5]
	v_and_or_b32 v0, v1, s44, v0
	v_lshl_or_b32 v51, v3, 7, v0
.LBB270_169:                            ;   in Loop: Header=BB270_9 Depth=1
	s_or_b64 exec, exec, s[38:39]
.LBB270_170:                            ;   in Loop: Header=BB270_9 Depth=1
	s_or_b64 exec, exec, s[36:37]
.LBB270_171:                            ;   in Loop: Header=BB270_9 Depth=1
	s_or_b64 exec, exec, s[34:35]
	v_cmp_lt_u32_e64 s[4:5], s45, v9
	v_mov_b32_e32 v53, 0
	v_mov_b32_e32 v48, 0
	s_and_saveexec_b64 s[34:35], s[4:5]
	s_cbranch_execz .LBB270_177
; %bb.172:                              ;   in Loop: Header=BB270_9 Depth=1
	v_lshrrev_b32_e32 v1, 24, v9
	v_cmp_ne_u32_e64 s[4:5], s42, v1
	v_bfrev_b32_e32 v48, 1
	s_and_saveexec_b64 s[36:37], s[4:5]
	s_cbranch_execz .LBB270_176
; %bb.173:                              ;   in Loop: Header=BB270_9 Depth=1
	v_and_b32_e32 v0, 0x7f, v1
	v_cmp_ne_u32_e64 s[4:5], s43, v0
	v_mov_b32_e32 v48, 0x7c010000
	s_and_saveexec_b64 s[38:39], s[4:5]
	s_cbranch_execz .LBB270_175
; %bb.174:                              ;   in Loop: Header=BB270_9 Depth=1
	v_and_b32_e32 v5, 7, v1
	v_ffbh_u32_e32 v3, v5
	v_min_u32_e32 v9, 32, v3
	v_subrev_u32_e32 v3, 28, v9
	v_lshlrev_b64 v[3:4], v3, v[1:2]
	v_lshrrev_b32_e32 v6, 3, v0
	v_sub_u32_e32 v4, 29, v9
	v_cmp_gt_u32_e64 s[4:5], 8, v0
	v_cndmask_b32_e64 v0, v6, v4, s[4:5]
	v_mov_b32_e32 v4, 0x2000
	v_lshlrev_b32_e32 v1, 8, v1
	v_lshl_add_u32 v0, v0, 10, v4
	v_and_b32_e32 v3, 7, v3
	v_and_or_b32 v0, v1, s44, v0
	v_cndmask_b32_e64 v3, v5, v3, s[4:5]
	v_lshlrev_b32_e32 v0, 16, v0
	v_lshl_or_b32 v48, v3, 23, v0
.LBB270_175:                            ;   in Loop: Header=BB270_9 Depth=1
	s_or_b64 exec, exec, s[38:39]
.LBB270_176:                            ;   in Loop: Header=BB270_9 Depth=1
	s_or_b64 exec, exec, s[36:37]
.LBB270_177:                            ;   in Loop: Header=BB270_9 Depth=1
	s_or_b64 exec, exec, s[34:35]
	global_load_dword v9, v[7:8], off offset:1544
	s_waitcnt vmcnt(0)
	v_cmp_ne_u16_sdwa s[4:5], v9, v2 src0_sel:BYTE_0 src1_sel:DWORD
	s_and_saveexec_b64 s[34:35], s[4:5]
	s_cbranch_execz .LBB270_183
; %bb.178:                              ;   in Loop: Header=BB270_9 Depth=1
	v_cmp_ne_u16_sdwa s[4:5], v9, s42 src0_sel:BYTE_0 src1_sel:DWORD
	v_mov_b32_e32 v53, 0x8000
	s_and_saveexec_b64 s[36:37], s[4:5]
	s_cbranch_execz .LBB270_182
; %bb.179:                              ;   in Loop: Header=BB270_9 Depth=1
	v_and_b32_e32 v0, 0x7f, v9
	v_cmp_ne_u32_e64 s[4:5], s43, v0
	v_mov_b32_e32 v53, 0x7c01
	s_and_saveexec_b64 s[38:39], s[4:5]
	s_cbranch_execz .LBB270_181
; %bb.180:                              ;   in Loop: Header=BB270_9 Depth=1
	v_and_b32_e32 v1, 7, v9
	v_ffbh_u32_e32 v3, v1
	v_min_u32_e32 v6, 32, v3
	v_subrev_u32_e32 v3, 28, v6
	v_lshlrev_b64 v[3:4], v3, v[9:10]
	v_lshrrev_b32_e32 v5, 3, v0
	v_sub_u32_e32 v4, 29, v6
	v_cmp_gt_u32_e64 s[4:5], 8, v0
	v_cndmask_b32_e64 v0, v5, v4, s[4:5]
	v_mov_b32_e32 v5, 0x2000
	v_lshl_add_u32 v0, v0, 10, v5
	v_lshlrev_b32_e32 v4, 8, v9
	v_and_b32_e32 v3, 7, v3
	v_and_b32_e32 v0, 0xfc00, v0
	v_cndmask_b32_e64 v1, v1, v3, s[4:5]
	v_and_or_b32 v0, v4, s44, v0
	v_lshl_or_b32 v53, v1, 7, v0
.LBB270_181:                            ;   in Loop: Header=BB270_9 Depth=1
	s_or_b64 exec, exec, s[38:39]
.LBB270_182:                            ;   in Loop: Header=BB270_9 Depth=1
	s_or_b64 exec, exec, s[36:37]
.LBB270_183:                            ;   in Loop: Header=BB270_9 Depth=1
	s_or_b64 exec, exec, s[34:35]
	v_lshrrev_b16_e32 v1, 8, v9
	v_cmp_ne_u16_e64 s[4:5], 0, v1
	v_mov_b32_e32 v54, 0
	v_mov_b32_e32 v49, 0
	s_and_saveexec_b64 s[34:35], s[4:5]
	s_cbranch_execz .LBB270_189
; %bb.184:                              ;   in Loop: Header=BB270_9 Depth=1
	v_cmp_ne_u16_e64 s[4:5], s42, v1
	v_bfrev_b32_e32 v49, 1
	s_and_saveexec_b64 s[36:37], s[4:5]
	s_cbranch_execz .LBB270_188
; %bb.185:                              ;   in Loop: Header=BB270_9 Depth=1
	v_and_b32_e32 v0, 0x7f, v1
	v_cmp_ne_u32_e64 s[4:5], s43, v0
	v_mov_b32_e32 v49, 0x7c010000
	s_and_saveexec_b64 s[38:39], s[4:5]
	s_cbranch_execz .LBB270_187
; %bb.186:                              ;   in Loop: Header=BB270_9 Depth=1
	v_and_b32_e32 v5, 7, v1
	v_ffbh_u32_e32 v3, v5
	v_min_u32_e32 v10, 32, v3
	v_subrev_u32_e32 v3, 28, v10
	v_lshlrev_b64 v[3:4], v3, v[1:2]
	v_lshrrev_b32_e32 v6, 3, v0
	v_sub_u32_e32 v4, 29, v10
	v_cmp_gt_u32_e64 s[4:5], 8, v0
	v_cndmask_b32_e64 v0, v6, v4, s[4:5]
	v_mov_b32_e32 v4, 0x2000
	v_lshlrev_b32_e32 v1, 8, v1
	v_lshl_add_u32 v0, v0, 10, v4
	v_and_b32_e32 v3, 7, v3
	v_and_or_b32 v0, v1, s44, v0
	v_cndmask_b32_e64 v3, v5, v3, s[4:5]
	v_lshlrev_b32_e32 v0, 16, v0
	v_lshl_or_b32 v49, v3, 23, v0
.LBB270_187:                            ;   in Loop: Header=BB270_9 Depth=1
	s_or_b64 exec, exec, s[38:39]
.LBB270_188:                            ;   in Loop: Header=BB270_9 Depth=1
	s_or_b64 exec, exec, s[36:37]
.LBB270_189:                            ;   in Loop: Header=BB270_9 Depth=1
	s_or_b64 exec, exec, s[34:35]
	v_lshrrev_b32_e32 v1, 16, v9
	v_cmp_ne_u16_sdwa s[4:5], v1, v2 src0_sel:BYTE_0 src1_sel:DWORD
	s_and_saveexec_b64 s[34:35], s[4:5]
	s_cbranch_execz .LBB270_195
; %bb.190:                              ;   in Loop: Header=BB270_9 Depth=1
	v_cmp_ne_u16_sdwa s[4:5], v1, s42 src0_sel:BYTE_0 src1_sel:DWORD
	v_mov_b32_e32 v54, 0x8000
	s_and_saveexec_b64 s[36:37], s[4:5]
	s_cbranch_execz .LBB270_194
; %bb.191:                              ;   in Loop: Header=BB270_9 Depth=1
	v_bfe_u32 v0, v9, 16, 7
	v_cmp_ne_u32_e64 s[4:5], s43, v0
	v_mov_b32_e32 v54, 0x7c01
	s_and_saveexec_b64 s[38:39], s[4:5]
	s_cbranch_execz .LBB270_193
; %bb.192:                              ;   in Loop: Header=BB270_9 Depth=1
	v_and_b32_e32 v5, 7, v1
	v_ffbh_u32_e32 v3, v5
	v_min_u32_e32 v10, 32, v3
	v_subrev_u32_e32 v3, 28, v10
	v_lshlrev_b64 v[3:4], v3, v[1:2]
	v_lshrrev_b32_e32 v6, 3, v0
	v_sub_u32_e32 v4, 29, v10
	v_cmp_gt_u32_e64 s[4:5], 8, v0
	v_cndmask_b32_e64 v0, v6, v4, s[4:5]
	v_mov_b32_e32 v4, 0x2000
	v_lshl_add_u32 v0, v0, 10, v4
	v_lshlrev_b32_e32 v1, 8, v1
	v_and_b32_e32 v3, 7, v3
	v_and_b32_e32 v0, 0xfc00, v0
	v_cndmask_b32_e64 v3, v5, v3, s[4:5]
	v_and_or_b32 v0, v1, s44, v0
	v_lshl_or_b32 v54, v3, 7, v0
.LBB270_193:                            ;   in Loop: Header=BB270_9 Depth=1
	s_or_b64 exec, exec, s[38:39]
.LBB270_194:                            ;   in Loop: Header=BB270_9 Depth=1
	s_or_b64 exec, exec, s[36:37]
.LBB270_195:                            ;   in Loop: Header=BB270_9 Depth=1
	s_or_b64 exec, exec, s[34:35]
	v_cmp_lt_u32_e64 s[4:5], s45, v9
	v_mov_b32_e32 v57, 0
	v_mov_b32_e32 v52, 0
	s_and_saveexec_b64 s[34:35], s[4:5]
	s_cbranch_execz .LBB270_201
; %bb.196:                              ;   in Loop: Header=BB270_9 Depth=1
	v_lshrrev_b32_e32 v1, 24, v9
	v_cmp_ne_u32_e64 s[4:5], s42, v1
	v_bfrev_b32_e32 v52, 1
	s_and_saveexec_b64 s[36:37], s[4:5]
	s_cbranch_execz .LBB270_200
; %bb.197:                              ;   in Loop: Header=BB270_9 Depth=1
	v_and_b32_e32 v0, 0x7f, v1
	v_cmp_ne_u32_e64 s[4:5], s43, v0
	v_mov_b32_e32 v52, 0x7c010000
	s_and_saveexec_b64 s[38:39], s[4:5]
	s_cbranch_execz .LBB270_199
; %bb.198:                              ;   in Loop: Header=BB270_9 Depth=1
	v_and_b32_e32 v5, 7, v1
	v_ffbh_u32_e32 v3, v5
	v_min_u32_e32 v9, 32, v3
	v_subrev_u32_e32 v3, 28, v9
	v_lshlrev_b64 v[3:4], v3, v[1:2]
	v_lshrrev_b32_e32 v6, 3, v0
	v_sub_u32_e32 v4, 29, v9
	v_cmp_gt_u32_e64 s[4:5], 8, v0
	v_cndmask_b32_e64 v0, v6, v4, s[4:5]
	v_mov_b32_e32 v4, 0x2000
	v_lshlrev_b32_e32 v1, 8, v1
	v_lshl_add_u32 v0, v0, 10, v4
	v_and_b32_e32 v3, 7, v3
	v_and_or_b32 v0, v1, s44, v0
	v_cndmask_b32_e64 v3, v5, v3, s[4:5]
	v_lshlrev_b32_e32 v0, 16, v0
	v_lshl_or_b32 v52, v3, 23, v0
.LBB270_199:                            ;   in Loop: Header=BB270_9 Depth=1
	s_or_b64 exec, exec, s[38:39]
.LBB270_200:                            ;   in Loop: Header=BB270_9 Depth=1
	s_or_b64 exec, exec, s[36:37]
.LBB270_201:                            ;   in Loop: Header=BB270_9 Depth=1
	s_or_b64 exec, exec, s[34:35]
	global_load_dword v9, v[7:8], off offset:2048
	s_waitcnt vmcnt(0)
	v_cmp_ne_u16_sdwa s[4:5], v9, v2 src0_sel:BYTE_0 src1_sel:DWORD
	s_and_saveexec_b64 s[34:35], s[4:5]
	s_cbranch_execz .LBB270_207
; %bb.202:                              ;   in Loop: Header=BB270_9 Depth=1
	v_cmp_ne_u16_sdwa s[4:5], v9, s42 src0_sel:BYTE_0 src1_sel:DWORD
	v_mov_b32_e32 v57, 0x8000
	s_and_saveexec_b64 s[36:37], s[4:5]
	s_cbranch_execz .LBB270_206
; %bb.203:                              ;   in Loop: Header=BB270_9 Depth=1
	v_and_b32_e32 v0, 0x7f, v9
	v_cmp_ne_u32_e64 s[4:5], s43, v0
	v_mov_b32_e32 v57, 0x7c01
	s_and_saveexec_b64 s[38:39], s[4:5]
	s_cbranch_execz .LBB270_205
; %bb.204:                              ;   in Loop: Header=BB270_9 Depth=1
	v_and_b32_e32 v1, 7, v9
	v_ffbh_u32_e32 v3, v1
	v_min_u32_e32 v6, 32, v3
	v_subrev_u32_e32 v3, 28, v6
	v_lshlrev_b64 v[3:4], v3, v[9:10]
	v_lshrrev_b32_e32 v5, 3, v0
	v_sub_u32_e32 v4, 29, v6
	v_cmp_gt_u32_e64 s[4:5], 8, v0
	v_cndmask_b32_e64 v0, v5, v4, s[4:5]
	v_mov_b32_e32 v5, 0x2000
	v_lshl_add_u32 v0, v0, 10, v5
	v_lshlrev_b32_e32 v4, 8, v9
	v_and_b32_e32 v3, 7, v3
	v_and_b32_e32 v0, 0xfc00, v0
	v_cndmask_b32_e64 v1, v1, v3, s[4:5]
	v_and_or_b32 v0, v4, s44, v0
	v_lshl_or_b32 v57, v1, 7, v0
.LBB270_205:                            ;   in Loop: Header=BB270_9 Depth=1
	s_or_b64 exec, exec, s[38:39]
.LBB270_206:                            ;   in Loop: Header=BB270_9 Depth=1
	s_or_b64 exec, exec, s[36:37]
.LBB270_207:                            ;   in Loop: Header=BB270_9 Depth=1
	s_or_b64 exec, exec, s[34:35]
	v_lshrrev_b16_e32 v1, 8, v9
	v_cmp_ne_u16_e64 s[4:5], 0, v1
	v_mov_b32_e32 v58, 0
	v_mov_b32_e32 v55, 0
	s_and_saveexec_b64 s[34:35], s[4:5]
	s_cbranch_execz .LBB270_213
; %bb.208:                              ;   in Loop: Header=BB270_9 Depth=1
	v_cmp_ne_u16_e64 s[4:5], s42, v1
	v_bfrev_b32_e32 v55, 1
	s_and_saveexec_b64 s[36:37], s[4:5]
	s_cbranch_execz .LBB270_212
; %bb.209:                              ;   in Loop: Header=BB270_9 Depth=1
	v_and_b32_e32 v0, 0x7f, v1
	v_cmp_ne_u32_e64 s[4:5], s43, v0
	v_mov_b32_e32 v55, 0x7c010000
	s_and_saveexec_b64 s[38:39], s[4:5]
	s_cbranch_execz .LBB270_211
; %bb.210:                              ;   in Loop: Header=BB270_9 Depth=1
	v_and_b32_e32 v5, 7, v1
	v_ffbh_u32_e32 v3, v5
	v_min_u32_e32 v10, 32, v3
	v_subrev_u32_e32 v3, 28, v10
	v_lshlrev_b64 v[3:4], v3, v[1:2]
	v_lshrrev_b32_e32 v6, 3, v0
	v_sub_u32_e32 v4, 29, v10
	v_cmp_gt_u32_e64 s[4:5], 8, v0
	v_cndmask_b32_e64 v0, v6, v4, s[4:5]
	v_mov_b32_e32 v4, 0x2000
	v_lshlrev_b32_e32 v1, 8, v1
	v_lshl_add_u32 v0, v0, 10, v4
	v_and_b32_e32 v3, 7, v3
	v_and_or_b32 v0, v1, s44, v0
	v_cndmask_b32_e64 v3, v5, v3, s[4:5]
	v_lshlrev_b32_e32 v0, 16, v0
	v_lshl_or_b32 v55, v3, 23, v0
.LBB270_211:                            ;   in Loop: Header=BB270_9 Depth=1
	s_or_b64 exec, exec, s[38:39]
.LBB270_212:                            ;   in Loop: Header=BB270_9 Depth=1
	s_or_b64 exec, exec, s[36:37]
.LBB270_213:                            ;   in Loop: Header=BB270_9 Depth=1
	s_or_b64 exec, exec, s[34:35]
	v_lshrrev_b32_e32 v1, 16, v9
	v_cmp_ne_u16_sdwa s[4:5], v1, v2 src0_sel:BYTE_0 src1_sel:DWORD
	s_and_saveexec_b64 s[34:35], s[4:5]
	s_cbranch_execz .LBB270_219
; %bb.214:                              ;   in Loop: Header=BB270_9 Depth=1
	v_cmp_ne_u16_sdwa s[4:5], v1, s42 src0_sel:BYTE_0 src1_sel:DWORD
	v_mov_b32_e32 v58, 0x8000
	s_and_saveexec_b64 s[36:37], s[4:5]
	s_cbranch_execz .LBB270_218
; %bb.215:                              ;   in Loop: Header=BB270_9 Depth=1
	v_bfe_u32 v0, v9, 16, 7
	v_cmp_ne_u32_e64 s[4:5], s43, v0
	v_mov_b32_e32 v58, 0x7c01
	s_and_saveexec_b64 s[38:39], s[4:5]
	s_cbranch_execz .LBB270_217
; %bb.216:                              ;   in Loop: Header=BB270_9 Depth=1
	v_and_b32_e32 v5, 7, v1
	v_ffbh_u32_e32 v3, v5
	v_min_u32_e32 v10, 32, v3
	v_subrev_u32_e32 v3, 28, v10
	v_lshlrev_b64 v[3:4], v3, v[1:2]
	v_lshrrev_b32_e32 v6, 3, v0
	v_sub_u32_e32 v4, 29, v10
	v_cmp_gt_u32_e64 s[4:5], 8, v0
	v_cndmask_b32_e64 v0, v6, v4, s[4:5]
	v_mov_b32_e32 v4, 0x2000
	v_lshl_add_u32 v0, v0, 10, v4
	v_lshlrev_b32_e32 v1, 8, v1
	v_and_b32_e32 v3, 7, v3
	v_and_b32_e32 v0, 0xfc00, v0
	v_cndmask_b32_e64 v3, v5, v3, s[4:5]
	v_and_or_b32 v0, v1, s44, v0
	v_lshl_or_b32 v58, v3, 7, v0
.LBB270_217:                            ;   in Loop: Header=BB270_9 Depth=1
	s_or_b64 exec, exec, s[38:39]
.LBB270_218:                            ;   in Loop: Header=BB270_9 Depth=1
	s_or_b64 exec, exec, s[36:37]
.LBB270_219:                            ;   in Loop: Header=BB270_9 Depth=1
	s_or_b64 exec, exec, s[34:35]
	v_cmp_lt_u32_e64 s[4:5], s45, v9
	v_mov_b32_e32 v5, 0
	v_mov_b32_e32 v56, 0
	s_and_saveexec_b64 s[34:35], s[4:5]
	s_cbranch_execz .LBB270_225
; %bb.220:                              ;   in Loop: Header=BB270_9 Depth=1
	v_lshrrev_b32_e32 v1, 24, v9
	v_cmp_ne_u32_e64 s[4:5], s42, v1
	v_bfrev_b32_e32 v56, 1
	s_and_saveexec_b64 s[36:37], s[4:5]
	s_cbranch_execz .LBB270_224
; %bb.221:                              ;   in Loop: Header=BB270_9 Depth=1
	v_and_b32_e32 v0, 0x7f, v1
	v_cmp_ne_u32_e64 s[4:5], s43, v0
	v_mov_b32_e32 v56, 0x7c010000
	s_and_saveexec_b64 s[38:39], s[4:5]
	s_cbranch_execz .LBB270_223
; %bb.222:                              ;   in Loop: Header=BB270_9 Depth=1
	v_and_b32_e32 v6, 7, v1
	v_ffbh_u32_e32 v3, v6
	v_min_u32_e32 v10, 32, v3
	v_subrev_u32_e32 v3, 28, v10
	v_lshlrev_b64 v[3:4], v3, v[1:2]
	v_lshrrev_b32_e32 v9, 3, v0
	v_sub_u32_e32 v4, 29, v10
	v_cmp_gt_u32_e64 s[4:5], 8, v0
	v_cndmask_b32_e64 v0, v9, v4, s[4:5]
	v_mov_b32_e32 v4, 0x2000
	v_lshlrev_b32_e32 v1, 8, v1
	v_lshl_add_u32 v0, v0, 10, v4
	v_and_b32_e32 v3, 7, v3
	v_and_or_b32 v0, v1, s44, v0
	v_cndmask_b32_e64 v3, v6, v3, s[4:5]
	v_lshlrev_b32_e32 v0, 16, v0
	v_lshl_or_b32 v56, v3, 23, v0
.LBB270_223:                            ;   in Loop: Header=BB270_9 Depth=1
	s_or_b64 exec, exec, s[38:39]
.LBB270_224:                            ;   in Loop: Header=BB270_9 Depth=1
	s_or_b64 exec, exec, s[36:37]
.LBB270_225:                            ;   in Loop: Header=BB270_9 Depth=1
	s_or_b64 exec, exec, s[34:35]
	global_load_dword v9, v[7:8], off offset:2056
	s_waitcnt vmcnt(0)
	v_cmp_ne_u16_sdwa s[4:5], v9, v2 src0_sel:BYTE_0 src1_sel:DWORD
	s_and_saveexec_b64 s[34:35], s[4:5]
	s_cbranch_execz .LBB270_231
; %bb.226:                              ;   in Loop: Header=BB270_9 Depth=1
	v_cmp_ne_u16_sdwa s[4:5], v9, s42 src0_sel:BYTE_0 src1_sel:DWORD
	v_mov_b32_e32 v5, 0x8000
	s_and_saveexec_b64 s[36:37], s[4:5]
	s_cbranch_execz .LBB270_230
; %bb.227:                              ;   in Loop: Header=BB270_9 Depth=1
	v_and_b32_e32 v0, 0x7f, v9
	v_cmp_ne_u32_e64 s[4:5], s43, v0
	v_mov_b32_e32 v5, 0x7c01
	s_and_saveexec_b64 s[38:39], s[4:5]
	s_cbranch_execz .LBB270_229
; %bb.228:                              ;   in Loop: Header=BB270_9 Depth=1
	v_and_b32_e32 v1, 7, v9
	v_ffbh_u32_e32 v3, v1
	v_min_u32_e32 v6, 32, v3
	v_subrev_u32_e32 v3, 28, v6
	v_lshlrev_b64 v[3:4], v3, v[9:10]
	v_lshrrev_b32_e32 v5, 3, v0
	v_sub_u32_e32 v4, 29, v6
	v_cmp_gt_u32_e64 s[4:5], 8, v0
	v_cndmask_b32_e64 v0, v5, v4, s[4:5]
	v_mov_b32_e32 v5, 0x2000
	v_lshl_add_u32 v0, v0, 10, v5
	v_lshlrev_b32_e32 v4, 8, v9
	v_and_b32_e32 v3, 7, v3
	v_and_b32_e32 v0, 0xfc00, v0
	v_cndmask_b32_e64 v1, v1, v3, s[4:5]
	v_and_or_b32 v0, v4, s44, v0
	v_lshl_or_b32 v5, v1, 7, v0
.LBB270_229:                            ;   in Loop: Header=BB270_9 Depth=1
	s_or_b64 exec, exec, s[38:39]
.LBB270_230:                            ;   in Loop: Header=BB270_9 Depth=1
	s_or_b64 exec, exec, s[36:37]
.LBB270_231:                            ;   in Loop: Header=BB270_9 Depth=1
	s_or_b64 exec, exec, s[34:35]
	v_lshrrev_b16_e32 v1, 8, v9
	v_cmp_ne_u16_e64 s[4:5], 0, v1
	v_mov_b32_e32 v62, 0
	v_mov_b32_e32 v59, 0
	s_and_saveexec_b64 s[34:35], s[4:5]
	s_cbranch_execz .LBB270_237
; %bb.232:                              ;   in Loop: Header=BB270_9 Depth=1
	v_cmp_ne_u16_e64 s[4:5], s42, v1
	v_bfrev_b32_e32 v59, 1
	s_and_saveexec_b64 s[36:37], s[4:5]
	s_cbranch_execz .LBB270_236
; %bb.233:                              ;   in Loop: Header=BB270_9 Depth=1
	v_and_b32_e32 v0, 0x7f, v1
	v_cmp_ne_u32_e64 s[4:5], s43, v0
	v_mov_b32_e32 v59, 0x7c010000
	s_and_saveexec_b64 s[38:39], s[4:5]
	s_cbranch_execz .LBB270_235
; %bb.234:                              ;   in Loop: Header=BB270_9 Depth=1
	v_and_b32_e32 v6, 7, v1
	v_lshrrev_b32_e32 v10, 3, v0
	v_cmp_gt_u32_e64 s[4:5], 8, v0
	v_ffbh_u32_e32 v0, v6
	v_min_u32_e32 v0, 32, v0
	v_subrev_u32_e32 v3, 28, v0
	v_lshlrev_b64 v[3:4], v3, v[1:2]
	v_sub_u32_e32 v0, 29, v0
	v_cndmask_b32_e64 v0, v10, v0, s[4:5]
	v_mov_b32_e32 v4, 0x2000
	v_lshlrev_b32_e32 v1, 8, v1
	v_lshl_add_u32 v0, v0, 10, v4
	v_and_b32_e32 v3, 7, v3
	v_and_or_b32 v0, v1, s44, v0
	v_cndmask_b32_e64 v3, v6, v3, s[4:5]
	v_lshlrev_b32_e32 v0, 16, v0
	v_lshl_or_b32 v59, v3, 23, v0
.LBB270_235:                            ;   in Loop: Header=BB270_9 Depth=1
	s_or_b64 exec, exec, s[38:39]
.LBB270_236:                            ;   in Loop: Header=BB270_9 Depth=1
	s_or_b64 exec, exec, s[36:37]
.LBB270_237:                            ;   in Loop: Header=BB270_9 Depth=1
	s_or_b64 exec, exec, s[34:35]
	v_lshrrev_b32_e32 v1, 16, v9
	v_cmp_ne_u16_sdwa s[4:5], v1, v2 src0_sel:BYTE_0 src1_sel:DWORD
	s_and_saveexec_b64 s[34:35], s[4:5]
	s_cbranch_execz .LBB270_243
; %bb.238:                              ;   in Loop: Header=BB270_9 Depth=1
	v_cmp_ne_u16_sdwa s[4:5], v1, s42 src0_sel:BYTE_0 src1_sel:DWORD
	v_mov_b32_e32 v62, 0x8000
	s_and_saveexec_b64 s[36:37], s[4:5]
	s_cbranch_execz .LBB270_242
; %bb.239:                              ;   in Loop: Header=BB270_9 Depth=1
	v_bfe_u32 v0, v9, 16, 7
	v_cmp_ne_u32_e64 s[4:5], s43, v0
	v_mov_b32_e32 v62, 0x7c01
	s_and_saveexec_b64 s[38:39], s[4:5]
	s_cbranch_execz .LBB270_241
; %bb.240:                              ;   in Loop: Header=BB270_9 Depth=1
	v_and_b32_e32 v6, 7, v1
	v_lshrrev_b32_e32 v10, 3, v0
	v_cmp_gt_u32_e64 s[4:5], 8, v0
	v_ffbh_u32_e32 v0, v6
	v_min_u32_e32 v0, 32, v0
	v_subrev_u32_e32 v3, 28, v0
	v_lshlrev_b64 v[3:4], v3, v[1:2]
	v_sub_u32_e32 v0, 29, v0
	v_cndmask_b32_e64 v0, v10, v0, s[4:5]
	v_mov_b32_e32 v4, 0x2000
	v_lshl_add_u32 v0, v0, 10, v4
	v_lshlrev_b32_e32 v1, 8, v1
	v_and_b32_e32 v3, 7, v3
	v_and_b32_e32 v0, 0xfc00, v0
	v_cndmask_b32_e64 v3, v6, v3, s[4:5]
	v_and_or_b32 v0, v1, s44, v0
	v_lshl_or_b32 v62, v3, 7, v0
.LBB270_241:                            ;   in Loop: Header=BB270_9 Depth=1
	s_or_b64 exec, exec, s[38:39]
.LBB270_242:                            ;   in Loop: Header=BB270_9 Depth=1
	s_or_b64 exec, exec, s[36:37]
.LBB270_243:                            ;   in Loop: Header=BB270_9 Depth=1
	s_or_b64 exec, exec, s[34:35]
	v_cmp_lt_u32_e64 s[4:5], s45, v9
	v_mov_b32_e32 v61, 0
	v_mov_b32_e32 v60, 0
	s_and_saveexec_b64 s[34:35], s[4:5]
	s_cbranch_execz .LBB270_249
; %bb.244:                              ;   in Loop: Header=BB270_9 Depth=1
	v_lshrrev_b32_e32 v1, 24, v9
	v_cmp_ne_u32_e64 s[4:5], s42, v1
	v_bfrev_b32_e32 v60, 1
	s_and_saveexec_b64 s[36:37], s[4:5]
	s_cbranch_execz .LBB270_248
; %bb.245:                              ;   in Loop: Header=BB270_9 Depth=1
	v_and_b32_e32 v0, 0x7f, v1
	v_cmp_ne_u32_e64 s[4:5], s43, v0
	v_mov_b32_e32 v60, 0x7c010000
	s_and_saveexec_b64 s[38:39], s[4:5]
	s_cbranch_execz .LBB270_247
; %bb.246:                              ;   in Loop: Header=BB270_9 Depth=1
	v_and_b32_e32 v6, 7, v1
	v_lshrrev_b32_e32 v9, 3, v0
	v_cmp_gt_u32_e64 s[4:5], 8, v0
	v_ffbh_u32_e32 v0, v6
	v_min_u32_e32 v0, 32, v0
	v_subrev_u32_e32 v3, 28, v0
	v_lshlrev_b64 v[3:4], v3, v[1:2]
	v_sub_u32_e32 v0, 29, v0
	v_cndmask_b32_e64 v0, v9, v0, s[4:5]
	v_mov_b32_e32 v4, 0x2000
	v_lshlrev_b32_e32 v1, 8, v1
	v_lshl_add_u32 v0, v0, 10, v4
	v_and_b32_e32 v3, 7, v3
	v_and_or_b32 v0, v1, s44, v0
	v_cndmask_b32_e64 v3, v6, v3, s[4:5]
	v_lshlrev_b32_e32 v0, 16, v0
	v_lshl_or_b32 v60, v3, 23, v0
.LBB270_247:                            ;   in Loop: Header=BB270_9 Depth=1
	s_or_b64 exec, exec, s[38:39]
.LBB270_248:                            ;   in Loop: Header=BB270_9 Depth=1
	s_or_b64 exec, exec, s[36:37]
.LBB270_249:                            ;   in Loop: Header=BB270_9 Depth=1
	s_or_b64 exec, exec, s[34:35]
	global_load_dword v9, v[7:8], off offset:2560
	s_waitcnt vmcnt(0)
	v_cmp_ne_u16_sdwa s[4:5], v9, v2 src0_sel:BYTE_0 src1_sel:DWORD
	s_and_saveexec_b64 s[34:35], s[4:5]
	s_cbranch_execz .LBB270_255
; %bb.250:                              ;   in Loop: Header=BB270_9 Depth=1
	v_cmp_ne_u16_sdwa s[4:5], v9, s42 src0_sel:BYTE_0 src1_sel:DWORD
	v_mov_b32_e32 v61, 0x8000
	s_and_saveexec_b64 s[36:37], s[4:5]
	s_cbranch_execz .LBB270_254
; %bb.251:                              ;   in Loop: Header=BB270_9 Depth=1
	v_and_b32_e32 v0, 0x7f, v9
	v_cmp_ne_u32_e64 s[4:5], s43, v0
	v_mov_b32_e32 v61, 0x7c01
	s_and_saveexec_b64 s[38:39], s[4:5]
	s_cbranch_execz .LBB270_253
; %bb.252:                              ;   in Loop: Header=BB270_9 Depth=1
	v_and_b32_e32 v3, 7, v9
	v_lshrrev_b32_e32 v4, 3, v0
	v_cmp_gt_u32_e64 s[4:5], 8, v0
	v_ffbh_u32_e32 v0, v3
	v_min_u32_e32 v6, 32, v0
	v_subrev_u32_e32 v0, 28, v6
	v_lshlrev_b64 v[0:1], v0, v[9:10]
	v_sub_u32_e32 v1, 29, v6
	v_cndmask_b32_e64 v1, v4, v1, s[4:5]
	v_mov_b32_e32 v6, 0x2000
	v_lshl_add_u32 v1, v1, 10, v6
	v_lshlrev_b32_e32 v4, 8, v9
	v_and_b32_e32 v0, 7, v0
	v_and_b32_e32 v1, 0xfc00, v1
	v_cndmask_b32_e64 v0, v3, v0, s[4:5]
	v_and_or_b32 v1, v4, s44, v1
	v_lshl_or_b32 v61, v0, 7, v1
.LBB270_253:                            ;   in Loop: Header=BB270_9 Depth=1
	s_or_b64 exec, exec, s[38:39]
.LBB270_254:                            ;   in Loop: Header=BB270_9 Depth=1
	s_or_b64 exec, exec, s[36:37]
.LBB270_255:                            ;   in Loop: Header=BB270_9 Depth=1
	s_or_b64 exec, exec, s[34:35]
	v_lshrrev_b16_e32 v1, 8, v9
	v_cmp_ne_u16_e64 s[4:5], 0, v1
	v_mov_b32_e32 v14, 0
	v_mov_b32_e32 v0, 0
	s_and_saveexec_b64 s[34:35], s[4:5]
	s_cbranch_execz .LBB270_261
; %bb.256:                              ;   in Loop: Header=BB270_9 Depth=1
	v_cmp_ne_u16_e64 s[4:5], s42, v1
	v_bfrev_b32_e32 v0, 1
	s_and_saveexec_b64 s[36:37], s[4:5]
	s_cbranch_execz .LBB270_260
; %bb.257:                              ;   in Loop: Header=BB270_9 Depth=1
	v_and_b32_e32 v3, 0x7f, v1
	v_cmp_ne_u32_e64 s[4:5], s43, v3
	v_mov_b32_e32 v0, 0x7c010000
	s_and_saveexec_b64 s[38:39], s[4:5]
	s_cbranch_execz .LBB270_259
; %bb.258:                              ;   in Loop: Header=BB270_9 Depth=1
	v_and_b32_e32 v0, 7, v1
	v_lshrrev_b32_e32 v6, 3, v3
	v_cmp_gt_u32_e64 s[4:5], 8, v3
	v_ffbh_u32_e32 v3, v0
	v_min_u32_e32 v10, 32, v3
	v_subrev_u32_e32 v3, 28, v10
	v_lshlrev_b64 v[3:4], v3, v[1:2]
	v_sub_u32_e32 v4, 29, v10
	v_cndmask_b32_e64 v4, v6, v4, s[4:5]
	v_mov_b32_e32 v6, 0x2000
	v_lshlrev_b32_e32 v1, 8, v1
	v_lshl_add_u32 v4, v4, 10, v6
	v_and_b32_e32 v3, 7, v3
	v_and_or_b32 v1, v1, s44, v4
	v_cndmask_b32_e64 v0, v0, v3, s[4:5]
	v_lshlrev_b32_e32 v1, 16, v1
	v_lshl_or_b32 v0, v0, 23, v1
.LBB270_259:                            ;   in Loop: Header=BB270_9 Depth=1
	s_or_b64 exec, exec, s[38:39]
.LBB270_260:                            ;   in Loop: Header=BB270_9 Depth=1
	s_or_b64 exec, exec, s[36:37]
.LBB270_261:                            ;   in Loop: Header=BB270_9 Depth=1
	s_or_b64 exec, exec, s[34:35]
	v_lshrrev_b32_e32 v1, 16, v9
	v_cmp_ne_u16_sdwa s[4:5], v1, v2 src0_sel:BYTE_0 src1_sel:DWORD
	s_and_saveexec_b64 s[34:35], s[4:5]
	s_cbranch_execz .LBB270_267
; %bb.262:                              ;   in Loop: Header=BB270_9 Depth=1
	v_cmp_ne_u16_sdwa s[4:5], v1, s42 src0_sel:BYTE_0 src1_sel:DWORD
	v_mov_b32_e32 v14, 0x8000
	s_and_saveexec_b64 s[36:37], s[4:5]
	s_cbranch_execz .LBB270_266
; %bb.263:                              ;   in Loop: Header=BB270_9 Depth=1
	v_bfe_u32 v3, v9, 16, 7
	v_cmp_ne_u32_e64 s[4:5], s43, v3
	v_mov_b32_e32 v14, 0x7c01
	s_and_saveexec_b64 s[38:39], s[4:5]
	s_cbranch_execz .LBB270_265
; %bb.264:                              ;   in Loop: Header=BB270_9 Depth=1
	v_and_b32_e32 v6, 7, v1
	v_lshrrev_b32_e32 v10, 3, v3
	v_cmp_gt_u32_e64 s[4:5], 8, v3
	v_ffbh_u32_e32 v3, v6
	v_min_u32_e32 v11, 32, v3
	v_subrev_u32_e32 v3, 28, v11
	v_lshlrev_b64 v[3:4], v3, v[1:2]
	v_sub_u32_e32 v4, 29, v11
	v_cndmask_b32_e64 v4, v10, v4, s[4:5]
	v_mov_b32_e32 v10, 0x2000
	v_lshl_add_u32 v4, v4, 10, v10
	v_lshlrev_b32_e32 v1, 8, v1
	v_and_b32_e32 v3, 7, v3
	v_and_b32_e32 v4, 0xfc00, v4
	v_cndmask_b32_e64 v3, v6, v3, s[4:5]
	v_and_or_b32 v1, v1, s44, v4
	v_lshl_or_b32 v14, v3, 7, v1
.LBB270_265:                            ;   in Loop: Header=BB270_9 Depth=1
	s_or_b64 exec, exec, s[38:39]
.LBB270_266:                            ;   in Loop: Header=BB270_9 Depth=1
	s_or_b64 exec, exec, s[36:37]
.LBB270_267:                            ;   in Loop: Header=BB270_9 Depth=1
	s_or_b64 exec, exec, s[34:35]
	v_cmp_lt_u32_e64 s[4:5], s45, v9
	v_mov_b32_e32 v11, 0
	v_mov_b32_e32 v22, 0
	s_and_saveexec_b64 s[34:35], s[4:5]
	s_cbranch_execz .LBB270_273
; %bb.268:                              ;   in Loop: Header=BB270_9 Depth=1
	v_lshrrev_b32_e32 v1, 24, v9
	v_cmp_ne_u32_e64 s[4:5], s42, v1
	v_bfrev_b32_e32 v22, 1
	s_and_saveexec_b64 s[36:37], s[4:5]
	s_cbranch_execz .LBB270_272
; %bb.269:                              ;   in Loop: Header=BB270_9 Depth=1
	v_and_b32_e32 v3, 0x7f, v1
	v_cmp_ne_u32_e64 s[4:5], s43, v3
	v_mov_b32_e32 v22, 0x7c010000
	s_and_saveexec_b64 s[38:39], s[4:5]
	s_cbranch_execz .LBB270_271
; %bb.270:                              ;   in Loop: Header=BB270_9 Depth=1
	v_and_b32_e32 v6, 7, v1
	v_lshrrev_b32_e32 v9, 3, v3
	v_cmp_gt_u32_e64 s[4:5], 8, v3
	v_ffbh_u32_e32 v3, v6
	v_min_u32_e32 v10, 32, v3
	v_subrev_u32_e32 v3, 28, v10
	v_lshlrev_b64 v[3:4], v3, v[1:2]
	v_sub_u32_e32 v4, 29, v10
	v_cndmask_b32_e64 v4, v9, v4, s[4:5]
	v_mov_b32_e32 v9, 0x2000
	v_lshlrev_b32_e32 v1, 8, v1
	v_lshl_add_u32 v4, v4, 10, v9
	v_and_b32_e32 v3, 7, v3
	v_and_or_b32 v1, v1, s44, v4
	v_cndmask_b32_e64 v3, v6, v3, s[4:5]
	v_lshlrev_b32_e32 v1, 16, v1
	v_lshl_or_b32 v22, v3, 23, v1
.LBB270_271:                            ;   in Loop: Header=BB270_9 Depth=1
	s_or_b64 exec, exec, s[38:39]
.LBB270_272:                            ;   in Loop: Header=BB270_9 Depth=1
	s_or_b64 exec, exec, s[36:37]
.LBB270_273:                            ;   in Loop: Header=BB270_9 Depth=1
	s_or_b64 exec, exec, s[34:35]
	global_load_dword v9, v[7:8], off offset:2568
	s_waitcnt vmcnt(0)
	v_cmp_ne_u16_sdwa s[4:5], v9, v2 src0_sel:BYTE_0 src1_sel:DWORD
	s_and_saveexec_b64 s[34:35], s[4:5]
	s_cbranch_execz .LBB270_279
; %bb.274:                              ;   in Loop: Header=BB270_9 Depth=1
	v_cmp_ne_u16_sdwa s[4:5], v9, s42 src0_sel:BYTE_0 src1_sel:DWORD
	v_mov_b32_e32 v11, 0x8000
	s_and_saveexec_b64 s[36:37], s[4:5]
	s_cbranch_execz .LBB270_278
; %bb.275:                              ;   in Loop: Header=BB270_9 Depth=1
	v_and_b32_e32 v1, 0x7f, v9
	v_cmp_ne_u32_e64 s[4:5], s43, v1
	v_mov_b32_e32 v11, 0x7c01
	s_and_saveexec_b64 s[38:39], s[4:5]
	s_cbranch_execz .LBB270_277
; %bb.276:                              ;   in Loop: Header=BB270_9 Depth=1
	v_and_b32_e32 v6, 7, v9
	v_lshrrev_b32_e32 v10, 3, v1
	v_cmp_gt_u32_e64 s[4:5], 8, v1
	v_ffbh_u32_e32 v1, v6
	v_min_u32_e32 v1, 32, v1
	v_subrev_u32_e32 v3, 28, v1
	v_sub_u32_e32 v1, 29, v1
	v_lshlrev_b64 v[3:4], v3, v[9:10]
	v_cndmask_b32_e64 v1, v10, v1, s[4:5]
	v_mov_b32_e32 v10, 0x2000
	v_lshl_add_u32 v1, v1, 10, v10
	v_lshlrev_b32_e32 v4, 8, v9
	v_and_b32_e32 v3, 7, v3
	v_and_b32_e32 v1, 0xfc00, v1
	v_cndmask_b32_e64 v3, v6, v3, s[4:5]
	v_and_or_b32 v1, v4, s44, v1
	v_lshl_or_b32 v11, v3, 7, v1
.LBB270_277:                            ;   in Loop: Header=BB270_9 Depth=1
	s_or_b64 exec, exec, s[38:39]
.LBB270_278:                            ;   in Loop: Header=BB270_9 Depth=1
	s_or_b64 exec, exec, s[36:37]
.LBB270_279:                            ;   in Loop: Header=BB270_9 Depth=1
	s_or_b64 exec, exec, s[34:35]
	v_lshrrev_b16_e32 v1, 8, v9
	v_cmp_ne_u16_e64 s[4:5], 0, v1
	v_mov_b32_e32 v29, 0
	v_mov_b32_e32 v30, 0
	s_and_saveexec_b64 s[34:35], s[4:5]
	s_cbranch_execz .LBB270_285
; %bb.280:                              ;   in Loop: Header=BB270_9 Depth=1
	v_cmp_ne_u16_e64 s[4:5], s42, v1
	v_bfrev_b32_e32 v30, 1
	s_and_saveexec_b64 s[36:37], s[4:5]
	s_cbranch_execz .LBB270_284
; %bb.281:                              ;   in Loop: Header=BB270_9 Depth=1
	v_and_b32_e32 v3, 0x7f, v1
	v_cmp_ne_u32_e64 s[4:5], s43, v3
	v_mov_b32_e32 v30, 0x7c010000
	s_and_saveexec_b64 s[38:39], s[4:5]
	s_cbranch_execz .LBB270_283
; %bb.282:                              ;   in Loop: Header=BB270_9 Depth=1
	v_and_b32_e32 v6, 7, v1
	v_lshrrev_b32_e32 v10, 3, v3
	v_cmp_gt_u32_e64 s[4:5], 8, v3
	v_ffbh_u32_e32 v3, v6
	v_min_u32_e32 v12, 32, v3
	v_subrev_u32_e32 v3, 28, v12
	v_lshlrev_b64 v[3:4], v3, v[1:2]
	v_sub_u32_e32 v4, 29, v12
	v_cndmask_b32_e64 v4, v10, v4, s[4:5]
	v_mov_b32_e32 v10, 0x2000
	v_lshlrev_b32_e32 v1, 8, v1
	v_lshl_add_u32 v4, v4, 10, v10
	v_and_b32_e32 v3, 7, v3
	v_and_or_b32 v1, v1, s44, v4
	v_cndmask_b32_e64 v3, v6, v3, s[4:5]
	v_lshlrev_b32_e32 v1, 16, v1
	v_lshl_or_b32 v30, v3, 23, v1
.LBB270_283:                            ;   in Loop: Header=BB270_9 Depth=1
	s_or_b64 exec, exec, s[38:39]
.LBB270_284:                            ;   in Loop: Header=BB270_9 Depth=1
	s_or_b64 exec, exec, s[36:37]
.LBB270_285:                            ;   in Loop: Header=BB270_9 Depth=1
	s_or_b64 exec, exec, s[34:35]
	v_lshrrev_b32_e32 v1, 16, v9
	v_cmp_ne_u16_sdwa s[4:5], v1, v2 src0_sel:BYTE_0 src1_sel:DWORD
	s_and_saveexec_b64 s[34:35], s[4:5]
	s_cbranch_execz .LBB270_291
; %bb.286:                              ;   in Loop: Header=BB270_9 Depth=1
	v_cmp_ne_u16_sdwa s[4:5], v1, s42 src0_sel:BYTE_0 src1_sel:DWORD
	v_mov_b32_e32 v29, 0x8000
	s_and_saveexec_b64 s[36:37], s[4:5]
	s_cbranch_execz .LBB270_290
; %bb.287:                              ;   in Loop: Header=BB270_9 Depth=1
	v_bfe_u32 v3, v9, 16, 7
	v_cmp_ne_u32_e64 s[4:5], s43, v3
	v_mov_b32_e32 v29, 0x7c01
	s_and_saveexec_b64 s[38:39], s[4:5]
	s_cbranch_execz .LBB270_289
; %bb.288:                              ;   in Loop: Header=BB270_9 Depth=1
	v_and_b32_e32 v6, 7, v1
	v_lshrrev_b32_e32 v10, 3, v3
	v_cmp_gt_u32_e64 s[4:5], 8, v3
	v_ffbh_u32_e32 v3, v6
	v_min_u32_e32 v12, 32, v3
	v_subrev_u32_e32 v3, 28, v12
	v_lshlrev_b64 v[3:4], v3, v[1:2]
	v_sub_u32_e32 v4, 29, v12
	v_cndmask_b32_e64 v4, v10, v4, s[4:5]
	v_mov_b32_e32 v10, 0x2000
	v_lshl_add_u32 v4, v4, 10, v10
	v_lshlrev_b32_e32 v1, 8, v1
	v_and_b32_e32 v3, 7, v3
	v_and_b32_e32 v4, 0xfc00, v4
	v_cndmask_b32_e64 v3, v6, v3, s[4:5]
	v_and_or_b32 v1, v1, s44, v4
	v_lshl_or_b32 v29, v3, 7, v1
.LBB270_289:                            ;   in Loop: Header=BB270_9 Depth=1
	s_or_b64 exec, exec, s[38:39]
.LBB270_290:                            ;   in Loop: Header=BB270_9 Depth=1
	s_or_b64 exec, exec, s[36:37]
.LBB270_291:                            ;   in Loop: Header=BB270_9 Depth=1
	s_or_b64 exec, exec, s[34:35]
	v_cmp_lt_u32_e64 s[4:5], s45, v9
	v_mov_b32_e32 v13, 0
	v_mov_b32_e32 v34, 0
	s_and_saveexec_b64 s[34:35], s[4:5]
	s_cbranch_execz .LBB270_297
; %bb.292:                              ;   in Loop: Header=BB270_9 Depth=1
	v_lshrrev_b32_e32 v1, 24, v9
	v_cmp_ne_u32_e64 s[4:5], s42, v1
	v_bfrev_b32_e32 v34, 1
	s_and_saveexec_b64 s[36:37], s[4:5]
	s_cbranch_execz .LBB270_296
; %bb.293:                              ;   in Loop: Header=BB270_9 Depth=1
	v_and_b32_e32 v3, 0x7f, v1
	v_cmp_ne_u32_e64 s[4:5], s43, v3
	v_mov_b32_e32 v34, 0x7c010000
	s_and_saveexec_b64 s[38:39], s[4:5]
	s_cbranch_execz .LBB270_295
; %bb.294:                              ;   in Loop: Header=BB270_9 Depth=1
	v_and_b32_e32 v6, 7, v1
	v_lshrrev_b32_e32 v9, 3, v3
	v_cmp_gt_u32_e64 s[4:5], 8, v3
	v_ffbh_u32_e32 v3, v6
	v_min_u32_e32 v10, 32, v3
	v_subrev_u32_e32 v3, 28, v10
	v_lshlrev_b64 v[3:4], v3, v[1:2]
	v_sub_u32_e32 v4, 29, v10
	v_cndmask_b32_e64 v4, v9, v4, s[4:5]
	v_mov_b32_e32 v9, 0x2000
	v_lshlrev_b32_e32 v1, 8, v1
	v_lshl_add_u32 v4, v4, 10, v9
	v_and_b32_e32 v3, 7, v3
	v_and_or_b32 v1, v1, s44, v4
	v_cndmask_b32_e64 v3, v6, v3, s[4:5]
	v_lshlrev_b32_e32 v1, 16, v1
	v_lshl_or_b32 v34, v3, 23, v1
.LBB270_295:                            ;   in Loop: Header=BB270_9 Depth=1
	s_or_b64 exec, exec, s[38:39]
.LBB270_296:                            ;   in Loop: Header=BB270_9 Depth=1
	s_or_b64 exec, exec, s[36:37]
.LBB270_297:                            ;   in Loop: Header=BB270_9 Depth=1
	s_or_b64 exec, exec, s[34:35]
	global_load_dword v9, v[7:8], off offset:3072
	s_waitcnt vmcnt(0)
	v_cmp_ne_u16_sdwa s[4:5], v9, v2 src0_sel:BYTE_0 src1_sel:DWORD
	s_and_saveexec_b64 s[34:35], s[4:5]
	s_cbranch_execz .LBB270_303
; %bb.298:                              ;   in Loop: Header=BB270_9 Depth=1
	v_cmp_ne_u16_sdwa s[4:5], v9, s42 src0_sel:BYTE_0 src1_sel:DWORD
	v_mov_b32_e32 v13, 0x8000
	s_and_saveexec_b64 s[36:37], s[4:5]
	s_cbranch_execz .LBB270_302
; %bb.299:                              ;   in Loop: Header=BB270_9 Depth=1
	v_and_b32_e32 v1, 0x7f, v9
	v_cmp_ne_u32_e64 s[4:5], s43, v1
	v_mov_b32_e32 v13, 0x7c01
	s_and_saveexec_b64 s[38:39], s[4:5]
	s_cbranch_execz .LBB270_301
; %bb.300:                              ;   in Loop: Header=BB270_9 Depth=1
	v_and_b32_e32 v6, 7, v9
	v_lshrrev_b32_e32 v10, 3, v1
	v_cmp_gt_u32_e64 s[4:5], 8, v1
	v_ffbh_u32_e32 v1, v6
	v_min_u32_e32 v1, 32, v1
	v_subrev_u32_e32 v3, 28, v1
	v_sub_u32_e32 v1, 29, v1
	v_lshlrev_b64 v[3:4], v3, v[9:10]
	v_cndmask_b32_e64 v1, v10, v1, s[4:5]
	v_mov_b32_e32 v10, 0x2000
	v_lshl_add_u32 v1, v1, 10, v10
	v_lshlrev_b32_e32 v4, 8, v9
	v_and_b32_e32 v3, 7, v3
	v_and_b32_e32 v1, 0xfc00, v1
	v_cndmask_b32_e64 v3, v6, v3, s[4:5]
	v_and_or_b32 v1, v4, s44, v1
	v_lshl_or_b32 v13, v3, 7, v1
.LBB270_301:                            ;   in Loop: Header=BB270_9 Depth=1
	s_or_b64 exec, exec, s[38:39]
.LBB270_302:                            ;   in Loop: Header=BB270_9 Depth=1
	s_or_b64 exec, exec, s[36:37]
.LBB270_303:                            ;   in Loop: Header=BB270_9 Depth=1
	s_or_b64 exec, exec, s[34:35]
	v_lshrrev_b16_e32 v1, 8, v9
	v_cmp_ne_u16_e64 s[4:5], 0, v1
	v_mov_b32_e32 v18, 0
	v_mov_b32_e32 v25, 0
	s_and_saveexec_b64 s[34:35], s[4:5]
	s_cbranch_execz .LBB270_309
; %bb.304:                              ;   in Loop: Header=BB270_9 Depth=1
	v_cmp_ne_u16_e64 s[4:5], s42, v1
	v_bfrev_b32_e32 v25, 1
	s_and_saveexec_b64 s[36:37], s[4:5]
	s_cbranch_execz .LBB270_308
; %bb.305:                              ;   in Loop: Header=BB270_9 Depth=1
	v_and_b32_e32 v3, 0x7f, v1
	v_cmp_ne_u32_e64 s[4:5], s43, v3
	v_mov_b32_e32 v25, 0x7c010000
	s_and_saveexec_b64 s[38:39], s[4:5]
	s_cbranch_execz .LBB270_307
; %bb.306:                              ;   in Loop: Header=BB270_9 Depth=1
	v_and_b32_e32 v6, 7, v1
	v_lshrrev_b32_e32 v10, 3, v3
	v_cmp_gt_u32_e64 s[4:5], 8, v3
	v_ffbh_u32_e32 v3, v6
	v_min_u32_e32 v12, 32, v3
	v_subrev_u32_e32 v3, 28, v12
	v_lshlrev_b64 v[3:4], v3, v[1:2]
	v_sub_u32_e32 v4, 29, v12
	v_cndmask_b32_e64 v4, v10, v4, s[4:5]
	v_mov_b32_e32 v10, 0x2000
	v_lshlrev_b32_e32 v1, 8, v1
	v_lshl_add_u32 v4, v4, 10, v10
	v_and_b32_e32 v3, 7, v3
	v_and_or_b32 v1, v1, s44, v4
	v_cndmask_b32_e64 v3, v6, v3, s[4:5]
	v_lshlrev_b32_e32 v1, 16, v1
	v_lshl_or_b32 v25, v3, 23, v1
.LBB270_307:                            ;   in Loop: Header=BB270_9 Depth=1
	s_or_b64 exec, exec, s[38:39]
.LBB270_308:                            ;   in Loop: Header=BB270_9 Depth=1
	s_or_b64 exec, exec, s[36:37]
.LBB270_309:                            ;   in Loop: Header=BB270_9 Depth=1
	s_or_b64 exec, exec, s[34:35]
	v_lshrrev_b32_e32 v1, 16, v9
	v_cmp_ne_u16_sdwa s[4:5], v1, v2 src0_sel:BYTE_0 src1_sel:DWORD
	s_and_saveexec_b64 s[34:35], s[4:5]
	s_cbranch_execz .LBB270_315
; %bb.310:                              ;   in Loop: Header=BB270_9 Depth=1
	v_cmp_ne_u16_sdwa s[4:5], v1, s42 src0_sel:BYTE_0 src1_sel:DWORD
	v_mov_b32_e32 v18, 0x8000
	s_and_saveexec_b64 s[36:37], s[4:5]
	s_cbranch_execz .LBB270_314
; %bb.311:                              ;   in Loop: Header=BB270_9 Depth=1
	v_bfe_u32 v3, v9, 16, 7
	v_cmp_ne_u32_e64 s[4:5], s43, v3
	v_mov_b32_e32 v18, 0x7c01
	s_and_saveexec_b64 s[38:39], s[4:5]
	s_cbranch_execz .LBB270_313
; %bb.312:                              ;   in Loop: Header=BB270_9 Depth=1
	v_and_b32_e32 v6, 7, v1
	v_lshrrev_b32_e32 v10, 3, v3
	v_cmp_gt_u32_e64 s[4:5], 8, v3
	v_ffbh_u32_e32 v3, v6
	v_min_u32_e32 v12, 32, v3
	v_subrev_u32_e32 v3, 28, v12
	v_lshlrev_b64 v[3:4], v3, v[1:2]
	v_sub_u32_e32 v4, 29, v12
	v_cndmask_b32_e64 v4, v10, v4, s[4:5]
	v_mov_b32_e32 v10, 0x2000
	v_lshl_add_u32 v4, v4, 10, v10
	v_lshlrev_b32_e32 v1, 8, v1
	v_and_b32_e32 v3, 7, v3
	v_and_b32_e32 v4, 0xfc00, v4
	v_cndmask_b32_e64 v3, v6, v3, s[4:5]
	v_and_or_b32 v1, v1, s44, v4
	v_lshl_or_b32 v18, v3, 7, v1
.LBB270_313:                            ;   in Loop: Header=BB270_9 Depth=1
	s_or_b64 exec, exec, s[38:39]
.LBB270_314:                            ;   in Loop: Header=BB270_9 Depth=1
	s_or_b64 exec, exec, s[36:37]
.LBB270_315:                            ;   in Loop: Header=BB270_9 Depth=1
	s_or_b64 exec, exec, s[34:35]
	v_cmp_lt_u32_e64 s[4:5], s45, v9
	v_mov_b32_e32 v3, 0
	v_mov_b32_e32 v17, 0
	s_and_saveexec_b64 s[34:35], s[4:5]
	s_cbranch_execz .LBB270_321
; %bb.316:                              ;   in Loop: Header=BB270_9 Depth=1
	v_lshrrev_b32_e32 v1, 24, v9
	v_cmp_ne_u32_e64 s[4:5], s42, v1
	v_bfrev_b32_e32 v17, 1
	s_and_saveexec_b64 s[36:37], s[4:5]
	s_cbranch_execz .LBB270_320
; %bb.317:                              ;   in Loop: Header=BB270_9 Depth=1
	v_and_b32_e32 v4, 0x7f, v1
	v_cmp_ne_u32_e64 s[4:5], s43, v4
	v_mov_b32_e32 v17, 0x7c010000
	s_and_saveexec_b64 s[38:39], s[4:5]
	s_cbranch_execz .LBB270_319
; %bb.318:                              ;   in Loop: Header=BB270_9 Depth=1
	v_and_b32_e32 v6, 7, v1
	v_lshrrev_b32_e32 v12, 3, v4
	v_cmp_gt_u32_e64 s[4:5], 8, v4
	v_ffbh_u32_e32 v4, v6
	v_min_u32_e32 v4, 32, v4
	v_subrev_u32_e32 v9, 28, v4
	v_lshlrev_b64 v[9:10], v9, v[1:2]
	v_sub_u32_e32 v4, 29, v4
	v_cndmask_b32_e64 v4, v12, v4, s[4:5]
	v_mov_b32_e32 v10, 0x2000
	v_lshlrev_b32_e32 v1, 8, v1
	v_lshl_add_u32 v4, v4, 10, v10
	v_and_b32_e32 v9, 7, v9
	v_and_or_b32 v1, v1, s44, v4
	v_cndmask_b32_e64 v6, v6, v9, s[4:5]
	v_lshlrev_b32_e32 v1, 16, v1
	v_lshl_or_b32 v17, v6, 23, v1
.LBB270_319:                            ;   in Loop: Header=BB270_9 Depth=1
	s_or_b64 exec, exec, s[38:39]
.LBB270_320:                            ;   in Loop: Header=BB270_9 Depth=1
	s_or_b64 exec, exec, s[36:37]
.LBB270_321:                            ;   in Loop: Header=BB270_9 Depth=1
	s_or_b64 exec, exec, s[34:35]
	global_load_dword v9, v[7:8], off offset:3080
	s_waitcnt vmcnt(0)
	v_cmp_ne_u16_sdwa s[4:5], v9, v2 src0_sel:BYTE_0 src1_sel:DWORD
	s_and_saveexec_b64 s[34:35], s[4:5]
	s_cbranch_execz .LBB270_327
; %bb.322:                              ;   in Loop: Header=BB270_9 Depth=1
	v_cmp_ne_u16_sdwa s[4:5], v9, s42 src0_sel:BYTE_0 src1_sel:DWORD
	v_mov_b32_e32 v3, 0x8000
	s_and_saveexec_b64 s[36:37], s[4:5]
	s_cbranch_execz .LBB270_326
; %bb.323:                              ;   in Loop: Header=BB270_9 Depth=1
	v_and_b32_e32 v1, 0x7f, v9
	v_cmp_ne_u32_e64 s[4:5], s43, v1
	v_mov_b32_e32 v3, 0x7c01
	s_and_saveexec_b64 s[38:39], s[4:5]
	s_cbranch_execz .LBB270_325
; %bb.324:                              ;   in Loop: Header=BB270_9 Depth=1
	v_and_b32_e32 v6, 7, v9
	v_lshrrev_b32_e32 v10, 3, v1
	v_cmp_gt_u32_e64 s[4:5], 8, v1
	v_ffbh_u32_e32 v1, v6
	v_min_u32_e32 v1, 32, v1
	v_subrev_u32_e32 v3, 28, v1
	v_sub_u32_e32 v1, 29, v1
	v_lshlrev_b64 v[3:4], v3, v[9:10]
	v_cndmask_b32_e64 v1, v10, v1, s[4:5]
	v_mov_b32_e32 v10, 0x2000
	v_lshl_add_u32 v1, v1, 10, v10
	v_lshlrev_b32_e32 v4, 8, v9
	v_and_b32_e32 v3, 7, v3
	v_and_b32_e32 v1, 0xfc00, v1
	v_cndmask_b32_e64 v3, v6, v3, s[4:5]
	v_and_or_b32 v1, v4, s44, v1
	v_lshl_or_b32 v3, v3, 7, v1
.LBB270_325:                            ;   in Loop: Header=BB270_9 Depth=1
	s_or_b64 exec, exec, s[38:39]
.LBB270_326:                            ;   in Loop: Header=BB270_9 Depth=1
	s_or_b64 exec, exec, s[36:37]
.LBB270_327:                            ;   in Loop: Header=BB270_9 Depth=1
	s_or_b64 exec, exec, s[34:35]
	v_lshrrev_b16_e32 v1, 8, v9
	v_cmp_ne_u16_e64 s[4:5], 0, v1
	v_mov_b32_e32 v10, 0
	v_mov_b32_e32 v4, 0
	s_and_saveexec_b64 s[34:35], s[4:5]
	s_cbranch_execz .LBB270_333
; %bb.328:                              ;   in Loop: Header=BB270_9 Depth=1
	v_cmp_ne_u16_e64 s[4:5], s42, v1
	v_bfrev_b32_e32 v4, 1
	s_and_saveexec_b64 s[36:37], s[4:5]
	s_cbranch_execz .LBB270_332
; %bb.329:                              ;   in Loop: Header=BB270_9 Depth=1
	v_and_b32_e32 v6, 0x7f, v1
	v_cmp_ne_u32_e64 s[4:5], s43, v6
	v_mov_b32_e32 v4, 0x7c010000
	s_and_saveexec_b64 s[38:39], s[4:5]
	s_cbranch_execz .LBB270_331
; %bb.330:                              ;   in Loop: Header=BB270_9 Depth=1
	v_and_b32_e32 v4, 7, v1
	v_lshrrev_b32_e32 v12, 3, v6
	v_cmp_gt_u32_e64 s[4:5], 8, v6
	v_ffbh_u32_e32 v6, v4
	v_min_u32_e32 v6, 32, v6
	v_subrev_u32_e32 v16, 28, v6
	v_sub_u32_e32 v6, 29, v6
	v_lshlrev_b64 v[23:24], v16, v[1:2]
	v_cndmask_b32_e64 v6, v12, v6, s[4:5]
	v_mov_b32_e32 v12, 0x2000
	v_lshlrev_b32_e32 v1, 8, v1
	v_lshl_add_u32 v6, v6, 10, v12
	v_and_b32_e32 v12, 7, v23
	v_and_or_b32 v1, v1, s44, v6
	v_cndmask_b32_e64 v4, v4, v12, s[4:5]
	v_lshlrev_b32_e32 v1, 16, v1
	v_lshl_or_b32 v4, v4, 23, v1
.LBB270_331:                            ;   in Loop: Header=BB270_9 Depth=1
	s_or_b64 exec, exec, s[38:39]
.LBB270_332:                            ;   in Loop: Header=BB270_9 Depth=1
	s_or_b64 exec, exec, s[36:37]
.LBB270_333:                            ;   in Loop: Header=BB270_9 Depth=1
	s_or_b64 exec, exec, s[34:35]
	v_lshrrev_b32_e32 v1, 16, v9
	v_cmp_ne_u16_sdwa s[4:5], v1, v2 src0_sel:BYTE_0 src1_sel:DWORD
	s_and_saveexec_b64 s[34:35], s[4:5]
	s_cbranch_execz .LBB270_339
; %bb.334:                              ;   in Loop: Header=BB270_9 Depth=1
	v_cmp_ne_u16_sdwa s[4:5], v1, s42 src0_sel:BYTE_0 src1_sel:DWORD
	v_mov_b32_e32 v10, 0x8000
	s_and_saveexec_b64 s[36:37], s[4:5]
	s_cbranch_execz .LBB270_338
; %bb.335:                              ;   in Loop: Header=BB270_9 Depth=1
	v_bfe_u32 v6, v9, 16, 7
	v_cmp_ne_u32_e64 s[4:5], s43, v6
	v_mov_b32_e32 v10, 0x7c01
	s_and_saveexec_b64 s[38:39], s[4:5]
	s_cbranch_execz .LBB270_337
; %bb.336:                              ;   in Loop: Header=BB270_9 Depth=1
	v_and_b32_e32 v10, 7, v1
	v_lshrrev_b32_e32 v12, 3, v6
	v_cmp_gt_u32_e64 s[4:5], 8, v6
	v_ffbh_u32_e32 v6, v10
	v_min_u32_e32 v6, 32, v6
	v_subrev_u32_e32 v16, 28, v6
	v_sub_u32_e32 v6, 29, v6
	v_lshlrev_b64 v[23:24], v16, v[1:2]
	v_cndmask_b32_e64 v6, v12, v6, s[4:5]
	v_mov_b32_e32 v12, 0x2000
	v_lshl_add_u32 v6, v6, 10, v12
	v_lshlrev_b32_e32 v1, 8, v1
	v_and_b32_e32 v12, 7, v23
	v_and_b32_e32 v6, 0xfc00, v6
	v_cndmask_b32_e64 v10, v10, v12, s[4:5]
	v_and_or_b32 v1, v1, s44, v6
	v_lshl_or_b32 v10, v10, 7, v1
.LBB270_337:                            ;   in Loop: Header=BB270_9 Depth=1
	s_or_b64 exec, exec, s[38:39]
.LBB270_338:                            ;   in Loop: Header=BB270_9 Depth=1
	s_or_b64 exec, exec, s[36:37]
.LBB270_339:                            ;   in Loop: Header=BB270_9 Depth=1
	s_or_b64 exec, exec, s[34:35]
	v_cmp_lt_u32_e64 s[4:5], s45, v9
	v_mov_b32_e32 v16, 0
	v_mov_b32_e32 v12, 0
	s_and_saveexec_b64 s[34:35], s[4:5]
	s_cbranch_execz .LBB270_345
; %bb.340:                              ;   in Loop: Header=BB270_9 Depth=1
	v_lshrrev_b32_e32 v1, 24, v9
	v_cmp_ne_u32_e64 s[4:5], s42, v1
	v_bfrev_b32_e32 v12, 1
	s_and_saveexec_b64 s[36:37], s[4:5]
	s_cbranch_execz .LBB270_344
; %bb.341:                              ;   in Loop: Header=BB270_9 Depth=1
	v_and_b32_e32 v6, 0x7f, v1
	v_cmp_ne_u32_e64 s[4:5], s43, v6
	v_mov_b32_e32 v12, 0x7c010000
	s_and_saveexec_b64 s[38:39], s[4:5]
	s_cbranch_execz .LBB270_343
; %bb.342:                              ;   in Loop: Header=BB270_9 Depth=1
	v_and_b32_e32 v9, 7, v1
	v_lshrrev_b32_e32 v12, 3, v6
	v_cmp_gt_u32_e64 s[4:5], 8, v6
	v_ffbh_u32_e32 v6, v9
	v_min_u32_e32 v6, 32, v6
	v_subrev_u32_e32 v19, 28, v6
	v_sub_u32_e32 v6, 29, v6
	v_lshlrev_b64 v[23:24], v19, v[1:2]
	v_cndmask_b32_e64 v6, v12, v6, s[4:5]
	v_mov_b32_e32 v12, 0x2000
	v_lshlrev_b32_e32 v1, 8, v1
	v_lshl_add_u32 v6, v6, 10, v12
	v_and_b32_e32 v12, 7, v23
	v_and_or_b32 v1, v1, s44, v6
	v_cndmask_b32_e64 v9, v9, v12, s[4:5]
	v_lshlrev_b32_e32 v1, 16, v1
	v_lshl_or_b32 v12, v9, 23, v1
.LBB270_343:                            ;   in Loop: Header=BB270_9 Depth=1
	s_or_b64 exec, exec, s[38:39]
.LBB270_344:                            ;   in Loop: Header=BB270_9 Depth=1
	s_or_b64 exec, exec, s[36:37]
.LBB270_345:                            ;   in Loop: Header=BB270_9 Depth=1
	s_or_b64 exec, exec, s[34:35]
	global_load_dword v9, v[7:8], off offset:3584
	s_waitcnt vmcnt(0)
	v_cmp_ne_u16_sdwa s[4:5], v9, v2 src0_sel:BYTE_0 src1_sel:DWORD
	s_and_saveexec_b64 s[34:35], s[4:5]
	s_cbranch_execz .LBB270_351
; %bb.346:                              ;   in Loop: Header=BB270_9 Depth=1
	v_cmp_ne_u16_sdwa s[4:5], v9, s42 src0_sel:BYTE_0 src1_sel:DWORD
	v_mov_b32_e32 v16, 0x8000
	s_and_saveexec_b64 s[36:37], s[4:5]
	s_cbranch_execz .LBB270_350
; %bb.347:                              ;   in Loop: Header=BB270_9 Depth=1
	v_and_b32_e32 v1, 0x7f, v9
	v_cmp_ne_u32_e64 s[4:5], s43, v1
	v_mov_b32_e32 v16, 0x7c01
	s_and_saveexec_b64 s[38:39], s[4:5]
	s_cbranch_execz .LBB270_349
; %bb.348:                              ;   in Loop: Header=BB270_9 Depth=1
	v_and_b32_e32 v6, 7, v9
	v_lshrrev_b32_e32 v16, 3, v1
	v_cmp_gt_u32_e64 s[4:5], 8, v1
	v_ffbh_u32_e32 v1, v6
	v_min_u32_e32 v1, 32, v1
	v_subrev_u32_e32 v19, 28, v1
	v_sub_u32_e32 v1, 29, v1
	v_lshlrev_b64 v[23:24], v19, v[9:10]
	v_cndmask_b32_e64 v1, v16, v1, s[4:5]
	v_mov_b32_e32 v19, 0x2000
	v_lshl_add_u32 v1, v1, 10, v19
	v_lshlrev_b32_e32 v16, 8, v9
	v_and_b32_e32 v19, 7, v23
	v_and_b32_e32 v1, 0xfc00, v1
	v_cndmask_b32_e64 v6, v6, v19, s[4:5]
	v_and_or_b32 v1, v16, s44, v1
	v_lshl_or_b32 v16, v6, 7, v1
.LBB270_349:                            ;   in Loop: Header=BB270_9 Depth=1
	s_or_b64 exec, exec, s[38:39]
.LBB270_350:                            ;   in Loop: Header=BB270_9 Depth=1
	s_or_b64 exec, exec, s[36:37]
.LBB270_351:                            ;   in Loop: Header=BB270_9 Depth=1
	s_or_b64 exec, exec, s[34:35]
	v_lshrrev_b16_e32 v1, 8, v9
	v_cmp_ne_u16_e64 s[4:5], 0, v1
	v_mov_b32_e32 v19, 0
	v_mov_b32_e32 v24, 0
	s_and_saveexec_b64 s[34:35], s[4:5]
	s_cbranch_execz .LBB270_357
; %bb.352:                              ;   in Loop: Header=BB270_9 Depth=1
	v_cmp_ne_u16_e64 s[4:5], s42, v1
	v_bfrev_b32_e32 v24, 1
	s_and_saveexec_b64 s[36:37], s[4:5]
	s_cbranch_execz .LBB270_356
; %bb.353:                              ;   in Loop: Header=BB270_9 Depth=1
	v_and_b32_e32 v6, 0x7f, v1
	v_cmp_ne_u32_e64 s[4:5], s43, v6
	v_mov_b32_e32 v24, 0x7c010000
	s_and_saveexec_b64 s[38:39], s[4:5]
	s_cbranch_execz .LBB270_355
; %bb.354:                              ;   in Loop: Header=BB270_9 Depth=1
	v_and_b32_e32 v21, 7, v1
	v_lshrrev_b32_e32 v26, 3, v6
	v_cmp_gt_u32_e64 s[4:5], 8, v6
	v_ffbh_u32_e32 v6, v21
	v_min_u32_e32 v6, 32, v6
	v_subrev_u32_e32 v23, 28, v6
	v_lshlrev_b64 v[23:24], v23, v[1:2]
	v_sub_u32_e32 v6, 29, v6
	v_cndmask_b32_e64 v6, v26, v6, s[4:5]
	v_mov_b32_e32 v24, 0x2000
	v_lshlrev_b32_e32 v1, 8, v1
	v_lshl_add_u32 v6, v6, 10, v24
	v_and_b32_e32 v23, 7, v23
	v_and_or_b32 v1, v1, s44, v6
	v_cndmask_b32_e64 v21, v21, v23, s[4:5]
	v_lshlrev_b32_e32 v1, 16, v1
	v_lshl_or_b32 v24, v21, 23, v1
.LBB270_355:                            ;   in Loop: Header=BB270_9 Depth=1
	s_or_b64 exec, exec, s[38:39]
.LBB270_356:                            ;   in Loop: Header=BB270_9 Depth=1
	s_or_b64 exec, exec, s[36:37]
.LBB270_357:                            ;   in Loop: Header=BB270_9 Depth=1
	s_or_b64 exec, exec, s[34:35]
	v_lshrrev_b32_e32 v1, 16, v9
	v_cmp_ne_u16_sdwa s[4:5], v1, v2 src0_sel:BYTE_0 src1_sel:DWORD
	s_and_saveexec_b64 s[34:35], s[4:5]
	s_cbranch_execz .LBB270_363
; %bb.358:                              ;   in Loop: Header=BB270_9 Depth=1
	v_cmp_ne_u16_sdwa s[4:5], v1, s42 src0_sel:BYTE_0 src1_sel:DWORD
	v_mov_b32_e32 v19, 0x8000
	s_and_saveexec_b64 s[36:37], s[4:5]
	s_cbranch_execz .LBB270_362
; %bb.359:                              ;   in Loop: Header=BB270_9 Depth=1
	v_bfe_u32 v6, v9, 16, 7
	v_cmp_ne_u32_e64 s[4:5], s43, v6
	v_mov_b32_e32 v19, 0x7c01
	s_and_saveexec_b64 s[38:39], s[4:5]
	s_cbranch_execz .LBB270_361
; %bb.360:                              ;   in Loop: Header=BB270_9 Depth=1
	v_and_b32_e32 v19, 7, v1
	v_lshrrev_b32_e32 v21, 3, v6
	v_cmp_gt_u32_e64 s[4:5], 8, v6
	v_ffbh_u32_e32 v6, v19
	v_min_u32_e32 v6, 32, v6
	v_subrev_u32_e32 v23, 28, v6
	v_sub_u32_e32 v6, 29, v6
	v_mov_b32_e32 v26, v32
	v_lshlrev_b64 v[32:33], v23, v[1:2]
	v_cndmask_b32_e64 v6, v21, v6, s[4:5]
	v_mov_b32_e32 v21, 0x2000
	v_lshl_add_u32 v6, v6, 10, v21
	v_lshlrev_b32_e32 v1, 8, v1
	v_and_b32_e32 v21, 7, v32
	v_and_b32_e32 v6, 0xfc00, v6
	v_cndmask_b32_e64 v19, v19, v21, s[4:5]
	v_and_or_b32 v1, v1, s44, v6
	v_mov_b32_e32 v32, v26
	v_lshl_or_b32 v19, v19, 7, v1
.LBB270_361:                            ;   in Loop: Header=BB270_9 Depth=1
	s_or_b64 exec, exec, s[38:39]
.LBB270_362:                            ;   in Loop: Header=BB270_9 Depth=1
	s_or_b64 exec, exec, s[36:37]
.LBB270_363:                            ;   in Loop: Header=BB270_9 Depth=1
	s_or_b64 exec, exec, s[34:35]
	v_cmp_lt_u32_e64 s[4:5], s45, v9
	v_mov_b32_e32 v23, 0
	v_mov_b32_e32 v6, 0
	s_and_saveexec_b64 s[34:35], s[4:5]
	s_cbranch_execz .LBB270_369
; %bb.364:                              ;   in Loop: Header=BB270_9 Depth=1
	v_lshrrev_b32_e32 v1, 24, v9
	v_cmp_ne_u32_e64 s[4:5], s42, v1
	v_bfrev_b32_e32 v6, 1
	s_and_saveexec_b64 s[36:37], s[4:5]
	s_cbranch_execz .LBB270_368
; %bb.365:                              ;   in Loop: Header=BB270_9 Depth=1
	v_and_b32_e32 v9, 0x7f, v1
	v_cmp_ne_u32_e64 s[4:5], s43, v9
	v_mov_b32_e32 v6, 0x7c010000
	s_and_saveexec_b64 s[38:39], s[4:5]
	s_cbranch_execz .LBB270_367
; %bb.366:                              ;   in Loop: Header=BB270_9 Depth=1
	v_and_b32_e32 v6, 7, v1
	v_lshrrev_b32_e32 v21, 3, v9
	v_cmp_gt_u32_e64 s[4:5], 8, v9
	v_ffbh_u32_e32 v9, v6
	v_min_u32_e32 v9, 32, v9
	v_subrev_u32_e32 v26, 28, v9
	v_sub_u32_e32 v9, 29, v9
	v_mov_b32_e32 v38, v32
	v_lshlrev_b64 v[32:33], v26, v[1:2]
	v_cndmask_b32_e64 v9, v21, v9, s[4:5]
	v_mov_b32_e32 v21, 0x2000
	v_lshlrev_b32_e32 v1, 8, v1
	v_lshl_add_u32 v9, v9, 10, v21
	v_and_b32_e32 v21, 7, v32
	v_and_or_b32 v1, v1, s44, v9
	v_cndmask_b32_e64 v6, v6, v21, s[4:5]
	v_lshlrev_b32_e32 v1, 16, v1
	v_mov_b32_e32 v32, v38
	v_lshl_or_b32 v6, v6, 23, v1
.LBB270_367:                            ;   in Loop: Header=BB270_9 Depth=1
	s_or_b64 exec, exec, s[38:39]
.LBB270_368:                            ;   in Loop: Header=BB270_9 Depth=1
	s_or_b64 exec, exec, s[36:37]
.LBB270_369:                            ;   in Loop: Header=BB270_9 Depth=1
	s_or_b64 exec, exec, s[34:35]
	global_load_dword v7, v[7:8], off offset:3592
	s_waitcnt vmcnt(0)
	v_cmp_ne_u16_sdwa s[4:5], v7, v2 src0_sel:BYTE_0 src1_sel:DWORD
	s_and_saveexec_b64 s[34:35], s[4:5]
	s_cbranch_execz .LBB270_375
; %bb.370:                              ;   in Loop: Header=BB270_9 Depth=1
	v_cmp_ne_u16_sdwa s[4:5], v7, s42 src0_sel:BYTE_0 src1_sel:DWORD
	v_mov_b32_e32 v23, 0x8000
	s_and_saveexec_b64 s[36:37], s[4:5]
	s_cbranch_execz .LBB270_374
; %bb.371:                              ;   in Loop: Header=BB270_9 Depth=1
	v_and_b32_e32 v1, 0x7f, v7
	v_cmp_ne_u32_e64 s[4:5], s43, v1
	v_mov_b32_e32 v23, 0x7c01
	s_and_saveexec_b64 s[38:39], s[4:5]
	s_cbranch_execz .LBB270_373
; %bb.372:                              ;   in Loop: Header=BB270_9 Depth=1
	v_and_b32_e32 v21, 7, v7
	v_lshrrev_b32_e32 v23, 3, v1
	v_cmp_gt_u32_e64 s[4:5], 8, v1
	v_ffbh_u32_e32 v1, v21
	v_min_u32_e32 v1, 32, v1
	v_subrev_u32_e32 v8, 28, v1
	v_sub_u32_e32 v1, 29, v1
	v_lshlrev_b64 v[8:9], v8, v[7:8]
	v_cndmask_b32_e64 v1, v23, v1, s[4:5]
	v_mov_b32_e32 v23, 0x2000
	v_lshl_add_u32 v1, v1, 10, v23
	v_lshlrev_b32_e32 v9, 8, v7
	v_and_b32_e32 v8, 7, v8
	v_and_b32_e32 v1, 0xfc00, v1
	v_cndmask_b32_e64 v8, v21, v8, s[4:5]
	v_and_or_b32 v1, v9, s44, v1
	v_lshl_or_b32 v23, v8, 7, v1
.LBB270_373:                            ;   in Loop: Header=BB270_9 Depth=1
	s_or_b64 exec, exec, s[38:39]
.LBB270_374:                            ;   in Loop: Header=BB270_9 Depth=1
	s_or_b64 exec, exec, s[36:37]
.LBB270_375:                            ;   in Loop: Header=BB270_9 Depth=1
	s_or_b64 exec, exec, s[34:35]
	v_lshrrev_b16_e32 v1, 8, v7
	v_cmp_ne_u16_e64 s[4:5], 0, v1
	v_mov_b32_e32 v21, 0
	v_mov_b32_e32 v9, 0
	s_and_saveexec_b64 s[34:35], s[4:5]
	s_cbranch_execz .LBB270_381
; %bb.376:                              ;   in Loop: Header=BB270_9 Depth=1
	v_cmp_ne_u16_e64 s[4:5], s42, v1
	v_bfrev_b32_e32 v9, 1
	s_and_saveexec_b64 s[36:37], s[4:5]
	s_cbranch_execz .LBB270_380
; %bb.377:                              ;   in Loop: Header=BB270_9 Depth=1
	v_and_b32_e32 v8, 0x7f, v1
	v_cmp_ne_u32_e64 s[4:5], s43, v8
	v_mov_b32_e32 v9, 0x7c010000
	s_and_saveexec_b64 s[38:39], s[4:5]
	s_cbranch_execz .LBB270_379
; %bb.378:                              ;   in Loop: Header=BB270_9 Depth=1
	v_and_b32_e32 v26, 7, v1
	v_mov_b32_e32 v38, v32
	v_lshrrev_b32_e32 v32, 3, v8
	v_cmp_gt_u32_e64 s[4:5], 8, v8
	v_ffbh_u32_e32 v8, v26
	v_min_u32_e32 v33, 32, v8
	v_subrev_u32_e32 v8, 28, v33
	v_lshlrev_b64 v[8:9], v8, v[1:2]
	v_sub_u32_e32 v9, 29, v33
	v_cndmask_b32_e64 v9, v32, v9, s[4:5]
	v_mov_b32_e32 v32, 0x2000
	v_lshlrev_b32_e32 v1, 8, v1
	v_lshl_add_u32 v9, v9, 10, v32
	v_and_b32_e32 v8, 7, v8
	v_and_or_b32 v1, v1, s44, v9
	v_cndmask_b32_e64 v8, v26, v8, s[4:5]
	v_lshlrev_b32_e32 v1, 16, v1
	v_mov_b32_e32 v32, v38
	v_lshl_or_b32 v9, v8, 23, v1
.LBB270_379:                            ;   in Loop: Header=BB270_9 Depth=1
	s_or_b64 exec, exec, s[38:39]
.LBB270_380:                            ;   in Loop: Header=BB270_9 Depth=1
	s_or_b64 exec, exec, s[36:37]
.LBB270_381:                            ;   in Loop: Header=BB270_9 Depth=1
	s_or_b64 exec, exec, s[34:35]
	v_lshrrev_b32_e32 v1, 16, v7
	v_cmp_ne_u16_sdwa s[4:5], v1, v2 src0_sel:BYTE_0 src1_sel:DWORD
	s_and_saveexec_b64 s[34:35], s[4:5]
	s_cbranch_execz .LBB270_387
; %bb.382:                              ;   in Loop: Header=BB270_9 Depth=1
	v_cmp_ne_u16_sdwa s[4:5], v1, s42 src0_sel:BYTE_0 src1_sel:DWORD
	v_mov_b32_e32 v21, 0x8000
	s_and_saveexec_b64 s[36:37], s[4:5]
	s_cbranch_execz .LBB270_386
; %bb.383:                              ;   in Loop: Header=BB270_9 Depth=1
	v_bfe_u32 v8, v7, 16, 7
	v_cmp_ne_u32_e64 s[4:5], s43, v8
	v_mov_b32_e32 v21, 0x7c01
	s_and_saveexec_b64 s[38:39], s[4:5]
	s_cbranch_execz .LBB270_385
; %bb.384:                              ;   in Loop: Header=BB270_9 Depth=1
	v_and_b32_e32 v21, 7, v1
	v_lshrrev_b32_e32 v26, 3, v8
	v_cmp_gt_u32_e64 s[4:5], 8, v8
	v_ffbh_u32_e32 v8, v21
	v_min_u32_e32 v8, 32, v8
	v_mov_b32_e32 v38, v32
	v_subrev_u32_e32 v32, 28, v8
	v_sub_u32_e32 v8, 29, v8
	v_lshlrev_b64 v[32:33], v32, v[1:2]
	v_cndmask_b32_e64 v8, v26, v8, s[4:5]
	v_mov_b32_e32 v26, 0x2000
	v_lshl_add_u32 v8, v8, 10, v26
	v_lshlrev_b32_e32 v1, 8, v1
	v_and_b32_e32 v26, 7, v32
	v_and_b32_e32 v8, 0xfc00, v8
	v_cndmask_b32_e64 v21, v21, v26, s[4:5]
	v_and_or_b32 v1, v1, s44, v8
	v_mov_b32_e32 v32, v38
	v_lshl_or_b32 v21, v21, 7, v1
.LBB270_385:                            ;   in Loop: Header=BB270_9 Depth=1
	s_or_b64 exec, exec, s[38:39]
.LBB270_386:                            ;   in Loop: Header=BB270_9 Depth=1
	s_or_b64 exec, exec, s[36:37]
.LBB270_387:                            ;   in Loop: Header=BB270_9 Depth=1
	s_or_b64 exec, exec, s[34:35]
	v_cmp_lt_u32_e64 s[4:5], s45, v7
	v_mov_b32_e32 v26, 0
	s_and_saveexec_b64 s[34:35], s[4:5]
	s_cbranch_execz .LBB270_393
; %bb.388:                              ;   in Loop: Header=BB270_9 Depth=1
	v_lshrrev_b32_e32 v1, 24, v7
	v_cmp_ne_u32_e64 s[4:5], s42, v1
	v_bfrev_b32_e32 v26, 1
	s_and_saveexec_b64 s[36:37], s[4:5]
	s_cbranch_execz .LBB270_392
; %bb.389:                              ;   in Loop: Header=BB270_9 Depth=1
	v_and_b32_e32 v7, 0x7f, v1
	v_cmp_ne_u32_e64 s[4:5], s43, v7
	v_mov_b32_e32 v26, 0x7c010000
	s_and_saveexec_b64 s[38:39], s[4:5]
	s_cbranch_execz .LBB270_391
; %bb.390:                              ;   in Loop: Header=BB270_9 Depth=1
	v_and_b32_e32 v26, 7, v1
	v_mov_b32_e32 v38, v32
	v_lshrrev_b32_e32 v32, 3, v7
	v_cmp_gt_u32_e64 s[4:5], 8, v7
	v_ffbh_u32_e32 v7, v26
	v_min_u32_e32 v33, 32, v7
	v_subrev_u32_e32 v7, 28, v33
	v_lshlrev_b64 v[7:8], v7, v[1:2]
	v_sub_u32_e32 v8, 29, v33
	v_cndmask_b32_e64 v8, v32, v8, s[4:5]
	v_mov_b32_e32 v32, 0x2000
	v_lshlrev_b32_e32 v1, 8, v1
	v_lshl_add_u32 v8, v8, 10, v32
	v_and_b32_e32 v7, 7, v7
	v_and_or_b32 v1, v1, s44, v8
	v_cndmask_b32_e64 v7, v26, v7, s[4:5]
	v_lshlrev_b32_e32 v1, 16, v1
	v_mov_b32_e32 v32, v38
	v_lshl_or_b32 v26, v7, 23, v1
.LBB270_391:                            ;   in Loop: Header=BB270_9 Depth=1
	s_or_b64 exec, exec, s[38:39]
.LBB270_392:                            ;   in Loop: Header=BB270_9 Depth=1
	s_or_b64 exec, exec, s[36:37]
.LBB270_393:                            ;   in Loop: Header=BB270_9 Depth=1
	s_or_b64 exec, exec, s[34:35]
	v_or_b32_e32 v1, v24, v16
	v_fma_mixlo_f16 v1, v20, v1, 0 op_sel_hi:[0,1,0]
	buffer_store_dword v1, off, s[48:51], 0 offset:64 ; 4-byte Folded Spill
	v_or_b32_e32 v1, v6, v19
	v_fma_mixlo_f16 v1, v20, v1, 0 op_sel_hi:[0,1,0]
	buffer_store_dword v1, off, s[48:51], 0 offset:56 ; 4-byte Folded Spill
	v_fma_mixlo_f16 v1, v20, v6, 0 op_sel:[0,1,0] op_sel_hi:[0,1,0]
	buffer_store_dword v1, off, s[48:51], 0 offset:52 ; 4-byte Folded Spill
	v_or_b32_e32 v1, v4, v3
	v_fma_mixlo_f16 v1, v20, v1, 0 op_sel_hi:[0,1,0]
	buffer_store_dword v1, off, s[48:51], 0 offset:80 ; 4-byte Folded Spill
	v_or_b32_e32 v1, v12, v10
	v_fma_mixlo_f16 v1, v20, v1, 0 op_sel_hi:[0,1,0]
	buffer_store_dword v1, off, s[48:51], 0 offset:72 ; 4-byte Folded Spill
	v_fma_mixlo_f16 v1, v20, v12, 0 op_sel:[0,1,0] op_sel_hi:[0,1,0]
	v_fma_mixlo_f16 v3, v20, v4, 0 op_sel:[0,1,0] op_sel_hi:[0,1,0]
	buffer_store_dword v1, off, s[48:51], 0 offset:68 ; 4-byte Folded Spill
	v_or_b32_e32 v1, v25, v13
	buffer_store_dword v3, off, s[48:51], 0 offset:76 ; 4-byte Folded Spill
	v_fma_mixlo_f16 v3, v20, v25, 0 op_sel:[0,1,0] op_sel_hi:[0,1,0]
	v_fma_mixlo_f16 v25, v20, v1, 0 op_sel_hi:[0,1,0]
	v_or_b32_e32 v1, v17, v18
	v_fma_mixlo_f16 v1, v20, v1, 0 op_sel_hi:[0,1,0]
	buffer_store_dword v1, off, s[48:51], 0 offset:88 ; 4-byte Folded Spill
	v_fma_mixlo_f16 v1, v20, v17, 0 op_sel:[0,1,0] op_sel_hi:[0,1,0]
	buffer_store_dword v1, off, s[48:51], 0 offset:84 ; 4-byte Folded Spill
	v_or_b32_e32 v1, v30, v11
	v_fma_mixlo_f16 v33, v20, v1, 0 op_sel_hi:[0,1,0]
	v_or_b32_e32 v1, v34, v29
	v_fma_mixlo_f16 v29, v20, v1, 0 op_sel_hi:[0,1,0]
	v_or_b32_e32 v1, v0, v61
	v_fma_mixlo_f16 v61, v20, v0, 0 op_sel:[0,1,0] op_sel_hi:[0,1,0]
	v_or_b32_e32 v0, v22, v14
	v_fma_mixlo_f16 v14, v20, v0, 0 op_sel_hi:[0,1,0]
	v_or_b32_e32 v0, v59, v5
	v_fma_mixlo_f16 v13, v20, v22, 0 op_sel:[0,1,0] op_sel_hi:[0,1,0]
	v_fma_mixlo_f16 v22, v20, v0, 0 op_sel_hi:[0,1,0]
	v_or_b32_e32 v0, v60, v62
	v_fma_mixlo_f16 v11, v20, v0, 0 op_sel_hi:[0,1,0]
	v_or_b32_e32 v0, v55, v57
	v_fma_mixlo_f16 v12, v20, v60, 0 op_sel:[0,1,0] op_sel_hi:[0,1,0]
	v_fma_mixlo_f16 v60, v20, v0, 0 op_sel_hi:[0,1,0]
	;; [unrolled: 5-line block ×4, first 2 shown]
	v_or_b32_e32 v0, v48, v51
	buffer_store_dword v3, off, s[48:51], 0 offset:92 ; 4-byte Folded Spill
	v_fma_mixlo_f16 v3, v20, v0, 0 op_sel_hi:[0,1,0]
	v_or_b32_e32 v0, v43, v41
	v_fma_mixlo_f16 v51, v20, v48, 0 op_sel:[0,1,0] op_sel_hi:[0,1,0]
	v_fma_mixlo_f16 v48, v20, v0, 0 op_sel_hi:[0,1,0]
	v_or_b32_e32 v0, v44, v42
	v_fma_mixlo_f16 v42, v20, v0, 0 op_sel_hi:[0,1,0]
	buffer_load_dword v0, off, s[48:51], 0 offset:24 ; 4-byte Folded Reload
	v_fma_mixlo_f16 v41, v20, v44, 0 op_sel:[0,1,0] op_sel_hi:[0,1,0]
	v_fma_mixlo_f16 v44, v20, v39, 0 op_sel:[0,1,0] op_sel_hi:[0,1,0]
	;; [unrolled: 1-line block ×4, first 2 shown]
	buffer_store_dword v7, off, s[48:51], 0 offset:60 ; 4-byte Folded Spill
	v_fma_mixlo_f16 v7, v20, v27, 0 op_sel:[0,1,0] op_sel_hi:[0,1,0]
	v_or_b32_e32 v23, v9, v23
	v_fma_mixlo_f16 v30, v20, v30, 0 op_sel:[0,1,0] op_sel_hi:[0,1,0]
	v_fma_mixlo_f16 v18, v20, v34, 0 op_sel:[0,1,0] op_sel_hi:[0,1,0]
	v_fma_mixlo_f16 v34, v20, v1, 0 op_sel_hi:[0,1,0]
	v_fma_mixlo_f16 v59, v20, v59, 0 op_sel:[0,1,0] op_sel_hi:[0,1,0]
	v_fma_mixlo_f16 v55, v20, v55, 0 op_sel:[0,1,0] op_sel_hi:[0,1,0]
	;; [unrolled: 1-line block ×5, first 2 shown]
	v_fma_mixlo_f16 v23, v20, v23, 0 op_sel_hi:[0,1,0]
	v_and_b32_e32 v7, 0xffff, v7
	v_and_b32_e32 v1, 0xffff, v1
	;; [unrolled: 1-line block ×4, first 2 shown]
	s_waitcnt vmcnt(1)
	v_or_b32_e32 v0, v39, v0
	v_fma_mixlo_f16 v17, v20, v0, 0 op_sel_hi:[0,1,0]
	buffer_load_dword v0, off, s[48:51], 0 offset:28 ; 4-byte Folded Reload
	s_waitcnt vmcnt(0)
	v_or_b32_e32 v0, v40, v0
	v_fma_mixlo_f16 v39, v20, v0, 0 op_sel_hi:[0,1,0]
	v_or_b32_e32 v0, v35, v32
	v_fma_mixlo_f16 v16, v20, v0, 0 op_sel_hi:[0,1,0]
	v_or_b32_e32 v0, v36, v28
	v_fma_mixlo_f16 v40, v20, v0, 0 op_sel_hi:[0,1,0]
	buffer_load_dword v0, off, s[48:51], 0 offset:16 ; 4-byte Folded Reload
	v_fma_mixlo_f16 v32, v20, v35, 0 op_sel:[0,1,0] op_sel_hi:[0,1,0]
	v_fma_mixlo_f16 v35, v20, v36, 0 op_sel:[0,1,0] op_sel_hi:[0,1,0]
	;; [unrolled: 1-line block ×3, first 2 shown]
	s_waitcnt vmcnt(0)
	v_or_b32_e32 v0, v31, v0
	v_fma_mixlo_f16 v19, v20, v0, 0 op_sel_hi:[0,1,0]
	buffer_load_dword v0, off, s[48:51], 0 offset:20 ; 4-byte Folded Reload
	v_and_b32_e32 v19, 0xffff, v19
	s_waitcnt vmcnt(0)
	v_or_b32_e32 v0, v27, v0
	v_fma_mixlo_f16 v8, v20, v0, 0 op_sel_hi:[0,1,0]
	buffer_load_dword v0, off, s[48:51], 0 offset:4 ; 4-byte Folded Reload
	buffer_load_dword v5, off, s[48:51], 0 offset:12 ; 4-byte Folded Reload
	v_and_b32_e32 v8, 0xffff, v8
	s_waitcnt vmcnt(0)
	v_or_b32_e32 v0, v5, v0
	v_fma_mixlo_f16 v27, v20, v5, 0 op_sel:[0,1,0] op_sel_hi:[0,1,0]
	v_fma_mixlo_f16 v24, v20, v0, 0 op_sel_hi:[0,1,0]
	buffer_load_dword v0, off, s[48:51], 0 offset:8 ; 4-byte Folded Reload
	buffer_load_dword v5, off, s[48:51], 0 offset:44 ; 4-byte Folded Reload
	v_and_b32_e32 v24, 0xffff, v24
	v_and_b32_e32 v27, 0xffff, v27
	s_waitcnt vmcnt(0)
	v_or_b32_e32 v0, v5, v0
	v_fma_mixlo_f16 v28, v20, v5, 0 op_sel:[0,1,0] op_sel_hi:[0,1,0]
	buffer_load_dword v5, off, s[48:51], 0  ; 4-byte Folded Reload
	v_fma_mixlo_f16 v31, v20, v0, 0 op_sel_hi:[0,1,0]
	v_and_b32_e32 v28, 0xffff, v28
	s_waitcnt vmcnt(0)
	v_or_b32_e32 v0, v5, v37
	buffer_load_dword v37, off, s[48:51], 0 offset:40 ; 4-byte Folded Reload
	v_fma_mixlo_f16 v57, v20, v0, 0 op_sel_hi:[0,1,0]
	v_fma_mixlo_f16 v62, v20, v5, 0 op_sel:[0,1,0] op_sel_hi:[0,1,0]
	s_waitcnt vmcnt(0)
	v_or_b32_e32 v0, v37, v63
	v_fma_mixlo_f16 v5, v20, v0, 0 op_sel_hi:[0,1,0]
	v_fma_mixlo_f16 v0, v20, v37, 0 op_sel:[0,1,0] op_sel_hi:[0,1,0]
	v_fma_mixlo_f16 v37, v20, v9, 0 op_sel:[0,1,0] op_sel_hi:[0,1,0]
	v_or_b32_e32 v9, v26, v21
	v_fma_mixlo_f16 v63, v20, v9, 0 op_sel_hi:[0,1,0]
	v_fma_mixlo_f16 v9, v20, v26, 0 op_sel:[0,1,0] op_sel_hi:[0,1,0]
	ds_read_b64 v[20:21], v15
	v_and_b32_e32 v5, 0xffff, v5
	v_and_b32_e32 v0, 0xffff, v0
	s_waitcnt lgkmcnt(0)
	v_lshrrev_b32_e32 v45, 16, v20
	v_and_b32_e32 v20, 0xffff, v20
	;;#ASMSTART
	v_cvt_f32_f16 v26, v20;
	;;#ASMEND
	v_and_b32_e32 v20, 0xffff, v57
	;;#ASMSTART
	v_cvt_f32_f16 v53, v45;
	;;#ASMEND
	;;#ASMSTART
	v_cvt_f32_f16 v57, v20;
	;;#ASMEND
	v_and_b32_e32 v20, 0xffff, v62
	;;#ASMSTART
	v_cvt_f32_f16 v62, v20;
	;;#ASMEND
	v_lshrrev_b32_e32 v20, 16, v21
	v_and_b32_e32 v21, 0xffff, v21
	;;#ASMSTART
	v_cvt_f32_f16 v49, v21;
	;;#ASMEND
	;;#ASMSTART
	v_cvt_f32_f16 v50, v20;
	;;#ASMEND
	;; [unrolled: 3-line block ×4, first 2 shown]
	ds_read_b64 v[20:21], v15 offset:8
	s_waitcnt lgkmcnt(0)
	v_lshrrev_b32_e32 v45, 16, v20
	v_and_b32_e32 v20, 0xffff, v20
	;;#ASMSTART
	v_cvt_f32_f16 v20, v20;
	;;#ASMEND
	;;#ASMSTART
	v_cvt_f32_f16 v45, v45;
	;;#ASMEND
	;; [unrolled: 3-line block ×3, first 2 shown]
	v_mul_f32_e32 v24, v20, v24
	v_fmac_f32_e32 v24, v26, v57
	v_lshrrev_b32_e32 v26, 16, v21
	v_and_b32_e32 v20, 0xffff, v21
	;;#ASMSTART
	v_cvt_f32_f16 v27, v27;
	;;#ASMEND
	;;#ASMSTART
	v_cvt_f32_f16 v20, v20;
	;;#ASMEND
	;; [unrolled: 3-line block ×3, first 2 shown]
	v_and_b32_e32 v26, 0xffff, v31
	;;#ASMSTART
	v_cvt_f32_f16 v26, v26;
	;;#ASMEND
	;;#ASMSTART
	v_cvt_f32_f16 v31, v28;
	;;#ASMEND
	v_mul_f32_e32 v28, v20, v26
	v_mul_f32_e32 v31, v21, v31
	ds_read_b64 v[20:21], v15 offset:16
	v_mul_f32_e32 v27, v45, v27
	v_fmac_f32_e32 v28, v49, v5
	v_fmac_f32_e32 v31, v50, v0
	;; [unrolled: 1-line block ×3, first 2 shown]
	s_waitcnt lgkmcnt(0)
	v_lshrrev_b32_e32 v5, 16, v20
	v_and_b32_e32 v0, 0xffff, v20
	;;#ASMSTART
	v_cvt_f32_f16 v0, v0;
	;;#ASMEND
	;;#ASMSTART
	v_cvt_f32_f16 v5, v5;
	;;#ASMEND
	v_and_b32_e32 v20, 0xffff, v36
	;;#ASMSTART
	v_cvt_f32_f16 v19, v19;
	;;#ASMEND
	;;#ASMSTART
	v_cvt_f32_f16 v20, v20;
	;;#ASMEND
	v_fmac_f32_e32 v24, v0, v19
	v_fmac_f32_e32 v27, v5, v20
	v_lshrrev_b32_e32 v5, 16, v21
	v_and_b32_e32 v0, 0xffff, v21
	;;#ASMSTART
	v_cvt_f32_f16 v0, v0;
	;;#ASMEND
	;;#ASMSTART
	v_cvt_f32_f16 v5, v5;
	;;#ASMEND
	;; [unrolled: 3-line block ×4, first 2 shown]
	v_fmac_f32_e32 v28, v0, v8
	v_fmac_f32_e32 v31, v5, v7
	ds_read_b64 v[7:8], v15 offset:24
	s_waitcnt lgkmcnt(0)
	v_and_b32_e32 v5, 0xffff, v7
	v_lshrrev_b32_e32 v0, 16, v7
	;;#ASMSTART
	v_cvt_f32_f16 v7, v5;
	;;#ASMEND
	v_and_b32_e32 v5, 0xffff, v16
	;;#ASMSTART
	v_cvt_f32_f16 v0, v0;
	;;#ASMEND
	;;#ASMSTART
	v_cvt_f32_f16 v16, v5;
	;;#ASMEND
	v_and_b32_e32 v5, 0xffff, v32
	;;#ASMSTART
	v_cvt_f32_f16 v5, v5;
	;;#ASMEND
	v_fmac_f32_e32 v24, v7, v16
	v_fmac_f32_e32 v27, v0, v5
	v_lshrrev_b32_e32 v5, 16, v8
	v_and_b32_e32 v0, 0xffff, v8
	v_and_b32_e32 v7, 0xffff, v40
	;; [unrolled: 1-line block ×3, first 2 shown]
	;;#ASMSTART
	v_cvt_f32_f16 v0, v0;
	;;#ASMEND
	;;#ASMSTART
	v_cvt_f32_f16 v5, v5;
	;;#ASMEND
	;;#ASMSTART
	v_cvt_f32_f16 v7, v7;
	;;#ASMEND
	;;#ASMSTART
	v_cvt_f32_f16 v8, v8;
	;;#ASMEND
	v_fmac_f32_e32 v28, v0, v7
	v_fmac_f32_e32 v31, v5, v8
	ds_read_b64 v[7:8], v15 offset:32
	v_and_b32_e32 v16, 0xffff, v44
	s_waitcnt lgkmcnt(0)
	v_lshrrev_b32_e32 v5, 16, v7
	v_and_b32_e32 v0, 0xffff, v7
	v_and_b32_e32 v7, 0xffff, v17
	;;#ASMSTART
	v_cvt_f32_f16 v0, v0;
	;;#ASMEND
	;;#ASMSTART
	v_cvt_f32_f16 v5, v5;
	;;#ASMEND
	;; [unrolled: 3-line block ×4, first 2 shown]
	v_fmac_f32_e32 v24, v0, v7
	v_fmac_f32_e32 v27, v5, v16
	v_lshrrev_b32_e32 v5, 16, v8
	v_and_b32_e32 v0, 0xffff, v8
	v_and_b32_e32 v7, 0xffff, v39
	v_and_b32_e32 v8, 0xffff, v38
	;;#ASMSTART
	v_cvt_f32_f16 v0, v0;
	;;#ASMEND
	;;#ASMSTART
	v_cvt_f32_f16 v5, v5;
	;;#ASMEND
	;; [unrolled: 3-line block ×4, first 2 shown]
	v_fmac_f32_e32 v28, v0, v7
	v_fmac_f32_e32 v31, v5, v8
	ds_read_b64 v[7:8], v15 offset:40
	v_and_b32_e32 v16, 0xffff, v43
	s_waitcnt lgkmcnt(0)
	v_lshrrev_b32_e32 v5, 16, v7
	v_and_b32_e32 v0, 0xffff, v7
	v_and_b32_e32 v7, 0xffff, v48
	;;#ASMSTART
	v_cvt_f32_f16 v0, v0;
	;;#ASMEND
	;;#ASMSTART
	v_cvt_f32_f16 v5, v5;
	;;#ASMEND
	;; [unrolled: 3-line block ×4, first 2 shown]
	v_fmac_f32_e32 v24, v0, v7
	v_fmac_f32_e32 v27, v5, v16
	v_lshrrev_b32_e32 v5, 16, v8
	v_and_b32_e32 v0, 0xffff, v8
	v_and_b32_e32 v7, 0xffff, v42
	;; [unrolled: 1-line block ×3, first 2 shown]
	;;#ASMSTART
	v_cvt_f32_f16 v0, v0;
	;;#ASMEND
	;;#ASMSTART
	v_cvt_f32_f16 v5, v5;
	;;#ASMEND
	;; [unrolled: 3-line block ×4, first 2 shown]
	v_fmac_f32_e32 v28, v0, v7
	v_fmac_f32_e32 v31, v5, v8
	ds_read_b64 v[7:8], v15 offset:48
	s_waitcnt lgkmcnt(0)
	v_lshrrev_b32_e32 v5, 16, v7
	v_and_b32_e32 v0, 0xffff, v7
	v_and_b32_e32 v7, 0xffff, v52
	;;#ASMSTART
	v_cvt_f32_f16 v0, v0;
	;;#ASMEND
	;;#ASMSTART
	v_cvt_f32_f16 v5, v5;
	;;#ASMEND
	;; [unrolled: 3-line block ×4, first 2 shown]
	v_fmac_f32_e32 v24, v0, v7
	v_fmac_f32_e32 v27, v5, v1
	v_lshrrev_b32_e32 v1, 16, v8
	v_and_b32_e32 v0, 0xffff, v8
	v_and_b32_e32 v5, 0xffff, v51
	;;#ASMSTART
	v_cvt_f32_f16 v0, v0;
	;;#ASMEND
	;;#ASMSTART
	v_cvt_f32_f16 v1, v1;
	;;#ASMEND
	;;#ASMSTART
	v_cvt_f32_f16 v3, v3;
	;;#ASMEND
	;;#ASMSTART
	v_cvt_f32_f16 v5, v5;
	;;#ASMEND
	ds_read_b64 v[7:8], v15 offset:56
	v_fmac_f32_e32 v28, v0, v3
	v_fmac_f32_e32 v31, v1, v5
	v_and_b32_e32 v3, 0xffff, v56
	v_and_b32_e32 v5, 0xffff, v59
	s_waitcnt lgkmcnt(0)
	v_lshrrev_b32_e32 v1, 16, v7
	v_and_b32_e32 v0, 0xffff, v7
	;;#ASMSTART
	v_cvt_f32_f16 v0, v0;
	;;#ASMEND
	;;#ASMSTART
	v_cvt_f32_f16 v1, v1;
	;;#ASMEND
	;; [unrolled: 3-line block ×4, first 2 shown]
	v_fmac_f32_e32 v24, v0, v3
	v_fmac_f32_e32 v27, v1, v4
	v_lshrrev_b32_e32 v1, 16, v8
	v_and_b32_e32 v0, 0xffff, v8
	v_and_b32_e32 v3, 0xffff, v6
	;; [unrolled: 1-line block ×3, first 2 shown]
	;;#ASMSTART
	v_cvt_f32_f16 v0, v0;
	;;#ASMEND
	;;#ASMSTART
	v_cvt_f32_f16 v1, v1;
	;;#ASMEND
	;; [unrolled: 3-line block ×4, first 2 shown]
	ds_read_b64 v[7:8], v15 offset:64
	v_fmac_f32_e32 v28, v0, v3
	v_fmac_f32_e32 v31, v1, v4
	v_and_b32_e32 v3, 0xffff, v60
	v_and_b32_e32 v4, 0xffff, v55
	s_waitcnt lgkmcnt(0)
	v_lshrrev_b32_e32 v1, 16, v7
	v_and_b32_e32 v0, 0xffff, v7
	;;#ASMSTART
	v_cvt_f32_f16 v0, v0;
	;;#ASMEND
	;;#ASMSTART
	v_cvt_f32_f16 v1, v1;
	;;#ASMEND
	;; [unrolled: 3-line block ×4, first 2 shown]
	v_fmac_f32_e32 v24, v0, v3
	v_fmac_f32_e32 v27, v1, v4
	v_lshrrev_b32_e32 v1, 16, v8
	v_and_b32_e32 v0, 0xffff, v8
	;;#ASMSTART
	v_cvt_f32_f16 v0, v0;
	;;#ASMEND
	;;#ASMSTART
	v_cvt_f32_f16 v1, v1;
	;;#ASMEND
	v_and_b32_e32 v3, 0xffff, v10
	v_and_b32_e32 v4, 0xffff, v58
	;;#ASMSTART
	v_cvt_f32_f16 v3, v3;
	;;#ASMEND
	;;#ASMSTART
	v_cvt_f32_f16 v4, v4;
	;;#ASMEND
	v_fmac_f32_e32 v28, v0, v3
	v_fmac_f32_e32 v31, v1, v4
	ds_read_b64 v[0:1], v15 offset:72
	v_and_b32_e32 v4, 0xffff, v22
	s_waitcnt lgkmcnt(0)
	v_lshrrev_b32_e32 v3, 16, v0
	v_and_b32_e32 v0, 0xffff, v0
	;;#ASMSTART
	v_cvt_f32_f16 v0, v0;
	;;#ASMEND
	;;#ASMSTART
	v_cvt_f32_f16 v3, v3;
	;;#ASMEND
	;;#ASMSTART
	v_cvt_f32_f16 v4, v4;
	;;#ASMEND
	;;#ASMSTART
	v_cvt_f32_f16 v5, v5;
	;;#ASMEND
	v_fmac_f32_e32 v24, v0, v4
	v_fmac_f32_e32 v27, v3, v5
	v_lshrrev_b32_e32 v3, 16, v1
	v_and_b32_e32 v0, 0xffff, v1
	;;#ASMSTART
	v_cvt_f32_f16 v0, v0;
	;;#ASMEND
	;;#ASMSTART
	v_cvt_f32_f16 v1, v3;
	;;#ASMEND
	v_and_b32_e32 v3, 0xffff, v11
	v_and_b32_e32 v4, 0xffff, v12
	;;#ASMSTART
	v_cvt_f32_f16 v3, v3;
	;;#ASMEND
	;;#ASMSTART
	v_cvt_f32_f16 v4, v4;
	;;#ASMEND
	v_fmac_f32_e32 v28, v0, v3
	v_fmac_f32_e32 v31, v1, v4
	ds_read_b64 v[0:1], v15 offset:80
	v_and_b32_e32 v4, 0xffff, v34
	v_and_b32_e32 v5, 0xffff, v61
	s_waitcnt lgkmcnt(0)
	v_lshrrev_b32_e32 v3, 16, v0
	v_and_b32_e32 v0, 0xffff, v0
	;;#ASMSTART
	v_cvt_f32_f16 v0, v0;
	;;#ASMEND
	;;#ASMSTART
	v_cvt_f32_f16 v3, v3;
	;;#ASMEND
	;;#ASMSTART
	v_cvt_f32_f16 v4, v4;
	;;#ASMEND
	;;#ASMSTART
	v_cvt_f32_f16 v5, v5;
	;;#ASMEND
	v_fmac_f32_e32 v24, v0, v4
	v_fmac_f32_e32 v27, v3, v5
	v_lshrrev_b32_e32 v3, 16, v1
	v_and_b32_e32 v0, 0xffff, v1
	;;#ASMSTART
	v_cvt_f32_f16 v0, v0;
	;;#ASMEND
	;;#ASMSTART
	v_cvt_f32_f16 v1, v3;
	;;#ASMEND
	v_and_b32_e32 v3, 0xffff, v14
	v_and_b32_e32 v4, 0xffff, v13
	;;#ASMSTART
	v_cvt_f32_f16 v3, v3;
	;;#ASMEND
	;;#ASMSTART
	v_cvt_f32_f16 v4, v4;
	;;#ASMEND
	v_fmac_f32_e32 v28, v0, v3
	v_fmac_f32_e32 v31, v1, v4
	ds_read_b64 v[0:1], v15 offset:88
	v_and_b32_e32 v4, 0xffff, v33
	;; [unrolled: 38-line block ×3, first 2 shown]
	s_waitcnt lgkmcnt(0)
	v_lshrrev_b32_e32 v3, 16, v0
	v_and_b32_e32 v0, 0xffff, v0
	;;#ASMSTART
	v_cvt_f32_f16 v0, v0;
	;;#ASMEND
	;;#ASMSTART
	v_cvt_f32_f16 v3, v3;
	;;#ASMEND
	;; [unrolled: 3-line block ×3, first 2 shown]
	buffer_load_dword v5, off, s[48:51], 0 offset:92 ; 4-byte Folded Reload
	v_fmac_f32_e32 v24, v0, v4
	v_and_b32_e32 v0, 0xffff, v1
	s_waitcnt vmcnt(0)
	v_and_b32_e32 v5, 0xffff, v5
	;;#ASMSTART
	v_cvt_f32_f16 v5, v5;
	;;#ASMEND
	v_fmac_f32_e32 v27, v3, v5
	v_lshrrev_b32_e32 v3, 16, v1
	;;#ASMSTART
	v_cvt_f32_f16 v0, v0;
	;;#ASMEND
	;;#ASMSTART
	v_cvt_f32_f16 v1, v3;
	;;#ASMEND
	buffer_load_dword v3, off, s[48:51], 0 offset:88 ; 4-byte Folded Reload
	s_waitcnt vmcnt(0)
	v_and_b32_e32 v3, 0xffff, v3
	;;#ASMSTART
	v_cvt_f32_f16 v3, v3;
	;;#ASMEND
	buffer_load_dword v4, off, s[48:51], 0 offset:84 ; 4-byte Folded Reload
	v_fmac_f32_e32 v28, v0, v3
	s_waitcnt vmcnt(0)
	v_and_b32_e32 v4, 0xffff, v4
	;;#ASMSTART
	v_cvt_f32_f16 v4, v4;
	;;#ASMEND
	v_fmac_f32_e32 v31, v1, v4
	ds_read_b64 v[0:1], v15 offset:104
	s_waitcnt lgkmcnt(0)
	v_lshrrev_b32_e32 v3, 16, v0
	v_and_b32_e32 v0, 0xffff, v0
	;;#ASMSTART
	v_cvt_f32_f16 v0, v0;
	;;#ASMEND
	;;#ASMSTART
	v_cvt_f32_f16 v3, v3;
	;;#ASMEND
	buffer_load_dword v4, off, s[48:51], 0 offset:80 ; 4-byte Folded Reload
	s_waitcnt vmcnt(0)
	v_and_b32_e32 v4, 0xffff, v4
	;;#ASMSTART
	v_cvt_f32_f16 v4, v4;
	;;#ASMEND
	buffer_load_dword v5, off, s[48:51], 0 offset:76 ; 4-byte Folded Reload
	v_fmac_f32_e32 v24, v0, v4
	v_and_b32_e32 v0, 0xffff, v1
	s_waitcnt vmcnt(0)
	v_and_b32_e32 v5, 0xffff, v5
	;;#ASMSTART
	v_cvt_f32_f16 v5, v5;
	;;#ASMEND
	v_fmac_f32_e32 v27, v3, v5
	v_lshrrev_b32_e32 v3, 16, v1
	;;#ASMSTART
	v_cvt_f32_f16 v0, v0;
	;;#ASMEND
	;;#ASMSTART
	v_cvt_f32_f16 v1, v3;
	;;#ASMEND
	buffer_load_dword v3, off, s[48:51], 0 offset:72 ; 4-byte Folded Reload
	s_waitcnt vmcnt(0)
	v_and_b32_e32 v3, 0xffff, v3
	;;#ASMSTART
	v_cvt_f32_f16 v3, v3;
	;;#ASMEND
	buffer_load_dword v4, off, s[48:51], 0 offset:68 ; 4-byte Folded Reload
	v_fmac_f32_e32 v28, v0, v3
	s_waitcnt vmcnt(0)
	v_and_b32_e32 v4, 0xffff, v4
	;;#ASMSTART
	v_cvt_f32_f16 v4, v4;
	;;#ASMEND
	v_fmac_f32_e32 v31, v1, v4
	ds_read_b64 v[0:1], v15 offset:112
	s_waitcnt lgkmcnt(0)
	v_lshrrev_b32_e32 v3, 16, v0
	v_and_b32_e32 v0, 0xffff, v0
	;;#ASMSTART
	v_cvt_f32_f16 v0, v0;
	;;#ASMEND
	;;#ASMSTART
	v_cvt_f32_f16 v3, v3;
	;;#ASMEND
	buffer_load_dword v4, off, s[48:51], 0 offset:64 ; 4-byte Folded Reload
	s_waitcnt vmcnt(0)
	v_and_b32_e32 v4, 0xffff, v4
	;;#ASMSTART
	v_cvt_f32_f16 v4, v4;
	;;#ASMEND
	buffer_load_dword v5, off, s[48:51], 0 offset:60 ; 4-byte Folded Reload
	v_fmac_f32_e32 v24, v0, v4
	v_and_b32_e32 v0, 0xffff, v1
	s_waitcnt vmcnt(0)
	v_and_b32_e32 v5, 0xffff, v5
	;;#ASMSTART
	v_cvt_f32_f16 v5, v5;
	;;#ASMEND
	v_fmac_f32_e32 v27, v3, v5
	v_lshrrev_b32_e32 v3, 16, v1
	;;#ASMSTART
	v_cvt_f32_f16 v0, v0;
	;;#ASMEND
	;;#ASMSTART
	v_cvt_f32_f16 v1, v3;
	;;#ASMEND
	buffer_load_dword v3, off, s[48:51], 0 offset:56 ; 4-byte Folded Reload
	v_and_b32_e32 v5, 0xffff, v37
	s_waitcnt vmcnt(0)
	v_and_b32_e32 v3, 0xffff, v3
	;;#ASMSTART
	v_cvt_f32_f16 v3, v3;
	;;#ASMEND
	buffer_load_dword v4, off, s[48:51], 0 offset:52 ; 4-byte Folded Reload
	v_fmac_f32_e32 v28, v0, v3
	s_waitcnt vmcnt(0)
	v_and_b32_e32 v4, 0xffff, v4
	;;#ASMSTART
	v_cvt_f32_f16 v4, v4;
	;;#ASMEND
	v_fmac_f32_e32 v31, v1, v4
	ds_read_b64 v[0:1], v15 offset:120
	v_and_b32_e32 v4, 0xffff, v23
	s_waitcnt lgkmcnt(0)
	v_lshrrev_b32_e32 v3, 16, v0
	v_and_b32_e32 v0, 0xffff, v0
	;;#ASMSTART
	v_cvt_f32_f16 v0, v0;
	;;#ASMEND
	;;#ASMSTART
	v_cvt_f32_f16 v3, v3;
	;;#ASMEND
	;;#ASMSTART
	v_cvt_f32_f16 v4, v4;
	;;#ASMEND
	;;#ASMSTART
	v_cvt_f32_f16 v5, v5;
	;;#ASMEND
	v_fmac_f32_e32 v24, v0, v4
	v_fmac_f32_e32 v27, v3, v5
	v_lshrrev_b32_e32 v3, 16, v1
	v_and_b32_e32 v0, 0xffff, v1
	;;#ASMSTART
	v_cvt_f32_f16 v0, v0;
	;;#ASMEND
	;;#ASMSTART
	v_cvt_f32_f16 v1, v3;
	;;#ASMEND
	v_and_b32_e32 v3, 0xffff, v63
	v_and_b32_e32 v4, 0xffff, v9
	;;#ASMSTART
	v_cvt_f32_f16 v3, v3;
	;;#ASMEND
	;;#ASMSTART
	v_cvt_f32_f16 v4, v4;
	;;#ASMEND
	buffer_load_dword v5, off, s[48:51], 0 offset:96 ; 4-byte Folded Reload
	v_fmac_f32_e32 v28, v0, v3
	v_add_f32_e32 v0, v24, v27
	v_fmac_f32_e32 v31, v1, v4
	v_add_f32_e32 v0, v0, v28
	v_add_f32_e32 v3, v31, v0
	s_waitcnt vmcnt(0)
	v_and_b32_e32 v0, 64, v5
	v_xor_b32_e32 v4, 1, v5
	v_add_u32_e32 v1, 64, v0
	v_cmp_lt_i32_e64 s[4:5], v4, v1
	v_cndmask_b32_e64 v4, v5, v4, s[4:5]
	v_lshlrev_b32_e32 v4, 2, v4
	ds_bpermute_b32 v4, v4, v3
	s_mov_b64 s[34:35], exec
	buffer_load_dword v8, off, s[48:51], 0 offset:48 ; 4-byte Folded Reload
	s_and_b64 s[4:5], s[34:35], vcc
	s_mov_b64 exec, s[4:5]
	s_cbranch_execz .LBB270_8
; %bb.394:                              ;   in Loop: Header=BB270_9 Depth=1
	buffer_load_dword v7, off, s[48:51], 0 offset:32 ; 4-byte Folded Reload
	buffer_load_dword v6, off, s[48:51], 0 offset:100 ; 4-byte Folded Reload
	s_waitcnt lgkmcnt(0)
	v_add_f32_e32 v3, v3, v4
	s_waitcnt vmcnt(1)
	v_add_u32_e32 v5, s41, v7
	v_cmp_gt_i32_e64 s[4:5], s30, v7
	buffer_load_dword v7, off, s[48:51], 0 offset:36 ; 4-byte Folded Reload
	v_cvt_f32_i32_e32 v5, v5
	s_waitcnt vmcnt(1)
	v_max_f32_e32 v4, v6, v6
	v_mul_f32_e32 v5, s33, v5
	v_cndmask_b32_e64 v5, 0, v5, s[2:3]
	v_fmac_f32_e32 v5, s31, v3
	v_cndmask_b32_e64 v3, 0, v5, s[4:5]
	s_waitcnt vmcnt(0)
	ds_write_b32 v7, v3
	v_max_f32_e32 v3, v4, v5
	v_cndmask_b32_e64 v6, v6, v3, s[4:5]
	buffer_store_dword v6, off, s[48:51], 0 offset:100 ; 4-byte Folded Spill
	s_branch .LBB270_8
.LBB270_395:
	s_or_b64 exec, exec, s[18:19]
	buffer_load_dword v46, off, s[48:51], 0 offset:116 ; 4-byte Folded Reload
	buffer_load_dword v11, off, s[48:51], 0 offset:120 ; 4-byte Folded Reload
	;; [unrolled: 1-line block ×4, first 2 shown]
.LBB270_396:
	s_or_b64 exec, exec, s[6:7]
	buffer_load_dword v9, off, s[48:51], 0 offset:96 ; 4-byte Folded Reload
	s_waitcnt vmcnt(1) lgkmcnt(0)
	v_max_f32_e32 v4, v6, v6
	s_waitcnt vmcnt(0)
	v_xor_b32_e32 v2, 32, v9
	v_cmp_lt_i32_e32 vcc, v2, v1
	v_cndmask_b32_e32 v2, v9, v2, vcc
	v_lshlrev_b32_e32 v2, 2, v2
	ds_bpermute_b32 v3, v2, v6
	v_xor_b32_e32 v5, 16, v9
	v_cmp_lt_i32_e32 vcc, v5, v1
	v_xor_b32_e32 v6, 8, v9
	v_xor_b32_e32 v7, 4, v9
	s_waitcnt lgkmcnt(0)
	v_max_f32_e32 v3, v3, v3
	v_max_f32_e32 v4, v4, v3
	v_cndmask_b32_e32 v3, v9, v5, vcc
	v_lshlrev_b32_e32 v3, 2, v3
	ds_bpermute_b32 v5, v3, v4
	v_cmp_lt_i32_e32 vcc, v6, v1
	v_xor_b32_e32 v8, 2, v9
	s_waitcnt lgkmcnt(0)
	v_max_f32_e32 v5, v5, v5
	v_max_f32_e32 v5, v4, v5
	v_cndmask_b32_e32 v4, v9, v6, vcc
	v_lshlrev_b32_e32 v4, 2, v4
	ds_bpermute_b32 v6, v4, v5
	v_cmp_lt_i32_e32 vcc, v7, v1
	s_waitcnt lgkmcnt(0)
	v_max_f32_e32 v6, v6, v6
	v_max_f32_e32 v6, v5, v6
	v_cndmask_b32_e32 v5, v9, v7, vcc
	v_lshlrev_b32_e32 v5, 2, v5
	ds_bpermute_b32 v7, v5, v6
	v_cmp_lt_i32_e32 vcc, v8, v1
	s_waitcnt lgkmcnt(0)
	v_max_f32_e32 v7, v7, v7
	v_max_f32_e32 v7, v6, v7
	v_cndmask_b32_e32 v6, v9, v8, vcc
	v_lshlrev_b32_e32 v15, 2, v6
	buffer_load_dword v6, off, s[48:51], 0 offset:112 ; 4-byte Folded Reload
	ds_bpermute_b32 v8, v15, v7
	s_waitcnt vmcnt(0)
	v_and_b32_e32 v14, 63, v6
	v_cmp_eq_u32_e32 vcc, 0, v14
	v_lshlrev_b32_e32 v6, 2, v46
	s_and_saveexec_b64 s[2:3], vcc
	s_cbranch_execz .LBB270_398
; %bb.397:
	s_waitcnt lgkmcnt(0)
	v_max_f32_e32 v8, v8, v8
	v_max_f32_e32 v7, v7, v7
	;; [unrolled: 1-line block ×3, first 2 shown]
	ds_write_b32 v6, v7 offset:256
.LBB270_398:
	s_or_b64 exec, exec, s[2:3]
	v_cmp_gt_u32_e64 s[2:3], 2, v14
	s_waitcnt lgkmcnt(0)
	v_mov_b32_e32 v8, 0xff7fffff
	v_lshlrev_b32_e32 v7, 2, v14
	s_barrier
	s_and_saveexec_b64 s[4:5], s[2:3]
; %bb.399:
	ds_read_b32 v8, v7 offset:256
; %bb.400:
	s_or_b64 exec, exec, s[4:5]
	buffer_load_dword v10, off, s[48:51], 0 offset:96 ; 4-byte Folded Reload
	v_lshlrev_b32_e32 v0, 2, v0
	s_waitcnt vmcnt(0)
	v_xor_b32_e32 v9, 1, v10
	v_cmp_lt_i32_e64 s[4:5], v9, v1
	v_cndmask_b32_e64 v1, v10, v9, s[4:5]
	v_lshlrev_b32_e32 v16, 2, v1
	s_waitcnt lgkmcnt(0)
	ds_bpermute_b32 v1, v16, v8
	v_max_f32_e32 v8, v8, v8
	s_lshl_b32 s4, s21, 5
	s_min_i32 s31, s4, s30
	s_waitcnt lgkmcnt(0)
	v_max_f32_e32 v1, v1, v1
	v_max_f32_e32 v1, v8, v1
	ds_bpermute_b32 v1, v0, v1
	buffer_load_dword v0, off, s[48:51], 0 offset:112 ; 4-byte Folded Reload
	s_waitcnt vmcnt(0)
	v_cmp_gt_i32_e64 s[4:5], s31, v0
	v_mov_b32_e32 v0, 0
	s_and_saveexec_b64 s[12:13], s[4:5]
	s_cbranch_execz .LBB270_404
; %bb.401:
	buffer_load_dword v9, off, s[48:51], 0 offset:112 ; 4-byte Folded Reload
	v_mov_b32_e32 v0, 0x110
	s_mov_b64 s[18:19], 0
	s_waitcnt vmcnt(0)
	v_lshl_add_u32 v8, v9, 2, v0
	v_mov_b32_e32 v0, 0
.LBB270_402:                            ; =>This Inner Loop Header: Depth=1
	ds_read_b32 v10, v8
	v_add_u32_e32 v9, 0x80, v9
	v_cmp_le_i32_e64 s[6:7], s31, v9
	s_or_b64 s[18:19], s[6:7], s[18:19]
	s_waitcnt lgkmcnt(0)
	v_sub_f32_e32 v10, v10, v1
	v_mul_f32_e32 v10, 0x3fb8aa3b, v10
	v_exp_f32_e32 v10, v10
	ds_write_b32 v8, v10
	v_add_f32_e32 v0, v0, v10
	v_add_u32_e32 v8, 0x200, v8
	s_andn2_b64 exec, exec, s[18:19]
	s_cbranch_execnz .LBB270_402
; %bb.403:
	s_or_b64 exec, exec, s[18:19]
.LBB270_404:
	s_or_b64 exec, exec, s[12:13]
	s_waitcnt lgkmcnt(0)
	ds_bpermute_b32 v1, v2, v0
	s_waitcnt lgkmcnt(0)
	v_add_f32_e32 v0, v0, v1
	ds_bpermute_b32 v1, v3, v0
	s_waitcnt lgkmcnt(0)
	v_add_f32_e32 v0, v0, v1
	;; [unrolled: 3-line block ×6, first 2 shown]
	s_and_saveexec_b64 s[6:7], vcc
; %bb.405:
	ds_write_b32 v6, v0 offset:264
; %bb.406:
	s_or_b64 exec, exec, s[6:7]
	s_waitcnt lgkmcnt(0)
	s_barrier
	s_and_saveexec_b64 s[6:7], s[2:3]
; %bb.407:
	ds_read_b32 v0, v7 offset:264
; %bb.408:
	s_or_b64 exec, exec, s[6:7]
	buffer_load_dword v2, off, s[48:51], 0 offset:96 ; 4-byte Folded Reload
	s_waitcnt lgkmcnt(0)
	ds_bpermute_b32 v1, v16, v0
	s_waitcnt lgkmcnt(0)
	v_add_f32_e32 v0, v0, v1
	s_waitcnt vmcnt(0)
	v_lshlrev_b32_e32 v2, 2, v2
	v_and_b32_e32 v1, 0xffffff00, v2
	ds_bpermute_b32 v0, v1, v0
	s_and_saveexec_b64 s[2:3], s[4:5]
	s_cbranch_execz .LBB270_411
; %bb.409:
	s_waitcnt lgkmcnt(0)
	v_add_f32_e32 v1, 0x358637bd, v0
	v_div_scale_f32 v0, s[4:5], v1, v1, 1.0
	v_div_scale_f32 v2, vcc, 1.0, v1, 1.0
	s_mov_b64 s[4:5], 0
	v_rcp_f32_e32 v3, v0
	v_fma_f32 v4, -v0, v3, 1.0
	v_fmac_f32_e32 v3, v4, v3
	v_mul_f32_e32 v4, v2, v3
	v_fma_f32 v5, -v0, v4, v2
	v_fmac_f32_e32 v4, v5, v3
	v_fma_f32 v0, -v0, v4, v2
	v_div_fmas_f32 v2, v0, v3, v4
	buffer_load_dword v3, off, s[48:51], 0 offset:112 ; 4-byte Folded Reload
	v_mov_b32_e32 v0, 0x110
	v_div_fixup_f32 v1, v2, v1, 1.0
	s_waitcnt vmcnt(0)
	v_lshl_add_u32 v0, v3, 2, v0
	v_mov_b32_e32 v2, v3
.LBB270_410:                            ; =>This Inner Loop Header: Depth=1
	ds_read_b32 v3, v0
	v_add_u32_e32 v2, 0x80, v2
	v_cmp_le_i32_e32 vcc, s31, v2
	s_or_b64 s[4:5], vcc, s[4:5]
	s_waitcnt lgkmcnt(0)
	v_mul_f32_e32 v3, v1, v3
	ds_write_b32 v0, v3
	v_add_u32_e32 v0, 0x200, v0
	s_andn2_b64 exec, exec, s[4:5]
	s_cbranch_execnz .LBB270_410
.LBB270_411:
	s_or_b64 exec, exec, s[2:3]
	s_waitcnt lgkmcnt(0)
	s_barrier
	buffer_load_dword v0, off, s[48:51], 0 offset:112 ; 4-byte Folded Reload
	v_mov_b32_e32 v23, 0
	v_mov_b32_e32 v24, 0
	;; [unrolled: 1-line block ×8, first 2 shown]
	s_waitcnt vmcnt(0)
	v_and_b32_e32 v13, 3, v0
	s_and_saveexec_b64 s[2:3], s[0:1]
	s_cbranch_execz .LBB270_815
; %bb.412:
	s_ashr_i32 s0, s16, 31
	s_add_u32 s1, s28, s16
	v_and_b32_e32 v1, 0x1f8, v11
	v_and_b32_e32 v0, 24, v11
	s_addc_u32 s0, s29, s0
	v_add_co_u32_e32 v3, vcc, s1, v1
	v_lshlrev_b32_e32 v1, 5, v46
	s_add_i32 s28, s21, -1
	v_mov_b32_e32 v4, s0
	v_or3_b32 v25, v1, v0, 7
	v_lshlrev_b32_e32 v0, 5, v13
	s_lshl_b64 s[0:1], s[26:27], 2
	v_lshl_or_b32 v0, v46, 7, v0
	s_add_u32 s0, s24, s0
	v_addc_co_u32_e32 v4, vcc, 0, v4, vcc
	v_add_u32_e32 v26, 0x110, v0
	v_and_b32_e32 v0, 60, v12
	s_addc_u32 s1, s25, s1
	s_mov_b32 s4, -1
	v_mov_b32_e32 v1, s1
	v_add_co_u32_e32 v5, vcc, s0, v0
	s_mov_b32 s31, s17
	s_mov_b32 s5, 0xffffff
	v_mov_b32_e32 v2, 0
	v_addc_co_u32_e32 v6, vcc, 0, v1, vcc
	s_mov_b64 s[6:7], 0
	s_movk_i32 s24, 0x80
	s_movk_i32 s25, 0x7f
	s_mov_b32 s26, 0x8000
	v_mov_b32_e32 v12, 0x2000
	v_mov_b32_e32 v17, 0
	;; [unrolled: 1-line block ×9, first 2 shown]
	s_branch .LBB270_414
.LBB270_413:                            ;   in Loop: Header=BB270_414 Depth=1
	s_or_b64 exec, exec, s[0:1]
	v_add_f32_e32 v0, v0, v11
	v_add_f32_e32 v19, v19, v0
	;; [unrolled: 1-line block ×12, first 2 shown]
	;;#ASMSTART
	v_pk_mul_f16 v0, v34, v7;

	;;#ASMEND
	;;#ASMSTART
	v_pk_mul_f16 v1, v35, v1;

	;;#ASMEND
	;; [unrolled: 4-line block ×4, first 2 shown]
	;;#ASMSTART
	v_pk_add_f16 v0, v0, v1;

	;;#ASMEND
	;;#ASMSTART
	v_pk_add_f16 v0, v0, v7;

	;;#ASMEND
	;; [unrolled: 4-line block ×3, first 2 shown]
	v_mov_b32_e32 v46, v61
	v_lshrrev_b32_e32 v1, 16, v0
	v_and_b32_e32 v0, 0xffff, v0
	v_add_u32_e32 v46, 2, v46
	;;#ASMSTART
	v_cvt_f32_f16 v0, v0;
	;;#ASMEND
	v_cmp_le_i32_e32 vcc, s21, v46
	v_add_f32_e32 v9, v9, v10
	;;#ASMSTART
	v_cvt_f32_f16 v1, v1;
	;;#ASMEND
	v_add_f32_e32 v0, v0, v1
	s_or_b64 s[6:7], vcc, s[6:7]
	v_add_co_u32_e32 v5, vcc, 8, v5
	v_add_f32_e32 v18, v18, v9
	v_add_f32_e32 v17, v17, v0
	v_add_u32_e32 v25, 64, v25
	v_add_u32_e32 v26, 0x100, v26
	v_addc_co_u32_e32 v6, vcc, 0, v6, vcc
	s_andn2_b64 exec, exec, s[6:7]
	s_cbranch_execz .LBB270_814
.LBB270_414:                            ; =>This Inner Loop Header: Depth=1
	global_load_dword v1, v[5:6], off
	ds_read2_b64 v[7:10], v26 offset1:1
	ds_read2_b64 v[27:30], v26 offset0:2 offset1:3
	s_waitcnt lgkmcnt(1)
	;;#ASMSTART
	v_cvt_f16_f32 v0, v7;

	;;#ASMEND
	;;#ASMSTART
	v_cvt_f16_f32 v11, v8;

	;;#ASMEND
	;; [unrolled: 4-line block ×4, first 2 shown]
	s_waitcnt lgkmcnt(0)
	;;#ASMSTART
	v_cvt_f16_f32 v37, v27;

	;;#ASMEND
	;;#ASMSTART
	v_cvt_f16_f32 v38, v28;

	;;#ASMEND
	;;#ASMSTART
	v_cvt_f16_f32 v39, v29;

	;;#ASMEND
	;;#ASMSTART
	v_cvt_f16_f32 v40, v30;

	;;#ASMEND
	v_mov_b32_e32 v29, 0
	s_waitcnt vmcnt(0)
	v_mad_i64_i32 v[7:8], s[0:1], v1, s31, v[3:4]
	global_load_dwordx2 v[9:10], v[7:8], off
	global_load_dword v28, v2, s[14:15]
	s_waitcnt vmcnt(1)
	v_cmp_ne_u16_sdwa s[12:13], v9, v2 src0_sel:BYTE_0 src1_sel:DWORD
	s_and_saveexec_b64 s[0:1], s[12:13]
	s_cbranch_execz .LBB270_420
; %bb.415:                              ;   in Loop: Header=BB270_414 Depth=1
	v_cmp_ne_u16_sdwa s[16:17], v9, s24 src0_sel:BYTE_0 src1_sel:DWORD
	v_mov_b32_e32 v29, 0x8000
	s_and_saveexec_b64 s[12:13], s[16:17]
	s_cbranch_execz .LBB270_419
; %bb.416:                              ;   in Loop: Header=BB270_414 Depth=1
	v_and_b32_e32 v1, 0x7f, v9
	v_cmp_ne_u32_e32 vcc, s25, v1
	v_mov_b32_e32 v29, 0x7c01
	s_and_saveexec_b64 s[16:17], vcc
	s_cbranch_execz .LBB270_418
; %bb.417:                              ;   in Loop: Header=BB270_414 Depth=1
	v_and_b32_e32 v27, 7, v9
	v_ffbh_u32_e32 v29, v27
	v_min_u32_e32 v32, 32, v29
	v_subrev_u32_e32 v29, 28, v32
	v_lshlrev_b64 v[29:30], v29, v[9:10]
	v_lshrrev_b32_e32 v31, 3, v1
	v_sub_u32_e32 v30, 29, v32
	v_cmp_gt_u32_e32 vcc, 8, v1
	v_cndmask_b32_e32 v1, v31, v30, vcc
	v_lshl_add_u32 v1, v1, 10, v12
	v_lshlrev_b32_e32 v30, 8, v9
	v_and_b32_e32 v29, 7, v29
	v_and_b32_e32 v1, 0xfc00, v1
	v_cndmask_b32_e32 v27, v27, v29, vcc
	v_and_or_b32 v1, v30, s26, v1
	v_lshl_or_b32 v29, v27, 7, v1
.LBB270_418:                            ;   in Loop: Header=BB270_414 Depth=1
	s_or_b64 exec, exec, s[16:17]
.LBB270_419:                            ;   in Loop: Header=BB270_414 Depth=1
	s_or_b64 exec, exec, s[12:13]
.LBB270_420:                            ;   in Loop: Header=BB270_414 Depth=1
	s_or_b64 exec, exec, s[0:1]
	v_lshrrev_b16_e32 v1, 8, v9
	v_cmp_ne_u16_e32 vcc, 0, v1
	v_mov_b32_e32 v31, 0
	v_mov_b32_e32 v30, 0
	s_and_saveexec_b64 s[0:1], vcc
	s_cbranch_execz .LBB270_426
; %bb.421:                              ;   in Loop: Header=BB270_414 Depth=1
	v_cmp_ne_u16_e32 vcc, s24, v1
	v_bfrev_b32_e32 v30, 1
	s_and_saveexec_b64 s[12:13], vcc
	s_cbranch_execz .LBB270_425
; %bb.422:                              ;   in Loop: Header=BB270_414 Depth=1
	v_and_b32_e32 v27, 0x7f, v1
	v_cmp_ne_u32_e32 vcc, s25, v27
	v_mov_b32_e32 v30, 0x7c010000
	s_and_saveexec_b64 s[16:17], vcc
	s_cbranch_execz .LBB270_424
; %bb.423:                              ;   in Loop: Header=BB270_414 Depth=1
	v_and_b32_e32 v30, 7, v1
	v_ffbh_u32_e32 v32, v30
	v_min_u32_e32 v41, 32, v32
	v_subrev_u32_e32 v32, 28, v41
	v_lshlrev_b64 v[32:33], v32, v[1:2]
	v_lshrrev_b32_e32 v34, 3, v27
	v_sub_u32_e32 v33, 29, v41
	v_cmp_gt_u32_e32 vcc, 8, v27
	v_cndmask_b32_e32 v27, v34, v33, vcc
	v_lshlrev_b32_e32 v1, 8, v1
	v_lshl_add_u32 v27, v27, 10, v12
	v_and_b32_e32 v32, 7, v32
	v_and_or_b32 v1, v1, s26, v27
	v_cndmask_b32_e32 v30, v30, v32, vcc
	v_lshlrev_b32_e32 v1, 16, v1
	v_lshl_or_b32 v30, v30, 23, v1
.LBB270_424:                            ;   in Loop: Header=BB270_414 Depth=1
	s_or_b64 exec, exec, s[16:17]
.LBB270_425:                            ;   in Loop: Header=BB270_414 Depth=1
	s_or_b64 exec, exec, s[12:13]
.LBB270_426:                            ;   in Loop: Header=BB270_414 Depth=1
	s_or_b64 exec, exec, s[0:1]
	v_lshrrev_b32_e32 v1, 16, v9
	v_cmp_ne_u16_sdwa s[12:13], v1, v2 src0_sel:BYTE_0 src1_sel:DWORD
	s_and_saveexec_b64 s[0:1], s[12:13]
	s_cbranch_execz .LBB270_432
; %bb.427:                              ;   in Loop: Header=BB270_414 Depth=1
	v_cmp_ne_u16_sdwa s[16:17], v1, s24 src0_sel:BYTE_0 src1_sel:DWORD
	v_mov_b32_e32 v31, 0x8000
	s_and_saveexec_b64 s[12:13], s[16:17]
	s_cbranch_execz .LBB270_431
; %bb.428:                              ;   in Loop: Header=BB270_414 Depth=1
	v_bfe_u32 v27, v9, 16, 7
	v_cmp_ne_u32_e32 vcc, s25, v27
	v_mov_b32_e32 v31, 0x7c01
	s_and_saveexec_b64 s[16:17], vcc
	s_cbranch_execz .LBB270_430
; %bb.429:                              ;   in Loop: Header=BB270_414 Depth=1
	v_and_b32_e32 v33, 7, v1
	v_ffbh_u32_e32 v31, v33
	v_min_u32_e32 v41, 32, v31
	v_subrev_u32_e32 v31, 28, v41
	v_lshlrev_b64 v[31:32], v31, v[1:2]
	v_lshrrev_b32_e32 v34, 3, v27
	v_sub_u32_e32 v32, 29, v41
	v_cmp_gt_u32_e32 vcc, 8, v27
	v_cndmask_b32_e32 v27, v34, v32, vcc
	v_lshl_add_u32 v27, v27, 10, v12
	v_lshlrev_b32_e32 v1, 8, v1
	v_and_b32_e32 v31, 7, v31
	v_and_b32_e32 v27, 0xfc00, v27
	v_cndmask_b32_e32 v31, v33, v31, vcc
	v_and_or_b32 v1, v1, s26, v27
	v_lshl_or_b32 v31, v31, 7, v1
.LBB270_430:                            ;   in Loop: Header=BB270_414 Depth=1
	s_or_b64 exec, exec, s[16:17]
.LBB270_431:                            ;   in Loop: Header=BB270_414 Depth=1
	s_or_b64 exec, exec, s[12:13]
.LBB270_432:                            ;   in Loop: Header=BB270_414 Depth=1
	s_or_b64 exec, exec, s[0:1]
	v_cmp_lt_u32_e32 vcc, s5, v9
	v_mov_b32_e32 v32, 0
	v_mov_b32_e32 v33, 0
	s_and_saveexec_b64 s[0:1], vcc
	s_cbranch_execz .LBB270_438
; %bb.433:                              ;   in Loop: Header=BB270_414 Depth=1
	v_lshrrev_b32_e32 v1, 24, v9
	v_cmp_ne_u32_e32 vcc, s24, v1
	v_bfrev_b32_e32 v33, 1
	s_and_saveexec_b64 s[12:13], vcc
	s_cbranch_execz .LBB270_437
; %bb.434:                              ;   in Loop: Header=BB270_414 Depth=1
	v_and_b32_e32 v27, 0x7f, v1
	v_cmp_ne_u32_e32 vcc, s25, v27
	v_mov_b32_e32 v33, 0x7c010000
	s_and_saveexec_b64 s[16:17], vcc
	s_cbranch_execz .LBB270_436
; %bb.435:                              ;   in Loop: Header=BB270_414 Depth=1
	v_and_b32_e32 v41, 7, v1
	v_ffbh_u32_e32 v33, v41
	v_min_u32_e32 v43, 32, v33
	v_subrev_u32_e32 v33, 28, v43
	v_lshlrev_b64 v[33:34], v33, v[1:2]
	v_lshrrev_b32_e32 v42, 3, v27
	v_sub_u32_e32 v34, 29, v43
	v_cmp_gt_u32_e32 vcc, 8, v27
	v_cndmask_b32_e32 v27, v42, v34, vcc
	v_lshlrev_b32_e32 v1, 8, v1
	v_lshl_add_u32 v27, v27, 10, v12
	v_and_b32_e32 v33, 7, v33
	v_and_or_b32 v1, v1, s26, v27
	v_cndmask_b32_e32 v33, v41, v33, vcc
	v_lshlrev_b32_e32 v1, 16, v1
	v_lshl_or_b32 v33, v33, 23, v1
.LBB270_436:                            ;   in Loop: Header=BB270_414 Depth=1
	s_or_b64 exec, exec, s[16:17]
.LBB270_437:                            ;   in Loop: Header=BB270_414 Depth=1
	s_or_b64 exec, exec, s[12:13]
.LBB270_438:                            ;   in Loop: Header=BB270_414 Depth=1
	s_or_b64 exec, exec, s[0:1]
	v_mov_b32_e32 v1, v10
	v_cmp_ne_u16_sdwa s[12:13], v10, v2 src0_sel:BYTE_0 src1_sel:DWORD
	s_and_saveexec_b64 s[0:1], s[12:13]
	s_cbranch_execz .LBB270_444
; %bb.439:                              ;   in Loop: Header=BB270_414 Depth=1
	v_cmp_ne_u16_sdwa s[16:17], v10, s24 src0_sel:BYTE_0 src1_sel:DWORD
	v_mov_b32_e32 v32, 0x8000
	s_and_saveexec_b64 s[12:13], s[16:17]
	s_cbranch_execz .LBB270_443
; %bb.440:                              ;   in Loop: Header=BB270_414 Depth=1
	v_and_b32_e32 v27, 0x7f, v10
	v_cmp_ne_u32_e32 vcc, s25, v27
	v_mov_b32_e32 v32, 0x7c01
	s_and_saveexec_b64 s[16:17], vcc
	s_cbranch_execz .LBB270_442
; %bb.441:                              ;   in Loop: Header=BB270_414 Depth=1
	v_and_b32_e32 v32, 7, v10
	v_ffbh_u32_e32 v41, v32
	v_min_u32_e32 v43, 32, v41
	v_subrev_u32_e32 v41, 28, v43
	v_lshlrev_b64 v[41:42], v41, v[1:2]
	v_lshrrev_b32_e32 v34, 3, v27
	v_sub_u32_e32 v42, 29, v43
	v_cmp_gt_u32_e32 vcc, 8, v27
	v_cndmask_b32_e32 v27, v34, v42, vcc
	v_lshl_add_u32 v27, v27, 10, v12
	v_lshlrev_b32_e32 v34, 8, v10
	v_and_b32_e32 v41, 7, v41
	v_and_b32_e32 v27, 0xfc00, v27
	v_cndmask_b32_e32 v32, v32, v41, vcc
	v_and_or_b32 v27, v34, s26, v27
	v_lshl_or_b32 v32, v32, 7, v27
.LBB270_442:                            ;   in Loop: Header=BB270_414 Depth=1
	s_or_b64 exec, exec, s[16:17]
.LBB270_443:                            ;   in Loop: Header=BB270_414 Depth=1
	s_or_b64 exec, exec, s[12:13]
.LBB270_444:                            ;   in Loop: Header=BB270_414 Depth=1
	s_or_b64 exec, exec, s[0:1]
	v_lshrrev_b16_e32 v1, 8, v1
	v_cmp_ne_u16_e32 vcc, 0, v1
	v_mov_b32_e32 v34, 0
	v_mov_b32_e32 v41, 0
	s_and_saveexec_b64 s[0:1], vcc
	s_cbranch_execz .LBB270_450
; %bb.445:                              ;   in Loop: Header=BB270_414 Depth=1
	v_cmp_ne_u16_e32 vcc, s24, v1
	v_bfrev_b32_e32 v41, 1
	s_and_saveexec_b64 s[12:13], vcc
	s_cbranch_execz .LBB270_449
; %bb.446:                              ;   in Loop: Header=BB270_414 Depth=1
	v_and_b32_e32 v27, 0x7f, v1
	v_cmp_ne_u32_e32 vcc, s25, v27
	v_mov_b32_e32 v41, 0x7c010000
	s_and_saveexec_b64 s[16:17], vcc
	s_cbranch_execz .LBB270_448
; %bb.447:                              ;   in Loop: Header=BB270_414 Depth=1
	v_and_b32_e32 v43, 7, v1
	v_ffbh_u32_e32 v41, v43
	v_min_u32_e32 v45, 32, v41
	v_subrev_u32_e32 v41, 28, v45
	v_lshlrev_b64 v[41:42], v41, v[1:2]
	v_lshrrev_b32_e32 v44, 3, v27
	v_sub_u32_e32 v42, 29, v45
	v_cmp_gt_u32_e32 vcc, 8, v27
	v_cndmask_b32_e32 v27, v44, v42, vcc
	v_lshlrev_b32_e32 v1, 8, v1
	v_lshl_add_u32 v27, v27, 10, v12
	v_and_b32_e32 v41, 7, v41
	v_and_or_b32 v1, v1, s26, v27
	v_cndmask_b32_e32 v41, v43, v41, vcc
	v_lshlrev_b32_e32 v1, 16, v1
	v_lshl_or_b32 v41, v41, 23, v1
.LBB270_448:                            ;   in Loop: Header=BB270_414 Depth=1
	s_or_b64 exec, exec, s[16:17]
.LBB270_449:                            ;   in Loop: Header=BB270_414 Depth=1
	s_or_b64 exec, exec, s[12:13]
.LBB270_450:                            ;   in Loop: Header=BB270_414 Depth=1
	s_or_b64 exec, exec, s[0:1]
	v_lshrrev_b32_e32 v1, 16, v10
	v_cmp_ne_u16_sdwa s[12:13], v1, v2 src0_sel:BYTE_0 src1_sel:DWORD
	s_and_saveexec_b64 s[0:1], s[12:13]
	s_cbranch_execz .LBB270_456
; %bb.451:                              ;   in Loop: Header=BB270_414 Depth=1
	v_cmp_ne_u16_sdwa s[16:17], v1, s24 src0_sel:BYTE_0 src1_sel:DWORD
	v_mov_b32_e32 v34, 0x8000
	s_and_saveexec_b64 s[12:13], s[16:17]
	s_cbranch_execz .LBB270_455
; %bb.452:                              ;   in Loop: Header=BB270_414 Depth=1
	v_bfe_u32 v27, v10, 16, 7
	v_cmp_ne_u32_e32 vcc, s25, v27
	v_mov_b32_e32 v34, 0x7c01
	s_and_saveexec_b64 s[16:17], vcc
	s_cbranch_execz .LBB270_454
; %bb.453:                              ;   in Loop: Header=BB270_414 Depth=1
	v_and_b32_e32 v34, 7, v1
	v_ffbh_u32_e32 v42, v34
	v_min_u32_e32 v45, 32, v42
	v_subrev_u32_e32 v42, 28, v45
	v_lshlrev_b64 v[42:43], v42, v[1:2]
	v_lshrrev_b32_e32 v44, 3, v27
	v_sub_u32_e32 v43, 29, v45
	v_cmp_gt_u32_e32 vcc, 8, v27
	v_cndmask_b32_e32 v27, v44, v43, vcc
	v_lshl_add_u32 v27, v27, 10, v12
	v_lshlrev_b32_e32 v1, 8, v1
	v_and_b32_e32 v42, 7, v42
	v_and_b32_e32 v27, 0xfc00, v27
	v_cndmask_b32_e32 v34, v34, v42, vcc
	v_and_or_b32 v1, v1, s26, v27
	v_lshl_or_b32 v34, v34, 7, v1
.LBB270_454:                            ;   in Loop: Header=BB270_414 Depth=1
	s_or_b64 exec, exec, s[16:17]
.LBB270_455:                            ;   in Loop: Header=BB270_414 Depth=1
	s_or_b64 exec, exec, s[12:13]
.LBB270_456:                            ;   in Loop: Header=BB270_414 Depth=1
	s_or_b64 exec, exec, s[0:1]
	v_cmp_lt_u64_e32 vcc, s[4:5], v[9:10]
	v_mov_b32_e32 v42, 0
	s_and_saveexec_b64 s[0:1], vcc
	s_cbranch_execz .LBB270_462
; %bb.457:                              ;   in Loop: Header=BB270_414 Depth=1
	v_lshrrev_b32_e32 v1, 24, v10
	v_cmp_ne_u32_e32 vcc, s24, v1
	v_bfrev_b32_e32 v42, 1
	s_and_saveexec_b64 s[12:13], vcc
	s_cbranch_execz .LBB270_461
; %bb.458:                              ;   in Loop: Header=BB270_414 Depth=1
	v_and_b32_e32 v9, 0x7f, v1
	v_cmp_ne_u32_e32 vcc, s25, v9
	v_mov_b32_e32 v42, 0x7c010000
	s_and_saveexec_b64 s[16:17], vcc
	s_cbranch_execz .LBB270_460
; %bb.459:                              ;   in Loop: Header=BB270_414 Depth=1
	v_and_b32_e32 v10, 7, v1
	v_ffbh_u32_e32 v42, v10
	v_min_u32_e32 v44, 32, v42
	v_subrev_u32_e32 v42, 28, v44
	v_lshlrev_b64 v[42:43], v42, v[1:2]
	v_lshrrev_b32_e32 v27, 3, v9
	v_sub_u32_e32 v43, 29, v44
	v_cmp_gt_u32_e32 vcc, 8, v9
	v_cndmask_b32_e32 v9, v27, v43, vcc
	v_lshlrev_b32_e32 v1, 8, v1
	v_lshl_add_u32 v9, v9, 10, v12
	v_and_b32_e32 v27, 7, v42
	v_and_or_b32 v1, v1, s26, v9
	v_cndmask_b32_e32 v10, v10, v27, vcc
	v_lshlrev_b32_e32 v1, 16, v1
	v_lshl_or_b32 v42, v10, 23, v1
.LBB270_460:                            ;   in Loop: Header=BB270_414 Depth=1
	s_or_b64 exec, exec, s[16:17]
.LBB270_461:                            ;   in Loop: Header=BB270_414 Depth=1
	s_or_b64 exec, exec, s[12:13]
.LBB270_462:                            ;   in Loop: Header=BB270_414 Depth=1
	s_or_b64 exec, exec, s[0:1]
	s_waitcnt vmcnt(0)
	v_fma_mixlo_f16 v9, v28, v33, 0 op_sel:[0,1,0] op_sel_hi:[0,1,0]
	v_lshlrev_b32_e32 v43, 16, v9
	v_or_b32_e32 v9, v30, v29
	v_fma_mixlo_f16 v10, v28, v30, 0 op_sel:[0,1,0] op_sel_hi:[0,1,0]
	v_fma_mixlo_f16 v29, v28, v41, 0 op_sel:[0,1,0] op_sel_hi:[0,1,0]
	v_or_b32_e32 v1, v33, v31
	v_lshlrev_b32_e32 v45, 16, v10
	v_or_b32_e32 v10, v41, v32
	v_lshlrev_b32_e32 v41, 16, v29
	v_or_b32_e32 v29, v42, v34
	v_fma_mixlo_f16 v1, v28, v1, 0 op_sel_hi:[0,1,0]
	v_fma_mixlo_f16 v9, v28, v9, 0 op_sel_hi:[0,1,0]
	;; [unrolled: 1-line block ×4, first 2 shown]
	v_fma_mixlo_f16 v28, v28, v42, 0 op_sel:[0,1,0] op_sel_hi:[0,1,0]
	v_mov_b32_e32 v61, v46
	v_cmp_eq_u32_e32 vcc, s28, v46
	v_and_b32_e32 v44, 0xffff, v1
	v_and_b32_e32 v48, 0xffff, v9
	v_and_b32_e32 v46, 0xffff, v10
	v_lshlrev_b32_e32 v34, 16, v28
	v_and_b32_e32 v47, 0xffff, v29
	v_add_u32_e32 v27, -7, v25
	v_or_b32_e32 v1, v43, v44
	v_or_b32_e32 v9, v45, v48
	;; [unrolled: 1-line block ×4, first 2 shown]
	v_add_u32_e32 v33, -6, v25
	v_add_u32_e32 v32, -5, v25
	;; [unrolled: 1-line block ×6, first 2 shown]
	s_and_saveexec_b64 s[12:13], vcc
	s_cbranch_execz .LBB270_464
; %bb.463:                              ;   in Loop: Header=BB270_414 Depth=1
	v_cmp_gt_i32_e64 s[0:1], s30, v27
	v_cndmask_b32_e64 v1, 0, v48, s[0:1]
	v_cmp_gt_i32_e64 s[0:1], s30, v33
	v_cndmask_b32_e64 v9, 0, v45, s[0:1]
	v_cmp_gt_i32_e64 s[0:1], s30, v32
	v_or_b32_e32 v9, v9, v1
	v_cndmask_b32_e64 v1, 0, v44, s[0:1]
	v_cmp_gt_i32_e64 s[0:1], s30, v31
	v_cndmask_b32_e64 v10, 0, v43, s[0:1]
	v_cmp_gt_i32_e64 s[0:1], s30, v30
	v_or_b32_e32 v1, v10, v1
	;; [unrolled: 5-line block ×3, first 2 shown]
	v_cndmask_b32_e64 v41, 0, v47, s[0:1]
	v_cmp_gt_i32_e64 s[0:1], s30, v25
	v_cndmask_b32_e64 v34, 0, v34, s[0:1]
	v_or_b32_e32 v42, v34, v41
.LBB270_464:                            ;   in Loop: Header=BB270_414 Depth=1
	s_or_b64 exec, exec, s[12:13]
	v_and_b32_e32 v0, 0xffff, v0
	v_lshl_or_b32 v34, v11, 16, v0
	v_and_b32_e32 v0, 0xffff, v35
	v_lshl_or_b32 v35, v36, 16, v0
	v_and_b32_e32 v0, 0xffff, v37
	v_lshl_or_b32 v36, v38, 16, v0
	v_and_b32_e32 v0, 0xffff, v39
	v_lshl_or_b32 v37, v40, 16, v0
	;;#ASMSTART
	v_pk_mul_f16 v0, v34, v9;

	;;#ASMEND
	;;#ASMSTART
	v_pk_mul_f16 v1, v35, v1;

	;;#ASMEND
	;; [unrolled: 4-line block ×4, first 2 shown]
	;;#ASMSTART
	v_pk_add_f16 v0, v0, v1;

	;;#ASMEND
	;;#ASMSTART
	v_pk_add_f16 v0, v0, v9;

	;;#ASMEND
	;; [unrolled: 4-line block ×3, first 2 shown]
	v_lshrrev_b32_e32 v1, 16, v0
	v_and_b32_e32 v0, 0xffff, v0
	;;#ASMSTART
	v_cvt_f32_f16 v38, v0;
	;;#ASMEND
	;;#ASMSTART
	v_cvt_f32_f16 v39, v1;
	;;#ASMEND
	global_load_dwordx2 v[9:10], v[7:8], off offset:512
	v_mov_b32_e32 v11, 0
	global_load_dword v0, v11, s[14:15]
	v_mov_b32_e32 v40, 0
	s_waitcnt vmcnt(1)
	v_cmp_ne_u16_sdwa s[0:1], v9, v2 src0_sel:BYTE_0 src1_sel:DWORD
	s_and_saveexec_b64 s[12:13], s[0:1]
	s_cbranch_execz .LBB270_470
; %bb.465:                              ;   in Loop: Header=BB270_414 Depth=1
	v_cmp_ne_u16_sdwa s[0:1], v9, s24 src0_sel:BYTE_0 src1_sel:DWORD
	v_mov_b32_e32 v40, 0x8000
	s_and_saveexec_b64 s[16:17], s[0:1]
	s_cbranch_execz .LBB270_469
; %bb.466:                              ;   in Loop: Header=BB270_414 Depth=1
	v_and_b32_e32 v1, 0x7f, v9
	v_cmp_ne_u32_e64 s[0:1], s25, v1
	v_mov_b32_e32 v40, 0x7c01
	s_and_saveexec_b64 s[18:19], s[0:1]
	s_cbranch_execz .LBB270_468
; %bb.467:                              ;   in Loop: Header=BB270_414 Depth=1
	v_and_b32_e32 v42, 7, v9
	v_ffbh_u32_e32 v40, v42
	v_min_u32_e32 v44, 32, v40
	v_subrev_u32_e32 v40, 28, v44
	v_lshlrev_b64 v[40:41], v40, v[9:10]
	v_lshrrev_b32_e32 v43, 3, v1
	v_sub_u32_e32 v41, 29, v44
	v_cmp_gt_u32_e64 s[0:1], 8, v1
	v_cndmask_b32_e64 v1, v43, v41, s[0:1]
	v_lshl_add_u32 v1, v1, 10, v12
	v_lshlrev_b32_e32 v41, 8, v9
	v_and_b32_e32 v40, 7, v40
	v_and_b32_e32 v1, 0xfc00, v1
	v_cndmask_b32_e64 v40, v42, v40, s[0:1]
	v_and_or_b32 v1, v41, s26, v1
	v_lshl_or_b32 v40, v40, 7, v1
.LBB270_468:                            ;   in Loop: Header=BB270_414 Depth=1
	s_or_b64 exec, exec, s[18:19]
.LBB270_469:                            ;   in Loop: Header=BB270_414 Depth=1
	s_or_b64 exec, exec, s[16:17]
.LBB270_470:                            ;   in Loop: Header=BB270_414 Depth=1
	s_or_b64 exec, exec, s[12:13]
	v_lshrrev_b16_e32 v1, 8, v9
	v_cmp_ne_u16_e64 s[0:1], 0, v1
	s_and_saveexec_b64 s[12:13], s[0:1]
	s_cbranch_execz .LBB270_476
; %bb.471:                              ;   in Loop: Header=BB270_414 Depth=1
	v_cmp_ne_u16_e64 s[0:1], s24, v1
	v_bfrev_b32_e32 v11, 1
	s_and_saveexec_b64 s[16:17], s[0:1]
	s_cbranch_execz .LBB270_475
; %bb.472:                              ;   in Loop: Header=BB270_414 Depth=1
	v_and_b32_e32 v41, 0x7f, v1
	v_cmp_ne_u32_e64 s[0:1], s25, v41
	v_mov_b32_e32 v11, 0x7c010000
	s_and_saveexec_b64 s[18:19], s[0:1]
	s_cbranch_execz .LBB270_474
; %bb.473:                              ;   in Loop: Header=BB270_414 Depth=1
	v_and_b32_e32 v11, 7, v1
	v_ffbh_u32_e32 v42, v11
	v_min_u32_e32 v45, 32, v42
	v_subrev_u32_e32 v42, 28, v45
	v_lshlrev_b64 v[42:43], v42, v[1:2]
	v_lshrrev_b32_e32 v44, 3, v41
	v_sub_u32_e32 v43, 29, v45
	v_cmp_gt_u32_e64 s[0:1], 8, v41
	v_cndmask_b32_e64 v41, v44, v43, s[0:1]
	v_lshlrev_b32_e32 v1, 8, v1
	v_lshl_add_u32 v41, v41, 10, v12
	v_and_b32_e32 v42, 7, v42
	v_and_or_b32 v1, v1, s26, v41
	v_cndmask_b32_e64 v11, v11, v42, s[0:1]
	v_lshlrev_b32_e32 v1, 16, v1
	v_lshl_or_b32 v11, v11, 23, v1
.LBB270_474:                            ;   in Loop: Header=BB270_414 Depth=1
	s_or_b64 exec, exec, s[18:19]
.LBB270_475:                            ;   in Loop: Header=BB270_414 Depth=1
	s_or_b64 exec, exec, s[16:17]
.LBB270_476:                            ;   in Loop: Header=BB270_414 Depth=1
	s_or_b64 exec, exec, s[12:13]
	v_lshrrev_b32_e32 v1, 16, v9
	v_cmp_ne_u16_sdwa s[0:1], v1, v2 src0_sel:BYTE_0 src1_sel:DWORD
	v_mov_b32_e32 v41, 0
	v_mov_b32_e32 v42, 0
	s_and_saveexec_b64 s[12:13], s[0:1]
	s_cbranch_execz .LBB270_482
; %bb.477:                              ;   in Loop: Header=BB270_414 Depth=1
	v_cmp_ne_u16_sdwa s[0:1], v1, s24 src0_sel:BYTE_0 src1_sel:DWORD
	v_mov_b32_e32 v42, 0x8000
	s_and_saveexec_b64 s[16:17], s[0:1]
	s_cbranch_execz .LBB270_481
; %bb.478:                              ;   in Loop: Header=BB270_414 Depth=1
	v_bfe_u32 v43, v9, 16, 7
	v_cmp_ne_u32_e64 s[0:1], s25, v43
	v_mov_b32_e32 v42, 0x7c01
	s_and_saveexec_b64 s[18:19], s[0:1]
	s_cbranch_execz .LBB270_480
; %bb.479:                              ;   in Loop: Header=BB270_414 Depth=1
	v_and_b32_e32 v42, 7, v1
	v_ffbh_u32_e32 v44, v42
	v_min_u32_e32 v47, 32, v44
	v_subrev_u32_e32 v44, 28, v47
	v_lshlrev_b64 v[44:45], v44, v[1:2]
	v_lshrrev_b32_e32 v46, 3, v43
	v_sub_u32_e32 v45, 29, v47
	v_cmp_gt_u32_e64 s[0:1], 8, v43
	v_cndmask_b32_e64 v43, v46, v45, s[0:1]
	v_lshl_add_u32 v43, v43, 10, v12
	v_lshlrev_b32_e32 v1, 8, v1
	v_and_b32_e32 v44, 7, v44
	v_and_b32_e32 v43, 0xfc00, v43
	v_cndmask_b32_e64 v42, v42, v44, s[0:1]
	v_and_or_b32 v1, v1, s26, v43
	v_lshl_or_b32 v42, v42, 7, v1
.LBB270_480:                            ;   in Loop: Header=BB270_414 Depth=1
	s_or_b64 exec, exec, s[18:19]
.LBB270_481:                            ;   in Loop: Header=BB270_414 Depth=1
	s_or_b64 exec, exec, s[16:17]
.LBB270_482:                            ;   in Loop: Header=BB270_414 Depth=1
	s_or_b64 exec, exec, s[12:13]
	v_cmp_lt_u32_e64 s[0:1], s5, v9
	s_and_saveexec_b64 s[12:13], s[0:1]
	s_cbranch_execz .LBB270_488
; %bb.483:                              ;   in Loop: Header=BB270_414 Depth=1
	v_lshrrev_b32_e32 v1, 24, v9
	v_cmp_ne_u32_e64 s[0:1], s24, v1
	v_bfrev_b32_e32 v41, 1
	s_and_saveexec_b64 s[16:17], s[0:1]
	s_cbranch_execz .LBB270_487
; %bb.484:                              ;   in Loop: Header=BB270_414 Depth=1
	v_and_b32_e32 v43, 0x7f, v1
	v_cmp_ne_u32_e64 s[0:1], s25, v43
	v_mov_b32_e32 v41, 0x7c010000
	s_and_saveexec_b64 s[18:19], s[0:1]
	s_cbranch_execz .LBB270_486
; %bb.485:                              ;   in Loop: Header=BB270_414 Depth=1
	v_and_b32_e32 v41, 7, v1
	v_ffbh_u32_e32 v44, v41
	v_min_u32_e32 v47, 32, v44
	v_subrev_u32_e32 v44, 28, v47
	v_lshlrev_b64 v[44:45], v44, v[1:2]
	v_lshrrev_b32_e32 v46, 3, v43
	v_sub_u32_e32 v45, 29, v47
	v_cmp_gt_u32_e64 s[0:1], 8, v43
	v_cndmask_b32_e64 v43, v46, v45, s[0:1]
	v_lshlrev_b32_e32 v1, 8, v1
	v_lshl_add_u32 v43, v43, 10, v12
	v_and_b32_e32 v44, 7, v44
	v_and_or_b32 v1, v1, s26, v43
	v_cndmask_b32_e64 v41, v41, v44, s[0:1]
	v_lshlrev_b32_e32 v1, 16, v1
	v_lshl_or_b32 v41, v41, 23, v1
.LBB270_486:                            ;   in Loop: Header=BB270_414 Depth=1
	s_or_b64 exec, exec, s[18:19]
.LBB270_487:                            ;   in Loop: Header=BB270_414 Depth=1
	s_or_b64 exec, exec, s[16:17]
.LBB270_488:                            ;   in Loop: Header=BB270_414 Depth=1
	s_or_b64 exec, exec, s[12:13]
	v_mov_b32_e32 v1, v10
	v_cmp_ne_u16_sdwa s[0:1], v10, v2 src0_sel:BYTE_0 src1_sel:DWORD
	v_mov_b32_e32 v43, 0
	v_mov_b32_e32 v44, 0
	s_and_saveexec_b64 s[12:13], s[0:1]
	s_cbranch_execz .LBB270_494
; %bb.489:                              ;   in Loop: Header=BB270_414 Depth=1
	v_cmp_ne_u16_sdwa s[0:1], v10, s24 src0_sel:BYTE_0 src1_sel:DWORD
	v_mov_b32_e32 v44, 0x8000
	s_and_saveexec_b64 s[16:17], s[0:1]
	s_cbranch_execz .LBB270_493
; %bb.490:                              ;   in Loop: Header=BB270_414 Depth=1
	v_and_b32_e32 v45, 0x7f, v10
	v_cmp_ne_u32_e64 s[0:1], s25, v45
	v_mov_b32_e32 v44, 0x7c01
	s_and_saveexec_b64 s[18:19], s[0:1]
	s_cbranch_execz .LBB270_492
; %bb.491:                              ;   in Loop: Header=BB270_414 Depth=1
	v_and_b32_e32 v44, 7, v10
	v_ffbh_u32_e32 v46, v44
	v_min_u32_e32 v49, 32, v46
	v_subrev_u32_e32 v46, 28, v49
	v_lshlrev_b64 v[46:47], v46, v[1:2]
	v_lshrrev_b32_e32 v48, 3, v45
	v_sub_u32_e32 v47, 29, v49
	v_cmp_gt_u32_e64 s[0:1], 8, v45
	v_cndmask_b32_e64 v45, v48, v47, s[0:1]
	v_lshl_add_u32 v45, v45, 10, v12
	v_lshlrev_b32_e32 v47, 8, v10
	v_and_b32_e32 v46, 7, v46
	v_and_b32_e32 v45, 0xfc00, v45
	v_cndmask_b32_e64 v44, v44, v46, s[0:1]
	v_and_or_b32 v45, v47, s26, v45
	v_lshl_or_b32 v44, v44, 7, v45
.LBB270_492:                            ;   in Loop: Header=BB270_414 Depth=1
	s_or_b64 exec, exec, s[18:19]
.LBB270_493:                            ;   in Loop: Header=BB270_414 Depth=1
	s_or_b64 exec, exec, s[16:17]
.LBB270_494:                            ;   in Loop: Header=BB270_414 Depth=1
	s_or_b64 exec, exec, s[12:13]
	v_lshrrev_b16_e32 v1, 8, v1
	v_cmp_ne_u16_e64 s[0:1], 0, v1
	v_mov_b32_e32 v45, 0
	s_and_saveexec_b64 s[12:13], s[0:1]
	s_cbranch_execz .LBB270_500
; %bb.495:                              ;   in Loop: Header=BB270_414 Depth=1
	v_cmp_ne_u16_e64 s[0:1], s24, v1
	v_bfrev_b32_e32 v45, 1
	s_and_saveexec_b64 s[16:17], s[0:1]
	s_cbranch_execz .LBB270_499
; %bb.496:                              ;   in Loop: Header=BB270_414 Depth=1
	v_and_b32_e32 v46, 0x7f, v1
	v_cmp_ne_u32_e64 s[0:1], s25, v46
	v_mov_b32_e32 v45, 0x7c010000
	s_and_saveexec_b64 s[18:19], s[0:1]
	s_cbranch_execz .LBB270_498
; %bb.497:                              ;   in Loop: Header=BB270_414 Depth=1
	v_and_b32_e32 v45, 7, v1
	v_ffbh_u32_e32 v47, v45
	v_min_u32_e32 v50, 32, v47
	v_subrev_u32_e32 v47, 28, v50
	v_lshlrev_b64 v[47:48], v47, v[1:2]
	v_lshrrev_b32_e32 v49, 3, v46
	v_sub_u32_e32 v48, 29, v50
	v_cmp_gt_u32_e64 s[0:1], 8, v46
	v_cndmask_b32_e64 v46, v49, v48, s[0:1]
	v_lshlrev_b32_e32 v1, 8, v1
	v_lshl_add_u32 v46, v46, 10, v12
	v_and_b32_e32 v47, 7, v47
	v_and_or_b32 v1, v1, s26, v46
	v_cndmask_b32_e64 v45, v45, v47, s[0:1]
	v_lshlrev_b32_e32 v1, 16, v1
	v_lshl_or_b32 v45, v45, 23, v1
.LBB270_498:                            ;   in Loop: Header=BB270_414 Depth=1
	s_or_b64 exec, exec, s[18:19]
.LBB270_499:                            ;   in Loop: Header=BB270_414 Depth=1
	s_or_b64 exec, exec, s[16:17]
.LBB270_500:                            ;   in Loop: Header=BB270_414 Depth=1
	s_or_b64 exec, exec, s[12:13]
	v_lshrrev_b32_e32 v1, 16, v10
	v_cmp_ne_u16_sdwa s[0:1], v1, v2 src0_sel:BYTE_0 src1_sel:DWORD
	s_and_saveexec_b64 s[12:13], s[0:1]
	s_cbranch_execz .LBB270_506
; %bb.501:                              ;   in Loop: Header=BB270_414 Depth=1
	v_cmp_ne_u16_sdwa s[0:1], v1, s24 src0_sel:BYTE_0 src1_sel:DWORD
	v_mov_b32_e32 v43, 0x8000
	s_and_saveexec_b64 s[16:17], s[0:1]
	s_cbranch_execz .LBB270_505
; %bb.502:                              ;   in Loop: Header=BB270_414 Depth=1
	v_bfe_u32 v46, v10, 16, 7
	v_cmp_ne_u32_e64 s[0:1], s25, v46
	v_mov_b32_e32 v43, 0x7c01
	s_and_saveexec_b64 s[18:19], s[0:1]
	s_cbranch_execz .LBB270_504
; %bb.503:                              ;   in Loop: Header=BB270_414 Depth=1
	v_and_b32_e32 v43, 7, v1
	v_ffbh_u32_e32 v47, v43
	v_min_u32_e32 v50, 32, v47
	v_subrev_u32_e32 v47, 28, v50
	v_lshlrev_b64 v[47:48], v47, v[1:2]
	v_lshrrev_b32_e32 v49, 3, v46
	v_sub_u32_e32 v48, 29, v50
	v_cmp_gt_u32_e64 s[0:1], 8, v46
	v_cndmask_b32_e64 v46, v49, v48, s[0:1]
	v_lshl_add_u32 v46, v46, 10, v12
	v_lshlrev_b32_e32 v1, 8, v1
	v_and_b32_e32 v47, 7, v47
	v_and_b32_e32 v46, 0xfc00, v46
	v_cndmask_b32_e64 v43, v43, v47, s[0:1]
	v_and_or_b32 v1, v1, s26, v46
	v_lshl_or_b32 v43, v43, 7, v1
.LBB270_504:                            ;   in Loop: Header=BB270_414 Depth=1
	s_or_b64 exec, exec, s[18:19]
.LBB270_505:                            ;   in Loop: Header=BB270_414 Depth=1
	s_or_b64 exec, exec, s[16:17]
.LBB270_506:                            ;   in Loop: Header=BB270_414 Depth=1
	s_or_b64 exec, exec, s[12:13]
	v_cmp_lt_u64_e64 s[0:1], s[4:5], v[9:10]
	v_mov_b32_e32 v9, 0
	s_and_saveexec_b64 s[12:13], s[0:1]
	s_cbranch_execz .LBB270_512
; %bb.507:                              ;   in Loop: Header=BB270_414 Depth=1
	v_lshrrev_b32_e32 v1, 24, v10
	v_cmp_ne_u32_e64 s[0:1], s24, v1
	v_bfrev_b32_e32 v9, 1
	s_and_saveexec_b64 s[16:17], s[0:1]
	s_cbranch_execz .LBB270_511
; %bb.508:                              ;   in Loop: Header=BB270_414 Depth=1
	v_and_b32_e32 v10, 0x7f, v1
	v_cmp_ne_u32_e64 s[0:1], s25, v10
	v_mov_b32_e32 v9, 0x7c010000
	s_and_saveexec_b64 s[18:19], s[0:1]
	s_cbranch_execz .LBB270_510
; %bb.509:                              ;   in Loop: Header=BB270_414 Depth=1
	v_and_b32_e32 v9, 7, v1
	v_ffbh_u32_e32 v46, v9
	v_min_u32_e32 v49, 32, v46
	v_subrev_u32_e32 v46, 28, v49
	v_lshlrev_b64 v[46:47], v46, v[1:2]
	v_lshrrev_b32_e32 v48, 3, v10
	v_sub_u32_e32 v47, 29, v49
	v_cmp_gt_u32_e64 s[0:1], 8, v10
	v_cndmask_b32_e64 v10, v48, v47, s[0:1]
	v_lshlrev_b32_e32 v1, 8, v1
	v_lshl_add_u32 v10, v10, 10, v12
	v_and_b32_e32 v46, 7, v46
	v_and_or_b32 v1, v1, s26, v10
	v_cndmask_b32_e64 v9, v9, v46, s[0:1]
	v_lshlrev_b32_e32 v1, 16, v1
	v_lshl_or_b32 v9, v9, 23, v1
.LBB270_510:                            ;   in Loop: Header=BB270_414 Depth=1
	s_or_b64 exec, exec, s[18:19]
.LBB270_511:                            ;   in Loop: Header=BB270_414 Depth=1
	s_or_b64 exec, exec, s[16:17]
.LBB270_512:                            ;   in Loop: Header=BB270_414 Depth=1
	s_or_b64 exec, exec, s[12:13]
	s_waitcnt vmcnt(0)
	v_fma_mixlo_f16 v10, v0, v41, 0 op_sel:[0,1,0] op_sel_hi:[0,1,0]
	v_or_b32_e32 v1, v41, v42
	v_lshlrev_b32_e32 v41, 16, v10
	v_or_b32_e32 v10, v11, v40
	v_fma_mixlo_f16 v11, v0, v11, 0 op_sel:[0,1,0] op_sel_hi:[0,1,0]
	v_lshlrev_b32_e32 v46, 16, v11
	v_or_b32_e32 v11, v45, v44
	v_or_b32_e32 v43, v9, v43
	v_fma_mixlo_f16 v1, v0, v1, 0 op_sel_hi:[0,1,0]
	v_fma_mixlo_f16 v10, v0, v10, 0 op_sel_hi:[0,1,0]
	v_fma_mixlo_f16 v40, v0, v45, 0 op_sel:[0,1,0] op_sel_hi:[0,1,0]
	v_fma_mixlo_f16 v11, v0, v11, 0 op_sel_hi:[0,1,0]
	v_fma_mixlo_f16 v43, v0, v43, 0 op_sel_hi:[0,1,0]
	v_fma_mixlo_f16 v0, v0, v9, 0 op_sel:[0,1,0] op_sel_hi:[0,1,0]
	v_and_b32_e32 v42, 0xffff, v1
	v_and_b32_e32 v47, 0xffff, v10
	v_lshlrev_b32_e32 v40, 16, v40
	v_and_b32_e32 v44, 0xffff, v11
	v_lshlrev_b32_e32 v0, 16, v0
	v_and_b32_e32 v9, 0xffff, v43
	v_or_b32_e32 v1, v41, v42
	v_or_b32_e32 v10, v46, v47
	;; [unrolled: 1-line block ×4, first 2 shown]
	s_and_saveexec_b64 s[12:13], vcc
	s_cbranch_execz .LBB270_514
; %bb.513:                              ;   in Loop: Header=BB270_414 Depth=1
	v_cmp_gt_i32_e64 s[0:1], s30, v27
	v_cndmask_b32_e64 v1, 0, v47, s[0:1]
	v_cmp_gt_i32_e64 s[0:1], s30, v33
	v_cndmask_b32_e64 v10, 0, v46, s[0:1]
	v_cmp_gt_i32_e64 s[0:1], s30, v32
	v_or_b32_e32 v10, v10, v1
	v_cndmask_b32_e64 v1, 0, v42, s[0:1]
	v_cmp_gt_i32_e64 s[0:1], s30, v31
	v_cndmask_b32_e64 v11, 0, v41, s[0:1]
	v_cmp_gt_i32_e64 s[0:1], s30, v30
	v_or_b32_e32 v1, v11, v1
	v_cndmask_b32_e64 v11, 0, v44, s[0:1]
	v_cmp_gt_i32_e64 s[0:1], s30, v29
	v_cndmask_b32_e64 v40, 0, v40, s[0:1]
	v_cmp_gt_i32_e64 s[0:1], s30, v28
	;; [unrolled: 2-line block ×3, first 2 shown]
	v_cndmask_b32_e64 v0, 0, v0, s[0:1]
	v_or_b32_e32 v11, v40, v11
	v_or_b32_e32 v43, v0, v9
.LBB270_514:                            ;   in Loop: Header=BB270_414 Depth=1
	s_or_b64 exec, exec, s[12:13]
	;;#ASMSTART
	v_pk_mul_f16 v0, v34, v10;

	;;#ASMEND
	;;#ASMSTART
	v_pk_mul_f16 v1, v35, v1;

	;;#ASMEND
	;; [unrolled: 4-line block ×4, first 2 shown]
	;;#ASMSTART
	v_pk_add_f16 v0, v0, v1;

	;;#ASMEND
	;;#ASMSTART
	v_pk_add_f16 v0, v0, v9;

	;;#ASMEND
	;; [unrolled: 4-line block ×3, first 2 shown]
	v_lshrrev_b32_e32 v1, 16, v0
	v_and_b32_e32 v0, 0xffff, v0
	;;#ASMSTART
	v_cvt_f32_f16 v40, v0;
	;;#ASMEND
	;;#ASMSTART
	v_cvt_f32_f16 v41, v1;
	;;#ASMEND
	global_load_dwordx2 v[9:10], v[7:8], off offset:1024
	v_mov_b32_e32 v11, 0
	global_load_dword v0, v11, s[14:15]
	v_mov_b32_e32 v42, 0
	s_waitcnt vmcnt(1)
	v_cmp_ne_u16_sdwa s[0:1], v9, v2 src0_sel:BYTE_0 src1_sel:DWORD
	s_and_saveexec_b64 s[12:13], s[0:1]
	s_cbranch_execz .LBB270_520
; %bb.515:                              ;   in Loop: Header=BB270_414 Depth=1
	v_cmp_ne_u16_sdwa s[0:1], v9, s24 src0_sel:BYTE_0 src1_sel:DWORD
	v_mov_b32_e32 v42, 0x8000
	s_and_saveexec_b64 s[16:17], s[0:1]
	s_cbranch_execz .LBB270_519
; %bb.516:                              ;   in Loop: Header=BB270_414 Depth=1
	v_and_b32_e32 v1, 0x7f, v9
	v_cmp_ne_u32_e64 s[0:1], s25, v1
	v_mov_b32_e32 v42, 0x7c01
	s_and_saveexec_b64 s[18:19], s[0:1]
	s_cbranch_execz .LBB270_518
; %bb.517:                              ;   in Loop: Header=BB270_414 Depth=1
	v_and_b32_e32 v44, 7, v9
	v_ffbh_u32_e32 v42, v44
	v_min_u32_e32 v46, 32, v42
	v_subrev_u32_e32 v42, 28, v46
	v_lshlrev_b64 v[42:43], v42, v[9:10]
	v_lshrrev_b32_e32 v45, 3, v1
	v_sub_u32_e32 v43, 29, v46
	v_cmp_gt_u32_e64 s[0:1], 8, v1
	v_cndmask_b32_e64 v1, v45, v43, s[0:1]
	v_lshl_add_u32 v1, v1, 10, v12
	v_lshlrev_b32_e32 v43, 8, v9
	v_and_b32_e32 v42, 7, v42
	v_and_b32_e32 v1, 0xfc00, v1
	v_cndmask_b32_e64 v42, v44, v42, s[0:1]
	v_and_or_b32 v1, v43, s26, v1
	v_lshl_or_b32 v42, v42, 7, v1
.LBB270_518:                            ;   in Loop: Header=BB270_414 Depth=1
	s_or_b64 exec, exec, s[18:19]
.LBB270_519:                            ;   in Loop: Header=BB270_414 Depth=1
	s_or_b64 exec, exec, s[16:17]
.LBB270_520:                            ;   in Loop: Header=BB270_414 Depth=1
	s_or_b64 exec, exec, s[12:13]
	v_lshrrev_b16_e32 v1, 8, v9
	v_cmp_ne_u16_e64 s[0:1], 0, v1
	s_and_saveexec_b64 s[12:13], s[0:1]
	s_cbranch_execz .LBB270_526
; %bb.521:                              ;   in Loop: Header=BB270_414 Depth=1
	v_cmp_ne_u16_e64 s[0:1], s24, v1
	v_bfrev_b32_e32 v11, 1
	s_and_saveexec_b64 s[16:17], s[0:1]
	s_cbranch_execz .LBB270_525
; %bb.522:                              ;   in Loop: Header=BB270_414 Depth=1
	v_and_b32_e32 v43, 0x7f, v1
	v_cmp_ne_u32_e64 s[0:1], s25, v43
	v_mov_b32_e32 v11, 0x7c010000
	s_and_saveexec_b64 s[18:19], s[0:1]
	s_cbranch_execz .LBB270_524
; %bb.523:                              ;   in Loop: Header=BB270_414 Depth=1
	v_and_b32_e32 v11, 7, v1
	v_ffbh_u32_e32 v44, v11
	v_min_u32_e32 v47, 32, v44
	v_subrev_u32_e32 v44, 28, v47
	v_lshlrev_b64 v[44:45], v44, v[1:2]
	v_lshrrev_b32_e32 v46, 3, v43
	v_sub_u32_e32 v45, 29, v47
	v_cmp_gt_u32_e64 s[0:1], 8, v43
	v_cndmask_b32_e64 v43, v46, v45, s[0:1]
	v_lshlrev_b32_e32 v1, 8, v1
	v_lshl_add_u32 v43, v43, 10, v12
	v_and_b32_e32 v44, 7, v44
	v_and_or_b32 v1, v1, s26, v43
	v_cndmask_b32_e64 v11, v11, v44, s[0:1]
	v_lshlrev_b32_e32 v1, 16, v1
	v_lshl_or_b32 v11, v11, 23, v1
.LBB270_524:                            ;   in Loop: Header=BB270_414 Depth=1
	s_or_b64 exec, exec, s[18:19]
.LBB270_525:                            ;   in Loop: Header=BB270_414 Depth=1
	s_or_b64 exec, exec, s[16:17]
.LBB270_526:                            ;   in Loop: Header=BB270_414 Depth=1
	s_or_b64 exec, exec, s[12:13]
	v_lshrrev_b32_e32 v1, 16, v9
	v_cmp_ne_u16_sdwa s[0:1], v1, v2 src0_sel:BYTE_0 src1_sel:DWORD
	v_mov_b32_e32 v43, 0
	v_mov_b32_e32 v44, 0
	s_and_saveexec_b64 s[12:13], s[0:1]
	s_cbranch_execz .LBB270_532
; %bb.527:                              ;   in Loop: Header=BB270_414 Depth=1
	v_cmp_ne_u16_sdwa s[0:1], v1, s24 src0_sel:BYTE_0 src1_sel:DWORD
	v_mov_b32_e32 v44, 0x8000
	s_and_saveexec_b64 s[16:17], s[0:1]
	s_cbranch_execz .LBB270_531
; %bb.528:                              ;   in Loop: Header=BB270_414 Depth=1
	v_bfe_u32 v45, v9, 16, 7
	v_cmp_ne_u32_e64 s[0:1], s25, v45
	v_mov_b32_e32 v44, 0x7c01
	s_and_saveexec_b64 s[18:19], s[0:1]
	s_cbranch_execz .LBB270_530
; %bb.529:                              ;   in Loop: Header=BB270_414 Depth=1
	v_and_b32_e32 v44, 7, v1
	v_ffbh_u32_e32 v46, v44
	v_min_u32_e32 v49, 32, v46
	v_subrev_u32_e32 v46, 28, v49
	v_lshlrev_b64 v[46:47], v46, v[1:2]
	v_lshrrev_b32_e32 v48, 3, v45
	v_sub_u32_e32 v47, 29, v49
	v_cmp_gt_u32_e64 s[0:1], 8, v45
	v_cndmask_b32_e64 v45, v48, v47, s[0:1]
	v_lshl_add_u32 v45, v45, 10, v12
	v_lshlrev_b32_e32 v1, 8, v1
	v_and_b32_e32 v46, 7, v46
	v_and_b32_e32 v45, 0xfc00, v45
	v_cndmask_b32_e64 v44, v44, v46, s[0:1]
	v_and_or_b32 v1, v1, s26, v45
	v_lshl_or_b32 v44, v44, 7, v1
.LBB270_530:                            ;   in Loop: Header=BB270_414 Depth=1
	s_or_b64 exec, exec, s[18:19]
.LBB270_531:                            ;   in Loop: Header=BB270_414 Depth=1
	s_or_b64 exec, exec, s[16:17]
.LBB270_532:                            ;   in Loop: Header=BB270_414 Depth=1
	s_or_b64 exec, exec, s[12:13]
	v_cmp_lt_u32_e64 s[0:1], s5, v9
	s_and_saveexec_b64 s[12:13], s[0:1]
	s_cbranch_execz .LBB270_538
; %bb.533:                              ;   in Loop: Header=BB270_414 Depth=1
	v_lshrrev_b32_e32 v1, 24, v9
	v_cmp_ne_u32_e64 s[0:1], s24, v1
	v_bfrev_b32_e32 v43, 1
	s_and_saveexec_b64 s[16:17], s[0:1]
	s_cbranch_execz .LBB270_537
; %bb.534:                              ;   in Loop: Header=BB270_414 Depth=1
	v_and_b32_e32 v45, 0x7f, v1
	v_cmp_ne_u32_e64 s[0:1], s25, v45
	v_mov_b32_e32 v43, 0x7c010000
	s_and_saveexec_b64 s[18:19], s[0:1]
	s_cbranch_execz .LBB270_536
; %bb.535:                              ;   in Loop: Header=BB270_414 Depth=1
	v_and_b32_e32 v43, 7, v1
	v_ffbh_u32_e32 v46, v43
	v_min_u32_e32 v49, 32, v46
	v_subrev_u32_e32 v46, 28, v49
	v_lshlrev_b64 v[46:47], v46, v[1:2]
	v_lshrrev_b32_e32 v48, 3, v45
	v_sub_u32_e32 v47, 29, v49
	v_cmp_gt_u32_e64 s[0:1], 8, v45
	v_cndmask_b32_e64 v45, v48, v47, s[0:1]
	v_lshlrev_b32_e32 v1, 8, v1
	v_lshl_add_u32 v45, v45, 10, v12
	v_and_b32_e32 v46, 7, v46
	v_and_or_b32 v1, v1, s26, v45
	v_cndmask_b32_e64 v43, v43, v46, s[0:1]
	v_lshlrev_b32_e32 v1, 16, v1
	v_lshl_or_b32 v43, v43, 23, v1
.LBB270_536:                            ;   in Loop: Header=BB270_414 Depth=1
	s_or_b64 exec, exec, s[18:19]
.LBB270_537:                            ;   in Loop: Header=BB270_414 Depth=1
	s_or_b64 exec, exec, s[16:17]
.LBB270_538:                            ;   in Loop: Header=BB270_414 Depth=1
	s_or_b64 exec, exec, s[12:13]
	v_mov_b32_e32 v1, v10
	v_cmp_ne_u16_sdwa s[0:1], v10, v2 src0_sel:BYTE_0 src1_sel:DWORD
	v_mov_b32_e32 v45, 0
	v_mov_b32_e32 v46, 0
	s_and_saveexec_b64 s[12:13], s[0:1]
	s_cbranch_execz .LBB270_544
; %bb.539:                              ;   in Loop: Header=BB270_414 Depth=1
	v_cmp_ne_u16_sdwa s[0:1], v10, s24 src0_sel:BYTE_0 src1_sel:DWORD
	v_mov_b32_e32 v46, 0x8000
	s_and_saveexec_b64 s[16:17], s[0:1]
	s_cbranch_execz .LBB270_543
; %bb.540:                              ;   in Loop: Header=BB270_414 Depth=1
	v_and_b32_e32 v47, 0x7f, v10
	v_cmp_ne_u32_e64 s[0:1], s25, v47
	v_mov_b32_e32 v46, 0x7c01
	s_and_saveexec_b64 s[18:19], s[0:1]
	s_cbranch_execz .LBB270_542
; %bb.541:                              ;   in Loop: Header=BB270_414 Depth=1
	v_and_b32_e32 v46, 7, v10
	v_ffbh_u32_e32 v48, v46
	v_min_u32_e32 v51, 32, v48
	v_subrev_u32_e32 v48, 28, v51
	v_lshlrev_b64 v[48:49], v48, v[1:2]
	v_lshrrev_b32_e32 v50, 3, v47
	v_sub_u32_e32 v49, 29, v51
	v_cmp_gt_u32_e64 s[0:1], 8, v47
	v_cndmask_b32_e64 v47, v50, v49, s[0:1]
	v_lshl_add_u32 v47, v47, 10, v12
	v_lshlrev_b32_e32 v49, 8, v10
	v_and_b32_e32 v48, 7, v48
	v_and_b32_e32 v47, 0xfc00, v47
	v_cndmask_b32_e64 v46, v46, v48, s[0:1]
	v_and_or_b32 v47, v49, s26, v47
	v_lshl_or_b32 v46, v46, 7, v47
.LBB270_542:                            ;   in Loop: Header=BB270_414 Depth=1
	s_or_b64 exec, exec, s[18:19]
.LBB270_543:                            ;   in Loop: Header=BB270_414 Depth=1
	s_or_b64 exec, exec, s[16:17]
.LBB270_544:                            ;   in Loop: Header=BB270_414 Depth=1
	s_or_b64 exec, exec, s[12:13]
	v_lshrrev_b16_e32 v1, 8, v1
	v_cmp_ne_u16_e64 s[0:1], 0, v1
	v_mov_b32_e32 v47, 0
	s_and_saveexec_b64 s[12:13], s[0:1]
	s_cbranch_execz .LBB270_550
; %bb.545:                              ;   in Loop: Header=BB270_414 Depth=1
	v_cmp_ne_u16_e64 s[0:1], s24, v1
	v_bfrev_b32_e32 v47, 1
	s_and_saveexec_b64 s[16:17], s[0:1]
	s_cbranch_execz .LBB270_549
; %bb.546:                              ;   in Loop: Header=BB270_414 Depth=1
	v_and_b32_e32 v48, 0x7f, v1
	v_cmp_ne_u32_e64 s[0:1], s25, v48
	v_mov_b32_e32 v47, 0x7c010000
	s_and_saveexec_b64 s[18:19], s[0:1]
	s_cbranch_execz .LBB270_548
; %bb.547:                              ;   in Loop: Header=BB270_414 Depth=1
	v_and_b32_e32 v47, 7, v1
	v_ffbh_u32_e32 v49, v47
	v_min_u32_e32 v52, 32, v49
	v_subrev_u32_e32 v49, 28, v52
	v_lshlrev_b64 v[49:50], v49, v[1:2]
	v_lshrrev_b32_e32 v51, 3, v48
	v_sub_u32_e32 v50, 29, v52
	v_cmp_gt_u32_e64 s[0:1], 8, v48
	v_cndmask_b32_e64 v48, v51, v50, s[0:1]
	v_lshlrev_b32_e32 v1, 8, v1
	v_lshl_add_u32 v48, v48, 10, v12
	v_and_b32_e32 v49, 7, v49
	v_and_or_b32 v1, v1, s26, v48
	v_cndmask_b32_e64 v47, v47, v49, s[0:1]
	v_lshlrev_b32_e32 v1, 16, v1
	v_lshl_or_b32 v47, v47, 23, v1
.LBB270_548:                            ;   in Loop: Header=BB270_414 Depth=1
	s_or_b64 exec, exec, s[18:19]
.LBB270_549:                            ;   in Loop: Header=BB270_414 Depth=1
	s_or_b64 exec, exec, s[16:17]
.LBB270_550:                            ;   in Loop: Header=BB270_414 Depth=1
	s_or_b64 exec, exec, s[12:13]
	v_lshrrev_b32_e32 v1, 16, v10
	v_cmp_ne_u16_sdwa s[0:1], v1, v2 src0_sel:BYTE_0 src1_sel:DWORD
	s_and_saveexec_b64 s[12:13], s[0:1]
	s_cbranch_execz .LBB270_556
; %bb.551:                              ;   in Loop: Header=BB270_414 Depth=1
	v_cmp_ne_u16_sdwa s[0:1], v1, s24 src0_sel:BYTE_0 src1_sel:DWORD
	v_mov_b32_e32 v45, 0x8000
	s_and_saveexec_b64 s[16:17], s[0:1]
	s_cbranch_execz .LBB270_555
; %bb.552:                              ;   in Loop: Header=BB270_414 Depth=1
	v_bfe_u32 v48, v10, 16, 7
	v_cmp_ne_u32_e64 s[0:1], s25, v48
	v_mov_b32_e32 v45, 0x7c01
	s_and_saveexec_b64 s[18:19], s[0:1]
	s_cbranch_execz .LBB270_554
; %bb.553:                              ;   in Loop: Header=BB270_414 Depth=1
	v_and_b32_e32 v45, 7, v1
	v_ffbh_u32_e32 v49, v45
	v_min_u32_e32 v52, 32, v49
	v_subrev_u32_e32 v49, 28, v52
	v_lshlrev_b64 v[49:50], v49, v[1:2]
	v_lshrrev_b32_e32 v51, 3, v48
	v_sub_u32_e32 v50, 29, v52
	v_cmp_gt_u32_e64 s[0:1], 8, v48
	v_cndmask_b32_e64 v48, v51, v50, s[0:1]
	v_lshl_add_u32 v48, v48, 10, v12
	v_lshlrev_b32_e32 v1, 8, v1
	v_and_b32_e32 v49, 7, v49
	v_and_b32_e32 v48, 0xfc00, v48
	v_cndmask_b32_e64 v45, v45, v49, s[0:1]
	v_and_or_b32 v1, v1, s26, v48
	v_lshl_or_b32 v45, v45, 7, v1
.LBB270_554:                            ;   in Loop: Header=BB270_414 Depth=1
	s_or_b64 exec, exec, s[18:19]
.LBB270_555:                            ;   in Loop: Header=BB270_414 Depth=1
	s_or_b64 exec, exec, s[16:17]
.LBB270_556:                            ;   in Loop: Header=BB270_414 Depth=1
	s_or_b64 exec, exec, s[12:13]
	v_cmp_lt_u64_e64 s[0:1], s[4:5], v[9:10]
	v_mov_b32_e32 v9, 0
	s_and_saveexec_b64 s[12:13], s[0:1]
	s_cbranch_execz .LBB270_562
; %bb.557:                              ;   in Loop: Header=BB270_414 Depth=1
	v_lshrrev_b32_e32 v1, 24, v10
	v_cmp_ne_u32_e64 s[0:1], s24, v1
	v_bfrev_b32_e32 v9, 1
	s_and_saveexec_b64 s[16:17], s[0:1]
	s_cbranch_execz .LBB270_561
; %bb.558:                              ;   in Loop: Header=BB270_414 Depth=1
	v_and_b32_e32 v10, 0x7f, v1
	v_cmp_ne_u32_e64 s[0:1], s25, v10
	v_mov_b32_e32 v9, 0x7c010000
	s_and_saveexec_b64 s[18:19], s[0:1]
	s_cbranch_execz .LBB270_560
; %bb.559:                              ;   in Loop: Header=BB270_414 Depth=1
	v_and_b32_e32 v9, 7, v1
	v_ffbh_u32_e32 v48, v9
	v_min_u32_e32 v51, 32, v48
	v_subrev_u32_e32 v48, 28, v51
	v_lshlrev_b64 v[48:49], v48, v[1:2]
	v_lshrrev_b32_e32 v50, 3, v10
	v_sub_u32_e32 v49, 29, v51
	v_cmp_gt_u32_e64 s[0:1], 8, v10
	v_cndmask_b32_e64 v10, v50, v49, s[0:1]
	v_lshlrev_b32_e32 v1, 8, v1
	v_lshl_add_u32 v10, v10, 10, v12
	v_and_b32_e32 v48, 7, v48
	v_and_or_b32 v1, v1, s26, v10
	v_cndmask_b32_e64 v9, v9, v48, s[0:1]
	v_lshlrev_b32_e32 v1, 16, v1
	v_lshl_or_b32 v9, v9, 23, v1
.LBB270_560:                            ;   in Loop: Header=BB270_414 Depth=1
	s_or_b64 exec, exec, s[18:19]
.LBB270_561:                            ;   in Loop: Header=BB270_414 Depth=1
	s_or_b64 exec, exec, s[16:17]
.LBB270_562:                            ;   in Loop: Header=BB270_414 Depth=1
	s_or_b64 exec, exec, s[12:13]
	s_waitcnt vmcnt(0)
	v_fma_mixlo_f16 v10, v0, v43, 0 op_sel:[0,1,0] op_sel_hi:[0,1,0]
	v_or_b32_e32 v1, v43, v44
	v_lshlrev_b32_e32 v43, 16, v10
	v_or_b32_e32 v10, v11, v42
	v_fma_mixlo_f16 v11, v0, v11, 0 op_sel:[0,1,0] op_sel_hi:[0,1,0]
	v_lshlrev_b32_e32 v48, 16, v11
	v_or_b32_e32 v11, v47, v46
	v_or_b32_e32 v45, v9, v45
	v_fma_mixlo_f16 v1, v0, v1, 0 op_sel_hi:[0,1,0]
	v_fma_mixlo_f16 v10, v0, v10, 0 op_sel_hi:[0,1,0]
	v_fma_mixlo_f16 v42, v0, v47, 0 op_sel:[0,1,0] op_sel_hi:[0,1,0]
	v_fma_mixlo_f16 v11, v0, v11, 0 op_sel_hi:[0,1,0]
	v_fma_mixlo_f16 v45, v0, v45, 0 op_sel_hi:[0,1,0]
	v_fma_mixlo_f16 v0, v0, v9, 0 op_sel:[0,1,0] op_sel_hi:[0,1,0]
	v_and_b32_e32 v44, 0xffff, v1
	v_and_b32_e32 v49, 0xffff, v10
	v_lshlrev_b32_e32 v42, 16, v42
	v_and_b32_e32 v46, 0xffff, v11
	v_lshlrev_b32_e32 v0, 16, v0
	v_and_b32_e32 v9, 0xffff, v45
	v_or_b32_e32 v1, v43, v44
	v_or_b32_e32 v10, v48, v49
	v_or_b32_e32 v11, v42, v46
	v_or_b32_e32 v45, v0, v9
	s_and_saveexec_b64 s[12:13], vcc
	s_cbranch_execz .LBB270_564
; %bb.563:                              ;   in Loop: Header=BB270_414 Depth=1
	v_cmp_gt_i32_e64 s[0:1], s30, v27
	v_cndmask_b32_e64 v1, 0, v49, s[0:1]
	v_cmp_gt_i32_e64 s[0:1], s30, v33
	v_cndmask_b32_e64 v10, 0, v48, s[0:1]
	v_cmp_gt_i32_e64 s[0:1], s30, v32
	v_or_b32_e32 v10, v10, v1
	v_cndmask_b32_e64 v1, 0, v44, s[0:1]
	v_cmp_gt_i32_e64 s[0:1], s30, v31
	v_cndmask_b32_e64 v11, 0, v43, s[0:1]
	v_cmp_gt_i32_e64 s[0:1], s30, v30
	v_or_b32_e32 v1, v11, v1
	v_cndmask_b32_e64 v11, 0, v46, s[0:1]
	v_cmp_gt_i32_e64 s[0:1], s30, v29
	v_cndmask_b32_e64 v42, 0, v42, s[0:1]
	v_cmp_gt_i32_e64 s[0:1], s30, v28
	;; [unrolled: 2-line block ×3, first 2 shown]
	v_cndmask_b32_e64 v0, 0, v0, s[0:1]
	v_or_b32_e32 v11, v42, v11
	v_or_b32_e32 v45, v0, v9
.LBB270_564:                            ;   in Loop: Header=BB270_414 Depth=1
	s_or_b64 exec, exec, s[12:13]
	;;#ASMSTART
	v_pk_mul_f16 v0, v34, v10;

	;;#ASMEND
	;;#ASMSTART
	v_pk_mul_f16 v1, v35, v1;

	;;#ASMEND
	;; [unrolled: 4-line block ×4, first 2 shown]
	;;#ASMSTART
	v_pk_add_f16 v0, v0, v1;

	;;#ASMEND
	;;#ASMSTART
	v_pk_add_f16 v0, v0, v9;

	;;#ASMEND
	;; [unrolled: 4-line block ×3, first 2 shown]
	v_lshrrev_b32_e32 v1, 16, v0
	v_and_b32_e32 v0, 0xffff, v0
	;;#ASMSTART
	v_cvt_f32_f16 v42, v0;
	;;#ASMEND
	;;#ASMSTART
	v_cvt_f32_f16 v43, v1;
	;;#ASMEND
	global_load_dwordx2 v[9:10], v[7:8], off offset:1536
	v_mov_b32_e32 v11, 0
	global_load_dword v0, v11, s[14:15]
	v_mov_b32_e32 v44, 0
	s_waitcnt vmcnt(1)
	v_cmp_ne_u16_sdwa s[0:1], v9, v2 src0_sel:BYTE_0 src1_sel:DWORD
	s_and_saveexec_b64 s[12:13], s[0:1]
	s_cbranch_execz .LBB270_570
; %bb.565:                              ;   in Loop: Header=BB270_414 Depth=1
	v_cmp_ne_u16_sdwa s[0:1], v9, s24 src0_sel:BYTE_0 src1_sel:DWORD
	v_mov_b32_e32 v44, 0x8000
	s_and_saveexec_b64 s[16:17], s[0:1]
	s_cbranch_execz .LBB270_569
; %bb.566:                              ;   in Loop: Header=BB270_414 Depth=1
	v_and_b32_e32 v1, 0x7f, v9
	v_cmp_ne_u32_e64 s[0:1], s25, v1
	v_mov_b32_e32 v44, 0x7c01
	s_and_saveexec_b64 s[18:19], s[0:1]
	s_cbranch_execz .LBB270_568
; %bb.567:                              ;   in Loop: Header=BB270_414 Depth=1
	v_and_b32_e32 v46, 7, v9
	v_ffbh_u32_e32 v44, v46
	v_min_u32_e32 v48, 32, v44
	v_subrev_u32_e32 v44, 28, v48
	v_lshlrev_b64 v[44:45], v44, v[9:10]
	v_lshrrev_b32_e32 v47, 3, v1
	v_sub_u32_e32 v45, 29, v48
	v_cmp_gt_u32_e64 s[0:1], 8, v1
	v_cndmask_b32_e64 v1, v47, v45, s[0:1]
	v_lshl_add_u32 v1, v1, 10, v12
	v_lshlrev_b32_e32 v45, 8, v9
	v_and_b32_e32 v44, 7, v44
	v_and_b32_e32 v1, 0xfc00, v1
	v_cndmask_b32_e64 v44, v46, v44, s[0:1]
	v_and_or_b32 v1, v45, s26, v1
	v_lshl_or_b32 v44, v44, 7, v1
.LBB270_568:                            ;   in Loop: Header=BB270_414 Depth=1
	s_or_b64 exec, exec, s[18:19]
.LBB270_569:                            ;   in Loop: Header=BB270_414 Depth=1
	s_or_b64 exec, exec, s[16:17]
.LBB270_570:                            ;   in Loop: Header=BB270_414 Depth=1
	s_or_b64 exec, exec, s[12:13]
	v_lshrrev_b16_e32 v1, 8, v9
	v_cmp_ne_u16_e64 s[0:1], 0, v1
	s_and_saveexec_b64 s[12:13], s[0:1]
	s_cbranch_execz .LBB270_576
; %bb.571:                              ;   in Loop: Header=BB270_414 Depth=1
	v_cmp_ne_u16_e64 s[0:1], s24, v1
	v_bfrev_b32_e32 v11, 1
	s_and_saveexec_b64 s[16:17], s[0:1]
	s_cbranch_execz .LBB270_575
; %bb.572:                              ;   in Loop: Header=BB270_414 Depth=1
	v_and_b32_e32 v45, 0x7f, v1
	v_cmp_ne_u32_e64 s[0:1], s25, v45
	v_mov_b32_e32 v11, 0x7c010000
	s_and_saveexec_b64 s[18:19], s[0:1]
	s_cbranch_execz .LBB270_574
; %bb.573:                              ;   in Loop: Header=BB270_414 Depth=1
	v_and_b32_e32 v11, 7, v1
	v_ffbh_u32_e32 v46, v11
	v_min_u32_e32 v49, 32, v46
	v_subrev_u32_e32 v46, 28, v49
	v_lshlrev_b64 v[46:47], v46, v[1:2]
	v_lshrrev_b32_e32 v48, 3, v45
	v_sub_u32_e32 v47, 29, v49
	v_cmp_gt_u32_e64 s[0:1], 8, v45
	v_cndmask_b32_e64 v45, v48, v47, s[0:1]
	v_lshlrev_b32_e32 v1, 8, v1
	v_lshl_add_u32 v45, v45, 10, v12
	v_and_b32_e32 v46, 7, v46
	v_and_or_b32 v1, v1, s26, v45
	v_cndmask_b32_e64 v11, v11, v46, s[0:1]
	v_lshlrev_b32_e32 v1, 16, v1
	v_lshl_or_b32 v11, v11, 23, v1
.LBB270_574:                            ;   in Loop: Header=BB270_414 Depth=1
	s_or_b64 exec, exec, s[18:19]
.LBB270_575:                            ;   in Loop: Header=BB270_414 Depth=1
	s_or_b64 exec, exec, s[16:17]
.LBB270_576:                            ;   in Loop: Header=BB270_414 Depth=1
	s_or_b64 exec, exec, s[12:13]
	v_lshrrev_b32_e32 v1, 16, v9
	v_cmp_ne_u16_sdwa s[0:1], v1, v2 src0_sel:BYTE_0 src1_sel:DWORD
	v_mov_b32_e32 v45, 0
	v_mov_b32_e32 v46, 0
	s_and_saveexec_b64 s[12:13], s[0:1]
	s_cbranch_execz .LBB270_582
; %bb.577:                              ;   in Loop: Header=BB270_414 Depth=1
	v_cmp_ne_u16_sdwa s[0:1], v1, s24 src0_sel:BYTE_0 src1_sel:DWORD
	v_mov_b32_e32 v46, 0x8000
	s_and_saveexec_b64 s[16:17], s[0:1]
	s_cbranch_execz .LBB270_581
; %bb.578:                              ;   in Loop: Header=BB270_414 Depth=1
	v_bfe_u32 v47, v9, 16, 7
	v_cmp_ne_u32_e64 s[0:1], s25, v47
	v_mov_b32_e32 v46, 0x7c01
	s_and_saveexec_b64 s[18:19], s[0:1]
	s_cbranch_execz .LBB270_580
; %bb.579:                              ;   in Loop: Header=BB270_414 Depth=1
	v_and_b32_e32 v46, 7, v1
	v_ffbh_u32_e32 v48, v46
	v_min_u32_e32 v51, 32, v48
	v_subrev_u32_e32 v48, 28, v51
	v_lshlrev_b64 v[48:49], v48, v[1:2]
	v_lshrrev_b32_e32 v50, 3, v47
	v_sub_u32_e32 v49, 29, v51
	v_cmp_gt_u32_e64 s[0:1], 8, v47
	v_cndmask_b32_e64 v47, v50, v49, s[0:1]
	v_lshl_add_u32 v47, v47, 10, v12
	v_lshlrev_b32_e32 v1, 8, v1
	v_and_b32_e32 v48, 7, v48
	v_and_b32_e32 v47, 0xfc00, v47
	v_cndmask_b32_e64 v46, v46, v48, s[0:1]
	v_and_or_b32 v1, v1, s26, v47
	v_lshl_or_b32 v46, v46, 7, v1
.LBB270_580:                            ;   in Loop: Header=BB270_414 Depth=1
	s_or_b64 exec, exec, s[18:19]
.LBB270_581:                            ;   in Loop: Header=BB270_414 Depth=1
	s_or_b64 exec, exec, s[16:17]
.LBB270_582:                            ;   in Loop: Header=BB270_414 Depth=1
	s_or_b64 exec, exec, s[12:13]
	v_cmp_lt_u32_e64 s[0:1], s5, v9
	s_and_saveexec_b64 s[12:13], s[0:1]
	s_cbranch_execz .LBB270_588
; %bb.583:                              ;   in Loop: Header=BB270_414 Depth=1
	v_lshrrev_b32_e32 v1, 24, v9
	v_cmp_ne_u32_e64 s[0:1], s24, v1
	v_bfrev_b32_e32 v45, 1
	s_and_saveexec_b64 s[16:17], s[0:1]
	s_cbranch_execz .LBB270_587
; %bb.584:                              ;   in Loop: Header=BB270_414 Depth=1
	v_and_b32_e32 v47, 0x7f, v1
	v_cmp_ne_u32_e64 s[0:1], s25, v47
	v_mov_b32_e32 v45, 0x7c010000
	s_and_saveexec_b64 s[18:19], s[0:1]
	s_cbranch_execz .LBB270_586
; %bb.585:                              ;   in Loop: Header=BB270_414 Depth=1
	v_and_b32_e32 v45, 7, v1
	v_ffbh_u32_e32 v48, v45
	v_min_u32_e32 v51, 32, v48
	v_subrev_u32_e32 v48, 28, v51
	v_lshlrev_b64 v[48:49], v48, v[1:2]
	v_lshrrev_b32_e32 v50, 3, v47
	v_sub_u32_e32 v49, 29, v51
	v_cmp_gt_u32_e64 s[0:1], 8, v47
	v_cndmask_b32_e64 v47, v50, v49, s[0:1]
	v_lshlrev_b32_e32 v1, 8, v1
	v_lshl_add_u32 v47, v47, 10, v12
	v_and_b32_e32 v48, 7, v48
	v_and_or_b32 v1, v1, s26, v47
	v_cndmask_b32_e64 v45, v45, v48, s[0:1]
	v_lshlrev_b32_e32 v1, 16, v1
	v_lshl_or_b32 v45, v45, 23, v1
.LBB270_586:                            ;   in Loop: Header=BB270_414 Depth=1
	s_or_b64 exec, exec, s[18:19]
.LBB270_587:                            ;   in Loop: Header=BB270_414 Depth=1
	s_or_b64 exec, exec, s[16:17]
.LBB270_588:                            ;   in Loop: Header=BB270_414 Depth=1
	s_or_b64 exec, exec, s[12:13]
	v_mov_b32_e32 v1, v10
	v_cmp_ne_u16_sdwa s[0:1], v10, v2 src0_sel:BYTE_0 src1_sel:DWORD
	v_mov_b32_e32 v47, 0
	v_mov_b32_e32 v48, 0
	s_and_saveexec_b64 s[12:13], s[0:1]
	s_cbranch_execz .LBB270_594
; %bb.589:                              ;   in Loop: Header=BB270_414 Depth=1
	v_cmp_ne_u16_sdwa s[0:1], v10, s24 src0_sel:BYTE_0 src1_sel:DWORD
	v_mov_b32_e32 v48, 0x8000
	s_and_saveexec_b64 s[16:17], s[0:1]
	s_cbranch_execz .LBB270_593
; %bb.590:                              ;   in Loop: Header=BB270_414 Depth=1
	v_and_b32_e32 v49, 0x7f, v10
	v_cmp_ne_u32_e64 s[0:1], s25, v49
	v_mov_b32_e32 v48, 0x7c01
	s_and_saveexec_b64 s[18:19], s[0:1]
	s_cbranch_execz .LBB270_592
; %bb.591:                              ;   in Loop: Header=BB270_414 Depth=1
	v_and_b32_e32 v48, 7, v10
	v_ffbh_u32_e32 v50, v48
	v_min_u32_e32 v53, 32, v50
	v_subrev_u32_e32 v50, 28, v53
	v_lshlrev_b64 v[50:51], v50, v[1:2]
	v_lshrrev_b32_e32 v52, 3, v49
	v_sub_u32_e32 v51, 29, v53
	v_cmp_gt_u32_e64 s[0:1], 8, v49
	v_cndmask_b32_e64 v49, v52, v51, s[0:1]
	v_lshl_add_u32 v49, v49, 10, v12
	v_lshlrev_b32_e32 v51, 8, v10
	v_and_b32_e32 v50, 7, v50
	v_and_b32_e32 v49, 0xfc00, v49
	v_cndmask_b32_e64 v48, v48, v50, s[0:1]
	v_and_or_b32 v49, v51, s26, v49
	v_lshl_or_b32 v48, v48, 7, v49
.LBB270_592:                            ;   in Loop: Header=BB270_414 Depth=1
	s_or_b64 exec, exec, s[18:19]
.LBB270_593:                            ;   in Loop: Header=BB270_414 Depth=1
	s_or_b64 exec, exec, s[16:17]
.LBB270_594:                            ;   in Loop: Header=BB270_414 Depth=1
	s_or_b64 exec, exec, s[12:13]
	v_lshrrev_b16_e32 v1, 8, v1
	v_cmp_ne_u16_e64 s[0:1], 0, v1
	v_mov_b32_e32 v49, 0
	s_and_saveexec_b64 s[12:13], s[0:1]
	s_cbranch_execz .LBB270_600
; %bb.595:                              ;   in Loop: Header=BB270_414 Depth=1
	v_cmp_ne_u16_e64 s[0:1], s24, v1
	v_bfrev_b32_e32 v49, 1
	s_and_saveexec_b64 s[16:17], s[0:1]
	s_cbranch_execz .LBB270_599
; %bb.596:                              ;   in Loop: Header=BB270_414 Depth=1
	v_and_b32_e32 v50, 0x7f, v1
	v_cmp_ne_u32_e64 s[0:1], s25, v50
	v_mov_b32_e32 v49, 0x7c010000
	s_and_saveexec_b64 s[18:19], s[0:1]
	s_cbranch_execz .LBB270_598
; %bb.597:                              ;   in Loop: Header=BB270_414 Depth=1
	v_and_b32_e32 v49, 7, v1
	v_ffbh_u32_e32 v51, v49
	v_min_u32_e32 v54, 32, v51
	v_subrev_u32_e32 v51, 28, v54
	v_lshlrev_b64 v[51:52], v51, v[1:2]
	v_lshrrev_b32_e32 v53, 3, v50
	v_sub_u32_e32 v52, 29, v54
	v_cmp_gt_u32_e64 s[0:1], 8, v50
	v_cndmask_b32_e64 v50, v53, v52, s[0:1]
	v_lshlrev_b32_e32 v1, 8, v1
	v_lshl_add_u32 v50, v50, 10, v12
	v_and_b32_e32 v51, 7, v51
	v_and_or_b32 v1, v1, s26, v50
	v_cndmask_b32_e64 v49, v49, v51, s[0:1]
	v_lshlrev_b32_e32 v1, 16, v1
	v_lshl_or_b32 v49, v49, 23, v1
.LBB270_598:                            ;   in Loop: Header=BB270_414 Depth=1
	s_or_b64 exec, exec, s[18:19]
.LBB270_599:                            ;   in Loop: Header=BB270_414 Depth=1
	s_or_b64 exec, exec, s[16:17]
.LBB270_600:                            ;   in Loop: Header=BB270_414 Depth=1
	s_or_b64 exec, exec, s[12:13]
	v_lshrrev_b32_e32 v1, 16, v10
	v_cmp_ne_u16_sdwa s[0:1], v1, v2 src0_sel:BYTE_0 src1_sel:DWORD
	s_and_saveexec_b64 s[12:13], s[0:1]
	s_cbranch_execz .LBB270_606
; %bb.601:                              ;   in Loop: Header=BB270_414 Depth=1
	v_cmp_ne_u16_sdwa s[0:1], v1, s24 src0_sel:BYTE_0 src1_sel:DWORD
	v_mov_b32_e32 v47, 0x8000
	s_and_saveexec_b64 s[16:17], s[0:1]
	s_cbranch_execz .LBB270_605
; %bb.602:                              ;   in Loop: Header=BB270_414 Depth=1
	v_bfe_u32 v50, v10, 16, 7
	v_cmp_ne_u32_e64 s[0:1], s25, v50
	v_mov_b32_e32 v47, 0x7c01
	s_and_saveexec_b64 s[18:19], s[0:1]
	s_cbranch_execz .LBB270_604
; %bb.603:                              ;   in Loop: Header=BB270_414 Depth=1
	v_and_b32_e32 v47, 7, v1
	v_ffbh_u32_e32 v51, v47
	v_min_u32_e32 v54, 32, v51
	v_subrev_u32_e32 v51, 28, v54
	v_lshlrev_b64 v[51:52], v51, v[1:2]
	v_lshrrev_b32_e32 v53, 3, v50
	v_sub_u32_e32 v52, 29, v54
	v_cmp_gt_u32_e64 s[0:1], 8, v50
	v_cndmask_b32_e64 v50, v53, v52, s[0:1]
	v_lshl_add_u32 v50, v50, 10, v12
	v_lshlrev_b32_e32 v1, 8, v1
	v_and_b32_e32 v51, 7, v51
	v_and_b32_e32 v50, 0xfc00, v50
	v_cndmask_b32_e64 v47, v47, v51, s[0:1]
	v_and_or_b32 v1, v1, s26, v50
	v_lshl_or_b32 v47, v47, 7, v1
.LBB270_604:                            ;   in Loop: Header=BB270_414 Depth=1
	s_or_b64 exec, exec, s[18:19]
.LBB270_605:                            ;   in Loop: Header=BB270_414 Depth=1
	s_or_b64 exec, exec, s[16:17]
.LBB270_606:                            ;   in Loop: Header=BB270_414 Depth=1
	s_or_b64 exec, exec, s[12:13]
	v_cmp_lt_u64_e64 s[0:1], s[4:5], v[9:10]
	v_mov_b32_e32 v9, 0
	s_and_saveexec_b64 s[12:13], s[0:1]
	s_cbranch_execz .LBB270_612
; %bb.607:                              ;   in Loop: Header=BB270_414 Depth=1
	v_lshrrev_b32_e32 v1, 24, v10
	v_cmp_ne_u32_e64 s[0:1], s24, v1
	v_bfrev_b32_e32 v9, 1
	s_and_saveexec_b64 s[16:17], s[0:1]
	s_cbranch_execz .LBB270_611
; %bb.608:                              ;   in Loop: Header=BB270_414 Depth=1
	v_and_b32_e32 v10, 0x7f, v1
	v_cmp_ne_u32_e64 s[0:1], s25, v10
	v_mov_b32_e32 v9, 0x7c010000
	s_and_saveexec_b64 s[18:19], s[0:1]
	s_cbranch_execz .LBB270_610
; %bb.609:                              ;   in Loop: Header=BB270_414 Depth=1
	v_and_b32_e32 v9, 7, v1
	v_ffbh_u32_e32 v50, v9
	v_min_u32_e32 v53, 32, v50
	v_subrev_u32_e32 v50, 28, v53
	v_lshlrev_b64 v[50:51], v50, v[1:2]
	v_lshrrev_b32_e32 v52, 3, v10
	v_sub_u32_e32 v51, 29, v53
	v_cmp_gt_u32_e64 s[0:1], 8, v10
	v_cndmask_b32_e64 v10, v52, v51, s[0:1]
	v_lshlrev_b32_e32 v1, 8, v1
	v_lshl_add_u32 v10, v10, 10, v12
	v_and_b32_e32 v50, 7, v50
	v_and_or_b32 v1, v1, s26, v10
	v_cndmask_b32_e64 v9, v9, v50, s[0:1]
	v_lshlrev_b32_e32 v1, 16, v1
	v_lshl_or_b32 v9, v9, 23, v1
.LBB270_610:                            ;   in Loop: Header=BB270_414 Depth=1
	s_or_b64 exec, exec, s[18:19]
.LBB270_611:                            ;   in Loop: Header=BB270_414 Depth=1
	s_or_b64 exec, exec, s[16:17]
.LBB270_612:                            ;   in Loop: Header=BB270_414 Depth=1
	s_or_b64 exec, exec, s[12:13]
	s_waitcnt vmcnt(0)
	v_fma_mixlo_f16 v10, v0, v45, 0 op_sel:[0,1,0] op_sel_hi:[0,1,0]
	v_or_b32_e32 v1, v45, v46
	v_lshlrev_b32_e32 v45, 16, v10
	v_or_b32_e32 v10, v11, v44
	v_fma_mixlo_f16 v11, v0, v11, 0 op_sel:[0,1,0] op_sel_hi:[0,1,0]
	v_lshlrev_b32_e32 v50, 16, v11
	v_or_b32_e32 v11, v49, v48
	v_or_b32_e32 v47, v9, v47
	v_fma_mixlo_f16 v1, v0, v1, 0 op_sel_hi:[0,1,0]
	v_fma_mixlo_f16 v10, v0, v10, 0 op_sel_hi:[0,1,0]
	v_fma_mixlo_f16 v44, v0, v49, 0 op_sel:[0,1,0] op_sel_hi:[0,1,0]
	v_fma_mixlo_f16 v11, v0, v11, 0 op_sel_hi:[0,1,0]
	v_fma_mixlo_f16 v47, v0, v47, 0 op_sel_hi:[0,1,0]
	v_fma_mixlo_f16 v0, v0, v9, 0 op_sel:[0,1,0] op_sel_hi:[0,1,0]
	v_and_b32_e32 v46, 0xffff, v1
	v_and_b32_e32 v51, 0xffff, v10
	v_lshlrev_b32_e32 v44, 16, v44
	v_and_b32_e32 v48, 0xffff, v11
	v_lshlrev_b32_e32 v0, 16, v0
	v_and_b32_e32 v9, 0xffff, v47
	v_or_b32_e32 v1, v45, v46
	v_or_b32_e32 v10, v50, v51
	;; [unrolled: 1-line block ×4, first 2 shown]
	s_and_saveexec_b64 s[12:13], vcc
	s_cbranch_execz .LBB270_614
; %bb.613:                              ;   in Loop: Header=BB270_414 Depth=1
	v_cmp_gt_i32_e64 s[0:1], s30, v27
	v_cndmask_b32_e64 v1, 0, v51, s[0:1]
	v_cmp_gt_i32_e64 s[0:1], s30, v33
	v_cndmask_b32_e64 v10, 0, v50, s[0:1]
	v_cmp_gt_i32_e64 s[0:1], s30, v32
	v_or_b32_e32 v10, v10, v1
	v_cndmask_b32_e64 v1, 0, v46, s[0:1]
	v_cmp_gt_i32_e64 s[0:1], s30, v31
	v_cndmask_b32_e64 v11, 0, v45, s[0:1]
	v_cmp_gt_i32_e64 s[0:1], s30, v30
	v_or_b32_e32 v1, v11, v1
	v_cndmask_b32_e64 v11, 0, v48, s[0:1]
	v_cmp_gt_i32_e64 s[0:1], s30, v29
	v_cndmask_b32_e64 v44, 0, v44, s[0:1]
	v_cmp_gt_i32_e64 s[0:1], s30, v28
	;; [unrolled: 2-line block ×3, first 2 shown]
	v_cndmask_b32_e64 v0, 0, v0, s[0:1]
	v_or_b32_e32 v11, v44, v11
	v_or_b32_e32 v47, v0, v9
.LBB270_614:                            ;   in Loop: Header=BB270_414 Depth=1
	s_or_b64 exec, exec, s[12:13]
	;;#ASMSTART
	v_pk_mul_f16 v0, v34, v10;

	;;#ASMEND
	;;#ASMSTART
	v_pk_mul_f16 v1, v35, v1;

	;;#ASMEND
	;; [unrolled: 4-line block ×4, first 2 shown]
	;;#ASMSTART
	v_pk_add_f16 v0, v0, v1;

	;;#ASMEND
	;;#ASMSTART
	v_pk_add_f16 v0, v0, v9;

	;;#ASMEND
	;; [unrolled: 4-line block ×3, first 2 shown]
	v_lshrrev_b32_e32 v1, 16, v0
	v_and_b32_e32 v0, 0xffff, v0
	;;#ASMSTART
	v_cvt_f32_f16 v44, v0;
	;;#ASMEND
	;;#ASMSTART
	v_cvt_f32_f16 v45, v1;
	;;#ASMEND
	global_load_dwordx2 v[9:10], v[7:8], off offset:2048
	v_mov_b32_e32 v11, 0
	global_load_dword v0, v11, s[14:15]
	v_mov_b32_e32 v46, 0
	s_waitcnt vmcnt(1)
	v_cmp_ne_u16_sdwa s[0:1], v9, v2 src0_sel:BYTE_0 src1_sel:DWORD
	s_and_saveexec_b64 s[12:13], s[0:1]
	s_cbranch_execz .LBB270_620
; %bb.615:                              ;   in Loop: Header=BB270_414 Depth=1
	v_cmp_ne_u16_sdwa s[0:1], v9, s24 src0_sel:BYTE_0 src1_sel:DWORD
	v_mov_b32_e32 v46, 0x8000
	s_and_saveexec_b64 s[16:17], s[0:1]
	s_cbranch_execz .LBB270_619
; %bb.616:                              ;   in Loop: Header=BB270_414 Depth=1
	v_and_b32_e32 v1, 0x7f, v9
	v_cmp_ne_u32_e64 s[0:1], s25, v1
	v_mov_b32_e32 v46, 0x7c01
	s_and_saveexec_b64 s[18:19], s[0:1]
	s_cbranch_execz .LBB270_618
; %bb.617:                              ;   in Loop: Header=BB270_414 Depth=1
	v_and_b32_e32 v48, 7, v9
	v_ffbh_u32_e32 v46, v48
	v_min_u32_e32 v50, 32, v46
	v_subrev_u32_e32 v46, 28, v50
	v_lshlrev_b64 v[46:47], v46, v[9:10]
	v_lshrrev_b32_e32 v49, 3, v1
	v_sub_u32_e32 v47, 29, v50
	v_cmp_gt_u32_e64 s[0:1], 8, v1
	v_cndmask_b32_e64 v1, v49, v47, s[0:1]
	v_lshl_add_u32 v1, v1, 10, v12
	v_lshlrev_b32_e32 v47, 8, v9
	v_and_b32_e32 v46, 7, v46
	v_and_b32_e32 v1, 0xfc00, v1
	v_cndmask_b32_e64 v46, v48, v46, s[0:1]
	v_and_or_b32 v1, v47, s26, v1
	v_lshl_or_b32 v46, v46, 7, v1
.LBB270_618:                            ;   in Loop: Header=BB270_414 Depth=1
	s_or_b64 exec, exec, s[18:19]
.LBB270_619:                            ;   in Loop: Header=BB270_414 Depth=1
	s_or_b64 exec, exec, s[16:17]
.LBB270_620:                            ;   in Loop: Header=BB270_414 Depth=1
	s_or_b64 exec, exec, s[12:13]
	v_lshrrev_b16_e32 v1, 8, v9
	v_cmp_ne_u16_e64 s[0:1], 0, v1
	s_and_saveexec_b64 s[12:13], s[0:1]
	s_cbranch_execz .LBB270_626
; %bb.621:                              ;   in Loop: Header=BB270_414 Depth=1
	v_cmp_ne_u16_e64 s[0:1], s24, v1
	v_bfrev_b32_e32 v11, 1
	s_and_saveexec_b64 s[16:17], s[0:1]
	s_cbranch_execz .LBB270_625
; %bb.622:                              ;   in Loop: Header=BB270_414 Depth=1
	v_and_b32_e32 v47, 0x7f, v1
	v_cmp_ne_u32_e64 s[0:1], s25, v47
	v_mov_b32_e32 v11, 0x7c010000
	s_and_saveexec_b64 s[18:19], s[0:1]
	s_cbranch_execz .LBB270_624
; %bb.623:                              ;   in Loop: Header=BB270_414 Depth=1
	v_and_b32_e32 v11, 7, v1
	v_ffbh_u32_e32 v48, v11
	v_min_u32_e32 v51, 32, v48
	v_subrev_u32_e32 v48, 28, v51
	v_lshlrev_b64 v[48:49], v48, v[1:2]
	v_lshrrev_b32_e32 v50, 3, v47
	v_sub_u32_e32 v49, 29, v51
	v_cmp_gt_u32_e64 s[0:1], 8, v47
	v_cndmask_b32_e64 v47, v50, v49, s[0:1]
	v_lshlrev_b32_e32 v1, 8, v1
	v_lshl_add_u32 v47, v47, 10, v12
	v_and_b32_e32 v48, 7, v48
	v_and_or_b32 v1, v1, s26, v47
	v_cndmask_b32_e64 v11, v11, v48, s[0:1]
	v_lshlrev_b32_e32 v1, 16, v1
	v_lshl_or_b32 v11, v11, 23, v1
.LBB270_624:                            ;   in Loop: Header=BB270_414 Depth=1
	s_or_b64 exec, exec, s[18:19]
.LBB270_625:                            ;   in Loop: Header=BB270_414 Depth=1
	s_or_b64 exec, exec, s[16:17]
.LBB270_626:                            ;   in Loop: Header=BB270_414 Depth=1
	s_or_b64 exec, exec, s[12:13]
	v_lshrrev_b32_e32 v1, 16, v9
	v_cmp_ne_u16_sdwa s[0:1], v1, v2 src0_sel:BYTE_0 src1_sel:DWORD
	v_mov_b32_e32 v47, 0
	v_mov_b32_e32 v48, 0
	s_and_saveexec_b64 s[12:13], s[0:1]
	s_cbranch_execz .LBB270_632
; %bb.627:                              ;   in Loop: Header=BB270_414 Depth=1
	v_cmp_ne_u16_sdwa s[0:1], v1, s24 src0_sel:BYTE_0 src1_sel:DWORD
	v_mov_b32_e32 v48, 0x8000
	s_and_saveexec_b64 s[16:17], s[0:1]
	s_cbranch_execz .LBB270_631
; %bb.628:                              ;   in Loop: Header=BB270_414 Depth=1
	v_bfe_u32 v49, v9, 16, 7
	v_cmp_ne_u32_e64 s[0:1], s25, v49
	v_mov_b32_e32 v48, 0x7c01
	s_and_saveexec_b64 s[18:19], s[0:1]
	s_cbranch_execz .LBB270_630
; %bb.629:                              ;   in Loop: Header=BB270_414 Depth=1
	v_and_b32_e32 v48, 7, v1
	v_ffbh_u32_e32 v50, v48
	v_min_u32_e32 v53, 32, v50
	v_subrev_u32_e32 v50, 28, v53
	v_lshlrev_b64 v[50:51], v50, v[1:2]
	v_lshrrev_b32_e32 v52, 3, v49
	v_sub_u32_e32 v51, 29, v53
	v_cmp_gt_u32_e64 s[0:1], 8, v49
	v_cndmask_b32_e64 v49, v52, v51, s[0:1]
	v_lshl_add_u32 v49, v49, 10, v12
	v_lshlrev_b32_e32 v1, 8, v1
	v_and_b32_e32 v50, 7, v50
	v_and_b32_e32 v49, 0xfc00, v49
	v_cndmask_b32_e64 v48, v48, v50, s[0:1]
	v_and_or_b32 v1, v1, s26, v49
	v_lshl_or_b32 v48, v48, 7, v1
.LBB270_630:                            ;   in Loop: Header=BB270_414 Depth=1
	s_or_b64 exec, exec, s[18:19]
.LBB270_631:                            ;   in Loop: Header=BB270_414 Depth=1
	s_or_b64 exec, exec, s[16:17]
.LBB270_632:                            ;   in Loop: Header=BB270_414 Depth=1
	s_or_b64 exec, exec, s[12:13]
	v_cmp_lt_u32_e64 s[0:1], s5, v9
	s_and_saveexec_b64 s[12:13], s[0:1]
	s_cbranch_execz .LBB270_638
; %bb.633:                              ;   in Loop: Header=BB270_414 Depth=1
	v_lshrrev_b32_e32 v1, 24, v9
	v_cmp_ne_u32_e64 s[0:1], s24, v1
	v_bfrev_b32_e32 v47, 1
	s_and_saveexec_b64 s[16:17], s[0:1]
	s_cbranch_execz .LBB270_637
; %bb.634:                              ;   in Loop: Header=BB270_414 Depth=1
	v_and_b32_e32 v49, 0x7f, v1
	v_cmp_ne_u32_e64 s[0:1], s25, v49
	v_mov_b32_e32 v47, 0x7c010000
	s_and_saveexec_b64 s[18:19], s[0:1]
	s_cbranch_execz .LBB270_636
; %bb.635:                              ;   in Loop: Header=BB270_414 Depth=1
	v_and_b32_e32 v47, 7, v1
	v_ffbh_u32_e32 v50, v47
	v_min_u32_e32 v53, 32, v50
	v_subrev_u32_e32 v50, 28, v53
	v_lshlrev_b64 v[50:51], v50, v[1:2]
	v_lshrrev_b32_e32 v52, 3, v49
	v_sub_u32_e32 v51, 29, v53
	v_cmp_gt_u32_e64 s[0:1], 8, v49
	v_cndmask_b32_e64 v49, v52, v51, s[0:1]
	v_lshlrev_b32_e32 v1, 8, v1
	v_lshl_add_u32 v49, v49, 10, v12
	v_and_b32_e32 v50, 7, v50
	v_and_or_b32 v1, v1, s26, v49
	v_cndmask_b32_e64 v47, v47, v50, s[0:1]
	v_lshlrev_b32_e32 v1, 16, v1
	v_lshl_or_b32 v47, v47, 23, v1
.LBB270_636:                            ;   in Loop: Header=BB270_414 Depth=1
	s_or_b64 exec, exec, s[18:19]
.LBB270_637:                            ;   in Loop: Header=BB270_414 Depth=1
	s_or_b64 exec, exec, s[16:17]
.LBB270_638:                            ;   in Loop: Header=BB270_414 Depth=1
	s_or_b64 exec, exec, s[12:13]
	v_mov_b32_e32 v1, v10
	v_cmp_ne_u16_sdwa s[0:1], v10, v2 src0_sel:BYTE_0 src1_sel:DWORD
	v_mov_b32_e32 v49, 0
	v_mov_b32_e32 v50, 0
	s_and_saveexec_b64 s[12:13], s[0:1]
	s_cbranch_execz .LBB270_644
; %bb.639:                              ;   in Loop: Header=BB270_414 Depth=1
	v_cmp_ne_u16_sdwa s[0:1], v10, s24 src0_sel:BYTE_0 src1_sel:DWORD
	v_mov_b32_e32 v50, 0x8000
	s_and_saveexec_b64 s[16:17], s[0:1]
	s_cbranch_execz .LBB270_643
; %bb.640:                              ;   in Loop: Header=BB270_414 Depth=1
	v_and_b32_e32 v51, 0x7f, v10
	v_cmp_ne_u32_e64 s[0:1], s25, v51
	v_mov_b32_e32 v50, 0x7c01
	s_and_saveexec_b64 s[18:19], s[0:1]
	s_cbranch_execz .LBB270_642
; %bb.641:                              ;   in Loop: Header=BB270_414 Depth=1
	v_and_b32_e32 v50, 7, v10
	v_ffbh_u32_e32 v52, v50
	v_min_u32_e32 v55, 32, v52
	v_subrev_u32_e32 v52, 28, v55
	v_lshlrev_b64 v[52:53], v52, v[1:2]
	v_lshrrev_b32_e32 v54, 3, v51
	v_sub_u32_e32 v53, 29, v55
	v_cmp_gt_u32_e64 s[0:1], 8, v51
	v_cndmask_b32_e64 v51, v54, v53, s[0:1]
	v_lshl_add_u32 v51, v51, 10, v12
	v_lshlrev_b32_e32 v53, 8, v10
	v_and_b32_e32 v52, 7, v52
	v_and_b32_e32 v51, 0xfc00, v51
	v_cndmask_b32_e64 v50, v50, v52, s[0:1]
	v_and_or_b32 v51, v53, s26, v51
	v_lshl_or_b32 v50, v50, 7, v51
.LBB270_642:                            ;   in Loop: Header=BB270_414 Depth=1
	s_or_b64 exec, exec, s[18:19]
.LBB270_643:                            ;   in Loop: Header=BB270_414 Depth=1
	s_or_b64 exec, exec, s[16:17]
.LBB270_644:                            ;   in Loop: Header=BB270_414 Depth=1
	s_or_b64 exec, exec, s[12:13]
	v_lshrrev_b16_e32 v1, 8, v1
	v_cmp_ne_u16_e64 s[0:1], 0, v1
	v_mov_b32_e32 v51, 0
	s_and_saveexec_b64 s[12:13], s[0:1]
	s_cbranch_execz .LBB270_650
; %bb.645:                              ;   in Loop: Header=BB270_414 Depth=1
	v_cmp_ne_u16_e64 s[0:1], s24, v1
	v_bfrev_b32_e32 v51, 1
	s_and_saveexec_b64 s[16:17], s[0:1]
	s_cbranch_execz .LBB270_649
; %bb.646:                              ;   in Loop: Header=BB270_414 Depth=1
	v_and_b32_e32 v52, 0x7f, v1
	v_cmp_ne_u32_e64 s[0:1], s25, v52
	v_mov_b32_e32 v51, 0x7c010000
	s_and_saveexec_b64 s[18:19], s[0:1]
	s_cbranch_execz .LBB270_648
; %bb.647:                              ;   in Loop: Header=BB270_414 Depth=1
	v_and_b32_e32 v51, 7, v1
	v_ffbh_u32_e32 v53, v51
	v_min_u32_e32 v56, 32, v53
	v_subrev_u32_e32 v53, 28, v56
	v_lshlrev_b64 v[53:54], v53, v[1:2]
	v_lshrrev_b32_e32 v55, 3, v52
	v_sub_u32_e32 v54, 29, v56
	v_cmp_gt_u32_e64 s[0:1], 8, v52
	v_cndmask_b32_e64 v52, v55, v54, s[0:1]
	v_lshlrev_b32_e32 v1, 8, v1
	v_lshl_add_u32 v52, v52, 10, v12
	v_and_b32_e32 v53, 7, v53
	v_and_or_b32 v1, v1, s26, v52
	v_cndmask_b32_e64 v51, v51, v53, s[0:1]
	v_lshlrev_b32_e32 v1, 16, v1
	v_lshl_or_b32 v51, v51, 23, v1
.LBB270_648:                            ;   in Loop: Header=BB270_414 Depth=1
	s_or_b64 exec, exec, s[18:19]
.LBB270_649:                            ;   in Loop: Header=BB270_414 Depth=1
	s_or_b64 exec, exec, s[16:17]
.LBB270_650:                            ;   in Loop: Header=BB270_414 Depth=1
	s_or_b64 exec, exec, s[12:13]
	v_lshrrev_b32_e32 v1, 16, v10
	v_cmp_ne_u16_sdwa s[0:1], v1, v2 src0_sel:BYTE_0 src1_sel:DWORD
	s_and_saveexec_b64 s[12:13], s[0:1]
	s_cbranch_execz .LBB270_656
; %bb.651:                              ;   in Loop: Header=BB270_414 Depth=1
	v_cmp_ne_u16_sdwa s[0:1], v1, s24 src0_sel:BYTE_0 src1_sel:DWORD
	v_mov_b32_e32 v49, 0x8000
	s_and_saveexec_b64 s[16:17], s[0:1]
	s_cbranch_execz .LBB270_655
; %bb.652:                              ;   in Loop: Header=BB270_414 Depth=1
	v_bfe_u32 v52, v10, 16, 7
	v_cmp_ne_u32_e64 s[0:1], s25, v52
	v_mov_b32_e32 v49, 0x7c01
	s_and_saveexec_b64 s[18:19], s[0:1]
	s_cbranch_execz .LBB270_654
; %bb.653:                              ;   in Loop: Header=BB270_414 Depth=1
	v_and_b32_e32 v49, 7, v1
	v_ffbh_u32_e32 v53, v49
	v_min_u32_e32 v56, 32, v53
	v_subrev_u32_e32 v53, 28, v56
	v_lshlrev_b64 v[53:54], v53, v[1:2]
	v_lshrrev_b32_e32 v55, 3, v52
	v_sub_u32_e32 v54, 29, v56
	v_cmp_gt_u32_e64 s[0:1], 8, v52
	v_cndmask_b32_e64 v52, v55, v54, s[0:1]
	v_lshl_add_u32 v52, v52, 10, v12
	v_lshlrev_b32_e32 v1, 8, v1
	v_and_b32_e32 v53, 7, v53
	v_and_b32_e32 v52, 0xfc00, v52
	v_cndmask_b32_e64 v49, v49, v53, s[0:1]
	v_and_or_b32 v1, v1, s26, v52
	v_lshl_or_b32 v49, v49, 7, v1
.LBB270_654:                            ;   in Loop: Header=BB270_414 Depth=1
	s_or_b64 exec, exec, s[18:19]
.LBB270_655:                            ;   in Loop: Header=BB270_414 Depth=1
	s_or_b64 exec, exec, s[16:17]
.LBB270_656:                            ;   in Loop: Header=BB270_414 Depth=1
	s_or_b64 exec, exec, s[12:13]
	v_cmp_lt_u64_e64 s[0:1], s[4:5], v[9:10]
	v_mov_b32_e32 v9, 0
	s_and_saveexec_b64 s[12:13], s[0:1]
	s_cbranch_execz .LBB270_662
; %bb.657:                              ;   in Loop: Header=BB270_414 Depth=1
	v_lshrrev_b32_e32 v1, 24, v10
	v_cmp_ne_u32_e64 s[0:1], s24, v1
	v_bfrev_b32_e32 v9, 1
	s_and_saveexec_b64 s[16:17], s[0:1]
	s_cbranch_execz .LBB270_661
; %bb.658:                              ;   in Loop: Header=BB270_414 Depth=1
	v_and_b32_e32 v10, 0x7f, v1
	v_cmp_ne_u32_e64 s[0:1], s25, v10
	v_mov_b32_e32 v9, 0x7c010000
	s_and_saveexec_b64 s[18:19], s[0:1]
	s_cbranch_execz .LBB270_660
; %bb.659:                              ;   in Loop: Header=BB270_414 Depth=1
	v_and_b32_e32 v9, 7, v1
	v_ffbh_u32_e32 v52, v9
	v_min_u32_e32 v55, 32, v52
	v_subrev_u32_e32 v52, 28, v55
	v_lshlrev_b64 v[52:53], v52, v[1:2]
	v_lshrrev_b32_e32 v54, 3, v10
	v_sub_u32_e32 v53, 29, v55
	v_cmp_gt_u32_e64 s[0:1], 8, v10
	v_cndmask_b32_e64 v10, v54, v53, s[0:1]
	v_lshlrev_b32_e32 v1, 8, v1
	v_lshl_add_u32 v10, v10, 10, v12
	v_and_b32_e32 v52, 7, v52
	v_and_or_b32 v1, v1, s26, v10
	v_cndmask_b32_e64 v9, v9, v52, s[0:1]
	v_lshlrev_b32_e32 v1, 16, v1
	v_lshl_or_b32 v9, v9, 23, v1
.LBB270_660:                            ;   in Loop: Header=BB270_414 Depth=1
	s_or_b64 exec, exec, s[18:19]
.LBB270_661:                            ;   in Loop: Header=BB270_414 Depth=1
	s_or_b64 exec, exec, s[16:17]
.LBB270_662:                            ;   in Loop: Header=BB270_414 Depth=1
	s_or_b64 exec, exec, s[12:13]
	s_waitcnt vmcnt(0)
	v_fma_mixlo_f16 v10, v0, v47, 0 op_sel:[0,1,0] op_sel_hi:[0,1,0]
	v_or_b32_e32 v1, v47, v48
	v_lshlrev_b32_e32 v47, 16, v10
	v_or_b32_e32 v10, v11, v46
	v_fma_mixlo_f16 v11, v0, v11, 0 op_sel:[0,1,0] op_sel_hi:[0,1,0]
	v_lshlrev_b32_e32 v52, 16, v11
	v_or_b32_e32 v11, v51, v50
	v_or_b32_e32 v49, v9, v49
	v_fma_mixlo_f16 v1, v0, v1, 0 op_sel_hi:[0,1,0]
	v_fma_mixlo_f16 v10, v0, v10, 0 op_sel_hi:[0,1,0]
	v_fma_mixlo_f16 v46, v0, v51, 0 op_sel:[0,1,0] op_sel_hi:[0,1,0]
	v_fma_mixlo_f16 v11, v0, v11, 0 op_sel_hi:[0,1,0]
	v_fma_mixlo_f16 v49, v0, v49, 0 op_sel_hi:[0,1,0]
	v_fma_mixlo_f16 v0, v0, v9, 0 op_sel:[0,1,0] op_sel_hi:[0,1,0]
	v_and_b32_e32 v48, 0xffff, v1
	v_and_b32_e32 v53, 0xffff, v10
	v_lshlrev_b32_e32 v46, 16, v46
	v_and_b32_e32 v50, 0xffff, v11
	v_lshlrev_b32_e32 v0, 16, v0
	v_and_b32_e32 v9, 0xffff, v49
	v_or_b32_e32 v1, v47, v48
	v_or_b32_e32 v10, v52, v53
	;; [unrolled: 1-line block ×4, first 2 shown]
	s_and_saveexec_b64 s[12:13], vcc
	s_cbranch_execz .LBB270_664
; %bb.663:                              ;   in Loop: Header=BB270_414 Depth=1
	v_cmp_gt_i32_e64 s[0:1], s30, v27
	v_cndmask_b32_e64 v1, 0, v53, s[0:1]
	v_cmp_gt_i32_e64 s[0:1], s30, v33
	v_cndmask_b32_e64 v10, 0, v52, s[0:1]
	v_cmp_gt_i32_e64 s[0:1], s30, v32
	v_or_b32_e32 v10, v10, v1
	v_cndmask_b32_e64 v1, 0, v48, s[0:1]
	v_cmp_gt_i32_e64 s[0:1], s30, v31
	v_cndmask_b32_e64 v11, 0, v47, s[0:1]
	v_cmp_gt_i32_e64 s[0:1], s30, v30
	v_or_b32_e32 v1, v11, v1
	v_cndmask_b32_e64 v11, 0, v50, s[0:1]
	v_cmp_gt_i32_e64 s[0:1], s30, v29
	v_cndmask_b32_e64 v46, 0, v46, s[0:1]
	v_cmp_gt_i32_e64 s[0:1], s30, v28
	;; [unrolled: 2-line block ×3, first 2 shown]
	v_cndmask_b32_e64 v0, 0, v0, s[0:1]
	v_or_b32_e32 v11, v46, v11
	v_or_b32_e32 v49, v0, v9
.LBB270_664:                            ;   in Loop: Header=BB270_414 Depth=1
	s_or_b64 exec, exec, s[12:13]
	;;#ASMSTART
	v_pk_mul_f16 v0, v34, v10;

	;;#ASMEND
	;;#ASMSTART
	v_pk_mul_f16 v1, v35, v1;

	;;#ASMEND
	;; [unrolled: 4-line block ×4, first 2 shown]
	;;#ASMSTART
	v_pk_add_f16 v0, v0, v1;

	;;#ASMEND
	;;#ASMSTART
	v_pk_add_f16 v0, v0, v9;

	;;#ASMEND
	;; [unrolled: 4-line block ×3, first 2 shown]
	v_lshrrev_b32_e32 v1, 16, v0
	v_and_b32_e32 v0, 0xffff, v0
	;;#ASMSTART
	v_cvt_f32_f16 v46, v0;
	;;#ASMEND
	;;#ASMSTART
	v_cvt_f32_f16 v47, v1;
	;;#ASMEND
	global_load_dwordx2 v[9:10], v[7:8], off offset:2560
	v_mov_b32_e32 v11, 0
	global_load_dword v0, v11, s[14:15]
	v_mov_b32_e32 v48, 0
	s_waitcnt vmcnt(1)
	v_cmp_ne_u16_sdwa s[0:1], v9, v2 src0_sel:BYTE_0 src1_sel:DWORD
	s_and_saveexec_b64 s[12:13], s[0:1]
	s_cbranch_execz .LBB270_670
; %bb.665:                              ;   in Loop: Header=BB270_414 Depth=1
	v_cmp_ne_u16_sdwa s[0:1], v9, s24 src0_sel:BYTE_0 src1_sel:DWORD
	v_mov_b32_e32 v48, 0x8000
	s_and_saveexec_b64 s[16:17], s[0:1]
	s_cbranch_execz .LBB270_669
; %bb.666:                              ;   in Loop: Header=BB270_414 Depth=1
	v_and_b32_e32 v1, 0x7f, v9
	v_cmp_ne_u32_e64 s[0:1], s25, v1
	v_mov_b32_e32 v48, 0x7c01
	s_and_saveexec_b64 s[18:19], s[0:1]
	s_cbranch_execz .LBB270_668
; %bb.667:                              ;   in Loop: Header=BB270_414 Depth=1
	v_and_b32_e32 v50, 7, v9
	v_ffbh_u32_e32 v48, v50
	v_min_u32_e32 v52, 32, v48
	v_subrev_u32_e32 v48, 28, v52
	v_lshlrev_b64 v[48:49], v48, v[9:10]
	v_lshrrev_b32_e32 v51, 3, v1
	v_sub_u32_e32 v49, 29, v52
	v_cmp_gt_u32_e64 s[0:1], 8, v1
	v_cndmask_b32_e64 v1, v51, v49, s[0:1]
	v_lshl_add_u32 v1, v1, 10, v12
	v_lshlrev_b32_e32 v49, 8, v9
	v_and_b32_e32 v48, 7, v48
	v_and_b32_e32 v1, 0xfc00, v1
	v_cndmask_b32_e64 v48, v50, v48, s[0:1]
	v_and_or_b32 v1, v49, s26, v1
	v_lshl_or_b32 v48, v48, 7, v1
.LBB270_668:                            ;   in Loop: Header=BB270_414 Depth=1
	s_or_b64 exec, exec, s[18:19]
.LBB270_669:                            ;   in Loop: Header=BB270_414 Depth=1
	s_or_b64 exec, exec, s[16:17]
.LBB270_670:                            ;   in Loop: Header=BB270_414 Depth=1
	s_or_b64 exec, exec, s[12:13]
	v_lshrrev_b16_e32 v1, 8, v9
	v_cmp_ne_u16_e64 s[0:1], 0, v1
	s_and_saveexec_b64 s[12:13], s[0:1]
	s_cbranch_execz .LBB270_676
; %bb.671:                              ;   in Loop: Header=BB270_414 Depth=1
	v_cmp_ne_u16_e64 s[0:1], s24, v1
	v_bfrev_b32_e32 v11, 1
	s_and_saveexec_b64 s[16:17], s[0:1]
	s_cbranch_execz .LBB270_675
; %bb.672:                              ;   in Loop: Header=BB270_414 Depth=1
	v_and_b32_e32 v49, 0x7f, v1
	v_cmp_ne_u32_e64 s[0:1], s25, v49
	v_mov_b32_e32 v11, 0x7c010000
	s_and_saveexec_b64 s[18:19], s[0:1]
	s_cbranch_execz .LBB270_674
; %bb.673:                              ;   in Loop: Header=BB270_414 Depth=1
	v_and_b32_e32 v11, 7, v1
	v_ffbh_u32_e32 v50, v11
	v_min_u32_e32 v53, 32, v50
	v_subrev_u32_e32 v50, 28, v53
	v_lshlrev_b64 v[50:51], v50, v[1:2]
	v_lshrrev_b32_e32 v52, 3, v49
	v_sub_u32_e32 v51, 29, v53
	v_cmp_gt_u32_e64 s[0:1], 8, v49
	v_cndmask_b32_e64 v49, v52, v51, s[0:1]
	v_lshlrev_b32_e32 v1, 8, v1
	v_lshl_add_u32 v49, v49, 10, v12
	v_and_b32_e32 v50, 7, v50
	v_and_or_b32 v1, v1, s26, v49
	v_cndmask_b32_e64 v11, v11, v50, s[0:1]
	v_lshlrev_b32_e32 v1, 16, v1
	v_lshl_or_b32 v11, v11, 23, v1
.LBB270_674:                            ;   in Loop: Header=BB270_414 Depth=1
	s_or_b64 exec, exec, s[18:19]
.LBB270_675:                            ;   in Loop: Header=BB270_414 Depth=1
	s_or_b64 exec, exec, s[16:17]
.LBB270_676:                            ;   in Loop: Header=BB270_414 Depth=1
	s_or_b64 exec, exec, s[12:13]
	v_lshrrev_b32_e32 v1, 16, v9
	v_cmp_ne_u16_sdwa s[0:1], v1, v2 src0_sel:BYTE_0 src1_sel:DWORD
	v_mov_b32_e32 v49, 0
	v_mov_b32_e32 v50, 0
	s_and_saveexec_b64 s[12:13], s[0:1]
	s_cbranch_execz .LBB270_682
; %bb.677:                              ;   in Loop: Header=BB270_414 Depth=1
	v_cmp_ne_u16_sdwa s[0:1], v1, s24 src0_sel:BYTE_0 src1_sel:DWORD
	v_mov_b32_e32 v50, 0x8000
	s_and_saveexec_b64 s[16:17], s[0:1]
	s_cbranch_execz .LBB270_681
; %bb.678:                              ;   in Loop: Header=BB270_414 Depth=1
	v_bfe_u32 v51, v9, 16, 7
	v_cmp_ne_u32_e64 s[0:1], s25, v51
	v_mov_b32_e32 v50, 0x7c01
	s_and_saveexec_b64 s[18:19], s[0:1]
	s_cbranch_execz .LBB270_680
; %bb.679:                              ;   in Loop: Header=BB270_414 Depth=1
	v_and_b32_e32 v50, 7, v1
	v_ffbh_u32_e32 v52, v50
	v_min_u32_e32 v55, 32, v52
	v_subrev_u32_e32 v52, 28, v55
	v_lshlrev_b64 v[52:53], v52, v[1:2]
	v_lshrrev_b32_e32 v54, 3, v51
	v_sub_u32_e32 v53, 29, v55
	v_cmp_gt_u32_e64 s[0:1], 8, v51
	v_cndmask_b32_e64 v51, v54, v53, s[0:1]
	v_lshl_add_u32 v51, v51, 10, v12
	v_lshlrev_b32_e32 v1, 8, v1
	v_and_b32_e32 v52, 7, v52
	v_and_b32_e32 v51, 0xfc00, v51
	v_cndmask_b32_e64 v50, v50, v52, s[0:1]
	v_and_or_b32 v1, v1, s26, v51
	v_lshl_or_b32 v50, v50, 7, v1
.LBB270_680:                            ;   in Loop: Header=BB270_414 Depth=1
	s_or_b64 exec, exec, s[18:19]
.LBB270_681:                            ;   in Loop: Header=BB270_414 Depth=1
	s_or_b64 exec, exec, s[16:17]
.LBB270_682:                            ;   in Loop: Header=BB270_414 Depth=1
	s_or_b64 exec, exec, s[12:13]
	v_cmp_lt_u32_e64 s[0:1], s5, v9
	s_and_saveexec_b64 s[12:13], s[0:1]
	s_cbranch_execz .LBB270_688
; %bb.683:                              ;   in Loop: Header=BB270_414 Depth=1
	v_lshrrev_b32_e32 v1, 24, v9
	v_cmp_ne_u32_e64 s[0:1], s24, v1
	v_bfrev_b32_e32 v49, 1
	s_and_saveexec_b64 s[16:17], s[0:1]
	s_cbranch_execz .LBB270_687
; %bb.684:                              ;   in Loop: Header=BB270_414 Depth=1
	v_and_b32_e32 v51, 0x7f, v1
	v_cmp_ne_u32_e64 s[0:1], s25, v51
	v_mov_b32_e32 v49, 0x7c010000
	s_and_saveexec_b64 s[18:19], s[0:1]
	s_cbranch_execz .LBB270_686
; %bb.685:                              ;   in Loop: Header=BB270_414 Depth=1
	v_and_b32_e32 v49, 7, v1
	v_ffbh_u32_e32 v52, v49
	v_min_u32_e32 v55, 32, v52
	v_subrev_u32_e32 v52, 28, v55
	v_lshlrev_b64 v[52:53], v52, v[1:2]
	v_lshrrev_b32_e32 v54, 3, v51
	v_sub_u32_e32 v53, 29, v55
	v_cmp_gt_u32_e64 s[0:1], 8, v51
	v_cndmask_b32_e64 v51, v54, v53, s[0:1]
	v_lshlrev_b32_e32 v1, 8, v1
	v_lshl_add_u32 v51, v51, 10, v12
	v_and_b32_e32 v52, 7, v52
	v_and_or_b32 v1, v1, s26, v51
	v_cndmask_b32_e64 v49, v49, v52, s[0:1]
	v_lshlrev_b32_e32 v1, 16, v1
	v_lshl_or_b32 v49, v49, 23, v1
.LBB270_686:                            ;   in Loop: Header=BB270_414 Depth=1
	s_or_b64 exec, exec, s[18:19]
.LBB270_687:                            ;   in Loop: Header=BB270_414 Depth=1
	s_or_b64 exec, exec, s[16:17]
.LBB270_688:                            ;   in Loop: Header=BB270_414 Depth=1
	s_or_b64 exec, exec, s[12:13]
	v_mov_b32_e32 v1, v10
	v_cmp_ne_u16_sdwa s[0:1], v10, v2 src0_sel:BYTE_0 src1_sel:DWORD
	v_mov_b32_e32 v51, 0
	v_mov_b32_e32 v52, 0
	s_and_saveexec_b64 s[12:13], s[0:1]
	s_cbranch_execz .LBB270_694
; %bb.689:                              ;   in Loop: Header=BB270_414 Depth=1
	v_cmp_ne_u16_sdwa s[0:1], v10, s24 src0_sel:BYTE_0 src1_sel:DWORD
	v_mov_b32_e32 v52, 0x8000
	s_and_saveexec_b64 s[16:17], s[0:1]
	s_cbranch_execz .LBB270_693
; %bb.690:                              ;   in Loop: Header=BB270_414 Depth=1
	v_and_b32_e32 v53, 0x7f, v10
	v_cmp_ne_u32_e64 s[0:1], s25, v53
	v_mov_b32_e32 v52, 0x7c01
	s_and_saveexec_b64 s[18:19], s[0:1]
	s_cbranch_execz .LBB270_692
; %bb.691:                              ;   in Loop: Header=BB270_414 Depth=1
	v_and_b32_e32 v52, 7, v10
	v_ffbh_u32_e32 v54, v52
	v_min_u32_e32 v57, 32, v54
	v_subrev_u32_e32 v54, 28, v57
	v_lshlrev_b64 v[54:55], v54, v[1:2]
	v_lshrrev_b32_e32 v56, 3, v53
	v_sub_u32_e32 v55, 29, v57
	v_cmp_gt_u32_e64 s[0:1], 8, v53
	v_cndmask_b32_e64 v53, v56, v55, s[0:1]
	v_lshl_add_u32 v53, v53, 10, v12
	v_lshlrev_b32_e32 v55, 8, v10
	v_and_b32_e32 v54, 7, v54
	v_and_b32_e32 v53, 0xfc00, v53
	v_cndmask_b32_e64 v52, v52, v54, s[0:1]
	v_and_or_b32 v53, v55, s26, v53
	v_lshl_or_b32 v52, v52, 7, v53
.LBB270_692:                            ;   in Loop: Header=BB270_414 Depth=1
	s_or_b64 exec, exec, s[18:19]
.LBB270_693:                            ;   in Loop: Header=BB270_414 Depth=1
	s_or_b64 exec, exec, s[16:17]
.LBB270_694:                            ;   in Loop: Header=BB270_414 Depth=1
	s_or_b64 exec, exec, s[12:13]
	v_lshrrev_b16_e32 v1, 8, v1
	v_cmp_ne_u16_e64 s[0:1], 0, v1
	v_mov_b32_e32 v53, 0
	s_and_saveexec_b64 s[12:13], s[0:1]
	s_cbranch_execz .LBB270_700
; %bb.695:                              ;   in Loop: Header=BB270_414 Depth=1
	v_cmp_ne_u16_e64 s[0:1], s24, v1
	v_bfrev_b32_e32 v53, 1
	s_and_saveexec_b64 s[16:17], s[0:1]
	s_cbranch_execz .LBB270_699
; %bb.696:                              ;   in Loop: Header=BB270_414 Depth=1
	v_and_b32_e32 v54, 0x7f, v1
	v_cmp_ne_u32_e64 s[0:1], s25, v54
	v_mov_b32_e32 v53, 0x7c010000
	s_and_saveexec_b64 s[18:19], s[0:1]
	s_cbranch_execz .LBB270_698
; %bb.697:                              ;   in Loop: Header=BB270_414 Depth=1
	v_and_b32_e32 v53, 7, v1
	v_ffbh_u32_e32 v55, v53
	v_min_u32_e32 v58, 32, v55
	v_subrev_u32_e32 v55, 28, v58
	v_lshlrev_b64 v[55:56], v55, v[1:2]
	v_lshrrev_b32_e32 v57, 3, v54
	v_sub_u32_e32 v56, 29, v58
	v_cmp_gt_u32_e64 s[0:1], 8, v54
	v_cndmask_b32_e64 v54, v57, v56, s[0:1]
	v_lshlrev_b32_e32 v1, 8, v1
	v_lshl_add_u32 v54, v54, 10, v12
	v_and_b32_e32 v55, 7, v55
	v_and_or_b32 v1, v1, s26, v54
	v_cndmask_b32_e64 v53, v53, v55, s[0:1]
	v_lshlrev_b32_e32 v1, 16, v1
	v_lshl_or_b32 v53, v53, 23, v1
.LBB270_698:                            ;   in Loop: Header=BB270_414 Depth=1
	s_or_b64 exec, exec, s[18:19]
.LBB270_699:                            ;   in Loop: Header=BB270_414 Depth=1
	s_or_b64 exec, exec, s[16:17]
.LBB270_700:                            ;   in Loop: Header=BB270_414 Depth=1
	s_or_b64 exec, exec, s[12:13]
	v_lshrrev_b32_e32 v1, 16, v10
	v_cmp_ne_u16_sdwa s[0:1], v1, v2 src0_sel:BYTE_0 src1_sel:DWORD
	s_and_saveexec_b64 s[12:13], s[0:1]
	s_cbranch_execz .LBB270_706
; %bb.701:                              ;   in Loop: Header=BB270_414 Depth=1
	v_cmp_ne_u16_sdwa s[0:1], v1, s24 src0_sel:BYTE_0 src1_sel:DWORD
	v_mov_b32_e32 v51, 0x8000
	s_and_saveexec_b64 s[16:17], s[0:1]
	s_cbranch_execz .LBB270_705
; %bb.702:                              ;   in Loop: Header=BB270_414 Depth=1
	v_bfe_u32 v54, v10, 16, 7
	v_cmp_ne_u32_e64 s[0:1], s25, v54
	v_mov_b32_e32 v51, 0x7c01
	s_and_saveexec_b64 s[18:19], s[0:1]
	s_cbranch_execz .LBB270_704
; %bb.703:                              ;   in Loop: Header=BB270_414 Depth=1
	v_and_b32_e32 v51, 7, v1
	v_ffbh_u32_e32 v55, v51
	v_min_u32_e32 v58, 32, v55
	v_subrev_u32_e32 v55, 28, v58
	v_lshlrev_b64 v[55:56], v55, v[1:2]
	v_lshrrev_b32_e32 v57, 3, v54
	v_sub_u32_e32 v56, 29, v58
	v_cmp_gt_u32_e64 s[0:1], 8, v54
	v_cndmask_b32_e64 v54, v57, v56, s[0:1]
	v_lshl_add_u32 v54, v54, 10, v12
	v_lshlrev_b32_e32 v1, 8, v1
	v_and_b32_e32 v55, 7, v55
	v_and_b32_e32 v54, 0xfc00, v54
	v_cndmask_b32_e64 v51, v51, v55, s[0:1]
	v_and_or_b32 v1, v1, s26, v54
	v_lshl_or_b32 v51, v51, 7, v1
.LBB270_704:                            ;   in Loop: Header=BB270_414 Depth=1
	s_or_b64 exec, exec, s[18:19]
.LBB270_705:                            ;   in Loop: Header=BB270_414 Depth=1
	s_or_b64 exec, exec, s[16:17]
.LBB270_706:                            ;   in Loop: Header=BB270_414 Depth=1
	s_or_b64 exec, exec, s[12:13]
	v_cmp_lt_u64_e64 s[0:1], s[4:5], v[9:10]
	v_mov_b32_e32 v9, 0
	s_and_saveexec_b64 s[12:13], s[0:1]
	s_cbranch_execz .LBB270_712
; %bb.707:                              ;   in Loop: Header=BB270_414 Depth=1
	v_lshrrev_b32_e32 v1, 24, v10
	v_cmp_ne_u32_e64 s[0:1], s24, v1
	v_bfrev_b32_e32 v9, 1
	s_and_saveexec_b64 s[16:17], s[0:1]
	s_cbranch_execz .LBB270_711
; %bb.708:                              ;   in Loop: Header=BB270_414 Depth=1
	v_and_b32_e32 v10, 0x7f, v1
	v_cmp_ne_u32_e64 s[0:1], s25, v10
	v_mov_b32_e32 v9, 0x7c010000
	s_and_saveexec_b64 s[18:19], s[0:1]
	s_cbranch_execz .LBB270_710
; %bb.709:                              ;   in Loop: Header=BB270_414 Depth=1
	v_and_b32_e32 v9, 7, v1
	v_ffbh_u32_e32 v54, v9
	v_min_u32_e32 v57, 32, v54
	v_subrev_u32_e32 v54, 28, v57
	v_lshlrev_b64 v[54:55], v54, v[1:2]
	v_lshrrev_b32_e32 v56, 3, v10
	v_sub_u32_e32 v55, 29, v57
	v_cmp_gt_u32_e64 s[0:1], 8, v10
	v_cndmask_b32_e64 v10, v56, v55, s[0:1]
	v_lshlrev_b32_e32 v1, 8, v1
	v_lshl_add_u32 v10, v10, 10, v12
	v_and_b32_e32 v54, 7, v54
	v_and_or_b32 v1, v1, s26, v10
	v_cndmask_b32_e64 v9, v9, v54, s[0:1]
	v_lshlrev_b32_e32 v1, 16, v1
	v_lshl_or_b32 v9, v9, 23, v1
.LBB270_710:                            ;   in Loop: Header=BB270_414 Depth=1
	s_or_b64 exec, exec, s[18:19]
.LBB270_711:                            ;   in Loop: Header=BB270_414 Depth=1
	s_or_b64 exec, exec, s[16:17]
.LBB270_712:                            ;   in Loop: Header=BB270_414 Depth=1
	s_or_b64 exec, exec, s[12:13]
	s_waitcnt vmcnt(0)
	v_fma_mixlo_f16 v10, v0, v49, 0 op_sel:[0,1,0] op_sel_hi:[0,1,0]
	v_or_b32_e32 v1, v49, v50
	v_lshlrev_b32_e32 v49, 16, v10
	v_or_b32_e32 v10, v11, v48
	v_fma_mixlo_f16 v11, v0, v11, 0 op_sel:[0,1,0] op_sel_hi:[0,1,0]
	v_lshlrev_b32_e32 v54, 16, v11
	v_or_b32_e32 v11, v53, v52
	v_or_b32_e32 v51, v9, v51
	v_fma_mixlo_f16 v1, v0, v1, 0 op_sel_hi:[0,1,0]
	v_fma_mixlo_f16 v10, v0, v10, 0 op_sel_hi:[0,1,0]
	v_fma_mixlo_f16 v48, v0, v53, 0 op_sel:[0,1,0] op_sel_hi:[0,1,0]
	v_fma_mixlo_f16 v11, v0, v11, 0 op_sel_hi:[0,1,0]
	v_fma_mixlo_f16 v51, v0, v51, 0 op_sel_hi:[0,1,0]
	v_fma_mixlo_f16 v0, v0, v9, 0 op_sel:[0,1,0] op_sel_hi:[0,1,0]
	v_and_b32_e32 v50, 0xffff, v1
	v_and_b32_e32 v55, 0xffff, v10
	v_lshlrev_b32_e32 v48, 16, v48
	v_and_b32_e32 v52, 0xffff, v11
	v_lshlrev_b32_e32 v0, 16, v0
	v_and_b32_e32 v9, 0xffff, v51
	v_or_b32_e32 v1, v49, v50
	v_or_b32_e32 v10, v54, v55
	;; [unrolled: 1-line block ×4, first 2 shown]
	s_and_saveexec_b64 s[12:13], vcc
	s_cbranch_execz .LBB270_714
; %bb.713:                              ;   in Loop: Header=BB270_414 Depth=1
	v_cmp_gt_i32_e64 s[0:1], s30, v27
	v_cndmask_b32_e64 v1, 0, v55, s[0:1]
	v_cmp_gt_i32_e64 s[0:1], s30, v33
	v_cndmask_b32_e64 v10, 0, v54, s[0:1]
	v_cmp_gt_i32_e64 s[0:1], s30, v32
	v_or_b32_e32 v10, v10, v1
	v_cndmask_b32_e64 v1, 0, v50, s[0:1]
	v_cmp_gt_i32_e64 s[0:1], s30, v31
	v_cndmask_b32_e64 v11, 0, v49, s[0:1]
	v_cmp_gt_i32_e64 s[0:1], s30, v30
	v_or_b32_e32 v1, v11, v1
	v_cndmask_b32_e64 v11, 0, v52, s[0:1]
	v_cmp_gt_i32_e64 s[0:1], s30, v29
	v_cndmask_b32_e64 v48, 0, v48, s[0:1]
	v_cmp_gt_i32_e64 s[0:1], s30, v28
	;; [unrolled: 2-line block ×3, first 2 shown]
	v_cndmask_b32_e64 v0, 0, v0, s[0:1]
	v_or_b32_e32 v11, v48, v11
	v_or_b32_e32 v51, v0, v9
.LBB270_714:                            ;   in Loop: Header=BB270_414 Depth=1
	s_or_b64 exec, exec, s[12:13]
	;;#ASMSTART
	v_pk_mul_f16 v0, v34, v10;

	;;#ASMEND
	;;#ASMSTART
	v_pk_mul_f16 v1, v35, v1;

	;;#ASMEND
	;; [unrolled: 4-line block ×4, first 2 shown]
	;;#ASMSTART
	v_pk_add_f16 v0, v0, v1;

	;;#ASMEND
	;;#ASMSTART
	v_pk_add_f16 v0, v0, v9;

	;;#ASMEND
	;; [unrolled: 4-line block ×3, first 2 shown]
	v_lshrrev_b32_e32 v1, 16, v0
	v_and_b32_e32 v0, 0xffff, v0
	;;#ASMSTART
	v_cvt_f32_f16 v0, v0;
	;;#ASMEND
	;;#ASMSTART
	v_cvt_f32_f16 v11, v1;
	;;#ASMEND
	global_load_dwordx2 v[9:10], v[7:8], off offset:3072
	v_mov_b32_e32 v49, 0
	global_load_dword v48, v49, s[14:15]
	v_mov_b32_e32 v50, 0
	s_waitcnt vmcnt(1)
	v_cmp_ne_u16_sdwa s[0:1], v9, v2 src0_sel:BYTE_0 src1_sel:DWORD
	s_and_saveexec_b64 s[12:13], s[0:1]
	s_cbranch_execz .LBB270_720
; %bb.715:                              ;   in Loop: Header=BB270_414 Depth=1
	v_cmp_ne_u16_sdwa s[0:1], v9, s24 src0_sel:BYTE_0 src1_sel:DWORD
	v_mov_b32_e32 v50, 0x8000
	s_and_saveexec_b64 s[16:17], s[0:1]
	s_cbranch_execz .LBB270_719
; %bb.716:                              ;   in Loop: Header=BB270_414 Depth=1
	v_and_b32_e32 v1, 0x7f, v9
	v_cmp_ne_u32_e64 s[0:1], s25, v1
	v_mov_b32_e32 v50, 0x7c01
	s_and_saveexec_b64 s[18:19], s[0:1]
	s_cbranch_execz .LBB270_718
; %bb.717:                              ;   in Loop: Header=BB270_414 Depth=1
	v_and_b32_e32 v52, 7, v9
	v_ffbh_u32_e32 v50, v52
	v_min_u32_e32 v54, 32, v50
	v_subrev_u32_e32 v50, 28, v54
	v_lshlrev_b64 v[50:51], v50, v[9:10]
	v_lshrrev_b32_e32 v53, 3, v1
	v_sub_u32_e32 v51, 29, v54
	v_cmp_gt_u32_e64 s[0:1], 8, v1
	v_cndmask_b32_e64 v1, v53, v51, s[0:1]
	v_lshl_add_u32 v1, v1, 10, v12
	v_lshlrev_b32_e32 v51, 8, v9
	v_and_b32_e32 v50, 7, v50
	v_and_b32_e32 v1, 0xfc00, v1
	v_cndmask_b32_e64 v50, v52, v50, s[0:1]
	v_and_or_b32 v1, v51, s26, v1
	v_lshl_or_b32 v50, v50, 7, v1
.LBB270_718:                            ;   in Loop: Header=BB270_414 Depth=1
	s_or_b64 exec, exec, s[18:19]
.LBB270_719:                            ;   in Loop: Header=BB270_414 Depth=1
	s_or_b64 exec, exec, s[16:17]
.LBB270_720:                            ;   in Loop: Header=BB270_414 Depth=1
	s_or_b64 exec, exec, s[12:13]
	v_lshrrev_b16_e32 v1, 8, v9
	v_cmp_ne_u16_e64 s[0:1], 0, v1
	s_and_saveexec_b64 s[12:13], s[0:1]
	s_cbranch_execz .LBB270_726
; %bb.721:                              ;   in Loop: Header=BB270_414 Depth=1
	v_cmp_ne_u16_e64 s[0:1], s24, v1
	v_bfrev_b32_e32 v49, 1
	s_and_saveexec_b64 s[16:17], s[0:1]
	s_cbranch_execz .LBB270_725
; %bb.722:                              ;   in Loop: Header=BB270_414 Depth=1
	v_and_b32_e32 v51, 0x7f, v1
	v_cmp_ne_u32_e64 s[0:1], s25, v51
	v_mov_b32_e32 v49, 0x7c010000
	s_and_saveexec_b64 s[18:19], s[0:1]
	s_cbranch_execz .LBB270_724
; %bb.723:                              ;   in Loop: Header=BB270_414 Depth=1
	v_and_b32_e32 v49, 7, v1
	v_ffbh_u32_e32 v52, v49
	v_min_u32_e32 v55, 32, v52
	v_subrev_u32_e32 v52, 28, v55
	v_lshlrev_b64 v[52:53], v52, v[1:2]
	v_lshrrev_b32_e32 v54, 3, v51
	v_sub_u32_e32 v53, 29, v55
	v_cmp_gt_u32_e64 s[0:1], 8, v51
	v_cndmask_b32_e64 v51, v54, v53, s[0:1]
	v_lshlrev_b32_e32 v1, 8, v1
	v_lshl_add_u32 v51, v51, 10, v12
	v_and_b32_e32 v52, 7, v52
	v_and_or_b32 v1, v1, s26, v51
	v_cndmask_b32_e64 v49, v49, v52, s[0:1]
	v_lshlrev_b32_e32 v1, 16, v1
	v_lshl_or_b32 v49, v49, 23, v1
.LBB270_724:                            ;   in Loop: Header=BB270_414 Depth=1
	s_or_b64 exec, exec, s[18:19]
.LBB270_725:                            ;   in Loop: Header=BB270_414 Depth=1
	s_or_b64 exec, exec, s[16:17]
.LBB270_726:                            ;   in Loop: Header=BB270_414 Depth=1
	s_or_b64 exec, exec, s[12:13]
	v_lshrrev_b32_e32 v1, 16, v9
	v_cmp_ne_u16_sdwa s[0:1], v1, v2 src0_sel:BYTE_0 src1_sel:DWORD
	v_mov_b32_e32 v51, 0
	v_mov_b32_e32 v52, 0
	s_and_saveexec_b64 s[12:13], s[0:1]
	s_cbranch_execz .LBB270_732
; %bb.727:                              ;   in Loop: Header=BB270_414 Depth=1
	v_cmp_ne_u16_sdwa s[0:1], v1, s24 src0_sel:BYTE_0 src1_sel:DWORD
	v_mov_b32_e32 v52, 0x8000
	s_and_saveexec_b64 s[16:17], s[0:1]
	s_cbranch_execz .LBB270_731
; %bb.728:                              ;   in Loop: Header=BB270_414 Depth=1
	v_bfe_u32 v53, v9, 16, 7
	v_cmp_ne_u32_e64 s[0:1], s25, v53
	v_mov_b32_e32 v52, 0x7c01
	s_and_saveexec_b64 s[18:19], s[0:1]
	s_cbranch_execz .LBB270_730
; %bb.729:                              ;   in Loop: Header=BB270_414 Depth=1
	v_and_b32_e32 v52, 7, v1
	v_ffbh_u32_e32 v54, v52
	v_min_u32_e32 v57, 32, v54
	v_subrev_u32_e32 v54, 28, v57
	v_lshlrev_b64 v[54:55], v54, v[1:2]
	v_lshrrev_b32_e32 v56, 3, v53
	v_sub_u32_e32 v55, 29, v57
	v_cmp_gt_u32_e64 s[0:1], 8, v53
	v_cndmask_b32_e64 v53, v56, v55, s[0:1]
	v_lshl_add_u32 v53, v53, 10, v12
	v_lshlrev_b32_e32 v1, 8, v1
	v_and_b32_e32 v54, 7, v54
	v_and_b32_e32 v53, 0xfc00, v53
	v_cndmask_b32_e64 v52, v52, v54, s[0:1]
	v_and_or_b32 v1, v1, s26, v53
	v_lshl_or_b32 v52, v52, 7, v1
.LBB270_730:                            ;   in Loop: Header=BB270_414 Depth=1
	s_or_b64 exec, exec, s[18:19]
.LBB270_731:                            ;   in Loop: Header=BB270_414 Depth=1
	s_or_b64 exec, exec, s[16:17]
.LBB270_732:                            ;   in Loop: Header=BB270_414 Depth=1
	s_or_b64 exec, exec, s[12:13]
	v_cmp_lt_u32_e64 s[0:1], s5, v9
	s_and_saveexec_b64 s[12:13], s[0:1]
	s_cbranch_execz .LBB270_738
; %bb.733:                              ;   in Loop: Header=BB270_414 Depth=1
	v_lshrrev_b32_e32 v1, 24, v9
	v_cmp_ne_u32_e64 s[0:1], s24, v1
	v_bfrev_b32_e32 v51, 1
	s_and_saveexec_b64 s[16:17], s[0:1]
	s_cbranch_execz .LBB270_737
; %bb.734:                              ;   in Loop: Header=BB270_414 Depth=1
	v_and_b32_e32 v53, 0x7f, v1
	v_cmp_ne_u32_e64 s[0:1], s25, v53
	v_mov_b32_e32 v51, 0x7c010000
	s_and_saveexec_b64 s[18:19], s[0:1]
	s_cbranch_execz .LBB270_736
; %bb.735:                              ;   in Loop: Header=BB270_414 Depth=1
	v_and_b32_e32 v51, 7, v1
	v_ffbh_u32_e32 v54, v51
	v_min_u32_e32 v57, 32, v54
	v_subrev_u32_e32 v54, 28, v57
	v_lshlrev_b64 v[54:55], v54, v[1:2]
	v_lshrrev_b32_e32 v56, 3, v53
	v_sub_u32_e32 v55, 29, v57
	v_cmp_gt_u32_e64 s[0:1], 8, v53
	v_cndmask_b32_e64 v53, v56, v55, s[0:1]
	v_lshlrev_b32_e32 v1, 8, v1
	v_lshl_add_u32 v53, v53, 10, v12
	v_and_b32_e32 v54, 7, v54
	v_and_or_b32 v1, v1, s26, v53
	v_cndmask_b32_e64 v51, v51, v54, s[0:1]
	v_lshlrev_b32_e32 v1, 16, v1
	v_lshl_or_b32 v51, v51, 23, v1
.LBB270_736:                            ;   in Loop: Header=BB270_414 Depth=1
	s_or_b64 exec, exec, s[18:19]
.LBB270_737:                            ;   in Loop: Header=BB270_414 Depth=1
	s_or_b64 exec, exec, s[16:17]
.LBB270_738:                            ;   in Loop: Header=BB270_414 Depth=1
	s_or_b64 exec, exec, s[12:13]
	v_mov_b32_e32 v1, v10
	v_cmp_ne_u16_sdwa s[0:1], v10, v2 src0_sel:BYTE_0 src1_sel:DWORD
	v_mov_b32_e32 v53, 0
	v_mov_b32_e32 v54, 0
	s_and_saveexec_b64 s[12:13], s[0:1]
	s_cbranch_execz .LBB270_744
; %bb.739:                              ;   in Loop: Header=BB270_414 Depth=1
	v_cmp_ne_u16_sdwa s[0:1], v10, s24 src0_sel:BYTE_0 src1_sel:DWORD
	v_mov_b32_e32 v54, 0x8000
	s_and_saveexec_b64 s[16:17], s[0:1]
	s_cbranch_execz .LBB270_743
; %bb.740:                              ;   in Loop: Header=BB270_414 Depth=1
	v_and_b32_e32 v55, 0x7f, v10
	v_cmp_ne_u32_e64 s[0:1], s25, v55
	v_mov_b32_e32 v54, 0x7c01
	s_and_saveexec_b64 s[18:19], s[0:1]
	s_cbranch_execz .LBB270_742
; %bb.741:                              ;   in Loop: Header=BB270_414 Depth=1
	v_and_b32_e32 v54, 7, v10
	v_ffbh_u32_e32 v56, v54
	v_min_u32_e32 v59, 32, v56
	v_subrev_u32_e32 v56, 28, v59
	v_lshlrev_b64 v[56:57], v56, v[1:2]
	v_lshrrev_b32_e32 v58, 3, v55
	v_sub_u32_e32 v57, 29, v59
	v_cmp_gt_u32_e64 s[0:1], 8, v55
	v_cndmask_b32_e64 v55, v58, v57, s[0:1]
	v_lshl_add_u32 v55, v55, 10, v12
	v_lshlrev_b32_e32 v57, 8, v10
	v_and_b32_e32 v56, 7, v56
	v_and_b32_e32 v55, 0xfc00, v55
	v_cndmask_b32_e64 v54, v54, v56, s[0:1]
	v_and_or_b32 v55, v57, s26, v55
	v_lshl_or_b32 v54, v54, 7, v55
.LBB270_742:                            ;   in Loop: Header=BB270_414 Depth=1
	s_or_b64 exec, exec, s[18:19]
.LBB270_743:                            ;   in Loop: Header=BB270_414 Depth=1
	s_or_b64 exec, exec, s[16:17]
.LBB270_744:                            ;   in Loop: Header=BB270_414 Depth=1
	s_or_b64 exec, exec, s[12:13]
	v_lshrrev_b16_e32 v1, 8, v1
	v_cmp_ne_u16_e64 s[0:1], 0, v1
	v_mov_b32_e32 v55, 0
	s_and_saveexec_b64 s[12:13], s[0:1]
	s_cbranch_execz .LBB270_750
; %bb.745:                              ;   in Loop: Header=BB270_414 Depth=1
	v_cmp_ne_u16_e64 s[0:1], s24, v1
	v_bfrev_b32_e32 v55, 1
	s_and_saveexec_b64 s[16:17], s[0:1]
	s_cbranch_execz .LBB270_749
; %bb.746:                              ;   in Loop: Header=BB270_414 Depth=1
	v_and_b32_e32 v56, 0x7f, v1
	v_cmp_ne_u32_e64 s[0:1], s25, v56
	v_mov_b32_e32 v55, 0x7c010000
	s_and_saveexec_b64 s[18:19], s[0:1]
	s_cbranch_execz .LBB270_748
; %bb.747:                              ;   in Loop: Header=BB270_414 Depth=1
	v_and_b32_e32 v55, 7, v1
	v_ffbh_u32_e32 v57, v55
	v_min_u32_e32 v60, 32, v57
	v_subrev_u32_e32 v57, 28, v60
	v_lshlrev_b64 v[57:58], v57, v[1:2]
	v_lshrrev_b32_e32 v59, 3, v56
	v_sub_u32_e32 v58, 29, v60
	v_cmp_gt_u32_e64 s[0:1], 8, v56
	v_cndmask_b32_e64 v56, v59, v58, s[0:1]
	v_lshlrev_b32_e32 v1, 8, v1
	v_lshl_add_u32 v56, v56, 10, v12
	v_and_b32_e32 v57, 7, v57
	v_and_or_b32 v1, v1, s26, v56
	v_cndmask_b32_e64 v55, v55, v57, s[0:1]
	v_lshlrev_b32_e32 v1, 16, v1
	v_lshl_or_b32 v55, v55, 23, v1
.LBB270_748:                            ;   in Loop: Header=BB270_414 Depth=1
	s_or_b64 exec, exec, s[18:19]
.LBB270_749:                            ;   in Loop: Header=BB270_414 Depth=1
	s_or_b64 exec, exec, s[16:17]
.LBB270_750:                            ;   in Loop: Header=BB270_414 Depth=1
	s_or_b64 exec, exec, s[12:13]
	v_lshrrev_b32_e32 v1, 16, v10
	v_cmp_ne_u16_sdwa s[0:1], v1, v2 src0_sel:BYTE_0 src1_sel:DWORD
	s_and_saveexec_b64 s[12:13], s[0:1]
	s_cbranch_execz .LBB270_756
; %bb.751:                              ;   in Loop: Header=BB270_414 Depth=1
	v_cmp_ne_u16_sdwa s[0:1], v1, s24 src0_sel:BYTE_0 src1_sel:DWORD
	v_mov_b32_e32 v53, 0x8000
	s_and_saveexec_b64 s[16:17], s[0:1]
	s_cbranch_execz .LBB270_755
; %bb.752:                              ;   in Loop: Header=BB270_414 Depth=1
	v_bfe_u32 v56, v10, 16, 7
	v_cmp_ne_u32_e64 s[0:1], s25, v56
	v_mov_b32_e32 v53, 0x7c01
	s_and_saveexec_b64 s[18:19], s[0:1]
	s_cbranch_execz .LBB270_754
; %bb.753:                              ;   in Loop: Header=BB270_414 Depth=1
	v_and_b32_e32 v53, 7, v1
	v_ffbh_u32_e32 v57, v53
	v_min_u32_e32 v60, 32, v57
	v_subrev_u32_e32 v57, 28, v60
	v_lshlrev_b64 v[57:58], v57, v[1:2]
	v_lshrrev_b32_e32 v59, 3, v56
	v_sub_u32_e32 v58, 29, v60
	v_cmp_gt_u32_e64 s[0:1], 8, v56
	v_cndmask_b32_e64 v56, v59, v58, s[0:1]
	v_lshl_add_u32 v56, v56, 10, v12
	v_lshlrev_b32_e32 v1, 8, v1
	v_and_b32_e32 v57, 7, v57
	v_and_b32_e32 v56, 0xfc00, v56
	v_cndmask_b32_e64 v53, v53, v57, s[0:1]
	v_and_or_b32 v1, v1, s26, v56
	v_lshl_or_b32 v53, v53, 7, v1
.LBB270_754:                            ;   in Loop: Header=BB270_414 Depth=1
	s_or_b64 exec, exec, s[18:19]
.LBB270_755:                            ;   in Loop: Header=BB270_414 Depth=1
	s_or_b64 exec, exec, s[16:17]
.LBB270_756:                            ;   in Loop: Header=BB270_414 Depth=1
	s_or_b64 exec, exec, s[12:13]
	v_cmp_lt_u64_e64 s[0:1], s[4:5], v[9:10]
	v_mov_b32_e32 v9, 0
	s_and_saveexec_b64 s[12:13], s[0:1]
	s_cbranch_execz .LBB270_762
; %bb.757:                              ;   in Loop: Header=BB270_414 Depth=1
	v_lshrrev_b32_e32 v1, 24, v10
	v_cmp_ne_u32_e64 s[0:1], s24, v1
	v_bfrev_b32_e32 v9, 1
	s_and_saveexec_b64 s[16:17], s[0:1]
	s_cbranch_execz .LBB270_761
; %bb.758:                              ;   in Loop: Header=BB270_414 Depth=1
	v_and_b32_e32 v10, 0x7f, v1
	v_cmp_ne_u32_e64 s[0:1], s25, v10
	v_mov_b32_e32 v9, 0x7c010000
	s_and_saveexec_b64 s[18:19], s[0:1]
	s_cbranch_execz .LBB270_760
; %bb.759:                              ;   in Loop: Header=BB270_414 Depth=1
	v_and_b32_e32 v9, 7, v1
	v_ffbh_u32_e32 v56, v9
	v_min_u32_e32 v59, 32, v56
	v_subrev_u32_e32 v56, 28, v59
	v_lshlrev_b64 v[56:57], v56, v[1:2]
	v_lshrrev_b32_e32 v58, 3, v10
	v_sub_u32_e32 v57, 29, v59
	v_cmp_gt_u32_e64 s[0:1], 8, v10
	v_cndmask_b32_e64 v10, v58, v57, s[0:1]
	v_lshlrev_b32_e32 v1, 8, v1
	v_lshl_add_u32 v10, v10, 10, v12
	v_and_b32_e32 v56, 7, v56
	v_and_or_b32 v1, v1, s26, v10
	v_cndmask_b32_e64 v9, v9, v56, s[0:1]
	v_lshlrev_b32_e32 v1, 16, v1
	v_lshl_or_b32 v9, v9, 23, v1
.LBB270_760:                            ;   in Loop: Header=BB270_414 Depth=1
	s_or_b64 exec, exec, s[18:19]
.LBB270_761:                            ;   in Loop: Header=BB270_414 Depth=1
	s_or_b64 exec, exec, s[16:17]
.LBB270_762:                            ;   in Loop: Header=BB270_414 Depth=1
	s_or_b64 exec, exec, s[12:13]
	s_waitcnt vmcnt(0)
	v_fma_mixlo_f16 v10, v48, v51, 0 op_sel:[0,1,0] op_sel_hi:[0,1,0]
	v_or_b32_e32 v1, v51, v52
	v_lshlrev_b32_e32 v51, 16, v10
	v_or_b32_e32 v10, v49, v50
	v_fma_mixlo_f16 v49, v48, v49, 0 op_sel:[0,1,0] op_sel_hi:[0,1,0]
	v_lshlrev_b32_e32 v56, 16, v49
	v_or_b32_e32 v49, v55, v54
	v_or_b32_e32 v53, v9, v53
	v_fma_mixlo_f16 v1, v48, v1, 0 op_sel_hi:[0,1,0]
	v_fma_mixlo_f16 v10, v48, v10, 0 op_sel_hi:[0,1,0]
	v_fma_mixlo_f16 v50, v48, v55, 0 op_sel:[0,1,0] op_sel_hi:[0,1,0]
	v_fma_mixlo_f16 v49, v48, v49, 0 op_sel_hi:[0,1,0]
	v_fma_mixlo_f16 v53, v48, v53, 0 op_sel_hi:[0,1,0]
	v_fma_mixlo_f16 v9, v48, v9, 0 op_sel:[0,1,0] op_sel_hi:[0,1,0]
	v_and_b32_e32 v52, 0xffff, v1
	v_and_b32_e32 v57, 0xffff, v10
	v_lshlrev_b32_e32 v50, 16, v50
	v_and_b32_e32 v54, 0xffff, v49
	v_lshlrev_b32_e32 v9, 16, v9
	v_and_b32_e32 v48, 0xffff, v53
	v_or_b32_e32 v1, v51, v52
	v_or_b32_e32 v10, v56, v57
	;; [unrolled: 1-line block ×4, first 2 shown]
	s_and_saveexec_b64 s[12:13], vcc
	s_cbranch_execz .LBB270_764
; %bb.763:                              ;   in Loop: Header=BB270_414 Depth=1
	v_cmp_gt_i32_e64 s[0:1], s30, v27
	v_cndmask_b32_e64 v1, 0, v57, s[0:1]
	v_cmp_gt_i32_e64 s[0:1], s30, v33
	v_cndmask_b32_e64 v10, 0, v56, s[0:1]
	v_cmp_gt_i32_e64 s[0:1], s30, v32
	v_or_b32_e32 v10, v10, v1
	v_cndmask_b32_e64 v1, 0, v52, s[0:1]
	v_cmp_gt_i32_e64 s[0:1], s30, v31
	v_cndmask_b32_e64 v49, 0, v51, s[0:1]
	v_cmp_gt_i32_e64 s[0:1], s30, v30
	v_or_b32_e32 v1, v49, v1
	v_cndmask_b32_e64 v49, 0, v54, s[0:1]
	v_cmp_gt_i32_e64 s[0:1], s30, v29
	v_cndmask_b32_e64 v50, 0, v50, s[0:1]
	v_cmp_gt_i32_e64 s[0:1], s30, v28
	;; [unrolled: 2-line block ×3, first 2 shown]
	v_cndmask_b32_e64 v9, 0, v9, s[0:1]
	v_or_b32_e32 v49, v50, v49
	v_or_b32_e32 v53, v9, v48
.LBB270_764:                            ;   in Loop: Header=BB270_414 Depth=1
	s_or_b64 exec, exec, s[12:13]
	;;#ASMSTART
	v_pk_mul_f16 v9, v34, v10;

	;;#ASMEND
	;;#ASMSTART
	v_pk_mul_f16 v1, v35, v1;

	;;#ASMEND
	;; [unrolled: 4-line block ×4, first 2 shown]
	;;#ASMSTART
	v_pk_add_f16 v1, v9, v1;

	;;#ASMEND
	;;#ASMSTART
	v_pk_add_f16 v1, v1, v10;

	;;#ASMEND
	;; [unrolled: 4-line block ×3, first 2 shown]
	v_lshrrev_b32_e32 v10, 16, v1
	v_and_b32_e32 v1, 0xffff, v1
	;;#ASMSTART
	v_cvt_f32_f16 v9, v1;
	;;#ASMEND
	;;#ASMSTART
	v_cvt_f32_f16 v10, v10;
	;;#ASMEND
	global_load_dwordx2 v[7:8], v[7:8], off offset:3584
	v_mov_b32_e32 v49, 0
	global_load_dword v48, v49, s[14:15]
	v_mov_b32_e32 v50, 0
	s_waitcnt vmcnt(1)
	v_cmp_ne_u16_sdwa s[0:1], v7, v2 src0_sel:BYTE_0 src1_sel:DWORD
	s_and_saveexec_b64 s[12:13], s[0:1]
	s_cbranch_execz .LBB270_770
; %bb.765:                              ;   in Loop: Header=BB270_414 Depth=1
	v_cmp_ne_u16_sdwa s[0:1], v7, s24 src0_sel:BYTE_0 src1_sel:DWORD
	v_mov_b32_e32 v50, 0x8000
	s_and_saveexec_b64 s[16:17], s[0:1]
	s_cbranch_execz .LBB270_769
; %bb.766:                              ;   in Loop: Header=BB270_414 Depth=1
	v_and_b32_e32 v1, 0x7f, v7
	v_cmp_ne_u32_e64 s[0:1], s25, v1
	v_mov_b32_e32 v50, 0x7c01
	s_and_saveexec_b64 s[18:19], s[0:1]
	s_cbranch_execz .LBB270_768
; %bb.767:                              ;   in Loop: Header=BB270_414 Depth=1
	v_and_b32_e32 v52, 7, v7
	v_ffbh_u32_e32 v50, v52
	v_min_u32_e32 v54, 32, v50
	v_subrev_u32_e32 v50, 28, v54
	v_lshlrev_b64 v[50:51], v50, v[7:8]
	v_lshrrev_b32_e32 v53, 3, v1
	v_sub_u32_e32 v51, 29, v54
	v_cmp_gt_u32_e64 s[0:1], 8, v1
	v_cndmask_b32_e64 v1, v53, v51, s[0:1]
	v_lshl_add_u32 v1, v1, 10, v12
	v_lshlrev_b32_e32 v51, 8, v7
	v_and_b32_e32 v50, 7, v50
	v_and_b32_e32 v1, 0xfc00, v1
	v_cndmask_b32_e64 v50, v52, v50, s[0:1]
	v_and_or_b32 v1, v51, s26, v1
	v_lshl_or_b32 v50, v50, 7, v1
.LBB270_768:                            ;   in Loop: Header=BB270_414 Depth=1
	s_or_b64 exec, exec, s[18:19]
.LBB270_769:                            ;   in Loop: Header=BB270_414 Depth=1
	s_or_b64 exec, exec, s[16:17]
.LBB270_770:                            ;   in Loop: Header=BB270_414 Depth=1
	s_or_b64 exec, exec, s[12:13]
	v_lshrrev_b16_e32 v1, 8, v7
	v_cmp_ne_u16_e64 s[0:1], 0, v1
	s_and_saveexec_b64 s[12:13], s[0:1]
	s_cbranch_execz .LBB270_776
; %bb.771:                              ;   in Loop: Header=BB270_414 Depth=1
	v_cmp_ne_u16_e64 s[0:1], s24, v1
	v_bfrev_b32_e32 v49, 1
	s_and_saveexec_b64 s[16:17], s[0:1]
	s_cbranch_execz .LBB270_775
; %bb.772:                              ;   in Loop: Header=BB270_414 Depth=1
	v_and_b32_e32 v51, 0x7f, v1
	v_cmp_ne_u32_e64 s[0:1], s25, v51
	v_mov_b32_e32 v49, 0x7c010000
	s_and_saveexec_b64 s[18:19], s[0:1]
	s_cbranch_execz .LBB270_774
; %bb.773:                              ;   in Loop: Header=BB270_414 Depth=1
	v_and_b32_e32 v49, 7, v1
	v_ffbh_u32_e32 v52, v49
	v_min_u32_e32 v55, 32, v52
	v_subrev_u32_e32 v52, 28, v55
	v_lshlrev_b64 v[52:53], v52, v[1:2]
	v_lshrrev_b32_e32 v54, 3, v51
	v_sub_u32_e32 v53, 29, v55
	v_cmp_gt_u32_e64 s[0:1], 8, v51
	v_cndmask_b32_e64 v51, v54, v53, s[0:1]
	v_lshlrev_b32_e32 v1, 8, v1
	v_lshl_add_u32 v51, v51, 10, v12
	v_and_b32_e32 v52, 7, v52
	v_and_or_b32 v1, v1, s26, v51
	v_cndmask_b32_e64 v49, v49, v52, s[0:1]
	v_lshlrev_b32_e32 v1, 16, v1
	v_lshl_or_b32 v49, v49, 23, v1
.LBB270_774:                            ;   in Loop: Header=BB270_414 Depth=1
	s_or_b64 exec, exec, s[18:19]
.LBB270_775:                            ;   in Loop: Header=BB270_414 Depth=1
	s_or_b64 exec, exec, s[16:17]
.LBB270_776:                            ;   in Loop: Header=BB270_414 Depth=1
	s_or_b64 exec, exec, s[12:13]
	v_lshrrev_b32_e32 v1, 16, v7
	v_cmp_ne_u16_sdwa s[0:1], v1, v2 src0_sel:BYTE_0 src1_sel:DWORD
	v_mov_b32_e32 v51, 0
	v_mov_b32_e32 v52, 0
	s_and_saveexec_b64 s[12:13], s[0:1]
	s_cbranch_execz .LBB270_782
; %bb.777:                              ;   in Loop: Header=BB270_414 Depth=1
	v_cmp_ne_u16_sdwa s[0:1], v1, s24 src0_sel:BYTE_0 src1_sel:DWORD
	v_mov_b32_e32 v52, 0x8000
	s_and_saveexec_b64 s[16:17], s[0:1]
	s_cbranch_execz .LBB270_781
; %bb.778:                              ;   in Loop: Header=BB270_414 Depth=1
	v_bfe_u32 v53, v7, 16, 7
	v_cmp_ne_u32_e64 s[0:1], s25, v53
	v_mov_b32_e32 v52, 0x7c01
	s_and_saveexec_b64 s[18:19], s[0:1]
	s_cbranch_execz .LBB270_780
; %bb.779:                              ;   in Loop: Header=BB270_414 Depth=1
	v_and_b32_e32 v52, 7, v1
	v_ffbh_u32_e32 v54, v52
	v_min_u32_e32 v57, 32, v54
	v_subrev_u32_e32 v54, 28, v57
	v_lshlrev_b64 v[54:55], v54, v[1:2]
	v_lshrrev_b32_e32 v56, 3, v53
	v_sub_u32_e32 v55, 29, v57
	v_cmp_gt_u32_e64 s[0:1], 8, v53
	v_cndmask_b32_e64 v53, v56, v55, s[0:1]
	v_lshl_add_u32 v53, v53, 10, v12
	v_lshlrev_b32_e32 v1, 8, v1
	v_and_b32_e32 v54, 7, v54
	v_and_b32_e32 v53, 0xfc00, v53
	v_cndmask_b32_e64 v52, v52, v54, s[0:1]
	v_and_or_b32 v1, v1, s26, v53
	v_lshl_or_b32 v52, v52, 7, v1
.LBB270_780:                            ;   in Loop: Header=BB270_414 Depth=1
	s_or_b64 exec, exec, s[18:19]
.LBB270_781:                            ;   in Loop: Header=BB270_414 Depth=1
	s_or_b64 exec, exec, s[16:17]
.LBB270_782:                            ;   in Loop: Header=BB270_414 Depth=1
	s_or_b64 exec, exec, s[12:13]
	v_cmp_lt_u32_e64 s[0:1], s5, v7
	s_and_saveexec_b64 s[12:13], s[0:1]
	s_cbranch_execz .LBB270_788
; %bb.783:                              ;   in Loop: Header=BB270_414 Depth=1
	v_lshrrev_b32_e32 v1, 24, v7
	v_cmp_ne_u32_e64 s[0:1], s24, v1
	v_bfrev_b32_e32 v51, 1
	s_and_saveexec_b64 s[16:17], s[0:1]
	s_cbranch_execz .LBB270_787
; %bb.784:                              ;   in Loop: Header=BB270_414 Depth=1
	v_and_b32_e32 v53, 0x7f, v1
	v_cmp_ne_u32_e64 s[0:1], s25, v53
	v_mov_b32_e32 v51, 0x7c010000
	s_and_saveexec_b64 s[18:19], s[0:1]
	s_cbranch_execz .LBB270_786
; %bb.785:                              ;   in Loop: Header=BB270_414 Depth=1
	v_and_b32_e32 v51, 7, v1
	v_ffbh_u32_e32 v54, v51
	v_min_u32_e32 v57, 32, v54
	v_subrev_u32_e32 v54, 28, v57
	v_lshlrev_b64 v[54:55], v54, v[1:2]
	v_lshrrev_b32_e32 v56, 3, v53
	v_sub_u32_e32 v55, 29, v57
	v_cmp_gt_u32_e64 s[0:1], 8, v53
	v_cndmask_b32_e64 v53, v56, v55, s[0:1]
	v_lshlrev_b32_e32 v1, 8, v1
	v_lshl_add_u32 v53, v53, 10, v12
	v_and_b32_e32 v54, 7, v54
	v_and_or_b32 v1, v1, s26, v53
	v_cndmask_b32_e64 v51, v51, v54, s[0:1]
	v_lshlrev_b32_e32 v1, 16, v1
	v_lshl_or_b32 v51, v51, 23, v1
.LBB270_786:                            ;   in Loop: Header=BB270_414 Depth=1
	s_or_b64 exec, exec, s[18:19]
.LBB270_787:                            ;   in Loop: Header=BB270_414 Depth=1
	s_or_b64 exec, exec, s[16:17]
.LBB270_788:                            ;   in Loop: Header=BB270_414 Depth=1
	s_or_b64 exec, exec, s[12:13]
	v_mov_b32_e32 v1, v8
	v_cmp_ne_u16_sdwa s[0:1], v8, v2 src0_sel:BYTE_0 src1_sel:DWORD
	v_mov_b32_e32 v53, 0
	v_mov_b32_e32 v54, 0
	s_and_saveexec_b64 s[12:13], s[0:1]
	s_cbranch_execz .LBB270_794
; %bb.789:                              ;   in Loop: Header=BB270_414 Depth=1
	v_cmp_ne_u16_sdwa s[0:1], v8, s24 src0_sel:BYTE_0 src1_sel:DWORD
	v_mov_b32_e32 v54, 0x8000
	s_and_saveexec_b64 s[16:17], s[0:1]
	s_cbranch_execz .LBB270_793
; %bb.790:                              ;   in Loop: Header=BB270_414 Depth=1
	v_and_b32_e32 v55, 0x7f, v8
	v_cmp_ne_u32_e64 s[0:1], s25, v55
	v_mov_b32_e32 v54, 0x7c01
	s_and_saveexec_b64 s[18:19], s[0:1]
	s_cbranch_execz .LBB270_792
; %bb.791:                              ;   in Loop: Header=BB270_414 Depth=1
	v_and_b32_e32 v54, 7, v8
	v_ffbh_u32_e32 v56, v54
	v_min_u32_e32 v59, 32, v56
	v_subrev_u32_e32 v56, 28, v59
	v_lshlrev_b64 v[56:57], v56, v[1:2]
	v_lshrrev_b32_e32 v58, 3, v55
	v_sub_u32_e32 v57, 29, v59
	v_cmp_gt_u32_e64 s[0:1], 8, v55
	v_cndmask_b32_e64 v55, v58, v57, s[0:1]
	v_lshl_add_u32 v55, v55, 10, v12
	v_lshlrev_b32_e32 v57, 8, v8
	v_and_b32_e32 v56, 7, v56
	v_and_b32_e32 v55, 0xfc00, v55
	v_cndmask_b32_e64 v54, v54, v56, s[0:1]
	v_and_or_b32 v55, v57, s26, v55
	v_lshl_or_b32 v54, v54, 7, v55
.LBB270_792:                            ;   in Loop: Header=BB270_414 Depth=1
	s_or_b64 exec, exec, s[18:19]
.LBB270_793:                            ;   in Loop: Header=BB270_414 Depth=1
	s_or_b64 exec, exec, s[16:17]
.LBB270_794:                            ;   in Loop: Header=BB270_414 Depth=1
	s_or_b64 exec, exec, s[12:13]
	v_lshrrev_b16_e32 v1, 8, v1
	v_cmp_ne_u16_e64 s[0:1], 0, v1
	v_mov_b32_e32 v55, 0
	s_and_saveexec_b64 s[12:13], s[0:1]
	s_cbranch_execz .LBB270_800
; %bb.795:                              ;   in Loop: Header=BB270_414 Depth=1
	v_cmp_ne_u16_e64 s[0:1], s24, v1
	v_bfrev_b32_e32 v55, 1
	s_and_saveexec_b64 s[16:17], s[0:1]
	s_cbranch_execz .LBB270_799
; %bb.796:                              ;   in Loop: Header=BB270_414 Depth=1
	v_and_b32_e32 v56, 0x7f, v1
	v_cmp_ne_u32_e64 s[0:1], s25, v56
	v_mov_b32_e32 v55, 0x7c010000
	s_and_saveexec_b64 s[18:19], s[0:1]
	s_cbranch_execz .LBB270_798
; %bb.797:                              ;   in Loop: Header=BB270_414 Depth=1
	v_and_b32_e32 v55, 7, v1
	v_ffbh_u32_e32 v57, v55
	v_min_u32_e32 v60, 32, v57
	v_subrev_u32_e32 v57, 28, v60
	v_lshlrev_b64 v[57:58], v57, v[1:2]
	v_lshrrev_b32_e32 v59, 3, v56
	v_sub_u32_e32 v58, 29, v60
	v_cmp_gt_u32_e64 s[0:1], 8, v56
	v_cndmask_b32_e64 v56, v59, v58, s[0:1]
	v_lshlrev_b32_e32 v1, 8, v1
	v_lshl_add_u32 v56, v56, 10, v12
	v_and_b32_e32 v57, 7, v57
	v_and_or_b32 v1, v1, s26, v56
	v_cndmask_b32_e64 v55, v55, v57, s[0:1]
	v_lshlrev_b32_e32 v1, 16, v1
	v_lshl_or_b32 v55, v55, 23, v1
.LBB270_798:                            ;   in Loop: Header=BB270_414 Depth=1
	s_or_b64 exec, exec, s[18:19]
.LBB270_799:                            ;   in Loop: Header=BB270_414 Depth=1
	s_or_b64 exec, exec, s[16:17]
.LBB270_800:                            ;   in Loop: Header=BB270_414 Depth=1
	s_or_b64 exec, exec, s[12:13]
	v_lshrrev_b32_e32 v1, 16, v8
	v_cmp_ne_u16_sdwa s[0:1], v1, v2 src0_sel:BYTE_0 src1_sel:DWORD
	s_and_saveexec_b64 s[12:13], s[0:1]
	s_cbranch_execz .LBB270_806
; %bb.801:                              ;   in Loop: Header=BB270_414 Depth=1
	v_cmp_ne_u16_sdwa s[0:1], v1, s24 src0_sel:BYTE_0 src1_sel:DWORD
	v_mov_b32_e32 v53, 0x8000
	s_and_saveexec_b64 s[16:17], s[0:1]
	s_cbranch_execz .LBB270_805
; %bb.802:                              ;   in Loop: Header=BB270_414 Depth=1
	v_bfe_u32 v56, v8, 16, 7
	v_cmp_ne_u32_e64 s[0:1], s25, v56
	v_mov_b32_e32 v53, 0x7c01
	s_and_saveexec_b64 s[18:19], s[0:1]
	s_cbranch_execz .LBB270_804
; %bb.803:                              ;   in Loop: Header=BB270_414 Depth=1
	v_and_b32_e32 v53, 7, v1
	v_ffbh_u32_e32 v57, v53
	v_min_u32_e32 v60, 32, v57
	v_subrev_u32_e32 v57, 28, v60
	v_lshlrev_b64 v[57:58], v57, v[1:2]
	v_lshrrev_b32_e32 v59, 3, v56
	v_sub_u32_e32 v58, 29, v60
	v_cmp_gt_u32_e64 s[0:1], 8, v56
	v_cndmask_b32_e64 v56, v59, v58, s[0:1]
	v_lshl_add_u32 v56, v56, 10, v12
	v_lshlrev_b32_e32 v1, 8, v1
	v_and_b32_e32 v57, 7, v57
	v_and_b32_e32 v56, 0xfc00, v56
	v_cndmask_b32_e64 v53, v53, v57, s[0:1]
	v_and_or_b32 v1, v1, s26, v56
	v_lshl_or_b32 v53, v53, 7, v1
.LBB270_804:                            ;   in Loop: Header=BB270_414 Depth=1
	s_or_b64 exec, exec, s[18:19]
.LBB270_805:                            ;   in Loop: Header=BB270_414 Depth=1
	s_or_b64 exec, exec, s[16:17]
.LBB270_806:                            ;   in Loop: Header=BB270_414 Depth=1
	s_or_b64 exec, exec, s[12:13]
	v_cmp_lt_u64_e64 s[0:1], s[4:5], v[7:8]
	v_mov_b32_e32 v56, 0
	s_and_saveexec_b64 s[12:13], s[0:1]
	s_cbranch_execz .LBB270_812
; %bb.807:                              ;   in Loop: Header=BB270_414 Depth=1
	v_lshrrev_b32_e32 v1, 24, v8
	v_cmp_ne_u32_e64 s[0:1], s24, v1
	v_bfrev_b32_e32 v56, 1
	s_and_saveexec_b64 s[16:17], s[0:1]
	s_cbranch_execz .LBB270_811
; %bb.808:                              ;   in Loop: Header=BB270_414 Depth=1
	v_and_b32_e32 v7, 0x7f, v1
	v_cmp_ne_u32_e64 s[0:1], s25, v7
	v_mov_b32_e32 v56, 0x7c010000
	s_and_saveexec_b64 s[18:19], s[0:1]
	s_cbranch_execz .LBB270_810
; %bb.809:                              ;   in Loop: Header=BB270_414 Depth=1
	v_and_b32_e32 v8, 7, v1
	v_ffbh_u32_e32 v56, v8
	v_min_u32_e32 v59, 32, v56
	v_subrev_u32_e32 v56, 28, v59
	v_lshlrev_b64 v[56:57], v56, v[1:2]
	v_lshrrev_b32_e32 v58, 3, v7
	v_sub_u32_e32 v57, 29, v59
	v_cmp_gt_u32_e64 s[0:1], 8, v7
	v_cndmask_b32_e64 v7, v58, v57, s[0:1]
	v_lshlrev_b32_e32 v1, 8, v1
	v_lshl_add_u32 v7, v7, 10, v12
	v_and_b32_e32 v56, 7, v56
	v_and_or_b32 v1, v1, s26, v7
	v_cndmask_b32_e64 v8, v8, v56, s[0:1]
	v_lshlrev_b32_e32 v1, 16, v1
	v_lshl_or_b32 v56, v8, 23, v1
.LBB270_810:                            ;   in Loop: Header=BB270_414 Depth=1
	s_or_b64 exec, exec, s[18:19]
.LBB270_811:                            ;   in Loop: Header=BB270_414 Depth=1
	s_or_b64 exec, exec, s[16:17]
.LBB270_812:                            ;   in Loop: Header=BB270_414 Depth=1
	s_or_b64 exec, exec, s[12:13]
	s_waitcnt vmcnt(0)
	v_fma_mixlo_f16 v7, v48, v51, 0 op_sel:[0,1,0] op_sel_hi:[0,1,0]
	v_fma_mixlo_f16 v8, v48, v49, 0 op_sel:[0,1,0] op_sel_hi:[0,1,0]
	v_or_b32_e32 v1, v51, v52
	v_lshlrev_b32_e32 v51, 16, v7
	v_or_b32_e32 v7, v49, v50
	v_lshlrev_b32_e32 v57, 16, v8
	v_or_b32_e32 v8, v55, v54
	v_or_b32_e32 v50, v56, v53
	v_fma_mixlo_f16 v1, v48, v1, 0 op_sel_hi:[0,1,0]
	v_fma_mixlo_f16 v7, v48, v7, 0 op_sel_hi:[0,1,0]
	v_fma_mixlo_f16 v49, v48, v55, 0 op_sel:[0,1,0] op_sel_hi:[0,1,0]
	v_fma_mixlo_f16 v8, v48, v8, 0 op_sel_hi:[0,1,0]
	v_fma_mixlo_f16 v53, v48, v50, 0 op_sel_hi:[0,1,0]
	v_fma_mixlo_f16 v48, v48, v56, 0 op_sel:[0,1,0] op_sel_hi:[0,1,0]
	v_and_b32_e32 v52, 0xffff, v1
	v_and_b32_e32 v58, 0xffff, v7
	v_lshlrev_b32_e32 v49, 16, v49
	v_and_b32_e32 v54, 0xffff, v8
	v_lshlrev_b32_e32 v50, 16, v48
	v_and_b32_e32 v53, 0xffff, v53
	v_or_b32_e32 v1, v51, v52
	v_or_b32_e32 v7, v57, v58
	;; [unrolled: 1-line block ×4, first 2 shown]
	s_and_saveexec_b64 s[0:1], vcc
	s_cbranch_execz .LBB270_413
; %bb.813:                              ;   in Loop: Header=BB270_414 Depth=1
	v_cmp_gt_i32_e32 vcc, s30, v27
	v_cndmask_b32_e32 v1, 0, v58, vcc
	v_cmp_gt_i32_e32 vcc, s30, v33
	v_cndmask_b32_e32 v7, 0, v57, vcc
	v_cmp_gt_i32_e32 vcc, s30, v32
	v_or_b32_e32 v7, v7, v1
	v_cndmask_b32_e32 v1, 0, v52, vcc
	v_cmp_gt_i32_e32 vcc, s30, v31
	v_cndmask_b32_e32 v8, 0, v51, vcc
	v_cmp_gt_i32_e32 vcc, s30, v30
	v_or_b32_e32 v1, v8, v1
	;; [unrolled: 5-line block ×3, first 2 shown]
	v_cndmask_b32_e32 v27, 0, v53, vcc
	v_cmp_gt_i32_e32 vcc, s30, v25
	v_cndmask_b32_e32 v28, 0, v50, vcc
	v_or_b32_e32 v48, v28, v27
	s_branch .LBB270_413
.LBB270_814:
	s_or_b64 exec, exec, s[6:7]
.LBB270_815:
	s_or_b64 exec, exec, s[2:3]
	ds_bpermute_b32 v0, v15, v23
	ds_bpermute_b32 v1, v15, v24
	;; [unrolled: 1-line block ×5, first 2 shown]
	s_waitcnt lgkmcnt(4)
	v_add_f32_e32 v0, v23, v0
	s_waitcnt lgkmcnt(3)
	v_add_f32_e32 v3, v24, v1
	ds_bpermute_b32 v1, v16, v0
	ds_bpermute_b32 v4, v16, v3
	s_waitcnt lgkmcnt(4)
	v_add_f32_e32 v2, v22, v2
	ds_bpermute_b32 v5, v16, v2
	s_waitcnt lgkmcnt(3)
	v_add_f32_e32 v12, v18, v7
	s_waitcnt lgkmcnt(2)
	v_add_f32_e32 v1, v0, v1
	;; [unrolled: 2-line block ×3, first 2 shown]
	v_add_f32_e32 v4, v21, v6
	ds_bpermute_b32 v6, v15, v19
	s_waitcnt lgkmcnt(1)
	v_add_f32_e32 v2, v2, v5
	ds_bpermute_b32 v5, v16, v4
	s_waitcnt lgkmcnt(0)
	s_barrier
	v_add_f32_e32 v10, v19, v6
	ds_bpermute_b32 v11, v16, v10
	v_add_f32_e32 v7, v4, v5
	s_waitcnt lgkmcnt(0)
	ds_bpermute_b32 v3, v15, v20
	ds_bpermute_b32 v9, v15, v17
	v_add_f32_e32 v5, v10, v11
	buffer_load_dword v10, off, s[48:51], 0 offset:112 ; 4-byte Folded Reload
	ds_bpermute_b32 v15, v16, v12
	s_waitcnt lgkmcnt(2)
	v_add_f32_e32 v3, v20, v3
	s_waitcnt lgkmcnt(1)
	v_add_f32_e32 v9, v17, v9
	ds_bpermute_b32 v8, v16, v3
	ds_bpermute_b32 v16, v16, v9
	s_waitcnt lgkmcnt(2)
	v_add_f32_e32 v4, v12, v15
	s_waitcnt lgkmcnt(1)
	v_add_f32_e32 v6, v3, v8
	s_waitcnt lgkmcnt(0)
	v_add_f32_e32 v3, v9, v16
	s_waitcnt vmcnt(0)
	v_and_b32_e32 v9, 0x3c3, v10
	v_cmp_eq_u32_e32 vcc, 64, v9
	s_and_saveexec_b64 s[0:1], vcc
	s_cbranch_execz .LBB270_817
; %bb.816:
	v_add_u32_e32 v8, 0x110, v14
	ds_write2_b32 v8, v1, v0 offset1:16
	ds_write2_b32 v8, v2, v7 offset0:32 offset1:48
	ds_write2_b32 v8, v6, v5 offset0:64 offset1:80
	;; [unrolled: 1-line block ×3, first 2 shown]
.LBB270_817:
	s_or_b64 exec, exec, s[0:1]
	v_cmp_gt_u32_e32 vcc, 64, v10
	v_lshrrev_b32_e32 v8, 2, v10
	s_waitcnt lgkmcnt(0)
	s_barrier
	s_and_saveexec_b64 s[0:1], vcc
	s_cbranch_execz .LBB270_828
; %bb.818:
	v_mov_b32_e32 v10, 0x110
	v_cmp_eq_u32_e32 vcc, 0, v13
	v_lshl_add_u32 v10, v8, 2, v10
	s_and_saveexec_b64 s[2:3], vcc
	s_cbranch_execnz .LBB270_831
; %bb.819:
	s_or_b64 exec, exec, s[2:3]
	s_and_saveexec_b64 s[2:3], vcc
	s_cbranch_execnz .LBB270_832
.LBB270_820:
	s_or_b64 exec, exec, s[2:3]
	s_and_saveexec_b64 s[2:3], vcc
	s_cbranch_execnz .LBB270_833
.LBB270_821:
	s_or_b64 exec, exec, s[2:3]
	s_and_saveexec_b64 s[2:3], vcc
	s_cbranch_execnz .LBB270_834
.LBB270_822:
	s_or_b64 exec, exec, s[2:3]
	s_and_saveexec_b64 s[2:3], vcc
	s_cbranch_execnz .LBB270_835
.LBB270_823:
	s_or_b64 exec, exec, s[2:3]
	s_and_saveexec_b64 s[2:3], vcc
	s_cbranch_execnz .LBB270_836
.LBB270_824:
	s_or_b64 exec, exec, s[2:3]
	s_and_saveexec_b64 s[2:3], vcc
	s_cbranch_execnz .LBB270_837
.LBB270_825:
	s_or_b64 exec, exec, s[2:3]
	s_and_saveexec_b64 s[2:3], vcc
	s_cbranch_execz .LBB270_827
.LBB270_826:
	ds_read_b32 v10, v10 offset:448
	s_waitcnt lgkmcnt(0)
	v_add_f32_e32 v3, v3, v10
.LBB270_827:
	s_or_b64 exec, exec, s[2:3]
.LBB270_828:
	s_or_b64 exec, exec, s[0:1]
	v_cmp_eq_u32_e32 vcc, 0, v9
	s_barrier
	s_and_saveexec_b64 s[0:1], vcc
	s_cbranch_execz .LBB270_830
; %bb.829:
	s_mul_i32 s0, s10, s11
	s_mul_i32 s0, s0, s9
	s_lshl_b32 s0, s0, 7
	s_ashr_i32 s1, s0, 31
	s_lshl_b64 s[0:1], s[0:1], 1
	s_add_u32 s2, s22, s0
	s_mul_i32 s0, s11, s20
	s_addc_u32 s3, s23, s1
	s_ashr_i32 s1, s0, 31
	s_lshl_b64 s[0:1], s[0:1], 1
	s_add_u32 s2, s2, s0
	s_addc_u32 s3, s3, s1
	s_lshl_b32 s0, s8, 7
	s_ashr_i32 s1, s0, 31
	s_lshl_b64 s[0:1], s[0:1], 1
	s_add_u32 s0, s2, s0
	s_addc_u32 s1, s3, s1
	v_lshlrev_b32_e32 v8, 1, v8
	;;#ASMSTART
	v_cvt_f16_f32 v1, v1;

	;;#ASMEND
	global_store_short v8, v1, s[0:1]
	;;#ASMSTART
	v_cvt_f16_f32 v0, v0;

	;;#ASMEND
	global_store_short v8, v0, s[0:1] offset:32
	;;#ASMSTART
	v_cvt_f16_f32 v0, v2;

	;;#ASMEND
	global_store_short v8, v0, s[0:1] offset:64
	;; [unrolled: 5-line block ×7, first 2 shown]
.LBB270_830:
	s_endpgm
.LBB270_831:
	ds_read_b32 v11, v10
	s_waitcnt lgkmcnt(0)
	v_add_f32_e32 v1, v1, v11
	s_or_b64 exec, exec, s[2:3]
	s_and_saveexec_b64 s[2:3], vcc
	s_cbranch_execz .LBB270_820
.LBB270_832:
	ds_read_b32 v11, v10 offset:64
	s_waitcnt lgkmcnt(0)
	v_add_f32_e32 v0, v0, v11
	s_or_b64 exec, exec, s[2:3]
	s_and_saveexec_b64 s[2:3], vcc
	s_cbranch_execz .LBB270_821
.LBB270_833:
	ds_read_b32 v11, v10 offset:128
	s_waitcnt lgkmcnt(0)
	v_add_f32_e32 v2, v2, v11
	s_or_b64 exec, exec, s[2:3]
	s_and_saveexec_b64 s[2:3], vcc
	s_cbranch_execz .LBB270_822
.LBB270_834:
	ds_read_b32 v11, v10 offset:192
	s_waitcnt lgkmcnt(0)
	v_add_f32_e32 v7, v7, v11
	s_or_b64 exec, exec, s[2:3]
	s_and_saveexec_b64 s[2:3], vcc
	s_cbranch_execz .LBB270_823
.LBB270_835:
	ds_read_b32 v11, v10 offset:256
	s_waitcnt lgkmcnt(0)
	v_add_f32_e32 v6, v6, v11
	s_or_b64 exec, exec, s[2:3]
	s_and_saveexec_b64 s[2:3], vcc
	s_cbranch_execz .LBB270_824
.LBB270_836:
	ds_read_b32 v11, v10 offset:320
	s_waitcnt lgkmcnt(0)
	v_add_f32_e32 v5, v5, v11
	s_or_b64 exec, exec, s[2:3]
	s_and_saveexec_b64 s[2:3], vcc
	s_cbranch_execz .LBB270_825
.LBB270_837:
	ds_read_b32 v11, v10 offset:384
	s_waitcnt lgkmcnt(0)
	v_add_f32_e32 v4, v4, v11
	s_or_b64 exec, exec, s[2:3]
	s_and_saveexec_b64 s[2:3], vcc
	s_cbranch_execnz .LBB270_826
	s_branch .LBB270_827
	.section	.rodata,"a",@progbits
	.p2align	6, 0x0
	.amdhsa_kernel _ZN4vllm25paged_attention_v1_kernelIthLi128ELi32ELi128ELNS_18Fp8KVCacheDataTypeE1ELb0EEEvPT_PKS2_PKT0_S8_ifPKiSA_iPKfiiiSC_SC_iiiii
		.amdhsa_group_segment_fixed_size 272
		.amdhsa_private_segment_fixed_size 132
		.amdhsa_kernarg_size 384
		.amdhsa_user_sgpr_count 6
		.amdhsa_user_sgpr_private_segment_buffer 1
		.amdhsa_user_sgpr_dispatch_ptr 0
		.amdhsa_user_sgpr_queue_ptr 0
		.amdhsa_user_sgpr_kernarg_segment_ptr 1
		.amdhsa_user_sgpr_dispatch_id 0
		.amdhsa_user_sgpr_flat_scratch_init 0
		.amdhsa_user_sgpr_private_segment_size 0
		.amdhsa_uses_dynamic_stack 0
		.amdhsa_system_sgpr_private_segment_wavefront_offset 1
		.amdhsa_system_sgpr_workgroup_id_x 1
		.amdhsa_system_sgpr_workgroup_id_y 1
		.amdhsa_system_sgpr_workgroup_id_z 1
		.amdhsa_system_sgpr_workgroup_info 0
		.amdhsa_system_vgpr_workitem_id 0
		.amdhsa_next_free_vgpr 64
		.amdhsa_next_free_sgpr 52
		.amdhsa_reserve_vcc 1
		.amdhsa_reserve_flat_scratch 0
		.amdhsa_float_round_mode_32 0
		.amdhsa_float_round_mode_16_64 0
		.amdhsa_float_denorm_mode_32 3
		.amdhsa_float_denorm_mode_16_64 3
		.amdhsa_dx10_clamp 1
		.amdhsa_ieee_mode 1
		.amdhsa_fp16_overflow 0
		.amdhsa_exception_fp_ieee_invalid_op 0
		.amdhsa_exception_fp_denorm_src 0
		.amdhsa_exception_fp_ieee_div_zero 0
		.amdhsa_exception_fp_ieee_overflow 0
		.amdhsa_exception_fp_ieee_underflow 0
		.amdhsa_exception_fp_ieee_inexact 0
		.amdhsa_exception_int_div_zero 0
	.end_amdhsa_kernel
	.section	.text._ZN4vllm25paged_attention_v1_kernelIthLi128ELi32ELi128ELNS_18Fp8KVCacheDataTypeE1ELb0EEEvPT_PKS2_PKT0_S8_ifPKiSA_iPKfiiiSC_SC_iiiii,"axG",@progbits,_ZN4vllm25paged_attention_v1_kernelIthLi128ELi32ELi128ELNS_18Fp8KVCacheDataTypeE1ELb0EEEvPT_PKS2_PKT0_S8_ifPKiSA_iPKfiiiSC_SC_iiiii,comdat
.Lfunc_end270:
	.size	_ZN4vllm25paged_attention_v1_kernelIthLi128ELi32ELi128ELNS_18Fp8KVCacheDataTypeE1ELb0EEEvPT_PKS2_PKT0_S8_ifPKiSA_iPKfiiiSC_SC_iiiii, .Lfunc_end270-_ZN4vllm25paged_attention_v1_kernelIthLi128ELi32ELi128ELNS_18Fp8KVCacheDataTypeE1ELb0EEEvPT_PKS2_PKT0_S8_ifPKiSA_iPKfiiiSC_SC_iiiii
                                        ; -- End function
	.set _ZN4vllm25paged_attention_v1_kernelIthLi128ELi32ELi128ELNS_18Fp8KVCacheDataTypeE1ELb0EEEvPT_PKS2_PKT0_S8_ifPKiSA_iPKfiiiSC_SC_iiiii.num_vgpr, 64
	.set _ZN4vllm25paged_attention_v1_kernelIthLi128ELi32ELi128ELNS_18Fp8KVCacheDataTypeE1ELb0EEEvPT_PKS2_PKT0_S8_ifPKiSA_iPKfiiiSC_SC_iiiii.num_agpr, 0
	.set _ZN4vllm25paged_attention_v1_kernelIthLi128ELi32ELi128ELNS_18Fp8KVCacheDataTypeE1ELb0EEEvPT_PKS2_PKT0_S8_ifPKiSA_iPKfiiiSC_SC_iiiii.numbered_sgpr, 52
	.set _ZN4vllm25paged_attention_v1_kernelIthLi128ELi32ELi128ELNS_18Fp8KVCacheDataTypeE1ELb0EEEvPT_PKS2_PKT0_S8_ifPKiSA_iPKfiiiSC_SC_iiiii.num_named_barrier, 0
	.set _ZN4vllm25paged_attention_v1_kernelIthLi128ELi32ELi128ELNS_18Fp8KVCacheDataTypeE1ELb0EEEvPT_PKS2_PKT0_S8_ifPKiSA_iPKfiiiSC_SC_iiiii.private_seg_size, 132
	.set _ZN4vllm25paged_attention_v1_kernelIthLi128ELi32ELi128ELNS_18Fp8KVCacheDataTypeE1ELb0EEEvPT_PKS2_PKT0_S8_ifPKiSA_iPKfiiiSC_SC_iiiii.uses_vcc, 1
	.set _ZN4vllm25paged_attention_v1_kernelIthLi128ELi32ELi128ELNS_18Fp8KVCacheDataTypeE1ELb0EEEvPT_PKS2_PKT0_S8_ifPKiSA_iPKfiiiSC_SC_iiiii.uses_flat_scratch, 0
	.set _ZN4vllm25paged_attention_v1_kernelIthLi128ELi32ELi128ELNS_18Fp8KVCacheDataTypeE1ELb0EEEvPT_PKS2_PKT0_S8_ifPKiSA_iPKfiiiSC_SC_iiiii.has_dyn_sized_stack, 0
	.set _ZN4vllm25paged_attention_v1_kernelIthLi128ELi32ELi128ELNS_18Fp8KVCacheDataTypeE1ELb0EEEvPT_PKS2_PKT0_S8_ifPKiSA_iPKfiiiSC_SC_iiiii.has_recursion, 0
	.set _ZN4vllm25paged_attention_v1_kernelIthLi128ELi32ELi128ELNS_18Fp8KVCacheDataTypeE1ELb0EEEvPT_PKS2_PKT0_S8_ifPKiSA_iPKfiiiSC_SC_iiiii.has_indirect_call, 0
	.section	.AMDGPU.csdata,"",@progbits
; Kernel info:
; codeLenInByte = 34608
; TotalNumSgprs: 56
; NumVgprs: 64
; ScratchSize: 132
; MemoryBound: 0
; FloatMode: 240
; IeeeMode: 1
; LDSByteSize: 272 bytes/workgroup (compile time only)
; SGPRBlocks: 6
; VGPRBlocks: 15
; NumSGPRsForWavesPerEU: 56
; NumVGPRsForWavesPerEU: 64
; Occupancy: 4
; WaveLimiterHint : 1
; COMPUTE_PGM_RSRC2:SCRATCH_EN: 1
; COMPUTE_PGM_RSRC2:USER_SGPR: 6
; COMPUTE_PGM_RSRC2:TRAP_HANDLER: 0
; COMPUTE_PGM_RSRC2:TGID_X_EN: 1
; COMPUTE_PGM_RSRC2:TGID_Y_EN: 1
; COMPUTE_PGM_RSRC2:TGID_Z_EN: 1
; COMPUTE_PGM_RSRC2:TIDIG_COMP_CNT: 0
	.section	.text._ZN4vllm25paged_attention_v1_kernelIthLi192ELi32ELi128ELNS_18Fp8KVCacheDataTypeE1ELb0EEEvPT_PKS2_PKT0_S8_ifPKiSA_iPKfiiiSC_SC_iiiii,"axG",@progbits,_ZN4vllm25paged_attention_v1_kernelIthLi192ELi32ELi128ELNS_18Fp8KVCacheDataTypeE1ELb0EEEvPT_PKS2_PKT0_S8_ifPKiSA_iPKfiiiSC_SC_iiiii,comdat
	.protected	_ZN4vllm25paged_attention_v1_kernelIthLi192ELi32ELi128ELNS_18Fp8KVCacheDataTypeE1ELb0EEEvPT_PKS2_PKT0_S8_ifPKiSA_iPKfiiiSC_SC_iiiii ; -- Begin function _ZN4vllm25paged_attention_v1_kernelIthLi192ELi32ELi128ELNS_18Fp8KVCacheDataTypeE1ELb0EEEvPT_PKS2_PKT0_S8_ifPKiSA_iPKfiiiSC_SC_iiiii
	.globl	_ZN4vllm25paged_attention_v1_kernelIthLi192ELi32ELi128ELNS_18Fp8KVCacheDataTypeE1ELb0EEEvPT_PKS2_PKT0_S8_ifPKiSA_iPKfiiiSC_SC_iiiii
	.p2align	8
	.type	_ZN4vllm25paged_attention_v1_kernelIthLi192ELi32ELi128ELNS_18Fp8KVCacheDataTypeE1ELb0EEEvPT_PKS2_PKT0_S8_ifPKiSA_iPKfiiiSC_SC_iiiii,@function
_ZN4vllm25paged_attention_v1_kernelIthLi192ELi32ELi128ELNS_18Fp8KVCacheDataTypeE1ELb0EEEvPT_PKS2_PKT0_S8_ifPKiSA_iPKfiiiSC_SC_iiiii: ; @_ZN4vllm25paged_attention_v1_kernelIthLi192ELi32ELi128ELNS_18Fp8KVCacheDataTypeE1ELb0EEEvPT_PKS2_PKT0_S8_ifPKiSA_iPKfiiiSC_SC_iiiii
; %bb.0:
	s_mov_b64 s[50:51], s[2:3]
	s_mov_b64 s[48:49], s[0:1]
	s_add_u32 s48, s48, s9
	s_load_dword s9, s[4:5], 0x80
	s_load_dwordx2 s[0:1], s[4:5], 0x30
	s_load_dwordx2 s[30:31], s[4:5], 0x20
	s_addc_u32 s49, s49, 0
	s_mov_b32 s10, s7
	s_ashr_i32 s11, s7, 31
	s_lshl_b64 s[2:3], s[10:11], 2
	s_waitcnt lgkmcnt(0)
	s_add_u32 s0, s0, s2
	s_addc_u32 s1, s1, s3
	s_abs_i32 s2, s30
	v_mov_b32_e32 v5, v0
	v_cvt_f32_u32_e32 v0, s2
	s_sub_i32 s11, 0, s2
	s_abs_i32 s7, s9
	s_xor_b32 s3, s9, s30
	v_rcp_iflag_f32_e32 v0, v0
	s_ashr_i32 s3, s3, 31
	s_mov_b32 s33, 0
	v_mul_f32_e32 v0, 0x4f7ffffe, v0
	v_cvt_u32_f32_e32 v0, v0
	v_readfirstlane_b32 s12, v0
	s_mul_i32 s11, s11, s12
	s_mul_hi_u32 s11, s12, s11
	s_add_i32 s12, s12, s11
	s_mul_hi_u32 s11, s7, s12
	s_mul_i32 s12, s11, s2
	s_sub_i32 s7, s7, s12
	s_add_i32 s12, s11, 1
	s_sub_i32 s13, s7, s2
	s_cmp_ge_u32 s7, s2
	s_cselect_b32 s11, s12, s11
	s_cselect_b32 s7, s13, s7
	s_add_i32 s12, s11, 1
	s_cmp_ge_u32 s7, s2
	s_cselect_b32 s2, s12, s11
	s_xor_b32 s2, s2, s3
	s_sub_i32 s14, s2, s3
	s_abs_i32 s11, s14
	v_cvt_f32_u32_e32 v0, s11
	s_load_dwordx2 s[2:3], s[4:5], 0x40
	s_sub_i32 s7, 0, s11
	s_abs_i32 s12, s6
	v_rcp_iflag_f32_e32 v0, v0
	v_mul_f32_e32 v0, 0x4f7ffffe, v0
	v_cvt_u32_f32_e32 v0, v0
	v_readfirstlane_b32 s13, v0
	s_mul_i32 s7, s7, s13
	s_mul_hi_u32 s7, s13, s7
	s_add_i32 s13, s13, s7
	s_waitcnt lgkmcnt(0)
	s_cmp_eq_u64 s[2:3], 0
	s_mul_hi_u32 s13, s12, s13
	s_cbranch_scc1 .LBB271_2
; %bb.1:
	s_ashr_i32 s7, s6, 31
	s_lshl_b64 s[16:17], s[6:7], 2
	s_add_u32 s2, s2, s16
	s_addc_u32 s3, s3, s17
	s_load_dword s33, s[2:3], 0x0
.LBB271_2:
	s_load_dword s30, s[0:1], 0x0
	s_load_dwordx4 s[16:19], s[4:5], 0x48
	s_ashr_i32 s2, s6, 31
	s_ashr_i32 s3, s14, 31
	v_and_b32_e32 v3, 1, v5
	s_movk_i32 s7, 0xc0
	s_mul_i32 s20, s6, 0xc0
	v_cmp_gt_u32_e32 vcc, 48, v5
	v_lshlrev_b32_e32 v11, 3, v5
	s_and_saveexec_b64 s[0:1], vcc
	s_cbranch_execz .LBB271_4
; %bb.3:
	s_load_dwordx2 s[14:15], s[4:5], 0x8
	s_waitcnt lgkmcnt(0)
	s_mul_i32 s22, s16, s10
	s_ashr_i32 s23, s22, 31
	s_lshl_b64 s[22:23], s[22:23], 1
	v_lshlrev_b32_e32 v2, 2, v5
	s_add_u32 s6, s14, s22
	s_addc_u32 s16, s15, s23
	s_ashr_i32 s21, s20, 31
	s_lshl_b64 s[14:15], s[20:21], 1
	s_add_u32 s14, s6, s14
	s_addc_u32 s15, s16, s15
	global_load_dwordx2 v[0:1], v11, s[14:15]
	v_and_b32_e32 v2, 0xff8, v2
	v_mad_u32_u24 v2, v3, s7, v2
	s_waitcnt vmcnt(0)
	ds_write_b64 v2, v[0:1]
.LBB271_4:
	s_or_b64 exec, exec, s[0:1]
	s_waitcnt lgkmcnt(0)
	s_add_i32 s1, s30, 31
	s_ashr_i32 s6, s1, 31
	s_lshr_b32 s6, s6, 27
	s_add_i32 s1, s1, s6
	s_ashr_i32 s21, s1, 5
	s_xor_b32 s1, s2, s3
	s_mul_i32 s2, s13, s11
	s_sub_i32 s2, s12, s2
	s_add_i32 s3, s13, 1
	s_sub_i32 s6, s2, s11
	s_load_dwordx2 s[24:25], s[4:5], 0x28
	s_load_dword s0, s[4:5], 0x38
	s_cmp_ge_u32 s2, s11
	s_cselect_b32 s3, s3, s13
	s_cselect_b32 s2, s6, s2
	s_add_i32 s6, s3, 1
	s_cmp_ge_u32 s2, s11
	s_cselect_b32 s2, s6, s3
	v_lshrrev_b32_e32 v0, 6, v5
	s_xor_b32 s2, s2, s1
	s_waitcnt lgkmcnt(0)
	s_mul_i32 s26, s0, s10
	s_sub_i32 s16, s2, s1
	s_barrier
	s_ashr_i32 s27, s26, 31
	v_cmp_gt_i32_e64 s[0:1], s21, v0
	buffer_store_dword v0, off, s[48:51], 0 offset:12 ; 4-byte Folded Spill
	v_cmp_le_i32_e32 vcc, s21, v0
	v_mbcnt_lo_u32_b32 v4, -1, 0
                                        ; implicit-def: $vgpr0
                                        ; kill: killed $vgpr0
                                        ; implicit-def: $vgpr0
                                        ; implicit-def: $vgpr1
	s_and_saveexec_b64 s[2:3], vcc
	s_xor_b64 s[2:3], exec, s[2:3]
	s_cbranch_execz .LBB271_6
; %bb.5:
	v_mbcnt_hi_u32_b32 v0, -1, v4
	buffer_store_dword v0, off, s[48:51], 0 offset:348 ; 4-byte Folded Spill
	v_and_b32_e32 v0, 64, v0
	v_add_u32_e32 v1, 64, v0
                                        ; implicit-def: $vgpr3
                                        ; implicit-def: $vgpr4
.LBB271_6:
	s_or_saveexec_b64 s[6:7], s[2:3]
	s_load_dwordx2 s[22:23], s[4:5], 0x0
	s_load_dwordx2 s[28:29], s[4:5], 0x18
	s_load_dword s11, s[4:5], 0x88
	s_load_dwordx4 s[12:15], s[4:5], 0x58
	v_mov_b32_e32 v6, 0xff7fffff
	s_mul_i32 s16, s16, s18
	v_lshrrev_b32_e32 v2, 4, v5
	buffer_store_dword v2, off, s[48:51], 0 offset:368 ; 4-byte Folded Spill
	buffer_store_dword v5, off, s[48:51], 0 offset:364 ; 4-byte Folded Spill
	s_xor_b64 exec, exec, s[6:7]
	s_cbranch_execz .LBB271_588
; %bb.7:
	s_load_dwordx2 s[2:3], s[4:5], 0x10
	s_ashr_i32 s4, s16, 31
	v_bfe_u32 v0, v5, 1, 5
	v_lshlrev_b32_e32 v1, 4, v0
	buffer_store_dword v11, off, s[48:51], 0 offset:372 ; 4-byte Folded Spill
	s_waitcnt lgkmcnt(0)
	s_add_u32 s2, s2, s16
	s_addc_u32 s3, s3, s4
	v_mov_b32_e32 v5, s3
	v_add_co_u32_e32 v6, vcc, s2, v1
	v_addc_co_u32_e32 v7, vcc, 0, v5, vcc
	buffer_store_dword v6, off, s[48:51], 0 offset:356 ; 4-byte Folded Spill
	s_nop 0
	buffer_store_dword v7, off, s[48:51], 0 offset:360 ; 4-byte Folded Spill
	v_lshlrev_b32_e32 v1, 2, v3
	v_mul_u32_u24_e32 v17, 0xc0, v3
	v_cmp_eq_u32_e64 s[2:3], 0, v3
	buffer_load_dword v3, off, s[48:51], 0 offset:12 ; 4-byte Folded Reload
	s_sub_i32 s41, 1, s30
	buffer_store_dword v1, off, s[48:51], 0 ; 4-byte Folded Spill
	v_or_b32_e32 v1, 8, v1
	buffer_store_dword v1, off, s[48:51], 0 offset:4 ; 4-byte Folded Spill
	s_lshl_b64 s[18:19], s[26:27], 2
	s_add_u32 s18, s24, s18
	s_addc_u32 s19, s25, s19
	s_mov_b32 s40, s17
	v_mov_b32_e32 v2, 0
	v_cmp_neq_f32_e64 s[4:5], s33, 0
	s_movk_i32 s42, 0x80
	s_movk_i32 s43, 0x7f
	s_mov_b32 s44, 0x8000
	s_mov_b32 s45, 0xffffff
	s_waitcnt vmcnt(2)
	v_lshl_or_b32 v1, v3, 5, v0
	v_lshlrev_b32_e32 v0, 2, v0
	v_lshl_or_b32 v0, v3, 7, v0
	v_add_u32_e32 v0, 0x190, v0
	buffer_store_dword v0, off, s[48:51], 0 offset:152 ; 4-byte Folded Spill
	buffer_load_dword v0, off, s[48:51], 0 offset:368 ; 4-byte Folded Reload
	v_mov_b32_e32 v8, v3
	buffer_store_dword v1, off, s[48:51], 0 offset:148 ; 4-byte Folded Spill
	v_mov_b32_e32 v1, s19
	s_waitcnt vmcnt(1)
	v_and_b32_e32 v0, 60, v0
	v_add_co_u32_e32 v5, vcc, s18, v0
	v_mov_b32_e32 v0, 0xff7fffff
	v_addc_co_u32_e32 v6, vcc, 0, v1, vcc
	buffer_store_dword v0, off, s[48:51], 0 offset:352 ; 4-byte Folded Spill
	v_mbcnt_hi_u32_b32 v0, -1, v4
	v_mov_b32_e32 v3, v5
	s_mov_b64 s[18:19], 0
	v_mov_b32_e32 v4, v6
	buffer_store_dword v0, off, s[48:51], 0 offset:348 ; 4-byte Folded Spill
	s_branch .LBB271_9
.LBB271_8:                              ;   in Loop: Header=BB271_9 Depth=1
	s_or_b64 exec, exec, s[34:35]
	buffer_load_dword v3, off, s[48:51], 0 offset:148 ; 4-byte Folded Reload
	s_waitcnt vmcnt(1)
	v_add_u32_e32 v8, 2, v8
	v_cmp_le_i32_e32 vcc, s21, v8
	s_or_b64 s[18:19], vcc, s[18:19]
	s_waitcnt vmcnt(0)
	v_add_u32_e32 v3, 64, v3
	buffer_store_dword v3, off, s[48:51], 0 offset:148 ; 4-byte Folded Spill
	buffer_load_dword v3, off, s[48:51], 0 offset:152 ; 4-byte Folded Reload
	s_waitcnt vmcnt(0)
	v_add_u32_e32 v3, 0x100, v3
	buffer_store_dword v3, off, s[48:51], 0 offset:152 ; 4-byte Folded Spill
	buffer_load_dword v3, off, s[48:51], 0 offset:184 ; 4-byte Folded Reload
	s_waitcnt lgkmcnt(0)
	buffer_load_dword v4, off, s[48:51], 0 offset:188 ; 4-byte Folded Reload
	s_waitcnt vmcnt(1)
	v_add_co_u32_e32 v3, vcc, 8, v3
	s_waitcnt vmcnt(0)
	v_addc_co_u32_e32 v4, vcc, 0, v4, vcc
	s_andn2_b64 exec, exec, s[18:19]
	s_cbranch_execz .LBB271_587
.LBB271_9:                              ; =>This Inner Loop Header: Depth=1
	buffer_store_dword v8, off, s[48:51], 0 offset:192 ; 4-byte Folded Spill
	buffer_store_dword v3, off, s[48:51], 0 offset:184 ; 4-byte Folded Spill
	s_nop 0
	buffer_store_dword v4, off, s[48:51], 0 offset:188 ; 4-byte Folded Spill
	global_load_dword v0, v[3:4], off
	s_nop 0
	buffer_load_dword v3, off, s[48:51], 0 offset:356 ; 4-byte Folded Reload
	buffer_load_dword v4, off, s[48:51], 0 offset:360 ; 4-byte Folded Reload
	s_waitcnt vmcnt(0)
	v_mad_i64_i32 v[7:8], s[34:35], v0, s40, v[3:4]
	buffer_load_dword v0, off, s[48:51], 0  ; 4-byte Folded Reload
	s_waitcnt vmcnt(0)
	v_add_co_u32_e32 v9, vcc, v7, v0
	v_addc_co_u32_e32 v10, vcc, 0, v8, vcc
	global_load_dword v11, v[9:10], off
	global_load_dword v24, v2, s[12:13]
	v_mov_b32_e32 v0, 0
	buffer_store_dword v0, off, s[48:51], 0 offset:16 ; 4-byte Folded Spill
	s_waitcnt vmcnt(2)
	v_cmp_ne_u16_sdwa s[36:37], v11, v2 src0_sel:BYTE_0 src1_sel:DWORD
	s_and_saveexec_b64 s[34:35], s[36:37]
	s_cbranch_execz .LBB271_15
; %bb.10:                               ;   in Loop: Header=BB271_9 Depth=1
	v_cmp_ne_u16_sdwa s[38:39], v11, s42 src0_sel:BYTE_0 src1_sel:DWORD
	v_mov_b32_e32 v0, 0x8000
	buffer_store_dword v0, off, s[48:51], 0 offset:16 ; 4-byte Folded Spill
	s_and_saveexec_b64 s[36:37], s[38:39]
	s_cbranch_execz .LBB271_14
; %bb.11:                               ;   in Loop: Header=BB271_9 Depth=1
	v_and_b32_e32 v0, 0x7f, v11
	v_cmp_ne_u32_e32 vcc, s43, v0
	v_mov_b32_e32 v1, 0x7c01
	buffer_store_dword v1, off, s[48:51], 0 offset:16 ; 4-byte Folded Spill
	s_and_saveexec_b64 s[38:39], vcc
	s_cbranch_execz .LBB271_13
; %bb.12:                               ;   in Loop: Header=BB271_9 Depth=1
	v_and_b32_e32 v1, 7, v11
	v_ffbh_u32_e32 v3, v1
	v_min_u32_e32 v6, 32, v3
	v_subrev_u32_e32 v3, 28, v6
	v_lshlrev_b64 v[3:4], v3, v[11:12]
	v_lshrrev_b32_e32 v5, 3, v0
	v_sub_u32_e32 v4, 29, v6
	v_cmp_gt_u32_e32 vcc, 8, v0
	v_cndmask_b32_e32 v0, v5, v4, vcc
	v_mov_b32_e32 v5, 0x2000
	v_lshl_add_u32 v0, v0, 10, v5
	v_lshlrev_b32_e32 v4, 8, v11
	v_and_b32_e32 v3, 7, v3
	v_and_b32_e32 v0, 0xfc00, v0
	v_cndmask_b32_e32 v1, v1, v3, vcc
	v_and_or_b32 v0, v4, s44, v0
	v_lshl_or_b32 v0, v1, 7, v0
	buffer_store_dword v0, off, s[48:51], 0 offset:16 ; 4-byte Folded Spill
.LBB271_13:                             ;   in Loop: Header=BB271_9 Depth=1
	s_or_b64 exec, exec, s[38:39]
.LBB271_14:                             ;   in Loop: Header=BB271_9 Depth=1
	s_or_b64 exec, exec, s[36:37]
.LBB271_15:                             ;   in Loop: Header=BB271_9 Depth=1
	s_or_b64 exec, exec, s[34:35]
	v_lshrrev_b16_e32 v1, 8, v11
	v_mov_b32_e32 v0, 0
	v_cmp_ne_u16_e32 vcc, 0, v1
	buffer_store_dword v0, off, s[48:51], 0 offset:20 ; 4-byte Folded Spill
	v_mov_b32_e32 v0, 0
	buffer_store_dword v0, off, s[48:51], 0 offset:24 ; 4-byte Folded Spill
	s_and_saveexec_b64 s[34:35], vcc
	s_cbranch_execz .LBB271_21
; %bb.16:                               ;   in Loop: Header=BB271_9 Depth=1
	v_cmp_ne_u16_e32 vcc, s42, v1
	v_bfrev_b32_e32 v0, 1
	buffer_store_dword v0, off, s[48:51], 0 offset:24 ; 4-byte Folded Spill
	s_and_saveexec_b64 s[36:37], vcc
	s_cbranch_execz .LBB271_20
; %bb.17:                               ;   in Loop: Header=BB271_9 Depth=1
	v_and_b32_e32 v0, 0x7f, v1
	v_cmp_ne_u32_e32 vcc, s43, v0
	v_mov_b32_e32 v3, 0x7c010000
	buffer_store_dword v3, off, s[48:51], 0 offset:24 ; 4-byte Folded Spill
	s_and_saveexec_b64 s[38:39], vcc
	s_cbranch_execz .LBB271_19
; %bb.18:                               ;   in Loop: Header=BB271_9 Depth=1
	v_and_b32_e32 v5, 7, v1
	v_ffbh_u32_e32 v3, v5
	v_min_u32_e32 v12, 32, v3
	v_subrev_u32_e32 v3, 28, v12
	v_lshlrev_b64 v[3:4], v3, v[1:2]
	v_lshrrev_b32_e32 v6, 3, v0
	v_sub_u32_e32 v4, 29, v12
	v_cmp_gt_u32_e32 vcc, 8, v0
	v_cndmask_b32_e32 v0, v6, v4, vcc
	v_mov_b32_e32 v4, 0x2000
	v_lshlrev_b32_e32 v1, 8, v1
	v_lshl_add_u32 v0, v0, 10, v4
	v_and_b32_e32 v3, 7, v3
	v_and_or_b32 v0, v1, s44, v0
	v_cndmask_b32_e32 v3, v5, v3, vcc
	v_lshlrev_b32_e32 v0, 16, v0
	v_lshl_or_b32 v0, v3, 23, v0
	buffer_store_dword v0, off, s[48:51], 0 offset:24 ; 4-byte Folded Spill
.LBB271_19:                             ;   in Loop: Header=BB271_9 Depth=1
	s_or_b64 exec, exec, s[38:39]
.LBB271_20:                             ;   in Loop: Header=BB271_9 Depth=1
	s_or_b64 exec, exec, s[36:37]
.LBB271_21:                             ;   in Loop: Header=BB271_9 Depth=1
	s_or_b64 exec, exec, s[34:35]
	v_lshrrev_b32_e32 v1, 16, v11
	v_cmp_ne_u16_sdwa s[36:37], v1, v2 src0_sel:BYTE_0 src1_sel:DWORD
	s_and_saveexec_b64 s[34:35], s[36:37]
	s_cbranch_execz .LBB271_27
; %bb.22:                               ;   in Loop: Header=BB271_9 Depth=1
	v_cmp_ne_u16_sdwa s[38:39], v1, s42 src0_sel:BYTE_0 src1_sel:DWORD
	v_mov_b32_e32 v0, 0x8000
	buffer_store_dword v0, off, s[48:51], 0 offset:20 ; 4-byte Folded Spill
	s_and_saveexec_b64 s[36:37], s[38:39]
	s_cbranch_execz .LBB271_26
; %bb.23:                               ;   in Loop: Header=BB271_9 Depth=1
	v_bfe_u32 v0, v11, 16, 7
	v_cmp_ne_u32_e32 vcc, s43, v0
	v_mov_b32_e32 v3, 0x7c01
	buffer_store_dword v3, off, s[48:51], 0 offset:20 ; 4-byte Folded Spill
	s_and_saveexec_b64 s[38:39], vcc
	s_cbranch_execz .LBB271_25
; %bb.24:                               ;   in Loop: Header=BB271_9 Depth=1
	v_and_b32_e32 v5, 7, v1
	v_ffbh_u32_e32 v3, v5
	v_min_u32_e32 v12, 32, v3
	v_subrev_u32_e32 v3, 28, v12
	v_lshlrev_b64 v[3:4], v3, v[1:2]
	v_lshrrev_b32_e32 v6, 3, v0
	v_sub_u32_e32 v4, 29, v12
	v_cmp_gt_u32_e32 vcc, 8, v0
	v_cndmask_b32_e32 v0, v6, v4, vcc
	v_mov_b32_e32 v4, 0x2000
	v_lshl_add_u32 v0, v0, 10, v4
	v_lshlrev_b32_e32 v1, 8, v1
	v_and_b32_e32 v3, 7, v3
	v_and_b32_e32 v0, 0xfc00, v0
	v_cndmask_b32_e32 v3, v5, v3, vcc
	v_and_or_b32 v0, v1, s44, v0
	v_lshl_or_b32 v0, v3, 7, v0
	buffer_store_dword v0, off, s[48:51], 0 offset:20 ; 4-byte Folded Spill
.LBB271_25:                             ;   in Loop: Header=BB271_9 Depth=1
	s_or_b64 exec, exec, s[38:39]
.LBB271_26:                             ;   in Loop: Header=BB271_9 Depth=1
	s_or_b64 exec, exec, s[36:37]
.LBB271_27:                             ;   in Loop: Header=BB271_9 Depth=1
	s_or_b64 exec, exec, s[34:35]
	v_mov_b32_e32 v0, 0
	v_cmp_lt_u32_e32 vcc, s45, v11
	buffer_store_dword v0, off, s[48:51], 0 offset:28 ; 4-byte Folded Spill
	v_mov_b32_e32 v0, 0
	buffer_store_dword v0, off, s[48:51], 0 offset:156 ; 4-byte Folded Spill
	s_and_saveexec_b64 s[34:35], vcc
	s_cbranch_execz .LBB271_33
; %bb.28:                               ;   in Loop: Header=BB271_9 Depth=1
	v_lshrrev_b32_e32 v1, 24, v11
	v_cmp_ne_u32_e32 vcc, s42, v1
	v_bfrev_b32_e32 v3, 1
	s_and_saveexec_b64 s[36:37], vcc
	s_cbranch_execz .LBB271_32
; %bb.29:                               ;   in Loop: Header=BB271_9 Depth=1
	v_and_b32_e32 v0, 0x7f, v1
	v_cmp_ne_u32_e32 vcc, s43, v0
	v_mov_b32_e32 v3, 0x7c010000
	s_and_saveexec_b64 s[38:39], vcc
	s_cbranch_execz .LBB271_31
; %bb.30:                               ;   in Loop: Header=BB271_9 Depth=1
	v_and_b32_e32 v5, 7, v1
	v_ffbh_u32_e32 v3, v5
	v_min_u32_e32 v11, 32, v3
	v_subrev_u32_e32 v3, 28, v11
	v_lshlrev_b64 v[3:4], v3, v[1:2]
	v_lshrrev_b32_e32 v6, 3, v0
	v_sub_u32_e32 v4, 29, v11
	v_cmp_gt_u32_e32 vcc, 8, v0
	v_cndmask_b32_e32 v0, v6, v4, vcc
	v_mov_b32_e32 v4, 0x2000
	v_lshlrev_b32_e32 v1, 8, v1
	v_lshl_add_u32 v0, v0, 10, v4
	v_and_b32_e32 v3, 7, v3
	v_and_or_b32 v0, v1, s44, v0
	v_cndmask_b32_e32 v3, v5, v3, vcc
	v_lshlrev_b32_e32 v0, 16, v0
	v_lshl_or_b32 v3, v3, 23, v0
.LBB271_31:                             ;   in Loop: Header=BB271_9 Depth=1
	s_or_b64 exec, exec, s[38:39]
.LBB271_32:                             ;   in Loop: Header=BB271_9 Depth=1
	s_or_b64 exec, exec, s[36:37]
	buffer_store_dword v3, off, s[48:51], 0 offset:156 ; 4-byte Folded Spill
.LBB271_33:                             ;   in Loop: Header=BB271_9 Depth=1
	s_or_b64 exec, exec, s[34:35]
	global_load_dword v11, v[9:10], off offset:8
	s_waitcnt vmcnt(0)
	v_cmp_ne_u16_sdwa s[36:37], v11, v2 src0_sel:BYTE_0 src1_sel:DWORD
	s_and_saveexec_b64 s[34:35], s[36:37]
	s_cbranch_execz .LBB271_39
; %bb.34:                               ;   in Loop: Header=BB271_9 Depth=1
	v_cmp_ne_u16_sdwa s[38:39], v11, s42 src0_sel:BYTE_0 src1_sel:DWORD
	v_mov_b32_e32 v0, 0x8000
	buffer_store_dword v0, off, s[48:51], 0 offset:28 ; 4-byte Folded Spill
	s_and_saveexec_b64 s[36:37], s[38:39]
	s_cbranch_execz .LBB271_38
; %bb.35:                               ;   in Loop: Header=BB271_9 Depth=1
	v_and_b32_e32 v0, 0x7f, v11
	v_cmp_ne_u32_e32 vcc, s43, v0
	v_mov_b32_e32 v1, 0x7c01
	buffer_store_dword v1, off, s[48:51], 0 offset:28 ; 4-byte Folded Spill
	s_and_saveexec_b64 s[38:39], vcc
	s_cbranch_execz .LBB271_37
; %bb.36:                               ;   in Loop: Header=BB271_9 Depth=1
	v_and_b32_e32 v1, 7, v11
	v_ffbh_u32_e32 v3, v1
	v_min_u32_e32 v6, 32, v3
	v_subrev_u32_e32 v3, 28, v6
	v_lshlrev_b64 v[3:4], v3, v[11:12]
	v_lshrrev_b32_e32 v5, 3, v0
	v_sub_u32_e32 v4, 29, v6
	v_cmp_gt_u32_e32 vcc, 8, v0
	v_cndmask_b32_e32 v0, v5, v4, vcc
	v_mov_b32_e32 v5, 0x2000
	v_lshl_add_u32 v0, v0, 10, v5
	v_lshlrev_b32_e32 v4, 8, v11
	v_and_b32_e32 v3, 7, v3
	v_and_b32_e32 v0, 0xfc00, v0
	v_cndmask_b32_e32 v1, v1, v3, vcc
	v_and_or_b32 v0, v4, s44, v0
	v_lshl_or_b32 v0, v1, 7, v0
	buffer_store_dword v0, off, s[48:51], 0 offset:28 ; 4-byte Folded Spill
.LBB271_37:                             ;   in Loop: Header=BB271_9 Depth=1
	s_or_b64 exec, exec, s[38:39]
.LBB271_38:                             ;   in Loop: Header=BB271_9 Depth=1
	s_or_b64 exec, exec, s[36:37]
.LBB271_39:                             ;   in Loop: Header=BB271_9 Depth=1
	s_or_b64 exec, exec, s[34:35]
	v_lshrrev_b16_e32 v1, 8, v11
	v_mov_b32_e32 v0, 0
	v_cmp_ne_u16_e32 vcc, 0, v1
	buffer_store_dword v0, off, s[48:51], 0 offset:32 ; 4-byte Folded Spill
	v_mov_b32_e32 v0, 0
	buffer_store_dword v0, off, s[48:51], 0 offset:36 ; 4-byte Folded Spill
	s_and_saveexec_b64 s[34:35], vcc
	s_cbranch_execz .LBB271_45
; %bb.40:                               ;   in Loop: Header=BB271_9 Depth=1
	v_cmp_ne_u16_e32 vcc, s42, v1
	v_bfrev_b32_e32 v0, 1
	buffer_store_dword v0, off, s[48:51], 0 offset:36 ; 4-byte Folded Spill
	s_and_saveexec_b64 s[36:37], vcc
	s_cbranch_execz .LBB271_44
; %bb.41:                               ;   in Loop: Header=BB271_9 Depth=1
	v_and_b32_e32 v0, 0x7f, v1
	v_cmp_ne_u32_e32 vcc, s43, v0
	v_mov_b32_e32 v3, 0x7c010000
	buffer_store_dword v3, off, s[48:51], 0 offset:36 ; 4-byte Folded Spill
	s_and_saveexec_b64 s[38:39], vcc
	s_cbranch_execz .LBB271_43
; %bb.42:                               ;   in Loop: Header=BB271_9 Depth=1
	v_and_b32_e32 v5, 7, v1
	v_ffbh_u32_e32 v3, v5
	v_min_u32_e32 v12, 32, v3
	v_subrev_u32_e32 v3, 28, v12
	v_lshlrev_b64 v[3:4], v3, v[1:2]
	v_lshrrev_b32_e32 v6, 3, v0
	v_sub_u32_e32 v4, 29, v12
	v_cmp_gt_u32_e32 vcc, 8, v0
	v_cndmask_b32_e32 v0, v6, v4, vcc
	v_mov_b32_e32 v4, 0x2000
	v_lshlrev_b32_e32 v1, 8, v1
	v_lshl_add_u32 v0, v0, 10, v4
	v_and_b32_e32 v3, 7, v3
	v_and_or_b32 v0, v1, s44, v0
	v_cndmask_b32_e32 v3, v5, v3, vcc
	v_lshlrev_b32_e32 v0, 16, v0
	v_lshl_or_b32 v0, v3, 23, v0
	buffer_store_dword v0, off, s[48:51], 0 offset:36 ; 4-byte Folded Spill
.LBB271_43:                             ;   in Loop: Header=BB271_9 Depth=1
	s_or_b64 exec, exec, s[38:39]
.LBB271_44:                             ;   in Loop: Header=BB271_9 Depth=1
	s_or_b64 exec, exec, s[36:37]
.LBB271_45:                             ;   in Loop: Header=BB271_9 Depth=1
	s_or_b64 exec, exec, s[34:35]
	v_lshrrev_b32_e32 v1, 16, v11
	v_cmp_ne_u16_sdwa s[36:37], v1, v2 src0_sel:BYTE_0 src1_sel:DWORD
	s_and_saveexec_b64 s[34:35], s[36:37]
	s_cbranch_execz .LBB271_51
; %bb.46:                               ;   in Loop: Header=BB271_9 Depth=1
	v_cmp_ne_u16_sdwa s[38:39], v1, s42 src0_sel:BYTE_0 src1_sel:DWORD
	v_mov_b32_e32 v0, 0x8000
	buffer_store_dword v0, off, s[48:51], 0 offset:32 ; 4-byte Folded Spill
	s_and_saveexec_b64 s[36:37], s[38:39]
	s_cbranch_execz .LBB271_50
; %bb.47:                               ;   in Loop: Header=BB271_9 Depth=1
	v_bfe_u32 v0, v11, 16, 7
	v_cmp_ne_u32_e32 vcc, s43, v0
	v_mov_b32_e32 v3, 0x7c01
	buffer_store_dword v3, off, s[48:51], 0 offset:32 ; 4-byte Folded Spill
	s_and_saveexec_b64 s[38:39], vcc
	s_cbranch_execz .LBB271_49
; %bb.48:                               ;   in Loop: Header=BB271_9 Depth=1
	v_and_b32_e32 v5, 7, v1
	v_ffbh_u32_e32 v3, v5
	v_min_u32_e32 v12, 32, v3
	v_subrev_u32_e32 v3, 28, v12
	v_lshlrev_b64 v[3:4], v3, v[1:2]
	v_lshrrev_b32_e32 v6, 3, v0
	v_sub_u32_e32 v4, 29, v12
	v_cmp_gt_u32_e32 vcc, 8, v0
	v_cndmask_b32_e32 v0, v6, v4, vcc
	v_mov_b32_e32 v4, 0x2000
	v_lshl_add_u32 v0, v0, 10, v4
	v_lshlrev_b32_e32 v1, 8, v1
	v_and_b32_e32 v3, 7, v3
	v_and_b32_e32 v0, 0xfc00, v0
	v_cndmask_b32_e32 v3, v5, v3, vcc
	v_and_or_b32 v0, v1, s44, v0
	v_lshl_or_b32 v0, v3, 7, v0
	buffer_store_dword v0, off, s[48:51], 0 offset:32 ; 4-byte Folded Spill
.LBB271_49:                             ;   in Loop: Header=BB271_9 Depth=1
	s_or_b64 exec, exec, s[38:39]
.LBB271_50:                             ;   in Loop: Header=BB271_9 Depth=1
	s_or_b64 exec, exec, s[36:37]
.LBB271_51:                             ;   in Loop: Header=BB271_9 Depth=1
	s_or_b64 exec, exec, s[34:35]
	v_mov_b32_e32 v0, 0
	v_cmp_lt_u32_e32 vcc, s45, v11
	buffer_store_dword v0, off, s[48:51], 0 offset:40 ; 4-byte Folded Spill
	v_mov_b32_e32 v0, 0
	buffer_store_dword v0, off, s[48:51], 0 offset:160 ; 4-byte Folded Spill
	s_and_saveexec_b64 s[34:35], vcc
	s_cbranch_execz .LBB271_57
; %bb.52:                               ;   in Loop: Header=BB271_9 Depth=1
	v_lshrrev_b32_e32 v1, 24, v11
	v_cmp_ne_u32_e32 vcc, s42, v1
	v_bfrev_b32_e32 v3, 1
	s_and_saveexec_b64 s[36:37], vcc
	s_cbranch_execz .LBB271_56
; %bb.53:                               ;   in Loop: Header=BB271_9 Depth=1
	v_and_b32_e32 v0, 0x7f, v1
	v_cmp_ne_u32_e32 vcc, s43, v0
	v_mov_b32_e32 v3, 0x7c010000
	s_and_saveexec_b64 s[38:39], vcc
	s_cbranch_execz .LBB271_55
; %bb.54:                               ;   in Loop: Header=BB271_9 Depth=1
	v_and_b32_e32 v5, 7, v1
	v_ffbh_u32_e32 v3, v5
	v_min_u32_e32 v11, 32, v3
	v_subrev_u32_e32 v3, 28, v11
	v_lshlrev_b64 v[3:4], v3, v[1:2]
	v_lshrrev_b32_e32 v6, 3, v0
	v_sub_u32_e32 v4, 29, v11
	v_cmp_gt_u32_e32 vcc, 8, v0
	v_cndmask_b32_e32 v0, v6, v4, vcc
	v_mov_b32_e32 v4, 0x2000
	v_lshlrev_b32_e32 v1, 8, v1
	v_lshl_add_u32 v0, v0, 10, v4
	v_and_b32_e32 v3, 7, v3
	v_and_or_b32 v0, v1, s44, v0
	v_cndmask_b32_e32 v3, v5, v3, vcc
	v_lshlrev_b32_e32 v0, 16, v0
	v_lshl_or_b32 v3, v3, 23, v0
.LBB271_55:                             ;   in Loop: Header=BB271_9 Depth=1
	s_or_b64 exec, exec, s[38:39]
.LBB271_56:                             ;   in Loop: Header=BB271_9 Depth=1
	s_or_b64 exec, exec, s[36:37]
	buffer_store_dword v3, off, s[48:51], 0 offset:160 ; 4-byte Folded Spill
.LBB271_57:                             ;   in Loop: Header=BB271_9 Depth=1
	s_or_b64 exec, exec, s[34:35]
	global_load_dword v11, v[9:10], off offset:512
	s_waitcnt vmcnt(0)
	v_cmp_ne_u16_sdwa s[36:37], v11, v2 src0_sel:BYTE_0 src1_sel:DWORD
	s_and_saveexec_b64 s[34:35], s[36:37]
	s_cbranch_execz .LBB271_63
; %bb.58:                               ;   in Loop: Header=BB271_9 Depth=1
	v_cmp_ne_u16_sdwa s[38:39], v11, s42 src0_sel:BYTE_0 src1_sel:DWORD
	v_mov_b32_e32 v0, 0x8000
	buffer_store_dword v0, off, s[48:51], 0 offset:40 ; 4-byte Folded Spill
	s_and_saveexec_b64 s[36:37], s[38:39]
	s_cbranch_execz .LBB271_62
; %bb.59:                               ;   in Loop: Header=BB271_9 Depth=1
	v_and_b32_e32 v0, 0x7f, v11
	v_cmp_ne_u32_e32 vcc, s43, v0
	v_mov_b32_e32 v1, 0x7c01
	buffer_store_dword v1, off, s[48:51], 0 offset:40 ; 4-byte Folded Spill
	s_and_saveexec_b64 s[38:39], vcc
	s_cbranch_execz .LBB271_61
; %bb.60:                               ;   in Loop: Header=BB271_9 Depth=1
	v_and_b32_e32 v1, 7, v11
	v_ffbh_u32_e32 v3, v1
	v_min_u32_e32 v6, 32, v3
	v_subrev_u32_e32 v3, 28, v6
	v_lshlrev_b64 v[3:4], v3, v[11:12]
	v_lshrrev_b32_e32 v5, 3, v0
	v_sub_u32_e32 v4, 29, v6
	v_cmp_gt_u32_e32 vcc, 8, v0
	v_cndmask_b32_e32 v0, v5, v4, vcc
	v_mov_b32_e32 v5, 0x2000
	v_lshl_add_u32 v0, v0, 10, v5
	v_lshlrev_b32_e32 v4, 8, v11
	v_and_b32_e32 v3, 7, v3
	v_and_b32_e32 v0, 0xfc00, v0
	v_cndmask_b32_e32 v1, v1, v3, vcc
	v_and_or_b32 v0, v4, s44, v0
	v_lshl_or_b32 v0, v1, 7, v0
	buffer_store_dword v0, off, s[48:51], 0 offset:40 ; 4-byte Folded Spill
.LBB271_61:                             ;   in Loop: Header=BB271_9 Depth=1
	s_or_b64 exec, exec, s[38:39]
.LBB271_62:                             ;   in Loop: Header=BB271_9 Depth=1
	s_or_b64 exec, exec, s[36:37]
.LBB271_63:                             ;   in Loop: Header=BB271_9 Depth=1
	s_or_b64 exec, exec, s[34:35]
	v_lshrrev_b16_e32 v1, 8, v11
	v_mov_b32_e32 v0, 0
	v_cmp_ne_u16_e32 vcc, 0, v1
	buffer_store_dword v0, off, s[48:51], 0 offset:44 ; 4-byte Folded Spill
	v_mov_b32_e32 v0, 0
	buffer_store_dword v0, off, s[48:51], 0 offset:48 ; 4-byte Folded Spill
	s_and_saveexec_b64 s[34:35], vcc
	s_cbranch_execz .LBB271_69
; %bb.64:                               ;   in Loop: Header=BB271_9 Depth=1
	v_cmp_ne_u16_e32 vcc, s42, v1
	v_bfrev_b32_e32 v0, 1
	buffer_store_dword v0, off, s[48:51], 0 offset:48 ; 4-byte Folded Spill
	s_and_saveexec_b64 s[36:37], vcc
	s_cbranch_execz .LBB271_68
; %bb.65:                               ;   in Loop: Header=BB271_9 Depth=1
	v_and_b32_e32 v0, 0x7f, v1
	v_cmp_ne_u32_e32 vcc, s43, v0
	v_mov_b32_e32 v3, 0x7c010000
	buffer_store_dword v3, off, s[48:51], 0 offset:48 ; 4-byte Folded Spill
	s_and_saveexec_b64 s[38:39], vcc
	s_cbranch_execz .LBB271_67
; %bb.66:                               ;   in Loop: Header=BB271_9 Depth=1
	v_and_b32_e32 v5, 7, v1
	v_ffbh_u32_e32 v3, v5
	v_min_u32_e32 v12, 32, v3
	v_subrev_u32_e32 v3, 28, v12
	v_lshlrev_b64 v[3:4], v3, v[1:2]
	v_lshrrev_b32_e32 v6, 3, v0
	v_sub_u32_e32 v4, 29, v12
	v_cmp_gt_u32_e32 vcc, 8, v0
	v_cndmask_b32_e32 v0, v6, v4, vcc
	v_mov_b32_e32 v4, 0x2000
	v_lshlrev_b32_e32 v1, 8, v1
	v_lshl_add_u32 v0, v0, 10, v4
	v_and_b32_e32 v3, 7, v3
	v_and_or_b32 v0, v1, s44, v0
	v_cndmask_b32_e32 v3, v5, v3, vcc
	v_lshlrev_b32_e32 v0, 16, v0
	v_lshl_or_b32 v0, v3, 23, v0
	buffer_store_dword v0, off, s[48:51], 0 offset:48 ; 4-byte Folded Spill
.LBB271_67:                             ;   in Loop: Header=BB271_9 Depth=1
	s_or_b64 exec, exec, s[38:39]
.LBB271_68:                             ;   in Loop: Header=BB271_9 Depth=1
	s_or_b64 exec, exec, s[36:37]
.LBB271_69:                             ;   in Loop: Header=BB271_9 Depth=1
	s_or_b64 exec, exec, s[34:35]
	v_lshrrev_b32_e32 v1, 16, v11
	v_cmp_ne_u16_sdwa s[36:37], v1, v2 src0_sel:BYTE_0 src1_sel:DWORD
	s_and_saveexec_b64 s[34:35], s[36:37]
	s_cbranch_execz .LBB271_75
; %bb.70:                               ;   in Loop: Header=BB271_9 Depth=1
	v_cmp_ne_u16_sdwa s[38:39], v1, s42 src0_sel:BYTE_0 src1_sel:DWORD
	v_mov_b32_e32 v0, 0x8000
	buffer_store_dword v0, off, s[48:51], 0 offset:44 ; 4-byte Folded Spill
	s_and_saveexec_b64 s[36:37], s[38:39]
	s_cbranch_execz .LBB271_74
; %bb.71:                               ;   in Loop: Header=BB271_9 Depth=1
	v_bfe_u32 v0, v11, 16, 7
	v_cmp_ne_u32_e32 vcc, s43, v0
	v_mov_b32_e32 v3, 0x7c01
	buffer_store_dword v3, off, s[48:51], 0 offset:44 ; 4-byte Folded Spill
	s_and_saveexec_b64 s[38:39], vcc
	s_cbranch_execz .LBB271_73
; %bb.72:                               ;   in Loop: Header=BB271_9 Depth=1
	v_and_b32_e32 v5, 7, v1
	v_ffbh_u32_e32 v3, v5
	v_min_u32_e32 v12, 32, v3
	v_subrev_u32_e32 v3, 28, v12
	v_lshlrev_b64 v[3:4], v3, v[1:2]
	v_lshrrev_b32_e32 v6, 3, v0
	v_sub_u32_e32 v4, 29, v12
	v_cmp_gt_u32_e32 vcc, 8, v0
	v_cndmask_b32_e32 v0, v6, v4, vcc
	v_mov_b32_e32 v4, 0x2000
	v_lshl_add_u32 v0, v0, 10, v4
	v_lshlrev_b32_e32 v1, 8, v1
	v_and_b32_e32 v3, 7, v3
	v_and_b32_e32 v0, 0xfc00, v0
	v_cndmask_b32_e32 v3, v5, v3, vcc
	v_and_or_b32 v0, v1, s44, v0
	v_lshl_or_b32 v0, v3, 7, v0
	buffer_store_dword v0, off, s[48:51], 0 offset:44 ; 4-byte Folded Spill
.LBB271_73:                             ;   in Loop: Header=BB271_9 Depth=1
	s_or_b64 exec, exec, s[38:39]
.LBB271_74:                             ;   in Loop: Header=BB271_9 Depth=1
	s_or_b64 exec, exec, s[36:37]
.LBB271_75:                             ;   in Loop: Header=BB271_9 Depth=1
	s_or_b64 exec, exec, s[34:35]
	v_mov_b32_e32 v0, 0
	v_cmp_lt_u32_e32 vcc, s45, v11
	buffer_store_dword v0, off, s[48:51], 0 offset:52 ; 4-byte Folded Spill
	v_mov_b32_e32 v0, 0
	buffer_store_dword v0, off, s[48:51], 0 offset:164 ; 4-byte Folded Spill
	s_and_saveexec_b64 s[34:35], vcc
	s_cbranch_execz .LBB271_81
; %bb.76:                               ;   in Loop: Header=BB271_9 Depth=1
	v_lshrrev_b32_e32 v1, 24, v11
	v_cmp_ne_u32_e32 vcc, s42, v1
	v_bfrev_b32_e32 v3, 1
	s_and_saveexec_b64 s[36:37], vcc
	s_cbranch_execz .LBB271_80
; %bb.77:                               ;   in Loop: Header=BB271_9 Depth=1
	v_and_b32_e32 v0, 0x7f, v1
	v_cmp_ne_u32_e32 vcc, s43, v0
	v_mov_b32_e32 v3, 0x7c010000
	s_and_saveexec_b64 s[38:39], vcc
	s_cbranch_execz .LBB271_79
; %bb.78:                               ;   in Loop: Header=BB271_9 Depth=1
	v_and_b32_e32 v5, 7, v1
	v_ffbh_u32_e32 v3, v5
	v_min_u32_e32 v11, 32, v3
	v_subrev_u32_e32 v3, 28, v11
	v_lshlrev_b64 v[3:4], v3, v[1:2]
	v_lshrrev_b32_e32 v6, 3, v0
	v_sub_u32_e32 v4, 29, v11
	v_cmp_gt_u32_e32 vcc, 8, v0
	v_cndmask_b32_e32 v0, v6, v4, vcc
	v_mov_b32_e32 v4, 0x2000
	v_lshlrev_b32_e32 v1, 8, v1
	v_lshl_add_u32 v0, v0, 10, v4
	v_and_b32_e32 v3, 7, v3
	v_and_or_b32 v0, v1, s44, v0
	v_cndmask_b32_e32 v3, v5, v3, vcc
	v_lshlrev_b32_e32 v0, 16, v0
	v_lshl_or_b32 v3, v3, 23, v0
.LBB271_79:                             ;   in Loop: Header=BB271_9 Depth=1
	s_or_b64 exec, exec, s[38:39]
.LBB271_80:                             ;   in Loop: Header=BB271_9 Depth=1
	s_or_b64 exec, exec, s[36:37]
	buffer_store_dword v3, off, s[48:51], 0 offset:164 ; 4-byte Folded Spill
.LBB271_81:                             ;   in Loop: Header=BB271_9 Depth=1
	s_or_b64 exec, exec, s[34:35]
	global_load_dword v11, v[9:10], off offset:520
	s_waitcnt vmcnt(0)
	v_cmp_ne_u16_sdwa s[36:37], v11, v2 src0_sel:BYTE_0 src1_sel:DWORD
	s_and_saveexec_b64 s[34:35], s[36:37]
	s_cbranch_execz .LBB271_87
; %bb.82:                               ;   in Loop: Header=BB271_9 Depth=1
	v_cmp_ne_u16_sdwa s[38:39], v11, s42 src0_sel:BYTE_0 src1_sel:DWORD
	v_mov_b32_e32 v0, 0x8000
	buffer_store_dword v0, off, s[48:51], 0 offset:52 ; 4-byte Folded Spill
	s_and_saveexec_b64 s[36:37], s[38:39]
	s_cbranch_execz .LBB271_86
; %bb.83:                               ;   in Loop: Header=BB271_9 Depth=1
	v_and_b32_e32 v0, 0x7f, v11
	v_cmp_ne_u32_e32 vcc, s43, v0
	v_mov_b32_e32 v1, 0x7c01
	buffer_store_dword v1, off, s[48:51], 0 offset:52 ; 4-byte Folded Spill
	s_and_saveexec_b64 s[38:39], vcc
	s_cbranch_execz .LBB271_85
; %bb.84:                               ;   in Loop: Header=BB271_9 Depth=1
	v_and_b32_e32 v1, 7, v11
	v_ffbh_u32_e32 v3, v1
	v_min_u32_e32 v6, 32, v3
	v_subrev_u32_e32 v3, 28, v6
	v_lshlrev_b64 v[3:4], v3, v[11:12]
	v_lshrrev_b32_e32 v5, 3, v0
	v_sub_u32_e32 v4, 29, v6
	v_cmp_gt_u32_e32 vcc, 8, v0
	v_cndmask_b32_e32 v0, v5, v4, vcc
	v_mov_b32_e32 v5, 0x2000
	v_lshl_add_u32 v0, v0, 10, v5
	v_lshlrev_b32_e32 v4, 8, v11
	v_and_b32_e32 v3, 7, v3
	v_and_b32_e32 v0, 0xfc00, v0
	v_cndmask_b32_e32 v1, v1, v3, vcc
	v_and_or_b32 v0, v4, s44, v0
	v_lshl_or_b32 v0, v1, 7, v0
	buffer_store_dword v0, off, s[48:51], 0 offset:52 ; 4-byte Folded Spill
.LBB271_85:                             ;   in Loop: Header=BB271_9 Depth=1
	s_or_b64 exec, exec, s[38:39]
.LBB271_86:                             ;   in Loop: Header=BB271_9 Depth=1
	s_or_b64 exec, exec, s[36:37]
.LBB271_87:                             ;   in Loop: Header=BB271_9 Depth=1
	s_or_b64 exec, exec, s[34:35]
	v_lshrrev_b16_e32 v1, 8, v11
	v_mov_b32_e32 v0, 0
	v_cmp_ne_u16_e32 vcc, 0, v1
	buffer_store_dword v0, off, s[48:51], 0 offset:56 ; 4-byte Folded Spill
	v_mov_b32_e32 v0, 0
	buffer_store_dword v0, off, s[48:51], 0 offset:60 ; 4-byte Folded Spill
	s_and_saveexec_b64 s[34:35], vcc
	s_cbranch_execz .LBB271_93
; %bb.88:                               ;   in Loop: Header=BB271_9 Depth=1
	v_cmp_ne_u16_e32 vcc, s42, v1
	v_bfrev_b32_e32 v0, 1
	buffer_store_dword v0, off, s[48:51], 0 offset:60 ; 4-byte Folded Spill
	s_and_saveexec_b64 s[36:37], vcc
	s_cbranch_execz .LBB271_92
; %bb.89:                               ;   in Loop: Header=BB271_9 Depth=1
	v_and_b32_e32 v0, 0x7f, v1
	v_cmp_ne_u32_e32 vcc, s43, v0
	v_mov_b32_e32 v3, 0x7c010000
	buffer_store_dword v3, off, s[48:51], 0 offset:60 ; 4-byte Folded Spill
	s_and_saveexec_b64 s[38:39], vcc
	s_cbranch_execz .LBB271_91
; %bb.90:                               ;   in Loop: Header=BB271_9 Depth=1
	v_and_b32_e32 v5, 7, v1
	v_ffbh_u32_e32 v3, v5
	v_min_u32_e32 v12, 32, v3
	v_subrev_u32_e32 v3, 28, v12
	v_lshlrev_b64 v[3:4], v3, v[1:2]
	v_lshrrev_b32_e32 v6, 3, v0
	v_sub_u32_e32 v4, 29, v12
	v_cmp_gt_u32_e32 vcc, 8, v0
	v_cndmask_b32_e32 v0, v6, v4, vcc
	v_mov_b32_e32 v4, 0x2000
	v_lshlrev_b32_e32 v1, 8, v1
	v_lshl_add_u32 v0, v0, 10, v4
	v_and_b32_e32 v3, 7, v3
	v_and_or_b32 v0, v1, s44, v0
	v_cndmask_b32_e32 v3, v5, v3, vcc
	v_lshlrev_b32_e32 v0, 16, v0
	v_lshl_or_b32 v0, v3, 23, v0
	buffer_store_dword v0, off, s[48:51], 0 offset:60 ; 4-byte Folded Spill
.LBB271_91:                             ;   in Loop: Header=BB271_9 Depth=1
	s_or_b64 exec, exec, s[38:39]
.LBB271_92:                             ;   in Loop: Header=BB271_9 Depth=1
	s_or_b64 exec, exec, s[36:37]
.LBB271_93:                             ;   in Loop: Header=BB271_9 Depth=1
	s_or_b64 exec, exec, s[34:35]
	v_lshrrev_b32_e32 v1, 16, v11
	v_cmp_ne_u16_sdwa s[36:37], v1, v2 src0_sel:BYTE_0 src1_sel:DWORD
	s_and_saveexec_b64 s[34:35], s[36:37]
	s_cbranch_execz .LBB271_99
; %bb.94:                               ;   in Loop: Header=BB271_9 Depth=1
	v_cmp_ne_u16_sdwa s[38:39], v1, s42 src0_sel:BYTE_0 src1_sel:DWORD
	v_mov_b32_e32 v0, 0x8000
	buffer_store_dword v0, off, s[48:51], 0 offset:56 ; 4-byte Folded Spill
	s_and_saveexec_b64 s[36:37], s[38:39]
	s_cbranch_execz .LBB271_98
; %bb.95:                               ;   in Loop: Header=BB271_9 Depth=1
	v_bfe_u32 v0, v11, 16, 7
	v_cmp_ne_u32_e32 vcc, s43, v0
	v_mov_b32_e32 v3, 0x7c01
	buffer_store_dword v3, off, s[48:51], 0 offset:56 ; 4-byte Folded Spill
	s_and_saveexec_b64 s[38:39], vcc
	s_cbranch_execz .LBB271_97
; %bb.96:                               ;   in Loop: Header=BB271_9 Depth=1
	v_and_b32_e32 v5, 7, v1
	v_ffbh_u32_e32 v3, v5
	v_min_u32_e32 v12, 32, v3
	v_subrev_u32_e32 v3, 28, v12
	v_lshlrev_b64 v[3:4], v3, v[1:2]
	v_lshrrev_b32_e32 v6, 3, v0
	v_sub_u32_e32 v4, 29, v12
	v_cmp_gt_u32_e32 vcc, 8, v0
	v_cndmask_b32_e32 v0, v6, v4, vcc
	v_mov_b32_e32 v4, 0x2000
	v_lshl_add_u32 v0, v0, 10, v4
	v_lshlrev_b32_e32 v1, 8, v1
	v_and_b32_e32 v3, 7, v3
	v_and_b32_e32 v0, 0xfc00, v0
	v_cndmask_b32_e32 v3, v5, v3, vcc
	v_and_or_b32 v0, v1, s44, v0
	v_lshl_or_b32 v0, v3, 7, v0
	buffer_store_dword v0, off, s[48:51], 0 offset:56 ; 4-byte Folded Spill
.LBB271_97:                             ;   in Loop: Header=BB271_9 Depth=1
	s_or_b64 exec, exec, s[38:39]
.LBB271_98:                             ;   in Loop: Header=BB271_9 Depth=1
	s_or_b64 exec, exec, s[36:37]
.LBB271_99:                             ;   in Loop: Header=BB271_9 Depth=1
	s_or_b64 exec, exec, s[34:35]
	v_mov_b32_e32 v0, 0
	v_cmp_lt_u32_e32 vcc, s45, v11
	buffer_store_dword v0, off, s[48:51], 0 offset:64 ; 4-byte Folded Spill
	v_mov_b32_e32 v0, 0
	buffer_store_dword v0, off, s[48:51], 0 offset:168 ; 4-byte Folded Spill
	s_and_saveexec_b64 s[34:35], vcc
	s_cbranch_execz .LBB271_105
; %bb.100:                              ;   in Loop: Header=BB271_9 Depth=1
	v_lshrrev_b32_e32 v1, 24, v11
	v_cmp_ne_u32_e32 vcc, s42, v1
	v_bfrev_b32_e32 v3, 1
	s_and_saveexec_b64 s[36:37], vcc
	s_cbranch_execz .LBB271_104
; %bb.101:                              ;   in Loop: Header=BB271_9 Depth=1
	v_and_b32_e32 v0, 0x7f, v1
	v_cmp_ne_u32_e32 vcc, s43, v0
	v_mov_b32_e32 v3, 0x7c010000
	s_and_saveexec_b64 s[38:39], vcc
	s_cbranch_execz .LBB271_103
; %bb.102:                              ;   in Loop: Header=BB271_9 Depth=1
	v_and_b32_e32 v5, 7, v1
	v_ffbh_u32_e32 v3, v5
	v_min_u32_e32 v11, 32, v3
	v_subrev_u32_e32 v3, 28, v11
	v_lshlrev_b64 v[3:4], v3, v[1:2]
	v_lshrrev_b32_e32 v6, 3, v0
	v_sub_u32_e32 v4, 29, v11
	v_cmp_gt_u32_e32 vcc, 8, v0
	v_cndmask_b32_e32 v0, v6, v4, vcc
	v_mov_b32_e32 v4, 0x2000
	v_lshlrev_b32_e32 v1, 8, v1
	v_lshl_add_u32 v0, v0, 10, v4
	v_and_b32_e32 v3, 7, v3
	v_and_or_b32 v0, v1, s44, v0
	v_cndmask_b32_e32 v3, v5, v3, vcc
	v_lshlrev_b32_e32 v0, 16, v0
	v_lshl_or_b32 v3, v3, 23, v0
.LBB271_103:                            ;   in Loop: Header=BB271_9 Depth=1
	s_or_b64 exec, exec, s[38:39]
.LBB271_104:                            ;   in Loop: Header=BB271_9 Depth=1
	s_or_b64 exec, exec, s[36:37]
	buffer_store_dword v3, off, s[48:51], 0 offset:168 ; 4-byte Folded Spill
.LBB271_105:                            ;   in Loop: Header=BB271_9 Depth=1
	s_or_b64 exec, exec, s[34:35]
	global_load_dword v11, v[9:10], off offset:1024
	s_waitcnt vmcnt(0)
	v_cmp_ne_u16_sdwa s[36:37], v11, v2 src0_sel:BYTE_0 src1_sel:DWORD
	s_and_saveexec_b64 s[34:35], s[36:37]
	s_cbranch_execz .LBB271_111
; %bb.106:                              ;   in Loop: Header=BB271_9 Depth=1
	v_cmp_ne_u16_sdwa s[38:39], v11, s42 src0_sel:BYTE_0 src1_sel:DWORD
	v_mov_b32_e32 v0, 0x8000
	buffer_store_dword v0, off, s[48:51], 0 offset:64 ; 4-byte Folded Spill
	s_and_saveexec_b64 s[36:37], s[38:39]
	s_cbranch_execz .LBB271_110
; %bb.107:                              ;   in Loop: Header=BB271_9 Depth=1
	v_and_b32_e32 v0, 0x7f, v11
	v_cmp_ne_u32_e32 vcc, s43, v0
	v_mov_b32_e32 v1, 0x7c01
	buffer_store_dword v1, off, s[48:51], 0 offset:64 ; 4-byte Folded Spill
	s_and_saveexec_b64 s[38:39], vcc
	s_cbranch_execz .LBB271_109
; %bb.108:                              ;   in Loop: Header=BB271_9 Depth=1
	v_and_b32_e32 v1, 7, v11
	v_ffbh_u32_e32 v3, v1
	v_min_u32_e32 v6, 32, v3
	v_subrev_u32_e32 v3, 28, v6
	v_lshlrev_b64 v[3:4], v3, v[11:12]
	v_lshrrev_b32_e32 v5, 3, v0
	v_sub_u32_e32 v4, 29, v6
	v_cmp_gt_u32_e32 vcc, 8, v0
	v_cndmask_b32_e32 v0, v5, v4, vcc
	v_mov_b32_e32 v5, 0x2000
	v_lshl_add_u32 v0, v0, 10, v5
	v_lshlrev_b32_e32 v4, 8, v11
	v_and_b32_e32 v3, 7, v3
	v_and_b32_e32 v0, 0xfc00, v0
	v_cndmask_b32_e32 v1, v1, v3, vcc
	v_and_or_b32 v0, v4, s44, v0
	v_lshl_or_b32 v0, v1, 7, v0
	buffer_store_dword v0, off, s[48:51], 0 offset:64 ; 4-byte Folded Spill
.LBB271_109:                            ;   in Loop: Header=BB271_9 Depth=1
	s_or_b64 exec, exec, s[38:39]
.LBB271_110:                            ;   in Loop: Header=BB271_9 Depth=1
	s_or_b64 exec, exec, s[36:37]
.LBB271_111:                            ;   in Loop: Header=BB271_9 Depth=1
	s_or_b64 exec, exec, s[34:35]
	v_lshrrev_b16_e32 v1, 8, v11
	v_mov_b32_e32 v0, 0
	v_cmp_ne_u16_e32 vcc, 0, v1
	buffer_store_dword v0, off, s[48:51], 0 offset:68 ; 4-byte Folded Spill
	v_mov_b32_e32 v0, 0
	buffer_store_dword v0, off, s[48:51], 0 offset:72 ; 4-byte Folded Spill
	s_and_saveexec_b64 s[34:35], vcc
	s_cbranch_execz .LBB271_117
; %bb.112:                              ;   in Loop: Header=BB271_9 Depth=1
	v_cmp_ne_u16_e32 vcc, s42, v1
	v_bfrev_b32_e32 v0, 1
	buffer_store_dword v0, off, s[48:51], 0 offset:72 ; 4-byte Folded Spill
	s_and_saveexec_b64 s[36:37], vcc
	s_cbranch_execz .LBB271_116
; %bb.113:                              ;   in Loop: Header=BB271_9 Depth=1
	v_and_b32_e32 v0, 0x7f, v1
	v_cmp_ne_u32_e32 vcc, s43, v0
	v_mov_b32_e32 v3, 0x7c010000
	buffer_store_dword v3, off, s[48:51], 0 offset:72 ; 4-byte Folded Spill
	s_and_saveexec_b64 s[38:39], vcc
	s_cbranch_execz .LBB271_115
; %bb.114:                              ;   in Loop: Header=BB271_9 Depth=1
	v_and_b32_e32 v5, 7, v1
	v_ffbh_u32_e32 v3, v5
	v_min_u32_e32 v12, 32, v3
	v_subrev_u32_e32 v3, 28, v12
	v_lshlrev_b64 v[3:4], v3, v[1:2]
	v_lshrrev_b32_e32 v6, 3, v0
	v_sub_u32_e32 v4, 29, v12
	v_cmp_gt_u32_e32 vcc, 8, v0
	v_cndmask_b32_e32 v0, v6, v4, vcc
	v_mov_b32_e32 v4, 0x2000
	v_lshlrev_b32_e32 v1, 8, v1
	v_lshl_add_u32 v0, v0, 10, v4
	v_and_b32_e32 v3, 7, v3
	v_and_or_b32 v0, v1, s44, v0
	v_cndmask_b32_e32 v3, v5, v3, vcc
	v_lshlrev_b32_e32 v0, 16, v0
	v_lshl_or_b32 v0, v3, 23, v0
	buffer_store_dword v0, off, s[48:51], 0 offset:72 ; 4-byte Folded Spill
.LBB271_115:                            ;   in Loop: Header=BB271_9 Depth=1
	s_or_b64 exec, exec, s[38:39]
.LBB271_116:                            ;   in Loop: Header=BB271_9 Depth=1
	s_or_b64 exec, exec, s[36:37]
.LBB271_117:                            ;   in Loop: Header=BB271_9 Depth=1
	s_or_b64 exec, exec, s[34:35]
	v_lshrrev_b32_e32 v1, 16, v11
	v_cmp_ne_u16_sdwa s[36:37], v1, v2 src0_sel:BYTE_0 src1_sel:DWORD
	s_and_saveexec_b64 s[34:35], s[36:37]
	s_cbranch_execz .LBB271_123
; %bb.118:                              ;   in Loop: Header=BB271_9 Depth=1
	v_cmp_ne_u16_sdwa s[38:39], v1, s42 src0_sel:BYTE_0 src1_sel:DWORD
	v_mov_b32_e32 v0, 0x8000
	buffer_store_dword v0, off, s[48:51], 0 offset:68 ; 4-byte Folded Spill
	s_and_saveexec_b64 s[36:37], s[38:39]
	s_cbranch_execz .LBB271_122
; %bb.119:                              ;   in Loop: Header=BB271_9 Depth=1
	v_bfe_u32 v0, v11, 16, 7
	v_cmp_ne_u32_e32 vcc, s43, v0
	v_mov_b32_e32 v3, 0x7c01
	buffer_store_dword v3, off, s[48:51], 0 offset:68 ; 4-byte Folded Spill
	s_and_saveexec_b64 s[38:39], vcc
	s_cbranch_execz .LBB271_121
; %bb.120:                              ;   in Loop: Header=BB271_9 Depth=1
	v_and_b32_e32 v5, 7, v1
	v_ffbh_u32_e32 v3, v5
	v_min_u32_e32 v12, 32, v3
	v_subrev_u32_e32 v3, 28, v12
	v_lshlrev_b64 v[3:4], v3, v[1:2]
	v_lshrrev_b32_e32 v6, 3, v0
	v_sub_u32_e32 v4, 29, v12
	v_cmp_gt_u32_e32 vcc, 8, v0
	v_cndmask_b32_e32 v0, v6, v4, vcc
	v_mov_b32_e32 v4, 0x2000
	v_lshl_add_u32 v0, v0, 10, v4
	v_lshlrev_b32_e32 v1, 8, v1
	v_and_b32_e32 v3, 7, v3
	v_and_b32_e32 v0, 0xfc00, v0
	v_cndmask_b32_e32 v3, v5, v3, vcc
	v_and_or_b32 v0, v1, s44, v0
	v_lshl_or_b32 v0, v3, 7, v0
	buffer_store_dword v0, off, s[48:51], 0 offset:68 ; 4-byte Folded Spill
.LBB271_121:                            ;   in Loop: Header=BB271_9 Depth=1
	s_or_b64 exec, exec, s[38:39]
.LBB271_122:                            ;   in Loop: Header=BB271_9 Depth=1
	s_or_b64 exec, exec, s[36:37]
.LBB271_123:                            ;   in Loop: Header=BB271_9 Depth=1
	s_or_b64 exec, exec, s[34:35]
	v_mov_b32_e32 v0, 0
	v_cmp_lt_u32_e32 vcc, s45, v11
	buffer_store_dword v0, off, s[48:51], 0 offset:76 ; 4-byte Folded Spill
	v_mov_b32_e32 v0, 0
	buffer_store_dword v0, off, s[48:51], 0 offset:172 ; 4-byte Folded Spill
	s_and_saveexec_b64 s[34:35], vcc
	s_cbranch_execz .LBB271_129
; %bb.124:                              ;   in Loop: Header=BB271_9 Depth=1
	v_lshrrev_b32_e32 v1, 24, v11
	v_cmp_ne_u32_e32 vcc, s42, v1
	v_bfrev_b32_e32 v3, 1
	s_and_saveexec_b64 s[36:37], vcc
	s_cbranch_execz .LBB271_128
; %bb.125:                              ;   in Loop: Header=BB271_9 Depth=1
	v_and_b32_e32 v0, 0x7f, v1
	v_cmp_ne_u32_e32 vcc, s43, v0
	v_mov_b32_e32 v3, 0x7c010000
	s_and_saveexec_b64 s[38:39], vcc
	s_cbranch_execz .LBB271_127
; %bb.126:                              ;   in Loop: Header=BB271_9 Depth=1
	v_and_b32_e32 v5, 7, v1
	v_ffbh_u32_e32 v3, v5
	v_min_u32_e32 v11, 32, v3
	v_subrev_u32_e32 v3, 28, v11
	v_lshlrev_b64 v[3:4], v3, v[1:2]
	v_lshrrev_b32_e32 v6, 3, v0
	v_sub_u32_e32 v4, 29, v11
	v_cmp_gt_u32_e32 vcc, 8, v0
	v_cndmask_b32_e32 v0, v6, v4, vcc
	v_mov_b32_e32 v4, 0x2000
	v_lshlrev_b32_e32 v1, 8, v1
	v_lshl_add_u32 v0, v0, 10, v4
	v_and_b32_e32 v3, 7, v3
	v_and_or_b32 v0, v1, s44, v0
	v_cndmask_b32_e32 v3, v5, v3, vcc
	v_lshlrev_b32_e32 v0, 16, v0
	v_lshl_or_b32 v3, v3, 23, v0
.LBB271_127:                            ;   in Loop: Header=BB271_9 Depth=1
	s_or_b64 exec, exec, s[38:39]
.LBB271_128:                            ;   in Loop: Header=BB271_9 Depth=1
	s_or_b64 exec, exec, s[36:37]
	buffer_store_dword v3, off, s[48:51], 0 offset:172 ; 4-byte Folded Spill
.LBB271_129:                            ;   in Loop: Header=BB271_9 Depth=1
	s_or_b64 exec, exec, s[34:35]
	global_load_dword v11, v[9:10], off offset:1032
	s_waitcnt vmcnt(0)
	v_cmp_ne_u16_sdwa s[36:37], v11, v2 src0_sel:BYTE_0 src1_sel:DWORD
	s_and_saveexec_b64 s[34:35], s[36:37]
	s_cbranch_execz .LBB271_135
; %bb.130:                              ;   in Loop: Header=BB271_9 Depth=1
	v_cmp_ne_u16_sdwa s[38:39], v11, s42 src0_sel:BYTE_0 src1_sel:DWORD
	v_mov_b32_e32 v0, 0x8000
	buffer_store_dword v0, off, s[48:51], 0 offset:76 ; 4-byte Folded Spill
	s_and_saveexec_b64 s[36:37], s[38:39]
	s_cbranch_execz .LBB271_134
; %bb.131:                              ;   in Loop: Header=BB271_9 Depth=1
	v_and_b32_e32 v0, 0x7f, v11
	v_cmp_ne_u32_e32 vcc, s43, v0
	v_mov_b32_e32 v1, 0x7c01
	buffer_store_dword v1, off, s[48:51], 0 offset:76 ; 4-byte Folded Spill
	s_and_saveexec_b64 s[38:39], vcc
	s_cbranch_execz .LBB271_133
; %bb.132:                              ;   in Loop: Header=BB271_9 Depth=1
	v_and_b32_e32 v1, 7, v11
	v_ffbh_u32_e32 v3, v1
	v_min_u32_e32 v6, 32, v3
	v_subrev_u32_e32 v3, 28, v6
	v_lshlrev_b64 v[3:4], v3, v[11:12]
	v_lshrrev_b32_e32 v5, 3, v0
	v_sub_u32_e32 v4, 29, v6
	v_cmp_gt_u32_e32 vcc, 8, v0
	v_cndmask_b32_e32 v0, v5, v4, vcc
	v_mov_b32_e32 v5, 0x2000
	v_lshl_add_u32 v0, v0, 10, v5
	v_lshlrev_b32_e32 v4, 8, v11
	v_and_b32_e32 v3, 7, v3
	v_and_b32_e32 v0, 0xfc00, v0
	v_cndmask_b32_e32 v1, v1, v3, vcc
	v_and_or_b32 v0, v4, s44, v0
	v_lshl_or_b32 v0, v1, 7, v0
	buffer_store_dword v0, off, s[48:51], 0 offset:76 ; 4-byte Folded Spill
.LBB271_133:                            ;   in Loop: Header=BB271_9 Depth=1
	s_or_b64 exec, exec, s[38:39]
.LBB271_134:                            ;   in Loop: Header=BB271_9 Depth=1
	s_or_b64 exec, exec, s[36:37]
.LBB271_135:                            ;   in Loop: Header=BB271_9 Depth=1
	s_or_b64 exec, exec, s[34:35]
	v_lshrrev_b16_e32 v1, 8, v11
	v_mov_b32_e32 v0, 0
	v_cmp_ne_u16_e32 vcc, 0, v1
	buffer_store_dword v0, off, s[48:51], 0 offset:80 ; 4-byte Folded Spill
	v_mov_b32_e32 v0, 0
	buffer_store_dword v0, off, s[48:51], 0 offset:84 ; 4-byte Folded Spill
	s_and_saveexec_b64 s[34:35], vcc
	s_cbranch_execz .LBB271_141
; %bb.136:                              ;   in Loop: Header=BB271_9 Depth=1
	v_cmp_ne_u16_e32 vcc, s42, v1
	v_bfrev_b32_e32 v0, 1
	buffer_store_dword v0, off, s[48:51], 0 offset:84 ; 4-byte Folded Spill
	s_and_saveexec_b64 s[36:37], vcc
	s_cbranch_execz .LBB271_140
; %bb.137:                              ;   in Loop: Header=BB271_9 Depth=1
	v_and_b32_e32 v0, 0x7f, v1
	v_cmp_ne_u32_e32 vcc, s43, v0
	v_mov_b32_e32 v3, 0x7c010000
	buffer_store_dword v3, off, s[48:51], 0 offset:84 ; 4-byte Folded Spill
	s_and_saveexec_b64 s[38:39], vcc
	s_cbranch_execz .LBB271_139
; %bb.138:                              ;   in Loop: Header=BB271_9 Depth=1
	v_and_b32_e32 v5, 7, v1
	v_ffbh_u32_e32 v3, v5
	v_min_u32_e32 v12, 32, v3
	v_subrev_u32_e32 v3, 28, v12
	v_lshlrev_b64 v[3:4], v3, v[1:2]
	v_lshrrev_b32_e32 v6, 3, v0
	v_sub_u32_e32 v4, 29, v12
	v_cmp_gt_u32_e32 vcc, 8, v0
	v_cndmask_b32_e32 v0, v6, v4, vcc
	v_mov_b32_e32 v4, 0x2000
	v_lshlrev_b32_e32 v1, 8, v1
	v_lshl_add_u32 v0, v0, 10, v4
	v_and_b32_e32 v3, 7, v3
	v_and_or_b32 v0, v1, s44, v0
	v_cndmask_b32_e32 v3, v5, v3, vcc
	v_lshlrev_b32_e32 v0, 16, v0
	v_lshl_or_b32 v0, v3, 23, v0
	buffer_store_dword v0, off, s[48:51], 0 offset:84 ; 4-byte Folded Spill
.LBB271_139:                            ;   in Loop: Header=BB271_9 Depth=1
	s_or_b64 exec, exec, s[38:39]
.LBB271_140:                            ;   in Loop: Header=BB271_9 Depth=1
	s_or_b64 exec, exec, s[36:37]
.LBB271_141:                            ;   in Loop: Header=BB271_9 Depth=1
	s_or_b64 exec, exec, s[34:35]
	v_lshrrev_b32_e32 v1, 16, v11
	v_cmp_ne_u16_sdwa s[36:37], v1, v2 src0_sel:BYTE_0 src1_sel:DWORD
	s_and_saveexec_b64 s[34:35], s[36:37]
	s_cbranch_execz .LBB271_147
; %bb.142:                              ;   in Loop: Header=BB271_9 Depth=1
	v_cmp_ne_u16_sdwa s[38:39], v1, s42 src0_sel:BYTE_0 src1_sel:DWORD
	v_mov_b32_e32 v0, 0x8000
	buffer_store_dword v0, off, s[48:51], 0 offset:80 ; 4-byte Folded Spill
	s_and_saveexec_b64 s[36:37], s[38:39]
	s_cbranch_execz .LBB271_146
; %bb.143:                              ;   in Loop: Header=BB271_9 Depth=1
	v_bfe_u32 v0, v11, 16, 7
	v_cmp_ne_u32_e32 vcc, s43, v0
	v_mov_b32_e32 v3, 0x7c01
	buffer_store_dword v3, off, s[48:51], 0 offset:80 ; 4-byte Folded Spill
	s_and_saveexec_b64 s[38:39], vcc
	s_cbranch_execz .LBB271_145
; %bb.144:                              ;   in Loop: Header=BB271_9 Depth=1
	v_and_b32_e32 v5, 7, v1
	v_ffbh_u32_e32 v3, v5
	v_min_u32_e32 v12, 32, v3
	v_subrev_u32_e32 v3, 28, v12
	v_lshlrev_b64 v[3:4], v3, v[1:2]
	v_lshrrev_b32_e32 v6, 3, v0
	v_sub_u32_e32 v4, 29, v12
	v_cmp_gt_u32_e32 vcc, 8, v0
	v_cndmask_b32_e32 v0, v6, v4, vcc
	v_mov_b32_e32 v4, 0x2000
	v_lshl_add_u32 v0, v0, 10, v4
	v_lshlrev_b32_e32 v1, 8, v1
	v_and_b32_e32 v3, 7, v3
	v_and_b32_e32 v0, 0xfc00, v0
	v_cndmask_b32_e32 v3, v5, v3, vcc
	v_and_or_b32 v0, v1, s44, v0
	v_lshl_or_b32 v0, v3, 7, v0
	buffer_store_dword v0, off, s[48:51], 0 offset:80 ; 4-byte Folded Spill
.LBB271_145:                            ;   in Loop: Header=BB271_9 Depth=1
	s_or_b64 exec, exec, s[38:39]
.LBB271_146:                            ;   in Loop: Header=BB271_9 Depth=1
	s_or_b64 exec, exec, s[36:37]
.LBB271_147:                            ;   in Loop: Header=BB271_9 Depth=1
	s_or_b64 exec, exec, s[34:35]
	v_mov_b32_e32 v0, 0
	v_cmp_lt_u32_e32 vcc, s45, v11
	buffer_store_dword v0, off, s[48:51], 0 offset:88 ; 4-byte Folded Spill
	v_mov_b32_e32 v0, 0
	buffer_store_dword v0, off, s[48:51], 0 offset:176 ; 4-byte Folded Spill
	s_and_saveexec_b64 s[34:35], vcc
	s_cbranch_execz .LBB271_153
; %bb.148:                              ;   in Loop: Header=BB271_9 Depth=1
	v_lshrrev_b32_e32 v1, 24, v11
	v_cmp_ne_u32_e32 vcc, s42, v1
	v_bfrev_b32_e32 v3, 1
	s_and_saveexec_b64 s[36:37], vcc
	s_cbranch_execz .LBB271_152
; %bb.149:                              ;   in Loop: Header=BB271_9 Depth=1
	v_and_b32_e32 v0, 0x7f, v1
	v_cmp_ne_u32_e32 vcc, s43, v0
	v_mov_b32_e32 v3, 0x7c010000
	s_and_saveexec_b64 s[38:39], vcc
	s_cbranch_execz .LBB271_151
; %bb.150:                              ;   in Loop: Header=BB271_9 Depth=1
	v_and_b32_e32 v5, 7, v1
	v_ffbh_u32_e32 v3, v5
	v_min_u32_e32 v11, 32, v3
	v_subrev_u32_e32 v3, 28, v11
	v_lshlrev_b64 v[3:4], v3, v[1:2]
	v_lshrrev_b32_e32 v6, 3, v0
	v_sub_u32_e32 v4, 29, v11
	v_cmp_gt_u32_e32 vcc, 8, v0
	v_cndmask_b32_e32 v0, v6, v4, vcc
	v_mov_b32_e32 v4, 0x2000
	v_lshlrev_b32_e32 v1, 8, v1
	v_lshl_add_u32 v0, v0, 10, v4
	v_and_b32_e32 v3, 7, v3
	v_and_or_b32 v0, v1, s44, v0
	v_cndmask_b32_e32 v3, v5, v3, vcc
	v_lshlrev_b32_e32 v0, 16, v0
	v_lshl_or_b32 v3, v3, 23, v0
.LBB271_151:                            ;   in Loop: Header=BB271_9 Depth=1
	s_or_b64 exec, exec, s[38:39]
.LBB271_152:                            ;   in Loop: Header=BB271_9 Depth=1
	s_or_b64 exec, exec, s[36:37]
	buffer_store_dword v3, off, s[48:51], 0 offset:176 ; 4-byte Folded Spill
.LBB271_153:                            ;   in Loop: Header=BB271_9 Depth=1
	s_or_b64 exec, exec, s[34:35]
	global_load_dword v11, v[9:10], off offset:1536
	s_waitcnt vmcnt(0)
	v_cmp_ne_u16_sdwa s[36:37], v11, v2 src0_sel:BYTE_0 src1_sel:DWORD
	s_and_saveexec_b64 s[34:35], s[36:37]
	s_cbranch_execz .LBB271_159
; %bb.154:                              ;   in Loop: Header=BB271_9 Depth=1
	v_cmp_ne_u16_sdwa s[38:39], v11, s42 src0_sel:BYTE_0 src1_sel:DWORD
	v_mov_b32_e32 v0, 0x8000
	buffer_store_dword v0, off, s[48:51], 0 offset:88 ; 4-byte Folded Spill
	s_and_saveexec_b64 s[36:37], s[38:39]
	s_cbranch_execz .LBB271_158
; %bb.155:                              ;   in Loop: Header=BB271_9 Depth=1
	v_and_b32_e32 v0, 0x7f, v11
	v_cmp_ne_u32_e32 vcc, s43, v0
	v_mov_b32_e32 v1, 0x7c01
	buffer_store_dword v1, off, s[48:51], 0 offset:88 ; 4-byte Folded Spill
	s_and_saveexec_b64 s[38:39], vcc
	s_cbranch_execz .LBB271_157
; %bb.156:                              ;   in Loop: Header=BB271_9 Depth=1
	v_and_b32_e32 v1, 7, v11
	v_ffbh_u32_e32 v3, v1
	v_min_u32_e32 v6, 32, v3
	v_subrev_u32_e32 v3, 28, v6
	v_lshlrev_b64 v[3:4], v3, v[11:12]
	v_lshrrev_b32_e32 v5, 3, v0
	v_sub_u32_e32 v4, 29, v6
	v_cmp_gt_u32_e32 vcc, 8, v0
	v_cndmask_b32_e32 v0, v5, v4, vcc
	v_mov_b32_e32 v5, 0x2000
	v_lshl_add_u32 v0, v0, 10, v5
	v_lshlrev_b32_e32 v4, 8, v11
	v_and_b32_e32 v3, 7, v3
	v_and_b32_e32 v0, 0xfc00, v0
	v_cndmask_b32_e32 v1, v1, v3, vcc
	v_and_or_b32 v0, v4, s44, v0
	v_lshl_or_b32 v0, v1, 7, v0
	buffer_store_dword v0, off, s[48:51], 0 offset:88 ; 4-byte Folded Spill
.LBB271_157:                            ;   in Loop: Header=BB271_9 Depth=1
	s_or_b64 exec, exec, s[38:39]
.LBB271_158:                            ;   in Loop: Header=BB271_9 Depth=1
	s_or_b64 exec, exec, s[36:37]
.LBB271_159:                            ;   in Loop: Header=BB271_9 Depth=1
	s_or_b64 exec, exec, s[34:35]
	v_lshrrev_b16_e32 v1, 8, v11
	v_mov_b32_e32 v0, 0
	v_cmp_ne_u16_e32 vcc, 0, v1
	buffer_store_dword v0, off, s[48:51], 0 offset:92 ; 4-byte Folded Spill
	v_mov_b32_e32 v0, 0
	buffer_store_dword v0, off, s[48:51], 0 offset:96 ; 4-byte Folded Spill
	s_and_saveexec_b64 s[34:35], vcc
	s_cbranch_execz .LBB271_165
; %bb.160:                              ;   in Loop: Header=BB271_9 Depth=1
	v_cmp_ne_u16_e32 vcc, s42, v1
	v_bfrev_b32_e32 v0, 1
	buffer_store_dword v0, off, s[48:51], 0 offset:96 ; 4-byte Folded Spill
	s_and_saveexec_b64 s[36:37], vcc
	s_cbranch_execz .LBB271_164
; %bb.161:                              ;   in Loop: Header=BB271_9 Depth=1
	v_and_b32_e32 v0, 0x7f, v1
	v_cmp_ne_u32_e32 vcc, s43, v0
	v_mov_b32_e32 v3, 0x7c010000
	buffer_store_dword v3, off, s[48:51], 0 offset:96 ; 4-byte Folded Spill
	s_and_saveexec_b64 s[38:39], vcc
	s_cbranch_execz .LBB271_163
; %bb.162:                              ;   in Loop: Header=BB271_9 Depth=1
	v_and_b32_e32 v5, 7, v1
	v_ffbh_u32_e32 v3, v5
	v_min_u32_e32 v12, 32, v3
	v_subrev_u32_e32 v3, 28, v12
	v_lshlrev_b64 v[3:4], v3, v[1:2]
	v_lshrrev_b32_e32 v6, 3, v0
	v_sub_u32_e32 v4, 29, v12
	v_cmp_gt_u32_e32 vcc, 8, v0
	v_cndmask_b32_e32 v0, v6, v4, vcc
	v_mov_b32_e32 v4, 0x2000
	v_lshlrev_b32_e32 v1, 8, v1
	v_lshl_add_u32 v0, v0, 10, v4
	v_and_b32_e32 v3, 7, v3
	v_and_or_b32 v0, v1, s44, v0
	v_cndmask_b32_e32 v3, v5, v3, vcc
	v_lshlrev_b32_e32 v0, 16, v0
	v_lshl_or_b32 v0, v3, 23, v0
	buffer_store_dword v0, off, s[48:51], 0 offset:96 ; 4-byte Folded Spill
.LBB271_163:                            ;   in Loop: Header=BB271_9 Depth=1
	s_or_b64 exec, exec, s[38:39]
.LBB271_164:                            ;   in Loop: Header=BB271_9 Depth=1
	s_or_b64 exec, exec, s[36:37]
.LBB271_165:                            ;   in Loop: Header=BB271_9 Depth=1
	s_or_b64 exec, exec, s[34:35]
	v_lshrrev_b32_e32 v1, 16, v11
	v_cmp_ne_u16_sdwa s[36:37], v1, v2 src0_sel:BYTE_0 src1_sel:DWORD
	s_and_saveexec_b64 s[34:35], s[36:37]
	s_cbranch_execz .LBB271_171
; %bb.166:                              ;   in Loop: Header=BB271_9 Depth=1
	v_cmp_ne_u16_sdwa s[38:39], v1, s42 src0_sel:BYTE_0 src1_sel:DWORD
	v_mov_b32_e32 v0, 0x8000
	buffer_store_dword v0, off, s[48:51], 0 offset:92 ; 4-byte Folded Spill
	s_and_saveexec_b64 s[36:37], s[38:39]
	s_cbranch_execz .LBB271_170
; %bb.167:                              ;   in Loop: Header=BB271_9 Depth=1
	v_bfe_u32 v0, v11, 16, 7
	v_cmp_ne_u32_e32 vcc, s43, v0
	v_mov_b32_e32 v3, 0x7c01
	buffer_store_dword v3, off, s[48:51], 0 offset:92 ; 4-byte Folded Spill
	s_and_saveexec_b64 s[38:39], vcc
	s_cbranch_execz .LBB271_169
; %bb.168:                              ;   in Loop: Header=BB271_9 Depth=1
	v_and_b32_e32 v5, 7, v1
	v_ffbh_u32_e32 v3, v5
	v_min_u32_e32 v12, 32, v3
	v_subrev_u32_e32 v3, 28, v12
	v_lshlrev_b64 v[3:4], v3, v[1:2]
	v_lshrrev_b32_e32 v6, 3, v0
	v_sub_u32_e32 v4, 29, v12
	v_cmp_gt_u32_e32 vcc, 8, v0
	v_cndmask_b32_e32 v0, v6, v4, vcc
	v_mov_b32_e32 v4, 0x2000
	v_lshl_add_u32 v0, v0, 10, v4
	v_lshlrev_b32_e32 v1, 8, v1
	v_and_b32_e32 v3, 7, v3
	v_and_b32_e32 v0, 0xfc00, v0
	v_cndmask_b32_e32 v3, v5, v3, vcc
	v_and_or_b32 v0, v1, s44, v0
	v_lshl_or_b32 v0, v3, 7, v0
	buffer_store_dword v0, off, s[48:51], 0 offset:92 ; 4-byte Folded Spill
.LBB271_169:                            ;   in Loop: Header=BB271_9 Depth=1
	s_or_b64 exec, exec, s[38:39]
.LBB271_170:                            ;   in Loop: Header=BB271_9 Depth=1
	s_or_b64 exec, exec, s[36:37]
.LBB271_171:                            ;   in Loop: Header=BB271_9 Depth=1
	s_or_b64 exec, exec, s[34:35]
	v_mov_b32_e32 v0, 0
	v_cmp_lt_u32_e32 vcc, s45, v11
	buffer_store_dword v0, off, s[48:51], 0 offset:100 ; 4-byte Folded Spill
	v_mov_b32_e32 v0, 0
	buffer_store_dword v0, off, s[48:51], 0 offset:180 ; 4-byte Folded Spill
	s_and_saveexec_b64 s[34:35], vcc
	s_cbranch_execz .LBB271_177
; %bb.172:                              ;   in Loop: Header=BB271_9 Depth=1
	v_lshrrev_b32_e32 v1, 24, v11
	v_cmp_ne_u32_e32 vcc, s42, v1
	v_bfrev_b32_e32 v3, 1
	s_and_saveexec_b64 s[36:37], vcc
	s_cbranch_execz .LBB271_176
; %bb.173:                              ;   in Loop: Header=BB271_9 Depth=1
	v_and_b32_e32 v0, 0x7f, v1
	v_cmp_ne_u32_e32 vcc, s43, v0
	v_mov_b32_e32 v3, 0x7c010000
	s_and_saveexec_b64 s[38:39], vcc
	s_cbranch_execz .LBB271_175
; %bb.174:                              ;   in Loop: Header=BB271_9 Depth=1
	v_and_b32_e32 v5, 7, v1
	v_ffbh_u32_e32 v3, v5
	v_min_u32_e32 v11, 32, v3
	v_subrev_u32_e32 v3, 28, v11
	v_lshlrev_b64 v[3:4], v3, v[1:2]
	v_lshrrev_b32_e32 v6, 3, v0
	v_sub_u32_e32 v4, 29, v11
	v_cmp_gt_u32_e32 vcc, 8, v0
	v_cndmask_b32_e32 v0, v6, v4, vcc
	v_mov_b32_e32 v4, 0x2000
	v_lshlrev_b32_e32 v1, 8, v1
	v_lshl_add_u32 v0, v0, 10, v4
	v_and_b32_e32 v3, 7, v3
	v_and_or_b32 v0, v1, s44, v0
	v_cndmask_b32_e32 v3, v5, v3, vcc
	v_lshlrev_b32_e32 v0, 16, v0
	v_lshl_or_b32 v3, v3, 23, v0
.LBB271_175:                            ;   in Loop: Header=BB271_9 Depth=1
	s_or_b64 exec, exec, s[38:39]
.LBB271_176:                            ;   in Loop: Header=BB271_9 Depth=1
	s_or_b64 exec, exec, s[36:37]
	buffer_store_dword v3, off, s[48:51], 0 offset:180 ; 4-byte Folded Spill
.LBB271_177:                            ;   in Loop: Header=BB271_9 Depth=1
	s_or_b64 exec, exec, s[34:35]
	global_load_dword v11, v[9:10], off offset:1544
	s_waitcnt vmcnt(0)
	v_cmp_ne_u16_sdwa s[36:37], v11, v2 src0_sel:BYTE_0 src1_sel:DWORD
	s_and_saveexec_b64 s[34:35], s[36:37]
	s_cbranch_execz .LBB271_183
; %bb.178:                              ;   in Loop: Header=BB271_9 Depth=1
	v_cmp_ne_u16_sdwa s[38:39], v11, s42 src0_sel:BYTE_0 src1_sel:DWORD
	v_mov_b32_e32 v0, 0x8000
	buffer_store_dword v0, off, s[48:51], 0 offset:100 ; 4-byte Folded Spill
	s_and_saveexec_b64 s[36:37], s[38:39]
	s_cbranch_execz .LBB271_182
; %bb.179:                              ;   in Loop: Header=BB271_9 Depth=1
	v_and_b32_e32 v0, 0x7f, v11
	v_cmp_ne_u32_e32 vcc, s43, v0
	v_mov_b32_e32 v1, 0x7c01
	buffer_store_dword v1, off, s[48:51], 0 offset:100 ; 4-byte Folded Spill
	s_and_saveexec_b64 s[38:39], vcc
	s_cbranch_execz .LBB271_181
; %bb.180:                              ;   in Loop: Header=BB271_9 Depth=1
	v_and_b32_e32 v1, 7, v11
	v_ffbh_u32_e32 v3, v1
	v_min_u32_e32 v6, 32, v3
	v_subrev_u32_e32 v3, 28, v6
	v_lshlrev_b64 v[3:4], v3, v[11:12]
	v_lshrrev_b32_e32 v5, 3, v0
	v_sub_u32_e32 v4, 29, v6
	v_cmp_gt_u32_e32 vcc, 8, v0
	v_cndmask_b32_e32 v0, v5, v4, vcc
	v_mov_b32_e32 v5, 0x2000
	v_lshl_add_u32 v0, v0, 10, v5
	v_lshlrev_b32_e32 v4, 8, v11
	v_and_b32_e32 v3, 7, v3
	v_and_b32_e32 v0, 0xfc00, v0
	v_cndmask_b32_e32 v1, v1, v3, vcc
	v_and_or_b32 v0, v4, s44, v0
	v_lshl_or_b32 v0, v1, 7, v0
	buffer_store_dword v0, off, s[48:51], 0 offset:100 ; 4-byte Folded Spill
.LBB271_181:                            ;   in Loop: Header=BB271_9 Depth=1
	s_or_b64 exec, exec, s[38:39]
.LBB271_182:                            ;   in Loop: Header=BB271_9 Depth=1
	s_or_b64 exec, exec, s[36:37]
.LBB271_183:                            ;   in Loop: Header=BB271_9 Depth=1
	s_or_b64 exec, exec, s[34:35]
	v_lshrrev_b16_e32 v1, 8, v11
	v_mov_b32_e32 v0, 0
	v_cmp_ne_u16_e32 vcc, 0, v1
	buffer_store_dword v0, off, s[48:51], 0 offset:104 ; 4-byte Folded Spill
	v_mov_b32_e32 v0, 0
	buffer_store_dword v0, off, s[48:51], 0 offset:108 ; 4-byte Folded Spill
	s_and_saveexec_b64 s[34:35], vcc
	s_cbranch_execz .LBB271_189
; %bb.184:                              ;   in Loop: Header=BB271_9 Depth=1
	v_cmp_ne_u16_e32 vcc, s42, v1
	v_bfrev_b32_e32 v0, 1
	buffer_store_dword v0, off, s[48:51], 0 offset:108 ; 4-byte Folded Spill
	s_and_saveexec_b64 s[36:37], vcc
	s_cbranch_execz .LBB271_188
; %bb.185:                              ;   in Loop: Header=BB271_9 Depth=1
	v_and_b32_e32 v0, 0x7f, v1
	v_cmp_ne_u32_e32 vcc, s43, v0
	v_mov_b32_e32 v3, 0x7c010000
	buffer_store_dword v3, off, s[48:51], 0 offset:108 ; 4-byte Folded Spill
	s_and_saveexec_b64 s[38:39], vcc
	s_cbranch_execz .LBB271_187
; %bb.186:                              ;   in Loop: Header=BB271_9 Depth=1
	v_and_b32_e32 v5, 7, v1
	v_ffbh_u32_e32 v3, v5
	v_min_u32_e32 v12, 32, v3
	v_subrev_u32_e32 v3, 28, v12
	v_lshlrev_b64 v[3:4], v3, v[1:2]
	v_lshrrev_b32_e32 v6, 3, v0
	v_sub_u32_e32 v4, 29, v12
	v_cmp_gt_u32_e32 vcc, 8, v0
	v_cndmask_b32_e32 v0, v6, v4, vcc
	v_mov_b32_e32 v4, 0x2000
	v_lshlrev_b32_e32 v1, 8, v1
	v_lshl_add_u32 v0, v0, 10, v4
	v_and_b32_e32 v3, 7, v3
	v_and_or_b32 v0, v1, s44, v0
	v_cndmask_b32_e32 v3, v5, v3, vcc
	v_lshlrev_b32_e32 v0, 16, v0
	v_lshl_or_b32 v0, v3, 23, v0
	buffer_store_dword v0, off, s[48:51], 0 offset:108 ; 4-byte Folded Spill
.LBB271_187:                            ;   in Loop: Header=BB271_9 Depth=1
	s_or_b64 exec, exec, s[38:39]
.LBB271_188:                            ;   in Loop: Header=BB271_9 Depth=1
	s_or_b64 exec, exec, s[36:37]
.LBB271_189:                            ;   in Loop: Header=BB271_9 Depth=1
	s_or_b64 exec, exec, s[34:35]
	v_lshrrev_b32_e32 v1, 16, v11
	v_cmp_ne_u16_sdwa s[36:37], v1, v2 src0_sel:BYTE_0 src1_sel:DWORD
	s_and_saveexec_b64 s[34:35], s[36:37]
	s_cbranch_execz .LBB271_195
; %bb.190:                              ;   in Loop: Header=BB271_9 Depth=1
	v_cmp_ne_u16_sdwa s[38:39], v1, s42 src0_sel:BYTE_0 src1_sel:DWORD
	v_mov_b32_e32 v0, 0x8000
	buffer_store_dword v0, off, s[48:51], 0 offset:104 ; 4-byte Folded Spill
	s_and_saveexec_b64 s[36:37], s[38:39]
	s_cbranch_execz .LBB271_194
; %bb.191:                              ;   in Loop: Header=BB271_9 Depth=1
	v_bfe_u32 v0, v11, 16, 7
	v_cmp_ne_u32_e32 vcc, s43, v0
	v_mov_b32_e32 v3, 0x7c01
	buffer_store_dword v3, off, s[48:51], 0 offset:104 ; 4-byte Folded Spill
	s_and_saveexec_b64 s[38:39], vcc
	s_cbranch_execz .LBB271_193
; %bb.192:                              ;   in Loop: Header=BB271_9 Depth=1
	v_and_b32_e32 v5, 7, v1
	v_ffbh_u32_e32 v3, v5
	v_min_u32_e32 v12, 32, v3
	v_subrev_u32_e32 v3, 28, v12
	v_lshlrev_b64 v[3:4], v3, v[1:2]
	v_lshrrev_b32_e32 v6, 3, v0
	v_sub_u32_e32 v4, 29, v12
	v_cmp_gt_u32_e32 vcc, 8, v0
	v_cndmask_b32_e32 v0, v6, v4, vcc
	v_mov_b32_e32 v4, 0x2000
	v_lshl_add_u32 v0, v0, 10, v4
	v_lshlrev_b32_e32 v1, 8, v1
	v_and_b32_e32 v3, 7, v3
	v_and_b32_e32 v0, 0xfc00, v0
	v_cndmask_b32_e32 v3, v5, v3, vcc
	v_and_or_b32 v0, v1, s44, v0
	v_lshl_or_b32 v0, v3, 7, v0
	buffer_store_dword v0, off, s[48:51], 0 offset:104 ; 4-byte Folded Spill
.LBB271_193:                            ;   in Loop: Header=BB271_9 Depth=1
	s_or_b64 exec, exec, s[38:39]
.LBB271_194:                            ;   in Loop: Header=BB271_9 Depth=1
	s_or_b64 exec, exec, s[36:37]
.LBB271_195:                            ;   in Loop: Header=BB271_9 Depth=1
	s_or_b64 exec, exec, s[34:35]
	v_cmp_lt_u32_e32 vcc, s45, v11
	v_mov_b32_e32 v0, 0
	v_mov_b32_e32 v37, 0
	buffer_store_dword v0, off, s[48:51], 0 offset:112 ; 4-byte Folded Spill
	s_and_saveexec_b64 s[34:35], vcc
	s_cbranch_execz .LBB271_201
; %bb.196:                              ;   in Loop: Header=BB271_9 Depth=1
	v_lshrrev_b32_e32 v1, 24, v11
	v_cmp_ne_u32_e32 vcc, s42, v1
	v_bfrev_b32_e32 v37, 1
	s_and_saveexec_b64 s[36:37], vcc
	s_cbranch_execz .LBB271_200
; %bb.197:                              ;   in Loop: Header=BB271_9 Depth=1
	v_and_b32_e32 v0, 0x7f, v1
	v_cmp_ne_u32_e32 vcc, s43, v0
	v_mov_b32_e32 v37, 0x7c010000
	s_and_saveexec_b64 s[38:39], vcc
	s_cbranch_execz .LBB271_199
; %bb.198:                              ;   in Loop: Header=BB271_9 Depth=1
	v_and_b32_e32 v5, 7, v1
	v_ffbh_u32_e32 v3, v5
	v_min_u32_e32 v11, 32, v3
	v_subrev_u32_e32 v3, 28, v11
	v_lshlrev_b64 v[3:4], v3, v[1:2]
	v_lshrrev_b32_e32 v6, 3, v0
	v_sub_u32_e32 v4, 29, v11
	v_cmp_gt_u32_e32 vcc, 8, v0
	v_cndmask_b32_e32 v0, v6, v4, vcc
	v_mov_b32_e32 v4, 0x2000
	v_lshlrev_b32_e32 v1, 8, v1
	v_lshl_add_u32 v0, v0, 10, v4
	v_and_b32_e32 v3, 7, v3
	v_and_or_b32 v0, v1, s44, v0
	v_cndmask_b32_e32 v3, v5, v3, vcc
	v_lshlrev_b32_e32 v0, 16, v0
	v_lshl_or_b32 v37, v3, 23, v0
.LBB271_199:                            ;   in Loop: Header=BB271_9 Depth=1
	s_or_b64 exec, exec, s[38:39]
.LBB271_200:                            ;   in Loop: Header=BB271_9 Depth=1
	s_or_b64 exec, exec, s[36:37]
.LBB271_201:                            ;   in Loop: Header=BB271_9 Depth=1
	s_or_b64 exec, exec, s[34:35]
	global_load_dword v11, v[9:10], off offset:2048
	s_waitcnt vmcnt(0)
	v_cmp_ne_u16_sdwa s[36:37], v11, v2 src0_sel:BYTE_0 src1_sel:DWORD
	s_and_saveexec_b64 s[34:35], s[36:37]
	s_cbranch_execz .LBB271_207
; %bb.202:                              ;   in Loop: Header=BB271_9 Depth=1
	v_cmp_ne_u16_sdwa s[38:39], v11, s42 src0_sel:BYTE_0 src1_sel:DWORD
	v_mov_b32_e32 v0, 0x8000
	buffer_store_dword v0, off, s[48:51], 0 offset:112 ; 4-byte Folded Spill
	s_and_saveexec_b64 s[36:37], s[38:39]
	s_cbranch_execz .LBB271_206
; %bb.203:                              ;   in Loop: Header=BB271_9 Depth=1
	v_and_b32_e32 v0, 0x7f, v11
	v_cmp_ne_u32_e32 vcc, s43, v0
	v_mov_b32_e32 v1, 0x7c01
	buffer_store_dword v1, off, s[48:51], 0 offset:112 ; 4-byte Folded Spill
	s_and_saveexec_b64 s[38:39], vcc
	s_cbranch_execz .LBB271_205
; %bb.204:                              ;   in Loop: Header=BB271_9 Depth=1
	v_and_b32_e32 v1, 7, v11
	v_ffbh_u32_e32 v3, v1
	v_min_u32_e32 v6, 32, v3
	v_subrev_u32_e32 v3, 28, v6
	v_lshlrev_b64 v[3:4], v3, v[11:12]
	v_lshrrev_b32_e32 v5, 3, v0
	v_sub_u32_e32 v4, 29, v6
	v_cmp_gt_u32_e32 vcc, 8, v0
	v_cndmask_b32_e32 v0, v5, v4, vcc
	v_mov_b32_e32 v5, 0x2000
	v_lshl_add_u32 v0, v0, 10, v5
	v_lshlrev_b32_e32 v4, 8, v11
	v_and_b32_e32 v3, 7, v3
	v_and_b32_e32 v0, 0xfc00, v0
	v_cndmask_b32_e32 v1, v1, v3, vcc
	v_and_or_b32 v0, v4, s44, v0
	v_lshl_or_b32 v0, v1, 7, v0
	buffer_store_dword v0, off, s[48:51], 0 offset:112 ; 4-byte Folded Spill
.LBB271_205:                            ;   in Loop: Header=BB271_9 Depth=1
	s_or_b64 exec, exec, s[38:39]
.LBB271_206:                            ;   in Loop: Header=BB271_9 Depth=1
	s_or_b64 exec, exec, s[36:37]
.LBB271_207:                            ;   in Loop: Header=BB271_9 Depth=1
	s_or_b64 exec, exec, s[34:35]
	v_lshrrev_b16_e32 v1, 8, v11
	v_cmp_ne_u16_e32 vcc, 0, v1
	v_mov_b32_e32 v0, 0
	v_mov_b32_e32 v57, 0
	buffer_store_dword v0, off, s[48:51], 0 offset:116 ; 4-byte Folded Spill
	s_and_saveexec_b64 s[34:35], vcc
	s_cbranch_execz .LBB271_213
; %bb.208:                              ;   in Loop: Header=BB271_9 Depth=1
	v_cmp_ne_u16_e32 vcc, s42, v1
	v_bfrev_b32_e32 v57, 1
	s_and_saveexec_b64 s[36:37], vcc
	s_cbranch_execz .LBB271_212
; %bb.209:                              ;   in Loop: Header=BB271_9 Depth=1
	v_and_b32_e32 v0, 0x7f, v1
	v_cmp_ne_u32_e32 vcc, s43, v0
	v_mov_b32_e32 v57, 0x7c010000
	s_and_saveexec_b64 s[38:39], vcc
	s_cbranch_execz .LBB271_211
; %bb.210:                              ;   in Loop: Header=BB271_9 Depth=1
	v_and_b32_e32 v5, 7, v1
	v_lshrrev_b32_e32 v6, 3, v0
	v_cmp_gt_u32_e32 vcc, 8, v0
	v_ffbh_u32_e32 v0, v5
	v_min_u32_e32 v0, 32, v0
	v_subrev_u32_e32 v3, 28, v0
	v_lshlrev_b64 v[3:4], v3, v[1:2]
	v_sub_u32_e32 v0, 29, v0
	v_cndmask_b32_e32 v0, v6, v0, vcc
	v_mov_b32_e32 v4, 0x2000
	v_lshlrev_b32_e32 v1, 8, v1
	v_lshl_add_u32 v0, v0, 10, v4
	v_and_b32_e32 v3, 7, v3
	v_and_or_b32 v0, v1, s44, v0
	v_cndmask_b32_e32 v3, v5, v3, vcc
	v_lshlrev_b32_e32 v0, 16, v0
	v_lshl_or_b32 v57, v3, 23, v0
.LBB271_211:                            ;   in Loop: Header=BB271_9 Depth=1
	s_or_b64 exec, exec, s[38:39]
.LBB271_212:                            ;   in Loop: Header=BB271_9 Depth=1
	s_or_b64 exec, exec, s[36:37]
.LBB271_213:                            ;   in Loop: Header=BB271_9 Depth=1
	s_or_b64 exec, exec, s[34:35]
	v_lshrrev_b32_e32 v1, 16, v11
	v_cmp_ne_u16_sdwa s[36:37], v1, v2 src0_sel:BYTE_0 src1_sel:DWORD
	s_and_saveexec_b64 s[34:35], s[36:37]
	s_cbranch_execz .LBB271_219
; %bb.214:                              ;   in Loop: Header=BB271_9 Depth=1
	v_cmp_ne_u16_sdwa s[38:39], v1, s42 src0_sel:BYTE_0 src1_sel:DWORD
	v_mov_b32_e32 v0, 0x8000
	buffer_store_dword v0, off, s[48:51], 0 offset:116 ; 4-byte Folded Spill
	s_and_saveexec_b64 s[36:37], s[38:39]
	s_cbranch_execz .LBB271_218
; %bb.215:                              ;   in Loop: Header=BB271_9 Depth=1
	v_bfe_u32 v0, v11, 16, 7
	v_cmp_ne_u32_e32 vcc, s43, v0
	v_mov_b32_e32 v3, 0x7c01
	buffer_store_dword v3, off, s[48:51], 0 offset:116 ; 4-byte Folded Spill
	s_and_saveexec_b64 s[38:39], vcc
	s_cbranch_execz .LBB271_217
; %bb.216:                              ;   in Loop: Header=BB271_9 Depth=1
	v_and_b32_e32 v5, 7, v1
	v_lshrrev_b32_e32 v6, 3, v0
	v_cmp_gt_u32_e32 vcc, 8, v0
	v_ffbh_u32_e32 v0, v5
	v_min_u32_e32 v0, 32, v0
	v_subrev_u32_e32 v3, 28, v0
	v_lshlrev_b64 v[3:4], v3, v[1:2]
	v_sub_u32_e32 v0, 29, v0
	v_cndmask_b32_e32 v0, v6, v0, vcc
	v_mov_b32_e32 v4, 0x2000
	v_lshl_add_u32 v0, v0, 10, v4
	v_lshlrev_b32_e32 v1, 8, v1
	v_and_b32_e32 v3, 7, v3
	v_and_b32_e32 v0, 0xfc00, v0
	v_cndmask_b32_e32 v3, v5, v3, vcc
	v_and_or_b32 v0, v1, s44, v0
	v_lshl_or_b32 v0, v3, 7, v0
	buffer_store_dword v0, off, s[48:51], 0 offset:116 ; 4-byte Folded Spill
.LBB271_217:                            ;   in Loop: Header=BB271_9 Depth=1
	s_or_b64 exec, exec, s[38:39]
.LBB271_218:                            ;   in Loop: Header=BB271_9 Depth=1
	s_or_b64 exec, exec, s[36:37]
.LBB271_219:                            ;   in Loop: Header=BB271_9 Depth=1
	s_or_b64 exec, exec, s[34:35]
	v_cmp_lt_u32_e32 vcc, s45, v11
	v_mov_b32_e32 v0, 0
	v_mov_b32_e32 v41, 0
	buffer_store_dword v0, off, s[48:51], 0 offset:120 ; 4-byte Folded Spill
	s_and_saveexec_b64 s[34:35], vcc
	s_cbranch_execz .LBB271_225
; %bb.220:                              ;   in Loop: Header=BB271_9 Depth=1
	v_lshrrev_b32_e32 v1, 24, v11
	v_cmp_ne_u32_e32 vcc, s42, v1
	v_bfrev_b32_e32 v41, 1
	s_and_saveexec_b64 s[36:37], vcc
	s_cbranch_execz .LBB271_224
; %bb.221:                              ;   in Loop: Header=BB271_9 Depth=1
	v_and_b32_e32 v0, 0x7f, v1
	v_cmp_ne_u32_e32 vcc, s43, v0
	v_mov_b32_e32 v41, 0x7c010000
	s_and_saveexec_b64 s[38:39], vcc
	s_cbranch_execz .LBB271_223
; %bb.222:                              ;   in Loop: Header=BB271_9 Depth=1
	v_and_b32_e32 v5, 7, v1
	v_lshrrev_b32_e32 v6, 3, v0
	v_cmp_gt_u32_e32 vcc, 8, v0
	v_ffbh_u32_e32 v0, v5
	v_min_u32_e32 v0, 32, v0
	v_subrev_u32_e32 v3, 28, v0
	v_lshlrev_b64 v[3:4], v3, v[1:2]
	v_sub_u32_e32 v0, 29, v0
	v_cndmask_b32_e32 v0, v6, v0, vcc
	v_mov_b32_e32 v4, 0x2000
	v_lshlrev_b32_e32 v1, 8, v1
	v_lshl_add_u32 v0, v0, 10, v4
	v_and_b32_e32 v3, 7, v3
	v_and_or_b32 v0, v1, s44, v0
	v_cndmask_b32_e32 v3, v5, v3, vcc
	v_lshlrev_b32_e32 v0, 16, v0
	v_lshl_or_b32 v41, v3, 23, v0
.LBB271_223:                            ;   in Loop: Header=BB271_9 Depth=1
	s_or_b64 exec, exec, s[38:39]
.LBB271_224:                            ;   in Loop: Header=BB271_9 Depth=1
	s_or_b64 exec, exec, s[36:37]
.LBB271_225:                            ;   in Loop: Header=BB271_9 Depth=1
	s_or_b64 exec, exec, s[34:35]
	global_load_dword v11, v[9:10], off offset:2056
	s_waitcnt vmcnt(0)
	v_cmp_ne_u16_sdwa s[36:37], v11, v2 src0_sel:BYTE_0 src1_sel:DWORD
	s_and_saveexec_b64 s[34:35], s[36:37]
	s_cbranch_execz .LBB271_231
; %bb.226:                              ;   in Loop: Header=BB271_9 Depth=1
	v_cmp_ne_u16_sdwa s[38:39], v11, s42 src0_sel:BYTE_0 src1_sel:DWORD
	v_mov_b32_e32 v0, 0x8000
	buffer_store_dword v0, off, s[48:51], 0 offset:120 ; 4-byte Folded Spill
	s_and_saveexec_b64 s[36:37], s[38:39]
	s_cbranch_execz .LBB271_230
; %bb.227:                              ;   in Loop: Header=BB271_9 Depth=1
	v_and_b32_e32 v0, 0x7f, v11
	v_cmp_ne_u32_e32 vcc, s43, v0
	v_mov_b32_e32 v1, 0x7c01
	buffer_store_dword v1, off, s[48:51], 0 offset:120 ; 4-byte Folded Spill
	s_and_saveexec_b64 s[38:39], vcc
	s_cbranch_execz .LBB271_229
; %bb.228:                              ;   in Loop: Header=BB271_9 Depth=1
	v_and_b32_e32 v3, 7, v11
	v_lshrrev_b32_e32 v4, 3, v0
	v_cmp_gt_u32_e32 vcc, 8, v0
	v_ffbh_u32_e32 v0, v3
	v_min_u32_e32 v5, 32, v0
	v_subrev_u32_e32 v0, 28, v5
	v_lshlrev_b64 v[0:1], v0, v[11:12]
	v_sub_u32_e32 v1, 29, v5
	v_cndmask_b32_e32 v1, v4, v1, vcc
	v_mov_b32_e32 v5, 0x2000
	v_lshl_add_u32 v1, v1, 10, v5
	v_lshlrev_b32_e32 v4, 8, v11
	v_and_b32_e32 v0, 7, v0
	v_and_b32_e32 v1, 0xfc00, v1
	v_cndmask_b32_e32 v0, v3, v0, vcc
	v_and_or_b32 v1, v4, s44, v1
	v_lshl_or_b32 v0, v0, 7, v1
	buffer_store_dword v0, off, s[48:51], 0 offset:120 ; 4-byte Folded Spill
.LBB271_229:                            ;   in Loop: Header=BB271_9 Depth=1
	s_or_b64 exec, exec, s[38:39]
.LBB271_230:                            ;   in Loop: Header=BB271_9 Depth=1
	s_or_b64 exec, exec, s[36:37]
.LBB271_231:                            ;   in Loop: Header=BB271_9 Depth=1
	s_or_b64 exec, exec, s[34:35]
	v_lshrrev_b16_e32 v1, 8, v11
	v_cmp_ne_u16_e32 vcc, 0, v1
	v_mov_b32_e32 v0, 0
	v_mov_b32_e32 v61, 0
	buffer_store_dword v0, off, s[48:51], 0 offset:124 ; 4-byte Folded Spill
	s_and_saveexec_b64 s[34:35], vcc
	s_cbranch_execz .LBB271_237
; %bb.232:                              ;   in Loop: Header=BB271_9 Depth=1
	v_cmp_ne_u16_e32 vcc, s42, v1
	v_bfrev_b32_e32 v61, 1
	s_and_saveexec_b64 s[36:37], vcc
	s_cbranch_execz .LBB271_236
; %bb.233:                              ;   in Loop: Header=BB271_9 Depth=1
	v_and_b32_e32 v0, 0x7f, v1
	v_cmp_ne_u32_e32 vcc, s43, v0
	v_mov_b32_e32 v61, 0x7c010000
	s_and_saveexec_b64 s[38:39], vcc
	s_cbranch_execz .LBB271_235
; %bb.234:                              ;   in Loop: Header=BB271_9 Depth=1
	v_and_b32_e32 v5, 7, v1
	v_lshrrev_b32_e32 v6, 3, v0
	v_cmp_gt_u32_e32 vcc, 8, v0
	v_ffbh_u32_e32 v0, v5
	v_min_u32_e32 v0, 32, v0
	v_subrev_u32_e32 v3, 28, v0
	v_lshlrev_b64 v[3:4], v3, v[1:2]
	v_sub_u32_e32 v0, 29, v0
	v_cndmask_b32_e32 v0, v6, v0, vcc
	v_mov_b32_e32 v4, 0x2000
	v_lshlrev_b32_e32 v1, 8, v1
	v_lshl_add_u32 v0, v0, 10, v4
	v_and_b32_e32 v3, 7, v3
	v_and_or_b32 v0, v1, s44, v0
	v_cndmask_b32_e32 v3, v5, v3, vcc
	v_lshlrev_b32_e32 v0, 16, v0
	v_lshl_or_b32 v61, v3, 23, v0
.LBB271_235:                            ;   in Loop: Header=BB271_9 Depth=1
	s_or_b64 exec, exec, s[38:39]
.LBB271_236:                            ;   in Loop: Header=BB271_9 Depth=1
	s_or_b64 exec, exec, s[36:37]
.LBB271_237:                            ;   in Loop: Header=BB271_9 Depth=1
	s_or_b64 exec, exec, s[34:35]
	v_lshrrev_b32_e32 v1, 16, v11
	v_cmp_ne_u16_sdwa s[36:37], v1, v2 src0_sel:BYTE_0 src1_sel:DWORD
	s_and_saveexec_b64 s[34:35], s[36:37]
	s_cbranch_execz .LBB271_243
; %bb.238:                              ;   in Loop: Header=BB271_9 Depth=1
	v_cmp_ne_u16_sdwa s[38:39], v1, s42 src0_sel:BYTE_0 src1_sel:DWORD
	v_mov_b32_e32 v0, 0x8000
	buffer_store_dword v0, off, s[48:51], 0 offset:124 ; 4-byte Folded Spill
	s_and_saveexec_b64 s[36:37], s[38:39]
	s_cbranch_execz .LBB271_242
; %bb.239:                              ;   in Loop: Header=BB271_9 Depth=1
	v_bfe_u32 v0, v11, 16, 7
	v_cmp_ne_u32_e32 vcc, s43, v0
	v_mov_b32_e32 v3, 0x7c01
	buffer_store_dword v3, off, s[48:51], 0 offset:124 ; 4-byte Folded Spill
	s_and_saveexec_b64 s[38:39], vcc
	s_cbranch_execz .LBB271_241
; %bb.240:                              ;   in Loop: Header=BB271_9 Depth=1
	v_and_b32_e32 v5, 7, v1
	v_lshrrev_b32_e32 v6, 3, v0
	v_cmp_gt_u32_e32 vcc, 8, v0
	v_ffbh_u32_e32 v0, v5
	v_min_u32_e32 v0, 32, v0
	v_subrev_u32_e32 v3, 28, v0
	v_lshlrev_b64 v[3:4], v3, v[1:2]
	v_sub_u32_e32 v0, 29, v0
	v_cndmask_b32_e32 v0, v6, v0, vcc
	v_mov_b32_e32 v4, 0x2000
	v_lshl_add_u32 v0, v0, 10, v4
	v_lshlrev_b32_e32 v1, 8, v1
	v_and_b32_e32 v3, 7, v3
	v_and_b32_e32 v0, 0xfc00, v0
	v_cndmask_b32_e32 v3, v5, v3, vcc
	v_and_or_b32 v0, v1, s44, v0
	v_lshl_or_b32 v0, v3, 7, v0
	buffer_store_dword v0, off, s[48:51], 0 offset:124 ; 4-byte Folded Spill
.LBB271_241:                            ;   in Loop: Header=BB271_9 Depth=1
	s_or_b64 exec, exec, s[38:39]
.LBB271_242:                            ;   in Loop: Header=BB271_9 Depth=1
	s_or_b64 exec, exec, s[36:37]
.LBB271_243:                            ;   in Loop: Header=BB271_9 Depth=1
	s_or_b64 exec, exec, s[34:35]
	v_cmp_lt_u32_e32 vcc, s45, v11
	v_mov_b32_e32 v0, 0
	v_mov_b32_e32 v46, 0
	buffer_store_dword v0, off, s[48:51], 0 offset:128 ; 4-byte Folded Spill
	s_and_saveexec_b64 s[34:35], vcc
	s_cbranch_execz .LBB271_249
; %bb.244:                              ;   in Loop: Header=BB271_9 Depth=1
	v_lshrrev_b32_e32 v1, 24, v11
	v_cmp_ne_u32_e32 vcc, s42, v1
	v_bfrev_b32_e32 v46, 1
	s_and_saveexec_b64 s[36:37], vcc
	s_cbranch_execz .LBB271_248
; %bb.245:                              ;   in Loop: Header=BB271_9 Depth=1
	v_and_b32_e32 v0, 0x7f, v1
	v_cmp_ne_u32_e32 vcc, s43, v0
	v_mov_b32_e32 v46, 0x7c010000
	s_and_saveexec_b64 s[38:39], vcc
	s_cbranch_execz .LBB271_247
; %bb.246:                              ;   in Loop: Header=BB271_9 Depth=1
	v_and_b32_e32 v5, 7, v1
	v_lshrrev_b32_e32 v6, 3, v0
	v_cmp_gt_u32_e32 vcc, 8, v0
	v_ffbh_u32_e32 v0, v5
	v_min_u32_e32 v0, 32, v0
	v_subrev_u32_e32 v3, 28, v0
	v_lshlrev_b64 v[3:4], v3, v[1:2]
	v_sub_u32_e32 v0, 29, v0
	v_cndmask_b32_e32 v0, v6, v0, vcc
	v_mov_b32_e32 v4, 0x2000
	v_lshlrev_b32_e32 v1, 8, v1
	v_lshl_add_u32 v0, v0, 10, v4
	v_and_b32_e32 v3, 7, v3
	v_and_or_b32 v0, v1, s44, v0
	v_cndmask_b32_e32 v3, v5, v3, vcc
	v_lshlrev_b32_e32 v0, 16, v0
	v_lshl_or_b32 v46, v3, 23, v0
.LBB271_247:                            ;   in Loop: Header=BB271_9 Depth=1
	s_or_b64 exec, exec, s[38:39]
.LBB271_248:                            ;   in Loop: Header=BB271_9 Depth=1
	s_or_b64 exec, exec, s[36:37]
.LBB271_249:                            ;   in Loop: Header=BB271_9 Depth=1
	s_or_b64 exec, exec, s[34:35]
	global_load_dword v11, v[9:10], off offset:2560
	s_waitcnt vmcnt(0)
	v_cmp_ne_u16_sdwa s[36:37], v11, v2 src0_sel:BYTE_0 src1_sel:DWORD
	s_and_saveexec_b64 s[34:35], s[36:37]
	s_cbranch_execz .LBB271_255
; %bb.250:                              ;   in Loop: Header=BB271_9 Depth=1
	v_cmp_ne_u16_sdwa s[38:39], v11, s42 src0_sel:BYTE_0 src1_sel:DWORD
	v_mov_b32_e32 v0, 0x8000
	buffer_store_dword v0, off, s[48:51], 0 offset:128 ; 4-byte Folded Spill
	s_and_saveexec_b64 s[36:37], s[38:39]
	s_cbranch_execz .LBB271_254
; %bb.251:                              ;   in Loop: Header=BB271_9 Depth=1
	v_and_b32_e32 v0, 0x7f, v11
	v_cmp_ne_u32_e32 vcc, s43, v0
	v_mov_b32_e32 v1, 0x7c01
	buffer_store_dword v1, off, s[48:51], 0 offset:128 ; 4-byte Folded Spill
	s_and_saveexec_b64 s[38:39], vcc
	s_cbranch_execz .LBB271_253
; %bb.252:                              ;   in Loop: Header=BB271_9 Depth=1
	v_and_b32_e32 v3, 7, v11
	v_lshrrev_b32_e32 v4, 3, v0
	v_cmp_gt_u32_e32 vcc, 8, v0
	v_ffbh_u32_e32 v0, v3
	v_min_u32_e32 v5, 32, v0
	v_subrev_u32_e32 v0, 28, v5
	v_lshlrev_b64 v[0:1], v0, v[11:12]
	v_sub_u32_e32 v1, 29, v5
	v_cndmask_b32_e32 v1, v4, v1, vcc
	v_mov_b32_e32 v5, 0x2000
	v_lshl_add_u32 v1, v1, 10, v5
	v_lshlrev_b32_e32 v4, 8, v11
	v_and_b32_e32 v0, 7, v0
	v_and_b32_e32 v1, 0xfc00, v1
	v_cndmask_b32_e32 v0, v3, v0, vcc
	v_and_or_b32 v1, v4, s44, v1
	v_lshl_or_b32 v0, v0, 7, v1
	buffer_store_dword v0, off, s[48:51], 0 offset:128 ; 4-byte Folded Spill
.LBB271_253:                            ;   in Loop: Header=BB271_9 Depth=1
	s_or_b64 exec, exec, s[38:39]
.LBB271_254:                            ;   in Loop: Header=BB271_9 Depth=1
	s_or_b64 exec, exec, s[36:37]
.LBB271_255:                            ;   in Loop: Header=BB271_9 Depth=1
	s_or_b64 exec, exec, s[34:35]
	v_lshrrev_b16_e32 v1, 8, v11
	v_cmp_ne_u16_e32 vcc, 0, v1
	v_mov_b32_e32 v0, 0
	v_mov_b32_e32 v4, 0
	buffer_store_dword v0, off, s[48:51], 0 offset:132 ; 4-byte Folded Spill
	s_and_saveexec_b64 s[34:35], vcc
	s_cbranch_execz .LBB271_261
; %bb.256:                              ;   in Loop: Header=BB271_9 Depth=1
	v_cmp_ne_u16_e32 vcc, s42, v1
	v_bfrev_b32_e32 v4, 1
	s_and_saveexec_b64 s[36:37], vcc
	s_cbranch_execz .LBB271_260
; %bb.257:                              ;   in Loop: Header=BB271_9 Depth=1
	v_and_b32_e32 v0, 0x7f, v1
	v_cmp_ne_u32_e32 vcc, s43, v0
	v_mov_b32_e32 v4, 0x7c010000
	s_and_saveexec_b64 s[38:39], vcc
	s_cbranch_execz .LBB271_259
; %bb.258:                              ;   in Loop: Header=BB271_9 Depth=1
	v_and_b32_e32 v5, 7, v1
	v_lshrrev_b32_e32 v6, 3, v0
	v_cmp_gt_u32_e32 vcc, 8, v0
	v_ffbh_u32_e32 v0, v5
	v_min_u32_e32 v0, 32, v0
	v_subrev_u32_e32 v3, 28, v0
	v_lshlrev_b64 v[3:4], v3, v[1:2]
	v_sub_u32_e32 v0, 29, v0
	v_cndmask_b32_e32 v0, v6, v0, vcc
	v_mov_b32_e32 v4, 0x2000
	v_lshlrev_b32_e32 v1, 8, v1
	v_lshl_add_u32 v0, v0, 10, v4
	v_and_b32_e32 v3, 7, v3
	v_and_or_b32 v0, v1, s44, v0
	v_cndmask_b32_e32 v3, v5, v3, vcc
	v_lshlrev_b32_e32 v0, 16, v0
	v_lshl_or_b32 v4, v3, 23, v0
.LBB271_259:                            ;   in Loop: Header=BB271_9 Depth=1
	s_or_b64 exec, exec, s[38:39]
.LBB271_260:                            ;   in Loop: Header=BB271_9 Depth=1
	s_or_b64 exec, exec, s[36:37]
.LBB271_261:                            ;   in Loop: Header=BB271_9 Depth=1
	s_or_b64 exec, exec, s[34:35]
	v_lshrrev_b32_e32 v1, 16, v11
	v_cmp_ne_u16_sdwa s[36:37], v1, v2 src0_sel:BYTE_0 src1_sel:DWORD
	s_and_saveexec_b64 s[34:35], s[36:37]
	s_cbranch_execz .LBB271_267
; %bb.262:                              ;   in Loop: Header=BB271_9 Depth=1
	v_cmp_ne_u16_sdwa s[38:39], v1, s42 src0_sel:BYTE_0 src1_sel:DWORD
	v_mov_b32_e32 v0, 0x8000
	buffer_store_dword v0, off, s[48:51], 0 offset:132 ; 4-byte Folded Spill
	s_and_saveexec_b64 s[36:37], s[38:39]
	s_cbranch_execz .LBB271_266
; %bb.263:                              ;   in Loop: Header=BB271_9 Depth=1
	v_bfe_u32 v0, v11, 16, 7
	v_cmp_ne_u32_e32 vcc, s43, v0
	v_mov_b32_e32 v3, 0x7c01
	buffer_store_dword v3, off, s[48:51], 0 offset:132 ; 4-byte Folded Spill
	s_and_saveexec_b64 s[38:39], vcc
	s_cbranch_execz .LBB271_265
; %bb.264:                              ;   in Loop: Header=BB271_9 Depth=1
	v_and_b32_e32 v3, 7, v1
	v_lshrrev_b32_e32 v12, 3, v0
	v_cmp_gt_u32_e32 vcc, 8, v0
	v_ffbh_u32_e32 v0, v3
	v_min_u32_e32 v0, 32, v0
	v_subrev_u32_e32 v5, 28, v0
	v_lshlrev_b64 v[5:6], v5, v[1:2]
	v_sub_u32_e32 v0, 29, v0
	v_cndmask_b32_e32 v0, v12, v0, vcc
	v_mov_b32_e32 v6, 0x2000
	v_lshl_add_u32 v0, v0, 10, v6
	v_lshlrev_b32_e32 v1, 8, v1
	v_and_b32_e32 v5, 7, v5
	v_and_b32_e32 v0, 0xfc00, v0
	v_cndmask_b32_e32 v3, v3, v5, vcc
	v_and_or_b32 v0, v1, s44, v0
	v_lshl_or_b32 v0, v3, 7, v0
	buffer_store_dword v0, off, s[48:51], 0 offset:132 ; 4-byte Folded Spill
.LBB271_265:                            ;   in Loop: Header=BB271_9 Depth=1
	s_or_b64 exec, exec, s[38:39]
.LBB271_266:                            ;   in Loop: Header=BB271_9 Depth=1
	s_or_b64 exec, exec, s[36:37]
.LBB271_267:                            ;   in Loop: Header=BB271_9 Depth=1
	s_or_b64 exec, exec, s[34:35]
	v_cmp_lt_u32_e32 vcc, s45, v11
	v_mov_b32_e32 v0, 0
	v_mov_b32_e32 v16, 0
	buffer_store_dword v0, off, s[48:51], 0 offset:136 ; 4-byte Folded Spill
	s_and_saveexec_b64 s[34:35], vcc
	s_cbranch_execz .LBB271_273
; %bb.268:                              ;   in Loop: Header=BB271_9 Depth=1
	v_lshrrev_b32_e32 v1, 24, v11
	v_cmp_ne_u32_e32 vcc, s42, v1
	v_bfrev_b32_e32 v16, 1
	s_and_saveexec_b64 s[36:37], vcc
	s_cbranch_execz .LBB271_272
; %bb.269:                              ;   in Loop: Header=BB271_9 Depth=1
	v_and_b32_e32 v0, 0x7f, v1
	v_cmp_ne_u32_e32 vcc, s43, v0
	v_mov_b32_e32 v16, 0x7c010000
	s_and_saveexec_b64 s[38:39], vcc
	s_cbranch_execz .LBB271_271
; %bb.270:                              ;   in Loop: Header=BB271_9 Depth=1
	v_and_b32_e32 v3, 7, v1
	v_lshrrev_b32_e32 v11, 3, v0
	v_cmp_gt_u32_e32 vcc, 8, v0
	v_ffbh_u32_e32 v0, v3
	v_min_u32_e32 v0, 32, v0
	v_subrev_u32_e32 v5, 28, v0
	v_lshlrev_b64 v[5:6], v5, v[1:2]
	v_sub_u32_e32 v0, 29, v0
	v_cndmask_b32_e32 v0, v11, v0, vcc
	v_mov_b32_e32 v6, 0x2000
	v_lshlrev_b32_e32 v1, 8, v1
	v_lshl_add_u32 v0, v0, 10, v6
	v_and_b32_e32 v5, 7, v5
	v_and_or_b32 v0, v1, s44, v0
	v_cndmask_b32_e32 v3, v3, v5, vcc
	v_lshlrev_b32_e32 v0, 16, v0
	v_lshl_or_b32 v16, v3, 23, v0
.LBB271_271:                            ;   in Loop: Header=BB271_9 Depth=1
	s_or_b64 exec, exec, s[38:39]
.LBB271_272:                            ;   in Loop: Header=BB271_9 Depth=1
	s_or_b64 exec, exec, s[36:37]
.LBB271_273:                            ;   in Loop: Header=BB271_9 Depth=1
	s_or_b64 exec, exec, s[34:35]
	global_load_dword v11, v[9:10], off offset:2568
	s_waitcnt vmcnt(0)
	v_cmp_ne_u16_sdwa s[36:37], v11, v2 src0_sel:BYTE_0 src1_sel:DWORD
	s_and_saveexec_b64 s[34:35], s[36:37]
	s_cbranch_execz .LBB271_279
; %bb.274:                              ;   in Loop: Header=BB271_9 Depth=1
	v_cmp_ne_u16_sdwa s[38:39], v11, s42 src0_sel:BYTE_0 src1_sel:DWORD
	v_mov_b32_e32 v0, 0x8000
	buffer_store_dword v0, off, s[48:51], 0 offset:136 ; 4-byte Folded Spill
	s_and_saveexec_b64 s[36:37], s[38:39]
	s_cbranch_execz .LBB271_278
; %bb.275:                              ;   in Loop: Header=BB271_9 Depth=1
	v_and_b32_e32 v0, 0x7f, v11
	v_cmp_ne_u32_e32 vcc, s43, v0
	v_mov_b32_e32 v1, 0x7c01
	buffer_store_dword v1, off, s[48:51], 0 offset:136 ; 4-byte Folded Spill
	s_and_saveexec_b64 s[38:39], vcc
	s_cbranch_execz .LBB271_277
; %bb.276:                              ;   in Loop: Header=BB271_9 Depth=1
	v_and_b32_e32 v3, 7, v11
	v_lshrrev_b32_e32 v5, 3, v0
	v_cmp_gt_u32_e32 vcc, 8, v0
	v_ffbh_u32_e32 v0, v3
	v_min_u32_e32 v6, 32, v0
	v_subrev_u32_e32 v0, 28, v6
	v_lshlrev_b64 v[0:1], v0, v[11:12]
	v_sub_u32_e32 v1, 29, v6
	v_cndmask_b32_e32 v1, v5, v1, vcc
	v_mov_b32_e32 v6, 0x2000
	v_lshl_add_u32 v1, v1, 10, v6
	v_lshlrev_b32_e32 v5, 8, v11
	v_and_b32_e32 v0, 7, v0
	v_and_b32_e32 v1, 0xfc00, v1
	v_cndmask_b32_e32 v0, v3, v0, vcc
	v_and_or_b32 v1, v5, s44, v1
	v_lshl_or_b32 v0, v0, 7, v1
	buffer_store_dword v0, off, s[48:51], 0 offset:136 ; 4-byte Folded Spill
.LBB271_277:                            ;   in Loop: Header=BB271_9 Depth=1
	s_or_b64 exec, exec, s[38:39]
.LBB271_278:                            ;   in Loop: Header=BB271_9 Depth=1
	s_or_b64 exec, exec, s[36:37]
.LBB271_279:                            ;   in Loop: Header=BB271_9 Depth=1
	s_or_b64 exec, exec, s[34:35]
	v_lshrrev_b16_e32 v1, 8, v11
	v_cmp_ne_u16_e32 vcc, 0, v1
	v_mov_b32_e32 v0, 0
	v_mov_b32_e32 v42, 0
	buffer_store_dword v0, off, s[48:51], 0 offset:140 ; 4-byte Folded Spill
	s_and_saveexec_b64 s[34:35], vcc
	s_cbranch_execz .LBB271_285
; %bb.280:                              ;   in Loop: Header=BB271_9 Depth=1
	v_cmp_ne_u16_e32 vcc, s42, v1
	v_bfrev_b32_e32 v42, 1
	s_and_saveexec_b64 s[36:37], vcc
	s_cbranch_execz .LBB271_284
; %bb.281:                              ;   in Loop: Header=BB271_9 Depth=1
	v_and_b32_e32 v0, 0x7f, v1
	v_cmp_ne_u32_e32 vcc, s43, v0
	v_mov_b32_e32 v42, 0x7c010000
	s_and_saveexec_b64 s[38:39], vcc
	s_cbranch_execz .LBB271_283
; %bb.282:                              ;   in Loop: Header=BB271_9 Depth=1
	v_and_b32_e32 v3, 7, v1
	v_lshrrev_b32_e32 v12, 3, v0
	v_cmp_gt_u32_e32 vcc, 8, v0
	v_ffbh_u32_e32 v0, v3
	v_min_u32_e32 v0, 32, v0
	v_subrev_u32_e32 v5, 28, v0
	v_lshlrev_b64 v[5:6], v5, v[1:2]
	v_sub_u32_e32 v0, 29, v0
	v_cndmask_b32_e32 v0, v12, v0, vcc
	v_mov_b32_e32 v6, 0x2000
	v_lshlrev_b32_e32 v1, 8, v1
	v_lshl_add_u32 v0, v0, 10, v6
	v_and_b32_e32 v5, 7, v5
	v_and_or_b32 v0, v1, s44, v0
	v_cndmask_b32_e32 v3, v3, v5, vcc
	v_lshlrev_b32_e32 v0, 16, v0
	v_lshl_or_b32 v42, v3, 23, v0
.LBB271_283:                            ;   in Loop: Header=BB271_9 Depth=1
	s_or_b64 exec, exec, s[38:39]
.LBB271_284:                            ;   in Loop: Header=BB271_9 Depth=1
	s_or_b64 exec, exec, s[36:37]
.LBB271_285:                            ;   in Loop: Header=BB271_9 Depth=1
	s_or_b64 exec, exec, s[34:35]
	v_lshrrev_b32_e32 v1, 16, v11
	v_cmp_ne_u16_sdwa s[36:37], v1, v2 src0_sel:BYTE_0 src1_sel:DWORD
	s_and_saveexec_b64 s[34:35], s[36:37]
	s_cbranch_execz .LBB271_291
; %bb.286:                              ;   in Loop: Header=BB271_9 Depth=1
	v_cmp_ne_u16_sdwa s[38:39], v1, s42 src0_sel:BYTE_0 src1_sel:DWORD
	v_mov_b32_e32 v0, 0x8000
	buffer_store_dword v0, off, s[48:51], 0 offset:140 ; 4-byte Folded Spill
	s_and_saveexec_b64 s[36:37], s[38:39]
	s_cbranch_execz .LBB271_290
; %bb.287:                              ;   in Loop: Header=BB271_9 Depth=1
	v_bfe_u32 v0, v11, 16, 7
	v_cmp_ne_u32_e32 vcc, s43, v0
	v_mov_b32_e32 v3, 0x7c01
	buffer_store_dword v3, off, s[48:51], 0 offset:140 ; 4-byte Folded Spill
	s_and_saveexec_b64 s[38:39], vcc
	s_cbranch_execz .LBB271_289
; %bb.288:                              ;   in Loop: Header=BB271_9 Depth=1
	v_and_b32_e32 v3, 7, v1
	v_lshrrev_b32_e32 v12, 3, v0
	v_cmp_gt_u32_e32 vcc, 8, v0
	v_ffbh_u32_e32 v0, v3
	v_min_u32_e32 v0, 32, v0
	v_subrev_u32_e32 v5, 28, v0
	v_lshlrev_b64 v[5:6], v5, v[1:2]
	v_sub_u32_e32 v0, 29, v0
	v_cndmask_b32_e32 v0, v12, v0, vcc
	v_mov_b32_e32 v6, 0x2000
	v_lshl_add_u32 v0, v0, 10, v6
	v_lshlrev_b32_e32 v1, 8, v1
	v_and_b32_e32 v5, 7, v5
	v_and_b32_e32 v0, 0xfc00, v0
	v_cndmask_b32_e32 v3, v3, v5, vcc
	v_and_or_b32 v0, v1, s44, v0
	v_lshl_or_b32 v0, v3, 7, v0
	buffer_store_dword v0, off, s[48:51], 0 offset:140 ; 4-byte Folded Spill
.LBB271_289:                            ;   in Loop: Header=BB271_9 Depth=1
	s_or_b64 exec, exec, s[38:39]
.LBB271_290:                            ;   in Loop: Header=BB271_9 Depth=1
	s_or_b64 exec, exec, s[36:37]
.LBB271_291:                            ;   in Loop: Header=BB271_9 Depth=1
	s_or_b64 exec, exec, s[34:35]
	v_cmp_lt_u32_e32 vcc, s45, v11
	v_mov_b32_e32 v0, 0
	v_mov_b32_e32 v25, 0
	buffer_store_dword v0, off, s[48:51], 0 offset:144 ; 4-byte Folded Spill
	s_and_saveexec_b64 s[34:35], vcc
	s_cbranch_execz .LBB271_297
; %bb.292:                              ;   in Loop: Header=BB271_9 Depth=1
	v_lshrrev_b32_e32 v1, 24, v11
	v_cmp_ne_u32_e32 vcc, s42, v1
	v_bfrev_b32_e32 v25, 1
	s_and_saveexec_b64 s[36:37], vcc
	s_cbranch_execz .LBB271_296
; %bb.293:                              ;   in Loop: Header=BB271_9 Depth=1
	v_and_b32_e32 v0, 0x7f, v1
	v_cmp_ne_u32_e32 vcc, s43, v0
	v_mov_b32_e32 v25, 0x7c010000
	s_and_saveexec_b64 s[38:39], vcc
	s_cbranch_execz .LBB271_295
; %bb.294:                              ;   in Loop: Header=BB271_9 Depth=1
	v_and_b32_e32 v3, 7, v1
	v_lshrrev_b32_e32 v11, 3, v0
	v_cmp_gt_u32_e32 vcc, 8, v0
	v_ffbh_u32_e32 v0, v3
	v_min_u32_e32 v0, 32, v0
	v_subrev_u32_e32 v5, 28, v0
	v_lshlrev_b64 v[5:6], v5, v[1:2]
	v_sub_u32_e32 v0, 29, v0
	v_cndmask_b32_e32 v0, v11, v0, vcc
	v_mov_b32_e32 v6, 0x2000
	v_lshlrev_b32_e32 v1, 8, v1
	v_lshl_add_u32 v0, v0, 10, v6
	v_and_b32_e32 v5, 7, v5
	v_and_or_b32 v0, v1, s44, v0
	v_cndmask_b32_e32 v3, v3, v5, vcc
	v_lshlrev_b32_e32 v0, 16, v0
	v_lshl_or_b32 v25, v3, 23, v0
.LBB271_295:                            ;   in Loop: Header=BB271_9 Depth=1
	s_or_b64 exec, exec, s[38:39]
.LBB271_296:                            ;   in Loop: Header=BB271_9 Depth=1
	s_or_b64 exec, exec, s[36:37]
.LBB271_297:                            ;   in Loop: Header=BB271_9 Depth=1
	s_or_b64 exec, exec, s[34:35]
	global_load_dword v11, v[9:10], off offset:3072
	s_waitcnt vmcnt(0)
	v_cmp_ne_u16_sdwa s[36:37], v11, v2 src0_sel:BYTE_0 src1_sel:DWORD
	s_and_saveexec_b64 s[34:35], s[36:37]
	s_cbranch_execz .LBB271_303
; %bb.298:                              ;   in Loop: Header=BB271_9 Depth=1
	v_cmp_ne_u16_sdwa s[38:39], v11, s42 src0_sel:BYTE_0 src1_sel:DWORD
	v_mov_b32_e32 v0, 0x8000
	buffer_store_dword v0, off, s[48:51], 0 offset:144 ; 4-byte Folded Spill
	s_and_saveexec_b64 s[36:37], s[38:39]
	s_cbranch_execz .LBB271_302
; %bb.299:                              ;   in Loop: Header=BB271_9 Depth=1
	v_and_b32_e32 v0, 0x7f, v11
	v_cmp_ne_u32_e32 vcc, s43, v0
	v_mov_b32_e32 v1, 0x7c01
	buffer_store_dword v1, off, s[48:51], 0 offset:144 ; 4-byte Folded Spill
	s_and_saveexec_b64 s[38:39], vcc
	s_cbranch_execz .LBB271_301
; %bb.300:                              ;   in Loop: Header=BB271_9 Depth=1
	v_and_b32_e32 v3, 7, v11
	v_lshrrev_b32_e32 v5, 3, v0
	v_cmp_gt_u32_e32 vcc, 8, v0
	v_ffbh_u32_e32 v0, v3
	v_min_u32_e32 v6, 32, v0
	v_subrev_u32_e32 v0, 28, v6
	v_lshlrev_b64 v[0:1], v0, v[11:12]
	v_sub_u32_e32 v1, 29, v6
	v_cndmask_b32_e32 v1, v5, v1, vcc
	v_mov_b32_e32 v6, 0x2000
	v_lshl_add_u32 v1, v1, 10, v6
	v_lshlrev_b32_e32 v5, 8, v11
	v_and_b32_e32 v0, 7, v0
	v_and_b32_e32 v1, 0xfc00, v1
	v_cndmask_b32_e32 v0, v3, v0, vcc
	v_and_or_b32 v1, v5, s44, v1
	v_lshl_or_b32 v0, v0, 7, v1
	buffer_store_dword v0, off, s[48:51], 0 offset:144 ; 4-byte Folded Spill
.LBB271_301:                            ;   in Loop: Header=BB271_9 Depth=1
	s_or_b64 exec, exec, s[38:39]
.LBB271_302:                            ;   in Loop: Header=BB271_9 Depth=1
	s_or_b64 exec, exec, s[36:37]
.LBB271_303:                            ;   in Loop: Header=BB271_9 Depth=1
	s_or_b64 exec, exec, s[34:35]
	v_lshrrev_b16_e32 v1, 8, v11
	v_cmp_ne_u16_e32 vcc, 0, v1
	v_mov_b32_e32 v29, 0
	v_mov_b32_e32 v50, 0
	s_and_saveexec_b64 s[34:35], vcc
	s_cbranch_execz .LBB271_309
; %bb.304:                              ;   in Loop: Header=BB271_9 Depth=1
	v_cmp_ne_u16_e32 vcc, s42, v1
	v_bfrev_b32_e32 v50, 1
	s_and_saveexec_b64 s[36:37], vcc
	s_cbranch_execz .LBB271_308
; %bb.305:                              ;   in Loop: Header=BB271_9 Depth=1
	v_and_b32_e32 v0, 0x7f, v1
	v_cmp_ne_u32_e32 vcc, s43, v0
	v_mov_b32_e32 v50, 0x7c010000
	s_and_saveexec_b64 s[38:39], vcc
	s_cbranch_execz .LBB271_307
; %bb.306:                              ;   in Loop: Header=BB271_9 Depth=1
	v_and_b32_e32 v3, 7, v1
	v_lshrrev_b32_e32 v12, 3, v0
	v_cmp_gt_u32_e32 vcc, 8, v0
	v_ffbh_u32_e32 v0, v3
	v_min_u32_e32 v0, 32, v0
	v_subrev_u32_e32 v5, 28, v0
	v_lshlrev_b64 v[5:6], v5, v[1:2]
	v_sub_u32_e32 v0, 29, v0
	v_cndmask_b32_e32 v0, v12, v0, vcc
	v_mov_b32_e32 v6, 0x2000
	v_lshlrev_b32_e32 v1, 8, v1
	v_lshl_add_u32 v0, v0, 10, v6
	v_and_b32_e32 v5, 7, v5
	v_and_or_b32 v0, v1, s44, v0
	v_cndmask_b32_e32 v3, v3, v5, vcc
	v_lshlrev_b32_e32 v0, 16, v0
	v_lshl_or_b32 v50, v3, 23, v0
.LBB271_307:                            ;   in Loop: Header=BB271_9 Depth=1
	s_or_b64 exec, exec, s[38:39]
.LBB271_308:                            ;   in Loop: Header=BB271_9 Depth=1
	s_or_b64 exec, exec, s[36:37]
.LBB271_309:                            ;   in Loop: Header=BB271_9 Depth=1
	s_or_b64 exec, exec, s[34:35]
	v_lshrrev_b32_e32 v1, 16, v11
	v_cmp_ne_u16_sdwa s[36:37], v1, v2 src0_sel:BYTE_0 src1_sel:DWORD
	s_and_saveexec_b64 s[34:35], s[36:37]
	s_cbranch_execz .LBB271_315
; %bb.310:                              ;   in Loop: Header=BB271_9 Depth=1
	v_cmp_ne_u16_sdwa s[38:39], v1, s42 src0_sel:BYTE_0 src1_sel:DWORD
	v_mov_b32_e32 v29, 0x8000
	s_and_saveexec_b64 s[36:37], s[38:39]
	s_cbranch_execz .LBB271_314
; %bb.311:                              ;   in Loop: Header=BB271_9 Depth=1
	v_bfe_u32 v0, v11, 16, 7
	v_cmp_ne_u32_e32 vcc, s43, v0
	v_mov_b32_e32 v29, 0x7c01
	s_and_saveexec_b64 s[38:39], vcc
	s_cbranch_execz .LBB271_313
; %bb.312:                              ;   in Loop: Header=BB271_9 Depth=1
	v_and_b32_e32 v3, 7, v1
	v_lshrrev_b32_e32 v12, 3, v0
	v_cmp_gt_u32_e32 vcc, 8, v0
	v_ffbh_u32_e32 v0, v3
	v_min_u32_e32 v0, 32, v0
	v_subrev_u32_e32 v5, 28, v0
	v_lshlrev_b64 v[5:6], v5, v[1:2]
	v_sub_u32_e32 v0, 29, v0
	v_cndmask_b32_e32 v0, v12, v0, vcc
	v_mov_b32_e32 v6, 0x2000
	v_lshl_add_u32 v0, v0, 10, v6
	v_lshlrev_b32_e32 v1, 8, v1
	v_and_b32_e32 v5, 7, v5
	v_and_b32_e32 v0, 0xfc00, v0
	v_cndmask_b32_e32 v3, v3, v5, vcc
	v_and_or_b32 v0, v1, s44, v0
	v_lshl_or_b32 v29, v3, 7, v0
.LBB271_313:                            ;   in Loop: Header=BB271_9 Depth=1
	s_or_b64 exec, exec, s[38:39]
.LBB271_314:                            ;   in Loop: Header=BB271_9 Depth=1
	s_or_b64 exec, exec, s[36:37]
.LBB271_315:                            ;   in Loop: Header=BB271_9 Depth=1
	s_or_b64 exec, exec, s[34:35]
	v_cmp_lt_u32_e32 vcc, s45, v11
	v_mov_b32_e32 v40, 0
	v_mov_b32_e32 v27, 0
	s_and_saveexec_b64 s[34:35], vcc
	s_cbranch_execz .LBB271_321
; %bb.316:                              ;   in Loop: Header=BB271_9 Depth=1
	v_lshrrev_b32_e32 v1, 24, v11
	v_cmp_ne_u32_e32 vcc, s42, v1
	v_bfrev_b32_e32 v27, 1
	s_and_saveexec_b64 s[36:37], vcc
	s_cbranch_execz .LBB271_320
; %bb.317:                              ;   in Loop: Header=BB271_9 Depth=1
	v_and_b32_e32 v0, 0x7f, v1
	v_cmp_ne_u32_e32 vcc, s43, v0
	v_mov_b32_e32 v27, 0x7c010000
	s_and_saveexec_b64 s[38:39], vcc
	s_cbranch_execz .LBB271_319
; %bb.318:                              ;   in Loop: Header=BB271_9 Depth=1
	v_and_b32_e32 v3, 7, v1
	v_lshrrev_b32_e32 v11, 3, v0
	v_cmp_gt_u32_e32 vcc, 8, v0
	v_ffbh_u32_e32 v0, v3
	v_min_u32_e32 v0, 32, v0
	v_subrev_u32_e32 v5, 28, v0
	v_lshlrev_b64 v[5:6], v5, v[1:2]
	v_sub_u32_e32 v0, 29, v0
	v_cndmask_b32_e32 v0, v11, v0, vcc
	v_mov_b32_e32 v6, 0x2000
	v_lshlrev_b32_e32 v1, 8, v1
	v_lshl_add_u32 v0, v0, 10, v6
	v_and_b32_e32 v5, 7, v5
	v_and_or_b32 v0, v1, s44, v0
	v_cndmask_b32_e32 v3, v3, v5, vcc
	v_lshlrev_b32_e32 v0, 16, v0
	v_lshl_or_b32 v27, v3, 23, v0
.LBB271_319:                            ;   in Loop: Header=BB271_9 Depth=1
	s_or_b64 exec, exec, s[38:39]
.LBB271_320:                            ;   in Loop: Header=BB271_9 Depth=1
	s_or_b64 exec, exec, s[36:37]
.LBB271_321:                            ;   in Loop: Header=BB271_9 Depth=1
	s_or_b64 exec, exec, s[34:35]
	global_load_dword v11, v[9:10], off offset:3080
	s_waitcnt vmcnt(0)
	v_cmp_ne_u16_sdwa s[36:37], v11, v2 src0_sel:BYTE_0 src1_sel:DWORD
	s_and_saveexec_b64 s[34:35], s[36:37]
	s_cbranch_execz .LBB271_327
; %bb.322:                              ;   in Loop: Header=BB271_9 Depth=1
	v_cmp_ne_u16_sdwa s[38:39], v11, s42 src0_sel:BYTE_0 src1_sel:DWORD
	v_mov_b32_e32 v40, 0x8000
	s_and_saveexec_b64 s[36:37], s[38:39]
	s_cbranch_execz .LBB271_326
; %bb.323:                              ;   in Loop: Header=BB271_9 Depth=1
	v_and_b32_e32 v0, 0x7f, v11
	v_cmp_ne_u32_e32 vcc, s43, v0
	v_mov_b32_e32 v40, 0x7c01
	s_and_saveexec_b64 s[38:39], vcc
	s_cbranch_execz .LBB271_325
; %bb.324:                              ;   in Loop: Header=BB271_9 Depth=1
	v_and_b32_e32 v3, 7, v11
	v_lshrrev_b32_e32 v5, 3, v0
	v_cmp_gt_u32_e32 vcc, 8, v0
	v_ffbh_u32_e32 v0, v3
	v_min_u32_e32 v6, 32, v0
	v_subrev_u32_e32 v0, 28, v6
	v_lshlrev_b64 v[0:1], v0, v[11:12]
	v_sub_u32_e32 v1, 29, v6
	v_cndmask_b32_e32 v1, v5, v1, vcc
	v_mov_b32_e32 v6, 0x2000
	v_lshl_add_u32 v1, v1, 10, v6
	v_lshlrev_b32_e32 v5, 8, v11
	v_and_b32_e32 v0, 7, v0
	v_and_b32_e32 v1, 0xfc00, v1
	v_cndmask_b32_e32 v0, v3, v0, vcc
	v_and_or_b32 v1, v5, s44, v1
	v_lshl_or_b32 v40, v0, 7, v1
.LBB271_325:                            ;   in Loop: Header=BB271_9 Depth=1
	s_or_b64 exec, exec, s[38:39]
.LBB271_326:                            ;   in Loop: Header=BB271_9 Depth=1
	s_or_b64 exec, exec, s[36:37]
.LBB271_327:                            ;   in Loop: Header=BB271_9 Depth=1
	s_or_b64 exec, exec, s[34:35]
	v_lshrrev_b16_e32 v1, 8, v11
	v_cmp_ne_u16_e32 vcc, 0, v1
	v_mov_b32_e32 v14, 0
	v_mov_b32_e32 v33, 0
	s_and_saveexec_b64 s[34:35], vcc
	s_cbranch_execz .LBB271_333
; %bb.328:                              ;   in Loop: Header=BB271_9 Depth=1
	v_cmp_ne_u16_e32 vcc, s42, v1
	v_bfrev_b32_e32 v33, 1
	s_and_saveexec_b64 s[36:37], vcc
	s_cbranch_execz .LBB271_332
; %bb.329:                              ;   in Loop: Header=BB271_9 Depth=1
	v_and_b32_e32 v0, 0x7f, v1
	v_cmp_ne_u32_e32 vcc, s43, v0
	v_mov_b32_e32 v33, 0x7c010000
	s_and_saveexec_b64 s[38:39], vcc
	s_cbranch_execz .LBB271_331
; %bb.330:                              ;   in Loop: Header=BB271_9 Depth=1
	v_and_b32_e32 v3, 7, v1
	v_lshrrev_b32_e32 v12, 3, v0
	v_cmp_gt_u32_e32 vcc, 8, v0
	v_ffbh_u32_e32 v0, v3
	v_min_u32_e32 v0, 32, v0
	v_subrev_u32_e32 v5, 28, v0
	v_lshlrev_b64 v[5:6], v5, v[1:2]
	v_sub_u32_e32 v0, 29, v0
	v_cndmask_b32_e32 v0, v12, v0, vcc
	v_mov_b32_e32 v6, 0x2000
	v_lshlrev_b32_e32 v1, 8, v1
	v_lshl_add_u32 v0, v0, 10, v6
	v_and_b32_e32 v5, 7, v5
	v_and_or_b32 v0, v1, s44, v0
	v_cndmask_b32_e32 v3, v3, v5, vcc
	v_lshlrev_b32_e32 v0, 16, v0
	v_lshl_or_b32 v33, v3, 23, v0
.LBB271_331:                            ;   in Loop: Header=BB271_9 Depth=1
	s_or_b64 exec, exec, s[38:39]
.LBB271_332:                            ;   in Loop: Header=BB271_9 Depth=1
	s_or_b64 exec, exec, s[36:37]
.LBB271_333:                            ;   in Loop: Header=BB271_9 Depth=1
	s_or_b64 exec, exec, s[34:35]
	v_lshrrev_b32_e32 v1, 16, v11
	v_cmp_ne_u16_sdwa s[36:37], v1, v2 src0_sel:BYTE_0 src1_sel:DWORD
	s_and_saveexec_b64 s[34:35], s[36:37]
	s_cbranch_execz .LBB271_339
; %bb.334:                              ;   in Loop: Header=BB271_9 Depth=1
	v_cmp_ne_u16_sdwa s[38:39], v1, s42 src0_sel:BYTE_0 src1_sel:DWORD
	v_mov_b32_e32 v14, 0x8000
	s_and_saveexec_b64 s[36:37], s[38:39]
	s_cbranch_execz .LBB271_338
; %bb.335:                              ;   in Loop: Header=BB271_9 Depth=1
	v_bfe_u32 v0, v11, 16, 7
	v_cmp_ne_u32_e32 vcc, s43, v0
	v_mov_b32_e32 v14, 0x7c01
	s_and_saveexec_b64 s[38:39], vcc
	s_cbranch_execz .LBB271_337
; %bb.336:                              ;   in Loop: Header=BB271_9 Depth=1
	v_and_b32_e32 v3, 7, v1
	v_lshrrev_b32_e32 v12, 3, v0
	v_cmp_gt_u32_e32 vcc, 8, v0
	v_ffbh_u32_e32 v0, v3
	v_min_u32_e32 v0, 32, v0
	v_subrev_u32_e32 v5, 28, v0
	v_lshlrev_b64 v[5:6], v5, v[1:2]
	v_sub_u32_e32 v0, 29, v0
	v_cndmask_b32_e32 v0, v12, v0, vcc
	v_mov_b32_e32 v6, 0x2000
	v_lshl_add_u32 v0, v0, 10, v6
	v_lshlrev_b32_e32 v1, 8, v1
	v_and_b32_e32 v5, 7, v5
	v_and_b32_e32 v0, 0xfc00, v0
	v_cndmask_b32_e32 v3, v3, v5, vcc
	v_and_or_b32 v0, v1, s44, v0
	v_lshl_or_b32 v14, v3, 7, v0
.LBB271_337:                            ;   in Loop: Header=BB271_9 Depth=1
	s_or_b64 exec, exec, s[38:39]
.LBB271_338:                            ;   in Loop: Header=BB271_9 Depth=1
	s_or_b64 exec, exec, s[36:37]
.LBB271_339:                            ;   in Loop: Header=BB271_9 Depth=1
	s_or_b64 exec, exec, s[34:35]
	v_cmp_lt_u32_e32 vcc, s45, v11
	v_mov_b32_e32 v28, 0
	v_mov_b32_e32 v56, 0
	s_and_saveexec_b64 s[34:35], vcc
	s_cbranch_execz .LBB271_345
; %bb.340:                              ;   in Loop: Header=BB271_9 Depth=1
	v_lshrrev_b32_e32 v1, 24, v11
	v_cmp_ne_u32_e32 vcc, s42, v1
	v_bfrev_b32_e32 v56, 1
	s_and_saveexec_b64 s[36:37], vcc
	s_cbranch_execz .LBB271_344
; %bb.341:                              ;   in Loop: Header=BB271_9 Depth=1
	v_and_b32_e32 v0, 0x7f, v1
	v_cmp_ne_u32_e32 vcc, s43, v0
	v_mov_b32_e32 v56, 0x7c010000
	s_and_saveexec_b64 s[38:39], vcc
	s_cbranch_execz .LBB271_343
; %bb.342:                              ;   in Loop: Header=BB271_9 Depth=1
	v_and_b32_e32 v3, 7, v1
	v_lshrrev_b32_e32 v11, 3, v0
	v_cmp_gt_u32_e32 vcc, 8, v0
	v_ffbh_u32_e32 v0, v3
	v_min_u32_e32 v0, 32, v0
	v_subrev_u32_e32 v5, 28, v0
	v_lshlrev_b64 v[5:6], v5, v[1:2]
	v_sub_u32_e32 v0, 29, v0
	v_cndmask_b32_e32 v0, v11, v0, vcc
	v_mov_b32_e32 v6, 0x2000
	v_lshlrev_b32_e32 v1, 8, v1
	v_lshl_add_u32 v0, v0, 10, v6
	v_and_b32_e32 v5, 7, v5
	v_and_or_b32 v0, v1, s44, v0
	v_cndmask_b32_e32 v3, v3, v5, vcc
	v_lshlrev_b32_e32 v0, 16, v0
	v_lshl_or_b32 v56, v3, 23, v0
.LBB271_343:                            ;   in Loop: Header=BB271_9 Depth=1
	s_or_b64 exec, exec, s[38:39]
.LBB271_344:                            ;   in Loop: Header=BB271_9 Depth=1
	s_or_b64 exec, exec, s[36:37]
.LBB271_345:                            ;   in Loop: Header=BB271_9 Depth=1
	s_or_b64 exec, exec, s[34:35]
	global_load_dword v11, v[9:10], off offset:3584
	s_waitcnt vmcnt(0)
	v_cmp_ne_u16_sdwa s[36:37], v11, v2 src0_sel:BYTE_0 src1_sel:DWORD
	s_and_saveexec_b64 s[34:35], s[36:37]
	s_cbranch_execz .LBB271_351
; %bb.346:                              ;   in Loop: Header=BB271_9 Depth=1
	v_cmp_ne_u16_sdwa s[38:39], v11, s42 src0_sel:BYTE_0 src1_sel:DWORD
	v_mov_b32_e32 v28, 0x8000
	s_and_saveexec_b64 s[36:37], s[38:39]
	s_cbranch_execz .LBB271_350
; %bb.347:                              ;   in Loop: Header=BB271_9 Depth=1
	v_and_b32_e32 v0, 0x7f, v11
	v_cmp_ne_u32_e32 vcc, s43, v0
	v_mov_b32_e32 v28, 0x7c01
	s_and_saveexec_b64 s[38:39], vcc
	s_cbranch_execz .LBB271_349
; %bb.348:                              ;   in Loop: Header=BB271_9 Depth=1
	v_and_b32_e32 v3, 7, v11
	v_lshrrev_b32_e32 v5, 3, v0
	v_cmp_gt_u32_e32 vcc, 8, v0
	v_ffbh_u32_e32 v0, v3
	v_min_u32_e32 v6, 32, v0
	v_subrev_u32_e32 v0, 28, v6
	v_lshlrev_b64 v[0:1], v0, v[11:12]
	v_sub_u32_e32 v1, 29, v6
	v_cndmask_b32_e32 v1, v5, v1, vcc
	v_mov_b32_e32 v6, 0x2000
	v_lshl_add_u32 v1, v1, 10, v6
	v_lshlrev_b32_e32 v5, 8, v11
	v_and_b32_e32 v0, 7, v0
	v_and_b32_e32 v1, 0xfc00, v1
	v_cndmask_b32_e32 v0, v3, v0, vcc
	v_and_or_b32 v1, v5, s44, v1
	v_lshl_or_b32 v28, v0, 7, v1
.LBB271_349:                            ;   in Loop: Header=BB271_9 Depth=1
	s_or_b64 exec, exec, s[38:39]
.LBB271_350:                            ;   in Loop: Header=BB271_9 Depth=1
	s_or_b64 exec, exec, s[36:37]
.LBB271_351:                            ;   in Loop: Header=BB271_9 Depth=1
	s_or_b64 exec, exec, s[34:35]
	v_lshrrev_b16_e32 v1, 8, v11
	v_cmp_ne_u16_e32 vcc, 0, v1
	v_mov_b32_e32 v34, 0
	v_mov_b32_e32 v26, 0
	s_and_saveexec_b64 s[34:35], vcc
	s_cbranch_execz .LBB271_357
; %bb.352:                              ;   in Loop: Header=BB271_9 Depth=1
	v_cmp_ne_u16_e32 vcc, s42, v1
	v_bfrev_b32_e32 v26, 1
	s_and_saveexec_b64 s[36:37], vcc
	s_cbranch_execz .LBB271_356
; %bb.353:                              ;   in Loop: Header=BB271_9 Depth=1
	v_and_b32_e32 v0, 0x7f, v1
	v_cmp_ne_u32_e32 vcc, s43, v0
	v_mov_b32_e32 v26, 0x7c010000
	s_and_saveexec_b64 s[38:39], vcc
	s_cbranch_execz .LBB271_355
; %bb.354:                              ;   in Loop: Header=BB271_9 Depth=1
	v_and_b32_e32 v3, 7, v1
	v_lshrrev_b32_e32 v12, 3, v0
	v_cmp_gt_u32_e32 vcc, 8, v0
	v_ffbh_u32_e32 v0, v3
	v_min_u32_e32 v0, 32, v0
	v_subrev_u32_e32 v5, 28, v0
	v_lshlrev_b64 v[5:6], v5, v[1:2]
	v_sub_u32_e32 v0, 29, v0
	v_cndmask_b32_e32 v0, v12, v0, vcc
	v_mov_b32_e32 v6, 0x2000
	v_lshlrev_b32_e32 v1, 8, v1
	v_lshl_add_u32 v0, v0, 10, v6
	v_and_b32_e32 v5, 7, v5
	v_and_or_b32 v0, v1, s44, v0
	v_cndmask_b32_e32 v3, v3, v5, vcc
	v_lshlrev_b32_e32 v0, 16, v0
	v_lshl_or_b32 v26, v3, 23, v0
.LBB271_355:                            ;   in Loop: Header=BB271_9 Depth=1
	s_or_b64 exec, exec, s[38:39]
.LBB271_356:                            ;   in Loop: Header=BB271_9 Depth=1
	s_or_b64 exec, exec, s[36:37]
.LBB271_357:                            ;   in Loop: Header=BB271_9 Depth=1
	s_or_b64 exec, exec, s[34:35]
	v_lshrrev_b32_e32 v1, 16, v11
	v_cmp_ne_u16_sdwa s[36:37], v1, v2 src0_sel:BYTE_0 src1_sel:DWORD
	s_and_saveexec_b64 s[34:35], s[36:37]
	s_cbranch_execz .LBB271_363
; %bb.358:                              ;   in Loop: Header=BB271_9 Depth=1
	v_cmp_ne_u16_sdwa s[38:39], v1, s42 src0_sel:BYTE_0 src1_sel:DWORD
	v_mov_b32_e32 v34, 0x8000
	s_and_saveexec_b64 s[36:37], s[38:39]
	s_cbranch_execz .LBB271_362
; %bb.359:                              ;   in Loop: Header=BB271_9 Depth=1
	v_bfe_u32 v0, v11, 16, 7
	v_cmp_ne_u32_e32 vcc, s43, v0
	v_mov_b32_e32 v34, 0x7c01
	s_and_saveexec_b64 s[38:39], vcc
	s_cbranch_execz .LBB271_361
; %bb.360:                              ;   in Loop: Header=BB271_9 Depth=1
	v_and_b32_e32 v3, 7, v1
	v_lshrrev_b32_e32 v12, 3, v0
	v_cmp_gt_u32_e32 vcc, 8, v0
	v_ffbh_u32_e32 v0, v3
	v_min_u32_e32 v0, 32, v0
	v_subrev_u32_e32 v5, 28, v0
	v_lshlrev_b64 v[5:6], v5, v[1:2]
	v_sub_u32_e32 v0, 29, v0
	v_cndmask_b32_e32 v0, v12, v0, vcc
	v_mov_b32_e32 v6, 0x2000
	v_lshl_add_u32 v0, v0, 10, v6
	v_lshlrev_b32_e32 v1, 8, v1
	v_and_b32_e32 v5, 7, v5
	v_and_b32_e32 v0, 0xfc00, v0
	v_cndmask_b32_e32 v3, v3, v5, vcc
	v_and_or_b32 v0, v1, s44, v0
	v_lshl_or_b32 v34, v3, 7, v0
.LBB271_361:                            ;   in Loop: Header=BB271_9 Depth=1
	s_or_b64 exec, exec, s[38:39]
.LBB271_362:                            ;   in Loop: Header=BB271_9 Depth=1
	s_or_b64 exec, exec, s[36:37]
.LBB271_363:                            ;   in Loop: Header=BB271_9 Depth=1
	s_or_b64 exec, exec, s[34:35]
	v_cmp_lt_u32_e32 vcc, s45, v11
	v_mov_b32_e32 v38, 0
	v_mov_b32_e32 v55, 0
	s_and_saveexec_b64 s[34:35], vcc
	s_cbranch_execz .LBB271_369
; %bb.364:                              ;   in Loop: Header=BB271_9 Depth=1
	v_lshrrev_b32_e32 v1, 24, v11
	v_cmp_ne_u32_e32 vcc, s42, v1
	v_bfrev_b32_e32 v55, 1
	s_and_saveexec_b64 s[36:37], vcc
	s_cbranch_execz .LBB271_368
; %bb.365:                              ;   in Loop: Header=BB271_9 Depth=1
	v_and_b32_e32 v0, 0x7f, v1
	v_cmp_ne_u32_e32 vcc, s43, v0
	v_mov_b32_e32 v55, 0x7c010000
	s_and_saveexec_b64 s[38:39], vcc
	s_cbranch_execz .LBB271_367
; %bb.366:                              ;   in Loop: Header=BB271_9 Depth=1
	v_and_b32_e32 v3, 7, v1
	v_lshrrev_b32_e32 v11, 3, v0
	v_cmp_gt_u32_e32 vcc, 8, v0
	v_ffbh_u32_e32 v0, v3
	v_min_u32_e32 v0, 32, v0
	v_subrev_u32_e32 v5, 28, v0
	v_lshlrev_b64 v[5:6], v5, v[1:2]
	v_sub_u32_e32 v0, 29, v0
	v_cndmask_b32_e32 v0, v11, v0, vcc
	v_mov_b32_e32 v6, 0x2000
	v_lshlrev_b32_e32 v1, 8, v1
	v_lshl_add_u32 v0, v0, 10, v6
	v_and_b32_e32 v5, 7, v5
	v_and_or_b32 v0, v1, s44, v0
	v_cndmask_b32_e32 v3, v3, v5, vcc
	v_lshlrev_b32_e32 v0, 16, v0
	v_lshl_or_b32 v55, v3, 23, v0
.LBB271_367:                            ;   in Loop: Header=BB271_9 Depth=1
	s_or_b64 exec, exec, s[38:39]
.LBB271_368:                            ;   in Loop: Header=BB271_9 Depth=1
	s_or_b64 exec, exec, s[36:37]
.LBB271_369:                            ;   in Loop: Header=BB271_9 Depth=1
	s_or_b64 exec, exec, s[34:35]
	global_load_dword v9, v[9:10], off offset:3592
	s_waitcnt vmcnt(0)
	v_cmp_ne_u16_sdwa s[36:37], v9, v2 src0_sel:BYTE_0 src1_sel:DWORD
	s_and_saveexec_b64 s[34:35], s[36:37]
	s_cbranch_execz .LBB271_375
; %bb.370:                              ;   in Loop: Header=BB271_9 Depth=1
	v_cmp_ne_u16_sdwa s[38:39], v9, s42 src0_sel:BYTE_0 src1_sel:DWORD
	v_mov_b32_e32 v38, 0x8000
	s_and_saveexec_b64 s[36:37], s[38:39]
	s_cbranch_execz .LBB271_374
; %bb.371:                              ;   in Loop: Header=BB271_9 Depth=1
	v_and_b32_e32 v0, 0x7f, v9
	v_cmp_ne_u32_e32 vcc, s43, v0
	v_mov_b32_e32 v38, 0x7c01
	s_and_saveexec_b64 s[38:39], vcc
	s_cbranch_execz .LBB271_373
; %bb.372:                              ;   in Loop: Header=BB271_9 Depth=1
	v_and_b32_e32 v3, 7, v9
	v_lshrrev_b32_e32 v5, 3, v0
	v_cmp_gt_u32_e32 vcc, 8, v0
	v_ffbh_u32_e32 v0, v3
	v_min_u32_e32 v6, 32, v0
	v_subrev_u32_e32 v0, 28, v6
	v_lshlrev_b64 v[0:1], v0, v[9:10]
	v_sub_u32_e32 v1, 29, v6
	v_cndmask_b32_e32 v1, v5, v1, vcc
	v_mov_b32_e32 v6, 0x2000
	v_lshl_add_u32 v1, v1, 10, v6
	v_lshlrev_b32_e32 v5, 8, v9
	v_and_b32_e32 v0, 7, v0
	v_and_b32_e32 v1, 0xfc00, v1
	v_cndmask_b32_e32 v0, v3, v0, vcc
	v_and_or_b32 v1, v5, s44, v1
	v_lshl_or_b32 v38, v0, 7, v1
.LBB271_373:                            ;   in Loop: Header=BB271_9 Depth=1
	s_or_b64 exec, exec, s[38:39]
.LBB271_374:                            ;   in Loop: Header=BB271_9 Depth=1
	s_or_b64 exec, exec, s[36:37]
.LBB271_375:                            ;   in Loop: Header=BB271_9 Depth=1
	s_or_b64 exec, exec, s[34:35]
	v_lshrrev_b16_e32 v1, 8, v9
	v_cmp_ne_u16_e32 vcc, 0, v1
	v_mov_b32_e32 v20, 0
	v_mov_b32_e32 v32, 0
	s_and_saveexec_b64 s[34:35], vcc
	s_cbranch_execz .LBB271_381
; %bb.376:                              ;   in Loop: Header=BB271_9 Depth=1
	v_cmp_ne_u16_e32 vcc, s42, v1
	v_bfrev_b32_e32 v32, 1
	s_and_saveexec_b64 s[36:37], vcc
	s_cbranch_execz .LBB271_380
; %bb.377:                              ;   in Loop: Header=BB271_9 Depth=1
	v_and_b32_e32 v0, 0x7f, v1
	v_cmp_ne_u32_e32 vcc, s43, v0
	v_mov_b32_e32 v32, 0x7c010000
	s_and_saveexec_b64 s[38:39], vcc
	s_cbranch_execz .LBB271_379
; %bb.378:                              ;   in Loop: Header=BB271_9 Depth=1
	v_and_b32_e32 v3, 7, v1
	v_lshrrev_b32_e32 v10, 3, v0
	v_cmp_gt_u32_e32 vcc, 8, v0
	v_ffbh_u32_e32 v0, v3
	v_min_u32_e32 v0, 32, v0
	v_subrev_u32_e32 v5, 28, v0
	v_lshlrev_b64 v[5:6], v5, v[1:2]
	v_sub_u32_e32 v0, 29, v0
	v_cndmask_b32_e32 v0, v10, v0, vcc
	v_mov_b32_e32 v6, 0x2000
	v_lshlrev_b32_e32 v1, 8, v1
	v_lshl_add_u32 v0, v0, 10, v6
	v_and_b32_e32 v5, 7, v5
	v_and_or_b32 v0, v1, s44, v0
	v_cndmask_b32_e32 v3, v3, v5, vcc
	v_lshlrev_b32_e32 v0, 16, v0
	v_lshl_or_b32 v32, v3, 23, v0
.LBB271_379:                            ;   in Loop: Header=BB271_9 Depth=1
	s_or_b64 exec, exec, s[38:39]
.LBB271_380:                            ;   in Loop: Header=BB271_9 Depth=1
	s_or_b64 exec, exec, s[36:37]
.LBB271_381:                            ;   in Loop: Header=BB271_9 Depth=1
	s_or_b64 exec, exec, s[34:35]
	v_lshrrev_b32_e32 v1, 16, v9
	v_cmp_ne_u16_sdwa s[36:37], v1, v2 src0_sel:BYTE_0 src1_sel:DWORD
	s_and_saveexec_b64 s[34:35], s[36:37]
	s_cbranch_execz .LBB271_387
; %bb.382:                              ;   in Loop: Header=BB271_9 Depth=1
	v_cmp_ne_u16_sdwa s[38:39], v1, s42 src0_sel:BYTE_0 src1_sel:DWORD
	v_mov_b32_e32 v20, 0x8000
	s_and_saveexec_b64 s[36:37], s[38:39]
	s_cbranch_execz .LBB271_386
; %bb.383:                              ;   in Loop: Header=BB271_9 Depth=1
	v_bfe_u32 v0, v9, 16, 7
	v_cmp_ne_u32_e32 vcc, s43, v0
	v_mov_b32_e32 v20, 0x7c01
	s_and_saveexec_b64 s[38:39], vcc
	s_cbranch_execz .LBB271_385
; %bb.384:                              ;   in Loop: Header=BB271_9 Depth=1
	v_and_b32_e32 v3, 7, v1
	v_lshrrev_b32_e32 v10, 3, v0
	v_cmp_gt_u32_e32 vcc, 8, v0
	v_ffbh_u32_e32 v0, v3
	v_min_u32_e32 v0, 32, v0
	v_subrev_u32_e32 v5, 28, v0
	v_lshlrev_b64 v[5:6], v5, v[1:2]
	v_sub_u32_e32 v0, 29, v0
	v_cndmask_b32_e32 v0, v10, v0, vcc
	v_mov_b32_e32 v6, 0x2000
	v_lshl_add_u32 v0, v0, 10, v6
	v_lshlrev_b32_e32 v1, 8, v1
	v_and_b32_e32 v5, 7, v5
	v_and_b32_e32 v0, 0xfc00, v0
	v_cndmask_b32_e32 v3, v3, v5, vcc
	v_and_or_b32 v0, v1, s44, v0
	v_lshl_or_b32 v20, v3, 7, v0
.LBB271_385:                            ;   in Loop: Header=BB271_9 Depth=1
	s_or_b64 exec, exec, s[38:39]
.LBB271_386:                            ;   in Loop: Header=BB271_9 Depth=1
	s_or_b64 exec, exec, s[36:37]
.LBB271_387:                            ;   in Loop: Header=BB271_9 Depth=1
	s_or_b64 exec, exec, s[34:35]
	v_cmp_lt_u32_e32 vcc, s45, v9
	v_mov_b32_e32 v30, 0
	v_mov_b32_e32 v62, 0
	s_and_saveexec_b64 s[34:35], vcc
	s_cbranch_execz .LBB271_393
; %bb.388:                              ;   in Loop: Header=BB271_9 Depth=1
	v_lshrrev_b32_e32 v1, 24, v9
	v_cmp_ne_u32_e32 vcc, s42, v1
	v_bfrev_b32_e32 v62, 1
	s_and_saveexec_b64 s[36:37], vcc
	s_cbranch_execz .LBB271_392
; %bb.389:                              ;   in Loop: Header=BB271_9 Depth=1
	v_and_b32_e32 v0, 0x7f, v1
	v_cmp_ne_u32_e32 vcc, s43, v0
	v_mov_b32_e32 v62, 0x7c010000
	s_and_saveexec_b64 s[38:39], vcc
	s_cbranch_execz .LBB271_391
; %bb.390:                              ;   in Loop: Header=BB271_9 Depth=1
	v_and_b32_e32 v3, 7, v1
	v_lshrrev_b32_e32 v9, 3, v0
	v_cmp_gt_u32_e32 vcc, 8, v0
	v_ffbh_u32_e32 v0, v3
	v_min_u32_e32 v0, 32, v0
	v_subrev_u32_e32 v5, 28, v0
	v_lshlrev_b64 v[5:6], v5, v[1:2]
	v_sub_u32_e32 v0, 29, v0
	v_cndmask_b32_e32 v0, v9, v0, vcc
	v_mov_b32_e32 v6, 0x2000
	v_lshlrev_b32_e32 v1, 8, v1
	v_lshl_add_u32 v0, v0, 10, v6
	v_and_b32_e32 v5, 7, v5
	v_and_or_b32 v0, v1, s44, v0
	v_cndmask_b32_e32 v3, v3, v5, vcc
	v_lshlrev_b32_e32 v0, 16, v0
	v_lshl_or_b32 v62, v3, 23, v0
.LBB271_391:                            ;   in Loop: Header=BB271_9 Depth=1
	s_or_b64 exec, exec, s[38:39]
.LBB271_392:                            ;   in Loop: Header=BB271_9 Depth=1
	s_or_b64 exec, exec, s[36:37]
.LBB271_393:                            ;   in Loop: Header=BB271_9 Depth=1
	s_or_b64 exec, exec, s[34:35]
	buffer_load_dword v0, off, s[48:51], 0  ; 4-byte Folded Reload
	v_add_co_u32_e32 v5, vcc, 0x1000, v7
	v_addc_co_u32_e32 v6, vcc, 0, v8, vcc
	s_waitcnt vmcnt(0)
	v_add_co_u32_e32 v0, vcc, v5, v0
	v_addc_co_u32_e32 v1, vcc, 0, v6, vcc
	global_load_dword v9, v[0:1], off
	s_waitcnt vmcnt(0)
	v_cmp_ne_u16_sdwa s[36:37], v9, v2 src0_sel:BYTE_0 src1_sel:DWORD
	s_and_saveexec_b64 s[34:35], s[36:37]
	s_cbranch_execz .LBB271_399
; %bb.394:                              ;   in Loop: Header=BB271_9 Depth=1
	v_cmp_ne_u16_sdwa s[38:39], v9, s42 src0_sel:BYTE_0 src1_sel:DWORD
	v_mov_b32_e32 v30, 0x8000
	s_and_saveexec_b64 s[36:37], s[38:39]
	s_cbranch_execz .LBB271_398
; %bb.395:                              ;   in Loop: Header=BB271_9 Depth=1
	v_and_b32_e32 v0, 0x7f, v9
	v_cmp_ne_u32_e32 vcc, s43, v0
	v_mov_b32_e32 v30, 0x7c01
	s_and_saveexec_b64 s[38:39], vcc
	s_cbranch_execz .LBB271_397
; %bb.396:                              ;   in Loop: Header=BB271_9 Depth=1
	v_and_b32_e32 v3, 7, v9
	v_lshrrev_b32_e32 v10, 3, v0
	v_cmp_gt_u32_e32 vcc, 8, v0
	v_ffbh_u32_e32 v0, v3
	v_min_u32_e32 v11, 32, v0
	v_subrev_u32_e32 v0, 28, v11
	v_lshlrev_b64 v[0:1], v0, v[9:10]
	v_sub_u32_e32 v1, 29, v11
	v_cndmask_b32_e32 v1, v10, v1, vcc
	v_mov_b32_e32 v11, 0x2000
	v_lshl_add_u32 v1, v1, 10, v11
	v_lshlrev_b32_e32 v10, 8, v9
	v_and_b32_e32 v0, 7, v0
	v_and_b32_e32 v1, 0xfc00, v1
	v_cndmask_b32_e32 v0, v3, v0, vcc
	v_and_or_b32 v1, v10, s44, v1
	v_lshl_or_b32 v30, v0, 7, v1
.LBB271_397:                            ;   in Loop: Header=BB271_9 Depth=1
	s_or_b64 exec, exec, s[38:39]
.LBB271_398:                            ;   in Loop: Header=BB271_9 Depth=1
	s_or_b64 exec, exec, s[36:37]
.LBB271_399:                            ;   in Loop: Header=BB271_9 Depth=1
	s_or_b64 exec, exec, s[34:35]
	v_lshrrev_b16_e32 v1, 8, v9
	v_cmp_ne_u16_e32 vcc, 0, v1
	v_mov_b32_e32 v12, 0
	v_mov_b32_e32 v0, 0
	s_and_saveexec_b64 s[34:35], vcc
	s_cbranch_execz .LBB271_405
; %bb.400:                              ;   in Loop: Header=BB271_9 Depth=1
	v_cmp_ne_u16_e32 vcc, s42, v1
	v_bfrev_b32_e32 v0, 1
	s_and_saveexec_b64 s[36:37], vcc
	s_cbranch_execz .LBB271_404
; %bb.401:                              ;   in Loop: Header=BB271_9 Depth=1
	v_and_b32_e32 v3, 0x7f, v1
	v_cmp_ne_u32_e32 vcc, s43, v3
	v_mov_b32_e32 v0, 0x7c010000
	s_and_saveexec_b64 s[38:39], vcc
	s_cbranch_execz .LBB271_403
; %bb.402:                              ;   in Loop: Header=BB271_9 Depth=1
	v_and_b32_e32 v0, 7, v1
	v_lshrrev_b32_e32 v13, 3, v3
	v_cmp_gt_u32_e32 vcc, 8, v3
	v_ffbh_u32_e32 v3, v0
	v_min_u32_e32 v3, 32, v3
	v_subrev_u32_e32 v10, 28, v3
	v_lshlrev_b64 v[10:11], v10, v[1:2]
	v_sub_u32_e32 v3, 29, v3
	v_cndmask_b32_e32 v3, v13, v3, vcc
	v_mov_b32_e32 v11, 0x2000
	v_lshlrev_b32_e32 v1, 8, v1
	v_lshl_add_u32 v3, v3, 10, v11
	v_and_b32_e32 v10, 7, v10
	v_and_or_b32 v1, v1, s44, v3
	v_cndmask_b32_e32 v0, v0, v10, vcc
	v_lshlrev_b32_e32 v1, 16, v1
	v_lshl_or_b32 v0, v0, 23, v1
.LBB271_403:                            ;   in Loop: Header=BB271_9 Depth=1
	s_or_b64 exec, exec, s[38:39]
.LBB271_404:                            ;   in Loop: Header=BB271_9 Depth=1
	s_or_b64 exec, exec, s[36:37]
.LBB271_405:                            ;   in Loop: Header=BB271_9 Depth=1
	s_or_b64 exec, exec, s[34:35]
	v_lshrrev_b32_e32 v1, 16, v9
	v_cmp_ne_u16_sdwa s[36:37], v1, v2 src0_sel:BYTE_0 src1_sel:DWORD
	s_and_saveexec_b64 s[34:35], s[36:37]
	s_cbranch_execz .LBB271_411
; %bb.406:                              ;   in Loop: Header=BB271_9 Depth=1
	v_cmp_ne_u16_sdwa s[38:39], v1, s42 src0_sel:BYTE_0 src1_sel:DWORD
	v_mov_b32_e32 v12, 0x8000
	s_and_saveexec_b64 s[36:37], s[38:39]
	s_cbranch_execz .LBB271_410
; %bb.407:                              ;   in Loop: Header=BB271_9 Depth=1
	v_bfe_u32 v3, v9, 16, 7
	v_cmp_ne_u32_e32 vcc, s43, v3
	v_mov_b32_e32 v12, 0x7c01
	s_and_saveexec_b64 s[38:39], vcc
	s_cbranch_execz .LBB271_409
; %bb.408:                              ;   in Loop: Header=BB271_9 Depth=1
	v_and_b32_e32 v12, 7, v1
	v_lshrrev_b32_e32 v13, 3, v3
	v_cmp_gt_u32_e32 vcc, 8, v3
	v_ffbh_u32_e32 v3, v12
	v_min_u32_e32 v3, 32, v3
	v_subrev_u32_e32 v10, 28, v3
	v_lshlrev_b64 v[10:11], v10, v[1:2]
	v_sub_u32_e32 v3, 29, v3
	v_cndmask_b32_e32 v3, v13, v3, vcc
	v_mov_b32_e32 v11, 0x2000
	v_lshl_add_u32 v3, v3, 10, v11
	v_lshlrev_b32_e32 v1, 8, v1
	v_and_b32_e32 v10, 7, v10
	v_and_b32_e32 v3, 0xfc00, v3
	v_cndmask_b32_e32 v10, v12, v10, vcc
	v_and_or_b32 v1, v1, s44, v3
	v_lshl_or_b32 v12, v10, 7, v1
.LBB271_409:                            ;   in Loop: Header=BB271_9 Depth=1
	s_or_b64 exec, exec, s[38:39]
.LBB271_410:                            ;   in Loop: Header=BB271_9 Depth=1
	s_or_b64 exec, exec, s[36:37]
.LBB271_411:                            ;   in Loop: Header=BB271_9 Depth=1
	s_or_b64 exec, exec, s[34:35]
	v_cmp_lt_u32_e32 vcc, s45, v9
	v_mov_b32_e32 v23, 0
	v_mov_b32_e32 v3, 0
	s_and_saveexec_b64 s[34:35], vcc
	s_cbranch_execz .LBB271_417
; %bb.412:                              ;   in Loop: Header=BB271_9 Depth=1
	v_lshrrev_b32_e32 v1, 24, v9
	v_cmp_ne_u32_e32 vcc, s42, v1
	v_bfrev_b32_e32 v3, 1
	s_and_saveexec_b64 s[36:37], vcc
	s_cbranch_execz .LBB271_416
; %bb.413:                              ;   in Loop: Header=BB271_9 Depth=1
	v_and_b32_e32 v9, 0x7f, v1
	v_cmp_ne_u32_e32 vcc, s43, v9
	v_mov_b32_e32 v3, 0x7c010000
	s_and_saveexec_b64 s[38:39], vcc
	s_cbranch_execz .LBB271_415
; %bb.414:                              ;   in Loop: Header=BB271_9 Depth=1
	v_and_b32_e32 v3, 7, v1
	v_lshrrev_b32_e32 v11, 3, v9
	v_cmp_gt_u32_e32 vcc, 8, v9
	v_ffbh_u32_e32 v9, v3
	v_min_u32_e32 v13, 32, v9
	v_subrev_u32_e32 v9, 28, v13
	v_lshlrev_b64 v[9:10], v9, v[1:2]
	v_sub_u32_e32 v10, 29, v13
	v_cndmask_b32_e32 v10, v11, v10, vcc
	v_mov_b32_e32 v11, 0x2000
	v_lshlrev_b32_e32 v1, 8, v1
	v_lshl_add_u32 v10, v10, 10, v11
	v_and_b32_e32 v9, 7, v9
	v_and_or_b32 v1, v1, s44, v10
	v_cndmask_b32_e32 v3, v3, v9, vcc
	v_lshlrev_b32_e32 v1, 16, v1
	v_lshl_or_b32 v3, v3, 23, v1
.LBB271_415:                            ;   in Loop: Header=BB271_9 Depth=1
	s_or_b64 exec, exec, s[38:39]
.LBB271_416:                            ;   in Loop: Header=BB271_9 Depth=1
	s_or_b64 exec, exec, s[36:37]
.LBB271_417:                            ;   in Loop: Header=BB271_9 Depth=1
	s_or_b64 exec, exec, s[34:35]
	buffer_load_dword v1, off, s[48:51], 0 offset:4 ; 4-byte Folded Reload
	s_waitcnt vmcnt(0)
	v_add_co_u32_e32 v5, vcc, v5, v1
	v_addc_co_u32_e32 v6, vcc, 0, v6, vcc
	global_load_dword v9, v[5:6], off
	s_waitcnt vmcnt(0)
	v_cmp_ne_u16_sdwa s[36:37], v9, v2 src0_sel:BYTE_0 src1_sel:DWORD
	s_and_saveexec_b64 s[34:35], s[36:37]
	s_cbranch_execz .LBB271_423
; %bb.418:                              ;   in Loop: Header=BB271_9 Depth=1
	v_cmp_ne_u16_sdwa s[38:39], v9, s42 src0_sel:BYTE_0 src1_sel:DWORD
	v_mov_b32_e32 v23, 0x8000
	s_and_saveexec_b64 s[36:37], s[38:39]
	s_cbranch_execz .LBB271_422
; %bb.419:                              ;   in Loop: Header=BB271_9 Depth=1
	v_and_b32_e32 v1, 0x7f, v9
	v_cmp_ne_u32_e32 vcc, s43, v1
	v_mov_b32_e32 v23, 0x7c01
	s_and_saveexec_b64 s[38:39], vcc
	s_cbranch_execz .LBB271_421
; %bb.420:                              ;   in Loop: Header=BB271_9 Depth=1
	v_and_b32_e32 v10, 7, v9
	v_lshrrev_b32_e32 v11, 3, v1
	v_cmp_gt_u32_e32 vcc, 8, v1
	v_ffbh_u32_e32 v1, v10
	v_min_u32_e32 v1, 32, v1
	v_subrev_u32_e32 v5, 28, v1
	v_sub_u32_e32 v1, 29, v1
	v_lshlrev_b64 v[5:6], v5, v[9:10]
	v_cndmask_b32_e32 v1, v11, v1, vcc
	v_mov_b32_e32 v11, 0x2000
	v_lshl_add_u32 v1, v1, 10, v11
	v_lshlrev_b32_e32 v6, 8, v9
	v_and_b32_e32 v5, 7, v5
	v_and_b32_e32 v1, 0xfc00, v1
	v_cndmask_b32_e32 v5, v10, v5, vcc
	v_and_or_b32 v1, v6, s44, v1
	v_lshl_or_b32 v23, v5, 7, v1
.LBB271_421:                            ;   in Loop: Header=BB271_9 Depth=1
	s_or_b64 exec, exec, s[38:39]
.LBB271_422:                            ;   in Loop: Header=BB271_9 Depth=1
	s_or_b64 exec, exec, s[36:37]
.LBB271_423:                            ;   in Loop: Header=BB271_9 Depth=1
	s_or_b64 exec, exec, s[34:35]
	v_lshrrev_b16_e32 v1, 8, v9
	v_cmp_ne_u16_e32 vcc, 0, v1
	v_mov_b32_e32 v44, 0
	v_mov_b32_e32 v47, 0
	s_and_saveexec_b64 s[34:35], vcc
	s_cbranch_execz .LBB271_429
; %bb.424:                              ;   in Loop: Header=BB271_9 Depth=1
	v_cmp_ne_u16_e32 vcc, s42, v1
	v_bfrev_b32_e32 v47, 1
	s_and_saveexec_b64 s[36:37], vcc
	s_cbranch_execz .LBB271_428
; %bb.425:                              ;   in Loop: Header=BB271_9 Depth=1
	v_and_b32_e32 v5, 0x7f, v1
	v_cmp_ne_u32_e32 vcc, s43, v5
	v_mov_b32_e32 v47, 0x7c010000
	s_and_saveexec_b64 s[38:39], vcc
	s_cbranch_execz .LBB271_427
; %bb.426:                              ;   in Loop: Header=BB271_9 Depth=1
	v_and_b32_e32 v10, 7, v1
	v_lshrrev_b32_e32 v11, 3, v5
	v_cmp_gt_u32_e32 vcc, 8, v5
	v_ffbh_u32_e32 v5, v10
	v_min_u32_e32 v13, 32, v5
	v_subrev_u32_e32 v5, 28, v13
	v_lshlrev_b64 v[5:6], v5, v[1:2]
	v_sub_u32_e32 v6, 29, v13
	v_cndmask_b32_e32 v6, v11, v6, vcc
	v_mov_b32_e32 v11, 0x2000
	v_lshlrev_b32_e32 v1, 8, v1
	v_lshl_add_u32 v6, v6, 10, v11
	v_and_b32_e32 v5, 7, v5
	v_and_or_b32 v1, v1, s44, v6
	v_cndmask_b32_e32 v5, v10, v5, vcc
	v_lshlrev_b32_e32 v1, 16, v1
	v_lshl_or_b32 v47, v5, 23, v1
.LBB271_427:                            ;   in Loop: Header=BB271_9 Depth=1
	s_or_b64 exec, exec, s[38:39]
.LBB271_428:                            ;   in Loop: Header=BB271_9 Depth=1
	s_or_b64 exec, exec, s[36:37]
.LBB271_429:                            ;   in Loop: Header=BB271_9 Depth=1
	s_or_b64 exec, exec, s[34:35]
	v_lshrrev_b32_e32 v1, 16, v9
	v_cmp_ne_u16_sdwa s[36:37], v1, v2 src0_sel:BYTE_0 src1_sel:DWORD
	s_and_saveexec_b64 s[34:35], s[36:37]
	s_cbranch_execz .LBB271_435
; %bb.430:                              ;   in Loop: Header=BB271_9 Depth=1
	v_cmp_ne_u16_sdwa s[38:39], v1, s42 src0_sel:BYTE_0 src1_sel:DWORD
	v_mov_b32_e32 v44, 0x8000
	s_and_saveexec_b64 s[36:37], s[38:39]
	s_cbranch_execz .LBB271_434
; %bb.431:                              ;   in Loop: Header=BB271_9 Depth=1
	v_bfe_u32 v5, v9, 16, 7
	v_cmp_ne_u32_e32 vcc, s43, v5
	v_mov_b32_e32 v44, 0x7c01
	s_and_saveexec_b64 s[38:39], vcc
	s_cbranch_execz .LBB271_433
; %bb.432:                              ;   in Loop: Header=BB271_9 Depth=1
	v_and_b32_e32 v10, 7, v1
	v_lshrrev_b32_e32 v11, 3, v5
	v_cmp_gt_u32_e32 vcc, 8, v5
	v_ffbh_u32_e32 v5, v10
	v_min_u32_e32 v13, 32, v5
	v_subrev_u32_e32 v5, 28, v13
	v_lshlrev_b64 v[5:6], v5, v[1:2]
	v_sub_u32_e32 v6, 29, v13
	v_cndmask_b32_e32 v6, v11, v6, vcc
	v_mov_b32_e32 v11, 0x2000
	v_lshl_add_u32 v6, v6, 10, v11
	v_lshlrev_b32_e32 v1, 8, v1
	v_and_b32_e32 v5, 7, v5
	v_and_b32_e32 v6, 0xfc00, v6
	v_cndmask_b32_e32 v5, v10, v5, vcc
	v_and_or_b32 v1, v1, s44, v6
	v_lshl_or_b32 v44, v5, 7, v1
.LBB271_433:                            ;   in Loop: Header=BB271_9 Depth=1
	s_or_b64 exec, exec, s[38:39]
.LBB271_434:                            ;   in Loop: Header=BB271_9 Depth=1
	s_or_b64 exec, exec, s[36:37]
.LBB271_435:                            ;   in Loop: Header=BB271_9 Depth=1
	s_or_b64 exec, exec, s[34:35]
	v_cmp_lt_u32_e32 vcc, s45, v9
	v_mov_b32_e32 v13, 0
	v_mov_b32_e32 v49, 0
	s_and_saveexec_b64 s[34:35], vcc
	s_cbranch_execz .LBB271_441
; %bb.436:                              ;   in Loop: Header=BB271_9 Depth=1
	v_lshrrev_b32_e32 v1, 24, v9
	v_cmp_ne_u32_e32 vcc, s42, v1
	v_bfrev_b32_e32 v49, 1
	s_and_saveexec_b64 s[36:37], vcc
	s_cbranch_execz .LBB271_440
; %bb.437:                              ;   in Loop: Header=BB271_9 Depth=1
	v_and_b32_e32 v5, 0x7f, v1
	v_cmp_ne_u32_e32 vcc, s43, v5
	v_mov_b32_e32 v49, 0x7c010000
	s_and_saveexec_b64 s[38:39], vcc
	s_cbranch_execz .LBB271_439
; %bb.438:                              ;   in Loop: Header=BB271_9 Depth=1
	v_and_b32_e32 v9, 7, v1
	v_lshrrev_b32_e32 v10, 3, v5
	v_cmp_gt_u32_e32 vcc, 8, v5
	v_ffbh_u32_e32 v5, v9
	v_min_u32_e32 v11, 32, v5
	v_subrev_u32_e32 v5, 28, v11
	v_lshlrev_b64 v[5:6], v5, v[1:2]
	v_sub_u32_e32 v6, 29, v11
	v_cndmask_b32_e32 v6, v10, v6, vcc
	v_mov_b32_e32 v10, 0x2000
	v_lshlrev_b32_e32 v1, 8, v1
	v_lshl_add_u32 v6, v6, 10, v10
	v_and_b32_e32 v5, 7, v5
	v_and_or_b32 v1, v1, s44, v6
	v_cndmask_b32_e32 v5, v9, v5, vcc
	v_lshlrev_b32_e32 v1, 16, v1
	v_lshl_or_b32 v49, v5, 23, v1
.LBB271_439:                            ;   in Loop: Header=BB271_9 Depth=1
	s_or_b64 exec, exec, s[38:39]
.LBB271_440:                            ;   in Loop: Header=BB271_9 Depth=1
	s_or_b64 exec, exec, s[36:37]
.LBB271_441:                            ;   in Loop: Header=BB271_9 Depth=1
	s_or_b64 exec, exec, s[34:35]
	buffer_load_dword v1, off, s[48:51], 0  ; 4-byte Folded Reload
	v_add_co_u32_e32 v5, vcc, 0x1200, v7
	v_addc_co_u32_e32 v6, vcc, 0, v8, vcc
	s_waitcnt vmcnt(0)
	v_add_co_u32_e32 v9, vcc, v5, v1
	v_addc_co_u32_e32 v10, vcc, 0, v6, vcc
	global_load_dword v9, v[9:10], off
	s_waitcnt vmcnt(0)
	v_cmp_ne_u16_sdwa s[36:37], v9, v2 src0_sel:BYTE_0 src1_sel:DWORD
	s_and_saveexec_b64 s[34:35], s[36:37]
	s_cbranch_execz .LBB271_447
; %bb.442:                              ;   in Loop: Header=BB271_9 Depth=1
	v_cmp_ne_u16_sdwa s[38:39], v9, s42 src0_sel:BYTE_0 src1_sel:DWORD
	v_mov_b32_e32 v13, 0x8000
	s_and_saveexec_b64 s[36:37], s[38:39]
	s_cbranch_execz .LBB271_446
; %bb.443:                              ;   in Loop: Header=BB271_9 Depth=1
	v_and_b32_e32 v1, 0x7f, v9
	v_cmp_ne_u32_e32 vcc, s43, v1
	v_mov_b32_e32 v13, 0x7c01
	s_and_saveexec_b64 s[38:39], vcc
	s_cbranch_execz .LBB271_445
; %bb.444:                              ;   in Loop: Header=BB271_9 Depth=1
	v_and_b32_e32 v13, 7, v9
	v_lshrrev_b32_e32 v15, 3, v1
	v_cmp_gt_u32_e32 vcc, 8, v1
	v_ffbh_u32_e32 v1, v13
	v_min_u32_e32 v1, 32, v1
	v_subrev_u32_e32 v10, 28, v1
	v_sub_u32_e32 v1, 29, v1
	v_lshlrev_b64 v[10:11], v10, v[9:10]
	v_cndmask_b32_e32 v1, v15, v1, vcc
	v_mov_b32_e32 v15, 0x2000
	v_lshl_add_u32 v1, v1, 10, v15
	v_lshlrev_b32_e32 v11, 8, v9
	v_and_b32_e32 v10, 7, v10
	v_and_b32_e32 v1, 0xfc00, v1
	v_cndmask_b32_e32 v10, v13, v10, vcc
	v_and_or_b32 v1, v11, s44, v1
	v_lshl_or_b32 v13, v10, 7, v1
.LBB271_445:                            ;   in Loop: Header=BB271_9 Depth=1
	s_or_b64 exec, exec, s[38:39]
.LBB271_446:                            ;   in Loop: Header=BB271_9 Depth=1
	s_or_b64 exec, exec, s[36:37]
.LBB271_447:                            ;   in Loop: Header=BB271_9 Depth=1
	s_or_b64 exec, exec, s[34:35]
	v_lshrrev_b16_e32 v1, 8, v9
	v_cmp_ne_u16_e32 vcc, 0, v1
	v_mov_b32_e32 v39, 0
	v_mov_b32_e32 v21, 0
	s_and_saveexec_b64 s[34:35], vcc
	s_cbranch_execz .LBB271_453
; %bb.448:                              ;   in Loop: Header=BB271_9 Depth=1
	v_cmp_ne_u16_e32 vcc, s42, v1
	v_bfrev_b32_e32 v21, 1
	s_and_saveexec_b64 s[36:37], vcc
	s_cbranch_execz .LBB271_452
; %bb.449:                              ;   in Loop: Header=BB271_9 Depth=1
	v_and_b32_e32 v10, 0x7f, v1
	v_cmp_ne_u32_e32 vcc, s43, v10
	v_mov_b32_e32 v21, 0x7c010000
	s_and_saveexec_b64 s[38:39], vcc
	s_cbranch_execz .LBB271_451
; %bb.450:                              ;   in Loop: Header=BB271_9 Depth=1
	v_and_b32_e32 v15, 7, v1
	v_lshrrev_b32_e32 v18, 3, v10
	v_cmp_gt_u32_e32 vcc, 8, v10
	v_ffbh_u32_e32 v10, v15
	v_min_u32_e32 v21, 32, v10
	v_subrev_u32_e32 v10, 28, v21
	v_lshlrev_b64 v[10:11], v10, v[1:2]
	v_sub_u32_e32 v11, 29, v21
	v_cndmask_b32_e32 v11, v18, v11, vcc
	v_mov_b32_e32 v18, 0x2000
	v_lshlrev_b32_e32 v1, 8, v1
	v_lshl_add_u32 v11, v11, 10, v18
	v_and_b32_e32 v10, 7, v10
	v_and_or_b32 v1, v1, s44, v11
	v_cndmask_b32_e32 v10, v15, v10, vcc
	v_lshlrev_b32_e32 v1, 16, v1
	v_lshl_or_b32 v21, v10, 23, v1
.LBB271_451:                            ;   in Loop: Header=BB271_9 Depth=1
	s_or_b64 exec, exec, s[38:39]
.LBB271_452:                            ;   in Loop: Header=BB271_9 Depth=1
	s_or_b64 exec, exec, s[36:37]
.LBB271_453:                            ;   in Loop: Header=BB271_9 Depth=1
	s_or_b64 exec, exec, s[34:35]
	v_lshrrev_b32_e32 v1, 16, v9
	v_cmp_ne_u16_sdwa s[36:37], v1, v2 src0_sel:BYTE_0 src1_sel:DWORD
	s_and_saveexec_b64 s[34:35], s[36:37]
	s_cbranch_execz .LBB271_459
; %bb.454:                              ;   in Loop: Header=BB271_9 Depth=1
	v_cmp_ne_u16_sdwa s[38:39], v1, s42 src0_sel:BYTE_0 src1_sel:DWORD
	v_mov_b32_e32 v39, 0x8000
	s_and_saveexec_b64 s[36:37], s[38:39]
	s_cbranch_execz .LBB271_458
; %bb.455:                              ;   in Loop: Header=BB271_9 Depth=1
	v_bfe_u32 v10, v9, 16, 7
	v_cmp_ne_u32_e32 vcc, s43, v10
	v_mov_b32_e32 v39, 0x7c01
	s_and_saveexec_b64 s[38:39], vcc
	s_cbranch_execz .LBB271_457
; %bb.456:                              ;   in Loop: Header=BB271_9 Depth=1
	v_and_b32_e32 v15, 7, v1
	v_lshrrev_b32_e32 v18, 3, v10
	v_cmp_gt_u32_e32 vcc, 8, v10
	v_ffbh_u32_e32 v10, v15
	v_min_u32_e32 v22, 32, v10
	v_subrev_u32_e32 v10, 28, v22
	v_lshlrev_b64 v[10:11], v10, v[1:2]
	v_sub_u32_e32 v11, 29, v22
	v_cndmask_b32_e32 v11, v18, v11, vcc
	v_mov_b32_e32 v18, 0x2000
	v_lshl_add_u32 v11, v11, 10, v18
	v_lshlrev_b32_e32 v1, 8, v1
	v_and_b32_e32 v10, 7, v10
	v_and_b32_e32 v11, 0xfc00, v11
	v_cndmask_b32_e32 v10, v15, v10, vcc
	v_and_or_b32 v1, v1, s44, v11
	v_lshl_or_b32 v39, v10, 7, v1
.LBB271_457:                            ;   in Loop: Header=BB271_9 Depth=1
	s_or_b64 exec, exec, s[38:39]
.LBB271_458:                            ;   in Loop: Header=BB271_9 Depth=1
	s_or_b64 exec, exec, s[36:37]
.LBB271_459:                            ;   in Loop: Header=BB271_9 Depth=1
	s_or_b64 exec, exec, s[34:35]
	v_cmp_lt_u32_e32 vcc, s45, v9
	v_mov_b32_e32 v22, 0
	v_mov_b32_e32 v48, 0
	s_and_saveexec_b64 s[34:35], vcc
	s_cbranch_execz .LBB271_465
; %bb.460:                              ;   in Loop: Header=BB271_9 Depth=1
	v_lshrrev_b32_e32 v1, 24, v9
	v_cmp_ne_u32_e32 vcc, s42, v1
	v_bfrev_b32_e32 v48, 1
	s_and_saveexec_b64 s[36:37], vcc
	s_cbranch_execz .LBB271_464
; %bb.461:                              ;   in Loop: Header=BB271_9 Depth=1
	v_and_b32_e32 v9, 0x7f, v1
	v_cmp_ne_u32_e32 vcc, s43, v9
	v_mov_b32_e32 v48, 0x7c010000
	s_and_saveexec_b64 s[38:39], vcc
	s_cbranch_execz .LBB271_463
; %bb.462:                              ;   in Loop: Header=BB271_9 Depth=1
	v_and_b32_e32 v11, 7, v1
	v_lshrrev_b32_e32 v15, 3, v9
	v_cmp_gt_u32_e32 vcc, 8, v9
	v_ffbh_u32_e32 v9, v11
	v_min_u32_e32 v18, 32, v9
	v_subrev_u32_e32 v9, 28, v18
	v_lshlrev_b64 v[9:10], v9, v[1:2]
	v_sub_u32_e32 v10, 29, v18
	v_cndmask_b32_e32 v10, v15, v10, vcc
	v_mov_b32_e32 v15, 0x2000
	v_lshlrev_b32_e32 v1, 8, v1
	v_lshl_add_u32 v10, v10, 10, v15
	v_and_b32_e32 v9, 7, v9
	v_and_or_b32 v1, v1, s44, v10
	v_cndmask_b32_e32 v9, v11, v9, vcc
	v_lshlrev_b32_e32 v1, 16, v1
	v_lshl_or_b32 v48, v9, 23, v1
.LBB271_463:                            ;   in Loop: Header=BB271_9 Depth=1
	s_or_b64 exec, exec, s[38:39]
.LBB271_464:                            ;   in Loop: Header=BB271_9 Depth=1
	s_or_b64 exec, exec, s[36:37]
.LBB271_465:                            ;   in Loop: Header=BB271_9 Depth=1
	s_or_b64 exec, exec, s[34:35]
	buffer_load_dword v1, off, s[48:51], 0 offset:4 ; 4-byte Folded Reload
	s_waitcnt vmcnt(0)
	v_add_co_u32_e32 v5, vcc, v5, v1
	v_addc_co_u32_e32 v6, vcc, 0, v6, vcc
	global_load_dword v9, v[5:6], off
	s_waitcnt vmcnt(0)
	v_cmp_ne_u16_sdwa s[36:37], v9, v2 src0_sel:BYTE_0 src1_sel:DWORD
	s_and_saveexec_b64 s[34:35], s[36:37]
	s_cbranch_execz .LBB271_471
; %bb.466:                              ;   in Loop: Header=BB271_9 Depth=1
	v_cmp_ne_u16_sdwa s[38:39], v9, s42 src0_sel:BYTE_0 src1_sel:DWORD
	v_mov_b32_e32 v22, 0x8000
	s_and_saveexec_b64 s[36:37], s[38:39]
	s_cbranch_execz .LBB271_470
; %bb.467:                              ;   in Loop: Header=BB271_9 Depth=1
	v_and_b32_e32 v1, 0x7f, v9
	v_cmp_ne_u32_e32 vcc, s43, v1
	v_mov_b32_e32 v22, 0x7c01
	s_and_saveexec_b64 s[38:39], vcc
	s_cbranch_execz .LBB271_469
; %bb.468:                              ;   in Loop: Header=BB271_9 Depth=1
	v_and_b32_e32 v10, 7, v9
	v_lshrrev_b32_e32 v11, 3, v1
	v_cmp_gt_u32_e32 vcc, 8, v1
	v_ffbh_u32_e32 v1, v10
	v_min_u32_e32 v1, 32, v1
	v_subrev_u32_e32 v5, 28, v1
	v_sub_u32_e32 v1, 29, v1
	v_lshlrev_b64 v[5:6], v5, v[9:10]
	v_cndmask_b32_e32 v1, v11, v1, vcc
	v_mov_b32_e32 v11, 0x2000
	v_lshl_add_u32 v1, v1, 10, v11
	v_lshlrev_b32_e32 v6, 8, v9
	v_and_b32_e32 v5, 7, v5
	v_and_b32_e32 v1, 0xfc00, v1
	v_cndmask_b32_e32 v5, v10, v5, vcc
	v_and_or_b32 v1, v6, s44, v1
	v_lshl_or_b32 v22, v5, 7, v1
.LBB271_469:                            ;   in Loop: Header=BB271_9 Depth=1
	s_or_b64 exec, exec, s[38:39]
.LBB271_470:                            ;   in Loop: Header=BB271_9 Depth=1
	s_or_b64 exec, exec, s[36:37]
.LBB271_471:                            ;   in Loop: Header=BB271_9 Depth=1
	s_or_b64 exec, exec, s[34:35]
	v_lshrrev_b16_e32 v1, 8, v9
	v_cmp_ne_u16_e32 vcc, 0, v1
	v_mov_b32_e32 v5, 0
	v_mov_b32_e32 v36, 0
	s_and_saveexec_b64 s[34:35], vcc
	s_cbranch_execz .LBB271_477
; %bb.472:                              ;   in Loop: Header=BB271_9 Depth=1
	v_cmp_ne_u16_e32 vcc, s42, v1
	v_bfrev_b32_e32 v36, 1
	s_and_saveexec_b64 s[36:37], vcc
	s_cbranch_execz .LBB271_476
; %bb.473:                              ;   in Loop: Header=BB271_9 Depth=1
	v_and_b32_e32 v6, 0x7f, v1
	v_cmp_ne_u32_e32 vcc, s43, v6
	v_mov_b32_e32 v36, 0x7c010000
	s_and_saveexec_b64 s[38:39], vcc
	s_cbranch_execz .LBB271_475
; %bb.474:                              ;   in Loop: Header=BB271_9 Depth=1
	v_and_b32_e32 v15, 7, v1
	v_lshrrev_b32_e32 v18, 3, v6
	v_cmp_gt_u32_e32 vcc, 8, v6
	v_ffbh_u32_e32 v6, v15
	v_min_u32_e32 v6, 32, v6
	v_subrev_u32_e32 v10, 28, v6
	v_lshlrev_b64 v[10:11], v10, v[1:2]
	v_sub_u32_e32 v6, 29, v6
	v_cndmask_b32_e32 v6, v18, v6, vcc
	v_mov_b32_e32 v11, 0x2000
	v_lshlrev_b32_e32 v1, 8, v1
	v_lshl_add_u32 v6, v6, 10, v11
	v_and_b32_e32 v10, 7, v10
	v_and_or_b32 v1, v1, s44, v6
	v_cndmask_b32_e32 v10, v15, v10, vcc
	v_lshlrev_b32_e32 v1, 16, v1
	v_lshl_or_b32 v36, v10, 23, v1
.LBB271_475:                            ;   in Loop: Header=BB271_9 Depth=1
	s_or_b64 exec, exec, s[38:39]
.LBB271_476:                            ;   in Loop: Header=BB271_9 Depth=1
	s_or_b64 exec, exec, s[36:37]
.LBB271_477:                            ;   in Loop: Header=BB271_9 Depth=1
	s_or_b64 exec, exec, s[34:35]
	v_lshrrev_b32_e32 v1, 16, v9
	v_cmp_ne_u16_sdwa s[36:37], v1, v2 src0_sel:BYTE_0 src1_sel:DWORD
	s_and_saveexec_b64 s[34:35], s[36:37]
	s_cbranch_execz .LBB271_483
; %bb.478:                              ;   in Loop: Header=BB271_9 Depth=1
	v_cmp_ne_u16_sdwa s[38:39], v1, s42 src0_sel:BYTE_0 src1_sel:DWORD
	v_mov_b32_e32 v5, 0x8000
	s_and_saveexec_b64 s[36:37], s[38:39]
	s_cbranch_execz .LBB271_482
; %bb.479:                              ;   in Loop: Header=BB271_9 Depth=1
	v_bfe_u32 v6, v9, 16, 7
	v_cmp_ne_u32_e32 vcc, s43, v6
	v_mov_b32_e32 v5, 0x7c01
	s_and_saveexec_b64 s[38:39], vcc
	s_cbranch_execz .LBB271_481
; %bb.480:                              ;   in Loop: Header=BB271_9 Depth=1
	v_and_b32_e32 v10, 7, v1
	v_ffbh_u32_e32 v5, v10
	v_min_u32_e32 v15, 32, v5
	v_subrev_u32_e32 v5, 28, v15
	v_lshrrev_b32_e32 v11, 3, v6
	v_cmp_gt_u32_e32 vcc, 8, v6
	v_lshlrev_b64 v[5:6], v5, v[1:2]
	v_sub_u32_e32 v6, 29, v15
	v_cndmask_b32_e32 v6, v11, v6, vcc
	v_mov_b32_e32 v11, 0x2000
	v_lshl_add_u32 v6, v6, 10, v11
	v_lshlrev_b32_e32 v1, 8, v1
	v_and_b32_e32 v5, 7, v5
	v_and_b32_e32 v6, 0xfc00, v6
	v_cndmask_b32_e32 v5, v10, v5, vcc
	v_and_or_b32 v1, v1, s44, v6
	v_lshl_or_b32 v5, v5, 7, v1
.LBB271_481:                            ;   in Loop: Header=BB271_9 Depth=1
	s_or_b64 exec, exec, s[38:39]
.LBB271_482:                            ;   in Loop: Header=BB271_9 Depth=1
	s_or_b64 exec, exec, s[36:37]
.LBB271_483:                            ;   in Loop: Header=BB271_9 Depth=1
	s_or_b64 exec, exec, s[34:35]
	v_cmp_lt_u32_e32 vcc, s45, v9
	v_mov_b32_e32 v10, 0
	v_mov_b32_e32 v6, 0
	s_and_saveexec_b64 s[34:35], vcc
	s_cbranch_execz .LBB271_489
; %bb.484:                              ;   in Loop: Header=BB271_9 Depth=1
	v_lshrrev_b32_e32 v1, 24, v9
	v_cmp_ne_u32_e32 vcc, s42, v1
	v_bfrev_b32_e32 v6, 1
	s_and_saveexec_b64 s[36:37], vcc
	s_cbranch_execz .LBB271_488
; %bb.485:                              ;   in Loop: Header=BB271_9 Depth=1
	v_and_b32_e32 v9, 0x7f, v1
	v_cmp_ne_u32_e32 vcc, s43, v9
	v_mov_b32_e32 v6, 0x7c010000
	s_and_saveexec_b64 s[38:39], vcc
	s_cbranch_execz .LBB271_487
; %bb.486:                              ;   in Loop: Header=BB271_9 Depth=1
	v_and_b32_e32 v6, 7, v1
	v_lshrrev_b32_e32 v11, 3, v9
	v_cmp_gt_u32_e32 vcc, 8, v9
	v_ffbh_u32_e32 v9, v6
	v_min_u32_e32 v9, 32, v9
	v_subrev_u32_e32 v15, 28, v9
	v_sub_u32_e32 v9, 29, v9
	v_lshlrev_b64 v[51:52], v15, v[1:2]
	v_cndmask_b32_e32 v9, v11, v9, vcc
	v_mov_b32_e32 v11, 0x2000
	v_lshlrev_b32_e32 v1, 8, v1
	v_lshl_add_u32 v9, v9, 10, v11
	v_and_b32_e32 v11, 7, v51
	v_and_or_b32 v1, v1, s44, v9
	v_cndmask_b32_e32 v6, v6, v11, vcc
	v_lshlrev_b32_e32 v1, 16, v1
	v_lshl_or_b32 v6, v6, 23, v1
.LBB271_487:                            ;   in Loop: Header=BB271_9 Depth=1
	s_or_b64 exec, exec, s[38:39]
.LBB271_488:                            ;   in Loop: Header=BB271_9 Depth=1
	s_or_b64 exec, exec, s[36:37]
.LBB271_489:                            ;   in Loop: Header=BB271_9 Depth=1
	s_or_b64 exec, exec, s[34:35]
	buffer_load_dword v1, off, s[48:51], 0  ; 4-byte Folded Reload
	v_add_co_u32_e32 v11, vcc, 0x1400, v7
	v_addc_co_u32_e32 v15, vcc, 0, v8, vcc
	s_waitcnt vmcnt(0)
	v_add_co_u32_e32 v51, vcc, v11, v1
	v_addc_co_u32_e32 v52, vcc, 0, v15, vcc
	global_load_dword v9, v[51:52], off
	s_waitcnt vmcnt(0)
	v_cmp_ne_u16_sdwa s[36:37], v9, v2 src0_sel:BYTE_0 src1_sel:DWORD
	s_and_saveexec_b64 s[34:35], s[36:37]
	s_cbranch_execz .LBB271_495
; %bb.490:                              ;   in Loop: Header=BB271_9 Depth=1
	v_cmp_ne_u16_sdwa s[38:39], v9, s42 src0_sel:BYTE_0 src1_sel:DWORD
	v_mov_b32_e32 v10, 0x8000
	s_and_saveexec_b64 s[36:37], s[38:39]
	s_cbranch_execz .LBB271_494
; %bb.491:                              ;   in Loop: Header=BB271_9 Depth=1
	v_and_b32_e32 v1, 0x7f, v9
	v_cmp_ne_u32_e32 vcc, s43, v1
	v_mov_b32_e32 v10, 0x7c01
	s_and_saveexec_b64 s[38:39], vcc
	s_cbranch_execz .LBB271_493
; %bb.492:                              ;   in Loop: Header=BB271_9 Depth=1
	v_and_b32_e32 v10, 7, v9
	v_lshrrev_b32_e32 v18, 3, v1
	v_cmp_gt_u32_e32 vcc, 8, v1
	v_ffbh_u32_e32 v1, v10
	v_min_u32_e32 v1, 32, v1
	v_subrev_u32_e32 v31, 28, v1
	v_sub_u32_e32 v1, 29, v1
	v_lshlrev_b64 v[51:52], v31, v[9:10]
	v_cndmask_b32_e32 v1, v18, v1, vcc
	v_mov_b32_e32 v19, 0x2000
	v_lshl_add_u32 v1, v1, 10, v19
	v_lshlrev_b32_e32 v18, 8, v9
	v_and_b32_e32 v31, 7, v51
	v_and_b32_e32 v1, 0xfc00, v1
	v_cndmask_b32_e32 v10, v10, v31, vcc
	v_and_or_b32 v1, v18, s44, v1
	v_lshl_or_b32 v10, v10, 7, v1
.LBB271_493:                            ;   in Loop: Header=BB271_9 Depth=1
	s_or_b64 exec, exec, s[38:39]
.LBB271_494:                            ;   in Loop: Header=BB271_9 Depth=1
	s_or_b64 exec, exec, s[36:37]
.LBB271_495:                            ;   in Loop: Header=BB271_9 Depth=1
	s_or_b64 exec, exec, s[34:35]
	v_lshrrev_b16_e32 v1, 8, v9
	v_cmp_ne_u16_e32 vcc, 0, v1
	v_mov_b32_e32 v35, 0
	v_mov_b32_e32 v51, 0
	s_and_saveexec_b64 s[34:35], vcc
	s_cbranch_execz .LBB271_501
; %bb.496:                              ;   in Loop: Header=BB271_9 Depth=1
	v_cmp_ne_u16_e32 vcc, s42, v1
	v_bfrev_b32_e32 v51, 1
	s_and_saveexec_b64 s[36:37], vcc
	s_cbranch_execz .LBB271_500
; %bb.497:                              ;   in Loop: Header=BB271_9 Depth=1
	v_and_b32_e32 v18, 0x7f, v1
	v_cmp_ne_u32_e32 vcc, s43, v18
	v_mov_b32_e32 v51, 0x7c010000
	s_and_saveexec_b64 s[38:39], vcc
	s_cbranch_execz .LBB271_499
; %bb.498:                              ;   in Loop: Header=BB271_9 Depth=1
	v_and_b32_e32 v31, 7, v1
	v_lshrrev_b32_e32 v43, 3, v18
	v_cmp_gt_u32_e32 vcc, 8, v18
	v_ffbh_u32_e32 v18, v31
	v_min_u32_e32 v18, 32, v18
	v_subrev_u32_e32 v45, 28, v18
	v_sub_u32_e32 v18, 29, v18
	v_lshlrev_b64 v[51:52], v45, v[1:2]
	v_cndmask_b32_e32 v18, v43, v18, vcc
	v_mov_b32_e32 v19, 0x2000
	v_lshlrev_b32_e32 v1, 8, v1
	v_lshl_add_u32 v18, v18, 10, v19
	v_and_b32_e32 v43, 7, v51
	v_and_or_b32 v1, v1, s44, v18
	v_cndmask_b32_e32 v31, v31, v43, vcc
	v_lshlrev_b32_e32 v1, 16, v1
	v_lshl_or_b32 v51, v31, 23, v1
.LBB271_499:                            ;   in Loop: Header=BB271_9 Depth=1
	s_or_b64 exec, exec, s[38:39]
.LBB271_500:                            ;   in Loop: Header=BB271_9 Depth=1
	s_or_b64 exec, exec, s[36:37]
.LBB271_501:                            ;   in Loop: Header=BB271_9 Depth=1
	s_or_b64 exec, exec, s[34:35]
	v_lshrrev_b32_e32 v1, 16, v9
	v_cmp_ne_u16_sdwa s[36:37], v1, v2 src0_sel:BYTE_0 src1_sel:DWORD
	s_and_saveexec_b64 s[34:35], s[36:37]
	s_cbranch_execz .LBB271_507
; %bb.502:                              ;   in Loop: Header=BB271_9 Depth=1
	v_cmp_ne_u16_sdwa s[38:39], v1, s42 src0_sel:BYTE_0 src1_sel:DWORD
	v_mov_b32_e32 v35, 0x8000
	s_and_saveexec_b64 s[36:37], s[38:39]
	s_cbranch_execz .LBB271_506
; %bb.503:                              ;   in Loop: Header=BB271_9 Depth=1
	v_bfe_u32 v18, v9, 16, 7
	v_cmp_ne_u32_e32 vcc, s43, v18
	v_mov_b32_e32 v35, 0x7c01
	s_and_saveexec_b64 s[38:39], vcc
	s_cbranch_execz .LBB271_505
; %bb.504:                              ;   in Loop: Header=BB271_9 Depth=1
	v_and_b32_e32 v31, 7, v1
	v_lshrrev_b32_e32 v35, 3, v18
	v_cmp_gt_u32_e32 vcc, 8, v18
	v_ffbh_u32_e32 v18, v31
	v_min_u32_e32 v18, 32, v18
	v_subrev_u32_e32 v43, 28, v18
	v_sub_u32_e32 v18, 29, v18
	v_lshlrev_b64 v[52:53], v43, v[1:2]
	v_cndmask_b32_e32 v18, v35, v18, vcc
	v_mov_b32_e32 v19, 0x2000
	v_lshl_add_u32 v18, v18, 10, v19
	v_lshlrev_b32_e32 v1, 8, v1
	v_and_b32_e32 v35, 7, v52
	v_and_b32_e32 v18, 0xfc00, v18
	v_cndmask_b32_e32 v31, v31, v35, vcc
	v_and_or_b32 v1, v1, s44, v18
	v_lshl_or_b32 v35, v31, 7, v1
.LBB271_505:                            ;   in Loop: Header=BB271_9 Depth=1
	s_or_b64 exec, exec, s[38:39]
.LBB271_506:                            ;   in Loop: Header=BB271_9 Depth=1
	s_or_b64 exec, exec, s[36:37]
.LBB271_507:                            ;   in Loop: Header=BB271_9 Depth=1
	s_or_b64 exec, exec, s[34:35]
	v_cmp_lt_u32_e32 vcc, s45, v9
	v_mov_b32_e32 v45, 0
	v_mov_b32_e32 v43, 0
	s_and_saveexec_b64 s[34:35], vcc
	s_cbranch_execz .LBB271_513
; %bb.508:                              ;   in Loop: Header=BB271_9 Depth=1
	v_lshrrev_b32_e32 v1, 24, v9
	v_cmp_ne_u32_e32 vcc, s42, v1
	v_bfrev_b32_e32 v43, 1
	s_and_saveexec_b64 s[36:37], vcc
	s_cbranch_execz .LBB271_512
; %bb.509:                              ;   in Loop: Header=BB271_9 Depth=1
	v_and_b32_e32 v9, 0x7f, v1
	v_cmp_ne_u32_e32 vcc, s43, v9
	v_mov_b32_e32 v43, 0x7c010000
	s_and_saveexec_b64 s[38:39], vcc
	s_cbranch_execz .LBB271_511
; %bb.510:                              ;   in Loop: Header=BB271_9 Depth=1
	v_and_b32_e32 v18, 7, v1
	v_lshrrev_b32_e32 v31, 3, v9
	v_cmp_gt_u32_e32 vcc, 8, v9
	v_ffbh_u32_e32 v9, v18
	v_min_u32_e32 v9, 32, v9
	v_subrev_u32_e32 v43, 28, v9
	v_sub_u32_e32 v9, 29, v9
	v_lshlrev_b64 v[52:53], v43, v[1:2]
	v_cndmask_b32_e32 v9, v31, v9, vcc
	v_mov_b32_e32 v19, 0x2000
	v_lshlrev_b32_e32 v1, 8, v1
	v_lshl_add_u32 v9, v9, 10, v19
	v_and_b32_e32 v31, 7, v52
	v_and_or_b32 v1, v1, s44, v9
	v_cndmask_b32_e32 v18, v18, v31, vcc
	v_lshlrev_b32_e32 v1, 16, v1
	v_lshl_or_b32 v43, v18, 23, v1
.LBB271_511:                            ;   in Loop: Header=BB271_9 Depth=1
	s_or_b64 exec, exec, s[38:39]
.LBB271_512:                            ;   in Loop: Header=BB271_9 Depth=1
	s_or_b64 exec, exec, s[36:37]
.LBB271_513:                            ;   in Loop: Header=BB271_9 Depth=1
	s_or_b64 exec, exec, s[34:35]
	buffer_load_dword v1, off, s[48:51], 0 offset:4 ; 4-byte Folded Reload
	s_waitcnt vmcnt(0)
	v_add_co_u32_e32 v52, vcc, v11, v1
	v_addc_co_u32_e32 v53, vcc, 0, v15, vcc
	global_load_dword v9, v[52:53], off
	s_waitcnt vmcnt(0)
	v_cmp_ne_u16_sdwa s[36:37], v9, v2 src0_sel:BYTE_0 src1_sel:DWORD
	s_and_saveexec_b64 s[34:35], s[36:37]
	s_cbranch_execz .LBB271_519
; %bb.514:                              ;   in Loop: Header=BB271_9 Depth=1
	v_cmp_ne_u16_sdwa s[38:39], v9, s42 src0_sel:BYTE_0 src1_sel:DWORD
	v_mov_b32_e32 v45, 0x8000
	s_and_saveexec_b64 s[36:37], s[38:39]
	s_cbranch_execz .LBB271_518
; %bb.515:                              ;   in Loop: Header=BB271_9 Depth=1
	v_and_b32_e32 v1, 0x7f, v9
	v_cmp_ne_u32_e32 vcc, s43, v1
	v_mov_b32_e32 v45, 0x7c01
	s_and_saveexec_b64 s[38:39], vcc
	s_cbranch_execz .LBB271_517
; %bb.516:                              ;   in Loop: Header=BB271_9 Depth=1
	v_and_b32_e32 v11, 7, v9
	v_lshrrev_b32_e32 v15, 3, v1
	v_cmp_gt_u32_e32 vcc, 8, v1
	v_ffbh_u32_e32 v1, v11
	v_min_u32_e32 v1, 32, v1
	v_subrev_u32_e32 v18, 28, v1
	v_sub_u32_e32 v1, 29, v1
	v_lshlrev_b64 v[52:53], v18, v[9:10]
	v_cndmask_b32_e32 v1, v15, v1, vcc
	v_mov_b32_e32 v18, 0x2000
	v_lshl_add_u32 v1, v1, 10, v18
	v_lshlrev_b32_e32 v15, 8, v9
	v_and_b32_e32 v18, 7, v52
	v_and_b32_e32 v1, 0xfc00, v1
	v_cndmask_b32_e32 v11, v11, v18, vcc
	v_and_or_b32 v1, v15, s44, v1
	v_lshl_or_b32 v45, v11, 7, v1
.LBB271_517:                            ;   in Loop: Header=BB271_9 Depth=1
	s_or_b64 exec, exec, s[38:39]
.LBB271_518:                            ;   in Loop: Header=BB271_9 Depth=1
	s_or_b64 exec, exec, s[36:37]
.LBB271_519:                            ;   in Loop: Header=BB271_9 Depth=1
	s_or_b64 exec, exec, s[34:35]
	v_lshrrev_b16_e32 v1, 8, v9
	v_cmp_ne_u16_e32 vcc, 0, v1
	v_mov_b32_e32 v18, 0
	v_mov_b32_e32 v31, 0
	s_and_saveexec_b64 s[34:35], vcc
	s_cbranch_execz .LBB271_525
; %bb.520:                              ;   in Loop: Header=BB271_9 Depth=1
	v_cmp_ne_u16_e32 vcc, s42, v1
	v_bfrev_b32_e32 v31, 1
	s_and_saveexec_b64 s[36:37], vcc
	s_cbranch_execz .LBB271_524
; %bb.521:                              ;   in Loop: Header=BB271_9 Depth=1
	v_and_b32_e32 v11, 0x7f, v1
	v_cmp_ne_u32_e32 vcc, s43, v11
	v_mov_b32_e32 v31, 0x7c010000
	s_and_saveexec_b64 s[38:39], vcc
	s_cbranch_execz .LBB271_523
; %bb.522:                              ;   in Loop: Header=BB271_9 Depth=1
	v_and_b32_e32 v15, 7, v1
	v_lshrrev_b32_e32 v31, 3, v11
	v_cmp_gt_u32_e32 vcc, 8, v11
	v_ffbh_u32_e32 v11, v15
	v_min_u32_e32 v11, 32, v11
	v_subrev_u32_e32 v52, 28, v11
	v_sub_u32_e32 v11, 29, v11
	v_lshlrev_b64 v[52:53], v52, v[1:2]
	v_cndmask_b32_e32 v11, v31, v11, vcc
	v_mov_b32_e32 v19, 0x2000
	v_lshlrev_b32_e32 v1, 8, v1
	v_lshl_add_u32 v11, v11, 10, v19
	v_and_b32_e32 v31, 7, v52
	v_and_or_b32 v1, v1, s44, v11
	v_cndmask_b32_e32 v15, v15, v31, vcc
	v_lshlrev_b32_e32 v1, 16, v1
	v_lshl_or_b32 v31, v15, 23, v1
.LBB271_523:                            ;   in Loop: Header=BB271_9 Depth=1
	s_or_b64 exec, exec, s[38:39]
.LBB271_524:                            ;   in Loop: Header=BB271_9 Depth=1
	s_or_b64 exec, exec, s[36:37]
.LBB271_525:                            ;   in Loop: Header=BB271_9 Depth=1
	s_or_b64 exec, exec, s[34:35]
	v_lshrrev_b32_e32 v1, 16, v9
	v_cmp_ne_u16_sdwa s[36:37], v1, v2 src0_sel:BYTE_0 src1_sel:DWORD
	s_and_saveexec_b64 s[34:35], s[36:37]
	s_cbranch_execz .LBB271_531
; %bb.526:                              ;   in Loop: Header=BB271_9 Depth=1
	v_cmp_ne_u16_sdwa s[38:39], v1, s42 src0_sel:BYTE_0 src1_sel:DWORD
	v_mov_b32_e32 v18, 0x8000
	s_and_saveexec_b64 s[36:37], s[38:39]
	s_cbranch_execz .LBB271_530
; %bb.527:                              ;   in Loop: Header=BB271_9 Depth=1
	v_bfe_u32 v11, v9, 16, 7
	v_cmp_ne_u32_e32 vcc, s43, v11
	v_mov_b32_e32 v18, 0x7c01
	s_and_saveexec_b64 s[38:39], vcc
	s_cbranch_execz .LBB271_529
; %bb.528:                              ;   in Loop: Header=BB271_9 Depth=1
	v_and_b32_e32 v15, 7, v1
	v_lshrrev_b32_e32 v18, 3, v11
	v_cmp_gt_u32_e32 vcc, 8, v11
	v_ffbh_u32_e32 v11, v15
	v_min_u32_e32 v11, 32, v11
	v_subrev_u32_e32 v52, 28, v11
	v_sub_u32_e32 v11, 29, v11
	v_lshlrev_b64 v[52:53], v52, v[1:2]
	v_cndmask_b32_e32 v11, v18, v11, vcc
	v_mov_b32_e32 v18, 0x2000
	v_lshl_add_u32 v11, v11, 10, v18
	v_lshlrev_b32_e32 v1, 8, v1
	v_and_b32_e32 v18, 7, v52
	v_and_b32_e32 v11, 0xfc00, v11
	v_cndmask_b32_e32 v15, v15, v18, vcc
	v_and_or_b32 v1, v1, s44, v11
	v_lshl_or_b32 v18, v15, 7, v1
.LBB271_529:                            ;   in Loop: Header=BB271_9 Depth=1
	s_or_b64 exec, exec, s[38:39]
.LBB271_530:                            ;   in Loop: Header=BB271_9 Depth=1
	s_or_b64 exec, exec, s[36:37]
.LBB271_531:                            ;   in Loop: Header=BB271_9 Depth=1
	s_or_b64 exec, exec, s[34:35]
	v_cmp_lt_u32_e32 vcc, s45, v9
	v_mov_b32_e32 v54, 0
	v_mov_b32_e32 v53, 0
	s_and_saveexec_b64 s[34:35], vcc
	s_cbranch_execz .LBB271_537
; %bb.532:                              ;   in Loop: Header=BB271_9 Depth=1
	v_lshrrev_b32_e32 v1, 24, v9
	v_cmp_ne_u32_e32 vcc, s42, v1
	v_bfrev_b32_e32 v53, 1
	s_and_saveexec_b64 s[36:37], vcc
	s_cbranch_execz .LBB271_536
; %bb.533:                              ;   in Loop: Header=BB271_9 Depth=1
	v_and_b32_e32 v9, 0x7f, v1
	v_cmp_ne_u32_e32 vcc, s43, v9
	v_mov_b32_e32 v53, 0x7c010000
	s_and_saveexec_b64 s[38:39], vcc
	s_cbranch_execz .LBB271_535
; %bb.534:                              ;   in Loop: Header=BB271_9 Depth=1
	v_and_b32_e32 v11, 7, v1
	v_lshrrev_b32_e32 v15, 3, v9
	v_cmp_gt_u32_e32 vcc, 8, v9
	v_ffbh_u32_e32 v9, v11
	v_min_u32_e32 v9, 32, v9
	v_subrev_u32_e32 v52, 28, v9
	v_sub_u32_e32 v9, 29, v9
	v_lshlrev_b64 v[52:53], v52, v[1:2]
	v_cndmask_b32_e32 v9, v15, v9, vcc
	v_mov_b32_e32 v15, 0x2000
	v_lshlrev_b32_e32 v1, 8, v1
	v_lshl_add_u32 v9, v9, 10, v15
	v_and_b32_e32 v15, 7, v52
	v_and_or_b32 v1, v1, s44, v9
	v_cndmask_b32_e32 v11, v11, v15, vcc
	v_lshlrev_b32_e32 v1, 16, v1
	v_lshl_or_b32 v53, v11, 23, v1
.LBB271_535:                            ;   in Loop: Header=BB271_9 Depth=1
	s_or_b64 exec, exec, s[38:39]
.LBB271_536:                            ;   in Loop: Header=BB271_9 Depth=1
	s_or_b64 exec, exec, s[36:37]
.LBB271_537:                            ;   in Loop: Header=BB271_9 Depth=1
	s_or_b64 exec, exec, s[34:35]
	buffer_load_dword v1, off, s[48:51], 0  ; 4-byte Folded Reload
	v_add_co_u32_e32 v15, vcc, 0x1600, v7
	v_addc_co_u32_e32 v52, vcc, 0, v8, vcc
	s_waitcnt vmcnt(0)
	v_add_co_u32_e32 v7, vcc, v15, v1
	v_addc_co_u32_e32 v8, vcc, 0, v52, vcc
	global_load_dword v7, v[7:8], off
	s_waitcnt vmcnt(0)
	v_cmp_ne_u16_sdwa s[36:37], v7, v2 src0_sel:BYTE_0 src1_sel:DWORD
	s_and_saveexec_b64 s[34:35], s[36:37]
	s_cbranch_execz .LBB271_543
; %bb.538:                              ;   in Loop: Header=BB271_9 Depth=1
	v_cmp_ne_u16_sdwa s[38:39], v7, s42 src0_sel:BYTE_0 src1_sel:DWORD
	v_mov_b32_e32 v54, 0x8000
	s_and_saveexec_b64 s[36:37], s[38:39]
	s_cbranch_execz .LBB271_542
; %bb.539:                              ;   in Loop: Header=BB271_9 Depth=1
	v_and_b32_e32 v1, 0x7f, v7
	v_cmp_ne_u32_e32 vcc, s43, v1
	v_mov_b32_e32 v54, 0x7c01
	s_and_saveexec_b64 s[38:39], vcc
	s_cbranch_execz .LBB271_541
; %bb.540:                              ;   in Loop: Header=BB271_9 Depth=1
	v_and_b32_e32 v11, 7, v7
	v_lshrrev_b32_e32 v54, 3, v1
	v_cmp_gt_u32_e32 vcc, 8, v1
	v_ffbh_u32_e32 v1, v11
	v_min_u32_e32 v1, 32, v1
	v_subrev_u32_e32 v8, 28, v1
	v_sub_u32_e32 v1, 29, v1
	v_lshlrev_b64 v[8:9], v8, v[7:8]
	v_cndmask_b32_e32 v1, v54, v1, vcc
	v_mov_b32_e32 v19, 0x2000
	v_lshl_add_u32 v1, v1, 10, v19
	v_lshlrev_b32_e32 v9, 8, v7
	v_and_b32_e32 v8, 7, v8
	v_and_b32_e32 v1, 0xfc00, v1
	v_cndmask_b32_e32 v8, v11, v8, vcc
	v_and_or_b32 v1, v9, s44, v1
	v_lshl_or_b32 v54, v8, 7, v1
.LBB271_541:                            ;   in Loop: Header=BB271_9 Depth=1
	s_or_b64 exec, exec, s[38:39]
.LBB271_542:                            ;   in Loop: Header=BB271_9 Depth=1
	s_or_b64 exec, exec, s[36:37]
.LBB271_543:                            ;   in Loop: Header=BB271_9 Depth=1
	s_or_b64 exec, exec, s[34:35]
	v_lshrrev_b16_e32 v1, 8, v7
	v_cmp_ne_u16_e32 vcc, 0, v1
	v_mov_b32_e32 v8, 0
	v_mov_b32_e32 v9, 0
	s_and_saveexec_b64 s[34:35], vcc
	s_cbranch_execz .LBB271_549
; %bb.544:                              ;   in Loop: Header=BB271_9 Depth=1
	v_cmp_ne_u16_e32 vcc, s42, v1
	v_bfrev_b32_e32 v9, 1
	s_and_saveexec_b64 s[36:37], vcc
	s_cbranch_execz .LBB271_548
; %bb.545:                              ;   in Loop: Header=BB271_9 Depth=1
	v_and_b32_e32 v11, 0x7f, v1
	v_cmp_ne_u32_e32 vcc, s43, v11
	v_mov_b32_e32 v9, 0x7c010000
	s_and_saveexec_b64 s[38:39], vcc
	s_cbranch_execz .LBB271_547
; %bb.546:                              ;   in Loop: Header=BB271_9 Depth=1
	v_and_b32_e32 v9, 7, v1
	v_lshrrev_b32_e32 v60, 3, v11
	v_cmp_gt_u32_e32 vcc, 8, v11
	v_ffbh_u32_e32 v11, v9
	v_min_u32_e32 v11, 32, v11
	v_subrev_u32_e32 v58, 28, v11
	v_sub_u32_e32 v11, 29, v11
	v_lshlrev_b64 v[58:59], v58, v[1:2]
	v_cndmask_b32_e32 v11, v60, v11, vcc
	v_mov_b32_e32 v19, 0x2000
	v_lshlrev_b32_e32 v1, 8, v1
	v_lshl_add_u32 v11, v11, 10, v19
	v_and_b32_e32 v58, 7, v58
	v_and_or_b32 v1, v1, s44, v11
	v_cndmask_b32_e32 v9, v9, v58, vcc
	v_lshlrev_b32_e32 v1, 16, v1
	v_lshl_or_b32 v9, v9, 23, v1
.LBB271_547:                            ;   in Loop: Header=BB271_9 Depth=1
	s_or_b64 exec, exec, s[38:39]
.LBB271_548:                            ;   in Loop: Header=BB271_9 Depth=1
	s_or_b64 exec, exec, s[36:37]
.LBB271_549:                            ;   in Loop: Header=BB271_9 Depth=1
	s_or_b64 exec, exec, s[34:35]
	v_lshrrev_b32_e32 v1, 16, v7
	v_cmp_ne_u16_sdwa s[36:37], v1, v2 src0_sel:BYTE_0 src1_sel:DWORD
	s_and_saveexec_b64 s[34:35], s[36:37]
	s_cbranch_execz .LBB271_555
; %bb.550:                              ;   in Loop: Header=BB271_9 Depth=1
	v_cmp_ne_u16_sdwa s[38:39], v1, s42 src0_sel:BYTE_0 src1_sel:DWORD
	v_mov_b32_e32 v8, 0x8000
	s_and_saveexec_b64 s[36:37], s[38:39]
	s_cbranch_execz .LBB271_554
; %bb.551:                              ;   in Loop: Header=BB271_9 Depth=1
	v_bfe_u32 v11, v7, 16, 7
	v_cmp_ne_u32_e32 vcc, s43, v11
	v_mov_b32_e32 v8, 0x7c01
	s_and_saveexec_b64 s[38:39], vcc
	s_cbranch_execz .LBB271_553
; %bb.552:                              ;   in Loop: Header=BB271_9 Depth=1
	v_and_b32_e32 v8, 7, v1
	v_lshrrev_b32_e32 v60, 3, v11
	v_cmp_gt_u32_e32 vcc, 8, v11
	v_ffbh_u32_e32 v11, v8
	v_min_u32_e32 v11, 32, v11
	v_subrev_u32_e32 v58, 28, v11
	v_sub_u32_e32 v11, 29, v11
	v_lshlrev_b64 v[58:59], v58, v[1:2]
	v_cndmask_b32_e32 v11, v60, v11, vcc
	v_mov_b32_e32 v19, 0x2000
	v_lshl_add_u32 v11, v11, 10, v19
	v_lshlrev_b32_e32 v1, 8, v1
	v_and_b32_e32 v58, 7, v58
	v_and_b32_e32 v11, 0xfc00, v11
	v_cndmask_b32_e32 v8, v8, v58, vcc
	v_and_or_b32 v1, v1, s44, v11
	v_lshl_or_b32 v8, v8, 7, v1
.LBB271_553:                            ;   in Loop: Header=BB271_9 Depth=1
	s_or_b64 exec, exec, s[38:39]
.LBB271_554:                            ;   in Loop: Header=BB271_9 Depth=1
	s_or_b64 exec, exec, s[36:37]
.LBB271_555:                            ;   in Loop: Header=BB271_9 Depth=1
	s_or_b64 exec, exec, s[34:35]
	v_cmp_lt_u32_e32 vcc, s45, v7
	v_mov_b32_e32 v11, 0
	v_mov_b32_e32 v60, 0
	s_and_saveexec_b64 s[34:35], vcc
	s_cbranch_execz .LBB271_561
; %bb.556:                              ;   in Loop: Header=BB271_9 Depth=1
	v_lshrrev_b32_e32 v1, 24, v7
	v_cmp_ne_u32_e32 vcc, s42, v1
	v_bfrev_b32_e32 v60, 1
	s_and_saveexec_b64 s[36:37], vcc
	s_cbranch_execz .LBB271_560
; %bb.557:                              ;   in Loop: Header=BB271_9 Depth=1
	v_and_b32_e32 v7, 0x7f, v1
	v_cmp_ne_u32_e32 vcc, s43, v7
	v_mov_b32_e32 v60, 0x7c010000
	s_and_saveexec_b64 s[38:39], vcc
	s_cbranch_execz .LBB271_559
; %bb.558:                              ;   in Loop: Header=BB271_9 Depth=1
	v_and_b32_e32 v60, 7, v1
	v_lshrrev_b32_e32 v63, 3, v7
	v_cmp_gt_u32_e32 vcc, 8, v7
	v_ffbh_u32_e32 v7, v60
	v_min_u32_e32 v7, 32, v7
	v_subrev_u32_e32 v58, 28, v7
	v_sub_u32_e32 v7, 29, v7
	v_lshlrev_b64 v[58:59], v58, v[1:2]
	v_cndmask_b32_e32 v7, v63, v7, vcc
	v_mov_b32_e32 v19, 0x2000
	v_lshlrev_b32_e32 v1, 8, v1
	v_lshl_add_u32 v7, v7, 10, v19
	v_and_b32_e32 v58, 7, v58
	v_and_or_b32 v1, v1, s44, v7
	v_cndmask_b32_e32 v58, v60, v58, vcc
	v_lshlrev_b32_e32 v1, 16, v1
	v_lshl_or_b32 v60, v58, 23, v1
.LBB271_559:                            ;   in Loop: Header=BB271_9 Depth=1
	s_or_b64 exec, exec, s[38:39]
.LBB271_560:                            ;   in Loop: Header=BB271_9 Depth=1
	s_or_b64 exec, exec, s[36:37]
.LBB271_561:                            ;   in Loop: Header=BB271_9 Depth=1
	s_or_b64 exec, exec, s[34:35]
	buffer_load_dword v1, off, s[48:51], 0 offset:4 ; 4-byte Folded Reload
	s_waitcnt vmcnt(0)
	v_add_co_u32_e32 v58, vcc, v15, v1
	v_addc_co_u32_e32 v59, vcc, 0, v52, vcc
	global_load_dword v7, v[58:59], off
	s_waitcnt vmcnt(0)
	v_cmp_ne_u16_sdwa s[36:37], v7, v2 src0_sel:BYTE_0 src1_sel:DWORD
	s_and_saveexec_b64 s[34:35], s[36:37]
	s_cbranch_execz .LBB271_567
; %bb.562:                              ;   in Loop: Header=BB271_9 Depth=1
	v_cmp_ne_u16_sdwa s[38:39], v7, s42 src0_sel:BYTE_0 src1_sel:DWORD
	v_mov_b32_e32 v11, 0x8000
	s_and_saveexec_b64 s[36:37], s[38:39]
	s_cbranch_execz .LBB271_566
; %bb.563:                              ;   in Loop: Header=BB271_9 Depth=1
	v_and_b32_e32 v1, 0x7f, v7
	v_cmp_ne_u32_e32 vcc, s43, v1
	v_mov_b32_e32 v11, 0x7c01
	s_and_saveexec_b64 s[38:39], vcc
	s_cbranch_execz .LBB271_565
; %bb.564:                              ;   in Loop: Header=BB271_9 Depth=1
	v_and_b32_e32 v11, 7, v7
	v_lshrrev_b32_e32 v15, 3, v1
	v_cmp_gt_u32_e32 vcc, 8, v1
	v_ffbh_u32_e32 v1, v11
	v_min_u32_e32 v1, 32, v1
	v_subrev_u32_e32 v52, 28, v1
	v_sub_u32_e32 v1, 29, v1
	v_lshlrev_b64 v[58:59], v52, v[7:8]
	v_cndmask_b32_e32 v1, v15, v1, vcc
	v_mov_b32_e32 v19, 0x2000
	v_lshl_add_u32 v1, v1, 10, v19
	v_lshlrev_b32_e32 v15, 8, v7
	v_and_b32_e32 v52, 7, v58
	v_and_b32_e32 v1, 0xfc00, v1
	v_cndmask_b32_e32 v11, v11, v52, vcc
	v_and_or_b32 v1, v15, s44, v1
	v_lshl_or_b32 v11, v11, 7, v1
.LBB271_565:                            ;   in Loop: Header=BB271_9 Depth=1
	s_or_b64 exec, exec, s[38:39]
.LBB271_566:                            ;   in Loop: Header=BB271_9 Depth=1
	s_or_b64 exec, exec, s[36:37]
.LBB271_567:                            ;   in Loop: Header=BB271_9 Depth=1
	s_or_b64 exec, exec, s[34:35]
	v_lshrrev_b16_e32 v1, 8, v7
	v_cmp_ne_u16_e32 vcc, 0, v1
	v_mov_b32_e32 v15, 0
	v_mov_b32_e32 v52, 0
	s_and_saveexec_b64 s[34:35], vcc
	s_cbranch_execz .LBB271_573
; %bb.568:                              ;   in Loop: Header=BB271_9 Depth=1
	v_cmp_ne_u16_e32 vcc, s42, v1
	v_bfrev_b32_e32 v52, 1
	s_and_saveexec_b64 s[36:37], vcc
	s_cbranch_execz .LBB271_572
; %bb.569:                              ;   in Loop: Header=BB271_9 Depth=1
	v_and_b32_e32 v63, 0x7f, v1
	v_cmp_ne_u32_e32 vcc, s43, v63
	v_mov_b32_e32 v52, 0x7c010000
	s_and_saveexec_b64 s[38:39], vcc
	s_cbranch_execz .LBB271_571
; %bb.570:                              ;   in Loop: Header=BB271_9 Depth=1
	v_and_b32_e32 v52, 7, v1
	v_ffbh_u32_e32 v58, v52
	v_lshrrev_b32_e32 v19, 3, v63
	v_cmp_gt_u32_e32 vcc, 8, v63
	v_min_u32_e32 v63, 32, v58
	v_subrev_u32_e32 v58, 28, v63
	v_lshlrev_b64 v[58:59], v58, v[1:2]
	v_sub_u32_e32 v59, 29, v63
	v_cndmask_b32_e32 v19, v19, v59, vcc
	v_mov_b32_e32 v59, 0x2000
	v_lshlrev_b32_e32 v1, 8, v1
	v_lshl_add_u32 v19, v19, 10, v59
	v_and_b32_e32 v58, 7, v58
	v_and_or_b32 v1, v1, s44, v19
	v_cndmask_b32_e32 v52, v52, v58, vcc
	v_lshlrev_b32_e32 v1, 16, v1
	v_lshl_or_b32 v52, v52, 23, v1
.LBB271_571:                            ;   in Loop: Header=BB271_9 Depth=1
	s_or_b64 exec, exec, s[38:39]
.LBB271_572:                            ;   in Loop: Header=BB271_9 Depth=1
	s_or_b64 exec, exec, s[36:37]
.LBB271_573:                            ;   in Loop: Header=BB271_9 Depth=1
	s_or_b64 exec, exec, s[34:35]
	v_lshrrev_b32_e32 v1, 16, v7
	v_cmp_ne_u16_sdwa s[36:37], v1, v2 src0_sel:BYTE_0 src1_sel:DWORD
	s_and_saveexec_b64 s[34:35], s[36:37]
	s_cbranch_execz .LBB271_579
; %bb.574:                              ;   in Loop: Header=BB271_9 Depth=1
	v_cmp_ne_u16_sdwa s[38:39], v1, s42 src0_sel:BYTE_0 src1_sel:DWORD
	v_mov_b32_e32 v15, 0x8000
	s_and_saveexec_b64 s[36:37], s[38:39]
	s_cbranch_execz .LBB271_578
; %bb.575:                              ;   in Loop: Header=BB271_9 Depth=1
	v_bfe_u32 v63, v7, 16, 7
	v_cmp_ne_u32_e32 vcc, s43, v63
	v_mov_b32_e32 v15, 0x7c01
	s_and_saveexec_b64 s[38:39], vcc
	s_cbranch_execz .LBB271_577
; %bb.576:                              ;   in Loop: Header=BB271_9 Depth=1
	v_and_b32_e32 v15, 7, v1
	v_ffbh_u32_e32 v58, v15
	v_lshrrev_b32_e32 v19, 3, v63
	v_cmp_gt_u32_e32 vcc, 8, v63
	v_min_u32_e32 v63, 32, v58
	v_subrev_u32_e32 v58, 28, v63
	v_lshlrev_b64 v[58:59], v58, v[1:2]
	v_sub_u32_e32 v59, 29, v63
	v_cndmask_b32_e32 v19, v19, v59, vcc
	v_mov_b32_e32 v59, 0x2000
	v_lshl_add_u32 v19, v19, 10, v59
	v_lshlrev_b32_e32 v1, 8, v1
	v_and_b32_e32 v58, 7, v58
	v_and_b32_e32 v19, 0xfc00, v19
	v_cndmask_b32_e32 v15, v15, v58, vcc
	v_and_or_b32 v1, v1, s44, v19
	v_lshl_or_b32 v15, v15, 7, v1
.LBB271_577:                            ;   in Loop: Header=BB271_9 Depth=1
	s_or_b64 exec, exec, s[38:39]
.LBB271_578:                            ;   in Loop: Header=BB271_9 Depth=1
	s_or_b64 exec, exec, s[36:37]
.LBB271_579:                            ;   in Loop: Header=BB271_9 Depth=1
	s_or_b64 exec, exec, s[34:35]
	v_cmp_lt_u32_e32 vcc, s45, v7
	v_mov_b32_e32 v63, 0
	s_and_saveexec_b64 s[34:35], vcc
	s_cbranch_execz .LBB271_585
; %bb.580:                              ;   in Loop: Header=BB271_9 Depth=1
	v_lshrrev_b32_e32 v1, 24, v7
	v_cmp_ne_u32_e32 vcc, s42, v1
	v_bfrev_b32_e32 v63, 1
	s_and_saveexec_b64 s[36:37], vcc
	s_cbranch_execz .LBB271_584
; %bb.581:                              ;   in Loop: Header=BB271_9 Depth=1
	v_and_b32_e32 v7, 0x7f, v1
	v_cmp_ne_u32_e32 vcc, s43, v7
	v_mov_b32_e32 v63, 0x7c010000
	s_and_saveexec_b64 s[38:39], vcc
	s_cbranch_execz .LBB271_583
; %bb.582:                              ;   in Loop: Header=BB271_9 Depth=1
	v_and_b32_e32 v19, 7, v1
	v_lshrrev_b32_e32 v63, 3, v7
	v_cmp_gt_u32_e32 vcc, 8, v7
	v_ffbh_u32_e32 v7, v19
	v_min_u32_e32 v7, 32, v7
	v_subrev_u32_e32 v58, 28, v7
	v_lshlrev_b64 v[58:59], v58, v[1:2]
	v_sub_u32_e32 v7, 29, v7
	v_cndmask_b32_e32 v7, v63, v7, vcc
	v_mov_b32_e32 v59, 0x2000
	v_lshlrev_b32_e32 v1, 8, v1
	v_lshl_add_u32 v7, v7, 10, v59
	v_and_b32_e32 v58, 7, v58
	v_and_or_b32 v1, v1, s44, v7
	v_cndmask_b32_e32 v19, v19, v58, vcc
	v_lshlrev_b32_e32 v1, 16, v1
	v_lshl_or_b32 v63, v19, 23, v1
.LBB271_583:                            ;   in Loop: Header=BB271_9 Depth=1
	s_or_b64 exec, exec, s[38:39]
.LBB271_584:                            ;   in Loop: Header=BB271_9 Depth=1
	s_or_b64 exec, exec, s[36:37]
.LBB271_585:                            ;   in Loop: Header=BB271_9 Depth=1
	s_or_b64 exec, exec, s[34:35]
	v_or_b32_e32 v1, v9, v54
	v_fma_mixlo_f16 v1, v24, v1, 0 op_sel_hi:[0,1,0]
	buffer_store_dword v1, off, s[48:51], 0 offset:208 ; 4-byte Folded Spill
	v_or_b32_e32 v1, v60, v8
	v_fma_mixlo_f16 v1, v24, v1, 0 op_sel_hi:[0,1,0]
	buffer_store_dword v1, off, s[48:51], 0 offset:200 ; 4-byte Folded Spill
	v_fma_mixlo_f16 v1, v24, v60, 0 op_sel:[0,1,0] op_sel_hi:[0,1,0]
	buffer_store_dword v1, off, s[48:51], 0 offset:196 ; 4-byte Folded Spill
	v_or_b32_e32 v1, v31, v45
	v_fma_mixlo_f16 v1, v24, v1, 0 op_sel_hi:[0,1,0]
	buffer_store_dword v1, off, s[48:51], 0 offset:224 ; 4-byte Folded Spill
	v_or_b32_e32 v1, v53, v18
	v_fma_mixlo_f16 v1, v24, v1, 0 op_sel_hi:[0,1,0]
	buffer_store_dword v1, off, s[48:51], 0 offset:216 ; 4-byte Folded Spill
	v_fma_mixlo_f16 v1, v24, v53, 0 op_sel:[0,1,0] op_sel_hi:[0,1,0]
	buffer_store_dword v1, off, s[48:51], 0 offset:212 ; 4-byte Folded Spill
	;; [unrolled: 8-line block ×6, first 2 shown]
	v_or_b32_e32 v1, v0, v30
	v_fma_mixlo_f16 v0, v24, v0, 0 op_sel:[0,1,0] op_sel_hi:[0,1,0]
	buffer_store_dword v0, off, s[48:51], 0 offset:300 ; 4-byte Folded Spill
	v_fma_mixlo_f16 v0, v24, v1, 0 op_sel_hi:[0,1,0]
	buffer_store_dword v0, off, s[48:51], 0 offset:304 ; 4-byte Folded Spill
	v_or_b32_e32 v0, v3, v12
	v_fma_mixlo_f16 v0, v24, v0, 0 op_sel_hi:[0,1,0]
	buffer_store_dword v0, off, s[48:51], 0 offset:296 ; 4-byte Folded Spill
	v_fma_mixlo_f16 v0, v24, v3, 0 op_sel:[0,1,0] op_sel_hi:[0,1,0]
	buffer_store_dword v0, off, s[48:51], 0 offset:292 ; 4-byte Folded Spill
	v_or_b32_e32 v0, v32, v38
	v_fma_mixlo_f16 v0, v24, v0, 0 op_sel_hi:[0,1,0]
	buffer_store_dword v0, off, s[48:51], 0 offset:320 ; 4-byte Folded Spill
	v_or_b32_e32 v0, v62, v20
	v_fma_mixlo_f16 v0, v24, v0, 0 op_sel_hi:[0,1,0]
	buffer_store_dword v0, off, s[48:51], 0 offset:312 ; 4-byte Folded Spill
	v_fma_mixlo_f16 v0, v24, v62, 0 op_sel:[0,1,0] op_sel_hi:[0,1,0]
	buffer_store_dword v0, off, s[48:51], 0 offset:308 ; 4-byte Folded Spill
	v_or_b32_e32 v0, v26, v28
	v_fma_mixlo_f16 v0, v24, v0, 0 op_sel_hi:[0,1,0]
	buffer_store_dword v0, off, s[48:51], 0 offset:336 ; 4-byte Folded Spill
	v_or_b32_e32 v0, v55, v34
	v_fma_mixlo_f16 v0, v24, v0, 0 op_sel_hi:[0,1,0]
	v_fma_mixlo_f16 v7, v24, v9, 0 op_sel:[0,1,0] op_sel_hi:[0,1,0]
	buffer_store_dword v0, off, s[48:51], 0 offset:328 ; 4-byte Folded Spill
	v_fma_mixlo_f16 v0, v24, v55, 0 op_sel:[0,1,0] op_sel_hi:[0,1,0]
	buffer_store_dword v7, off, s[48:51], 0 offset:204 ; 4-byte Folded Spill
	;; [unrolled: 2-line block ×3, first 2 shown]
	v_or_b32_e32 v0, v33, v40
	buffer_store_dword v7, off, s[48:51], 0 offset:220 ; 4-byte Folded Spill
	v_fma_mixlo_f16 v7, v24, v51, 0 op_sel:[0,1,0] op_sel_hi:[0,1,0]
	v_fma_mixlo_f16 v51, v24, v0, 0 op_sel_hi:[0,1,0]
	v_or_b32_e32 v0, v56, v14
	v_fma_mixlo_f16 v0, v24, v0, 0 op_sel_hi:[0,1,0]
	buffer_store_dword v0, off, s[48:51], 0 offset:344 ; 4-byte Folded Spill
	v_fma_mixlo_f16 v0, v24, v56, 0 op_sel:[0,1,0] op_sel_hi:[0,1,0]
	buffer_store_dword v0, off, s[48:51], 0 offset:340 ; 4-byte Folded Spill
	buffer_load_dword v0, off, s[48:51], 0 offset:144 ; 4-byte Folded Reload
	v_fma_mixlo_f16 v5, v24, v21, 0 op_sel:[0,1,0] op_sel_hi:[0,1,0]
	v_fma_mixlo_f16 v1, v24, v32, 0 op_sel:[0,1,0] op_sel_hi:[0,1,0]
	buffer_store_dword v7, off, s[48:51], 0 offset:236 ; 4-byte Folded Spill
	v_fma_mixlo_f16 v7, v24, v36, 0 op_sel:[0,1,0] op_sel_hi:[0,1,0]
	buffer_store_dword v5, off, s[48:51], 0 offset:268 ; 4-byte Folded Spill
	;; [unrolled: 2-line block ×4, first 2 shown]
	buffer_store_dword v5, off, s[48:51], 0 offset:284 ; 4-byte Folded Spill
	buffer_store_dword v1, off, s[48:51], 0 offset:332 ; 4-byte Folded Spill
	v_fma_mixlo_f16 v47, v24, v50, 0 op_sel:[0,1,0] op_sel_hi:[0,1,0]
	v_fma_mixlo_f16 v8, v24, v41, 0 op_sel:[0,1,0] op_sel_hi:[0,1,0]
	v_fma_mixlo_f16 v59, v24, v37, 0 op_sel:[0,1,0] op_sel_hi:[0,1,0]
	v_fma_mixlo_f16 v36, v24, v42, 0 op_sel:[0,1,0] op_sel_hi:[0,1,0]
	v_fma_mixlo_f16 v13, v24, v46, 0 op_sel:[0,1,0] op_sel_hi:[0,1,0]
	v_fma_mixlo_f16 v22, v24, v4, 0 op_sel:[0,1,0] op_sel_hi:[0,1,0]
	v_fma_mixlo_f16 v53, v24, v61, 0 op_sel:[0,1,0] op_sel_hi:[0,1,0]
	v_fma_mixlo_f16 v32, v24, v16, 0 op_sel:[0,1,0] op_sel_hi:[0,1,0]
	v_fma_mixlo_f16 v43, v24, v25, 0 op_sel:[0,1,0] op_sel_hi:[0,1,0]
	v_fma_mixlo_f16 v62, v24, v33, 0 op_sel:[0,1,0] op_sel_hi:[0,1,0]
	v_or_b32_e32 v11, v52, v11
	v_fma_mixlo_f16 v11, v24, v11, 0 op_sel_hi:[0,1,0]
	v_fma_mixlo_f16 v49, v24, v27, 0 op_sel:[0,1,0] op_sel_hi:[0,1,0]
	s_waitcnt vmcnt(6)
	v_or_b32_e32 v0, v50, v0
	v_fma_mixlo_f16 v44, v24, v0, 0 op_sel_hi:[0,1,0]
	v_or_b32_e32 v0, v27, v29
	v_fma_mixlo_f16 v48, v24, v0, 0 op_sel_hi:[0,1,0]
	buffer_load_dword v0, off, s[48:51], 0 offset:136 ; 4-byte Folded Reload
	s_waitcnt vmcnt(0)
	v_or_b32_e32 v0, v42, v0
	v_fma_mixlo_f16 v35, v24, v0, 0 op_sel_hi:[0,1,0]
	buffer_load_dword v0, off, s[48:51], 0 offset:140 ; 4-byte Folded Reload
	s_waitcnt vmcnt(0)
	;; [unrolled: 4-line block ×7, first 2 shown]
	v_or_b32_e32 v0, v57, v0
	v_fma_mixlo_f16 v58, v24, v0, 0 op_sel_hi:[0,1,0]
	buffer_load_dword v0, off, s[48:51], 0 offset:116 ; 4-byte Folded Reload
	v_fma_mixlo_f16 v57, v24, v57, 0 op_sel:[0,1,0] op_sel_hi:[0,1,0]
	s_waitcnt vmcnt(0)
	v_or_b32_e32 v0, v41, v0
	v_fma_mixlo_f16 v7, v24, v0, 0 op_sel_hi:[0,1,0]
	buffer_load_dword v0, off, s[48:51], 0 offset:100 ; 4-byte Folded Reload
	buffer_load_dword v1, off, s[48:51], 0 offset:108 ; 4-byte Folded Reload
	s_waitcnt vmcnt(0)
	v_or_b32_e32 v0, v1, v0
	v_fma_mixlo_f16 v34, v24, v0, 0 op_sel_hi:[0,1,0]
	buffer_load_dword v0, off, s[48:51], 0 offset:104 ; 4-byte Folded Reload
	v_fma_mixlo_f16 v40, v24, v1, 0 op_sel:[0,1,0] op_sel_hi:[0,1,0]
	s_waitcnt vmcnt(0)
	v_or_b32_e32 v0, v37, v0
	v_fma_mixlo_f16 v60, v24, v0, 0 op_sel_hi:[0,1,0]
	buffer_load_dword v0, off, s[48:51], 0 offset:88 ; 4-byte Folded Reload
	buffer_load_dword v1, off, s[48:51], 0 offset:96 ; 4-byte Folded Reload
	s_waitcnt vmcnt(0)
	v_or_b32_e32 v0, v1, v0
	v_fma_mixlo_f16 v50, v24, v1, 0 op_sel:[0,1,0] op_sel_hi:[0,1,0]
	v_fma_mixlo_f16 v29, v24, v0, 0 op_sel_hi:[0,1,0]
	buffer_load_dword v0, off, s[48:51], 0 offset:92 ; 4-byte Folded Reload
	buffer_load_dword v1, off, s[48:51], 0 offset:180 ; 4-byte Folded Reload
	s_waitcnt vmcnt(0)
	v_or_b32_e32 v0, v1, v0
	v_fma_mixlo_f16 v28, v24, v0, 0 op_sel_hi:[0,1,0]
	v_fma_mixlo_f16 v41, v24, v1, 0 op_sel:[0,1,0] op_sel_hi:[0,1,0]
	buffer_load_dword v0, off, s[48:51], 0 offset:76 ; 4-byte Folded Reload
	buffer_load_dword v1, off, s[48:51], 0 offset:84 ; 4-byte Folded Reload
	s_waitcnt vmcnt(0)
	v_or_b32_e32 v0, v1, v0
	v_fma_mixlo_f16 v14, v24, v1, 0 op_sel:[0,1,0] op_sel_hi:[0,1,0]
	v_fma_mixlo_f16 v37, v24, v0, 0 op_sel_hi:[0,1,0]
	buffer_load_dword v0, off, s[48:51], 0 offset:80 ; 4-byte Folded Reload
	buffer_load_dword v1, off, s[48:51], 0 offset:176 ; 4-byte Folded Reload
	s_waitcnt vmcnt(0)
	v_or_b32_e32 v0, v1, v0
	v_fma_mixlo_f16 v42, v24, v0, 0 op_sel_hi:[0,1,0]
	v_fma_mixlo_f16 v30, v24, v1, 0 op_sel:[0,1,0] op_sel_hi:[0,1,0]
	;; [unrolled: 12-line block ×3, first 2 shown]
	buffer_load_dword v0, off, s[48:51], 0 offset:52 ; 4-byte Folded Reload
	buffer_load_dword v1, off, s[48:51], 0 offset:60 ; 4-byte Folded Reload
	s_waitcnt vmcnt(0)
	v_or_b32_e32 v0, v1, v0
	v_fma_mixlo_f16 v3, v24, v1, 0 op_sel:[0,1,0] op_sel_hi:[0,1,0]
	v_fma_mixlo_f16 v1, v24, v0, 0 op_sel_hi:[0,1,0]
	buffer_load_dword v0, off, s[48:51], 0 offset:56 ; 4-byte Folded Reload
	buffer_load_dword v5, off, s[48:51], 0 offset:168 ; 4-byte Folded Reload
	v_and_b32_e32 v1, 0xffff, v1
	v_and_b32_e32 v3, 0xffff, v3
	s_waitcnt vmcnt(0)
	v_or_b32_e32 v0, v5, v0
	v_fma_mixlo_f16 v4, v24, v0, 0 op_sel_hi:[0,1,0]
	buffer_load_dword v0, off, s[48:51], 0 offset:40 ; 4-byte Folded Reload
	buffer_load_dword v12, off, s[48:51], 0 offset:48 ; 4-byte Folded Reload
	v_fma_mixlo_f16 v5, v24, v5, 0 op_sel:[0,1,0] op_sel_hi:[0,1,0]
	s_waitcnt vmcnt(0)
	v_or_b32_e32 v0, v12, v0
	v_fma_mixlo_f16 v61, v24, v12, 0 op_sel:[0,1,0] op_sel_hi:[0,1,0]
	v_fma_mixlo_f16 v56, v24, v0, 0 op_sel_hi:[0,1,0]
	buffer_load_dword v0, off, s[48:51], 0 offset:44 ; 4-byte Folded Reload
	buffer_load_dword v12, off, s[48:51], 0 offset:164 ; 4-byte Folded Reload
	s_waitcnt vmcnt(0)
	v_or_b32_e32 v0, v12, v0
	v_fma_mixlo_f16 v18, v24, v0, 0 op_sel_hi:[0,1,0]
	v_fma_mixlo_f16 v0, v24, v12, 0 op_sel:[0,1,0] op_sel_hi:[0,1,0]
	buffer_load_dword v12, off, s[48:51], 0 offset:28 ; 4-byte Folded Reload
	buffer_load_dword v16, off, s[48:51], 0 offset:36 ; 4-byte Folded Reload
	v_and_b32_e32 v0, 0xffff, v0
	s_waitcnt vmcnt(0)
	v_or_b32_e32 v12, v16, v12
	v_fma_mixlo_f16 v19, v24, v12, 0 op_sel_hi:[0,1,0]
	buffer_load_dword v12, off, s[48:51], 0 offset:32 ; 4-byte Folded Reload
	buffer_load_dword v20, off, s[48:51], 0 offset:160 ; 4-byte Folded Reload
	v_fma_mixlo_f16 v16, v24, v16, 0 op_sel:[0,1,0] op_sel_hi:[0,1,0]
	v_and_b32_e32 v19, 0xffff, v19
	v_and_b32_e32 v16, 0xffff, v16
	s_waitcnt vmcnt(0)
	v_or_b32_e32 v12, v20, v12
	v_fma_mixlo_f16 v54, v24, v12, 0 op_sel_hi:[0,1,0]
	v_fma_mixlo_f16 v25, v24, v20, 0 op_sel:[0,1,0] op_sel_hi:[0,1,0]
	buffer_load_dword v12, off, s[48:51], 0 offset:16 ; 4-byte Folded Reload
	buffer_load_dword v20, off, s[48:51], 0 offset:24 ; 4-byte Folded Reload
	s_waitcnt vmcnt(0)
	v_or_b32_e32 v12, v20, v12
	v_fma_mixlo_f16 v33, v24, v20, 0 op_sel:[0,1,0] op_sel_hi:[0,1,0]
	buffer_load_dword v20, off, s[48:51], 0 offset:20 ; 4-byte Folded Reload
	buffer_load_dword v38, off, s[48:51], 0 offset:156 ; 4-byte Folded Reload
	v_fma_mixlo_f16 v12, v24, v12, 0 op_sel_hi:[0,1,0]
	buffer_store_dword v11, off, s[48:51], 0 offset:28 ; 4-byte Folded Spill
	v_or_b32_e32 v11, v63, v15
	v_fma_mixlo_f16 v11, v24, v11, 0 op_sel_hi:[0,1,0]
	buffer_store_dword v11, off, s[48:51], 0 offset:20 ; 4-byte Folded Spill
	v_fma_mixlo_f16 v11, v24, v63, 0 op_sel:[0,1,0] op_sel_hi:[0,1,0]
	buffer_store_dword v11, off, s[48:51], 0 offset:16 ; 4-byte Folded Spill
	s_waitcnt vmcnt(3)
	v_or_b32_e32 v23, v38, v20
	v_fma_mixlo_f16 v27, v24, v23, 0 op_sel_hi:[0,1,0]
	v_fma_mixlo_f16 v38, v24, v38, 0 op_sel:[0,1,0] op_sel_hi:[0,1,0]
	v_fma_mixlo_f16 v20, v24, v52, 0 op_sel:[0,1,0] op_sel_hi:[0,1,0]
	ds_read_b64 v[23:24], v17
	buffer_store_dword v20, off, s[48:51], 0 offset:24 ; 4-byte Folded Spill
	s_waitcnt lgkmcnt(0)
	v_lshrrev_b32_e32 v11, 16, v23
	v_and_b32_e32 v15, 0xffff, v23
	;;#ASMSTART
	v_cvt_f32_f16 v15, v15;
	;;#ASMEND
	;;#ASMSTART
	v_cvt_f32_f16 v23, v11;
	;;#ASMEND
	v_and_b32_e32 v11, 0xffff, v12
	;;#ASMSTART
	v_cvt_f32_f16 v52, v11;
	;;#ASMEND
	v_and_b32_e32 v11, 0xffff, v33
	;;#ASMSTART
	v_cvt_f32_f16 v33, v11;
	;;#ASMEND
	v_lshrrev_b32_e32 v11, 16, v24
	v_and_b32_e32 v12, 0xffff, v24
	;;#ASMSTART
	v_cvt_f32_f16 v63, v12;
	;;#ASMEND
	;;#ASMSTART
	v_cvt_f32_f16 v20, v11;
	;;#ASMEND
	v_and_b32_e32 v11, 0xffff, v27
	;;#ASMSTART
	v_cvt_f32_f16 v27, v11;
	;;#ASMEND
	v_and_b32_e32 v11, 0xffff, v38
	;;#ASMSTART
	v_cvt_f32_f16 v38, v11;
	;;#ASMEND
	ds_read_b64 v[11:12], v17 offset:8
	s_waitcnt lgkmcnt(0)
	v_lshrrev_b32_e32 v24, 16, v11
	v_and_b32_e32 v11, 0xffff, v11
	;;#ASMSTART
	v_cvt_f32_f16 v11, v11;
	;;#ASMEND
	;;#ASMSTART
	v_cvt_f32_f16 v24, v24;
	;;#ASMEND
	;; [unrolled: 3-line block ×4, first 2 shown]
	v_mul_f32_e32 v16, v11, v19
	v_fmac_f32_e32 v16, v15, v52
	v_mul_f32_e32 v19, v24, v55
	v_lshrrev_b32_e32 v15, 16, v12
	v_and_b32_e32 v11, 0xffff, v12
	v_fmac_f32_e32 v19, v23, v33
	;;#ASMSTART
	v_cvt_f32_f16 v11, v11;
	;;#ASMEND
	;;#ASMSTART
	v_cvt_f32_f16 v12, v15;
	;;#ASMEND
	v_and_b32_e32 v15, 0xffff, v54
	v_and_b32_e32 v23, 0xffff, v25
	;;#ASMSTART
	v_cvt_f32_f16 v15, v15;
	;;#ASMEND
	;;#ASMSTART
	v_cvt_f32_f16 v23, v23;
	;;#ASMEND
	v_mul_f32_e32 v24, v11, v15
	v_mul_f32_e32 v25, v12, v23
	ds_read_b64 v[11:12], v17 offset:16
	v_fmac_f32_e32 v25, v20, v38
	v_and_b32_e32 v20, 0xffff, v56
	v_and_b32_e32 v23, 0xffff, v61
	v_fmac_f32_e32 v24, v63, v27
	s_waitcnt lgkmcnt(0)
	v_lshrrev_b32_e32 v15, 16, v11
	v_and_b32_e32 v11, 0xffff, v11
	;;#ASMSTART
	v_cvt_f32_f16 v11, v11;
	;;#ASMEND
	;;#ASMSTART
	v_cvt_f32_f16 v15, v15;
	;;#ASMEND
	;; [unrolled: 3-line block ×4, first 2 shown]
	v_fmac_f32_e32 v16, v11, v20
	v_fmac_f32_e32 v19, v15, v23
	v_lshrrev_b32_e32 v15, 16, v12
	v_and_b32_e32 v11, 0xffff, v12
	;;#ASMSTART
	v_cvt_f32_f16 v11, v11;
	;;#ASMEND
	;;#ASMSTART
	v_cvt_f32_f16 v12, v15;
	;;#ASMEND
	v_and_b32_e32 v15, 0xffff, v18
	;;#ASMSTART
	v_cvt_f32_f16 v15, v15;
	;;#ASMEND
	;;#ASMSTART
	v_cvt_f32_f16 v0, v0;
	;;#ASMEND
	v_fmac_f32_e32 v24, v11, v15
	v_fmac_f32_e32 v25, v12, v0
	ds_read_b64 v[11:12], v17 offset:24
	s_waitcnt lgkmcnt(0)
	v_and_b32_e32 v0, 0xffff, v11
	v_lshrrev_b32_e32 v15, 16, v11
	;;#ASMSTART
	v_cvt_f32_f16 v0, v0;
	;;#ASMEND
	;;#ASMSTART
	v_cvt_f32_f16 v11, v15;
	;;#ASMEND
	;; [unrolled: 3-line block ×4, first 2 shown]
	v_fmac_f32_e32 v16, v0, v1
	v_lshrrev_b32_e32 v1, 16, v12
	v_and_b32_e32 v0, 0xffff, v12
	v_fmac_f32_e32 v19, v11, v3
	;;#ASMSTART
	v_cvt_f32_f16 v0, v0;
	;;#ASMEND
	;;#ASMSTART
	v_cvt_f32_f16 v1, v1;
	;;#ASMEND
	v_and_b32_e32 v3, 0xffff, v4
	v_and_b32_e32 v4, 0xffff, v5
	;;#ASMSTART
	v_cvt_f32_f16 v3, v3;
	;;#ASMEND
	;;#ASMSTART
	v_cvt_f32_f16 v4, v4;
	;;#ASMEND
	v_fmac_f32_e32 v24, v0, v3
	v_fmac_f32_e32 v25, v1, v4
	ds_read_b64 v[0:1], v17 offset:32
	v_and_b32_e32 v4, 0xffff, v6
	v_and_b32_e32 v5, 0xffff, v46
	s_waitcnt lgkmcnt(0)
	v_lshrrev_b32_e32 v3, 16, v0
	v_and_b32_e32 v0, 0xffff, v0
	;;#ASMSTART
	v_cvt_f32_f16 v0, v0;
	;;#ASMEND
	;;#ASMSTART
	v_cvt_f32_f16 v3, v3;
	;;#ASMEND
	;;#ASMSTART
	v_cvt_f32_f16 v4, v4;
	;;#ASMEND
	;;#ASMSTART
	v_cvt_f32_f16 v5, v5;
	;;#ASMEND
	v_fmac_f32_e32 v16, v0, v4
	v_fmac_f32_e32 v19, v3, v5
	v_lshrrev_b32_e32 v3, 16, v1
	v_and_b32_e32 v0, 0xffff, v1
	;;#ASMSTART
	v_cvt_f32_f16 v0, v0;
	;;#ASMEND
	;;#ASMSTART
	v_cvt_f32_f16 v1, v3;
	;;#ASMEND
	v_and_b32_e32 v3, 0xffff, v45
	v_and_b32_e32 v4, 0xffff, v26
	;;#ASMSTART
	v_cvt_f32_f16 v3, v3;
	;;#ASMEND
	;;#ASMSTART
	v_cvt_f32_f16 v4, v4;
	;;#ASMEND
	v_fmac_f32_e32 v24, v0, v3
	v_fmac_f32_e32 v25, v1, v4
	ds_read_b64 v[0:1], v17 offset:40
	v_and_b32_e32 v4, 0xffff, v37
	v_and_b32_e32 v5, 0xffff, v14
	s_waitcnt lgkmcnt(0)
	v_lshrrev_b32_e32 v3, 16, v0
	v_and_b32_e32 v0, 0xffff, v0
	;;#ASMSTART
	v_cvt_f32_f16 v0, v0;
	;;#ASMEND
	;;#ASMSTART
	v_cvt_f32_f16 v3, v3;
	;;#ASMEND
	;;#ASMSTART
	v_cvt_f32_f16 v4, v4;
	;;#ASMEND
	;;#ASMSTART
	v_cvt_f32_f16 v5, v5;
	;;#ASMEND
	v_fmac_f32_e32 v16, v0, v4
	v_fmac_f32_e32 v19, v3, v5
	v_lshrrev_b32_e32 v3, 16, v1
	v_and_b32_e32 v0, 0xffff, v1
	;; [unrolled: 38-line block ×7, first 2 shown]
	;;#ASMSTART
	v_cvt_f32_f16 v0, v0;
	;;#ASMEND
	;;#ASMSTART
	v_cvt_f32_f16 v1, v3;
	;;#ASMEND
	v_and_b32_e32 v3, 0xffff, v31
	v_and_b32_e32 v4, 0xffff, v32
	;;#ASMSTART
	v_cvt_f32_f16 v3, v3;
	;;#ASMEND
	;;#ASMSTART
	v_cvt_f32_f16 v4, v4;
	;;#ASMEND
	ds_read_b64 v[7:8], v17 offset:88
	v_fmac_f32_e32 v25, v1, v4
	v_fmac_f32_e32 v24, v0, v3
	v_and_b32_e32 v5, 0xffff, v47
	s_waitcnt lgkmcnt(0)
	v_and_b32_e32 v1, 0xffff, v7
	v_lshrrev_b32_e32 v0, 16, v7
	;;#ASMSTART
	v_cvt_f32_f16 v3, v1;
	;;#ASMEND
	v_and_b32_e32 v1, 0xffff, v35
	;;#ASMSTART
	v_cvt_f32_f16 v0, v0;
	;;#ASMEND
	;;#ASMSTART
	v_cvt_f32_f16 v4, v1;
	;;#ASMEND
	v_and_b32_e32 v1, 0xffff, v36
	;;#ASMSTART
	v_cvt_f32_f16 v1, v1;
	;;#ASMEND
	v_fmac_f32_e32 v19, v0, v1
	v_lshrrev_b32_e32 v1, 16, v8
	v_and_b32_e32 v0, 0xffff, v8
	v_fmac_f32_e32 v16, v3, v4
	;;#ASMSTART
	v_cvt_f32_f16 v0, v0;
	;;#ASMEND
	;;#ASMSTART
	v_cvt_f32_f16 v1, v1;
	;;#ASMEND
	v_and_b32_e32 v3, 0xffff, v39
	v_and_b32_e32 v4, 0xffff, v43
	;;#ASMSTART
	v_cvt_f32_f16 v3, v3;
	;;#ASMEND
	;;#ASMSTART
	v_cvt_f32_f16 v4, v4;
	;;#ASMEND
	v_fmac_f32_e32 v24, v0, v3
	v_fmac_f32_e32 v25, v1, v4
	ds_read_b64 v[0:1], v17 offset:96
	v_and_b32_e32 v4, 0xffff, v44
	s_waitcnt lgkmcnt(0)
	v_lshrrev_b32_e32 v3, 16, v0
	v_and_b32_e32 v0, 0xffff, v0
	;;#ASMSTART
	v_cvt_f32_f16 v0, v0;
	;;#ASMEND
	;;#ASMSTART
	v_cvt_f32_f16 v3, v3;
	;;#ASMEND
	;; [unrolled: 3-line block ×4, first 2 shown]
	v_fmac_f32_e32 v16, v0, v4
	v_fmac_f32_e32 v19, v3, v5
	v_lshrrev_b32_e32 v3, 16, v1
	v_and_b32_e32 v0, 0xffff, v1
	;;#ASMSTART
	v_cvt_f32_f16 v0, v0;
	;;#ASMEND
	;;#ASMSTART
	v_cvt_f32_f16 v1, v3;
	;;#ASMEND
	v_and_b32_e32 v3, 0xffff, v48
	v_and_b32_e32 v4, 0xffff, v49
	;;#ASMSTART
	v_cvt_f32_f16 v3, v3;
	;;#ASMEND
	;;#ASMSTART
	v_cvt_f32_f16 v4, v4;
	;;#ASMEND
	v_fmac_f32_e32 v24, v0, v3
	v_fmac_f32_e32 v25, v1, v4
	ds_read_b64 v[0:1], v17 offset:104
	v_and_b32_e32 v4, 0xffff, v51
	v_and_b32_e32 v5, 0xffff, v62
	s_waitcnt lgkmcnt(0)
	v_lshrrev_b32_e32 v3, 16, v0
	v_and_b32_e32 v0, 0xffff, v0
	;;#ASMSTART
	v_cvt_f32_f16 v0, v0;
	;;#ASMEND
	;;#ASMSTART
	v_cvt_f32_f16 v3, v3;
	;;#ASMEND
	;; [unrolled: 3-line block ×4, first 2 shown]
	v_fmac_f32_e32 v16, v0, v4
	v_fmac_f32_e32 v19, v3, v5
	v_lshrrev_b32_e32 v3, 16, v1
	v_and_b32_e32 v0, 0xffff, v1
	;;#ASMSTART
	v_cvt_f32_f16 v0, v0;
	;;#ASMEND
	;;#ASMSTART
	v_cvt_f32_f16 v1, v3;
	;;#ASMEND
	buffer_load_dword v3, off, s[48:51], 0 offset:344 ; 4-byte Folded Reload
	s_waitcnt vmcnt(0)
	v_and_b32_e32 v3, 0xffff, v3
	;;#ASMSTART
	v_cvt_f32_f16 v3, v3;
	;;#ASMEND
	buffer_load_dword v4, off, s[48:51], 0 offset:340 ; 4-byte Folded Reload
	v_fmac_f32_e32 v24, v0, v3
	s_waitcnt vmcnt(0)
	v_and_b32_e32 v4, 0xffff, v4
	;;#ASMSTART
	v_cvt_f32_f16 v4, v4;
	;;#ASMEND
	v_fmac_f32_e32 v25, v1, v4
	ds_read_b64 v[0:1], v17 offset:112
	s_waitcnt lgkmcnt(0)
	v_lshrrev_b32_e32 v3, 16, v0
	v_and_b32_e32 v0, 0xffff, v0
	;;#ASMSTART
	v_cvt_f32_f16 v0, v0;
	;;#ASMEND
	;;#ASMSTART
	v_cvt_f32_f16 v3, v3;
	;;#ASMEND
	buffer_load_dword v4, off, s[48:51], 0 offset:336 ; 4-byte Folded Reload
	s_waitcnt vmcnt(0)
	v_and_b32_e32 v4, 0xffff, v4
	;;#ASMSTART
	v_cvt_f32_f16 v4, v4;
	;;#ASMEND
	buffer_load_dword v5, off, s[48:51], 0 offset:332 ; 4-byte Folded Reload
	v_fmac_f32_e32 v16, v0, v4
	v_and_b32_e32 v0, 0xffff, v1
	s_waitcnt vmcnt(0)
	v_and_b32_e32 v5, 0xffff, v5
	;;#ASMSTART
	v_cvt_f32_f16 v5, v5;
	;;#ASMEND
	v_fmac_f32_e32 v19, v3, v5
	v_lshrrev_b32_e32 v3, 16, v1
	;;#ASMSTART
	v_cvt_f32_f16 v0, v0;
	;;#ASMEND
	;;#ASMSTART
	v_cvt_f32_f16 v1, v3;
	;;#ASMEND
	buffer_load_dword v3, off, s[48:51], 0 offset:328 ; 4-byte Folded Reload
	s_waitcnt vmcnt(0)
	v_and_b32_e32 v3, 0xffff, v3
	;;#ASMSTART
	v_cvt_f32_f16 v3, v3;
	;;#ASMEND
	buffer_load_dword v4, off, s[48:51], 0 offset:324 ; 4-byte Folded Reload
	v_fmac_f32_e32 v24, v0, v3
	s_waitcnt vmcnt(0)
	v_and_b32_e32 v4, 0xffff, v4
	;;#ASMSTART
	v_cvt_f32_f16 v4, v4;
	;;#ASMEND
	v_fmac_f32_e32 v25, v1, v4
	ds_read_b64 v[0:1], v17 offset:120
	s_waitcnt lgkmcnt(0)
	v_lshrrev_b32_e32 v3, 16, v0
	v_and_b32_e32 v0, 0xffff, v0
	;;#ASMSTART
	v_cvt_f32_f16 v0, v0;
	;;#ASMEND
	;;#ASMSTART
	v_cvt_f32_f16 v3, v3;
	;;#ASMEND
	buffer_load_dword v4, off, s[48:51], 0 offset:320 ; 4-byte Folded Reload
	s_waitcnt vmcnt(0)
	v_and_b32_e32 v4, 0xffff, v4
	;;#ASMSTART
	v_cvt_f32_f16 v4, v4;
	;;#ASMEND
	buffer_load_dword v5, off, s[48:51], 0 offset:316 ; 4-byte Folded Reload
	v_fmac_f32_e32 v16, v0, v4
	v_and_b32_e32 v0, 0xffff, v1
	s_waitcnt vmcnt(0)
	v_and_b32_e32 v5, 0xffff, v5
	;;#ASMSTART
	v_cvt_f32_f16 v5, v5;
	;;#ASMEND
	v_fmac_f32_e32 v19, v3, v5
	v_lshrrev_b32_e32 v3, 16, v1
	;; [unrolled: 46-line block ×10, first 2 shown]
	;;#ASMSTART
	v_cvt_f32_f16 v0, v0;
	;;#ASMEND
	;;#ASMSTART
	v_cvt_f32_f16 v1, v3;
	;;#ASMEND
	buffer_load_dword v3, off, s[48:51], 0 offset:20 ; 4-byte Folded Reload
	s_waitcnt vmcnt(0)
	v_and_b32_e32 v3, 0xffff, v3
	;;#ASMSTART
	v_cvt_f32_f16 v3, v3;
	;;#ASMEND
	buffer_load_dword v4, off, s[48:51], 0 offset:16 ; 4-byte Folded Reload
	v_fmac_f32_e32 v24, v0, v3
	v_add_f32_e32 v0, v16, v19
	v_add_f32_e32 v0, v0, v24
	s_waitcnt vmcnt(0)
	v_and_b32_e32 v4, 0xffff, v4
	;;#ASMSTART
	v_cvt_f32_f16 v4, v4;
	;;#ASMEND
	buffer_load_dword v5, off, s[48:51], 0 offset:348 ; 4-byte Folded Reload
	v_fmac_f32_e32 v25, v1, v4
	v_add_f32_e32 v3, v25, v0
	s_waitcnt vmcnt(0)
	v_and_b32_e32 v0, 64, v5
	v_xor_b32_e32 v4, 1, v5
	v_add_u32_e32 v1, 64, v0
	v_cmp_lt_i32_e32 vcc, v4, v1
	v_cndmask_b32_e32 v4, v5, v4, vcc
	v_lshlrev_b32_e32 v4, 2, v4
	ds_bpermute_b32 v4, v4, v3
	s_mov_b64 s[34:35], exec
	buffer_load_dword v8, off, s[48:51], 0 offset:192 ; 4-byte Folded Reload
	s_and_b64 s[36:37], s[34:35], s[2:3]
	s_mov_b64 exec, s[36:37]
	s_cbranch_execz .LBB271_8
; %bb.586:                              ;   in Loop: Header=BB271_9 Depth=1
	buffer_load_dword v7, off, s[48:51], 0 offset:148 ; 4-byte Folded Reload
	buffer_load_dword v6, off, s[48:51], 0 offset:352 ; 4-byte Folded Reload
	s_waitcnt lgkmcnt(0)
	v_add_f32_e32 v3, v3, v4
	s_waitcnt vmcnt(1)
	v_add_u32_e32 v5, s41, v7
	v_cmp_gt_i32_e32 vcc, s30, v7
	buffer_load_dword v7, off, s[48:51], 0 offset:152 ; 4-byte Folded Reload
	v_cvt_f32_i32_e32 v5, v5
	s_waitcnt vmcnt(1)
	v_max_f32_e32 v4, v6, v6
	v_mul_f32_e32 v5, s33, v5
	v_cndmask_b32_e64 v5, 0, v5, s[4:5]
	v_fmac_f32_e32 v5, s31, v3
	v_cndmask_b32_e32 v3, 0, v5, vcc
	s_waitcnt vmcnt(0)
	ds_write_b32 v7, v3
	v_max_f32_e32 v3, v4, v5
	v_cndmask_b32_e32 v6, v6, v3, vcc
	buffer_store_dword v6, off, s[48:51], 0 offset:352 ; 4-byte Folded Spill
	s_branch .LBB271_8
.LBB271_587:
	s_or_b64 exec, exec, s[18:19]
	buffer_load_dword v11, off, s[48:51], 0 offset:372 ; 4-byte Folded Reload
	buffer_load_dword v6, off, s[48:51], 0 offset:352 ; 4-byte Folded Reload
.LBB271_588:
	s_or_b64 exec, exec, s[6:7]
	buffer_load_dword v9, off, s[48:51], 0 offset:348 ; 4-byte Folded Reload
	s_waitcnt vmcnt(1)
	v_max_f32_e32 v4, v6, v6
	s_waitcnt vmcnt(0)
	v_xor_b32_e32 v2, 32, v9
	v_cmp_lt_i32_e32 vcc, v2, v1
	v_cndmask_b32_e32 v2, v9, v2, vcc
	v_lshlrev_b32_e32 v2, 2, v2
	ds_bpermute_b32 v3, v2, v6
	v_xor_b32_e32 v5, 16, v9
	v_cmp_lt_i32_e32 vcc, v5, v1
	v_xor_b32_e32 v6, 8, v9
	v_xor_b32_e32 v7, 4, v9
	s_waitcnt lgkmcnt(0)
	v_max_f32_e32 v3, v3, v3
	v_max_f32_e32 v4, v4, v3
	v_cndmask_b32_e32 v3, v9, v5, vcc
	v_lshlrev_b32_e32 v3, 2, v3
	ds_bpermute_b32 v5, v3, v4
	v_cmp_lt_i32_e32 vcc, v6, v1
	v_xor_b32_e32 v8, 2, v9
	s_waitcnt lgkmcnt(0)
	v_max_f32_e32 v5, v5, v5
	v_max_f32_e32 v5, v4, v5
	v_cndmask_b32_e32 v4, v9, v6, vcc
	v_lshlrev_b32_e32 v4, 2, v4
	ds_bpermute_b32 v6, v4, v5
	v_cmp_lt_i32_e32 vcc, v7, v1
	s_waitcnt lgkmcnt(0)
	v_max_f32_e32 v6, v6, v6
	v_max_f32_e32 v6, v5, v6
	v_cndmask_b32_e32 v5, v9, v7, vcc
	v_lshlrev_b32_e32 v5, 2, v5
	ds_bpermute_b32 v7, v5, v6
	v_cmp_lt_i32_e32 vcc, v8, v1
	s_waitcnt lgkmcnt(0)
	v_max_f32_e32 v7, v7, v7
	v_max_f32_e32 v7, v6, v7
	v_cndmask_b32_e32 v6, v9, v8, vcc
	v_lshlrev_b32_e32 v14, 2, v6
	buffer_load_dword v6, off, s[48:51], 0 offset:364 ; 4-byte Folded Reload
	ds_bpermute_b32 v8, v14, v7
	s_waitcnt vmcnt(0)
	v_and_b32_e32 v30, 63, v6
	buffer_load_dword v6, off, s[48:51], 0 offset:12 ; 4-byte Folded Reload
	v_cmp_eq_u32_e32 vcc, 0, v30
	s_waitcnt vmcnt(0)
	v_lshlrev_b32_e32 v6, 2, v6
	s_and_saveexec_b64 s[2:3], vcc
	s_cbranch_execz .LBB271_590
; %bb.589:
	s_waitcnt lgkmcnt(0)
	v_max_f32_e32 v8, v8, v8
	v_max_f32_e32 v7, v7, v7
	;; [unrolled: 1-line block ×3, first 2 shown]
	ds_write_b32 v6, v7 offset:384
.LBB271_590:
	s_or_b64 exec, exec, s[2:3]
	v_cmp_gt_u32_e64 s[2:3], 2, v30
	s_waitcnt lgkmcnt(0)
	v_mov_b32_e32 v8, 0xff7fffff
	v_lshlrev_b32_e32 v7, 2, v30
	s_barrier
	s_and_saveexec_b64 s[4:5], s[2:3]
; %bb.591:
	ds_read_b32 v8, v7 offset:384
; %bb.592:
	s_or_b64 exec, exec, s[4:5]
	buffer_load_dword v10, off, s[48:51], 0 offset:348 ; 4-byte Folded Reload
	v_lshlrev_b32_e32 v0, 2, v0
	s_waitcnt vmcnt(0)
	v_xor_b32_e32 v9, 1, v10
	v_cmp_lt_i32_e64 s[4:5], v9, v1
	v_cndmask_b32_e64 v1, v10, v9, s[4:5]
	v_lshlrev_b32_e32 v13, 2, v1
	s_waitcnt lgkmcnt(0)
	ds_bpermute_b32 v1, v13, v8
	v_max_f32_e32 v8, v8, v8
	s_lshl_b32 s4, s21, 5
	s_min_i32 s31, s4, s30
	s_waitcnt lgkmcnt(0)
	v_max_f32_e32 v1, v1, v1
	v_max_f32_e32 v1, v8, v1
	ds_bpermute_b32 v1, v0, v1
	buffer_load_dword v0, off, s[48:51], 0 offset:364 ; 4-byte Folded Reload
	s_waitcnt vmcnt(0)
	v_cmp_gt_i32_e64 s[4:5], s31, v0
	v_mov_b32_e32 v0, 0
	s_and_saveexec_b64 s[12:13], s[4:5]
	s_cbranch_execz .LBB271_596
; %bb.593:
	buffer_load_dword v9, off, s[48:51], 0 offset:364 ; 4-byte Folded Reload
	v_mov_b32_e32 v0, 0x190
	s_mov_b64 s[18:19], 0
	s_waitcnt vmcnt(0)
	v_lshl_add_u32 v8, v9, 2, v0
	v_mov_b32_e32 v0, 0
.LBB271_594:                            ; =>This Inner Loop Header: Depth=1
	ds_read_b32 v10, v8
	v_add_u32_e32 v9, 0x80, v9
	v_cmp_le_i32_e64 s[6:7], s31, v9
	s_or_b64 s[18:19], s[6:7], s[18:19]
	s_waitcnt lgkmcnt(0)
	v_sub_f32_e32 v10, v10, v1
	v_mul_f32_e32 v10, 0x3fb8aa3b, v10
	v_exp_f32_e32 v10, v10
	ds_write_b32 v8, v10
	v_add_f32_e32 v0, v0, v10
	v_add_u32_e32 v8, 0x200, v8
	s_andn2_b64 exec, exec, s[18:19]
	s_cbranch_execnz .LBB271_594
; %bb.595:
	s_or_b64 exec, exec, s[18:19]
.LBB271_596:
	s_or_b64 exec, exec, s[12:13]
	s_waitcnt lgkmcnt(0)
	ds_bpermute_b32 v1, v2, v0
	s_waitcnt lgkmcnt(0)
	v_add_f32_e32 v0, v0, v1
	ds_bpermute_b32 v1, v3, v0
	s_waitcnt lgkmcnt(0)
	v_add_f32_e32 v0, v0, v1
	;; [unrolled: 3-line block ×6, first 2 shown]
	s_and_saveexec_b64 s[6:7], vcc
; %bb.597:
	ds_write_b32 v6, v0 offset:392
; %bb.598:
	s_or_b64 exec, exec, s[6:7]
	s_waitcnt lgkmcnt(0)
	s_barrier
	s_mov_b64 s[6:7], exec
	buffer_load_dword v5, off, s[48:51], 0 offset:364 ; 4-byte Folded Reload
	s_and_b64 s[2:3], s[6:7], s[2:3]
	s_mov_b64 exec, s[2:3]
; %bb.599:
	ds_read_b32 v0, v7 offset:392
; %bb.600:
	s_or_b64 exec, exec, s[6:7]
	buffer_load_dword v2, off, s[48:51], 0 offset:348 ; 4-byte Folded Reload
	s_waitcnt lgkmcnt(0)
	ds_bpermute_b32 v1, v13, v0
	s_waitcnt lgkmcnt(0)
	v_add_f32_e32 v0, v0, v1
	s_waitcnt vmcnt(0)
	v_lshlrev_b32_e32 v2, 2, v2
	v_and_b32_e32 v1, 0xffffff00, v2
	ds_bpermute_b32 v0, v1, v0
	s_and_saveexec_b64 s[2:3], s[4:5]
	s_cbranch_execz .LBB271_603
; %bb.601:
	s_waitcnt lgkmcnt(0)
	v_add_f32_e32 v1, 0x358637bd, v0
	v_div_scale_f32 v0, s[4:5], v1, v1, 1.0
	v_div_scale_f32 v2, vcc, 1.0, v1, 1.0
	s_mov_b64 s[4:5], 0
	v_rcp_f32_e32 v3, v0
	v_fma_f32 v4, -v0, v3, 1.0
	v_fmac_f32_e32 v3, v4, v3
	v_mul_f32_e32 v4, v2, v3
	v_fma_f32 v5, -v0, v4, v2
	v_fmac_f32_e32 v4, v5, v3
	buffer_load_dword v5, off, s[48:51], 0 offset:364 ; 4-byte Folded Reload
	v_fma_f32 v0, -v0, v4, v2
	v_div_fmas_f32 v2, v0, v3, v4
	v_mov_b32_e32 v0, 0x190
	v_div_fixup_f32 v1, v2, v1, 1.0
	s_waitcnt vmcnt(0)
	v_lshl_add_u32 v0, v5, 2, v0
	v_mov_b32_e32 v2, v5
.LBB271_602:                            ; =>This Inner Loop Header: Depth=1
	ds_read_b32 v3, v0
	v_add_u32_e32 v2, 0x80, v2
	v_cmp_le_i32_e32 vcc, s31, v2
	s_or_b64 s[4:5], vcc, s[4:5]
	s_waitcnt lgkmcnt(0)
	v_mul_f32_e32 v3, v1, v3
	ds_write_b32 v0, v3
	v_add_u32_e32 v0, 0x200, v0
	s_andn2_b64 exec, exec, s[4:5]
	s_cbranch_execnz .LBB271_602
.LBB271_603:
	s_or_b64 exec, exec, s[2:3]
	v_mov_b32_e32 v28, 0
	s_waitcnt lgkmcnt(0)
	v_and_b32_e32 v0, 3, v5
	v_mov_b32_e32 v29, 0
	v_mov_b32_e32 v27, 0
	;; [unrolled: 1-line block ×11, first 2 shown]
	s_barrier
	buffer_store_dword v0, off, s[48:51], 0 offset:16 ; 4-byte Folded Spill
	s_and_saveexec_b64 s[2:3], s[0:1]
	s_cbranch_execz .LBB271_1207
; %bb.604:
	s_ashr_i32 s0, s16, 31
	s_add_u32 s1, s28, s16
	s_addc_u32 s0, s29, s0
	v_and_b32_e32 v1, 0x1f8, v11
	v_mov_b32_e32 v3, s0
	v_add_co_u32_e32 v4, vcc, s1, v1
	v_addc_co_u32_e32 v5, vcc, 0, v3, vcc
	buffer_store_dword v13, off, s[48:51], 0 offset:28 ; 4-byte Folded Spill
	buffer_store_dword v14, off, s[48:51], 0 offset:24 ; 4-byte Folded Spill
	;; [unrolled: 1-line block ×4, first 2 shown]
	s_nop 0
	buffer_store_dword v5, off, s[48:51], 0 offset:8 ; 4-byte Folded Spill
	buffer_load_dword v3, off, s[48:51], 0 offset:12 ; 4-byte Folded Reload
	v_and_b32_e32 v0, 24, v11
	s_add_i32 s28, s21, -1
	s_lshl_b64 s[0:1], s[26:27], 2
	s_add_u32 s0, s24, s0
	s_addc_u32 s1, s25, s1
	s_mov_b32 s4, -1
	s_mov_b32 s31, s17
	s_mov_b32 s5, 0xffffff
	v_mov_b32_e32 v2, 0
	s_mov_b64 s[6:7], 0
	s_movk_i32 s24, 0x80
	s_movk_i32 s25, 0x7f
	s_mov_b32 s26, 0x8000
	v_mov_b32_e32 v14, 0x2000
	v_mov_b32_e32 v18, 0
	v_mov_b32_e32 v19, 0
	v_mov_b32_e32 v20, 0
	v_mov_b32_e32 v21, 0
	v_mov_b32_e32 v22, 0
	v_mov_b32_e32 v23, 0
	v_mov_b32_e32 v24, 0
	v_mov_b32_e32 v25, 0
	v_mov_b32_e32 v26, 0
	v_mov_b32_e32 v27, 0
	v_mov_b32_e32 v29, 0
	v_mov_b32_e32 v28, 0
	s_waitcnt vmcnt(0)
	v_lshlrev_b32_e32 v1, 5, v3
	v_or3_b32 v13, v1, v0, 7
	buffer_load_dword v0, off, s[48:51], 0 offset:16 ; 4-byte Folded Reload
	v_mov_b32_e32 v1, s1
	s_waitcnt vmcnt(0)
	v_lshlrev_b32_e32 v0, 5, v0
	v_lshl_or_b32 v0, v3, 7, v0
	v_add_u32_e32 v30, 0x190, v0
	buffer_load_dword v0, off, s[48:51], 0 offset:368 ; 4-byte Folded Reload
	s_waitcnt vmcnt(0)
	v_and_b32_e32 v0, 60, v0
	v_add_co_u32_e32 v5, vcc, s0, v0
	v_addc_co_u32_e32 v6, vcc, 0, v1, vcc
	s_branch .LBB271_606
.LBB271_605:                            ;   in Loop: Header=BB271_606 Depth=1
	s_or_b64 exec, exec, s[12:13]
	v_add_f32_e32 v0, v0, v54
	v_add_f32_e32 v23, v23, v0
	;; [unrolled: 1-line block ×12, first 2 shown]
	buffer_load_dword v0, off, s[48:51], 0  ; 4-byte Folded Reload
	v_add_f32_e32 v4, v9, v10
	v_add_f32_e32 v19, v19, v4
	;; [unrolled: 1-line block ×8, first 2 shown]
	v_add_u32_e32 v13, 64, v13
	v_add_u32_e32 v30, 0x100, v30
	s_waitcnt vmcnt(0)
	v_add_f32_e32 v0, v43, v0
	v_add_f32_e32 v28, v28, v0
	;;#ASMSTART
	v_pk_mul_f16 v0, v35, v7;

	;;#ASMEND
	;;#ASMSTART
	v_pk_mul_f16 v1, v36, v1;

	;;#ASMEND
	;; [unrolled: 4-line block ×4, first 2 shown]
	;;#ASMSTART
	v_pk_add_f16 v0, v0, v1;

	;;#ASMEND
	;;#ASMSTART
	v_pk_add_f16 v0, v0, v4;

	;;#ASMEND
	;; [unrolled: 4-line block ×3, first 2 shown]
	v_lshrrev_b32_e32 v1, 16, v0
	v_and_b32_e32 v0, 0xffff, v0
	;;#ASMSTART
	v_cvt_f32_f16 v0, v0;
	;;#ASMEND
	;;#ASMSTART
	v_cvt_f32_f16 v1, v1;
	;;#ASMEND
	v_add_f32_e32 v0, v0, v1
	v_add_f32_e32 v18, v18, v0
	buffer_load_dword v0, off, s[48:51], 0 offset:12 ; 4-byte Folded Reload
	s_waitcnt vmcnt(0)
	v_add_u32_e32 v0, 2, v0
	v_cmp_le_i32_e32 vcc, s21, v0
	s_or_b64 s[6:7], vcc, s[6:7]
	v_add_co_u32_e32 v5, vcc, 8, v5
	v_addc_co_u32_e32 v6, vcc, 0, v6, vcc
	buffer_store_dword v0, off, s[48:51], 0 offset:12 ; 4-byte Folded Spill
	s_andn2_b64 exec, exec, s[6:7]
	s_cbranch_execz .LBB271_1206
.LBB271_606:                            ; =>This Inner Loop Header: Depth=1
	global_load_dword v1, v[5:6], off
	ds_read2_b64 v[7:10], v30 offset1:1
	ds_read2_b64 v[31:34], v30 offset0:2 offset1:3
	s_waitcnt lgkmcnt(1)
	;;#ASMSTART
	v_cvt_f16_f32 v0, v7;

	;;#ASMEND
	;;#ASMSTART
	v_cvt_f16_f32 v12, v8;

	;;#ASMEND
	;; [unrolled: 4-line block ×4, first 2 shown]
	s_waitcnt lgkmcnt(0)
	;;#ASMSTART
	v_cvt_f16_f32 v38, v31;

	;;#ASMEND
	buffer_load_dword v3, off, s[48:51], 0 offset:4 ; 4-byte Folded Reload
	buffer_load_dword v4, off, s[48:51], 0 offset:8 ; 4-byte Folded Reload
	;;#ASMSTART
	v_cvt_f16_f32 v42, v32;

	;;#ASMEND
	;;#ASMSTART
	v_cvt_f16_f32 v43, v33;

	;;#ASMEND
	;; [unrolled: 4-line block ×3, first 2 shown]
	v_mov_b32_e32 v33, 0
	s_waitcnt vmcnt(0)
	v_mad_i64_i32 v[7:8], s[0:1], v1, s31, v[3:4]
	global_load_dwordx2 v[9:10], v[7:8], off
	global_load_dword v32, v2, s[14:15]
	s_waitcnt vmcnt(1)
	v_cmp_ne_u16_sdwa s[12:13], v9, v2 src0_sel:BYTE_0 src1_sel:DWORD
	s_and_saveexec_b64 s[0:1], s[12:13]
	s_cbranch_execz .LBB271_612
; %bb.607:                              ;   in Loop: Header=BB271_606 Depth=1
	v_cmp_ne_u16_sdwa s[16:17], v9, s24 src0_sel:BYTE_0 src1_sel:DWORD
	v_mov_b32_e32 v33, 0x8000
	s_and_saveexec_b64 s[12:13], s[16:17]
	s_cbranch_execz .LBB271_611
; %bb.608:                              ;   in Loop: Header=BB271_606 Depth=1
	v_and_b32_e32 v1, 0x7f, v9
	v_cmp_ne_u32_e32 vcc, s25, v1
	v_mov_b32_e32 v33, 0x7c01
	s_and_saveexec_b64 s[16:17], vcc
	s_cbranch_execz .LBB271_610
; %bb.609:                              ;   in Loop: Header=BB271_606 Depth=1
	v_and_b32_e32 v11, 7, v9
	v_ffbh_u32_e32 v3, v11
	v_min_u32_e32 v16, 32, v3
	v_subrev_u32_e32 v3, 28, v16
	v_lshlrev_b64 v[3:4], v3, v[9:10]
	v_lshrrev_b32_e32 v15, 3, v1
	v_sub_u32_e32 v4, 29, v16
	v_cmp_gt_u32_e32 vcc, 8, v1
	v_cndmask_b32_e32 v1, v15, v4, vcc
	v_lshl_add_u32 v1, v1, 10, v14
	v_lshlrev_b32_e32 v4, 8, v9
	v_and_b32_e32 v3, 7, v3
	v_and_b32_e32 v1, 0xfc00, v1
	v_cndmask_b32_e32 v3, v11, v3, vcc
	v_and_or_b32 v1, v4, s26, v1
	v_lshl_or_b32 v33, v3, 7, v1
.LBB271_610:                            ;   in Loop: Header=BB271_606 Depth=1
	s_or_b64 exec, exec, s[16:17]
.LBB271_611:                            ;   in Loop: Header=BB271_606 Depth=1
	s_or_b64 exec, exec, s[12:13]
.LBB271_612:                            ;   in Loop: Header=BB271_606 Depth=1
	s_or_b64 exec, exec, s[0:1]
	v_lshrrev_b16_e32 v1, 8, v9
	v_cmp_ne_u16_e32 vcc, 0, v1
	v_mov_b32_e32 v35, 0
	v_mov_b32_e32 v34, 0
	s_and_saveexec_b64 s[0:1], vcc
	s_cbranch_execz .LBB271_618
; %bb.613:                              ;   in Loop: Header=BB271_606 Depth=1
	v_cmp_ne_u16_e32 vcc, s24, v1
	v_bfrev_b32_e32 v34, 1
	s_and_saveexec_b64 s[12:13], vcc
	s_cbranch_execz .LBB271_617
; %bb.614:                              ;   in Loop: Header=BB271_606 Depth=1
	v_and_b32_e32 v3, 0x7f, v1
	v_cmp_ne_u32_e32 vcc, s25, v3
	v_mov_b32_e32 v34, 0x7c010000
	s_and_saveexec_b64 s[16:17], vcc
	s_cbranch_execz .LBB271_616
; %bb.615:                              ;   in Loop: Header=BB271_606 Depth=1
	v_and_b32_e32 v4, 7, v1
	v_ffbh_u32_e32 v15, v4
	v_min_u32_e32 v17, 32, v15
	v_subrev_u32_e32 v15, 28, v17
	v_lshlrev_b64 v[15:16], v15, v[1:2]
	v_lshrrev_b32_e32 v11, 3, v3
	v_sub_u32_e32 v16, 29, v17
	v_cmp_gt_u32_e32 vcc, 8, v3
	v_cndmask_b32_e32 v3, v11, v16, vcc
	v_lshlrev_b32_e32 v1, 8, v1
	v_lshl_add_u32 v3, v3, 10, v14
	v_and_b32_e32 v11, 7, v15
	v_and_or_b32 v1, v1, s26, v3
	v_cndmask_b32_e32 v4, v4, v11, vcc
	v_lshlrev_b32_e32 v1, 16, v1
	v_lshl_or_b32 v34, v4, 23, v1
.LBB271_616:                            ;   in Loop: Header=BB271_606 Depth=1
	s_or_b64 exec, exec, s[16:17]
.LBB271_617:                            ;   in Loop: Header=BB271_606 Depth=1
	s_or_b64 exec, exec, s[12:13]
.LBB271_618:                            ;   in Loop: Header=BB271_606 Depth=1
	s_or_b64 exec, exec, s[0:1]
	v_lshrrev_b32_e32 v1, 16, v9
	v_cmp_ne_u16_sdwa s[12:13], v1, v2 src0_sel:BYTE_0 src1_sel:DWORD
	s_and_saveexec_b64 s[0:1], s[12:13]
	s_cbranch_execz .LBB271_624
; %bb.619:                              ;   in Loop: Header=BB271_606 Depth=1
	v_cmp_ne_u16_sdwa s[16:17], v1, s24 src0_sel:BYTE_0 src1_sel:DWORD
	v_mov_b32_e32 v35, 0x8000
	s_and_saveexec_b64 s[12:13], s[16:17]
	s_cbranch_execz .LBB271_623
; %bb.620:                              ;   in Loop: Header=BB271_606 Depth=1
	v_bfe_u32 v3, v9, 16, 7
	v_cmp_ne_u32_e32 vcc, s25, v3
	v_mov_b32_e32 v35, 0x7c01
	s_and_saveexec_b64 s[16:17], vcc
	s_cbranch_execz .LBB271_622
; %bb.621:                              ;   in Loop: Header=BB271_606 Depth=1
	v_and_b32_e32 v4, 7, v1
	v_ffbh_u32_e32 v15, v4
	v_min_u32_e32 v17, 32, v15
	v_subrev_u32_e32 v15, 28, v17
	v_lshlrev_b64 v[15:16], v15, v[1:2]
	v_lshrrev_b32_e32 v11, 3, v3
	v_sub_u32_e32 v16, 29, v17
	v_cmp_gt_u32_e32 vcc, 8, v3
	v_cndmask_b32_e32 v3, v11, v16, vcc
	v_lshl_add_u32 v3, v3, 10, v14
	v_lshlrev_b32_e32 v1, 8, v1
	v_and_b32_e32 v11, 7, v15
	v_and_b32_e32 v3, 0xfc00, v3
	v_cndmask_b32_e32 v4, v4, v11, vcc
	v_and_or_b32 v1, v1, s26, v3
	v_lshl_or_b32 v35, v4, 7, v1
.LBB271_622:                            ;   in Loop: Header=BB271_606 Depth=1
	s_or_b64 exec, exec, s[16:17]
.LBB271_623:                            ;   in Loop: Header=BB271_606 Depth=1
	s_or_b64 exec, exec, s[12:13]
.LBB271_624:                            ;   in Loop: Header=BB271_606 Depth=1
	s_or_b64 exec, exec, s[0:1]
	v_cmp_lt_u32_e32 vcc, s5, v9
	v_mov_b32_e32 v15, 0
	v_mov_b32_e32 v39, 0
	s_and_saveexec_b64 s[0:1], vcc
	s_cbranch_execz .LBB271_630
; %bb.625:                              ;   in Loop: Header=BB271_606 Depth=1
	v_lshrrev_b32_e32 v1, 24, v9
	v_cmp_ne_u32_e32 vcc, s24, v1
	v_bfrev_b32_e32 v39, 1
	s_and_saveexec_b64 s[12:13], vcc
	s_cbranch_execz .LBB271_629
; %bb.626:                              ;   in Loop: Header=BB271_606 Depth=1
	v_and_b32_e32 v3, 0x7f, v1
	v_cmp_ne_u32_e32 vcc, s25, v3
	v_mov_b32_e32 v39, 0x7c010000
	s_and_saveexec_b64 s[16:17], vcc
	s_cbranch_execz .LBB271_628
; %bb.627:                              ;   in Loop: Header=BB271_606 Depth=1
	v_and_b32_e32 v4, 7, v1
	v_ffbh_u32_e32 v16, v4
	v_min_u32_e32 v31, 32, v16
	v_subrev_u32_e32 v16, 28, v31
	v_lshlrev_b64 v[16:17], v16, v[1:2]
	v_lshrrev_b32_e32 v11, 3, v3
	v_sub_u32_e32 v17, 29, v31
	v_cmp_gt_u32_e32 vcc, 8, v3
	v_cndmask_b32_e32 v3, v11, v17, vcc
	v_lshlrev_b32_e32 v1, 8, v1
	v_lshl_add_u32 v3, v3, 10, v14
	v_and_b32_e32 v11, 7, v16
	v_and_or_b32 v1, v1, s26, v3
	v_cndmask_b32_e32 v4, v4, v11, vcc
	v_lshlrev_b32_e32 v1, 16, v1
	v_lshl_or_b32 v39, v4, 23, v1
.LBB271_628:                            ;   in Loop: Header=BB271_606 Depth=1
	s_or_b64 exec, exec, s[16:17]
.LBB271_629:                            ;   in Loop: Header=BB271_606 Depth=1
	s_or_b64 exec, exec, s[12:13]
.LBB271_630:                            ;   in Loop: Header=BB271_606 Depth=1
	s_or_b64 exec, exec, s[0:1]
	v_mov_b32_e32 v1, v10
	v_cmp_ne_u16_sdwa s[12:13], v10, v2 src0_sel:BYTE_0 src1_sel:DWORD
	s_and_saveexec_b64 s[0:1], s[12:13]
	s_cbranch_execz .LBB271_636
; %bb.631:                              ;   in Loop: Header=BB271_606 Depth=1
	v_cmp_ne_u16_sdwa s[16:17], v10, s24 src0_sel:BYTE_0 src1_sel:DWORD
	v_mov_b32_e32 v15, 0x8000
	s_and_saveexec_b64 s[12:13], s[16:17]
	s_cbranch_execz .LBB271_635
; %bb.632:                              ;   in Loop: Header=BB271_606 Depth=1
	v_and_b32_e32 v3, 0x7f, v10
	v_cmp_ne_u32_e32 vcc, s25, v3
	v_mov_b32_e32 v15, 0x7c01
	s_and_saveexec_b64 s[16:17], vcc
	s_cbranch_execz .LBB271_634
; %bb.633:                              ;   in Loop: Header=BB271_606 Depth=1
	v_and_b32_e32 v4, 7, v10
	v_ffbh_u32_e32 v15, v4
	v_min_u32_e32 v17, 32, v15
	v_subrev_u32_e32 v15, 28, v17
	v_lshlrev_b64 v[15:16], v15, v[1:2]
	v_lshrrev_b32_e32 v11, 3, v3
	v_sub_u32_e32 v16, 29, v17
	v_cmp_gt_u32_e32 vcc, 8, v3
	v_cndmask_b32_e32 v3, v11, v16, vcc
	v_lshl_add_u32 v3, v3, 10, v14
	v_lshlrev_b32_e32 v11, 8, v10
	v_and_b32_e32 v15, 7, v15
	v_and_b32_e32 v3, 0xfc00, v3
	v_cndmask_b32_e32 v4, v4, v15, vcc
	v_and_or_b32 v3, v11, s26, v3
	v_lshl_or_b32 v15, v4, 7, v3
.LBB271_634:                            ;   in Loop: Header=BB271_606 Depth=1
	s_or_b64 exec, exec, s[16:17]
.LBB271_635:                            ;   in Loop: Header=BB271_606 Depth=1
	s_or_b64 exec, exec, s[12:13]
.LBB271_636:                            ;   in Loop: Header=BB271_606 Depth=1
	s_or_b64 exec, exec, s[0:1]
	v_lshrrev_b16_e32 v1, 8, v1
	v_cmp_ne_u16_e32 vcc, 0, v1
	v_mov_b32_e32 v11, 0
	v_mov_b32_e32 v16, 0
	s_and_saveexec_b64 s[0:1], vcc
	s_cbranch_execz .LBB271_642
; %bb.637:                              ;   in Loop: Header=BB271_606 Depth=1
	v_cmp_ne_u16_e32 vcc, s24, v1
	v_bfrev_b32_e32 v16, 1
	s_and_saveexec_b64 s[12:13], vcc
	s_cbranch_execz .LBB271_641
; %bb.638:                              ;   in Loop: Header=BB271_606 Depth=1
	v_and_b32_e32 v3, 0x7f, v1
	v_cmp_ne_u32_e32 vcc, s25, v3
	v_mov_b32_e32 v16, 0x7c010000
	s_and_saveexec_b64 s[16:17], vcc
	s_cbranch_execz .LBB271_640
; %bb.639:                              ;   in Loop: Header=BB271_606 Depth=1
	v_and_b32_e32 v4, 7, v1
	v_ffbh_u32_e32 v16, v4
	v_min_u32_e32 v40, 32, v16
	v_subrev_u32_e32 v16, 28, v40
	v_lshlrev_b64 v[16:17], v16, v[1:2]
	v_lshrrev_b32_e32 v31, 3, v3
	v_sub_u32_e32 v17, 29, v40
	v_cmp_gt_u32_e32 vcc, 8, v3
	v_cndmask_b32_e32 v3, v31, v17, vcc
	v_lshlrev_b32_e32 v1, 8, v1
	v_lshl_add_u32 v3, v3, 10, v14
	v_and_b32_e32 v16, 7, v16
	v_and_or_b32 v1, v1, s26, v3
	v_cndmask_b32_e32 v4, v4, v16, vcc
	v_lshlrev_b32_e32 v1, 16, v1
	v_lshl_or_b32 v16, v4, 23, v1
.LBB271_640:                            ;   in Loop: Header=BB271_606 Depth=1
	s_or_b64 exec, exec, s[16:17]
.LBB271_641:                            ;   in Loop: Header=BB271_606 Depth=1
	s_or_b64 exec, exec, s[12:13]
.LBB271_642:                            ;   in Loop: Header=BB271_606 Depth=1
	s_or_b64 exec, exec, s[0:1]
	v_lshrrev_b32_e32 v1, 16, v10
	v_cmp_ne_u16_sdwa s[12:13], v1, v2 src0_sel:BYTE_0 src1_sel:DWORD
	s_and_saveexec_b64 s[0:1], s[12:13]
	s_cbranch_execz .LBB271_648
; %bb.643:                              ;   in Loop: Header=BB271_606 Depth=1
	v_cmp_ne_u16_sdwa s[16:17], v1, s24 src0_sel:BYTE_0 src1_sel:DWORD
	v_mov_b32_e32 v11, 0x8000
	s_and_saveexec_b64 s[12:13], s[16:17]
	s_cbranch_execz .LBB271_647
; %bb.644:                              ;   in Loop: Header=BB271_606 Depth=1
	v_bfe_u32 v3, v10, 16, 7
	v_cmp_ne_u32_e32 vcc, s25, v3
	v_mov_b32_e32 v11, 0x7c01
	s_and_saveexec_b64 s[16:17], vcc
	s_cbranch_execz .LBB271_646
; %bb.645:                              ;   in Loop: Header=BB271_606 Depth=1
	v_and_b32_e32 v4, 7, v1
	v_ffbh_u32_e32 v17, v4
	v_min_u32_e32 v17, 32, v17
	v_lshrrev_b32_e32 v11, 3, v3
	v_subrev_u32_e32 v31, 28, v17
	v_sub_u32_e32 v17, 29, v17
	v_cmp_gt_u32_e32 vcc, 8, v3
	v_lshlrev_b64 v[40:41], v31, v[1:2]
	v_cndmask_b32_e32 v3, v11, v17, vcc
	v_lshl_add_u32 v3, v3, 10, v14
	v_lshlrev_b32_e32 v1, 8, v1
	v_and_b32_e32 v11, 7, v40
	v_and_b32_e32 v3, 0xfc00, v3
	v_cndmask_b32_e32 v4, v4, v11, vcc
	v_and_or_b32 v1, v1, s26, v3
	v_lshl_or_b32 v11, v4, 7, v1
.LBB271_646:                            ;   in Loop: Header=BB271_606 Depth=1
	s_or_b64 exec, exec, s[16:17]
.LBB271_647:                            ;   in Loop: Header=BB271_606 Depth=1
	s_or_b64 exec, exec, s[12:13]
.LBB271_648:                            ;   in Loop: Header=BB271_606 Depth=1
	s_or_b64 exec, exec, s[0:1]
	v_cmp_lt_u64_e32 vcc, s[4:5], v[9:10]
	v_mov_b32_e32 v17, 0
	s_and_saveexec_b64 s[0:1], vcc
	s_cbranch_execz .LBB271_654
; %bb.649:                              ;   in Loop: Header=BB271_606 Depth=1
	v_lshrrev_b32_e32 v1, 24, v10
	v_cmp_ne_u32_e32 vcc, s24, v1
	v_bfrev_b32_e32 v17, 1
	s_and_saveexec_b64 s[12:13], vcc
	s_cbranch_execz .LBB271_653
; %bb.650:                              ;   in Loop: Header=BB271_606 Depth=1
	v_and_b32_e32 v3, 0x7f, v1
	v_cmp_ne_u32_e32 vcc, s25, v3
	v_mov_b32_e32 v17, 0x7c010000
	s_and_saveexec_b64 s[16:17], vcc
	s_cbranch_execz .LBB271_652
; %bb.651:                              ;   in Loop: Header=BB271_606 Depth=1
	v_and_b32_e32 v4, 7, v1
	v_ffbh_u32_e32 v9, v4
	v_min_u32_e32 v31, 32, v9
	v_subrev_u32_e32 v9, 28, v31
	v_lshlrev_b64 v[9:10], v9, v[1:2]
	v_lshrrev_b32_e32 v17, 3, v3
	v_sub_u32_e32 v10, 29, v31
	v_cmp_gt_u32_e32 vcc, 8, v3
	v_cndmask_b32_e32 v3, v17, v10, vcc
	v_lshlrev_b32_e32 v1, 8, v1
	v_lshl_add_u32 v3, v3, 10, v14
	v_and_b32_e32 v9, 7, v9
	v_and_or_b32 v1, v1, s26, v3
	v_cndmask_b32_e32 v4, v4, v9, vcc
	v_lshlrev_b32_e32 v1, 16, v1
	v_lshl_or_b32 v17, v4, 23, v1
.LBB271_652:                            ;   in Loop: Header=BB271_606 Depth=1
	s_or_b64 exec, exec, s[16:17]
.LBB271_653:                            ;   in Loop: Header=BB271_606 Depth=1
	s_or_b64 exec, exec, s[12:13]
.LBB271_654:                            ;   in Loop: Header=BB271_606 Depth=1
	s_or_b64 exec, exec, s[0:1]
	buffer_load_dword v1, off, s[48:51], 0 offset:12 ; 4-byte Folded Reload
	s_waitcnt vmcnt(1)
	v_fma_mixlo_f16 v3, v32, v39, 0 op_sel:[0,1,0] op_sel_hi:[0,1,0]
	v_lshlrev_b32_e32 v4, 16, v3
	v_or_b32_e32 v3, v34, v33
	v_fma_mixlo_f16 v3, v32, v3, 0 op_sel_hi:[0,1,0]
	v_and_b32_e32 v46, 0xffff, v3
	v_or_b32_e32 v3, v16, v15
	v_or_b32_e32 v11, v17, v11
	v_fma_mixlo_f16 v9, v32, v34, 0 op_sel:[0,1,0] op_sel_hi:[0,1,0]
	v_fma_mixlo_f16 v15, v32, v16, 0 op_sel:[0,1,0] op_sel_hi:[0,1,0]
	v_fma_mixlo_f16 v3, v32, v3, 0 op_sel_hi:[0,1,0]
	v_fma_mixlo_f16 v11, v32, v11, 0 op_sel_hi:[0,1,0]
	v_fma_mixlo_f16 v16, v32, v17, 0 op_sel:[0,1,0] op_sel_hi:[0,1,0]
	v_lshlrev_b32_e32 v15, 16, v15
	v_and_b32_e32 v45, 0xffff, v3
	v_lshlrev_b32_e32 v16, 16, v16
	v_and_b32_e32 v17, 0xffff, v11
	v_add_u32_e32 v31, -7, v13
	v_or_b32_e32 v3, v15, v45
	v_or_b32_e32 v11, v16, v17
	v_add_u32_e32 v41, -6, v13
	v_add_u32_e32 v40, -5, v13
	;; [unrolled: 1-line block ×4, first 2 shown]
	s_waitcnt vmcnt(0)
	v_cmp_eq_u32_e64 s[0:1], s28, v1
	v_or_b32_e32 v1, v39, v35
	v_fma_mixlo_f16 v1, v32, v1, 0 op_sel_hi:[0,1,0]
	v_and_b32_e32 v10, 0xffff, v1
	v_lshlrev_b32_e32 v35, 16, v9
	v_or_b32_e32 v1, v4, v10
	v_or_b32_e32 v9, v35, v46
	v_add_u32_e32 v39, -4, v13
	v_add_u32_e32 v32, -1, v13
	s_and_saveexec_b64 s[12:13], s[0:1]
	s_cbranch_execz .LBB271_656
; %bb.655:                              ;   in Loop: Header=BB271_606 Depth=1
	v_cmp_gt_i32_e32 vcc, s30, v31
	v_cndmask_b32_e32 v1, 0, v46, vcc
	v_cmp_gt_i32_e32 vcc, s30, v41
	v_cndmask_b32_e32 v3, 0, v35, vcc
	v_cmp_gt_i32_e32 vcc, s30, v40
	v_or_b32_e32 v9, v3, v1
	v_cndmask_b32_e32 v1, 0, v10, vcc
	v_cmp_gt_i32_e32 vcc, s30, v39
	v_cndmask_b32_e32 v3, 0, v4, vcc
	v_cmp_gt_i32_e32 vcc, s30, v34
	v_or_b32_e32 v1, v3, v1
	;; [unrolled: 5-line block ×3, first 2 shown]
	v_cndmask_b32_e32 v4, 0, v17, vcc
	v_cmp_gt_i32_e32 vcc, s30, v13
	v_cndmask_b32_e32 v10, 0, v16, vcc
	v_or_b32_e32 v11, v10, v4
.LBB271_656:                            ;   in Loop: Header=BB271_606 Depth=1
	s_or_b64 exec, exec, s[12:13]
	v_and_b32_e32 v0, 0xffff, v0
	v_lshl_or_b32 v35, v12, 16, v0
	v_and_b32_e32 v0, 0xffff, v36
	v_lshl_or_b32 v36, v37, 16, v0
	;; [unrolled: 2-line block ×4, first 2 shown]
	;;#ASMSTART
	v_pk_mul_f16 v0, v35, v9;

	;;#ASMEND
	;;#ASMSTART
	v_pk_mul_f16 v1, v36, v1;

	;;#ASMEND
	;; [unrolled: 4-line block ×4, first 2 shown]
	;;#ASMSTART
	v_pk_add_f16 v0, v0, v1;

	;;#ASMEND
	;;#ASMSTART
	v_pk_add_f16 v0, v0, v3;

	;;#ASMEND
	;; [unrolled: 4-line block ×3, first 2 shown]
	v_lshrrev_b32_e32 v1, 16, v0
	v_and_b32_e32 v0, 0xffff, v0
	;;#ASMSTART
	v_cvt_f32_f16 v43, v0;
	;;#ASMEND
	;;#ASMSTART
	v_cvt_f32_f16 v0, v1;
	;;#ASMEND
	global_load_dwordx2 v[9:10], v[7:8], off offset:512
	v_mov_b32_e32 v12, 0
	buffer_store_dword v0, off, s[48:51], 0 ; 4-byte Folded Spill
	global_load_dword v0, v12, s[14:15]
	v_mov_b32_e32 v44, 0
	s_waitcnt vmcnt(2)
	v_cmp_ne_u16_sdwa s[16:17], v9, v2 src0_sel:BYTE_0 src1_sel:DWORD
	s_and_saveexec_b64 s[12:13], s[16:17]
	s_cbranch_execz .LBB271_662
; %bb.657:                              ;   in Loop: Header=BB271_606 Depth=1
	v_cmp_ne_u16_sdwa s[18:19], v9, s24 src0_sel:BYTE_0 src1_sel:DWORD
	v_mov_b32_e32 v44, 0x8000
	s_and_saveexec_b64 s[16:17], s[18:19]
	s_cbranch_execz .LBB271_661
; %bb.658:                              ;   in Loop: Header=BB271_606 Depth=1
	v_and_b32_e32 v1, 0x7f, v9
	v_cmp_ne_u32_e32 vcc, s25, v1
	v_mov_b32_e32 v44, 0x7c01
	s_and_saveexec_b64 s[18:19], vcc
	s_cbranch_execz .LBB271_660
; %bb.659:                              ;   in Loop: Header=BB271_606 Depth=1
	v_and_b32_e32 v11, 7, v9
	v_ffbh_u32_e32 v3, v11
	v_min_u32_e32 v16, 32, v3
	v_subrev_u32_e32 v3, 28, v16
	v_lshlrev_b64 v[3:4], v3, v[9:10]
	v_lshrrev_b32_e32 v15, 3, v1
	v_sub_u32_e32 v4, 29, v16
	v_cmp_gt_u32_e32 vcc, 8, v1
	v_cndmask_b32_e32 v1, v15, v4, vcc
	v_lshl_add_u32 v1, v1, 10, v14
	v_lshlrev_b32_e32 v4, 8, v9
	v_and_b32_e32 v3, 7, v3
	v_and_b32_e32 v1, 0xfc00, v1
	v_cndmask_b32_e32 v3, v11, v3, vcc
	v_and_or_b32 v1, v4, s26, v1
	v_lshl_or_b32 v44, v3, 7, v1
.LBB271_660:                            ;   in Loop: Header=BB271_606 Depth=1
	s_or_b64 exec, exec, s[18:19]
.LBB271_661:                            ;   in Loop: Header=BB271_606 Depth=1
	s_or_b64 exec, exec, s[16:17]
.LBB271_662:                            ;   in Loop: Header=BB271_606 Depth=1
	s_or_b64 exec, exec, s[12:13]
	v_lshrrev_b16_e32 v1, 8, v9
	v_cmp_ne_u16_e32 vcc, 0, v1
	s_and_saveexec_b64 s[12:13], vcc
	s_cbranch_execz .LBB271_668
; %bb.663:                              ;   in Loop: Header=BB271_606 Depth=1
	v_cmp_ne_u16_e32 vcc, s24, v1
	v_bfrev_b32_e32 v12, 1
	s_and_saveexec_b64 s[16:17], vcc
	s_cbranch_execz .LBB271_667
; %bb.664:                              ;   in Loop: Header=BB271_606 Depth=1
	v_and_b32_e32 v3, 0x7f, v1
	v_cmp_ne_u32_e32 vcc, s25, v3
	v_mov_b32_e32 v12, 0x7c010000
	s_and_saveexec_b64 s[18:19], vcc
	s_cbranch_execz .LBB271_666
; %bb.665:                              ;   in Loop: Header=BB271_606 Depth=1
	v_and_b32_e32 v4, 7, v1
	v_ffbh_u32_e32 v11, v4
	v_min_u32_e32 v16, 32, v11
	v_subrev_u32_e32 v11, 28, v16
	v_lshlrev_b64 v[11:12], v11, v[1:2]
	v_lshrrev_b32_e32 v15, 3, v3
	v_sub_u32_e32 v12, 29, v16
	v_cmp_gt_u32_e32 vcc, 8, v3
	v_cndmask_b32_e32 v3, v15, v12, vcc
	v_lshlrev_b32_e32 v1, 8, v1
	v_lshl_add_u32 v3, v3, 10, v14
	v_and_b32_e32 v11, 7, v11
	v_and_or_b32 v1, v1, s26, v3
	v_cndmask_b32_e32 v4, v4, v11, vcc
	v_lshlrev_b32_e32 v1, 16, v1
	v_lshl_or_b32 v12, v4, 23, v1
.LBB271_666:                            ;   in Loop: Header=BB271_606 Depth=1
	s_or_b64 exec, exec, s[18:19]
.LBB271_667:                            ;   in Loop: Header=BB271_606 Depth=1
	s_or_b64 exec, exec, s[16:17]
.LBB271_668:                            ;   in Loop: Header=BB271_606 Depth=1
	s_or_b64 exec, exec, s[12:13]
	v_lshrrev_b32_e32 v1, 16, v9
	v_cmp_ne_u16_sdwa s[16:17], v1, v2 src0_sel:BYTE_0 src1_sel:DWORD
	v_mov_b32_e32 v15, 0
	v_mov_b32_e32 v45, 0
	s_and_saveexec_b64 s[12:13], s[16:17]
	s_cbranch_execz .LBB271_674
; %bb.669:                              ;   in Loop: Header=BB271_606 Depth=1
	v_cmp_ne_u16_sdwa s[18:19], v1, s24 src0_sel:BYTE_0 src1_sel:DWORD
	v_mov_b32_e32 v45, 0x8000
	s_and_saveexec_b64 s[16:17], s[18:19]
	s_cbranch_execz .LBB271_673
; %bb.670:                              ;   in Loop: Header=BB271_606 Depth=1
	v_bfe_u32 v3, v9, 16, 7
	v_cmp_ne_u32_e32 vcc, s25, v3
	v_mov_b32_e32 v45, 0x7c01
	s_and_saveexec_b64 s[18:19], vcc
	s_cbranch_execz .LBB271_672
; %bb.671:                              ;   in Loop: Header=BB271_606 Depth=1
	v_and_b32_e32 v4, 7, v1
	v_ffbh_u32_e32 v16, v4
	v_min_u32_e32 v45, 32, v16
	v_subrev_u32_e32 v16, 28, v45
	v_lshlrev_b64 v[16:17], v16, v[1:2]
	v_lshrrev_b32_e32 v11, 3, v3
	v_sub_u32_e32 v17, 29, v45
	v_cmp_gt_u32_e32 vcc, 8, v3
	v_cndmask_b32_e32 v3, v11, v17, vcc
	v_lshl_add_u32 v3, v3, 10, v14
	v_lshlrev_b32_e32 v1, 8, v1
	v_and_b32_e32 v11, 7, v16
	v_and_b32_e32 v3, 0xfc00, v3
	v_cndmask_b32_e32 v4, v4, v11, vcc
	v_and_or_b32 v1, v1, s26, v3
	v_lshl_or_b32 v45, v4, 7, v1
.LBB271_672:                            ;   in Loop: Header=BB271_606 Depth=1
	s_or_b64 exec, exec, s[18:19]
.LBB271_673:                            ;   in Loop: Header=BB271_606 Depth=1
	s_or_b64 exec, exec, s[16:17]
.LBB271_674:                            ;   in Loop: Header=BB271_606 Depth=1
	s_or_b64 exec, exec, s[12:13]
	v_cmp_lt_u32_e32 vcc, s5, v9
	s_and_saveexec_b64 s[12:13], vcc
	s_cbranch_execz .LBB271_680
; %bb.675:                              ;   in Loop: Header=BB271_606 Depth=1
	v_lshrrev_b32_e32 v1, 24, v9
	v_cmp_ne_u32_e32 vcc, s24, v1
	v_bfrev_b32_e32 v15, 1
	s_and_saveexec_b64 s[16:17], vcc
	s_cbranch_execz .LBB271_679
; %bb.676:                              ;   in Loop: Header=BB271_606 Depth=1
	v_and_b32_e32 v3, 0x7f, v1
	v_cmp_ne_u32_e32 vcc, s25, v3
	v_mov_b32_e32 v15, 0x7c010000
	s_and_saveexec_b64 s[18:19], vcc
	s_cbranch_execz .LBB271_678
; %bb.677:                              ;   in Loop: Header=BB271_606 Depth=1
	v_and_b32_e32 v4, 7, v1
	v_ffbh_u32_e32 v15, v4
	v_min_u32_e32 v17, 32, v15
	v_subrev_u32_e32 v15, 28, v17
	v_lshlrev_b64 v[15:16], v15, v[1:2]
	v_lshrrev_b32_e32 v11, 3, v3
	v_sub_u32_e32 v16, 29, v17
	v_cmp_gt_u32_e32 vcc, 8, v3
	v_cndmask_b32_e32 v3, v11, v16, vcc
	v_lshlrev_b32_e32 v1, 8, v1
	v_lshl_add_u32 v3, v3, 10, v14
	v_and_b32_e32 v11, 7, v15
	v_and_or_b32 v1, v1, s26, v3
	v_cndmask_b32_e32 v4, v4, v11, vcc
	v_lshlrev_b32_e32 v1, 16, v1
	v_lshl_or_b32 v15, v4, 23, v1
.LBB271_678:                            ;   in Loop: Header=BB271_606 Depth=1
	s_or_b64 exec, exec, s[18:19]
.LBB271_679:                            ;   in Loop: Header=BB271_606 Depth=1
	s_or_b64 exec, exec, s[16:17]
.LBB271_680:                            ;   in Loop: Header=BB271_606 Depth=1
	s_or_b64 exec, exec, s[12:13]
	v_mov_b32_e32 v1, v10
	v_cmp_ne_u16_sdwa s[16:17], v10, v2 src0_sel:BYTE_0 src1_sel:DWORD
	v_mov_b32_e32 v11, 0
	v_mov_b32_e32 v16, 0
	s_and_saveexec_b64 s[12:13], s[16:17]
	s_cbranch_execz .LBB271_686
; %bb.681:                              ;   in Loop: Header=BB271_606 Depth=1
	v_cmp_ne_u16_sdwa s[18:19], v10, s24 src0_sel:BYTE_0 src1_sel:DWORD
	v_mov_b32_e32 v16, 0x8000
	s_and_saveexec_b64 s[16:17], s[18:19]
	s_cbranch_execz .LBB271_685
; %bb.682:                              ;   in Loop: Header=BB271_606 Depth=1
	v_and_b32_e32 v3, 0x7f, v10
	v_cmp_ne_u32_e32 vcc, s25, v3
	v_mov_b32_e32 v16, 0x7c01
	s_and_saveexec_b64 s[18:19], vcc
	s_cbranch_execz .LBB271_684
; %bb.683:                              ;   in Loop: Header=BB271_606 Depth=1
	v_and_b32_e32 v4, 7, v10
	v_ffbh_u32_e32 v16, v4
	v_min_u32_e32 v47, 32, v16
	v_subrev_u32_e32 v16, 28, v47
	v_lshlrev_b64 v[16:17], v16, v[1:2]
	v_lshrrev_b32_e32 v46, 3, v3
	v_sub_u32_e32 v17, 29, v47
	v_cmp_gt_u32_e32 vcc, 8, v3
	v_cndmask_b32_e32 v3, v46, v17, vcc
	v_lshl_add_u32 v3, v3, 10, v14
	v_lshlrev_b32_e32 v17, 8, v10
	v_and_b32_e32 v16, 7, v16
	v_and_b32_e32 v3, 0xfc00, v3
	v_cndmask_b32_e32 v4, v4, v16, vcc
	v_and_or_b32 v3, v17, s26, v3
	v_lshl_or_b32 v16, v4, 7, v3
.LBB271_684:                            ;   in Loop: Header=BB271_606 Depth=1
	s_or_b64 exec, exec, s[18:19]
.LBB271_685:                            ;   in Loop: Header=BB271_606 Depth=1
	s_or_b64 exec, exec, s[16:17]
.LBB271_686:                            ;   in Loop: Header=BB271_606 Depth=1
	s_or_b64 exec, exec, s[12:13]
	v_lshrrev_b16_e32 v1, 8, v1
	v_cmp_ne_u16_e32 vcc, 0, v1
	v_mov_b32_e32 v17, 0
	s_and_saveexec_b64 s[12:13], vcc
	s_cbranch_execz .LBB271_692
; %bb.687:                              ;   in Loop: Header=BB271_606 Depth=1
	v_cmp_ne_u16_e32 vcc, s24, v1
	v_bfrev_b32_e32 v17, 1
	s_and_saveexec_b64 s[16:17], vcc
	s_cbranch_execz .LBB271_691
; %bb.688:                              ;   in Loop: Header=BB271_606 Depth=1
	v_and_b32_e32 v3, 0x7f, v1
	v_cmp_ne_u32_e32 vcc, s25, v3
	v_mov_b32_e32 v17, 0x7c010000
	s_and_saveexec_b64 s[18:19], vcc
	s_cbranch_execz .LBB271_690
; %bb.689:                              ;   in Loop: Header=BB271_606 Depth=1
	v_and_b32_e32 v4, 7, v1
	v_ffbh_u32_e32 v46, v4
	v_min_u32_e32 v48, 32, v46
	v_subrev_u32_e32 v46, 28, v48
	v_lshlrev_b64 v[46:47], v46, v[1:2]
	v_lshrrev_b32_e32 v17, 3, v3
	v_sub_u32_e32 v47, 29, v48
	v_cmp_gt_u32_e32 vcc, 8, v3
	v_cndmask_b32_e32 v3, v17, v47, vcc
	v_lshlrev_b32_e32 v1, 8, v1
	v_lshl_add_u32 v3, v3, 10, v14
	v_and_b32_e32 v17, 7, v46
	v_and_or_b32 v1, v1, s26, v3
	v_cndmask_b32_e32 v4, v4, v17, vcc
	v_lshlrev_b32_e32 v1, 16, v1
	v_lshl_or_b32 v17, v4, 23, v1
.LBB271_690:                            ;   in Loop: Header=BB271_606 Depth=1
	s_or_b64 exec, exec, s[18:19]
.LBB271_691:                            ;   in Loop: Header=BB271_606 Depth=1
	s_or_b64 exec, exec, s[16:17]
.LBB271_692:                            ;   in Loop: Header=BB271_606 Depth=1
	s_or_b64 exec, exec, s[12:13]
	v_lshrrev_b32_e32 v1, 16, v10
	v_cmp_ne_u16_sdwa s[16:17], v1, v2 src0_sel:BYTE_0 src1_sel:DWORD
	s_and_saveexec_b64 s[12:13], s[16:17]
	s_cbranch_execz .LBB271_698
; %bb.693:                              ;   in Loop: Header=BB271_606 Depth=1
	v_cmp_ne_u16_sdwa s[18:19], v1, s24 src0_sel:BYTE_0 src1_sel:DWORD
	v_mov_b32_e32 v11, 0x8000
	s_and_saveexec_b64 s[16:17], s[18:19]
	s_cbranch_execz .LBB271_697
; %bb.694:                              ;   in Loop: Header=BB271_606 Depth=1
	v_bfe_u32 v3, v10, 16, 7
	v_cmp_ne_u32_e32 vcc, s25, v3
	v_mov_b32_e32 v11, 0x7c01
	s_and_saveexec_b64 s[18:19], vcc
	s_cbranch_execz .LBB271_696
; %bb.695:                              ;   in Loop: Header=BB271_606 Depth=1
	v_and_b32_e32 v4, 7, v1
	v_ffbh_u32_e32 v46, v4
	v_min_u32_e32 v48, 32, v46
	v_subrev_u32_e32 v46, 28, v48
	v_lshlrev_b64 v[46:47], v46, v[1:2]
	v_lshrrev_b32_e32 v11, 3, v3
	v_sub_u32_e32 v47, 29, v48
	v_cmp_gt_u32_e32 vcc, 8, v3
	v_cndmask_b32_e32 v3, v11, v47, vcc
	v_lshl_add_u32 v3, v3, 10, v14
	v_lshlrev_b32_e32 v1, 8, v1
	v_and_b32_e32 v11, 7, v46
	v_and_b32_e32 v3, 0xfc00, v3
	v_cndmask_b32_e32 v4, v4, v11, vcc
	v_and_or_b32 v1, v1, s26, v3
	v_lshl_or_b32 v11, v4, 7, v1
.LBB271_696:                            ;   in Loop: Header=BB271_606 Depth=1
	s_or_b64 exec, exec, s[18:19]
.LBB271_697:                            ;   in Loop: Header=BB271_606 Depth=1
	s_or_b64 exec, exec, s[16:17]
.LBB271_698:                            ;   in Loop: Header=BB271_606 Depth=1
	s_or_b64 exec, exec, s[12:13]
	v_cmp_lt_u64_e32 vcc, s[4:5], v[9:10]
	v_mov_b32_e32 v9, 0
	s_and_saveexec_b64 s[12:13], vcc
	s_cbranch_execz .LBB271_704
; %bb.699:                              ;   in Loop: Header=BB271_606 Depth=1
	v_lshrrev_b32_e32 v1, 24, v10
	v_cmp_ne_u32_e32 vcc, s24, v1
	v_bfrev_b32_e32 v9, 1
	s_and_saveexec_b64 s[16:17], vcc
	s_cbranch_execz .LBB271_703
; %bb.700:                              ;   in Loop: Header=BB271_606 Depth=1
	v_and_b32_e32 v3, 0x7f, v1
	v_cmp_ne_u32_e32 vcc, s25, v3
	v_mov_b32_e32 v9, 0x7c010000
	s_and_saveexec_b64 s[18:19], vcc
	s_cbranch_execz .LBB271_702
; %bb.701:                              ;   in Loop: Header=BB271_606 Depth=1
	v_and_b32_e32 v4, 7, v1
	v_ffbh_u32_e32 v9, v4
	v_min_u32_e32 v47, 32, v9
	v_subrev_u32_e32 v9, 28, v47
	v_lshlrev_b64 v[9:10], v9, v[1:2]
	v_lshrrev_b32_e32 v46, 3, v3
	v_sub_u32_e32 v10, 29, v47
	v_cmp_gt_u32_e32 vcc, 8, v3
	v_cndmask_b32_e32 v3, v46, v10, vcc
	v_lshlrev_b32_e32 v1, 8, v1
	v_lshl_add_u32 v3, v3, 10, v14
	v_and_b32_e32 v9, 7, v9
	v_and_or_b32 v1, v1, s26, v3
	v_cndmask_b32_e32 v4, v4, v9, vcc
	v_lshlrev_b32_e32 v1, 16, v1
	v_lshl_or_b32 v9, v4, 23, v1
.LBB271_702:                            ;   in Loop: Header=BB271_606 Depth=1
	s_or_b64 exec, exec, s[18:19]
.LBB271_703:                            ;   in Loop: Header=BB271_606 Depth=1
	s_or_b64 exec, exec, s[16:17]
.LBB271_704:                            ;   in Loop: Header=BB271_606 Depth=1
	s_or_b64 exec, exec, s[12:13]
	s_waitcnt vmcnt(0)
	v_fma_mixlo_f16 v3, v0, v15, 0 op_sel:[0,1,0] op_sel_hi:[0,1,0]
	v_fma_mixlo_f16 v10, v0, v12, 0 op_sel:[0,1,0] op_sel_hi:[0,1,0]
	v_or_b32_e32 v1, v15, v45
	v_lshlrev_b32_e32 v4, 16, v3
	v_or_b32_e32 v3, v12, v44
	v_lshlrev_b32_e32 v44, 16, v10
	v_or_b32_e32 v10, v17, v16
	v_or_b32_e32 v11, v9, v11
	v_fma_mixlo_f16 v1, v0, v1, 0 op_sel_hi:[0,1,0]
	v_fma_mixlo_f16 v3, v0, v3, 0 op_sel_hi:[0,1,0]
	v_fma_mixlo_f16 v12, v0, v17, 0 op_sel:[0,1,0] op_sel_hi:[0,1,0]
	v_fma_mixlo_f16 v10, v0, v10, 0 op_sel_hi:[0,1,0]
	v_fma_mixlo_f16 v11, v0, v11, 0 op_sel_hi:[0,1,0]
	v_fma_mixlo_f16 v0, v0, v9, 0 op_sel:[0,1,0] op_sel_hi:[0,1,0]
	v_and_b32_e32 v15, 0xffff, v1
	v_and_b32_e32 v45, 0xffff, v3
	v_lshlrev_b32_e32 v12, 16, v12
	v_and_b32_e32 v16, 0xffff, v10
	v_lshlrev_b32_e32 v0, 16, v0
	v_and_b32_e32 v9, 0xffff, v11
	v_or_b32_e32 v1, v4, v15
	v_or_b32_e32 v3, v44, v45
	;; [unrolled: 1-line block ×4, first 2 shown]
	s_and_saveexec_b64 s[12:13], s[0:1]
	s_cbranch_execz .LBB271_706
; %bb.705:                              ;   in Loop: Header=BB271_606 Depth=1
	v_cmp_gt_i32_e32 vcc, s30, v31
	v_cndmask_b32_e32 v1, 0, v45, vcc
	v_cmp_gt_i32_e32 vcc, s30, v41
	v_cndmask_b32_e32 v3, 0, v44, vcc
	v_cmp_gt_i32_e32 vcc, s30, v40
	v_or_b32_e32 v3, v3, v1
	v_cndmask_b32_e32 v1, 0, v15, vcc
	v_cmp_gt_i32_e32 vcc, s30, v39
	v_cndmask_b32_e32 v4, 0, v4, vcc
	v_cmp_gt_i32_e32 vcc, s30, v34
	v_or_b32_e32 v1, v4, v1
	v_cndmask_b32_e32 v4, 0, v16, vcc
	v_cmp_gt_i32_e32 vcc, s30, v33
	v_cndmask_b32_e32 v10, 0, v12, vcc
	v_cmp_gt_i32_e32 vcc, s30, v32
	v_or_b32_e32 v10, v10, v4
	v_cndmask_b32_e32 v4, 0, v9, vcc
	v_cmp_gt_i32_e32 vcc, s30, v13
	v_cndmask_b32_e32 v0, 0, v0, vcc
	v_or_b32_e32 v11, v0, v4
.LBB271_706:                            ;   in Loop: Header=BB271_606 Depth=1
	s_or_b64 exec, exec, s[12:13]
	;;#ASMSTART
	v_pk_mul_f16 v0, v35, v3;

	;;#ASMEND
	;;#ASMSTART
	v_pk_mul_f16 v1, v36, v1;

	;;#ASMEND
	;; [unrolled: 4-line block ×4, first 2 shown]
	;;#ASMSTART
	v_pk_add_f16 v0, v0, v1;

	;;#ASMEND
	;;#ASMSTART
	v_pk_add_f16 v0, v0, v3;

	;;#ASMEND
	;; [unrolled: 4-line block ×3, first 2 shown]
	v_lshrrev_b32_e32 v1, 16, v0
	v_and_b32_e32 v0, 0xffff, v0
	;;#ASMSTART
	v_cvt_f32_f16 v44, v0;
	;;#ASMEND
	;;#ASMSTART
	v_cvt_f32_f16 v45, v1;
	;;#ASMEND
	global_load_dwordx2 v[9:10], v[7:8], off offset:1024
	v_mov_b32_e32 v12, 0
	global_load_dword v0, v12, s[14:15]
	v_mov_b32_e32 v46, 0
	s_waitcnt vmcnt(1)
	v_cmp_ne_u16_sdwa s[16:17], v9, v2 src0_sel:BYTE_0 src1_sel:DWORD
	s_and_saveexec_b64 s[12:13], s[16:17]
	s_cbranch_execz .LBB271_712
; %bb.707:                              ;   in Loop: Header=BB271_606 Depth=1
	v_cmp_ne_u16_sdwa s[18:19], v9, s24 src0_sel:BYTE_0 src1_sel:DWORD
	v_mov_b32_e32 v46, 0x8000
	s_and_saveexec_b64 s[16:17], s[18:19]
	s_cbranch_execz .LBB271_711
; %bb.708:                              ;   in Loop: Header=BB271_606 Depth=1
	v_and_b32_e32 v1, 0x7f, v9
	v_cmp_ne_u32_e32 vcc, s25, v1
	v_mov_b32_e32 v46, 0x7c01
	s_and_saveexec_b64 s[18:19], vcc
	s_cbranch_execz .LBB271_710
; %bb.709:                              ;   in Loop: Header=BB271_606 Depth=1
	v_and_b32_e32 v11, 7, v9
	v_ffbh_u32_e32 v3, v11
	v_min_u32_e32 v16, 32, v3
	v_subrev_u32_e32 v3, 28, v16
	v_lshlrev_b64 v[3:4], v3, v[9:10]
	v_lshrrev_b32_e32 v15, 3, v1
	v_sub_u32_e32 v4, 29, v16
	v_cmp_gt_u32_e32 vcc, 8, v1
	v_cndmask_b32_e32 v1, v15, v4, vcc
	v_lshl_add_u32 v1, v1, 10, v14
	v_lshlrev_b32_e32 v4, 8, v9
	v_and_b32_e32 v3, 7, v3
	v_and_b32_e32 v1, 0xfc00, v1
	v_cndmask_b32_e32 v3, v11, v3, vcc
	v_and_or_b32 v1, v4, s26, v1
	v_lshl_or_b32 v46, v3, 7, v1
.LBB271_710:                            ;   in Loop: Header=BB271_606 Depth=1
	s_or_b64 exec, exec, s[18:19]
.LBB271_711:                            ;   in Loop: Header=BB271_606 Depth=1
	s_or_b64 exec, exec, s[16:17]
.LBB271_712:                            ;   in Loop: Header=BB271_606 Depth=1
	s_or_b64 exec, exec, s[12:13]
	v_lshrrev_b16_e32 v1, 8, v9
	v_cmp_ne_u16_e32 vcc, 0, v1
	s_and_saveexec_b64 s[12:13], vcc
	s_cbranch_execz .LBB271_718
; %bb.713:                              ;   in Loop: Header=BB271_606 Depth=1
	v_cmp_ne_u16_e32 vcc, s24, v1
	v_bfrev_b32_e32 v12, 1
	s_and_saveexec_b64 s[16:17], vcc
	s_cbranch_execz .LBB271_717
; %bb.714:                              ;   in Loop: Header=BB271_606 Depth=1
	v_and_b32_e32 v3, 0x7f, v1
	v_cmp_ne_u32_e32 vcc, s25, v3
	v_mov_b32_e32 v12, 0x7c010000
	s_and_saveexec_b64 s[18:19], vcc
	s_cbranch_execz .LBB271_716
; %bb.715:                              ;   in Loop: Header=BB271_606 Depth=1
	v_and_b32_e32 v4, 7, v1
	v_ffbh_u32_e32 v11, v4
	v_min_u32_e32 v16, 32, v11
	v_subrev_u32_e32 v11, 28, v16
	v_lshlrev_b64 v[11:12], v11, v[1:2]
	v_lshrrev_b32_e32 v15, 3, v3
	v_sub_u32_e32 v12, 29, v16
	v_cmp_gt_u32_e32 vcc, 8, v3
	v_cndmask_b32_e32 v3, v15, v12, vcc
	v_lshlrev_b32_e32 v1, 8, v1
	v_lshl_add_u32 v3, v3, 10, v14
	v_and_b32_e32 v11, 7, v11
	v_and_or_b32 v1, v1, s26, v3
	v_cndmask_b32_e32 v4, v4, v11, vcc
	v_lshlrev_b32_e32 v1, 16, v1
	v_lshl_or_b32 v12, v4, 23, v1
.LBB271_716:                            ;   in Loop: Header=BB271_606 Depth=1
	s_or_b64 exec, exec, s[18:19]
.LBB271_717:                            ;   in Loop: Header=BB271_606 Depth=1
	s_or_b64 exec, exec, s[16:17]
.LBB271_718:                            ;   in Loop: Header=BB271_606 Depth=1
	s_or_b64 exec, exec, s[12:13]
	v_lshrrev_b32_e32 v1, 16, v9
	v_cmp_ne_u16_sdwa s[16:17], v1, v2 src0_sel:BYTE_0 src1_sel:DWORD
	v_mov_b32_e32 v15, 0
	v_mov_b32_e32 v47, 0
	s_and_saveexec_b64 s[12:13], s[16:17]
	s_cbranch_execz .LBB271_724
; %bb.719:                              ;   in Loop: Header=BB271_606 Depth=1
	v_cmp_ne_u16_sdwa s[18:19], v1, s24 src0_sel:BYTE_0 src1_sel:DWORD
	v_mov_b32_e32 v47, 0x8000
	s_and_saveexec_b64 s[16:17], s[18:19]
	s_cbranch_execz .LBB271_723
; %bb.720:                              ;   in Loop: Header=BB271_606 Depth=1
	v_bfe_u32 v3, v9, 16, 7
	v_cmp_ne_u32_e32 vcc, s25, v3
	v_mov_b32_e32 v47, 0x7c01
	s_and_saveexec_b64 s[18:19], vcc
	s_cbranch_execz .LBB271_722
; %bb.721:                              ;   in Loop: Header=BB271_606 Depth=1
	v_and_b32_e32 v4, 7, v1
	v_ffbh_u32_e32 v16, v4
	v_min_u32_e32 v47, 32, v16
	v_subrev_u32_e32 v16, 28, v47
	v_lshlrev_b64 v[16:17], v16, v[1:2]
	v_lshrrev_b32_e32 v11, 3, v3
	v_sub_u32_e32 v17, 29, v47
	v_cmp_gt_u32_e32 vcc, 8, v3
	v_cndmask_b32_e32 v3, v11, v17, vcc
	v_lshl_add_u32 v3, v3, 10, v14
	v_lshlrev_b32_e32 v1, 8, v1
	v_and_b32_e32 v11, 7, v16
	v_and_b32_e32 v3, 0xfc00, v3
	v_cndmask_b32_e32 v4, v4, v11, vcc
	v_and_or_b32 v1, v1, s26, v3
	v_lshl_or_b32 v47, v4, 7, v1
.LBB271_722:                            ;   in Loop: Header=BB271_606 Depth=1
	s_or_b64 exec, exec, s[18:19]
.LBB271_723:                            ;   in Loop: Header=BB271_606 Depth=1
	s_or_b64 exec, exec, s[16:17]
.LBB271_724:                            ;   in Loop: Header=BB271_606 Depth=1
	s_or_b64 exec, exec, s[12:13]
	v_cmp_lt_u32_e32 vcc, s5, v9
	s_and_saveexec_b64 s[12:13], vcc
	s_cbranch_execz .LBB271_730
; %bb.725:                              ;   in Loop: Header=BB271_606 Depth=1
	v_lshrrev_b32_e32 v1, 24, v9
	v_cmp_ne_u32_e32 vcc, s24, v1
	v_bfrev_b32_e32 v15, 1
	s_and_saveexec_b64 s[16:17], vcc
	s_cbranch_execz .LBB271_729
; %bb.726:                              ;   in Loop: Header=BB271_606 Depth=1
	v_and_b32_e32 v3, 0x7f, v1
	v_cmp_ne_u32_e32 vcc, s25, v3
	v_mov_b32_e32 v15, 0x7c010000
	s_and_saveexec_b64 s[18:19], vcc
	s_cbranch_execz .LBB271_728
; %bb.727:                              ;   in Loop: Header=BB271_606 Depth=1
	v_and_b32_e32 v4, 7, v1
	v_ffbh_u32_e32 v15, v4
	v_min_u32_e32 v17, 32, v15
	v_subrev_u32_e32 v15, 28, v17
	v_lshlrev_b64 v[15:16], v15, v[1:2]
	v_lshrrev_b32_e32 v11, 3, v3
	v_sub_u32_e32 v16, 29, v17
	v_cmp_gt_u32_e32 vcc, 8, v3
	v_cndmask_b32_e32 v3, v11, v16, vcc
	v_lshlrev_b32_e32 v1, 8, v1
	v_lshl_add_u32 v3, v3, 10, v14
	v_and_b32_e32 v11, 7, v15
	v_and_or_b32 v1, v1, s26, v3
	v_cndmask_b32_e32 v4, v4, v11, vcc
	v_lshlrev_b32_e32 v1, 16, v1
	v_lshl_or_b32 v15, v4, 23, v1
.LBB271_728:                            ;   in Loop: Header=BB271_606 Depth=1
	s_or_b64 exec, exec, s[18:19]
.LBB271_729:                            ;   in Loop: Header=BB271_606 Depth=1
	s_or_b64 exec, exec, s[16:17]
.LBB271_730:                            ;   in Loop: Header=BB271_606 Depth=1
	s_or_b64 exec, exec, s[12:13]
	v_mov_b32_e32 v1, v10
	v_cmp_ne_u16_sdwa s[16:17], v10, v2 src0_sel:BYTE_0 src1_sel:DWORD
	v_mov_b32_e32 v11, 0
	v_mov_b32_e32 v16, 0
	s_and_saveexec_b64 s[12:13], s[16:17]
	s_cbranch_execz .LBB271_736
; %bb.731:                              ;   in Loop: Header=BB271_606 Depth=1
	v_cmp_ne_u16_sdwa s[18:19], v10, s24 src0_sel:BYTE_0 src1_sel:DWORD
	v_mov_b32_e32 v16, 0x8000
	s_and_saveexec_b64 s[16:17], s[18:19]
	s_cbranch_execz .LBB271_735
; %bb.732:                              ;   in Loop: Header=BB271_606 Depth=1
	v_and_b32_e32 v3, 0x7f, v10
	v_cmp_ne_u32_e32 vcc, s25, v3
	v_mov_b32_e32 v16, 0x7c01
	s_and_saveexec_b64 s[18:19], vcc
	s_cbranch_execz .LBB271_734
; %bb.733:                              ;   in Loop: Header=BB271_606 Depth=1
	v_and_b32_e32 v4, 7, v10
	v_ffbh_u32_e32 v16, v4
	v_min_u32_e32 v49, 32, v16
	v_subrev_u32_e32 v16, 28, v49
	v_lshlrev_b64 v[16:17], v16, v[1:2]
	v_lshrrev_b32_e32 v48, 3, v3
	v_sub_u32_e32 v17, 29, v49
	v_cmp_gt_u32_e32 vcc, 8, v3
	v_cndmask_b32_e32 v3, v48, v17, vcc
	v_lshl_add_u32 v3, v3, 10, v14
	v_lshlrev_b32_e32 v17, 8, v10
	v_and_b32_e32 v16, 7, v16
	v_and_b32_e32 v3, 0xfc00, v3
	v_cndmask_b32_e32 v4, v4, v16, vcc
	v_and_or_b32 v3, v17, s26, v3
	v_lshl_or_b32 v16, v4, 7, v3
.LBB271_734:                            ;   in Loop: Header=BB271_606 Depth=1
	s_or_b64 exec, exec, s[18:19]
.LBB271_735:                            ;   in Loop: Header=BB271_606 Depth=1
	s_or_b64 exec, exec, s[16:17]
.LBB271_736:                            ;   in Loop: Header=BB271_606 Depth=1
	s_or_b64 exec, exec, s[12:13]
	v_lshrrev_b16_e32 v1, 8, v1
	v_cmp_ne_u16_e32 vcc, 0, v1
	v_mov_b32_e32 v17, 0
	s_and_saveexec_b64 s[12:13], vcc
	s_cbranch_execz .LBB271_742
; %bb.737:                              ;   in Loop: Header=BB271_606 Depth=1
	v_cmp_ne_u16_e32 vcc, s24, v1
	v_bfrev_b32_e32 v17, 1
	s_and_saveexec_b64 s[16:17], vcc
	s_cbranch_execz .LBB271_741
; %bb.738:                              ;   in Loop: Header=BB271_606 Depth=1
	v_and_b32_e32 v3, 0x7f, v1
	v_cmp_ne_u32_e32 vcc, s25, v3
	v_mov_b32_e32 v17, 0x7c010000
	s_and_saveexec_b64 s[18:19], vcc
	s_cbranch_execz .LBB271_740
; %bb.739:                              ;   in Loop: Header=BB271_606 Depth=1
	v_and_b32_e32 v4, 7, v1
	v_ffbh_u32_e32 v48, v4
	v_min_u32_e32 v50, 32, v48
	v_subrev_u32_e32 v48, 28, v50
	v_lshlrev_b64 v[48:49], v48, v[1:2]
	v_lshrrev_b32_e32 v17, 3, v3
	v_sub_u32_e32 v49, 29, v50
	v_cmp_gt_u32_e32 vcc, 8, v3
	v_cndmask_b32_e32 v3, v17, v49, vcc
	v_lshlrev_b32_e32 v1, 8, v1
	v_lshl_add_u32 v3, v3, 10, v14
	v_and_b32_e32 v17, 7, v48
	v_and_or_b32 v1, v1, s26, v3
	v_cndmask_b32_e32 v4, v4, v17, vcc
	v_lshlrev_b32_e32 v1, 16, v1
	v_lshl_or_b32 v17, v4, 23, v1
.LBB271_740:                            ;   in Loop: Header=BB271_606 Depth=1
	s_or_b64 exec, exec, s[18:19]
.LBB271_741:                            ;   in Loop: Header=BB271_606 Depth=1
	s_or_b64 exec, exec, s[16:17]
.LBB271_742:                            ;   in Loop: Header=BB271_606 Depth=1
	s_or_b64 exec, exec, s[12:13]
	v_lshrrev_b32_e32 v1, 16, v10
	v_cmp_ne_u16_sdwa s[16:17], v1, v2 src0_sel:BYTE_0 src1_sel:DWORD
	s_and_saveexec_b64 s[12:13], s[16:17]
	s_cbranch_execz .LBB271_748
; %bb.743:                              ;   in Loop: Header=BB271_606 Depth=1
	v_cmp_ne_u16_sdwa s[18:19], v1, s24 src0_sel:BYTE_0 src1_sel:DWORD
	v_mov_b32_e32 v11, 0x8000
	s_and_saveexec_b64 s[16:17], s[18:19]
	s_cbranch_execz .LBB271_747
; %bb.744:                              ;   in Loop: Header=BB271_606 Depth=1
	v_bfe_u32 v3, v10, 16, 7
	v_cmp_ne_u32_e32 vcc, s25, v3
	v_mov_b32_e32 v11, 0x7c01
	s_and_saveexec_b64 s[18:19], vcc
	s_cbranch_execz .LBB271_746
; %bb.745:                              ;   in Loop: Header=BB271_606 Depth=1
	v_and_b32_e32 v4, 7, v1
	v_ffbh_u32_e32 v48, v4
	v_min_u32_e32 v50, 32, v48
	v_subrev_u32_e32 v48, 28, v50
	v_lshlrev_b64 v[48:49], v48, v[1:2]
	v_lshrrev_b32_e32 v11, 3, v3
	v_sub_u32_e32 v49, 29, v50
	v_cmp_gt_u32_e32 vcc, 8, v3
	v_cndmask_b32_e32 v3, v11, v49, vcc
	v_lshl_add_u32 v3, v3, 10, v14
	v_lshlrev_b32_e32 v1, 8, v1
	v_and_b32_e32 v11, 7, v48
	v_and_b32_e32 v3, 0xfc00, v3
	v_cndmask_b32_e32 v4, v4, v11, vcc
	v_and_or_b32 v1, v1, s26, v3
	v_lshl_or_b32 v11, v4, 7, v1
.LBB271_746:                            ;   in Loop: Header=BB271_606 Depth=1
	s_or_b64 exec, exec, s[18:19]
.LBB271_747:                            ;   in Loop: Header=BB271_606 Depth=1
	s_or_b64 exec, exec, s[16:17]
.LBB271_748:                            ;   in Loop: Header=BB271_606 Depth=1
	s_or_b64 exec, exec, s[12:13]
	v_cmp_lt_u64_e32 vcc, s[4:5], v[9:10]
	v_mov_b32_e32 v9, 0
	s_and_saveexec_b64 s[12:13], vcc
	s_cbranch_execz .LBB271_754
; %bb.749:                              ;   in Loop: Header=BB271_606 Depth=1
	v_lshrrev_b32_e32 v1, 24, v10
	v_cmp_ne_u32_e32 vcc, s24, v1
	v_bfrev_b32_e32 v9, 1
	s_and_saveexec_b64 s[16:17], vcc
	s_cbranch_execz .LBB271_753
; %bb.750:                              ;   in Loop: Header=BB271_606 Depth=1
	v_and_b32_e32 v3, 0x7f, v1
	v_cmp_ne_u32_e32 vcc, s25, v3
	v_mov_b32_e32 v9, 0x7c010000
	s_and_saveexec_b64 s[18:19], vcc
	s_cbranch_execz .LBB271_752
; %bb.751:                              ;   in Loop: Header=BB271_606 Depth=1
	v_and_b32_e32 v4, 7, v1
	v_ffbh_u32_e32 v9, v4
	v_min_u32_e32 v49, 32, v9
	v_subrev_u32_e32 v9, 28, v49
	v_lshlrev_b64 v[9:10], v9, v[1:2]
	v_lshrrev_b32_e32 v48, 3, v3
	v_sub_u32_e32 v10, 29, v49
	v_cmp_gt_u32_e32 vcc, 8, v3
	v_cndmask_b32_e32 v3, v48, v10, vcc
	v_lshlrev_b32_e32 v1, 8, v1
	v_lshl_add_u32 v3, v3, 10, v14
	v_and_b32_e32 v9, 7, v9
	v_and_or_b32 v1, v1, s26, v3
	v_cndmask_b32_e32 v4, v4, v9, vcc
	v_lshlrev_b32_e32 v1, 16, v1
	v_lshl_or_b32 v9, v4, 23, v1
.LBB271_752:                            ;   in Loop: Header=BB271_606 Depth=1
	s_or_b64 exec, exec, s[18:19]
.LBB271_753:                            ;   in Loop: Header=BB271_606 Depth=1
	s_or_b64 exec, exec, s[16:17]
.LBB271_754:                            ;   in Loop: Header=BB271_606 Depth=1
	s_or_b64 exec, exec, s[12:13]
	s_waitcnt vmcnt(0)
	v_fma_mixlo_f16 v3, v0, v15, 0 op_sel:[0,1,0] op_sel_hi:[0,1,0]
	v_fma_mixlo_f16 v10, v0, v12, 0 op_sel:[0,1,0] op_sel_hi:[0,1,0]
	v_or_b32_e32 v1, v15, v47
	v_lshlrev_b32_e32 v4, 16, v3
	v_or_b32_e32 v3, v12, v46
	v_lshlrev_b32_e32 v46, 16, v10
	v_or_b32_e32 v10, v17, v16
	v_or_b32_e32 v11, v9, v11
	v_fma_mixlo_f16 v1, v0, v1, 0 op_sel_hi:[0,1,0]
	v_fma_mixlo_f16 v3, v0, v3, 0 op_sel_hi:[0,1,0]
	v_fma_mixlo_f16 v12, v0, v17, 0 op_sel:[0,1,0] op_sel_hi:[0,1,0]
	v_fma_mixlo_f16 v10, v0, v10, 0 op_sel_hi:[0,1,0]
	v_fma_mixlo_f16 v11, v0, v11, 0 op_sel_hi:[0,1,0]
	v_fma_mixlo_f16 v0, v0, v9, 0 op_sel:[0,1,0] op_sel_hi:[0,1,0]
	v_and_b32_e32 v15, 0xffff, v1
	v_and_b32_e32 v47, 0xffff, v3
	v_lshlrev_b32_e32 v12, 16, v12
	v_and_b32_e32 v16, 0xffff, v10
	v_lshlrev_b32_e32 v0, 16, v0
	v_and_b32_e32 v9, 0xffff, v11
	v_or_b32_e32 v1, v4, v15
	v_or_b32_e32 v3, v46, v47
	;; [unrolled: 1-line block ×4, first 2 shown]
	s_and_saveexec_b64 s[12:13], s[0:1]
	s_cbranch_execz .LBB271_756
; %bb.755:                              ;   in Loop: Header=BB271_606 Depth=1
	v_cmp_gt_i32_e32 vcc, s30, v31
	v_cndmask_b32_e32 v1, 0, v47, vcc
	v_cmp_gt_i32_e32 vcc, s30, v41
	v_cndmask_b32_e32 v3, 0, v46, vcc
	v_cmp_gt_i32_e32 vcc, s30, v40
	v_or_b32_e32 v3, v3, v1
	v_cndmask_b32_e32 v1, 0, v15, vcc
	v_cmp_gt_i32_e32 vcc, s30, v39
	v_cndmask_b32_e32 v4, 0, v4, vcc
	v_cmp_gt_i32_e32 vcc, s30, v34
	v_or_b32_e32 v1, v4, v1
	;; [unrolled: 5-line block ×3, first 2 shown]
	v_cndmask_b32_e32 v4, 0, v9, vcc
	v_cmp_gt_i32_e32 vcc, s30, v13
	v_cndmask_b32_e32 v0, 0, v0, vcc
	v_or_b32_e32 v11, v0, v4
.LBB271_756:                            ;   in Loop: Header=BB271_606 Depth=1
	s_or_b64 exec, exec, s[12:13]
	;;#ASMSTART
	v_pk_mul_f16 v0, v35, v3;

	;;#ASMEND
	;;#ASMSTART
	v_pk_mul_f16 v1, v36, v1;

	;;#ASMEND
	;; [unrolled: 4-line block ×4, first 2 shown]
	;;#ASMSTART
	v_pk_add_f16 v0, v0, v1;

	;;#ASMEND
	;;#ASMSTART
	v_pk_add_f16 v0, v0, v3;

	;;#ASMEND
	;; [unrolled: 4-line block ×3, first 2 shown]
	v_lshrrev_b32_e32 v1, 16, v0
	v_and_b32_e32 v0, 0xffff, v0
	;;#ASMSTART
	v_cvt_f32_f16 v46, v0;
	;;#ASMEND
	;;#ASMSTART
	v_cvt_f32_f16 v47, v1;
	;;#ASMEND
	global_load_dwordx2 v[9:10], v[7:8], off offset:1536
	v_mov_b32_e32 v12, 0
	global_load_dword v0, v12, s[14:15]
	v_mov_b32_e32 v48, 0
	s_waitcnt vmcnt(1)
	v_cmp_ne_u16_sdwa s[16:17], v9, v2 src0_sel:BYTE_0 src1_sel:DWORD
	s_and_saveexec_b64 s[12:13], s[16:17]
	s_cbranch_execz .LBB271_762
; %bb.757:                              ;   in Loop: Header=BB271_606 Depth=1
	v_cmp_ne_u16_sdwa s[18:19], v9, s24 src0_sel:BYTE_0 src1_sel:DWORD
	v_mov_b32_e32 v48, 0x8000
	s_and_saveexec_b64 s[16:17], s[18:19]
	s_cbranch_execz .LBB271_761
; %bb.758:                              ;   in Loop: Header=BB271_606 Depth=1
	v_and_b32_e32 v1, 0x7f, v9
	v_cmp_ne_u32_e32 vcc, s25, v1
	v_mov_b32_e32 v48, 0x7c01
	s_and_saveexec_b64 s[18:19], vcc
	s_cbranch_execz .LBB271_760
; %bb.759:                              ;   in Loop: Header=BB271_606 Depth=1
	v_and_b32_e32 v11, 7, v9
	v_ffbh_u32_e32 v3, v11
	v_min_u32_e32 v16, 32, v3
	v_subrev_u32_e32 v3, 28, v16
	v_lshlrev_b64 v[3:4], v3, v[9:10]
	v_lshrrev_b32_e32 v15, 3, v1
	v_sub_u32_e32 v4, 29, v16
	v_cmp_gt_u32_e32 vcc, 8, v1
	v_cndmask_b32_e32 v1, v15, v4, vcc
	v_lshl_add_u32 v1, v1, 10, v14
	v_lshlrev_b32_e32 v4, 8, v9
	v_and_b32_e32 v3, 7, v3
	v_and_b32_e32 v1, 0xfc00, v1
	v_cndmask_b32_e32 v3, v11, v3, vcc
	v_and_or_b32 v1, v4, s26, v1
	v_lshl_or_b32 v48, v3, 7, v1
.LBB271_760:                            ;   in Loop: Header=BB271_606 Depth=1
	s_or_b64 exec, exec, s[18:19]
.LBB271_761:                            ;   in Loop: Header=BB271_606 Depth=1
	s_or_b64 exec, exec, s[16:17]
.LBB271_762:                            ;   in Loop: Header=BB271_606 Depth=1
	s_or_b64 exec, exec, s[12:13]
	v_lshrrev_b16_e32 v1, 8, v9
	v_cmp_ne_u16_e32 vcc, 0, v1
	s_and_saveexec_b64 s[12:13], vcc
	s_cbranch_execz .LBB271_768
; %bb.763:                              ;   in Loop: Header=BB271_606 Depth=1
	v_cmp_ne_u16_e32 vcc, s24, v1
	v_bfrev_b32_e32 v12, 1
	s_and_saveexec_b64 s[16:17], vcc
	s_cbranch_execz .LBB271_767
; %bb.764:                              ;   in Loop: Header=BB271_606 Depth=1
	v_and_b32_e32 v3, 0x7f, v1
	v_cmp_ne_u32_e32 vcc, s25, v3
	v_mov_b32_e32 v12, 0x7c010000
	s_and_saveexec_b64 s[18:19], vcc
	s_cbranch_execz .LBB271_766
; %bb.765:                              ;   in Loop: Header=BB271_606 Depth=1
	v_and_b32_e32 v4, 7, v1
	v_ffbh_u32_e32 v11, v4
	v_min_u32_e32 v16, 32, v11
	v_subrev_u32_e32 v11, 28, v16
	v_lshlrev_b64 v[11:12], v11, v[1:2]
	v_lshrrev_b32_e32 v15, 3, v3
	v_sub_u32_e32 v12, 29, v16
	v_cmp_gt_u32_e32 vcc, 8, v3
	v_cndmask_b32_e32 v3, v15, v12, vcc
	v_lshlrev_b32_e32 v1, 8, v1
	v_lshl_add_u32 v3, v3, 10, v14
	v_and_b32_e32 v11, 7, v11
	v_and_or_b32 v1, v1, s26, v3
	v_cndmask_b32_e32 v4, v4, v11, vcc
	v_lshlrev_b32_e32 v1, 16, v1
	v_lshl_or_b32 v12, v4, 23, v1
.LBB271_766:                            ;   in Loop: Header=BB271_606 Depth=1
	s_or_b64 exec, exec, s[18:19]
.LBB271_767:                            ;   in Loop: Header=BB271_606 Depth=1
	s_or_b64 exec, exec, s[16:17]
.LBB271_768:                            ;   in Loop: Header=BB271_606 Depth=1
	s_or_b64 exec, exec, s[12:13]
	v_lshrrev_b32_e32 v1, 16, v9
	v_cmp_ne_u16_sdwa s[16:17], v1, v2 src0_sel:BYTE_0 src1_sel:DWORD
	v_mov_b32_e32 v15, 0
	v_mov_b32_e32 v49, 0
	s_and_saveexec_b64 s[12:13], s[16:17]
	s_cbranch_execz .LBB271_774
; %bb.769:                              ;   in Loop: Header=BB271_606 Depth=1
	v_cmp_ne_u16_sdwa s[18:19], v1, s24 src0_sel:BYTE_0 src1_sel:DWORD
	v_mov_b32_e32 v49, 0x8000
	s_and_saveexec_b64 s[16:17], s[18:19]
	s_cbranch_execz .LBB271_773
; %bb.770:                              ;   in Loop: Header=BB271_606 Depth=1
	v_bfe_u32 v3, v9, 16, 7
	v_cmp_ne_u32_e32 vcc, s25, v3
	v_mov_b32_e32 v49, 0x7c01
	s_and_saveexec_b64 s[18:19], vcc
	s_cbranch_execz .LBB271_772
; %bb.771:                              ;   in Loop: Header=BB271_606 Depth=1
	v_and_b32_e32 v4, 7, v1
	v_ffbh_u32_e32 v16, v4
	v_min_u32_e32 v49, 32, v16
	v_subrev_u32_e32 v16, 28, v49
	v_lshlrev_b64 v[16:17], v16, v[1:2]
	v_lshrrev_b32_e32 v11, 3, v3
	v_sub_u32_e32 v17, 29, v49
	v_cmp_gt_u32_e32 vcc, 8, v3
	v_cndmask_b32_e32 v3, v11, v17, vcc
	v_lshl_add_u32 v3, v3, 10, v14
	v_lshlrev_b32_e32 v1, 8, v1
	v_and_b32_e32 v11, 7, v16
	v_and_b32_e32 v3, 0xfc00, v3
	v_cndmask_b32_e32 v4, v4, v11, vcc
	v_and_or_b32 v1, v1, s26, v3
	v_lshl_or_b32 v49, v4, 7, v1
.LBB271_772:                            ;   in Loop: Header=BB271_606 Depth=1
	s_or_b64 exec, exec, s[18:19]
.LBB271_773:                            ;   in Loop: Header=BB271_606 Depth=1
	s_or_b64 exec, exec, s[16:17]
.LBB271_774:                            ;   in Loop: Header=BB271_606 Depth=1
	s_or_b64 exec, exec, s[12:13]
	v_cmp_lt_u32_e32 vcc, s5, v9
	s_and_saveexec_b64 s[12:13], vcc
	s_cbranch_execz .LBB271_780
; %bb.775:                              ;   in Loop: Header=BB271_606 Depth=1
	v_lshrrev_b32_e32 v1, 24, v9
	v_cmp_ne_u32_e32 vcc, s24, v1
	v_bfrev_b32_e32 v15, 1
	s_and_saveexec_b64 s[16:17], vcc
	s_cbranch_execz .LBB271_779
; %bb.776:                              ;   in Loop: Header=BB271_606 Depth=1
	v_and_b32_e32 v3, 0x7f, v1
	v_cmp_ne_u32_e32 vcc, s25, v3
	v_mov_b32_e32 v15, 0x7c010000
	s_and_saveexec_b64 s[18:19], vcc
	s_cbranch_execz .LBB271_778
; %bb.777:                              ;   in Loop: Header=BB271_606 Depth=1
	v_and_b32_e32 v4, 7, v1
	v_ffbh_u32_e32 v15, v4
	v_min_u32_e32 v17, 32, v15
	v_subrev_u32_e32 v15, 28, v17
	v_lshlrev_b64 v[15:16], v15, v[1:2]
	v_lshrrev_b32_e32 v11, 3, v3
	v_sub_u32_e32 v16, 29, v17
	v_cmp_gt_u32_e32 vcc, 8, v3
	v_cndmask_b32_e32 v3, v11, v16, vcc
	v_lshlrev_b32_e32 v1, 8, v1
	v_lshl_add_u32 v3, v3, 10, v14
	v_and_b32_e32 v11, 7, v15
	v_and_or_b32 v1, v1, s26, v3
	v_cndmask_b32_e32 v4, v4, v11, vcc
	v_lshlrev_b32_e32 v1, 16, v1
	v_lshl_or_b32 v15, v4, 23, v1
.LBB271_778:                            ;   in Loop: Header=BB271_606 Depth=1
	s_or_b64 exec, exec, s[18:19]
.LBB271_779:                            ;   in Loop: Header=BB271_606 Depth=1
	s_or_b64 exec, exec, s[16:17]
.LBB271_780:                            ;   in Loop: Header=BB271_606 Depth=1
	s_or_b64 exec, exec, s[12:13]
	v_mov_b32_e32 v1, v10
	v_cmp_ne_u16_sdwa s[16:17], v10, v2 src0_sel:BYTE_0 src1_sel:DWORD
	v_mov_b32_e32 v11, 0
	v_mov_b32_e32 v16, 0
	s_and_saveexec_b64 s[12:13], s[16:17]
	s_cbranch_execz .LBB271_786
; %bb.781:                              ;   in Loop: Header=BB271_606 Depth=1
	v_cmp_ne_u16_sdwa s[18:19], v10, s24 src0_sel:BYTE_0 src1_sel:DWORD
	v_mov_b32_e32 v16, 0x8000
	s_and_saveexec_b64 s[16:17], s[18:19]
	s_cbranch_execz .LBB271_785
; %bb.782:                              ;   in Loop: Header=BB271_606 Depth=1
	v_and_b32_e32 v3, 0x7f, v10
	v_cmp_ne_u32_e32 vcc, s25, v3
	v_mov_b32_e32 v16, 0x7c01
	s_and_saveexec_b64 s[18:19], vcc
	s_cbranch_execz .LBB271_784
; %bb.783:                              ;   in Loop: Header=BB271_606 Depth=1
	v_and_b32_e32 v4, 7, v10
	v_ffbh_u32_e32 v16, v4
	v_min_u32_e32 v51, 32, v16
	v_subrev_u32_e32 v16, 28, v51
	v_lshlrev_b64 v[16:17], v16, v[1:2]
	v_lshrrev_b32_e32 v50, 3, v3
	v_sub_u32_e32 v17, 29, v51
	v_cmp_gt_u32_e32 vcc, 8, v3
	v_cndmask_b32_e32 v3, v50, v17, vcc
	v_lshl_add_u32 v3, v3, 10, v14
	v_lshlrev_b32_e32 v17, 8, v10
	v_and_b32_e32 v16, 7, v16
	v_and_b32_e32 v3, 0xfc00, v3
	v_cndmask_b32_e32 v4, v4, v16, vcc
	v_and_or_b32 v3, v17, s26, v3
	v_lshl_or_b32 v16, v4, 7, v3
.LBB271_784:                            ;   in Loop: Header=BB271_606 Depth=1
	s_or_b64 exec, exec, s[18:19]
.LBB271_785:                            ;   in Loop: Header=BB271_606 Depth=1
	s_or_b64 exec, exec, s[16:17]
.LBB271_786:                            ;   in Loop: Header=BB271_606 Depth=1
	s_or_b64 exec, exec, s[12:13]
	v_lshrrev_b16_e32 v1, 8, v1
	v_cmp_ne_u16_e32 vcc, 0, v1
	v_mov_b32_e32 v17, 0
	s_and_saveexec_b64 s[12:13], vcc
	s_cbranch_execz .LBB271_792
; %bb.787:                              ;   in Loop: Header=BB271_606 Depth=1
	v_cmp_ne_u16_e32 vcc, s24, v1
	v_bfrev_b32_e32 v17, 1
	s_and_saveexec_b64 s[16:17], vcc
	s_cbranch_execz .LBB271_791
; %bb.788:                              ;   in Loop: Header=BB271_606 Depth=1
	v_and_b32_e32 v3, 0x7f, v1
	v_cmp_ne_u32_e32 vcc, s25, v3
	v_mov_b32_e32 v17, 0x7c010000
	s_and_saveexec_b64 s[18:19], vcc
	s_cbranch_execz .LBB271_790
; %bb.789:                              ;   in Loop: Header=BB271_606 Depth=1
	v_and_b32_e32 v4, 7, v1
	v_ffbh_u32_e32 v50, v4
	v_min_u32_e32 v52, 32, v50
	v_subrev_u32_e32 v50, 28, v52
	v_lshlrev_b64 v[50:51], v50, v[1:2]
	v_lshrrev_b32_e32 v17, 3, v3
	v_sub_u32_e32 v51, 29, v52
	v_cmp_gt_u32_e32 vcc, 8, v3
	v_cndmask_b32_e32 v3, v17, v51, vcc
	v_lshlrev_b32_e32 v1, 8, v1
	v_lshl_add_u32 v3, v3, 10, v14
	v_and_b32_e32 v17, 7, v50
	v_and_or_b32 v1, v1, s26, v3
	v_cndmask_b32_e32 v4, v4, v17, vcc
	v_lshlrev_b32_e32 v1, 16, v1
	v_lshl_or_b32 v17, v4, 23, v1
.LBB271_790:                            ;   in Loop: Header=BB271_606 Depth=1
	s_or_b64 exec, exec, s[18:19]
.LBB271_791:                            ;   in Loop: Header=BB271_606 Depth=1
	s_or_b64 exec, exec, s[16:17]
.LBB271_792:                            ;   in Loop: Header=BB271_606 Depth=1
	s_or_b64 exec, exec, s[12:13]
	v_lshrrev_b32_e32 v1, 16, v10
	v_cmp_ne_u16_sdwa s[16:17], v1, v2 src0_sel:BYTE_0 src1_sel:DWORD
	s_and_saveexec_b64 s[12:13], s[16:17]
	s_cbranch_execz .LBB271_798
; %bb.793:                              ;   in Loop: Header=BB271_606 Depth=1
	v_cmp_ne_u16_sdwa s[18:19], v1, s24 src0_sel:BYTE_0 src1_sel:DWORD
	v_mov_b32_e32 v11, 0x8000
	s_and_saveexec_b64 s[16:17], s[18:19]
	s_cbranch_execz .LBB271_797
; %bb.794:                              ;   in Loop: Header=BB271_606 Depth=1
	v_bfe_u32 v3, v10, 16, 7
	v_cmp_ne_u32_e32 vcc, s25, v3
	v_mov_b32_e32 v11, 0x7c01
	s_and_saveexec_b64 s[18:19], vcc
	s_cbranch_execz .LBB271_796
; %bb.795:                              ;   in Loop: Header=BB271_606 Depth=1
	v_and_b32_e32 v4, 7, v1
	v_ffbh_u32_e32 v50, v4
	v_min_u32_e32 v52, 32, v50
	v_subrev_u32_e32 v50, 28, v52
	v_lshlrev_b64 v[50:51], v50, v[1:2]
	v_lshrrev_b32_e32 v11, 3, v3
	v_sub_u32_e32 v51, 29, v52
	v_cmp_gt_u32_e32 vcc, 8, v3
	v_cndmask_b32_e32 v3, v11, v51, vcc
	v_lshl_add_u32 v3, v3, 10, v14
	v_lshlrev_b32_e32 v1, 8, v1
	v_and_b32_e32 v11, 7, v50
	v_and_b32_e32 v3, 0xfc00, v3
	v_cndmask_b32_e32 v4, v4, v11, vcc
	v_and_or_b32 v1, v1, s26, v3
	v_lshl_or_b32 v11, v4, 7, v1
.LBB271_796:                            ;   in Loop: Header=BB271_606 Depth=1
	s_or_b64 exec, exec, s[18:19]
.LBB271_797:                            ;   in Loop: Header=BB271_606 Depth=1
	s_or_b64 exec, exec, s[16:17]
.LBB271_798:                            ;   in Loop: Header=BB271_606 Depth=1
	s_or_b64 exec, exec, s[12:13]
	v_cmp_lt_u64_e32 vcc, s[4:5], v[9:10]
	v_mov_b32_e32 v9, 0
	s_and_saveexec_b64 s[12:13], vcc
	s_cbranch_execz .LBB271_804
; %bb.799:                              ;   in Loop: Header=BB271_606 Depth=1
	v_lshrrev_b32_e32 v1, 24, v10
	v_cmp_ne_u32_e32 vcc, s24, v1
	v_bfrev_b32_e32 v9, 1
	s_and_saveexec_b64 s[16:17], vcc
	s_cbranch_execz .LBB271_803
; %bb.800:                              ;   in Loop: Header=BB271_606 Depth=1
	v_and_b32_e32 v3, 0x7f, v1
	v_cmp_ne_u32_e32 vcc, s25, v3
	v_mov_b32_e32 v9, 0x7c010000
	s_and_saveexec_b64 s[18:19], vcc
	s_cbranch_execz .LBB271_802
; %bb.801:                              ;   in Loop: Header=BB271_606 Depth=1
	v_and_b32_e32 v4, 7, v1
	v_ffbh_u32_e32 v9, v4
	v_min_u32_e32 v51, 32, v9
	v_subrev_u32_e32 v9, 28, v51
	v_lshlrev_b64 v[9:10], v9, v[1:2]
	v_lshrrev_b32_e32 v50, 3, v3
	v_sub_u32_e32 v10, 29, v51
	v_cmp_gt_u32_e32 vcc, 8, v3
	v_cndmask_b32_e32 v3, v50, v10, vcc
	v_lshlrev_b32_e32 v1, 8, v1
	v_lshl_add_u32 v3, v3, 10, v14
	v_and_b32_e32 v9, 7, v9
	v_and_or_b32 v1, v1, s26, v3
	v_cndmask_b32_e32 v4, v4, v9, vcc
	v_lshlrev_b32_e32 v1, 16, v1
	v_lshl_or_b32 v9, v4, 23, v1
.LBB271_802:                            ;   in Loop: Header=BB271_606 Depth=1
	s_or_b64 exec, exec, s[18:19]
.LBB271_803:                            ;   in Loop: Header=BB271_606 Depth=1
	s_or_b64 exec, exec, s[16:17]
.LBB271_804:                            ;   in Loop: Header=BB271_606 Depth=1
	s_or_b64 exec, exec, s[12:13]
	s_waitcnt vmcnt(0)
	v_fma_mixlo_f16 v3, v0, v15, 0 op_sel:[0,1,0] op_sel_hi:[0,1,0]
	v_fma_mixlo_f16 v10, v0, v12, 0 op_sel:[0,1,0] op_sel_hi:[0,1,0]
	v_or_b32_e32 v1, v15, v49
	v_lshlrev_b32_e32 v4, 16, v3
	v_or_b32_e32 v3, v12, v48
	v_lshlrev_b32_e32 v48, 16, v10
	v_or_b32_e32 v10, v17, v16
	v_or_b32_e32 v11, v9, v11
	v_fma_mixlo_f16 v1, v0, v1, 0 op_sel_hi:[0,1,0]
	v_fma_mixlo_f16 v3, v0, v3, 0 op_sel_hi:[0,1,0]
	v_fma_mixlo_f16 v12, v0, v17, 0 op_sel:[0,1,0] op_sel_hi:[0,1,0]
	v_fma_mixlo_f16 v10, v0, v10, 0 op_sel_hi:[0,1,0]
	v_fma_mixlo_f16 v11, v0, v11, 0 op_sel_hi:[0,1,0]
	v_fma_mixlo_f16 v0, v0, v9, 0 op_sel:[0,1,0] op_sel_hi:[0,1,0]
	v_and_b32_e32 v15, 0xffff, v1
	v_and_b32_e32 v49, 0xffff, v3
	v_lshlrev_b32_e32 v12, 16, v12
	v_and_b32_e32 v16, 0xffff, v10
	v_lshlrev_b32_e32 v0, 16, v0
	v_and_b32_e32 v9, 0xffff, v11
	v_or_b32_e32 v1, v4, v15
	v_or_b32_e32 v3, v48, v49
	;; [unrolled: 1-line block ×4, first 2 shown]
	s_and_saveexec_b64 s[12:13], s[0:1]
	s_cbranch_execz .LBB271_806
; %bb.805:                              ;   in Loop: Header=BB271_606 Depth=1
	v_cmp_gt_i32_e32 vcc, s30, v31
	v_cndmask_b32_e32 v1, 0, v49, vcc
	v_cmp_gt_i32_e32 vcc, s30, v41
	v_cndmask_b32_e32 v3, 0, v48, vcc
	v_cmp_gt_i32_e32 vcc, s30, v40
	v_or_b32_e32 v3, v3, v1
	v_cndmask_b32_e32 v1, 0, v15, vcc
	v_cmp_gt_i32_e32 vcc, s30, v39
	v_cndmask_b32_e32 v4, 0, v4, vcc
	v_cmp_gt_i32_e32 vcc, s30, v34
	v_or_b32_e32 v1, v4, v1
	;; [unrolled: 5-line block ×3, first 2 shown]
	v_cndmask_b32_e32 v4, 0, v9, vcc
	v_cmp_gt_i32_e32 vcc, s30, v13
	v_cndmask_b32_e32 v0, 0, v0, vcc
	v_or_b32_e32 v11, v0, v4
.LBB271_806:                            ;   in Loop: Header=BB271_606 Depth=1
	s_or_b64 exec, exec, s[12:13]
	;;#ASMSTART
	v_pk_mul_f16 v0, v35, v3;

	;;#ASMEND
	;;#ASMSTART
	v_pk_mul_f16 v1, v36, v1;

	;;#ASMEND
	;; [unrolled: 4-line block ×4, first 2 shown]
	;;#ASMSTART
	v_pk_add_f16 v0, v0, v1;

	;;#ASMEND
	;;#ASMSTART
	v_pk_add_f16 v0, v0, v3;

	;;#ASMEND
	;;#ASMSTART
	v_pk_add_f16 v0, v0, v4;

	;;#ASMEND
	v_lshrrev_b32_e32 v1, 16, v0
	v_and_b32_e32 v0, 0xffff, v0
	;;#ASMSTART
	v_cvt_f32_f16 v48, v0;
	;;#ASMEND
	;;#ASMSTART
	v_cvt_f32_f16 v49, v1;
	;;#ASMEND
	global_load_dwordx2 v[9:10], v[7:8], off offset:2048
	v_mov_b32_e32 v12, 0
	global_load_dword v0, v12, s[14:15]
	v_mov_b32_e32 v50, 0
	s_waitcnt vmcnt(1)
	v_cmp_ne_u16_sdwa s[16:17], v9, v2 src0_sel:BYTE_0 src1_sel:DWORD
	s_and_saveexec_b64 s[12:13], s[16:17]
	s_cbranch_execz .LBB271_812
; %bb.807:                              ;   in Loop: Header=BB271_606 Depth=1
	v_cmp_ne_u16_sdwa s[18:19], v9, s24 src0_sel:BYTE_0 src1_sel:DWORD
	v_mov_b32_e32 v50, 0x8000
	s_and_saveexec_b64 s[16:17], s[18:19]
	s_cbranch_execz .LBB271_811
; %bb.808:                              ;   in Loop: Header=BB271_606 Depth=1
	v_and_b32_e32 v1, 0x7f, v9
	v_cmp_ne_u32_e32 vcc, s25, v1
	v_mov_b32_e32 v50, 0x7c01
	s_and_saveexec_b64 s[18:19], vcc
	s_cbranch_execz .LBB271_810
; %bb.809:                              ;   in Loop: Header=BB271_606 Depth=1
	v_and_b32_e32 v11, 7, v9
	v_ffbh_u32_e32 v3, v11
	v_min_u32_e32 v16, 32, v3
	v_subrev_u32_e32 v3, 28, v16
	v_lshlrev_b64 v[3:4], v3, v[9:10]
	v_lshrrev_b32_e32 v15, 3, v1
	v_sub_u32_e32 v4, 29, v16
	v_cmp_gt_u32_e32 vcc, 8, v1
	v_cndmask_b32_e32 v1, v15, v4, vcc
	v_lshl_add_u32 v1, v1, 10, v14
	v_lshlrev_b32_e32 v4, 8, v9
	v_and_b32_e32 v3, 7, v3
	v_and_b32_e32 v1, 0xfc00, v1
	v_cndmask_b32_e32 v3, v11, v3, vcc
	v_and_or_b32 v1, v4, s26, v1
	v_lshl_or_b32 v50, v3, 7, v1
.LBB271_810:                            ;   in Loop: Header=BB271_606 Depth=1
	s_or_b64 exec, exec, s[18:19]
.LBB271_811:                            ;   in Loop: Header=BB271_606 Depth=1
	s_or_b64 exec, exec, s[16:17]
.LBB271_812:                            ;   in Loop: Header=BB271_606 Depth=1
	s_or_b64 exec, exec, s[12:13]
	v_lshrrev_b16_e32 v1, 8, v9
	v_cmp_ne_u16_e32 vcc, 0, v1
	s_and_saveexec_b64 s[12:13], vcc
	s_cbranch_execz .LBB271_818
; %bb.813:                              ;   in Loop: Header=BB271_606 Depth=1
	v_cmp_ne_u16_e32 vcc, s24, v1
	v_bfrev_b32_e32 v12, 1
	s_and_saveexec_b64 s[16:17], vcc
	s_cbranch_execz .LBB271_817
; %bb.814:                              ;   in Loop: Header=BB271_606 Depth=1
	v_and_b32_e32 v3, 0x7f, v1
	v_cmp_ne_u32_e32 vcc, s25, v3
	v_mov_b32_e32 v12, 0x7c010000
	s_and_saveexec_b64 s[18:19], vcc
	s_cbranch_execz .LBB271_816
; %bb.815:                              ;   in Loop: Header=BB271_606 Depth=1
	v_and_b32_e32 v4, 7, v1
	v_ffbh_u32_e32 v11, v4
	v_min_u32_e32 v16, 32, v11
	v_subrev_u32_e32 v11, 28, v16
	v_lshlrev_b64 v[11:12], v11, v[1:2]
	v_lshrrev_b32_e32 v15, 3, v3
	v_sub_u32_e32 v12, 29, v16
	v_cmp_gt_u32_e32 vcc, 8, v3
	v_cndmask_b32_e32 v3, v15, v12, vcc
	v_lshlrev_b32_e32 v1, 8, v1
	v_lshl_add_u32 v3, v3, 10, v14
	v_and_b32_e32 v11, 7, v11
	v_and_or_b32 v1, v1, s26, v3
	v_cndmask_b32_e32 v4, v4, v11, vcc
	v_lshlrev_b32_e32 v1, 16, v1
	v_lshl_or_b32 v12, v4, 23, v1
.LBB271_816:                            ;   in Loop: Header=BB271_606 Depth=1
	s_or_b64 exec, exec, s[18:19]
.LBB271_817:                            ;   in Loop: Header=BB271_606 Depth=1
	s_or_b64 exec, exec, s[16:17]
.LBB271_818:                            ;   in Loop: Header=BB271_606 Depth=1
	s_or_b64 exec, exec, s[12:13]
	v_lshrrev_b32_e32 v1, 16, v9
	v_cmp_ne_u16_sdwa s[16:17], v1, v2 src0_sel:BYTE_0 src1_sel:DWORD
	v_mov_b32_e32 v15, 0
	v_mov_b32_e32 v51, 0
	s_and_saveexec_b64 s[12:13], s[16:17]
	s_cbranch_execz .LBB271_824
; %bb.819:                              ;   in Loop: Header=BB271_606 Depth=1
	v_cmp_ne_u16_sdwa s[18:19], v1, s24 src0_sel:BYTE_0 src1_sel:DWORD
	v_mov_b32_e32 v51, 0x8000
	s_and_saveexec_b64 s[16:17], s[18:19]
	s_cbranch_execz .LBB271_823
; %bb.820:                              ;   in Loop: Header=BB271_606 Depth=1
	v_bfe_u32 v3, v9, 16, 7
	v_cmp_ne_u32_e32 vcc, s25, v3
	v_mov_b32_e32 v51, 0x7c01
	s_and_saveexec_b64 s[18:19], vcc
	s_cbranch_execz .LBB271_822
; %bb.821:                              ;   in Loop: Header=BB271_606 Depth=1
	v_and_b32_e32 v4, 7, v1
	v_ffbh_u32_e32 v16, v4
	v_min_u32_e32 v51, 32, v16
	v_subrev_u32_e32 v16, 28, v51
	v_lshlrev_b64 v[16:17], v16, v[1:2]
	v_lshrrev_b32_e32 v11, 3, v3
	v_sub_u32_e32 v17, 29, v51
	v_cmp_gt_u32_e32 vcc, 8, v3
	v_cndmask_b32_e32 v3, v11, v17, vcc
	v_lshl_add_u32 v3, v3, 10, v14
	v_lshlrev_b32_e32 v1, 8, v1
	v_and_b32_e32 v11, 7, v16
	v_and_b32_e32 v3, 0xfc00, v3
	v_cndmask_b32_e32 v4, v4, v11, vcc
	v_and_or_b32 v1, v1, s26, v3
	v_lshl_or_b32 v51, v4, 7, v1
.LBB271_822:                            ;   in Loop: Header=BB271_606 Depth=1
	s_or_b64 exec, exec, s[18:19]
.LBB271_823:                            ;   in Loop: Header=BB271_606 Depth=1
	s_or_b64 exec, exec, s[16:17]
.LBB271_824:                            ;   in Loop: Header=BB271_606 Depth=1
	s_or_b64 exec, exec, s[12:13]
	v_cmp_lt_u32_e32 vcc, s5, v9
	s_and_saveexec_b64 s[12:13], vcc
	s_cbranch_execz .LBB271_830
; %bb.825:                              ;   in Loop: Header=BB271_606 Depth=1
	v_lshrrev_b32_e32 v1, 24, v9
	v_cmp_ne_u32_e32 vcc, s24, v1
	v_bfrev_b32_e32 v15, 1
	s_and_saveexec_b64 s[16:17], vcc
	s_cbranch_execz .LBB271_829
; %bb.826:                              ;   in Loop: Header=BB271_606 Depth=1
	v_and_b32_e32 v3, 0x7f, v1
	v_cmp_ne_u32_e32 vcc, s25, v3
	v_mov_b32_e32 v15, 0x7c010000
	s_and_saveexec_b64 s[18:19], vcc
	s_cbranch_execz .LBB271_828
; %bb.827:                              ;   in Loop: Header=BB271_606 Depth=1
	v_and_b32_e32 v4, 7, v1
	v_ffbh_u32_e32 v15, v4
	v_min_u32_e32 v17, 32, v15
	v_subrev_u32_e32 v15, 28, v17
	v_lshlrev_b64 v[15:16], v15, v[1:2]
	v_lshrrev_b32_e32 v11, 3, v3
	v_sub_u32_e32 v16, 29, v17
	v_cmp_gt_u32_e32 vcc, 8, v3
	v_cndmask_b32_e32 v3, v11, v16, vcc
	v_lshlrev_b32_e32 v1, 8, v1
	v_lshl_add_u32 v3, v3, 10, v14
	v_and_b32_e32 v11, 7, v15
	v_and_or_b32 v1, v1, s26, v3
	v_cndmask_b32_e32 v4, v4, v11, vcc
	v_lshlrev_b32_e32 v1, 16, v1
	v_lshl_or_b32 v15, v4, 23, v1
.LBB271_828:                            ;   in Loop: Header=BB271_606 Depth=1
	s_or_b64 exec, exec, s[18:19]
.LBB271_829:                            ;   in Loop: Header=BB271_606 Depth=1
	s_or_b64 exec, exec, s[16:17]
.LBB271_830:                            ;   in Loop: Header=BB271_606 Depth=1
	s_or_b64 exec, exec, s[12:13]
	v_mov_b32_e32 v1, v10
	v_cmp_ne_u16_sdwa s[16:17], v10, v2 src0_sel:BYTE_0 src1_sel:DWORD
	v_mov_b32_e32 v11, 0
	v_mov_b32_e32 v16, 0
	s_and_saveexec_b64 s[12:13], s[16:17]
	s_cbranch_execz .LBB271_836
; %bb.831:                              ;   in Loop: Header=BB271_606 Depth=1
	v_cmp_ne_u16_sdwa s[18:19], v10, s24 src0_sel:BYTE_0 src1_sel:DWORD
	v_mov_b32_e32 v16, 0x8000
	s_and_saveexec_b64 s[16:17], s[18:19]
	s_cbranch_execz .LBB271_835
; %bb.832:                              ;   in Loop: Header=BB271_606 Depth=1
	v_and_b32_e32 v3, 0x7f, v10
	v_cmp_ne_u32_e32 vcc, s25, v3
	v_mov_b32_e32 v16, 0x7c01
	s_and_saveexec_b64 s[18:19], vcc
	s_cbranch_execz .LBB271_834
; %bb.833:                              ;   in Loop: Header=BB271_606 Depth=1
	v_and_b32_e32 v4, 7, v10
	v_ffbh_u32_e32 v16, v4
	v_min_u32_e32 v53, 32, v16
	v_subrev_u32_e32 v16, 28, v53
	v_lshlrev_b64 v[16:17], v16, v[1:2]
	v_lshrrev_b32_e32 v52, 3, v3
	v_sub_u32_e32 v17, 29, v53
	v_cmp_gt_u32_e32 vcc, 8, v3
	v_cndmask_b32_e32 v3, v52, v17, vcc
	v_lshl_add_u32 v3, v3, 10, v14
	v_lshlrev_b32_e32 v17, 8, v10
	v_and_b32_e32 v16, 7, v16
	v_and_b32_e32 v3, 0xfc00, v3
	v_cndmask_b32_e32 v4, v4, v16, vcc
	v_and_or_b32 v3, v17, s26, v3
	v_lshl_or_b32 v16, v4, 7, v3
.LBB271_834:                            ;   in Loop: Header=BB271_606 Depth=1
	s_or_b64 exec, exec, s[18:19]
.LBB271_835:                            ;   in Loop: Header=BB271_606 Depth=1
	s_or_b64 exec, exec, s[16:17]
.LBB271_836:                            ;   in Loop: Header=BB271_606 Depth=1
	s_or_b64 exec, exec, s[12:13]
	v_lshrrev_b16_e32 v1, 8, v1
	v_cmp_ne_u16_e32 vcc, 0, v1
	v_mov_b32_e32 v17, 0
	s_and_saveexec_b64 s[12:13], vcc
	s_cbranch_execz .LBB271_842
; %bb.837:                              ;   in Loop: Header=BB271_606 Depth=1
	v_cmp_ne_u16_e32 vcc, s24, v1
	v_bfrev_b32_e32 v17, 1
	s_and_saveexec_b64 s[16:17], vcc
	s_cbranch_execz .LBB271_841
; %bb.838:                              ;   in Loop: Header=BB271_606 Depth=1
	v_and_b32_e32 v3, 0x7f, v1
	v_cmp_ne_u32_e32 vcc, s25, v3
	v_mov_b32_e32 v17, 0x7c010000
	s_and_saveexec_b64 s[18:19], vcc
	s_cbranch_execz .LBB271_840
; %bb.839:                              ;   in Loop: Header=BB271_606 Depth=1
	v_and_b32_e32 v4, 7, v1
	v_ffbh_u32_e32 v52, v4
	v_min_u32_e32 v54, 32, v52
	v_subrev_u32_e32 v52, 28, v54
	v_lshlrev_b64 v[52:53], v52, v[1:2]
	v_lshrrev_b32_e32 v17, 3, v3
	v_sub_u32_e32 v53, 29, v54
	v_cmp_gt_u32_e32 vcc, 8, v3
	v_cndmask_b32_e32 v3, v17, v53, vcc
	v_lshlrev_b32_e32 v1, 8, v1
	v_lshl_add_u32 v3, v3, 10, v14
	v_and_b32_e32 v17, 7, v52
	v_and_or_b32 v1, v1, s26, v3
	v_cndmask_b32_e32 v4, v4, v17, vcc
	v_lshlrev_b32_e32 v1, 16, v1
	v_lshl_or_b32 v17, v4, 23, v1
.LBB271_840:                            ;   in Loop: Header=BB271_606 Depth=1
	s_or_b64 exec, exec, s[18:19]
.LBB271_841:                            ;   in Loop: Header=BB271_606 Depth=1
	s_or_b64 exec, exec, s[16:17]
.LBB271_842:                            ;   in Loop: Header=BB271_606 Depth=1
	s_or_b64 exec, exec, s[12:13]
	v_lshrrev_b32_e32 v1, 16, v10
	v_cmp_ne_u16_sdwa s[16:17], v1, v2 src0_sel:BYTE_0 src1_sel:DWORD
	s_and_saveexec_b64 s[12:13], s[16:17]
	s_cbranch_execz .LBB271_848
; %bb.843:                              ;   in Loop: Header=BB271_606 Depth=1
	v_cmp_ne_u16_sdwa s[18:19], v1, s24 src0_sel:BYTE_0 src1_sel:DWORD
	v_mov_b32_e32 v11, 0x8000
	s_and_saveexec_b64 s[16:17], s[18:19]
	s_cbranch_execz .LBB271_847
; %bb.844:                              ;   in Loop: Header=BB271_606 Depth=1
	v_bfe_u32 v3, v10, 16, 7
	v_cmp_ne_u32_e32 vcc, s25, v3
	v_mov_b32_e32 v11, 0x7c01
	s_and_saveexec_b64 s[18:19], vcc
	s_cbranch_execz .LBB271_846
; %bb.845:                              ;   in Loop: Header=BB271_606 Depth=1
	v_and_b32_e32 v4, 7, v1
	v_ffbh_u32_e32 v52, v4
	v_min_u32_e32 v54, 32, v52
	v_subrev_u32_e32 v52, 28, v54
	v_lshlrev_b64 v[52:53], v52, v[1:2]
	v_lshrrev_b32_e32 v11, 3, v3
	v_sub_u32_e32 v53, 29, v54
	v_cmp_gt_u32_e32 vcc, 8, v3
	v_cndmask_b32_e32 v3, v11, v53, vcc
	v_lshl_add_u32 v3, v3, 10, v14
	v_lshlrev_b32_e32 v1, 8, v1
	v_and_b32_e32 v11, 7, v52
	v_and_b32_e32 v3, 0xfc00, v3
	v_cndmask_b32_e32 v4, v4, v11, vcc
	v_and_or_b32 v1, v1, s26, v3
	v_lshl_or_b32 v11, v4, 7, v1
.LBB271_846:                            ;   in Loop: Header=BB271_606 Depth=1
	s_or_b64 exec, exec, s[18:19]
.LBB271_847:                            ;   in Loop: Header=BB271_606 Depth=1
	s_or_b64 exec, exec, s[16:17]
.LBB271_848:                            ;   in Loop: Header=BB271_606 Depth=1
	s_or_b64 exec, exec, s[12:13]
	v_cmp_lt_u64_e32 vcc, s[4:5], v[9:10]
	v_mov_b32_e32 v9, 0
	s_and_saveexec_b64 s[12:13], vcc
	s_cbranch_execz .LBB271_854
; %bb.849:                              ;   in Loop: Header=BB271_606 Depth=1
	v_lshrrev_b32_e32 v1, 24, v10
	v_cmp_ne_u32_e32 vcc, s24, v1
	v_bfrev_b32_e32 v9, 1
	s_and_saveexec_b64 s[16:17], vcc
	s_cbranch_execz .LBB271_853
; %bb.850:                              ;   in Loop: Header=BB271_606 Depth=1
	v_and_b32_e32 v3, 0x7f, v1
	v_cmp_ne_u32_e32 vcc, s25, v3
	v_mov_b32_e32 v9, 0x7c010000
	s_and_saveexec_b64 s[18:19], vcc
	s_cbranch_execz .LBB271_852
; %bb.851:                              ;   in Loop: Header=BB271_606 Depth=1
	v_and_b32_e32 v4, 7, v1
	v_ffbh_u32_e32 v9, v4
	v_min_u32_e32 v53, 32, v9
	v_subrev_u32_e32 v9, 28, v53
	v_lshlrev_b64 v[9:10], v9, v[1:2]
	v_lshrrev_b32_e32 v52, 3, v3
	v_sub_u32_e32 v10, 29, v53
	v_cmp_gt_u32_e32 vcc, 8, v3
	v_cndmask_b32_e32 v3, v52, v10, vcc
	v_lshlrev_b32_e32 v1, 8, v1
	v_lshl_add_u32 v3, v3, 10, v14
	v_and_b32_e32 v9, 7, v9
	v_and_or_b32 v1, v1, s26, v3
	v_cndmask_b32_e32 v4, v4, v9, vcc
	v_lshlrev_b32_e32 v1, 16, v1
	v_lshl_or_b32 v9, v4, 23, v1
.LBB271_852:                            ;   in Loop: Header=BB271_606 Depth=1
	s_or_b64 exec, exec, s[18:19]
.LBB271_853:                            ;   in Loop: Header=BB271_606 Depth=1
	s_or_b64 exec, exec, s[16:17]
.LBB271_854:                            ;   in Loop: Header=BB271_606 Depth=1
	s_or_b64 exec, exec, s[12:13]
	s_waitcnt vmcnt(0)
	v_fma_mixlo_f16 v3, v0, v15, 0 op_sel:[0,1,0] op_sel_hi:[0,1,0]
	v_fma_mixlo_f16 v10, v0, v12, 0 op_sel:[0,1,0] op_sel_hi:[0,1,0]
	v_or_b32_e32 v1, v15, v51
	v_lshlrev_b32_e32 v4, 16, v3
	v_or_b32_e32 v3, v12, v50
	v_lshlrev_b32_e32 v50, 16, v10
	v_or_b32_e32 v10, v17, v16
	v_or_b32_e32 v11, v9, v11
	v_fma_mixlo_f16 v1, v0, v1, 0 op_sel_hi:[0,1,0]
	v_fma_mixlo_f16 v3, v0, v3, 0 op_sel_hi:[0,1,0]
	v_fma_mixlo_f16 v12, v0, v17, 0 op_sel:[0,1,0] op_sel_hi:[0,1,0]
	v_fma_mixlo_f16 v10, v0, v10, 0 op_sel_hi:[0,1,0]
	v_fma_mixlo_f16 v11, v0, v11, 0 op_sel_hi:[0,1,0]
	v_fma_mixlo_f16 v0, v0, v9, 0 op_sel:[0,1,0] op_sel_hi:[0,1,0]
	v_and_b32_e32 v15, 0xffff, v1
	v_and_b32_e32 v51, 0xffff, v3
	v_lshlrev_b32_e32 v12, 16, v12
	v_and_b32_e32 v16, 0xffff, v10
	v_lshlrev_b32_e32 v0, 16, v0
	v_and_b32_e32 v9, 0xffff, v11
	v_or_b32_e32 v1, v4, v15
	v_or_b32_e32 v3, v50, v51
	;; [unrolled: 1-line block ×4, first 2 shown]
	s_and_saveexec_b64 s[12:13], s[0:1]
	s_cbranch_execz .LBB271_856
; %bb.855:                              ;   in Loop: Header=BB271_606 Depth=1
	v_cmp_gt_i32_e32 vcc, s30, v31
	v_cndmask_b32_e32 v1, 0, v51, vcc
	v_cmp_gt_i32_e32 vcc, s30, v41
	v_cndmask_b32_e32 v3, 0, v50, vcc
	v_cmp_gt_i32_e32 vcc, s30, v40
	v_or_b32_e32 v3, v3, v1
	v_cndmask_b32_e32 v1, 0, v15, vcc
	v_cmp_gt_i32_e32 vcc, s30, v39
	v_cndmask_b32_e32 v4, 0, v4, vcc
	v_cmp_gt_i32_e32 vcc, s30, v34
	v_or_b32_e32 v1, v4, v1
	;; [unrolled: 5-line block ×3, first 2 shown]
	v_cndmask_b32_e32 v4, 0, v9, vcc
	v_cmp_gt_i32_e32 vcc, s30, v13
	v_cndmask_b32_e32 v0, 0, v0, vcc
	v_or_b32_e32 v11, v0, v4
.LBB271_856:                            ;   in Loop: Header=BB271_606 Depth=1
	s_or_b64 exec, exec, s[12:13]
	;;#ASMSTART
	v_pk_mul_f16 v0, v35, v3;

	;;#ASMEND
	;;#ASMSTART
	v_pk_mul_f16 v1, v36, v1;

	;;#ASMEND
	;; [unrolled: 4-line block ×4, first 2 shown]
	;;#ASMSTART
	v_pk_add_f16 v0, v0, v1;

	;;#ASMEND
	;;#ASMSTART
	v_pk_add_f16 v0, v0, v3;

	;;#ASMEND
	;;#ASMSTART
	v_pk_add_f16 v0, v0, v4;

	;;#ASMEND
	v_lshrrev_b32_e32 v1, 16, v0
	v_and_b32_e32 v0, 0xffff, v0
	;;#ASMSTART
	v_cvt_f32_f16 v50, v0;
	;;#ASMEND
	;;#ASMSTART
	v_cvt_f32_f16 v51, v1;
	;;#ASMEND
	global_load_dwordx2 v[9:10], v[7:8], off offset:2560
	v_mov_b32_e32 v12, 0
	global_load_dword v0, v12, s[14:15]
	v_mov_b32_e32 v52, 0
	s_waitcnt vmcnt(1)
	v_cmp_ne_u16_sdwa s[16:17], v9, v2 src0_sel:BYTE_0 src1_sel:DWORD
	s_and_saveexec_b64 s[12:13], s[16:17]
	s_cbranch_execz .LBB271_862
; %bb.857:                              ;   in Loop: Header=BB271_606 Depth=1
	v_cmp_ne_u16_sdwa s[18:19], v9, s24 src0_sel:BYTE_0 src1_sel:DWORD
	v_mov_b32_e32 v52, 0x8000
	s_and_saveexec_b64 s[16:17], s[18:19]
	s_cbranch_execz .LBB271_861
; %bb.858:                              ;   in Loop: Header=BB271_606 Depth=1
	v_and_b32_e32 v1, 0x7f, v9
	v_cmp_ne_u32_e32 vcc, s25, v1
	v_mov_b32_e32 v52, 0x7c01
	s_and_saveexec_b64 s[18:19], vcc
	s_cbranch_execz .LBB271_860
; %bb.859:                              ;   in Loop: Header=BB271_606 Depth=1
	v_and_b32_e32 v11, 7, v9
	v_ffbh_u32_e32 v3, v11
	v_min_u32_e32 v16, 32, v3
	v_subrev_u32_e32 v3, 28, v16
	v_lshlrev_b64 v[3:4], v3, v[9:10]
	v_lshrrev_b32_e32 v15, 3, v1
	v_sub_u32_e32 v4, 29, v16
	v_cmp_gt_u32_e32 vcc, 8, v1
	v_cndmask_b32_e32 v1, v15, v4, vcc
	v_lshl_add_u32 v1, v1, 10, v14
	v_lshlrev_b32_e32 v4, 8, v9
	v_and_b32_e32 v3, 7, v3
	v_and_b32_e32 v1, 0xfc00, v1
	v_cndmask_b32_e32 v3, v11, v3, vcc
	v_and_or_b32 v1, v4, s26, v1
	v_lshl_or_b32 v52, v3, 7, v1
.LBB271_860:                            ;   in Loop: Header=BB271_606 Depth=1
	s_or_b64 exec, exec, s[18:19]
.LBB271_861:                            ;   in Loop: Header=BB271_606 Depth=1
	s_or_b64 exec, exec, s[16:17]
.LBB271_862:                            ;   in Loop: Header=BB271_606 Depth=1
	s_or_b64 exec, exec, s[12:13]
	v_lshrrev_b16_e32 v1, 8, v9
	v_cmp_ne_u16_e32 vcc, 0, v1
	s_and_saveexec_b64 s[12:13], vcc
	s_cbranch_execz .LBB271_868
; %bb.863:                              ;   in Loop: Header=BB271_606 Depth=1
	v_cmp_ne_u16_e32 vcc, s24, v1
	v_bfrev_b32_e32 v12, 1
	s_and_saveexec_b64 s[16:17], vcc
	s_cbranch_execz .LBB271_867
; %bb.864:                              ;   in Loop: Header=BB271_606 Depth=1
	v_and_b32_e32 v3, 0x7f, v1
	v_cmp_ne_u32_e32 vcc, s25, v3
	v_mov_b32_e32 v12, 0x7c010000
	s_and_saveexec_b64 s[18:19], vcc
	s_cbranch_execz .LBB271_866
; %bb.865:                              ;   in Loop: Header=BB271_606 Depth=1
	v_and_b32_e32 v4, 7, v1
	v_ffbh_u32_e32 v11, v4
	v_min_u32_e32 v16, 32, v11
	v_subrev_u32_e32 v11, 28, v16
	v_lshlrev_b64 v[11:12], v11, v[1:2]
	v_lshrrev_b32_e32 v15, 3, v3
	v_sub_u32_e32 v12, 29, v16
	v_cmp_gt_u32_e32 vcc, 8, v3
	v_cndmask_b32_e32 v3, v15, v12, vcc
	v_lshlrev_b32_e32 v1, 8, v1
	v_lshl_add_u32 v3, v3, 10, v14
	v_and_b32_e32 v11, 7, v11
	v_and_or_b32 v1, v1, s26, v3
	v_cndmask_b32_e32 v4, v4, v11, vcc
	v_lshlrev_b32_e32 v1, 16, v1
	v_lshl_or_b32 v12, v4, 23, v1
.LBB271_866:                            ;   in Loop: Header=BB271_606 Depth=1
	s_or_b64 exec, exec, s[18:19]
.LBB271_867:                            ;   in Loop: Header=BB271_606 Depth=1
	s_or_b64 exec, exec, s[16:17]
.LBB271_868:                            ;   in Loop: Header=BB271_606 Depth=1
	s_or_b64 exec, exec, s[12:13]
	v_lshrrev_b32_e32 v1, 16, v9
	v_cmp_ne_u16_sdwa s[16:17], v1, v2 src0_sel:BYTE_0 src1_sel:DWORD
	v_mov_b32_e32 v15, 0
	v_mov_b32_e32 v53, 0
	s_and_saveexec_b64 s[12:13], s[16:17]
	s_cbranch_execz .LBB271_874
; %bb.869:                              ;   in Loop: Header=BB271_606 Depth=1
	v_cmp_ne_u16_sdwa s[18:19], v1, s24 src0_sel:BYTE_0 src1_sel:DWORD
	v_mov_b32_e32 v53, 0x8000
	s_and_saveexec_b64 s[16:17], s[18:19]
	s_cbranch_execz .LBB271_873
; %bb.870:                              ;   in Loop: Header=BB271_606 Depth=1
	v_bfe_u32 v3, v9, 16, 7
	v_cmp_ne_u32_e32 vcc, s25, v3
	v_mov_b32_e32 v53, 0x7c01
	s_and_saveexec_b64 s[18:19], vcc
	s_cbranch_execz .LBB271_872
; %bb.871:                              ;   in Loop: Header=BB271_606 Depth=1
	v_and_b32_e32 v4, 7, v1
	v_ffbh_u32_e32 v16, v4
	v_min_u32_e32 v53, 32, v16
	v_subrev_u32_e32 v16, 28, v53
	v_lshlrev_b64 v[16:17], v16, v[1:2]
	v_lshrrev_b32_e32 v11, 3, v3
	v_sub_u32_e32 v17, 29, v53
	v_cmp_gt_u32_e32 vcc, 8, v3
	v_cndmask_b32_e32 v3, v11, v17, vcc
	v_lshl_add_u32 v3, v3, 10, v14
	v_lshlrev_b32_e32 v1, 8, v1
	v_and_b32_e32 v11, 7, v16
	v_and_b32_e32 v3, 0xfc00, v3
	v_cndmask_b32_e32 v4, v4, v11, vcc
	v_and_or_b32 v1, v1, s26, v3
	v_lshl_or_b32 v53, v4, 7, v1
.LBB271_872:                            ;   in Loop: Header=BB271_606 Depth=1
	s_or_b64 exec, exec, s[18:19]
.LBB271_873:                            ;   in Loop: Header=BB271_606 Depth=1
	s_or_b64 exec, exec, s[16:17]
.LBB271_874:                            ;   in Loop: Header=BB271_606 Depth=1
	s_or_b64 exec, exec, s[12:13]
	v_cmp_lt_u32_e32 vcc, s5, v9
	s_and_saveexec_b64 s[12:13], vcc
	s_cbranch_execz .LBB271_880
; %bb.875:                              ;   in Loop: Header=BB271_606 Depth=1
	v_lshrrev_b32_e32 v1, 24, v9
	v_cmp_ne_u32_e32 vcc, s24, v1
	v_bfrev_b32_e32 v15, 1
	s_and_saveexec_b64 s[16:17], vcc
	s_cbranch_execz .LBB271_879
; %bb.876:                              ;   in Loop: Header=BB271_606 Depth=1
	v_and_b32_e32 v3, 0x7f, v1
	v_cmp_ne_u32_e32 vcc, s25, v3
	v_mov_b32_e32 v15, 0x7c010000
	s_and_saveexec_b64 s[18:19], vcc
	s_cbranch_execz .LBB271_878
; %bb.877:                              ;   in Loop: Header=BB271_606 Depth=1
	v_and_b32_e32 v4, 7, v1
	v_ffbh_u32_e32 v15, v4
	v_min_u32_e32 v17, 32, v15
	v_subrev_u32_e32 v15, 28, v17
	v_lshlrev_b64 v[15:16], v15, v[1:2]
	v_lshrrev_b32_e32 v11, 3, v3
	v_sub_u32_e32 v16, 29, v17
	v_cmp_gt_u32_e32 vcc, 8, v3
	v_cndmask_b32_e32 v3, v11, v16, vcc
	v_lshlrev_b32_e32 v1, 8, v1
	v_lshl_add_u32 v3, v3, 10, v14
	v_and_b32_e32 v11, 7, v15
	v_and_or_b32 v1, v1, s26, v3
	v_cndmask_b32_e32 v4, v4, v11, vcc
	v_lshlrev_b32_e32 v1, 16, v1
	v_lshl_or_b32 v15, v4, 23, v1
.LBB271_878:                            ;   in Loop: Header=BB271_606 Depth=1
	s_or_b64 exec, exec, s[18:19]
.LBB271_879:                            ;   in Loop: Header=BB271_606 Depth=1
	s_or_b64 exec, exec, s[16:17]
.LBB271_880:                            ;   in Loop: Header=BB271_606 Depth=1
	s_or_b64 exec, exec, s[12:13]
	v_mov_b32_e32 v1, v10
	v_cmp_ne_u16_sdwa s[16:17], v10, v2 src0_sel:BYTE_0 src1_sel:DWORD
	v_mov_b32_e32 v54, 0
	v_mov_b32_e32 v11, 0
	s_and_saveexec_b64 s[12:13], s[16:17]
	s_cbranch_execz .LBB271_886
; %bb.881:                              ;   in Loop: Header=BB271_606 Depth=1
	v_cmp_ne_u16_sdwa s[18:19], v10, s24 src0_sel:BYTE_0 src1_sel:DWORD
	v_mov_b32_e32 v11, 0x8000
	s_and_saveexec_b64 s[16:17], s[18:19]
	s_cbranch_execz .LBB271_885
; %bb.882:                              ;   in Loop: Header=BB271_606 Depth=1
	v_and_b32_e32 v3, 0x7f, v10
	v_cmp_ne_u32_e32 vcc, s25, v3
	v_mov_b32_e32 v11, 0x7c01
	s_and_saveexec_b64 s[18:19], vcc
	s_cbranch_execz .LBB271_884
; %bb.883:                              ;   in Loop: Header=BB271_606 Depth=1
	v_and_b32_e32 v11, 7, v10
	v_lshrrev_b32_e32 v16, 3, v3
	v_cmp_gt_u32_e32 vcc, 8, v3
	v_ffbh_u32_e32 v3, v11
	v_min_u32_e32 v17, 32, v3
	v_subrev_u32_e32 v3, 28, v17
	v_lshlrev_b64 v[3:4], v3, v[1:2]
	v_sub_u32_e32 v4, 29, v17
	v_cndmask_b32_e32 v4, v16, v4, vcc
	v_lshl_add_u32 v4, v4, 10, v14
	v_lshlrev_b32_e32 v16, 8, v10
	v_and_b32_e32 v3, 7, v3
	v_and_b32_e32 v4, 0xfc00, v4
	v_cndmask_b32_e32 v3, v11, v3, vcc
	v_and_or_b32 v4, v16, s26, v4
	v_lshl_or_b32 v11, v3, 7, v4
.LBB271_884:                            ;   in Loop: Header=BB271_606 Depth=1
	s_or_b64 exec, exec, s[18:19]
.LBB271_885:                            ;   in Loop: Header=BB271_606 Depth=1
	s_or_b64 exec, exec, s[16:17]
.LBB271_886:                            ;   in Loop: Header=BB271_606 Depth=1
	s_or_b64 exec, exec, s[12:13]
	v_lshrrev_b16_e32 v1, 8, v1
	v_cmp_ne_u16_e32 vcc, 0, v1
	v_mov_b32_e32 v16, 0
	s_and_saveexec_b64 s[12:13], vcc
	s_cbranch_execz .LBB271_892
; %bb.887:                              ;   in Loop: Header=BB271_606 Depth=1
	v_cmp_ne_u16_e32 vcc, s24, v1
	v_bfrev_b32_e32 v16, 1
	s_and_saveexec_b64 s[16:17], vcc
	s_cbranch_execz .LBB271_891
; %bb.888:                              ;   in Loop: Header=BB271_606 Depth=1
	v_and_b32_e32 v3, 0x7f, v1
	v_cmp_ne_u32_e32 vcc, s25, v3
	v_mov_b32_e32 v16, 0x7c010000
	s_and_saveexec_b64 s[18:19], vcc
	s_cbranch_execz .LBB271_890
; %bb.889:                              ;   in Loop: Header=BB271_606 Depth=1
	v_and_b32_e32 v16, 7, v1
	v_lshrrev_b32_e32 v17, 3, v3
	v_cmp_gt_u32_e32 vcc, 8, v3
	v_ffbh_u32_e32 v3, v16
	v_min_u32_e32 v55, 32, v3
	v_subrev_u32_e32 v3, 28, v55
	v_lshlrev_b64 v[3:4], v3, v[1:2]
	v_sub_u32_e32 v4, 29, v55
	v_cndmask_b32_e32 v4, v17, v4, vcc
	v_lshlrev_b32_e32 v1, 8, v1
	v_lshl_add_u32 v4, v4, 10, v14
	v_and_b32_e32 v3, 7, v3
	v_and_or_b32 v1, v1, s26, v4
	v_cndmask_b32_e32 v3, v16, v3, vcc
	v_lshlrev_b32_e32 v1, 16, v1
	v_lshl_or_b32 v16, v3, 23, v1
.LBB271_890:                            ;   in Loop: Header=BB271_606 Depth=1
	s_or_b64 exec, exec, s[18:19]
.LBB271_891:                            ;   in Loop: Header=BB271_606 Depth=1
	s_or_b64 exec, exec, s[16:17]
.LBB271_892:                            ;   in Loop: Header=BB271_606 Depth=1
	s_or_b64 exec, exec, s[12:13]
	v_lshrrev_b32_e32 v1, 16, v10
	v_cmp_ne_u16_sdwa s[16:17], v1, v2 src0_sel:BYTE_0 src1_sel:DWORD
	s_and_saveexec_b64 s[12:13], s[16:17]
	s_cbranch_execz .LBB271_898
; %bb.893:                              ;   in Loop: Header=BB271_606 Depth=1
	v_cmp_ne_u16_sdwa s[18:19], v1, s24 src0_sel:BYTE_0 src1_sel:DWORD
	v_mov_b32_e32 v54, 0x8000
	s_and_saveexec_b64 s[16:17], s[18:19]
	s_cbranch_execz .LBB271_897
; %bb.894:                              ;   in Loop: Header=BB271_606 Depth=1
	v_bfe_u32 v3, v10, 16, 7
	v_cmp_ne_u32_e32 vcc, s25, v3
	v_mov_b32_e32 v54, 0x7c01
	s_and_saveexec_b64 s[18:19], vcc
	s_cbranch_execz .LBB271_896
; %bb.895:                              ;   in Loop: Header=BB271_606 Depth=1
	v_and_b32_e32 v17, 7, v1
	v_lshrrev_b32_e32 v54, 3, v3
	v_cmp_gt_u32_e32 vcc, 8, v3
	v_ffbh_u32_e32 v3, v17
	v_min_u32_e32 v55, 32, v3
	v_subrev_u32_e32 v3, 28, v55
	v_lshlrev_b64 v[3:4], v3, v[1:2]
	v_sub_u32_e32 v4, 29, v55
	v_cndmask_b32_e32 v4, v54, v4, vcc
	v_lshl_add_u32 v4, v4, 10, v14
	v_lshlrev_b32_e32 v1, 8, v1
	v_and_b32_e32 v3, 7, v3
	v_and_b32_e32 v4, 0xfc00, v4
	v_cndmask_b32_e32 v3, v17, v3, vcc
	v_and_or_b32 v1, v1, s26, v4
	v_lshl_or_b32 v54, v3, 7, v1
.LBB271_896:                            ;   in Loop: Header=BB271_606 Depth=1
	s_or_b64 exec, exec, s[18:19]
.LBB271_897:                            ;   in Loop: Header=BB271_606 Depth=1
	s_or_b64 exec, exec, s[16:17]
.LBB271_898:                            ;   in Loop: Header=BB271_606 Depth=1
	s_or_b64 exec, exec, s[12:13]
	v_cmp_lt_u64_e32 vcc, s[4:5], v[9:10]
	v_mov_b32_e32 v9, 0
	s_and_saveexec_b64 s[12:13], vcc
	s_cbranch_execz .LBB271_904
; %bb.899:                              ;   in Loop: Header=BB271_606 Depth=1
	v_lshrrev_b32_e32 v1, 24, v10
	v_cmp_ne_u32_e32 vcc, s24, v1
	v_bfrev_b32_e32 v9, 1
	s_and_saveexec_b64 s[16:17], vcc
	s_cbranch_execz .LBB271_903
; %bb.900:                              ;   in Loop: Header=BB271_606 Depth=1
	v_and_b32_e32 v3, 0x7f, v1
	v_cmp_ne_u32_e32 vcc, s25, v3
	v_mov_b32_e32 v9, 0x7c010000
	s_and_saveexec_b64 s[18:19], vcc
	s_cbranch_execz .LBB271_902
; %bb.901:                              ;   in Loop: Header=BB271_606 Depth=1
	v_and_b32_e32 v9, 7, v1
	v_lshrrev_b32_e32 v10, 3, v3
	v_cmp_gt_u32_e32 vcc, 8, v3
	v_ffbh_u32_e32 v3, v9
	v_min_u32_e32 v17, 32, v3
	v_subrev_u32_e32 v3, 28, v17
	v_lshlrev_b64 v[3:4], v3, v[1:2]
	v_sub_u32_e32 v4, 29, v17
	v_cndmask_b32_e32 v4, v10, v4, vcc
	v_lshlrev_b32_e32 v1, 8, v1
	v_lshl_add_u32 v4, v4, 10, v14
	v_and_b32_e32 v3, 7, v3
	v_and_or_b32 v1, v1, s26, v4
	v_cndmask_b32_e32 v3, v9, v3, vcc
	v_lshlrev_b32_e32 v1, 16, v1
	v_lshl_or_b32 v9, v3, 23, v1
.LBB271_902:                            ;   in Loop: Header=BB271_606 Depth=1
	s_or_b64 exec, exec, s[18:19]
.LBB271_903:                            ;   in Loop: Header=BB271_606 Depth=1
	s_or_b64 exec, exec, s[16:17]
.LBB271_904:                            ;   in Loop: Header=BB271_606 Depth=1
	s_or_b64 exec, exec, s[12:13]
	s_waitcnt vmcnt(0)
	v_fma_mixlo_f16 v3, v0, v15, 0 op_sel:[0,1,0] op_sel_hi:[0,1,0]
	v_fma_mixlo_f16 v10, v0, v12, 0 op_sel:[0,1,0] op_sel_hi:[0,1,0]
	v_or_b32_e32 v1, v15, v53
	v_lshlrev_b32_e32 v4, 16, v3
	v_or_b32_e32 v3, v12, v52
	v_lshlrev_b32_e32 v12, 16, v10
	v_or_b32_e32 v10, v16, v11
	v_or_b32_e32 v17, v9, v54
	v_fma_mixlo_f16 v1, v0, v1, 0 op_sel_hi:[0,1,0]
	v_fma_mixlo_f16 v3, v0, v3, 0 op_sel_hi:[0,1,0]
	v_fma_mixlo_f16 v11, v0, v16, 0 op_sel:[0,1,0] op_sel_hi:[0,1,0]
	v_fma_mixlo_f16 v10, v0, v10, 0 op_sel_hi:[0,1,0]
	v_fma_mixlo_f16 v17, v0, v17, 0 op_sel_hi:[0,1,0]
	v_fma_mixlo_f16 v0, v0, v9, 0 op_sel:[0,1,0] op_sel_hi:[0,1,0]
	v_and_b32_e32 v15, 0xffff, v1
	v_and_b32_e32 v52, 0xffff, v3
	v_lshlrev_b32_e32 v11, 16, v11
	v_and_b32_e32 v16, 0xffff, v10
	v_lshlrev_b32_e32 v0, 16, v0
	v_and_b32_e32 v9, 0xffff, v17
	v_or_b32_e32 v1, v4, v15
	v_or_b32_e32 v3, v12, v52
	;; [unrolled: 1-line block ×4, first 2 shown]
	s_and_saveexec_b64 s[12:13], s[0:1]
	s_cbranch_execz .LBB271_906
; %bb.905:                              ;   in Loop: Header=BB271_606 Depth=1
	v_cmp_gt_i32_e32 vcc, s30, v31
	v_cndmask_b32_e32 v1, 0, v52, vcc
	v_cmp_gt_i32_e32 vcc, s30, v41
	v_cndmask_b32_e32 v3, 0, v12, vcc
	v_cmp_gt_i32_e32 vcc, s30, v40
	v_or_b32_e32 v3, v3, v1
	v_cndmask_b32_e32 v1, 0, v15, vcc
	v_cmp_gt_i32_e32 vcc, s30, v39
	v_cndmask_b32_e32 v4, 0, v4, vcc
	v_cmp_gt_i32_e32 vcc, s30, v34
	v_or_b32_e32 v1, v4, v1
	;; [unrolled: 5-line block ×3, first 2 shown]
	v_cndmask_b32_e32 v4, 0, v9, vcc
	v_cmp_gt_i32_e32 vcc, s30, v13
	v_cndmask_b32_e32 v0, 0, v0, vcc
	v_or_b32_e32 v17, v0, v4
.LBB271_906:                            ;   in Loop: Header=BB271_606 Depth=1
	s_or_b64 exec, exec, s[12:13]
	;;#ASMSTART
	v_pk_mul_f16 v0, v35, v3;

	;;#ASMEND
	;;#ASMSTART
	v_pk_mul_f16 v1, v36, v1;

	;;#ASMEND
	;; [unrolled: 4-line block ×4, first 2 shown]
	;;#ASMSTART
	v_pk_add_f16 v0, v0, v1;

	;;#ASMEND
	;;#ASMSTART
	v_pk_add_f16 v0, v0, v3;

	;;#ASMEND
	;; [unrolled: 4-line block ×3, first 2 shown]
	v_lshrrev_b32_e32 v1, 16, v0
	v_and_b32_e32 v0, 0xffff, v0
	;;#ASMSTART
	v_cvt_f32_f16 v52, v0;
	;;#ASMEND
	;;#ASMSTART
	v_cvt_f32_f16 v53, v1;
	;;#ASMEND
	global_load_dwordx2 v[9:10], v[7:8], off offset:3072
	v_mov_b32_e32 v12, 0
	global_load_dword v0, v12, s[14:15]
	v_mov_b32_e32 v54, 0
	s_waitcnt vmcnt(1)
	v_cmp_ne_u16_sdwa s[16:17], v9, v2 src0_sel:BYTE_0 src1_sel:DWORD
	s_and_saveexec_b64 s[12:13], s[16:17]
	s_cbranch_execz .LBB271_912
; %bb.907:                              ;   in Loop: Header=BB271_606 Depth=1
	v_cmp_ne_u16_sdwa s[18:19], v9, s24 src0_sel:BYTE_0 src1_sel:DWORD
	v_mov_b32_e32 v54, 0x8000
	s_and_saveexec_b64 s[16:17], s[18:19]
	s_cbranch_execz .LBB271_911
; %bb.908:                              ;   in Loop: Header=BB271_606 Depth=1
	v_and_b32_e32 v1, 0x7f, v9
	v_cmp_ne_u32_e32 vcc, s25, v1
	v_mov_b32_e32 v54, 0x7c01
	s_and_saveexec_b64 s[18:19], vcc
	s_cbranch_execz .LBB271_910
; %bb.909:                              ;   in Loop: Header=BB271_606 Depth=1
	v_and_b32_e32 v11, 7, v9
	v_ffbh_u32_e32 v3, v11
	v_min_u32_e32 v16, 32, v3
	v_subrev_u32_e32 v3, 28, v16
	v_lshlrev_b64 v[3:4], v3, v[9:10]
	v_lshrrev_b32_e32 v15, 3, v1
	v_sub_u32_e32 v4, 29, v16
	v_cmp_gt_u32_e32 vcc, 8, v1
	v_cndmask_b32_e32 v1, v15, v4, vcc
	v_lshl_add_u32 v1, v1, 10, v14
	v_lshlrev_b32_e32 v4, 8, v9
	v_and_b32_e32 v3, 7, v3
	v_and_b32_e32 v1, 0xfc00, v1
	v_cndmask_b32_e32 v3, v11, v3, vcc
	v_and_or_b32 v1, v4, s26, v1
	v_lshl_or_b32 v54, v3, 7, v1
.LBB271_910:                            ;   in Loop: Header=BB271_606 Depth=1
	s_or_b64 exec, exec, s[18:19]
.LBB271_911:                            ;   in Loop: Header=BB271_606 Depth=1
	s_or_b64 exec, exec, s[16:17]
.LBB271_912:                            ;   in Loop: Header=BB271_606 Depth=1
	s_or_b64 exec, exec, s[12:13]
	v_lshrrev_b16_e32 v1, 8, v9
	v_cmp_ne_u16_e32 vcc, 0, v1
	s_and_saveexec_b64 s[12:13], vcc
	s_cbranch_execz .LBB271_918
; %bb.913:                              ;   in Loop: Header=BB271_606 Depth=1
	v_cmp_ne_u16_e32 vcc, s24, v1
	v_bfrev_b32_e32 v12, 1
	s_and_saveexec_b64 s[16:17], vcc
	s_cbranch_execz .LBB271_917
; %bb.914:                              ;   in Loop: Header=BB271_606 Depth=1
	v_and_b32_e32 v3, 0x7f, v1
	v_cmp_ne_u32_e32 vcc, s25, v3
	v_mov_b32_e32 v12, 0x7c010000
	s_and_saveexec_b64 s[18:19], vcc
	s_cbranch_execz .LBB271_916
; %bb.915:                              ;   in Loop: Header=BB271_606 Depth=1
	v_and_b32_e32 v4, 7, v1
	v_ffbh_u32_e32 v11, v4
	v_min_u32_e32 v16, 32, v11
	v_subrev_u32_e32 v11, 28, v16
	v_lshlrev_b64 v[11:12], v11, v[1:2]
	v_lshrrev_b32_e32 v15, 3, v3
	v_sub_u32_e32 v12, 29, v16
	v_cmp_gt_u32_e32 vcc, 8, v3
	v_cndmask_b32_e32 v3, v15, v12, vcc
	v_lshlrev_b32_e32 v1, 8, v1
	v_lshl_add_u32 v3, v3, 10, v14
	v_and_b32_e32 v11, 7, v11
	v_and_or_b32 v1, v1, s26, v3
	v_cndmask_b32_e32 v4, v4, v11, vcc
	v_lshlrev_b32_e32 v1, 16, v1
	v_lshl_or_b32 v12, v4, 23, v1
.LBB271_916:                            ;   in Loop: Header=BB271_606 Depth=1
	s_or_b64 exec, exec, s[18:19]
.LBB271_917:                            ;   in Loop: Header=BB271_606 Depth=1
	s_or_b64 exec, exec, s[16:17]
.LBB271_918:                            ;   in Loop: Header=BB271_606 Depth=1
	s_or_b64 exec, exec, s[12:13]
	v_lshrrev_b32_e32 v1, 16, v9
	v_cmp_ne_u16_sdwa s[16:17], v1, v2 src0_sel:BYTE_0 src1_sel:DWORD
	v_mov_b32_e32 v55, 0
	v_mov_b32_e32 v56, 0
	s_and_saveexec_b64 s[12:13], s[16:17]
	s_cbranch_execz .LBB271_924
; %bb.919:                              ;   in Loop: Header=BB271_606 Depth=1
	v_cmp_ne_u16_sdwa s[18:19], v1, s24 src0_sel:BYTE_0 src1_sel:DWORD
	v_mov_b32_e32 v56, 0x8000
	s_and_saveexec_b64 s[16:17], s[18:19]
	s_cbranch_execz .LBB271_923
; %bb.920:                              ;   in Loop: Header=BB271_606 Depth=1
	v_bfe_u32 v3, v9, 16, 7
	v_cmp_ne_u32_e32 vcc, s25, v3
	v_mov_b32_e32 v56, 0x7c01
	s_and_saveexec_b64 s[18:19], vcc
	s_cbranch_execz .LBB271_922
; %bb.921:                              ;   in Loop: Header=BB271_606 Depth=1
	v_and_b32_e32 v11, 7, v1
	v_lshrrev_b32_e32 v15, 3, v3
	v_cmp_gt_u32_e32 vcc, 8, v3
	v_ffbh_u32_e32 v3, v11
	v_min_u32_e32 v16, 32, v3
	v_subrev_u32_e32 v3, 28, v16
	v_lshlrev_b64 v[3:4], v3, v[1:2]
	v_sub_u32_e32 v4, 29, v16
	v_cndmask_b32_e32 v4, v15, v4, vcc
	v_lshl_add_u32 v4, v4, 10, v14
	v_lshlrev_b32_e32 v1, 8, v1
	v_and_b32_e32 v3, 7, v3
	v_and_b32_e32 v4, 0xfc00, v4
	v_cndmask_b32_e32 v3, v11, v3, vcc
	v_and_or_b32 v1, v1, s26, v4
	v_lshl_or_b32 v56, v3, 7, v1
.LBB271_922:                            ;   in Loop: Header=BB271_606 Depth=1
	s_or_b64 exec, exec, s[18:19]
.LBB271_923:                            ;   in Loop: Header=BB271_606 Depth=1
	s_or_b64 exec, exec, s[16:17]
.LBB271_924:                            ;   in Loop: Header=BB271_606 Depth=1
	s_or_b64 exec, exec, s[12:13]
	v_cmp_lt_u32_e32 vcc, s5, v9
	s_and_saveexec_b64 s[12:13], vcc
	s_cbranch_execz .LBB271_930
; %bb.925:                              ;   in Loop: Header=BB271_606 Depth=1
	v_lshrrev_b32_e32 v1, 24, v9
	v_cmp_ne_u32_e32 vcc, s24, v1
	v_bfrev_b32_e32 v55, 1
	s_and_saveexec_b64 s[16:17], vcc
	s_cbranch_execz .LBB271_929
; %bb.926:                              ;   in Loop: Header=BB271_606 Depth=1
	v_and_b32_e32 v3, 0x7f, v1
	v_cmp_ne_u32_e32 vcc, s25, v3
	v_mov_b32_e32 v55, 0x7c010000
	s_and_saveexec_b64 s[18:19], vcc
	s_cbranch_execz .LBB271_928
; %bb.927:                              ;   in Loop: Header=BB271_606 Depth=1
	v_and_b32_e32 v11, 7, v1
	v_lshrrev_b32_e32 v15, 3, v3
	v_cmp_gt_u32_e32 vcc, 8, v3
	v_ffbh_u32_e32 v3, v11
	v_min_u32_e32 v16, 32, v3
	v_subrev_u32_e32 v3, 28, v16
	v_lshlrev_b64 v[3:4], v3, v[1:2]
	v_sub_u32_e32 v4, 29, v16
	v_cndmask_b32_e32 v4, v15, v4, vcc
	v_lshlrev_b32_e32 v1, 8, v1
	v_lshl_add_u32 v4, v4, 10, v14
	v_and_b32_e32 v3, 7, v3
	v_and_or_b32 v1, v1, s26, v4
	v_cndmask_b32_e32 v3, v11, v3, vcc
	v_lshlrev_b32_e32 v1, 16, v1
	v_lshl_or_b32 v55, v3, 23, v1
.LBB271_928:                            ;   in Loop: Header=BB271_606 Depth=1
	s_or_b64 exec, exec, s[18:19]
.LBB271_929:                            ;   in Loop: Header=BB271_606 Depth=1
	s_or_b64 exec, exec, s[16:17]
.LBB271_930:                            ;   in Loop: Header=BB271_606 Depth=1
	s_or_b64 exec, exec, s[12:13]
	v_mov_b32_e32 v1, v10
	v_cmp_ne_u16_sdwa s[16:17], v10, v2 src0_sel:BYTE_0 src1_sel:DWORD
	v_mov_b32_e32 v15, 0
	v_mov_b32_e32 v11, 0
	s_and_saveexec_b64 s[12:13], s[16:17]
	s_cbranch_execz .LBB271_936
; %bb.931:                              ;   in Loop: Header=BB271_606 Depth=1
	v_cmp_ne_u16_sdwa s[18:19], v10, s24 src0_sel:BYTE_0 src1_sel:DWORD
	v_mov_b32_e32 v11, 0x8000
	s_and_saveexec_b64 s[16:17], s[18:19]
	s_cbranch_execz .LBB271_935
; %bb.932:                              ;   in Loop: Header=BB271_606 Depth=1
	v_and_b32_e32 v3, 0x7f, v10
	v_cmp_ne_u32_e32 vcc, s25, v3
	v_mov_b32_e32 v11, 0x7c01
	s_and_saveexec_b64 s[18:19], vcc
	s_cbranch_execz .LBB271_934
; %bb.933:                              ;   in Loop: Header=BB271_606 Depth=1
	v_and_b32_e32 v11, 7, v10
	v_lshrrev_b32_e32 v16, 3, v3
	v_cmp_gt_u32_e32 vcc, 8, v3
	v_ffbh_u32_e32 v3, v11
	v_min_u32_e32 v17, 32, v3
	v_subrev_u32_e32 v3, 28, v17
	v_lshlrev_b64 v[3:4], v3, v[1:2]
	v_sub_u32_e32 v4, 29, v17
	v_cndmask_b32_e32 v4, v16, v4, vcc
	v_lshl_add_u32 v4, v4, 10, v14
	v_lshlrev_b32_e32 v16, 8, v10
	v_and_b32_e32 v3, 7, v3
	v_and_b32_e32 v4, 0xfc00, v4
	v_cndmask_b32_e32 v3, v11, v3, vcc
	v_and_or_b32 v4, v16, s26, v4
	v_lshl_or_b32 v11, v3, 7, v4
.LBB271_934:                            ;   in Loop: Header=BB271_606 Depth=1
	s_or_b64 exec, exec, s[18:19]
.LBB271_935:                            ;   in Loop: Header=BB271_606 Depth=1
	s_or_b64 exec, exec, s[16:17]
.LBB271_936:                            ;   in Loop: Header=BB271_606 Depth=1
	s_or_b64 exec, exec, s[12:13]
	v_lshrrev_b16_e32 v1, 8, v1
	v_cmp_ne_u16_e32 vcc, 0, v1
	v_mov_b32_e32 v16, 0
	s_and_saveexec_b64 s[12:13], vcc
	s_cbranch_execz .LBB271_942
; %bb.937:                              ;   in Loop: Header=BB271_606 Depth=1
	v_cmp_ne_u16_e32 vcc, s24, v1
	v_bfrev_b32_e32 v16, 1
	s_and_saveexec_b64 s[16:17], vcc
	s_cbranch_execz .LBB271_941
; %bb.938:                              ;   in Loop: Header=BB271_606 Depth=1
	v_and_b32_e32 v3, 0x7f, v1
	v_cmp_ne_u32_e32 vcc, s25, v3
	v_mov_b32_e32 v16, 0x7c010000
	s_and_saveexec_b64 s[18:19], vcc
	s_cbranch_execz .LBB271_940
; %bb.939:                              ;   in Loop: Header=BB271_606 Depth=1
	v_and_b32_e32 v16, 7, v1
	v_lshrrev_b32_e32 v17, 3, v3
	v_cmp_gt_u32_e32 vcc, 8, v3
	v_ffbh_u32_e32 v3, v16
	v_min_u32_e32 v57, 32, v3
	v_subrev_u32_e32 v3, 28, v57
	v_lshlrev_b64 v[3:4], v3, v[1:2]
	v_sub_u32_e32 v4, 29, v57
	v_cndmask_b32_e32 v4, v17, v4, vcc
	v_lshlrev_b32_e32 v1, 8, v1
	v_lshl_add_u32 v4, v4, 10, v14
	v_and_b32_e32 v3, 7, v3
	v_and_or_b32 v1, v1, s26, v4
	v_cndmask_b32_e32 v3, v16, v3, vcc
	v_lshlrev_b32_e32 v1, 16, v1
	v_lshl_or_b32 v16, v3, 23, v1
.LBB271_940:                            ;   in Loop: Header=BB271_606 Depth=1
	s_or_b64 exec, exec, s[18:19]
.LBB271_941:                            ;   in Loop: Header=BB271_606 Depth=1
	s_or_b64 exec, exec, s[16:17]
.LBB271_942:                            ;   in Loop: Header=BB271_606 Depth=1
	s_or_b64 exec, exec, s[12:13]
	v_lshrrev_b32_e32 v1, 16, v10
	v_cmp_ne_u16_sdwa s[16:17], v1, v2 src0_sel:BYTE_0 src1_sel:DWORD
	s_and_saveexec_b64 s[12:13], s[16:17]
	s_cbranch_execz .LBB271_948
; %bb.943:                              ;   in Loop: Header=BB271_606 Depth=1
	v_cmp_ne_u16_sdwa s[18:19], v1, s24 src0_sel:BYTE_0 src1_sel:DWORD
	v_mov_b32_e32 v15, 0x8000
	s_and_saveexec_b64 s[16:17], s[18:19]
	s_cbranch_execz .LBB271_947
; %bb.944:                              ;   in Loop: Header=BB271_606 Depth=1
	v_bfe_u32 v3, v10, 16, 7
	v_cmp_ne_u32_e32 vcc, s25, v3
	v_mov_b32_e32 v15, 0x7c01
	s_and_saveexec_b64 s[18:19], vcc
	s_cbranch_execz .LBB271_946
; %bb.945:                              ;   in Loop: Header=BB271_606 Depth=1
	v_and_b32_e32 v15, 7, v1
	v_lshrrev_b32_e32 v17, 3, v3
	v_cmp_gt_u32_e32 vcc, 8, v3
	v_ffbh_u32_e32 v3, v15
	v_min_u32_e32 v57, 32, v3
	v_subrev_u32_e32 v3, 28, v57
	v_lshlrev_b64 v[3:4], v3, v[1:2]
	v_sub_u32_e32 v4, 29, v57
	v_cndmask_b32_e32 v4, v17, v4, vcc
	v_lshl_add_u32 v4, v4, 10, v14
	v_lshlrev_b32_e32 v1, 8, v1
	v_and_b32_e32 v3, 7, v3
	v_and_b32_e32 v4, 0xfc00, v4
	v_cndmask_b32_e32 v3, v15, v3, vcc
	v_and_or_b32 v1, v1, s26, v4
	v_lshl_or_b32 v15, v3, 7, v1
.LBB271_946:                            ;   in Loop: Header=BB271_606 Depth=1
	s_or_b64 exec, exec, s[18:19]
.LBB271_947:                            ;   in Loop: Header=BB271_606 Depth=1
	s_or_b64 exec, exec, s[16:17]
.LBB271_948:                            ;   in Loop: Header=BB271_606 Depth=1
	s_or_b64 exec, exec, s[12:13]
	v_cmp_lt_u64_e32 vcc, s[4:5], v[9:10]
	v_mov_b32_e32 v9, 0
	s_and_saveexec_b64 s[12:13], vcc
	s_cbranch_execz .LBB271_954
; %bb.949:                              ;   in Loop: Header=BB271_606 Depth=1
	v_lshrrev_b32_e32 v1, 24, v10
	v_cmp_ne_u32_e32 vcc, s24, v1
	v_bfrev_b32_e32 v9, 1
	s_and_saveexec_b64 s[16:17], vcc
	s_cbranch_execz .LBB271_953
; %bb.950:                              ;   in Loop: Header=BB271_606 Depth=1
	v_and_b32_e32 v3, 0x7f, v1
	v_cmp_ne_u32_e32 vcc, s25, v3
	v_mov_b32_e32 v9, 0x7c010000
	s_and_saveexec_b64 s[18:19], vcc
	s_cbranch_execz .LBB271_952
; %bb.951:                              ;   in Loop: Header=BB271_606 Depth=1
	v_and_b32_e32 v9, 7, v1
	v_lshrrev_b32_e32 v10, 3, v3
	v_cmp_gt_u32_e32 vcc, 8, v3
	v_ffbh_u32_e32 v3, v9
	v_min_u32_e32 v17, 32, v3
	v_subrev_u32_e32 v3, 28, v17
	v_lshlrev_b64 v[3:4], v3, v[1:2]
	v_sub_u32_e32 v4, 29, v17
	v_cndmask_b32_e32 v4, v10, v4, vcc
	v_lshlrev_b32_e32 v1, 8, v1
	v_lshl_add_u32 v4, v4, 10, v14
	v_and_b32_e32 v3, 7, v3
	v_and_or_b32 v1, v1, s26, v4
	v_cndmask_b32_e32 v3, v9, v3, vcc
	v_lshlrev_b32_e32 v1, 16, v1
	v_lshl_or_b32 v9, v3, 23, v1
.LBB271_952:                            ;   in Loop: Header=BB271_606 Depth=1
	s_or_b64 exec, exec, s[18:19]
.LBB271_953:                            ;   in Loop: Header=BB271_606 Depth=1
	s_or_b64 exec, exec, s[16:17]
.LBB271_954:                            ;   in Loop: Header=BB271_606 Depth=1
	s_or_b64 exec, exec, s[12:13]
	s_waitcnt vmcnt(0)
	v_fma_mixlo_f16 v3, v0, v55, 0 op_sel:[0,1,0] op_sel_hi:[0,1,0]
	v_fma_mixlo_f16 v10, v0, v12, 0 op_sel:[0,1,0] op_sel_hi:[0,1,0]
	v_or_b32_e32 v1, v55, v56
	v_lshlrev_b32_e32 v4, 16, v3
	v_or_b32_e32 v3, v12, v54
	v_lshlrev_b32_e32 v12, 16, v10
	v_or_b32_e32 v10, v16, v11
	v_or_b32_e32 v15, v9, v15
	v_fma_mixlo_f16 v1, v0, v1, 0 op_sel_hi:[0,1,0]
	v_fma_mixlo_f16 v3, v0, v3, 0 op_sel_hi:[0,1,0]
	v_fma_mixlo_f16 v11, v0, v16, 0 op_sel:[0,1,0] op_sel_hi:[0,1,0]
	v_fma_mixlo_f16 v10, v0, v10, 0 op_sel_hi:[0,1,0]
	v_fma_mixlo_f16 v15, v0, v15, 0 op_sel_hi:[0,1,0]
	v_fma_mixlo_f16 v0, v0, v9, 0 op_sel:[0,1,0] op_sel_hi:[0,1,0]
	v_and_b32_e32 v17, 0xffff, v1
	v_and_b32_e32 v54, 0xffff, v3
	v_lshlrev_b32_e32 v11, 16, v11
	v_and_b32_e32 v16, 0xffff, v10
	v_lshlrev_b32_e32 v0, 16, v0
	v_and_b32_e32 v9, 0xffff, v15
	v_or_b32_e32 v1, v4, v17
	v_or_b32_e32 v3, v12, v54
	;; [unrolled: 1-line block ×4, first 2 shown]
	s_and_saveexec_b64 s[12:13], s[0:1]
	s_cbranch_execz .LBB271_956
; %bb.955:                              ;   in Loop: Header=BB271_606 Depth=1
	v_cmp_gt_i32_e32 vcc, s30, v31
	v_cndmask_b32_e32 v1, 0, v54, vcc
	v_cmp_gt_i32_e32 vcc, s30, v41
	v_cndmask_b32_e32 v3, 0, v12, vcc
	v_cmp_gt_i32_e32 vcc, s30, v40
	v_or_b32_e32 v3, v3, v1
	v_cndmask_b32_e32 v1, 0, v17, vcc
	v_cmp_gt_i32_e32 vcc, s30, v39
	v_cndmask_b32_e32 v4, 0, v4, vcc
	v_cmp_gt_i32_e32 vcc, s30, v34
	v_or_b32_e32 v1, v4, v1
	;; [unrolled: 5-line block ×3, first 2 shown]
	v_cndmask_b32_e32 v4, 0, v9, vcc
	v_cmp_gt_i32_e32 vcc, s30, v13
	v_cndmask_b32_e32 v0, 0, v0, vcc
	v_or_b32_e32 v15, v0, v4
.LBB271_956:                            ;   in Loop: Header=BB271_606 Depth=1
	s_or_b64 exec, exec, s[12:13]
	;;#ASMSTART
	v_pk_mul_f16 v0, v35, v3;

	;;#ASMEND
	;;#ASMSTART
	v_pk_mul_f16 v1, v36, v1;

	;;#ASMEND
	;; [unrolled: 4-line block ×4, first 2 shown]
	;;#ASMSTART
	v_pk_add_f16 v0, v0, v1;

	;;#ASMEND
	;;#ASMSTART
	v_pk_add_f16 v0, v0, v3;

	;;#ASMEND
	;; [unrolled: 4-line block ×3, first 2 shown]
	v_lshrrev_b32_e32 v1, 16, v0
	v_and_b32_e32 v0, 0xffff, v0
	;;#ASMSTART
	v_cvt_f32_f16 v0, v0;
	;;#ASMEND
	;;#ASMSTART
	v_cvt_f32_f16 v54, v1;
	;;#ASMEND
	global_load_dwordx2 v[9:10], v[7:8], off offset:3584
	v_mov_b32_e32 v56, 0
	global_load_dword v12, v56, s[14:15]
	v_mov_b32_e32 v55, 0
	s_waitcnt vmcnt(1)
	v_cmp_ne_u16_sdwa s[16:17], v9, v2 src0_sel:BYTE_0 src1_sel:DWORD
	s_and_saveexec_b64 s[12:13], s[16:17]
	s_cbranch_execz .LBB271_962
; %bb.957:                              ;   in Loop: Header=BB271_606 Depth=1
	v_cmp_ne_u16_sdwa s[18:19], v9, s24 src0_sel:BYTE_0 src1_sel:DWORD
	v_mov_b32_e32 v55, 0x8000
	s_and_saveexec_b64 s[16:17], s[18:19]
	s_cbranch_execz .LBB271_961
; %bb.958:                              ;   in Loop: Header=BB271_606 Depth=1
	v_and_b32_e32 v1, 0x7f, v9
	v_cmp_ne_u32_e32 vcc, s25, v1
	v_mov_b32_e32 v55, 0x7c01
	s_and_saveexec_b64 s[18:19], vcc
	s_cbranch_execz .LBB271_960
; %bb.959:                              ;   in Loop: Header=BB271_606 Depth=1
	v_and_b32_e32 v11, 7, v9
	v_ffbh_u32_e32 v3, v11
	v_min_u32_e32 v16, 32, v3
	v_subrev_u32_e32 v3, 28, v16
	v_lshlrev_b64 v[3:4], v3, v[9:10]
	v_lshrrev_b32_e32 v15, 3, v1
	v_sub_u32_e32 v4, 29, v16
	v_cmp_gt_u32_e32 vcc, 8, v1
	v_cndmask_b32_e32 v1, v15, v4, vcc
	v_lshl_add_u32 v1, v1, 10, v14
	v_lshlrev_b32_e32 v4, 8, v9
	v_and_b32_e32 v3, 7, v3
	v_and_b32_e32 v1, 0xfc00, v1
	v_cndmask_b32_e32 v3, v11, v3, vcc
	v_and_or_b32 v1, v4, s26, v1
	v_lshl_or_b32 v55, v3, 7, v1
.LBB271_960:                            ;   in Loop: Header=BB271_606 Depth=1
	s_or_b64 exec, exec, s[18:19]
.LBB271_961:                            ;   in Loop: Header=BB271_606 Depth=1
	s_or_b64 exec, exec, s[16:17]
.LBB271_962:                            ;   in Loop: Header=BB271_606 Depth=1
	s_or_b64 exec, exec, s[12:13]
	v_lshrrev_b16_e32 v1, 8, v9
	v_cmp_ne_u16_e32 vcc, 0, v1
	s_and_saveexec_b64 s[12:13], vcc
	s_cbranch_execz .LBB271_968
; %bb.963:                              ;   in Loop: Header=BB271_606 Depth=1
	v_cmp_ne_u16_e32 vcc, s24, v1
	v_bfrev_b32_e32 v56, 1
	s_and_saveexec_b64 s[16:17], vcc
	s_cbranch_execz .LBB271_967
; %bb.964:                              ;   in Loop: Header=BB271_606 Depth=1
	v_and_b32_e32 v3, 0x7f, v1
	v_cmp_ne_u32_e32 vcc, s25, v3
	v_mov_b32_e32 v56, 0x7c010000
	s_and_saveexec_b64 s[18:19], vcc
	s_cbranch_execz .LBB271_966
; %bb.965:                              ;   in Loop: Header=BB271_606 Depth=1
	v_and_b32_e32 v11, 7, v1
	v_lshrrev_b32_e32 v15, 3, v3
	v_cmp_gt_u32_e32 vcc, 8, v3
	v_ffbh_u32_e32 v3, v11
	v_min_u32_e32 v16, 32, v3
	v_subrev_u32_e32 v3, 28, v16
	v_lshlrev_b64 v[3:4], v3, v[1:2]
	v_sub_u32_e32 v4, 29, v16
	v_cndmask_b32_e32 v4, v15, v4, vcc
	v_lshlrev_b32_e32 v1, 8, v1
	v_lshl_add_u32 v4, v4, 10, v14
	v_and_b32_e32 v3, 7, v3
	v_and_or_b32 v1, v1, s26, v4
	v_cndmask_b32_e32 v3, v11, v3, vcc
	v_lshlrev_b32_e32 v1, 16, v1
	v_lshl_or_b32 v56, v3, 23, v1
.LBB271_966:                            ;   in Loop: Header=BB271_606 Depth=1
	s_or_b64 exec, exec, s[18:19]
.LBB271_967:                            ;   in Loop: Header=BB271_606 Depth=1
	s_or_b64 exec, exec, s[16:17]
.LBB271_968:                            ;   in Loop: Header=BB271_606 Depth=1
	s_or_b64 exec, exec, s[12:13]
	v_lshrrev_b32_e32 v1, 16, v9
	v_cmp_ne_u16_sdwa s[16:17], v1, v2 src0_sel:BYTE_0 src1_sel:DWORD
	v_mov_b32_e32 v57, 0
	v_mov_b32_e32 v58, 0
	s_and_saveexec_b64 s[12:13], s[16:17]
	s_cbranch_execz .LBB271_974
; %bb.969:                              ;   in Loop: Header=BB271_606 Depth=1
	v_cmp_ne_u16_sdwa s[18:19], v1, s24 src0_sel:BYTE_0 src1_sel:DWORD
	v_mov_b32_e32 v58, 0x8000
	s_and_saveexec_b64 s[16:17], s[18:19]
	s_cbranch_execz .LBB271_973
; %bb.970:                              ;   in Loop: Header=BB271_606 Depth=1
	v_bfe_u32 v3, v9, 16, 7
	v_cmp_ne_u32_e32 vcc, s25, v3
	v_mov_b32_e32 v58, 0x7c01
	s_and_saveexec_b64 s[18:19], vcc
	s_cbranch_execz .LBB271_972
; %bb.971:                              ;   in Loop: Header=BB271_606 Depth=1
	v_and_b32_e32 v11, 7, v1
	v_lshrrev_b32_e32 v15, 3, v3
	v_cmp_gt_u32_e32 vcc, 8, v3
	v_ffbh_u32_e32 v3, v11
	v_min_u32_e32 v16, 32, v3
	v_subrev_u32_e32 v3, 28, v16
	v_lshlrev_b64 v[3:4], v3, v[1:2]
	v_sub_u32_e32 v4, 29, v16
	v_cndmask_b32_e32 v4, v15, v4, vcc
	v_lshl_add_u32 v4, v4, 10, v14
	v_lshlrev_b32_e32 v1, 8, v1
	v_and_b32_e32 v3, 7, v3
	v_and_b32_e32 v4, 0xfc00, v4
	v_cndmask_b32_e32 v3, v11, v3, vcc
	v_and_or_b32 v1, v1, s26, v4
	v_lshl_or_b32 v58, v3, 7, v1
.LBB271_972:                            ;   in Loop: Header=BB271_606 Depth=1
	s_or_b64 exec, exec, s[18:19]
.LBB271_973:                            ;   in Loop: Header=BB271_606 Depth=1
	s_or_b64 exec, exec, s[16:17]
.LBB271_974:                            ;   in Loop: Header=BB271_606 Depth=1
	s_or_b64 exec, exec, s[12:13]
	v_cmp_lt_u32_e32 vcc, s5, v9
	s_and_saveexec_b64 s[12:13], vcc
	s_cbranch_execz .LBB271_980
; %bb.975:                              ;   in Loop: Header=BB271_606 Depth=1
	v_lshrrev_b32_e32 v1, 24, v9
	v_cmp_ne_u32_e32 vcc, s24, v1
	v_bfrev_b32_e32 v57, 1
	s_and_saveexec_b64 s[16:17], vcc
	s_cbranch_execz .LBB271_979
; %bb.976:                              ;   in Loop: Header=BB271_606 Depth=1
	v_and_b32_e32 v3, 0x7f, v1
	v_cmp_ne_u32_e32 vcc, s25, v3
	v_mov_b32_e32 v57, 0x7c010000
	s_and_saveexec_b64 s[18:19], vcc
	s_cbranch_execz .LBB271_978
; %bb.977:                              ;   in Loop: Header=BB271_606 Depth=1
	v_and_b32_e32 v11, 7, v1
	v_lshrrev_b32_e32 v15, 3, v3
	v_cmp_gt_u32_e32 vcc, 8, v3
	v_ffbh_u32_e32 v3, v11
	v_min_u32_e32 v16, 32, v3
	v_subrev_u32_e32 v3, 28, v16
	v_lshlrev_b64 v[3:4], v3, v[1:2]
	v_sub_u32_e32 v4, 29, v16
	v_cndmask_b32_e32 v4, v15, v4, vcc
	v_lshlrev_b32_e32 v1, 8, v1
	v_lshl_add_u32 v4, v4, 10, v14
	v_and_b32_e32 v3, 7, v3
	v_and_or_b32 v1, v1, s26, v4
	v_cndmask_b32_e32 v3, v11, v3, vcc
	v_lshlrev_b32_e32 v1, 16, v1
	v_lshl_or_b32 v57, v3, 23, v1
.LBB271_978:                            ;   in Loop: Header=BB271_606 Depth=1
	s_or_b64 exec, exec, s[18:19]
.LBB271_979:                            ;   in Loop: Header=BB271_606 Depth=1
	s_or_b64 exec, exec, s[16:17]
.LBB271_980:                            ;   in Loop: Header=BB271_606 Depth=1
	s_or_b64 exec, exec, s[12:13]
	v_mov_b32_e32 v1, v10
	v_cmp_ne_u16_sdwa s[16:17], v10, v2 src0_sel:BYTE_0 src1_sel:DWORD
	v_mov_b32_e32 v15, 0
	v_mov_b32_e32 v11, 0
	s_and_saveexec_b64 s[12:13], s[16:17]
	s_cbranch_execz .LBB271_986
; %bb.981:                              ;   in Loop: Header=BB271_606 Depth=1
	v_cmp_ne_u16_sdwa s[18:19], v10, s24 src0_sel:BYTE_0 src1_sel:DWORD
	v_mov_b32_e32 v11, 0x8000
	s_and_saveexec_b64 s[16:17], s[18:19]
	s_cbranch_execz .LBB271_985
; %bb.982:                              ;   in Loop: Header=BB271_606 Depth=1
	v_and_b32_e32 v3, 0x7f, v10
	v_cmp_ne_u32_e32 vcc, s25, v3
	v_mov_b32_e32 v11, 0x7c01
	s_and_saveexec_b64 s[18:19], vcc
	s_cbranch_execz .LBB271_984
; %bb.983:                              ;   in Loop: Header=BB271_606 Depth=1
	v_and_b32_e32 v11, 7, v10
	v_lshrrev_b32_e32 v16, 3, v3
	v_cmp_gt_u32_e32 vcc, 8, v3
	v_ffbh_u32_e32 v3, v11
	v_min_u32_e32 v17, 32, v3
	v_subrev_u32_e32 v3, 28, v17
	v_lshlrev_b64 v[3:4], v3, v[1:2]
	v_sub_u32_e32 v4, 29, v17
	v_cndmask_b32_e32 v4, v16, v4, vcc
	v_lshl_add_u32 v4, v4, 10, v14
	v_lshlrev_b32_e32 v16, 8, v10
	v_and_b32_e32 v3, 7, v3
	v_and_b32_e32 v4, 0xfc00, v4
	v_cndmask_b32_e32 v3, v11, v3, vcc
	v_and_or_b32 v4, v16, s26, v4
	v_lshl_or_b32 v11, v3, 7, v4
.LBB271_984:                            ;   in Loop: Header=BB271_606 Depth=1
	s_or_b64 exec, exec, s[18:19]
.LBB271_985:                            ;   in Loop: Header=BB271_606 Depth=1
	s_or_b64 exec, exec, s[16:17]
.LBB271_986:                            ;   in Loop: Header=BB271_606 Depth=1
	s_or_b64 exec, exec, s[12:13]
	v_lshrrev_b16_e32 v1, 8, v1
	v_cmp_ne_u16_e32 vcc, 0, v1
	v_mov_b32_e32 v16, 0
	s_and_saveexec_b64 s[12:13], vcc
	s_cbranch_execz .LBB271_992
; %bb.987:                              ;   in Loop: Header=BB271_606 Depth=1
	v_cmp_ne_u16_e32 vcc, s24, v1
	v_bfrev_b32_e32 v16, 1
	s_and_saveexec_b64 s[16:17], vcc
	s_cbranch_execz .LBB271_991
; %bb.988:                              ;   in Loop: Header=BB271_606 Depth=1
	v_and_b32_e32 v3, 0x7f, v1
	v_cmp_ne_u32_e32 vcc, s25, v3
	v_mov_b32_e32 v16, 0x7c010000
	s_and_saveexec_b64 s[18:19], vcc
	s_cbranch_execz .LBB271_990
; %bb.989:                              ;   in Loop: Header=BB271_606 Depth=1
	v_and_b32_e32 v16, 7, v1
	v_lshrrev_b32_e32 v17, 3, v3
	v_cmp_gt_u32_e32 vcc, 8, v3
	v_ffbh_u32_e32 v3, v16
	v_min_u32_e32 v59, 32, v3
	v_subrev_u32_e32 v3, 28, v59
	v_lshlrev_b64 v[3:4], v3, v[1:2]
	v_sub_u32_e32 v4, 29, v59
	v_cndmask_b32_e32 v4, v17, v4, vcc
	v_lshlrev_b32_e32 v1, 8, v1
	v_lshl_add_u32 v4, v4, 10, v14
	v_and_b32_e32 v3, 7, v3
	v_and_or_b32 v1, v1, s26, v4
	v_cndmask_b32_e32 v3, v16, v3, vcc
	v_lshlrev_b32_e32 v1, 16, v1
	v_lshl_or_b32 v16, v3, 23, v1
.LBB271_990:                            ;   in Loop: Header=BB271_606 Depth=1
	s_or_b64 exec, exec, s[18:19]
.LBB271_991:                            ;   in Loop: Header=BB271_606 Depth=1
	s_or_b64 exec, exec, s[16:17]
.LBB271_992:                            ;   in Loop: Header=BB271_606 Depth=1
	s_or_b64 exec, exec, s[12:13]
	v_lshrrev_b32_e32 v1, 16, v10
	v_cmp_ne_u16_sdwa s[16:17], v1, v2 src0_sel:BYTE_0 src1_sel:DWORD
	s_and_saveexec_b64 s[12:13], s[16:17]
	s_cbranch_execz .LBB271_998
; %bb.993:                              ;   in Loop: Header=BB271_606 Depth=1
	v_cmp_ne_u16_sdwa s[18:19], v1, s24 src0_sel:BYTE_0 src1_sel:DWORD
	v_mov_b32_e32 v15, 0x8000
	s_and_saveexec_b64 s[16:17], s[18:19]
	s_cbranch_execz .LBB271_997
; %bb.994:                              ;   in Loop: Header=BB271_606 Depth=1
	v_bfe_u32 v3, v10, 16, 7
	v_cmp_ne_u32_e32 vcc, s25, v3
	v_mov_b32_e32 v15, 0x7c01
	s_and_saveexec_b64 s[18:19], vcc
	s_cbranch_execz .LBB271_996
; %bb.995:                              ;   in Loop: Header=BB271_606 Depth=1
	v_and_b32_e32 v15, 7, v1
	v_lshrrev_b32_e32 v17, 3, v3
	v_cmp_gt_u32_e32 vcc, 8, v3
	v_ffbh_u32_e32 v3, v15
	v_min_u32_e32 v59, 32, v3
	v_subrev_u32_e32 v3, 28, v59
	v_lshlrev_b64 v[3:4], v3, v[1:2]
	v_sub_u32_e32 v4, 29, v59
	v_cndmask_b32_e32 v4, v17, v4, vcc
	v_lshl_add_u32 v4, v4, 10, v14
	v_lshlrev_b32_e32 v1, 8, v1
	v_and_b32_e32 v3, 7, v3
	v_and_b32_e32 v4, 0xfc00, v4
	v_cndmask_b32_e32 v3, v15, v3, vcc
	v_and_or_b32 v1, v1, s26, v4
	v_lshl_or_b32 v15, v3, 7, v1
.LBB271_996:                            ;   in Loop: Header=BB271_606 Depth=1
	s_or_b64 exec, exec, s[18:19]
.LBB271_997:                            ;   in Loop: Header=BB271_606 Depth=1
	s_or_b64 exec, exec, s[16:17]
.LBB271_998:                            ;   in Loop: Header=BB271_606 Depth=1
	s_or_b64 exec, exec, s[12:13]
	v_cmp_lt_u64_e32 vcc, s[4:5], v[9:10]
	v_mov_b32_e32 v9, 0
	s_and_saveexec_b64 s[12:13], vcc
	s_cbranch_execz .LBB271_1004
; %bb.999:                              ;   in Loop: Header=BB271_606 Depth=1
	v_lshrrev_b32_e32 v1, 24, v10
	v_cmp_ne_u32_e32 vcc, s24, v1
	v_bfrev_b32_e32 v9, 1
	s_and_saveexec_b64 s[16:17], vcc
	s_cbranch_execz .LBB271_1003
; %bb.1000:                             ;   in Loop: Header=BB271_606 Depth=1
	v_and_b32_e32 v3, 0x7f, v1
	v_cmp_ne_u32_e32 vcc, s25, v3
	v_mov_b32_e32 v9, 0x7c010000
	s_and_saveexec_b64 s[18:19], vcc
	s_cbranch_execz .LBB271_1002
; %bb.1001:                             ;   in Loop: Header=BB271_606 Depth=1
	v_and_b32_e32 v9, 7, v1
	v_lshrrev_b32_e32 v10, 3, v3
	v_cmp_gt_u32_e32 vcc, 8, v3
	v_ffbh_u32_e32 v3, v9
	v_min_u32_e32 v17, 32, v3
	v_subrev_u32_e32 v3, 28, v17
	v_lshlrev_b64 v[3:4], v3, v[1:2]
	v_sub_u32_e32 v4, 29, v17
	v_cndmask_b32_e32 v4, v10, v4, vcc
	v_lshlrev_b32_e32 v1, 8, v1
	v_lshl_add_u32 v4, v4, 10, v14
	v_and_b32_e32 v3, 7, v3
	v_and_or_b32 v1, v1, s26, v4
	v_cndmask_b32_e32 v3, v9, v3, vcc
	v_lshlrev_b32_e32 v1, 16, v1
	v_lshl_or_b32 v9, v3, 23, v1
.LBB271_1002:                           ;   in Loop: Header=BB271_606 Depth=1
	s_or_b64 exec, exec, s[18:19]
.LBB271_1003:                           ;   in Loop: Header=BB271_606 Depth=1
	s_or_b64 exec, exec, s[16:17]
.LBB271_1004:                           ;   in Loop: Header=BB271_606 Depth=1
	s_or_b64 exec, exec, s[12:13]
	s_waitcnt vmcnt(0)
	v_fma_mixlo_f16 v3, v12, v57, 0 op_sel:[0,1,0] op_sel_hi:[0,1,0]
	v_fma_mixlo_f16 v10, v12, v56, 0 op_sel:[0,1,0] op_sel_hi:[0,1,0]
	v_or_b32_e32 v1, v57, v58
	v_lshlrev_b32_e32 v4, 16, v3
	v_or_b32_e32 v3, v56, v55
	v_lshlrev_b32_e32 v55, 16, v10
	v_or_b32_e32 v10, v16, v11
	v_or_b32_e32 v15, v9, v15
	v_fma_mixlo_f16 v1, v12, v1, 0 op_sel_hi:[0,1,0]
	v_fma_mixlo_f16 v3, v12, v3, 0 op_sel_hi:[0,1,0]
	v_fma_mixlo_f16 v11, v12, v16, 0 op_sel:[0,1,0] op_sel_hi:[0,1,0]
	v_fma_mixlo_f16 v10, v12, v10, 0 op_sel_hi:[0,1,0]
	v_fma_mixlo_f16 v15, v12, v15, 0 op_sel_hi:[0,1,0]
	v_fma_mixlo_f16 v9, v12, v9, 0 op_sel:[0,1,0] op_sel_hi:[0,1,0]
	v_and_b32_e32 v17, 0xffff, v1
	v_and_b32_e32 v56, 0xffff, v3
	v_lshlrev_b32_e32 v11, 16, v11
	v_and_b32_e32 v16, 0xffff, v10
	v_lshlrev_b32_e32 v9, 16, v9
	v_and_b32_e32 v12, 0xffff, v15
	v_or_b32_e32 v1, v4, v17
	v_or_b32_e32 v3, v55, v56
	;; [unrolled: 1-line block ×4, first 2 shown]
	s_and_saveexec_b64 s[12:13], s[0:1]
	s_cbranch_execz .LBB271_1006
; %bb.1005:                             ;   in Loop: Header=BB271_606 Depth=1
	v_cmp_gt_i32_e32 vcc, s30, v31
	v_cndmask_b32_e32 v1, 0, v56, vcc
	v_cmp_gt_i32_e32 vcc, s30, v41
	v_cndmask_b32_e32 v3, 0, v55, vcc
	v_cmp_gt_i32_e32 vcc, s30, v40
	v_or_b32_e32 v3, v3, v1
	v_cndmask_b32_e32 v1, 0, v17, vcc
	v_cmp_gt_i32_e32 vcc, s30, v39
	v_cndmask_b32_e32 v4, 0, v4, vcc
	v_cmp_gt_i32_e32 vcc, s30, v34
	v_or_b32_e32 v1, v4, v1
	;; [unrolled: 5-line block ×3, first 2 shown]
	v_cndmask_b32_e32 v4, 0, v12, vcc
	v_cmp_gt_i32_e32 vcc, s30, v13
	v_cndmask_b32_e32 v9, 0, v9, vcc
	v_or_b32_e32 v15, v9, v4
.LBB271_1006:                           ;   in Loop: Header=BB271_606 Depth=1
	s_or_b64 exec, exec, s[12:13]
	;;#ASMSTART
	v_pk_mul_f16 v3, v35, v3;

	;;#ASMEND
	;;#ASMSTART
	v_pk_mul_f16 v1, v36, v1;

	;;#ASMEND
	;; [unrolled: 4-line block ×4, first 2 shown]
	;;#ASMSTART
	v_pk_add_f16 v1, v3, v1;

	;;#ASMEND
	;;#ASMSTART
	v_pk_add_f16 v1, v1, v4;

	;;#ASMEND
	;;#ASMSTART
	v_pk_add_f16 v1, v1, v9;

	;;#ASMEND
	v_lshrrev_b32_e32 v3, 16, v1
	v_and_b32_e32 v1, 0xffff, v1
	;;#ASMSTART
	v_cvt_f32_f16 v12, v1;
	;;#ASMEND
	;;#ASMSTART
	v_cvt_f32_f16 v55, v3;
	;;#ASMEND
	v_add_co_u32_e32 v3, vcc, 0x1000, v7
	v_addc_co_u32_e32 v4, vcc, 0, v8, vcc
	global_load_dwordx2 v[9:10], v[3:4], off
	v_mov_b32_e32 v57, 0
	global_load_dword v56, v57, s[14:15]
	v_mov_b32_e32 v58, 0
	s_waitcnt vmcnt(1)
	v_cmp_ne_u16_sdwa s[16:17], v9, v2 src0_sel:BYTE_0 src1_sel:DWORD
	s_and_saveexec_b64 s[12:13], s[16:17]
	s_cbranch_execz .LBB271_1012
; %bb.1007:                             ;   in Loop: Header=BB271_606 Depth=1
	v_cmp_ne_u16_sdwa s[18:19], v9, s24 src0_sel:BYTE_0 src1_sel:DWORD
	v_mov_b32_e32 v58, 0x8000
	s_and_saveexec_b64 s[16:17], s[18:19]
	s_cbranch_execz .LBB271_1011
; %bb.1008:                             ;   in Loop: Header=BB271_606 Depth=1
	v_and_b32_e32 v1, 0x7f, v9
	v_cmp_ne_u32_e32 vcc, s25, v1
	v_mov_b32_e32 v58, 0x7c01
	s_and_saveexec_b64 s[18:19], vcc
	s_cbranch_execz .LBB271_1010
; %bb.1009:                             ;   in Loop: Header=BB271_606 Depth=1
	v_and_b32_e32 v11, 7, v9
	v_lshrrev_b32_e32 v15, 3, v1
	v_cmp_gt_u32_e32 vcc, 8, v1
	v_ffbh_u32_e32 v1, v11
	v_min_u32_e32 v1, 32, v1
	v_subrev_u32_e32 v3, 28, v1
	v_sub_u32_e32 v1, 29, v1
	v_lshlrev_b64 v[3:4], v3, v[9:10]
	v_cndmask_b32_e32 v1, v15, v1, vcc
	v_lshl_add_u32 v1, v1, 10, v14
	v_lshlrev_b32_e32 v4, 8, v9
	v_and_b32_e32 v3, 7, v3
	v_and_b32_e32 v1, 0xfc00, v1
	v_cndmask_b32_e32 v3, v11, v3, vcc
	v_and_or_b32 v1, v4, s26, v1
	v_lshl_or_b32 v58, v3, 7, v1
.LBB271_1010:                           ;   in Loop: Header=BB271_606 Depth=1
	s_or_b64 exec, exec, s[18:19]
.LBB271_1011:                           ;   in Loop: Header=BB271_606 Depth=1
	s_or_b64 exec, exec, s[16:17]
.LBB271_1012:                           ;   in Loop: Header=BB271_606 Depth=1
	s_or_b64 exec, exec, s[12:13]
	v_lshrrev_b16_e32 v1, 8, v9
	v_cmp_ne_u16_e32 vcc, 0, v1
	s_and_saveexec_b64 s[12:13], vcc
	s_cbranch_execz .LBB271_1018
; %bb.1013:                             ;   in Loop: Header=BB271_606 Depth=1
	v_cmp_ne_u16_e32 vcc, s24, v1
	v_bfrev_b32_e32 v57, 1
	s_and_saveexec_b64 s[16:17], vcc
	s_cbranch_execz .LBB271_1017
; %bb.1014:                             ;   in Loop: Header=BB271_606 Depth=1
	v_and_b32_e32 v3, 0x7f, v1
	v_cmp_ne_u32_e32 vcc, s25, v3
	v_mov_b32_e32 v57, 0x7c010000
	s_and_saveexec_b64 s[18:19], vcc
	s_cbranch_execz .LBB271_1016
; %bb.1015:                             ;   in Loop: Header=BB271_606 Depth=1
	v_and_b32_e32 v11, 7, v1
	v_lshrrev_b32_e32 v15, 3, v3
	v_cmp_gt_u32_e32 vcc, 8, v3
	v_ffbh_u32_e32 v3, v11
	v_min_u32_e32 v16, 32, v3
	v_subrev_u32_e32 v3, 28, v16
	v_lshlrev_b64 v[3:4], v3, v[1:2]
	v_sub_u32_e32 v4, 29, v16
	v_cndmask_b32_e32 v4, v15, v4, vcc
	v_lshlrev_b32_e32 v1, 8, v1
	v_lshl_add_u32 v4, v4, 10, v14
	v_and_b32_e32 v3, 7, v3
	v_and_or_b32 v1, v1, s26, v4
	v_cndmask_b32_e32 v3, v11, v3, vcc
	v_lshlrev_b32_e32 v1, 16, v1
	v_lshl_or_b32 v57, v3, 23, v1
.LBB271_1016:                           ;   in Loop: Header=BB271_606 Depth=1
	s_or_b64 exec, exec, s[18:19]
.LBB271_1017:                           ;   in Loop: Header=BB271_606 Depth=1
	s_or_b64 exec, exec, s[16:17]
.LBB271_1018:                           ;   in Loop: Header=BB271_606 Depth=1
	s_or_b64 exec, exec, s[12:13]
	v_lshrrev_b32_e32 v1, 16, v9
	v_cmp_ne_u16_sdwa s[16:17], v1, v2 src0_sel:BYTE_0 src1_sel:DWORD
	v_mov_b32_e32 v59, 0
	v_mov_b32_e32 v60, 0
	s_and_saveexec_b64 s[12:13], s[16:17]
	s_cbranch_execz .LBB271_1024
; %bb.1019:                             ;   in Loop: Header=BB271_606 Depth=1
	v_cmp_ne_u16_sdwa s[18:19], v1, s24 src0_sel:BYTE_0 src1_sel:DWORD
	v_mov_b32_e32 v60, 0x8000
	s_and_saveexec_b64 s[16:17], s[18:19]
	s_cbranch_execz .LBB271_1023
; %bb.1020:                             ;   in Loop: Header=BB271_606 Depth=1
	v_bfe_u32 v3, v9, 16, 7
	v_cmp_ne_u32_e32 vcc, s25, v3
	v_mov_b32_e32 v60, 0x7c01
	s_and_saveexec_b64 s[18:19], vcc
	s_cbranch_execz .LBB271_1022
; %bb.1021:                             ;   in Loop: Header=BB271_606 Depth=1
	v_and_b32_e32 v11, 7, v1
	v_lshrrev_b32_e32 v15, 3, v3
	v_cmp_gt_u32_e32 vcc, 8, v3
	v_ffbh_u32_e32 v3, v11
	v_min_u32_e32 v16, 32, v3
	v_subrev_u32_e32 v3, 28, v16
	v_lshlrev_b64 v[3:4], v3, v[1:2]
	v_sub_u32_e32 v4, 29, v16
	v_cndmask_b32_e32 v4, v15, v4, vcc
	v_lshl_add_u32 v4, v4, 10, v14
	v_lshlrev_b32_e32 v1, 8, v1
	v_and_b32_e32 v3, 7, v3
	v_and_b32_e32 v4, 0xfc00, v4
	v_cndmask_b32_e32 v3, v11, v3, vcc
	v_and_or_b32 v1, v1, s26, v4
	v_lshl_or_b32 v60, v3, 7, v1
.LBB271_1022:                           ;   in Loop: Header=BB271_606 Depth=1
	s_or_b64 exec, exec, s[18:19]
.LBB271_1023:                           ;   in Loop: Header=BB271_606 Depth=1
	s_or_b64 exec, exec, s[16:17]
.LBB271_1024:                           ;   in Loop: Header=BB271_606 Depth=1
	s_or_b64 exec, exec, s[12:13]
	v_cmp_lt_u32_e32 vcc, s5, v9
	s_and_saveexec_b64 s[12:13], vcc
	s_cbranch_execz .LBB271_1030
; %bb.1025:                             ;   in Loop: Header=BB271_606 Depth=1
	v_lshrrev_b32_e32 v1, 24, v9
	v_cmp_ne_u32_e32 vcc, s24, v1
	v_bfrev_b32_e32 v59, 1
	s_and_saveexec_b64 s[16:17], vcc
	s_cbranch_execz .LBB271_1029
; %bb.1026:                             ;   in Loop: Header=BB271_606 Depth=1
	v_and_b32_e32 v3, 0x7f, v1
	v_cmp_ne_u32_e32 vcc, s25, v3
	v_mov_b32_e32 v59, 0x7c010000
	s_and_saveexec_b64 s[18:19], vcc
	s_cbranch_execz .LBB271_1028
; %bb.1027:                             ;   in Loop: Header=BB271_606 Depth=1
	v_and_b32_e32 v11, 7, v1
	v_lshrrev_b32_e32 v15, 3, v3
	v_cmp_gt_u32_e32 vcc, 8, v3
	v_ffbh_u32_e32 v3, v11
	v_min_u32_e32 v16, 32, v3
	v_subrev_u32_e32 v3, 28, v16
	v_lshlrev_b64 v[3:4], v3, v[1:2]
	v_sub_u32_e32 v4, 29, v16
	v_cndmask_b32_e32 v4, v15, v4, vcc
	v_lshlrev_b32_e32 v1, 8, v1
	v_lshl_add_u32 v4, v4, 10, v14
	v_and_b32_e32 v3, 7, v3
	v_and_or_b32 v1, v1, s26, v4
	v_cndmask_b32_e32 v3, v11, v3, vcc
	v_lshlrev_b32_e32 v1, 16, v1
	v_lshl_or_b32 v59, v3, 23, v1
.LBB271_1028:                           ;   in Loop: Header=BB271_606 Depth=1
	s_or_b64 exec, exec, s[18:19]
.LBB271_1029:                           ;   in Loop: Header=BB271_606 Depth=1
	s_or_b64 exec, exec, s[16:17]
.LBB271_1030:                           ;   in Loop: Header=BB271_606 Depth=1
	s_or_b64 exec, exec, s[12:13]
	v_mov_b32_e32 v1, v10
	v_cmp_ne_u16_sdwa s[16:17], v10, v2 src0_sel:BYTE_0 src1_sel:DWORD
	v_mov_b32_e32 v15, 0
	v_mov_b32_e32 v11, 0
	s_and_saveexec_b64 s[12:13], s[16:17]
	s_cbranch_execz .LBB271_1036
; %bb.1031:                             ;   in Loop: Header=BB271_606 Depth=1
	v_cmp_ne_u16_sdwa s[18:19], v10, s24 src0_sel:BYTE_0 src1_sel:DWORD
	v_mov_b32_e32 v11, 0x8000
	s_and_saveexec_b64 s[16:17], s[18:19]
	s_cbranch_execz .LBB271_1035
; %bb.1032:                             ;   in Loop: Header=BB271_606 Depth=1
	v_and_b32_e32 v3, 0x7f, v10
	v_cmp_ne_u32_e32 vcc, s25, v3
	v_mov_b32_e32 v11, 0x7c01
	s_and_saveexec_b64 s[18:19], vcc
	s_cbranch_execz .LBB271_1034
; %bb.1033:                             ;   in Loop: Header=BB271_606 Depth=1
	v_and_b32_e32 v11, 7, v10
	v_lshrrev_b32_e32 v16, 3, v3
	v_cmp_gt_u32_e32 vcc, 8, v3
	v_ffbh_u32_e32 v3, v11
	v_min_u32_e32 v17, 32, v3
	v_subrev_u32_e32 v3, 28, v17
	v_lshlrev_b64 v[3:4], v3, v[1:2]
	v_sub_u32_e32 v4, 29, v17
	v_cndmask_b32_e32 v4, v16, v4, vcc
	v_lshl_add_u32 v4, v4, 10, v14
	v_lshlrev_b32_e32 v16, 8, v10
	v_and_b32_e32 v3, 7, v3
	v_and_b32_e32 v4, 0xfc00, v4
	v_cndmask_b32_e32 v3, v11, v3, vcc
	v_and_or_b32 v4, v16, s26, v4
	v_lshl_or_b32 v11, v3, 7, v4
.LBB271_1034:                           ;   in Loop: Header=BB271_606 Depth=1
	s_or_b64 exec, exec, s[18:19]
.LBB271_1035:                           ;   in Loop: Header=BB271_606 Depth=1
	s_or_b64 exec, exec, s[16:17]
.LBB271_1036:                           ;   in Loop: Header=BB271_606 Depth=1
	s_or_b64 exec, exec, s[12:13]
	v_lshrrev_b16_e32 v1, 8, v1
	v_cmp_ne_u16_e32 vcc, 0, v1
	v_mov_b32_e32 v16, 0
	s_and_saveexec_b64 s[12:13], vcc
	s_cbranch_execz .LBB271_1042
; %bb.1037:                             ;   in Loop: Header=BB271_606 Depth=1
	v_cmp_ne_u16_e32 vcc, s24, v1
	v_bfrev_b32_e32 v16, 1
	s_and_saveexec_b64 s[16:17], vcc
	s_cbranch_execz .LBB271_1041
; %bb.1038:                             ;   in Loop: Header=BB271_606 Depth=1
	v_and_b32_e32 v3, 0x7f, v1
	v_cmp_ne_u32_e32 vcc, s25, v3
	v_mov_b32_e32 v16, 0x7c010000
	s_and_saveexec_b64 s[18:19], vcc
	s_cbranch_execz .LBB271_1040
; %bb.1039:                             ;   in Loop: Header=BB271_606 Depth=1
	v_and_b32_e32 v16, 7, v1
	v_lshrrev_b32_e32 v17, 3, v3
	v_cmp_gt_u32_e32 vcc, 8, v3
	v_ffbh_u32_e32 v3, v16
	v_min_u32_e32 v61, 32, v3
	v_subrev_u32_e32 v3, 28, v61
	v_lshlrev_b64 v[3:4], v3, v[1:2]
	v_sub_u32_e32 v4, 29, v61
	v_cndmask_b32_e32 v4, v17, v4, vcc
	v_lshlrev_b32_e32 v1, 8, v1
	v_lshl_add_u32 v4, v4, 10, v14
	v_and_b32_e32 v3, 7, v3
	v_and_or_b32 v1, v1, s26, v4
	v_cndmask_b32_e32 v3, v16, v3, vcc
	v_lshlrev_b32_e32 v1, 16, v1
	v_lshl_or_b32 v16, v3, 23, v1
.LBB271_1040:                           ;   in Loop: Header=BB271_606 Depth=1
	s_or_b64 exec, exec, s[18:19]
.LBB271_1041:                           ;   in Loop: Header=BB271_606 Depth=1
	s_or_b64 exec, exec, s[16:17]
.LBB271_1042:                           ;   in Loop: Header=BB271_606 Depth=1
	s_or_b64 exec, exec, s[12:13]
	v_lshrrev_b32_e32 v1, 16, v10
	v_cmp_ne_u16_sdwa s[16:17], v1, v2 src0_sel:BYTE_0 src1_sel:DWORD
	s_and_saveexec_b64 s[12:13], s[16:17]
	s_cbranch_execz .LBB271_1048
; %bb.1043:                             ;   in Loop: Header=BB271_606 Depth=1
	v_cmp_ne_u16_sdwa s[18:19], v1, s24 src0_sel:BYTE_0 src1_sel:DWORD
	v_mov_b32_e32 v15, 0x8000
	s_and_saveexec_b64 s[16:17], s[18:19]
	s_cbranch_execz .LBB271_1047
; %bb.1044:                             ;   in Loop: Header=BB271_606 Depth=1
	v_bfe_u32 v3, v10, 16, 7
	v_cmp_ne_u32_e32 vcc, s25, v3
	v_mov_b32_e32 v15, 0x7c01
	s_and_saveexec_b64 s[18:19], vcc
	s_cbranch_execz .LBB271_1046
; %bb.1045:                             ;   in Loop: Header=BB271_606 Depth=1
	v_and_b32_e32 v15, 7, v1
	v_lshrrev_b32_e32 v17, 3, v3
	v_cmp_gt_u32_e32 vcc, 8, v3
	v_ffbh_u32_e32 v3, v15
	v_min_u32_e32 v61, 32, v3
	v_subrev_u32_e32 v3, 28, v61
	v_lshlrev_b64 v[3:4], v3, v[1:2]
	v_sub_u32_e32 v4, 29, v61
	v_cndmask_b32_e32 v4, v17, v4, vcc
	v_lshl_add_u32 v4, v4, 10, v14
	v_lshlrev_b32_e32 v1, 8, v1
	v_and_b32_e32 v3, 7, v3
	v_and_b32_e32 v4, 0xfc00, v4
	v_cndmask_b32_e32 v3, v15, v3, vcc
	v_and_or_b32 v1, v1, s26, v4
	v_lshl_or_b32 v15, v3, 7, v1
.LBB271_1046:                           ;   in Loop: Header=BB271_606 Depth=1
	s_or_b64 exec, exec, s[18:19]
.LBB271_1047:                           ;   in Loop: Header=BB271_606 Depth=1
	s_or_b64 exec, exec, s[16:17]
.LBB271_1048:                           ;   in Loop: Header=BB271_606 Depth=1
	s_or_b64 exec, exec, s[12:13]
	v_cmp_lt_u64_e32 vcc, s[4:5], v[9:10]
	v_mov_b32_e32 v9, 0
	s_and_saveexec_b64 s[12:13], vcc
	s_cbranch_execz .LBB271_1054
; %bb.1049:                             ;   in Loop: Header=BB271_606 Depth=1
	v_lshrrev_b32_e32 v1, 24, v10
	v_cmp_ne_u32_e32 vcc, s24, v1
	v_bfrev_b32_e32 v9, 1
	s_and_saveexec_b64 s[16:17], vcc
	s_cbranch_execz .LBB271_1053
; %bb.1050:                             ;   in Loop: Header=BB271_606 Depth=1
	v_and_b32_e32 v3, 0x7f, v1
	v_cmp_ne_u32_e32 vcc, s25, v3
	v_mov_b32_e32 v9, 0x7c010000
	s_and_saveexec_b64 s[18:19], vcc
	s_cbranch_execz .LBB271_1052
; %bb.1051:                             ;   in Loop: Header=BB271_606 Depth=1
	v_and_b32_e32 v9, 7, v1
	v_lshrrev_b32_e32 v10, 3, v3
	v_cmp_gt_u32_e32 vcc, 8, v3
	v_ffbh_u32_e32 v3, v9
	v_min_u32_e32 v17, 32, v3
	v_subrev_u32_e32 v3, 28, v17
	v_lshlrev_b64 v[3:4], v3, v[1:2]
	v_sub_u32_e32 v4, 29, v17
	v_cndmask_b32_e32 v4, v10, v4, vcc
	v_lshlrev_b32_e32 v1, 8, v1
	v_lshl_add_u32 v4, v4, 10, v14
	v_and_b32_e32 v3, 7, v3
	v_and_or_b32 v1, v1, s26, v4
	v_cndmask_b32_e32 v3, v9, v3, vcc
	v_lshlrev_b32_e32 v1, 16, v1
	v_lshl_or_b32 v9, v3, 23, v1
.LBB271_1052:                           ;   in Loop: Header=BB271_606 Depth=1
	s_or_b64 exec, exec, s[18:19]
.LBB271_1053:                           ;   in Loop: Header=BB271_606 Depth=1
	s_or_b64 exec, exec, s[16:17]
.LBB271_1054:                           ;   in Loop: Header=BB271_606 Depth=1
	s_or_b64 exec, exec, s[12:13]
	s_waitcnt vmcnt(0)
	v_fma_mixlo_f16 v3, v56, v59, 0 op_sel:[0,1,0] op_sel_hi:[0,1,0]
	v_fma_mixlo_f16 v10, v56, v57, 0 op_sel:[0,1,0] op_sel_hi:[0,1,0]
	v_or_b32_e32 v1, v59, v60
	v_lshlrev_b32_e32 v4, 16, v3
	v_or_b32_e32 v3, v57, v58
	v_lshlrev_b32_e32 v57, 16, v10
	v_or_b32_e32 v10, v16, v11
	v_or_b32_e32 v15, v9, v15
	v_fma_mixlo_f16 v1, v56, v1, 0 op_sel_hi:[0,1,0]
	v_fma_mixlo_f16 v3, v56, v3, 0 op_sel_hi:[0,1,0]
	v_fma_mixlo_f16 v11, v56, v16, 0 op_sel:[0,1,0] op_sel_hi:[0,1,0]
	v_fma_mixlo_f16 v10, v56, v10, 0 op_sel_hi:[0,1,0]
	v_fma_mixlo_f16 v15, v56, v15, 0 op_sel_hi:[0,1,0]
	v_fma_mixlo_f16 v9, v56, v9, 0 op_sel:[0,1,0] op_sel_hi:[0,1,0]
	v_and_b32_e32 v17, 0xffff, v1
	v_and_b32_e32 v58, 0xffff, v3
	v_lshlrev_b32_e32 v11, 16, v11
	v_and_b32_e32 v16, 0xffff, v10
	v_lshlrev_b32_e32 v9, 16, v9
	v_and_b32_e32 v15, 0xffff, v15
	v_or_b32_e32 v1, v4, v17
	v_or_b32_e32 v3, v57, v58
	;; [unrolled: 1-line block ×4, first 2 shown]
	s_and_saveexec_b64 s[12:13], s[0:1]
	s_cbranch_execz .LBB271_1056
; %bb.1055:                             ;   in Loop: Header=BB271_606 Depth=1
	v_cmp_gt_i32_e32 vcc, s30, v31
	v_cndmask_b32_e32 v1, 0, v58, vcc
	v_cmp_gt_i32_e32 vcc, s30, v41
	v_cndmask_b32_e32 v3, 0, v57, vcc
	v_cmp_gt_i32_e32 vcc, s30, v40
	v_or_b32_e32 v3, v3, v1
	v_cndmask_b32_e32 v1, 0, v17, vcc
	v_cmp_gt_i32_e32 vcc, s30, v39
	v_cndmask_b32_e32 v4, 0, v4, vcc
	v_cmp_gt_i32_e32 vcc, s30, v34
	v_or_b32_e32 v1, v4, v1
	v_cndmask_b32_e32 v4, 0, v16, vcc
	v_cmp_gt_i32_e32 vcc, s30, v33
	v_cndmask_b32_e32 v10, 0, v11, vcc
	v_cmp_gt_i32_e32 vcc, s30, v32
	v_or_b32_e32 v10, v10, v4
	v_cndmask_b32_e32 v4, 0, v15, vcc
	v_cmp_gt_i32_e32 vcc, s30, v13
	v_cndmask_b32_e32 v9, 0, v9, vcc
	v_or_b32_e32 v56, v9, v4
.LBB271_1056:                           ;   in Loop: Header=BB271_606 Depth=1
	s_or_b64 exec, exec, s[12:13]
	;;#ASMSTART
	v_pk_mul_f16 v3, v35, v3;

	;;#ASMEND
	;;#ASMSTART
	v_pk_mul_f16 v1, v36, v1;

	;;#ASMEND
	;; [unrolled: 4-line block ×4, first 2 shown]
	;;#ASMSTART
	v_pk_add_f16 v1, v3, v1;

	;;#ASMEND
	;;#ASMSTART
	v_pk_add_f16 v1, v1, v4;

	;;#ASMEND
	;; [unrolled: 4-line block ×3, first 2 shown]
	v_lshrrev_b32_e32 v3, 16, v1
	v_and_b32_e32 v1, 0xffff, v1
	;;#ASMSTART
	v_cvt_f32_f16 v56, v1;
	;;#ASMEND
	;;#ASMSTART
	v_cvt_f32_f16 v57, v3;
	;;#ASMEND
	v_add_co_u32_e32 v3, vcc, 0x1000, v7
	v_addc_co_u32_e32 v4, vcc, 0, v8, vcc
	global_load_dwordx2 v[9:10], v[3:4], off offset:512
	v_mov_b32_e32 v59, 0
	global_load_dword v58, v59, s[14:15]
	v_mov_b32_e32 v60, 0
	s_waitcnt vmcnt(1)
	v_cmp_ne_u16_sdwa s[16:17], v9, v2 src0_sel:BYTE_0 src1_sel:DWORD
	s_and_saveexec_b64 s[12:13], s[16:17]
	s_cbranch_execz .LBB271_1062
; %bb.1057:                             ;   in Loop: Header=BB271_606 Depth=1
	v_cmp_ne_u16_sdwa s[18:19], v9, s24 src0_sel:BYTE_0 src1_sel:DWORD
	v_mov_b32_e32 v60, 0x8000
	s_and_saveexec_b64 s[16:17], s[18:19]
	s_cbranch_execz .LBB271_1061
; %bb.1058:                             ;   in Loop: Header=BB271_606 Depth=1
	v_and_b32_e32 v1, 0x7f, v9
	v_cmp_ne_u32_e32 vcc, s25, v1
	v_mov_b32_e32 v60, 0x7c01
	s_and_saveexec_b64 s[18:19], vcc
	s_cbranch_execz .LBB271_1060
; %bb.1059:                             ;   in Loop: Header=BB271_606 Depth=1
	v_and_b32_e32 v11, 7, v9
	v_lshrrev_b32_e32 v15, 3, v1
	v_cmp_gt_u32_e32 vcc, 8, v1
	v_ffbh_u32_e32 v1, v11
	v_min_u32_e32 v1, 32, v1
	v_subrev_u32_e32 v3, 28, v1
	v_sub_u32_e32 v1, 29, v1
	v_lshlrev_b64 v[3:4], v3, v[9:10]
	v_cndmask_b32_e32 v1, v15, v1, vcc
	v_lshl_add_u32 v1, v1, 10, v14
	v_lshlrev_b32_e32 v4, 8, v9
	v_and_b32_e32 v3, 7, v3
	v_and_b32_e32 v1, 0xfc00, v1
	v_cndmask_b32_e32 v3, v11, v3, vcc
	v_and_or_b32 v1, v4, s26, v1
	v_lshl_or_b32 v60, v3, 7, v1
.LBB271_1060:                           ;   in Loop: Header=BB271_606 Depth=1
	s_or_b64 exec, exec, s[18:19]
.LBB271_1061:                           ;   in Loop: Header=BB271_606 Depth=1
	s_or_b64 exec, exec, s[16:17]
.LBB271_1062:                           ;   in Loop: Header=BB271_606 Depth=1
	s_or_b64 exec, exec, s[12:13]
	v_lshrrev_b16_e32 v1, 8, v9
	v_cmp_ne_u16_e32 vcc, 0, v1
	s_and_saveexec_b64 s[12:13], vcc
	s_cbranch_execz .LBB271_1068
; %bb.1063:                             ;   in Loop: Header=BB271_606 Depth=1
	v_cmp_ne_u16_e32 vcc, s24, v1
	v_bfrev_b32_e32 v59, 1
	s_and_saveexec_b64 s[16:17], vcc
	s_cbranch_execz .LBB271_1067
; %bb.1064:                             ;   in Loop: Header=BB271_606 Depth=1
	v_and_b32_e32 v3, 0x7f, v1
	v_cmp_ne_u32_e32 vcc, s25, v3
	v_mov_b32_e32 v59, 0x7c010000
	s_and_saveexec_b64 s[18:19], vcc
	s_cbranch_execz .LBB271_1066
; %bb.1065:                             ;   in Loop: Header=BB271_606 Depth=1
	v_and_b32_e32 v11, 7, v1
	v_lshrrev_b32_e32 v15, 3, v3
	v_cmp_gt_u32_e32 vcc, 8, v3
	v_ffbh_u32_e32 v3, v11
	v_min_u32_e32 v16, 32, v3
	v_subrev_u32_e32 v3, 28, v16
	v_lshlrev_b64 v[3:4], v3, v[1:2]
	v_sub_u32_e32 v4, 29, v16
	v_cndmask_b32_e32 v4, v15, v4, vcc
	v_lshlrev_b32_e32 v1, 8, v1
	v_lshl_add_u32 v4, v4, 10, v14
	v_and_b32_e32 v3, 7, v3
	v_and_or_b32 v1, v1, s26, v4
	v_cndmask_b32_e32 v3, v11, v3, vcc
	v_lshlrev_b32_e32 v1, 16, v1
	v_lshl_or_b32 v59, v3, 23, v1
.LBB271_1066:                           ;   in Loop: Header=BB271_606 Depth=1
	s_or_b64 exec, exec, s[18:19]
.LBB271_1067:                           ;   in Loop: Header=BB271_606 Depth=1
	s_or_b64 exec, exec, s[16:17]
.LBB271_1068:                           ;   in Loop: Header=BB271_606 Depth=1
	s_or_b64 exec, exec, s[12:13]
	v_lshrrev_b32_e32 v1, 16, v9
	v_cmp_ne_u16_sdwa s[16:17], v1, v2 src0_sel:BYTE_0 src1_sel:DWORD
	v_mov_b32_e32 v61, 0
	v_mov_b32_e32 v62, 0
	s_and_saveexec_b64 s[12:13], s[16:17]
	s_cbranch_execz .LBB271_1074
; %bb.1069:                             ;   in Loop: Header=BB271_606 Depth=1
	v_cmp_ne_u16_sdwa s[18:19], v1, s24 src0_sel:BYTE_0 src1_sel:DWORD
	v_mov_b32_e32 v62, 0x8000
	s_and_saveexec_b64 s[16:17], s[18:19]
	s_cbranch_execz .LBB271_1073
; %bb.1070:                             ;   in Loop: Header=BB271_606 Depth=1
	v_bfe_u32 v3, v9, 16, 7
	v_cmp_ne_u32_e32 vcc, s25, v3
	v_mov_b32_e32 v62, 0x7c01
	s_and_saveexec_b64 s[18:19], vcc
	s_cbranch_execz .LBB271_1072
; %bb.1071:                             ;   in Loop: Header=BB271_606 Depth=1
	v_and_b32_e32 v11, 7, v1
	v_lshrrev_b32_e32 v15, 3, v3
	v_cmp_gt_u32_e32 vcc, 8, v3
	v_ffbh_u32_e32 v3, v11
	v_min_u32_e32 v16, 32, v3
	v_subrev_u32_e32 v3, 28, v16
	v_lshlrev_b64 v[3:4], v3, v[1:2]
	v_sub_u32_e32 v4, 29, v16
	v_cndmask_b32_e32 v4, v15, v4, vcc
	v_lshl_add_u32 v4, v4, 10, v14
	v_lshlrev_b32_e32 v1, 8, v1
	v_and_b32_e32 v3, 7, v3
	v_and_b32_e32 v4, 0xfc00, v4
	v_cndmask_b32_e32 v3, v11, v3, vcc
	v_and_or_b32 v1, v1, s26, v4
	v_lshl_or_b32 v62, v3, 7, v1
.LBB271_1072:                           ;   in Loop: Header=BB271_606 Depth=1
	s_or_b64 exec, exec, s[18:19]
.LBB271_1073:                           ;   in Loop: Header=BB271_606 Depth=1
	s_or_b64 exec, exec, s[16:17]
.LBB271_1074:                           ;   in Loop: Header=BB271_606 Depth=1
	s_or_b64 exec, exec, s[12:13]
	v_cmp_lt_u32_e32 vcc, s5, v9
	s_and_saveexec_b64 s[12:13], vcc
	s_cbranch_execz .LBB271_1080
; %bb.1075:                             ;   in Loop: Header=BB271_606 Depth=1
	v_lshrrev_b32_e32 v1, 24, v9
	v_cmp_ne_u32_e32 vcc, s24, v1
	v_bfrev_b32_e32 v61, 1
	s_and_saveexec_b64 s[16:17], vcc
	s_cbranch_execz .LBB271_1079
; %bb.1076:                             ;   in Loop: Header=BB271_606 Depth=1
	v_and_b32_e32 v3, 0x7f, v1
	v_cmp_ne_u32_e32 vcc, s25, v3
	v_mov_b32_e32 v61, 0x7c010000
	s_and_saveexec_b64 s[18:19], vcc
	s_cbranch_execz .LBB271_1078
; %bb.1077:                             ;   in Loop: Header=BB271_606 Depth=1
	v_and_b32_e32 v11, 7, v1
	v_lshrrev_b32_e32 v15, 3, v3
	v_cmp_gt_u32_e32 vcc, 8, v3
	v_ffbh_u32_e32 v3, v11
	v_min_u32_e32 v16, 32, v3
	v_subrev_u32_e32 v3, 28, v16
	v_lshlrev_b64 v[3:4], v3, v[1:2]
	v_sub_u32_e32 v4, 29, v16
	v_cndmask_b32_e32 v4, v15, v4, vcc
	v_lshlrev_b32_e32 v1, 8, v1
	v_lshl_add_u32 v4, v4, 10, v14
	v_and_b32_e32 v3, 7, v3
	v_and_or_b32 v1, v1, s26, v4
	v_cndmask_b32_e32 v3, v11, v3, vcc
	v_lshlrev_b32_e32 v1, 16, v1
	v_lshl_or_b32 v61, v3, 23, v1
.LBB271_1078:                           ;   in Loop: Header=BB271_606 Depth=1
	s_or_b64 exec, exec, s[18:19]
.LBB271_1079:                           ;   in Loop: Header=BB271_606 Depth=1
	s_or_b64 exec, exec, s[16:17]
.LBB271_1080:                           ;   in Loop: Header=BB271_606 Depth=1
	s_or_b64 exec, exec, s[12:13]
	v_mov_b32_e32 v1, v10
	v_cmp_ne_u16_sdwa s[16:17], v10, v2 src0_sel:BYTE_0 src1_sel:DWORD
	v_mov_b32_e32 v15, 0
	v_mov_b32_e32 v11, 0
	s_and_saveexec_b64 s[12:13], s[16:17]
	s_cbranch_execz .LBB271_1086
; %bb.1081:                             ;   in Loop: Header=BB271_606 Depth=1
	v_cmp_ne_u16_sdwa s[18:19], v10, s24 src0_sel:BYTE_0 src1_sel:DWORD
	v_mov_b32_e32 v11, 0x8000
	s_and_saveexec_b64 s[16:17], s[18:19]
	s_cbranch_execz .LBB271_1085
; %bb.1082:                             ;   in Loop: Header=BB271_606 Depth=1
	v_and_b32_e32 v3, 0x7f, v10
	v_cmp_ne_u32_e32 vcc, s25, v3
	v_mov_b32_e32 v11, 0x7c01
	s_and_saveexec_b64 s[18:19], vcc
	s_cbranch_execz .LBB271_1084
; %bb.1083:                             ;   in Loop: Header=BB271_606 Depth=1
	v_and_b32_e32 v11, 7, v10
	v_lshrrev_b32_e32 v16, 3, v3
	v_cmp_gt_u32_e32 vcc, 8, v3
	v_ffbh_u32_e32 v3, v11
	v_min_u32_e32 v17, 32, v3
	v_subrev_u32_e32 v3, 28, v17
	v_lshlrev_b64 v[3:4], v3, v[1:2]
	v_sub_u32_e32 v4, 29, v17
	v_cndmask_b32_e32 v4, v16, v4, vcc
	v_lshl_add_u32 v4, v4, 10, v14
	v_lshlrev_b32_e32 v16, 8, v10
	v_and_b32_e32 v3, 7, v3
	v_and_b32_e32 v4, 0xfc00, v4
	v_cndmask_b32_e32 v3, v11, v3, vcc
	v_and_or_b32 v4, v16, s26, v4
	v_lshl_or_b32 v11, v3, 7, v4
.LBB271_1084:                           ;   in Loop: Header=BB271_606 Depth=1
	s_or_b64 exec, exec, s[18:19]
.LBB271_1085:                           ;   in Loop: Header=BB271_606 Depth=1
	s_or_b64 exec, exec, s[16:17]
.LBB271_1086:                           ;   in Loop: Header=BB271_606 Depth=1
	s_or_b64 exec, exec, s[12:13]
	v_lshrrev_b16_e32 v1, 8, v1
	v_cmp_ne_u16_e32 vcc, 0, v1
	v_mov_b32_e32 v16, 0
	s_and_saveexec_b64 s[12:13], vcc
	s_cbranch_execz .LBB271_1092
; %bb.1087:                             ;   in Loop: Header=BB271_606 Depth=1
	v_cmp_ne_u16_e32 vcc, s24, v1
	v_bfrev_b32_e32 v16, 1
	s_and_saveexec_b64 s[16:17], vcc
	s_cbranch_execz .LBB271_1091
; %bb.1088:                             ;   in Loop: Header=BB271_606 Depth=1
	v_and_b32_e32 v3, 0x7f, v1
	v_cmp_ne_u32_e32 vcc, s25, v3
	v_mov_b32_e32 v16, 0x7c010000
	s_and_saveexec_b64 s[18:19], vcc
	s_cbranch_execz .LBB271_1090
; %bb.1089:                             ;   in Loop: Header=BB271_606 Depth=1
	v_and_b32_e32 v16, 7, v1
	v_lshrrev_b32_e32 v17, 3, v3
	v_cmp_gt_u32_e32 vcc, 8, v3
	v_ffbh_u32_e32 v3, v16
	v_min_u32_e32 v63, 32, v3
	v_subrev_u32_e32 v3, 28, v63
	v_lshlrev_b64 v[3:4], v3, v[1:2]
	v_sub_u32_e32 v4, 29, v63
	v_cndmask_b32_e32 v4, v17, v4, vcc
	v_lshlrev_b32_e32 v1, 8, v1
	v_lshl_add_u32 v4, v4, 10, v14
	v_and_b32_e32 v3, 7, v3
	v_and_or_b32 v1, v1, s26, v4
	v_cndmask_b32_e32 v3, v16, v3, vcc
	v_lshlrev_b32_e32 v1, 16, v1
	v_lshl_or_b32 v16, v3, 23, v1
.LBB271_1090:                           ;   in Loop: Header=BB271_606 Depth=1
	s_or_b64 exec, exec, s[18:19]
.LBB271_1091:                           ;   in Loop: Header=BB271_606 Depth=1
	s_or_b64 exec, exec, s[16:17]
.LBB271_1092:                           ;   in Loop: Header=BB271_606 Depth=1
	s_or_b64 exec, exec, s[12:13]
	v_lshrrev_b32_e32 v1, 16, v10
	v_cmp_ne_u16_sdwa s[16:17], v1, v2 src0_sel:BYTE_0 src1_sel:DWORD
	s_and_saveexec_b64 s[12:13], s[16:17]
	s_cbranch_execz .LBB271_1098
; %bb.1093:                             ;   in Loop: Header=BB271_606 Depth=1
	v_cmp_ne_u16_sdwa s[18:19], v1, s24 src0_sel:BYTE_0 src1_sel:DWORD
	v_mov_b32_e32 v15, 0x8000
	s_and_saveexec_b64 s[16:17], s[18:19]
	s_cbranch_execz .LBB271_1097
; %bb.1094:                             ;   in Loop: Header=BB271_606 Depth=1
	v_bfe_u32 v3, v10, 16, 7
	v_cmp_ne_u32_e32 vcc, s25, v3
	v_mov_b32_e32 v15, 0x7c01
	s_and_saveexec_b64 s[18:19], vcc
	s_cbranch_execz .LBB271_1096
; %bb.1095:                             ;   in Loop: Header=BB271_606 Depth=1
	v_and_b32_e32 v15, 7, v1
	v_lshrrev_b32_e32 v17, 3, v3
	v_cmp_gt_u32_e32 vcc, 8, v3
	v_ffbh_u32_e32 v3, v15
	v_min_u32_e32 v63, 32, v3
	v_subrev_u32_e32 v3, 28, v63
	v_lshlrev_b64 v[3:4], v3, v[1:2]
	v_sub_u32_e32 v4, 29, v63
	v_cndmask_b32_e32 v4, v17, v4, vcc
	v_lshl_add_u32 v4, v4, 10, v14
	v_lshlrev_b32_e32 v1, 8, v1
	v_and_b32_e32 v3, 7, v3
	v_and_b32_e32 v4, 0xfc00, v4
	v_cndmask_b32_e32 v3, v15, v3, vcc
	v_and_or_b32 v1, v1, s26, v4
	v_lshl_or_b32 v15, v3, 7, v1
.LBB271_1096:                           ;   in Loop: Header=BB271_606 Depth=1
	s_or_b64 exec, exec, s[18:19]
.LBB271_1097:                           ;   in Loop: Header=BB271_606 Depth=1
	s_or_b64 exec, exec, s[16:17]
.LBB271_1098:                           ;   in Loop: Header=BB271_606 Depth=1
	s_or_b64 exec, exec, s[12:13]
	v_cmp_lt_u64_e32 vcc, s[4:5], v[9:10]
	v_mov_b32_e32 v9, 0
	s_and_saveexec_b64 s[12:13], vcc
	s_cbranch_execz .LBB271_1104
; %bb.1099:                             ;   in Loop: Header=BB271_606 Depth=1
	v_lshrrev_b32_e32 v1, 24, v10
	v_cmp_ne_u32_e32 vcc, s24, v1
	v_bfrev_b32_e32 v9, 1
	s_and_saveexec_b64 s[16:17], vcc
	s_cbranch_execz .LBB271_1103
; %bb.1100:                             ;   in Loop: Header=BB271_606 Depth=1
	v_and_b32_e32 v3, 0x7f, v1
	v_cmp_ne_u32_e32 vcc, s25, v3
	v_mov_b32_e32 v9, 0x7c010000
	s_and_saveexec_b64 s[18:19], vcc
	s_cbranch_execz .LBB271_1102
; %bb.1101:                             ;   in Loop: Header=BB271_606 Depth=1
	v_and_b32_e32 v9, 7, v1
	v_lshrrev_b32_e32 v10, 3, v3
	v_cmp_gt_u32_e32 vcc, 8, v3
	v_ffbh_u32_e32 v3, v9
	v_min_u32_e32 v17, 32, v3
	v_subrev_u32_e32 v3, 28, v17
	v_lshlrev_b64 v[3:4], v3, v[1:2]
	v_sub_u32_e32 v4, 29, v17
	v_cndmask_b32_e32 v4, v10, v4, vcc
	v_lshlrev_b32_e32 v1, 8, v1
	v_lshl_add_u32 v4, v4, 10, v14
	v_and_b32_e32 v3, 7, v3
	v_and_or_b32 v1, v1, s26, v4
	v_cndmask_b32_e32 v3, v9, v3, vcc
	v_lshlrev_b32_e32 v1, 16, v1
	v_lshl_or_b32 v9, v3, 23, v1
.LBB271_1102:                           ;   in Loop: Header=BB271_606 Depth=1
	s_or_b64 exec, exec, s[18:19]
.LBB271_1103:                           ;   in Loop: Header=BB271_606 Depth=1
	s_or_b64 exec, exec, s[16:17]
.LBB271_1104:                           ;   in Loop: Header=BB271_606 Depth=1
	s_or_b64 exec, exec, s[12:13]
	s_waitcnt vmcnt(0)
	v_fma_mixlo_f16 v3, v58, v61, 0 op_sel:[0,1,0] op_sel_hi:[0,1,0]
	v_fma_mixlo_f16 v10, v58, v59, 0 op_sel:[0,1,0] op_sel_hi:[0,1,0]
	v_or_b32_e32 v1, v61, v62
	v_lshlrev_b32_e32 v4, 16, v3
	v_or_b32_e32 v3, v59, v60
	v_lshlrev_b32_e32 v59, 16, v10
	v_or_b32_e32 v10, v16, v11
	v_or_b32_e32 v15, v9, v15
	v_fma_mixlo_f16 v1, v58, v1, 0 op_sel_hi:[0,1,0]
	v_fma_mixlo_f16 v3, v58, v3, 0 op_sel_hi:[0,1,0]
	v_fma_mixlo_f16 v11, v58, v16, 0 op_sel:[0,1,0] op_sel_hi:[0,1,0]
	v_fma_mixlo_f16 v10, v58, v10, 0 op_sel_hi:[0,1,0]
	v_fma_mixlo_f16 v15, v58, v15, 0 op_sel_hi:[0,1,0]
	v_fma_mixlo_f16 v9, v58, v9, 0 op_sel:[0,1,0] op_sel_hi:[0,1,0]
	v_and_b32_e32 v17, 0xffff, v1
	v_and_b32_e32 v60, 0xffff, v3
	v_lshlrev_b32_e32 v11, 16, v11
	v_and_b32_e32 v16, 0xffff, v10
	v_lshlrev_b32_e32 v9, 16, v9
	v_and_b32_e32 v15, 0xffff, v15
	v_or_b32_e32 v1, v4, v17
	v_or_b32_e32 v3, v59, v60
	;; [unrolled: 1-line block ×4, first 2 shown]
	s_and_saveexec_b64 s[12:13], s[0:1]
	s_cbranch_execz .LBB271_1106
; %bb.1105:                             ;   in Loop: Header=BB271_606 Depth=1
	v_cmp_gt_i32_e32 vcc, s30, v31
	v_cndmask_b32_e32 v1, 0, v60, vcc
	v_cmp_gt_i32_e32 vcc, s30, v41
	v_cndmask_b32_e32 v3, 0, v59, vcc
	v_cmp_gt_i32_e32 vcc, s30, v40
	v_or_b32_e32 v3, v3, v1
	v_cndmask_b32_e32 v1, 0, v17, vcc
	v_cmp_gt_i32_e32 vcc, s30, v39
	v_cndmask_b32_e32 v4, 0, v4, vcc
	v_cmp_gt_i32_e32 vcc, s30, v34
	v_or_b32_e32 v1, v4, v1
	;; [unrolled: 5-line block ×3, first 2 shown]
	v_cndmask_b32_e32 v4, 0, v15, vcc
	v_cmp_gt_i32_e32 vcc, s30, v13
	v_cndmask_b32_e32 v9, 0, v9, vcc
	v_or_b32_e32 v58, v9, v4
.LBB271_1106:                           ;   in Loop: Header=BB271_606 Depth=1
	s_or_b64 exec, exec, s[12:13]
	;;#ASMSTART
	v_pk_mul_f16 v3, v35, v3;

	;;#ASMEND
	;;#ASMSTART
	v_pk_mul_f16 v1, v36, v1;

	;;#ASMEND
	;; [unrolled: 4-line block ×4, first 2 shown]
	;;#ASMSTART
	v_pk_add_f16 v1, v3, v1;

	;;#ASMEND
	;;#ASMSTART
	v_pk_add_f16 v1, v1, v4;

	;;#ASMEND
	;;#ASMSTART
	v_pk_add_f16 v1, v1, v9;

	;;#ASMEND
	v_lshrrev_b32_e32 v3, 16, v1
	v_and_b32_e32 v1, 0xffff, v1
	;;#ASMSTART
	v_cvt_f32_f16 v58, v1;
	;;#ASMEND
	;;#ASMSTART
	v_cvt_f32_f16 v59, v3;
	;;#ASMEND
	v_add_co_u32_e32 v3, vcc, 0x1000, v7
	v_addc_co_u32_e32 v4, vcc, 0, v8, vcc
	global_load_dwordx2 v[9:10], v[3:4], off offset:1024
	v_mov_b32_e32 v61, 0
	global_load_dword v60, v61, s[14:15]
	v_mov_b32_e32 v62, 0
	s_waitcnt vmcnt(1)
	v_cmp_ne_u16_sdwa s[16:17], v9, v2 src0_sel:BYTE_0 src1_sel:DWORD
	s_and_saveexec_b64 s[12:13], s[16:17]
	s_cbranch_execz .LBB271_1112
; %bb.1107:                             ;   in Loop: Header=BB271_606 Depth=1
	v_cmp_ne_u16_sdwa s[18:19], v9, s24 src0_sel:BYTE_0 src1_sel:DWORD
	v_mov_b32_e32 v62, 0x8000
	s_and_saveexec_b64 s[16:17], s[18:19]
	s_cbranch_execz .LBB271_1111
; %bb.1108:                             ;   in Loop: Header=BB271_606 Depth=1
	v_and_b32_e32 v1, 0x7f, v9
	v_cmp_ne_u32_e32 vcc, s25, v1
	v_mov_b32_e32 v62, 0x7c01
	s_and_saveexec_b64 s[18:19], vcc
	s_cbranch_execz .LBB271_1110
; %bb.1109:                             ;   in Loop: Header=BB271_606 Depth=1
	v_and_b32_e32 v11, 7, v9
	v_lshrrev_b32_e32 v15, 3, v1
	v_cmp_gt_u32_e32 vcc, 8, v1
	v_ffbh_u32_e32 v1, v11
	v_min_u32_e32 v1, 32, v1
	v_subrev_u32_e32 v3, 28, v1
	v_sub_u32_e32 v1, 29, v1
	v_lshlrev_b64 v[3:4], v3, v[9:10]
	v_cndmask_b32_e32 v1, v15, v1, vcc
	v_lshl_add_u32 v1, v1, 10, v14
	v_lshlrev_b32_e32 v4, 8, v9
	v_and_b32_e32 v3, 7, v3
	v_and_b32_e32 v1, 0xfc00, v1
	v_cndmask_b32_e32 v3, v11, v3, vcc
	v_and_or_b32 v1, v4, s26, v1
	v_lshl_or_b32 v62, v3, 7, v1
.LBB271_1110:                           ;   in Loop: Header=BB271_606 Depth=1
	s_or_b64 exec, exec, s[18:19]
.LBB271_1111:                           ;   in Loop: Header=BB271_606 Depth=1
	s_or_b64 exec, exec, s[16:17]
.LBB271_1112:                           ;   in Loop: Header=BB271_606 Depth=1
	s_or_b64 exec, exec, s[12:13]
	v_lshrrev_b16_e32 v1, 8, v9
	v_cmp_ne_u16_e32 vcc, 0, v1
	s_and_saveexec_b64 s[12:13], vcc
	s_cbranch_execz .LBB271_1118
; %bb.1113:                             ;   in Loop: Header=BB271_606 Depth=1
	v_cmp_ne_u16_e32 vcc, s24, v1
	v_bfrev_b32_e32 v61, 1
	s_and_saveexec_b64 s[16:17], vcc
	s_cbranch_execz .LBB271_1117
; %bb.1114:                             ;   in Loop: Header=BB271_606 Depth=1
	v_and_b32_e32 v3, 0x7f, v1
	v_cmp_ne_u32_e32 vcc, s25, v3
	v_mov_b32_e32 v61, 0x7c010000
	s_and_saveexec_b64 s[18:19], vcc
	s_cbranch_execz .LBB271_1116
; %bb.1115:                             ;   in Loop: Header=BB271_606 Depth=1
	v_and_b32_e32 v11, 7, v1
	v_lshrrev_b32_e32 v15, 3, v3
	v_cmp_gt_u32_e32 vcc, 8, v3
	v_ffbh_u32_e32 v3, v11
	v_min_u32_e32 v16, 32, v3
	v_subrev_u32_e32 v3, 28, v16
	v_lshlrev_b64 v[3:4], v3, v[1:2]
	v_sub_u32_e32 v4, 29, v16
	v_cndmask_b32_e32 v4, v15, v4, vcc
	v_lshlrev_b32_e32 v1, 8, v1
	v_lshl_add_u32 v4, v4, 10, v14
	v_and_b32_e32 v3, 7, v3
	v_and_or_b32 v1, v1, s26, v4
	v_cndmask_b32_e32 v3, v11, v3, vcc
	v_lshlrev_b32_e32 v1, 16, v1
	v_lshl_or_b32 v61, v3, 23, v1
.LBB271_1116:                           ;   in Loop: Header=BB271_606 Depth=1
	s_or_b64 exec, exec, s[18:19]
.LBB271_1117:                           ;   in Loop: Header=BB271_606 Depth=1
	s_or_b64 exec, exec, s[16:17]
.LBB271_1118:                           ;   in Loop: Header=BB271_606 Depth=1
	s_or_b64 exec, exec, s[12:13]
	v_lshrrev_b32_e32 v1, 16, v9
	v_cmp_ne_u16_sdwa s[16:17], v1, v2 src0_sel:BYTE_0 src1_sel:DWORD
	v_mov_b32_e32 v63, 0
	v_mov_b32_e32 v15, 0
	s_and_saveexec_b64 s[12:13], s[16:17]
	s_cbranch_execz .LBB271_1124
; %bb.1119:                             ;   in Loop: Header=BB271_606 Depth=1
	v_cmp_ne_u16_sdwa s[18:19], v1, s24 src0_sel:BYTE_0 src1_sel:DWORD
	v_mov_b32_e32 v15, 0x8000
	s_and_saveexec_b64 s[16:17], s[18:19]
	s_cbranch_execz .LBB271_1123
; %bb.1120:                             ;   in Loop: Header=BB271_606 Depth=1
	v_bfe_u32 v3, v9, 16, 7
	v_cmp_ne_u32_e32 vcc, s25, v3
	v_mov_b32_e32 v15, 0x7c01
	s_and_saveexec_b64 s[18:19], vcc
	s_cbranch_execz .LBB271_1122
; %bb.1121:                             ;   in Loop: Header=BB271_606 Depth=1
	v_and_b32_e32 v11, 7, v1
	v_lshrrev_b32_e32 v15, 3, v3
	v_cmp_gt_u32_e32 vcc, 8, v3
	v_ffbh_u32_e32 v3, v11
	v_min_u32_e32 v16, 32, v3
	v_subrev_u32_e32 v3, 28, v16
	v_lshlrev_b64 v[3:4], v3, v[1:2]
	v_sub_u32_e32 v4, 29, v16
	v_cndmask_b32_e32 v4, v15, v4, vcc
	v_lshl_add_u32 v4, v4, 10, v14
	v_lshlrev_b32_e32 v1, 8, v1
	v_and_b32_e32 v3, 7, v3
	v_and_b32_e32 v4, 0xfc00, v4
	v_cndmask_b32_e32 v3, v11, v3, vcc
	v_and_or_b32 v1, v1, s26, v4
	v_lshl_or_b32 v15, v3, 7, v1
.LBB271_1122:                           ;   in Loop: Header=BB271_606 Depth=1
	s_or_b64 exec, exec, s[18:19]
.LBB271_1123:                           ;   in Loop: Header=BB271_606 Depth=1
	s_or_b64 exec, exec, s[16:17]
.LBB271_1124:                           ;   in Loop: Header=BB271_606 Depth=1
	s_or_b64 exec, exec, s[12:13]
	v_cmp_lt_u32_e32 vcc, s5, v9
	s_and_saveexec_b64 s[12:13], vcc
	s_cbranch_execz .LBB271_1130
; %bb.1125:                             ;   in Loop: Header=BB271_606 Depth=1
	v_lshrrev_b32_e32 v1, 24, v9
	v_cmp_ne_u32_e32 vcc, s24, v1
	v_bfrev_b32_e32 v63, 1
	s_and_saveexec_b64 s[16:17], vcc
	s_cbranch_execz .LBB271_1129
; %bb.1126:                             ;   in Loop: Header=BB271_606 Depth=1
	v_and_b32_e32 v3, 0x7f, v1
	v_cmp_ne_u32_e32 vcc, s25, v3
	v_mov_b32_e32 v63, 0x7c010000
	s_and_saveexec_b64 s[18:19], vcc
	s_cbranch_execz .LBB271_1128
; %bb.1127:                             ;   in Loop: Header=BB271_606 Depth=1
	v_and_b32_e32 v11, 7, v1
	v_lshrrev_b32_e32 v16, 3, v3
	v_cmp_gt_u32_e32 vcc, 8, v3
	v_ffbh_u32_e32 v3, v11
	v_min_u32_e32 v17, 32, v3
	v_subrev_u32_e32 v3, 28, v17
	v_lshlrev_b64 v[3:4], v3, v[1:2]
	v_sub_u32_e32 v4, 29, v17
	v_cndmask_b32_e32 v4, v16, v4, vcc
	v_lshlrev_b32_e32 v1, 8, v1
	v_lshl_add_u32 v4, v4, 10, v14
	v_and_b32_e32 v3, 7, v3
	v_and_or_b32 v1, v1, s26, v4
	v_cndmask_b32_e32 v3, v11, v3, vcc
	v_lshlrev_b32_e32 v1, 16, v1
	v_lshl_or_b32 v63, v3, 23, v1
.LBB271_1128:                           ;   in Loop: Header=BB271_606 Depth=1
	s_or_b64 exec, exec, s[18:19]
.LBB271_1129:                           ;   in Loop: Header=BB271_606 Depth=1
	s_or_b64 exec, exec, s[16:17]
.LBB271_1130:                           ;   in Loop: Header=BB271_606 Depth=1
	s_or_b64 exec, exec, s[12:13]
	v_mov_b32_e32 v1, v10
	v_cmp_ne_u16_sdwa s[16:17], v10, v2 src0_sel:BYTE_0 src1_sel:DWORD
	v_mov_b32_e32 v11, 0
	v_mov_b32_e32 v16, 0
	s_and_saveexec_b64 s[12:13], s[16:17]
	s_cbranch_execz .LBB271_1136
; %bb.1131:                             ;   in Loop: Header=BB271_606 Depth=1
	v_cmp_ne_u16_sdwa s[18:19], v10, s24 src0_sel:BYTE_0 src1_sel:DWORD
	v_mov_b32_e32 v16, 0x8000
	s_and_saveexec_b64 s[16:17], s[18:19]
	s_cbranch_execz .LBB271_1135
; %bb.1132:                             ;   in Loop: Header=BB271_606 Depth=1
	v_and_b32_e32 v3, 0x7f, v10
	v_cmp_ne_u32_e32 vcc, s25, v3
	v_mov_b32_e32 v16, 0x7c01
	s_and_saveexec_b64 s[18:19], vcc
	s_cbranch_execz .LBB271_1134
; %bb.1133:                             ;   in Loop: Header=BB271_606 Depth=1
	v_and_b32_e32 v16, 7, v10
	v_lshrrev_b32_e32 v17, 3, v3
	v_cmp_gt_u32_e32 vcc, 8, v3
	v_ffbh_u32_e32 v3, v16
	v_min_u32_e32 v42, 32, v3
	v_subrev_u32_e32 v3, 28, v42
	v_lshlrev_b64 v[3:4], v3, v[1:2]
	v_sub_u32_e32 v4, 29, v42
	v_cndmask_b32_e32 v4, v17, v4, vcc
	v_lshl_add_u32 v4, v4, 10, v14
	v_lshlrev_b32_e32 v17, 8, v10
	v_and_b32_e32 v3, 7, v3
	v_and_b32_e32 v4, 0xfc00, v4
	v_cndmask_b32_e32 v3, v16, v3, vcc
	v_and_or_b32 v4, v17, s26, v4
	v_lshl_or_b32 v16, v3, 7, v4
.LBB271_1134:                           ;   in Loop: Header=BB271_606 Depth=1
	s_or_b64 exec, exec, s[18:19]
.LBB271_1135:                           ;   in Loop: Header=BB271_606 Depth=1
	s_or_b64 exec, exec, s[16:17]
.LBB271_1136:                           ;   in Loop: Header=BB271_606 Depth=1
	s_or_b64 exec, exec, s[12:13]
	v_lshrrev_b16_e32 v1, 8, v1
	v_cmp_ne_u16_e32 vcc, 0, v1
	v_mov_b32_e32 v17, 0
	s_and_saveexec_b64 s[12:13], vcc
	s_cbranch_execz .LBB271_1142
; %bb.1137:                             ;   in Loop: Header=BB271_606 Depth=1
	v_cmp_ne_u16_e32 vcc, s24, v1
	v_bfrev_b32_e32 v17, 1
	s_and_saveexec_b64 s[16:17], vcc
	s_cbranch_execz .LBB271_1141
; %bb.1138:                             ;   in Loop: Header=BB271_606 Depth=1
	v_and_b32_e32 v3, 0x7f, v1
	v_cmp_ne_u32_e32 vcc, s25, v3
	v_mov_b32_e32 v17, 0x7c010000
	s_and_saveexec_b64 s[18:19], vcc
	s_cbranch_execz .LBB271_1140
; %bb.1139:                             ;   in Loop: Header=BB271_606 Depth=1
	v_and_b32_e32 v17, 7, v1
	v_lshrrev_b32_e32 v42, 3, v3
	v_cmp_gt_u32_e32 vcc, 8, v3
	v_ffbh_u32_e32 v3, v17
	v_mov_b32_e32 v14, v55
	v_mov_b32_e32 v55, v12
	;; [unrolled: 1-line block ×21, first 2 shown]
	v_min_u32_e32 v43, 32, v3
	v_subrev_u32_e32 v3, 28, v43
	v_lshlrev_b64 v[3:4], v3, v[1:2]
	v_sub_u32_e32 v4, 29, v43
	v_mov_b32_e32 v43, v44
	v_mov_b32_e32 v44, v45
	;; [unrolled: 1-line block ×22, first 2 shown]
	v_cndmask_b32_e32 v4, v42, v4, vcc
	v_lshlrev_b32_e32 v1, 8, v1
	v_lshl_add_u32 v4, v4, 10, v14
	v_and_b32_e32 v3, 7, v3
	v_and_or_b32 v1, v1, s26, v4
	v_cndmask_b32_e32 v3, v17, v3, vcc
	v_lshlrev_b32_e32 v1, 16, v1
	v_lshl_or_b32 v17, v3, 23, v1
.LBB271_1140:                           ;   in Loop: Header=BB271_606 Depth=1
	s_or_b64 exec, exec, s[18:19]
.LBB271_1141:                           ;   in Loop: Header=BB271_606 Depth=1
	s_or_b64 exec, exec, s[16:17]
.LBB271_1142:                           ;   in Loop: Header=BB271_606 Depth=1
	s_or_b64 exec, exec, s[12:13]
	v_lshrrev_b32_e32 v1, 16, v10
	v_cmp_ne_u16_sdwa s[16:17], v1, v2 src0_sel:BYTE_0 src1_sel:DWORD
	s_and_saveexec_b64 s[12:13], s[16:17]
	s_cbranch_execz .LBB271_1148
; %bb.1143:                             ;   in Loop: Header=BB271_606 Depth=1
	v_cmp_ne_u16_sdwa s[18:19], v1, s24 src0_sel:BYTE_0 src1_sel:DWORD
	v_mov_b32_e32 v11, 0x8000
	s_and_saveexec_b64 s[16:17], s[18:19]
	s_cbranch_execz .LBB271_1147
; %bb.1144:                             ;   in Loop: Header=BB271_606 Depth=1
	v_bfe_u32 v3, v10, 16, 7
	v_cmp_ne_u32_e32 vcc, s25, v3
	v_mov_b32_e32 v11, 0x7c01
	s_and_saveexec_b64 s[18:19], vcc
	s_cbranch_execz .LBB271_1146
; %bb.1145:                             ;   in Loop: Header=BB271_606 Depth=1
	v_and_b32_e32 v11, 7, v1
	v_lshrrev_b32_e32 v42, 3, v3
	v_cmp_gt_u32_e32 vcc, 8, v3
	v_ffbh_u32_e32 v3, v11
	v_mov_b32_e32 v14, v55
	v_mov_b32_e32 v55, v12
	;; [unrolled: 1-line block ×22, first 2 shown]
	v_min_u32_e32 v43, 32, v3
	v_subrev_u32_e32 v3, 28, v43
	v_lshlrev_b64 v[3:4], v3, v[1:2]
	v_sub_u32_e32 v4, 29, v43
	v_mov_b32_e32 v43, v44
	v_mov_b32_e32 v44, v45
	;; [unrolled: 1-line block ×23, first 2 shown]
	v_cndmask_b32_e32 v4, v42, v4, vcc
	v_lshl_add_u32 v4, v4, 10, v14
	v_lshlrev_b32_e32 v1, 8, v1
	v_and_b32_e32 v3, 7, v3
	v_and_b32_e32 v4, 0xfc00, v4
	v_cndmask_b32_e32 v3, v11, v3, vcc
	v_and_or_b32 v1, v1, s26, v4
	v_lshl_or_b32 v11, v3, 7, v1
.LBB271_1146:                           ;   in Loop: Header=BB271_606 Depth=1
	s_or_b64 exec, exec, s[18:19]
.LBB271_1147:                           ;   in Loop: Header=BB271_606 Depth=1
	s_or_b64 exec, exec, s[16:17]
.LBB271_1148:                           ;   in Loop: Header=BB271_606 Depth=1
	s_or_b64 exec, exec, s[12:13]
	v_cmp_lt_u64_e32 vcc, s[4:5], v[9:10]
	v_mov_b32_e32 v9, 0
	s_and_saveexec_b64 s[12:13], vcc
	s_cbranch_execz .LBB271_1154
; %bb.1149:                             ;   in Loop: Header=BB271_606 Depth=1
	v_lshrrev_b32_e32 v1, 24, v10
	v_cmp_ne_u32_e32 vcc, s24, v1
	v_bfrev_b32_e32 v9, 1
	s_and_saveexec_b64 s[16:17], vcc
	s_cbranch_execz .LBB271_1153
; %bb.1150:                             ;   in Loop: Header=BB271_606 Depth=1
	v_and_b32_e32 v3, 0x7f, v1
	v_cmp_ne_u32_e32 vcc, s25, v3
	v_mov_b32_e32 v9, 0x7c010000
	s_and_saveexec_b64 s[18:19], vcc
	s_cbranch_execz .LBB271_1152
; %bb.1151:                             ;   in Loop: Header=BB271_606 Depth=1
	v_and_b32_e32 v9, 7, v1
	v_lshrrev_b32_e32 v10, 3, v3
	v_cmp_gt_u32_e32 vcc, 8, v3
	v_ffbh_u32_e32 v3, v9
	v_min_u32_e32 v42, 32, v3
	v_subrev_u32_e32 v3, 28, v42
	v_lshlrev_b64 v[3:4], v3, v[1:2]
	v_sub_u32_e32 v4, 29, v42
	v_cndmask_b32_e32 v4, v10, v4, vcc
	v_lshlrev_b32_e32 v1, 8, v1
	v_lshl_add_u32 v4, v4, 10, v14
	v_and_b32_e32 v3, 7, v3
	v_and_or_b32 v1, v1, s26, v4
	v_cndmask_b32_e32 v3, v9, v3, vcc
	v_lshlrev_b32_e32 v1, 16, v1
	v_lshl_or_b32 v9, v3, 23, v1
.LBB271_1152:                           ;   in Loop: Header=BB271_606 Depth=1
	s_or_b64 exec, exec, s[18:19]
.LBB271_1153:                           ;   in Loop: Header=BB271_606 Depth=1
	s_or_b64 exec, exec, s[16:17]
.LBB271_1154:                           ;   in Loop: Header=BB271_606 Depth=1
	s_or_b64 exec, exec, s[12:13]
	s_waitcnt vmcnt(0)
	v_fma_mixlo_f16 v3, v60, v63, 0 op_sel:[0,1,0] op_sel_hi:[0,1,0]
	v_fma_mixlo_f16 v10, v60, v61, 0 op_sel:[0,1,0] op_sel_hi:[0,1,0]
	v_or_b32_e32 v1, v63, v15
	v_lshlrev_b32_e32 v4, 16, v3
	v_or_b32_e32 v3, v61, v62
	v_lshlrev_b32_e32 v61, 16, v10
	v_or_b32_e32 v10, v17, v16
	v_or_b32_e32 v11, v9, v11
	v_fma_mixlo_f16 v1, v60, v1, 0 op_sel_hi:[0,1,0]
	v_fma_mixlo_f16 v3, v60, v3, 0 op_sel_hi:[0,1,0]
	v_fma_mixlo_f16 v16, v60, v17, 0 op_sel:[0,1,0] op_sel_hi:[0,1,0]
	v_fma_mixlo_f16 v10, v60, v10, 0 op_sel_hi:[0,1,0]
	v_fma_mixlo_f16 v11, v60, v11, 0 op_sel_hi:[0,1,0]
	v_fma_mixlo_f16 v9, v60, v9, 0 op_sel:[0,1,0] op_sel_hi:[0,1,0]
	v_and_b32_e32 v15, 0xffff, v1
	v_and_b32_e32 v62, 0xffff, v3
	v_lshlrev_b32_e32 v16, 16, v16
	v_and_b32_e32 v17, 0xffff, v10
	v_lshlrev_b32_e32 v9, 16, v9
	v_and_b32_e32 v11, 0xffff, v11
	v_or_b32_e32 v1, v4, v15
	v_or_b32_e32 v3, v61, v62
	;; [unrolled: 1-line block ×4, first 2 shown]
	s_and_saveexec_b64 s[12:13], s[0:1]
	s_cbranch_execz .LBB271_1156
; %bb.1155:                             ;   in Loop: Header=BB271_606 Depth=1
	v_cmp_gt_i32_e32 vcc, s30, v31
	v_cndmask_b32_e32 v1, 0, v62, vcc
	v_cmp_gt_i32_e32 vcc, s30, v41
	v_cndmask_b32_e32 v3, 0, v61, vcc
	v_cmp_gt_i32_e32 vcc, s30, v40
	v_or_b32_e32 v3, v3, v1
	v_cndmask_b32_e32 v1, 0, v15, vcc
	v_cmp_gt_i32_e32 vcc, s30, v39
	v_cndmask_b32_e32 v4, 0, v4, vcc
	v_cmp_gt_i32_e32 vcc, s30, v34
	v_or_b32_e32 v1, v4, v1
	;; [unrolled: 5-line block ×3, first 2 shown]
	v_cndmask_b32_e32 v4, 0, v11, vcc
	v_cmp_gt_i32_e32 vcc, s30, v13
	v_cndmask_b32_e32 v9, 0, v9, vcc
	v_or_b32_e32 v60, v9, v4
.LBB271_1156:                           ;   in Loop: Header=BB271_606 Depth=1
	s_or_b64 exec, exec, s[12:13]
	;;#ASMSTART
	v_pk_mul_f16 v3, v35, v3;

	;;#ASMEND
	;;#ASMSTART
	v_pk_mul_f16 v1, v36, v1;

	;;#ASMEND
	;; [unrolled: 4-line block ×4, first 2 shown]
	;;#ASMSTART
	v_pk_add_f16 v1, v3, v1;

	;;#ASMEND
	;;#ASMSTART
	v_pk_add_f16 v1, v1, v4;

	;;#ASMEND
	;; [unrolled: 4-line block ×3, first 2 shown]
	v_lshrrev_b32_e32 v3, 16, v1
	v_and_b32_e32 v1, 0xffff, v1
	;;#ASMSTART
	v_cvt_f32_f16 v9, v1;
	;;#ASMEND
	;;#ASMSTART
	v_cvt_f32_f16 v10, v3;
	;;#ASMEND
	v_add_co_u32_e32 v3, vcc, 0x1000, v7
	v_addc_co_u32_e32 v4, vcc, 0, v8, vcc
	global_load_dwordx2 v[7:8], v[3:4], off offset:1536
	v_mov_b32_e32 v61, 0
	global_load_dword v60, v61, s[14:15]
	v_mov_b32_e32 v62, 0
	s_waitcnt vmcnt(1)
	v_cmp_ne_u16_sdwa s[16:17], v7, v2 src0_sel:BYTE_0 src1_sel:DWORD
	s_and_saveexec_b64 s[12:13], s[16:17]
	s_cbranch_execz .LBB271_1162
; %bb.1157:                             ;   in Loop: Header=BB271_606 Depth=1
	v_cmp_ne_u16_sdwa s[18:19], v7, s24 src0_sel:BYTE_0 src1_sel:DWORD
	v_mov_b32_e32 v62, 0x8000
	s_and_saveexec_b64 s[16:17], s[18:19]
	s_cbranch_execz .LBB271_1161
; %bb.1158:                             ;   in Loop: Header=BB271_606 Depth=1
	v_and_b32_e32 v1, 0x7f, v7
	v_cmp_ne_u32_e32 vcc, s25, v1
	v_mov_b32_e32 v62, 0x7c01
	s_and_saveexec_b64 s[18:19], vcc
	s_cbranch_execz .LBB271_1160
; %bb.1159:                             ;   in Loop: Header=BB271_606 Depth=1
	v_and_b32_e32 v11, 7, v7
	v_lshrrev_b32_e32 v15, 3, v1
	v_cmp_gt_u32_e32 vcc, 8, v1
	v_ffbh_u32_e32 v1, v11
	v_min_u32_e32 v1, 32, v1
	v_subrev_u32_e32 v3, 28, v1
	v_sub_u32_e32 v1, 29, v1
	v_lshlrev_b64 v[3:4], v3, v[7:8]
	v_cndmask_b32_e32 v1, v15, v1, vcc
	v_lshl_add_u32 v1, v1, 10, v14
	v_lshlrev_b32_e32 v4, 8, v7
	v_and_b32_e32 v3, 7, v3
	v_and_b32_e32 v1, 0xfc00, v1
	v_cndmask_b32_e32 v3, v11, v3, vcc
	v_and_or_b32 v1, v4, s26, v1
	v_lshl_or_b32 v62, v3, 7, v1
.LBB271_1160:                           ;   in Loop: Header=BB271_606 Depth=1
	s_or_b64 exec, exec, s[18:19]
.LBB271_1161:                           ;   in Loop: Header=BB271_606 Depth=1
	s_or_b64 exec, exec, s[16:17]
.LBB271_1162:                           ;   in Loop: Header=BB271_606 Depth=1
	s_or_b64 exec, exec, s[12:13]
	v_lshrrev_b16_e32 v1, 8, v7
	v_cmp_ne_u16_e32 vcc, 0, v1
	s_and_saveexec_b64 s[12:13], vcc
	s_cbranch_execz .LBB271_1168
; %bb.1163:                             ;   in Loop: Header=BB271_606 Depth=1
	v_cmp_ne_u16_e32 vcc, s24, v1
	v_bfrev_b32_e32 v61, 1
	s_and_saveexec_b64 s[16:17], vcc
	s_cbranch_execz .LBB271_1167
; %bb.1164:                             ;   in Loop: Header=BB271_606 Depth=1
	v_and_b32_e32 v3, 0x7f, v1
	v_cmp_ne_u32_e32 vcc, s25, v3
	v_mov_b32_e32 v61, 0x7c010000
	s_and_saveexec_b64 s[18:19], vcc
	s_cbranch_execz .LBB271_1166
; %bb.1165:                             ;   in Loop: Header=BB271_606 Depth=1
	v_and_b32_e32 v11, 7, v1
	v_lshrrev_b32_e32 v15, 3, v3
	v_cmp_gt_u32_e32 vcc, 8, v3
	v_ffbh_u32_e32 v3, v11
	v_min_u32_e32 v16, 32, v3
	v_subrev_u32_e32 v3, 28, v16
	v_lshlrev_b64 v[3:4], v3, v[1:2]
	v_sub_u32_e32 v4, 29, v16
	v_cndmask_b32_e32 v4, v15, v4, vcc
	v_lshlrev_b32_e32 v1, 8, v1
	v_lshl_add_u32 v4, v4, 10, v14
	v_and_b32_e32 v3, 7, v3
	v_and_or_b32 v1, v1, s26, v4
	v_cndmask_b32_e32 v3, v11, v3, vcc
	v_lshlrev_b32_e32 v1, 16, v1
	v_lshl_or_b32 v61, v3, 23, v1
.LBB271_1166:                           ;   in Loop: Header=BB271_606 Depth=1
	s_or_b64 exec, exec, s[18:19]
.LBB271_1167:                           ;   in Loop: Header=BB271_606 Depth=1
	s_or_b64 exec, exec, s[16:17]
.LBB271_1168:                           ;   in Loop: Header=BB271_606 Depth=1
	s_or_b64 exec, exec, s[12:13]
	v_lshrrev_b32_e32 v1, 16, v7
	v_cmp_ne_u16_sdwa s[16:17], v1, v2 src0_sel:BYTE_0 src1_sel:DWORD
	v_mov_b32_e32 v63, 0
	v_mov_b32_e32 v15, 0
	s_and_saveexec_b64 s[12:13], s[16:17]
	s_cbranch_execz .LBB271_1174
; %bb.1169:                             ;   in Loop: Header=BB271_606 Depth=1
	v_cmp_ne_u16_sdwa s[18:19], v1, s24 src0_sel:BYTE_0 src1_sel:DWORD
	v_mov_b32_e32 v15, 0x8000
	s_and_saveexec_b64 s[16:17], s[18:19]
	s_cbranch_execz .LBB271_1173
; %bb.1170:                             ;   in Loop: Header=BB271_606 Depth=1
	v_bfe_u32 v3, v7, 16, 7
	v_cmp_ne_u32_e32 vcc, s25, v3
	v_mov_b32_e32 v15, 0x7c01
	s_and_saveexec_b64 s[18:19], vcc
	s_cbranch_execz .LBB271_1172
; %bb.1171:                             ;   in Loop: Header=BB271_606 Depth=1
	v_and_b32_e32 v11, 7, v1
	v_lshrrev_b32_e32 v15, 3, v3
	v_cmp_gt_u32_e32 vcc, 8, v3
	v_ffbh_u32_e32 v3, v11
	v_min_u32_e32 v16, 32, v3
	v_subrev_u32_e32 v3, 28, v16
	v_lshlrev_b64 v[3:4], v3, v[1:2]
	v_sub_u32_e32 v4, 29, v16
	v_cndmask_b32_e32 v4, v15, v4, vcc
	v_lshl_add_u32 v4, v4, 10, v14
	v_lshlrev_b32_e32 v1, 8, v1
	v_and_b32_e32 v3, 7, v3
	v_and_b32_e32 v4, 0xfc00, v4
	v_cndmask_b32_e32 v3, v11, v3, vcc
	v_and_or_b32 v1, v1, s26, v4
	v_lshl_or_b32 v15, v3, 7, v1
.LBB271_1172:                           ;   in Loop: Header=BB271_606 Depth=1
	s_or_b64 exec, exec, s[18:19]
.LBB271_1173:                           ;   in Loop: Header=BB271_606 Depth=1
	s_or_b64 exec, exec, s[16:17]
.LBB271_1174:                           ;   in Loop: Header=BB271_606 Depth=1
	s_or_b64 exec, exec, s[12:13]
	v_cmp_lt_u32_e32 vcc, s5, v7
	s_and_saveexec_b64 s[12:13], vcc
	s_cbranch_execz .LBB271_1180
; %bb.1175:                             ;   in Loop: Header=BB271_606 Depth=1
	v_lshrrev_b32_e32 v1, 24, v7
	v_cmp_ne_u32_e32 vcc, s24, v1
	v_bfrev_b32_e32 v63, 1
	s_and_saveexec_b64 s[16:17], vcc
	s_cbranch_execz .LBB271_1179
; %bb.1176:                             ;   in Loop: Header=BB271_606 Depth=1
	v_and_b32_e32 v3, 0x7f, v1
	v_cmp_ne_u32_e32 vcc, s25, v3
	v_mov_b32_e32 v63, 0x7c010000
	s_and_saveexec_b64 s[18:19], vcc
	s_cbranch_execz .LBB271_1178
; %bb.1177:                             ;   in Loop: Header=BB271_606 Depth=1
	v_and_b32_e32 v11, 7, v1
	v_lshrrev_b32_e32 v16, 3, v3
	v_cmp_gt_u32_e32 vcc, 8, v3
	v_ffbh_u32_e32 v3, v11
	v_min_u32_e32 v17, 32, v3
	v_subrev_u32_e32 v3, 28, v17
	v_lshlrev_b64 v[3:4], v3, v[1:2]
	v_sub_u32_e32 v4, 29, v17
	v_cndmask_b32_e32 v4, v16, v4, vcc
	v_lshlrev_b32_e32 v1, 8, v1
	v_lshl_add_u32 v4, v4, 10, v14
	v_and_b32_e32 v3, 7, v3
	v_and_or_b32 v1, v1, s26, v4
	v_cndmask_b32_e32 v3, v11, v3, vcc
	v_lshlrev_b32_e32 v1, 16, v1
	v_lshl_or_b32 v63, v3, 23, v1
.LBB271_1178:                           ;   in Loop: Header=BB271_606 Depth=1
	s_or_b64 exec, exec, s[18:19]
.LBB271_1179:                           ;   in Loop: Header=BB271_606 Depth=1
	s_or_b64 exec, exec, s[16:17]
.LBB271_1180:                           ;   in Loop: Header=BB271_606 Depth=1
	s_or_b64 exec, exec, s[12:13]
	v_mov_b32_e32 v1, v8
	v_cmp_ne_u16_sdwa s[16:17], v8, v2 src0_sel:BYTE_0 src1_sel:DWORD
	v_mov_b32_e32 v11, 0
	v_mov_b32_e32 v16, 0
	s_and_saveexec_b64 s[12:13], s[16:17]
	s_cbranch_execz .LBB271_1186
; %bb.1181:                             ;   in Loop: Header=BB271_606 Depth=1
	v_cmp_ne_u16_sdwa s[18:19], v8, s24 src0_sel:BYTE_0 src1_sel:DWORD
	v_mov_b32_e32 v16, 0x8000
	s_and_saveexec_b64 s[16:17], s[18:19]
	s_cbranch_execz .LBB271_1185
; %bb.1182:                             ;   in Loop: Header=BB271_606 Depth=1
	v_and_b32_e32 v3, 0x7f, v8
	v_cmp_ne_u32_e32 vcc, s25, v3
	v_mov_b32_e32 v16, 0x7c01
	s_and_saveexec_b64 s[18:19], vcc
	s_cbranch_execz .LBB271_1184
; %bb.1183:                             ;   in Loop: Header=BB271_606 Depth=1
	v_and_b32_e32 v16, 7, v8
	v_lshrrev_b32_e32 v17, 3, v3
	v_cmp_gt_u32_e32 vcc, 8, v3
	v_ffbh_u32_e32 v3, v16
	v_min_u32_e32 v42, 32, v3
	v_subrev_u32_e32 v3, 28, v42
	v_lshlrev_b64 v[3:4], v3, v[1:2]
	v_sub_u32_e32 v4, 29, v42
	v_cndmask_b32_e32 v4, v17, v4, vcc
	v_lshl_add_u32 v4, v4, 10, v14
	v_lshlrev_b32_e32 v17, 8, v8
	v_and_b32_e32 v3, 7, v3
	v_and_b32_e32 v4, 0xfc00, v4
	v_cndmask_b32_e32 v3, v16, v3, vcc
	v_and_or_b32 v4, v17, s26, v4
	v_lshl_or_b32 v16, v3, 7, v4
.LBB271_1184:                           ;   in Loop: Header=BB271_606 Depth=1
	s_or_b64 exec, exec, s[18:19]
.LBB271_1185:                           ;   in Loop: Header=BB271_606 Depth=1
	s_or_b64 exec, exec, s[16:17]
.LBB271_1186:                           ;   in Loop: Header=BB271_606 Depth=1
	s_or_b64 exec, exec, s[12:13]
	v_lshrrev_b16_e32 v1, 8, v1
	v_cmp_ne_u16_e32 vcc, 0, v1
	v_mov_b32_e32 v17, 0
	s_and_saveexec_b64 s[12:13], vcc
	s_cbranch_execz .LBB271_1192
; %bb.1187:                             ;   in Loop: Header=BB271_606 Depth=1
	v_cmp_ne_u16_e32 vcc, s24, v1
	v_bfrev_b32_e32 v17, 1
	s_and_saveexec_b64 s[16:17], vcc
	s_cbranch_execz .LBB271_1191
; %bb.1188:                             ;   in Loop: Header=BB271_606 Depth=1
	v_and_b32_e32 v3, 0x7f, v1
	v_cmp_ne_u32_e32 vcc, s25, v3
	v_mov_b32_e32 v17, 0x7c010000
	s_and_saveexec_b64 s[18:19], vcc
	s_cbranch_execz .LBB271_1190
; %bb.1189:                             ;   in Loop: Header=BB271_606 Depth=1
	v_and_b32_e32 v17, 7, v1
	v_lshrrev_b32_e32 v42, 3, v3
	v_cmp_gt_u32_e32 vcc, 8, v3
	v_ffbh_u32_e32 v3, v17
	v_mov_b32_e32 v14, v55
	v_mov_b32_e32 v55, v12
	;; [unrolled: 1-line block ×22, first 2 shown]
	v_min_u32_e32 v43, 32, v3
	v_subrev_u32_e32 v3, 28, v43
	v_lshlrev_b64 v[3:4], v3, v[1:2]
	v_sub_u32_e32 v4, 29, v43
	v_mov_b32_e32 v43, v44
	v_mov_b32_e32 v44, v45
	;; [unrolled: 1-line block ×23, first 2 shown]
	v_cndmask_b32_e32 v4, v42, v4, vcc
	v_lshlrev_b32_e32 v1, 8, v1
	v_lshl_add_u32 v4, v4, 10, v14
	v_and_b32_e32 v3, 7, v3
	v_and_or_b32 v1, v1, s26, v4
	v_cndmask_b32_e32 v3, v17, v3, vcc
	v_lshlrev_b32_e32 v1, 16, v1
	v_lshl_or_b32 v17, v3, 23, v1
.LBB271_1190:                           ;   in Loop: Header=BB271_606 Depth=1
	s_or_b64 exec, exec, s[18:19]
.LBB271_1191:                           ;   in Loop: Header=BB271_606 Depth=1
	s_or_b64 exec, exec, s[16:17]
.LBB271_1192:                           ;   in Loop: Header=BB271_606 Depth=1
	s_or_b64 exec, exec, s[12:13]
	v_lshrrev_b32_e32 v1, 16, v8
	v_cmp_ne_u16_sdwa s[16:17], v1, v2 src0_sel:BYTE_0 src1_sel:DWORD
	s_and_saveexec_b64 s[12:13], s[16:17]
	s_cbranch_execz .LBB271_1198
; %bb.1193:                             ;   in Loop: Header=BB271_606 Depth=1
	v_cmp_ne_u16_sdwa s[18:19], v1, s24 src0_sel:BYTE_0 src1_sel:DWORD
	v_mov_b32_e32 v11, 0x8000
	s_and_saveexec_b64 s[16:17], s[18:19]
	s_cbranch_execz .LBB271_1197
; %bb.1194:                             ;   in Loop: Header=BB271_606 Depth=1
	v_bfe_u32 v3, v8, 16, 7
	v_cmp_ne_u32_e32 vcc, s25, v3
	v_mov_b32_e32 v11, 0x7c01
	s_and_saveexec_b64 s[18:19], vcc
	s_cbranch_execz .LBB271_1196
; %bb.1195:                             ;   in Loop: Header=BB271_606 Depth=1
	v_and_b32_e32 v11, 7, v1
	v_lshrrev_b32_e32 v42, 3, v3
	v_cmp_gt_u32_e32 vcc, 8, v3
	v_ffbh_u32_e32 v3, v11
	v_mov_b32_e32 v14, v55
	v_mov_b32_e32 v55, v12
	;; [unrolled: 1-line block ×22, first 2 shown]
	v_min_u32_e32 v43, 32, v3
	v_subrev_u32_e32 v3, 28, v43
	v_lshlrev_b64 v[3:4], v3, v[1:2]
	v_sub_u32_e32 v4, 29, v43
	v_mov_b32_e32 v43, v44
	v_mov_b32_e32 v44, v45
	;; [unrolled: 1-line block ×23, first 2 shown]
	v_cndmask_b32_e32 v4, v42, v4, vcc
	v_lshl_add_u32 v4, v4, 10, v14
	v_lshlrev_b32_e32 v1, 8, v1
	v_and_b32_e32 v3, 7, v3
	v_and_b32_e32 v4, 0xfc00, v4
	v_cndmask_b32_e32 v3, v11, v3, vcc
	v_and_or_b32 v1, v1, s26, v4
	v_lshl_or_b32 v11, v3, 7, v1
.LBB271_1196:                           ;   in Loop: Header=BB271_606 Depth=1
	s_or_b64 exec, exec, s[18:19]
.LBB271_1197:                           ;   in Loop: Header=BB271_606 Depth=1
	s_or_b64 exec, exec, s[16:17]
.LBB271_1198:                           ;   in Loop: Header=BB271_606 Depth=1
	s_or_b64 exec, exec, s[12:13]
	v_cmp_lt_u64_e32 vcc, s[4:5], v[7:8]
	v_mov_b32_e32 v3, 0
	s_and_saveexec_b64 s[12:13], vcc
	s_cbranch_execz .LBB271_1204
; %bb.1199:                             ;   in Loop: Header=BB271_606 Depth=1
	v_lshrrev_b32_e32 v1, 24, v8
	v_cmp_ne_u32_e32 vcc, s24, v1
	v_bfrev_b32_e32 v3, 1
	s_and_saveexec_b64 s[16:17], vcc
	s_cbranch_execz .LBB271_1203
; %bb.1200:                             ;   in Loop: Header=BB271_606 Depth=1
	v_and_b32_e32 v4, 0x7f, v1
	v_cmp_ne_u32_e32 vcc, s25, v4
	v_mov_b32_e32 v3, 0x7c010000
	s_and_saveexec_b64 s[18:19], vcc
	s_cbranch_execz .LBB271_1202
; %bb.1201:                             ;   in Loop: Header=BB271_606 Depth=1
	v_and_b32_e32 v7, 7, v1
	v_ffbh_u32_e32 v3, v7
	v_min_u32_e32 v42, 32, v3
	v_subrev_u32_e32 v3, 28, v42
	v_lshrrev_b32_e32 v8, 3, v4
	v_cmp_gt_u32_e32 vcc, 8, v4
	v_lshlrev_b64 v[3:4], v3, v[1:2]
	v_sub_u32_e32 v4, 29, v42
	v_cndmask_b32_e32 v4, v8, v4, vcc
	v_lshlrev_b32_e32 v1, 8, v1
	v_lshl_add_u32 v4, v4, 10, v14
	v_and_b32_e32 v3, 7, v3
	v_and_or_b32 v1, v1, s26, v4
	v_cndmask_b32_e32 v3, v7, v3, vcc
	v_lshlrev_b32_e32 v1, 16, v1
	v_lshl_or_b32 v3, v3, 23, v1
.LBB271_1202:                           ;   in Loop: Header=BB271_606 Depth=1
	s_or_b64 exec, exec, s[18:19]
.LBB271_1203:                           ;   in Loop: Header=BB271_606 Depth=1
	s_or_b64 exec, exec, s[16:17]
.LBB271_1204:                           ;   in Loop: Header=BB271_606 Depth=1
	s_or_b64 exec, exec, s[12:13]
	s_waitcnt vmcnt(0)
	v_fma_mixlo_f16 v8, v60, v61, 0 op_sel:[0,1,0] op_sel_hi:[0,1,0]
	v_or_b32_e32 v1, v63, v15
	v_or_b32_e32 v7, v61, v62
	v_lshlrev_b32_e32 v61, 16, v8
	v_or_b32_e32 v8, v17, v16
	v_or_b32_e32 v11, v3, v11
	v_fma_mixlo_f16 v4, v60, v63, 0 op_sel:[0,1,0] op_sel_hi:[0,1,0]
	v_fma_mixlo_f16 v1, v60, v1, 0 op_sel_hi:[0,1,0]
	v_fma_mixlo_f16 v7, v60, v7, 0 op_sel_hi:[0,1,0]
	v_fma_mixlo_f16 v16, v60, v17, 0 op_sel:[0,1,0] op_sel_hi:[0,1,0]
	v_fma_mixlo_f16 v8, v60, v8, 0 op_sel_hi:[0,1,0]
	v_fma_mixlo_f16 v42, v60, v11, 0 op_sel_hi:[0,1,0]
	v_fma_mixlo_f16 v3, v60, v3, 0 op_sel:[0,1,0] op_sel_hi:[0,1,0]
	v_lshlrev_b32_e32 v4, 16, v4
	v_and_b32_e32 v15, 0xffff, v1
	v_and_b32_e32 v62, 0xffff, v7
	v_lshlrev_b32_e32 v16, 16, v16
	v_and_b32_e32 v17, 0xffff, v8
	v_lshlrev_b32_e32 v11, 16, v3
	v_and_b32_e32 v60, 0xffff, v42
	v_or_b32_e32 v1, v4, v15
	v_or_b32_e32 v7, v61, v62
	;; [unrolled: 1-line block ×4, first 2 shown]
	s_and_saveexec_b64 s[12:13], s[0:1]
	s_cbranch_execz .LBB271_605
; %bb.1205:                             ;   in Loop: Header=BB271_606 Depth=1
	v_cmp_gt_i32_e32 vcc, s30, v31
	v_cndmask_b32_e32 v1, 0, v62, vcc
	v_cmp_gt_i32_e32 vcc, s30, v41
	v_cndmask_b32_e32 v3, 0, v61, vcc
	v_cmp_gt_i32_e32 vcc, s30, v40
	v_or_b32_e32 v7, v3, v1
	v_cndmask_b32_e32 v1, 0, v15, vcc
	v_cmp_gt_i32_e32 vcc, s30, v39
	v_cndmask_b32_e32 v3, 0, v4, vcc
	v_cmp_gt_i32_e32 vcc, s30, v34
	v_or_b32_e32 v1, v3, v1
	v_cndmask_b32_e32 v3, 0, v17, vcc
	v_cmp_gt_i32_e32 vcc, s30, v33
	v_cndmask_b32_e32 v4, 0, v16, vcc
	v_cmp_gt_i32_e32 vcc, s30, v32
	v_or_b32_e32 v8, v4, v3
	v_cndmask_b32_e32 v3, 0, v60, vcc
	v_cmp_gt_i32_e32 vcc, s30, v13
	v_cndmask_b32_e32 v4, 0, v11, vcc
	v_or_b32_e32 v3, v4, v3
	s_branch .LBB271_605
.LBB271_1206:
	s_or_b64 exec, exec, s[6:7]
	buffer_load_dword v30, off, s[48:51], 0 offset:20 ; 4-byte Folded Reload
	buffer_load_dword v14, off, s[48:51], 0 offset:24 ; 4-byte Folded Reload
	;; [unrolled: 1-line block ×3, first 2 shown]
.LBB271_1207:
	s_or_b64 exec, exec, s[2:3]
	s_waitcnt vmcnt(1)
	ds_bpermute_b32 v0, v14, v28
	ds_bpermute_b32 v1, v14, v29
	;; [unrolled: 1-line block ×5, first 2 shown]
	s_waitcnt lgkmcnt(4)
	v_add_f32_e32 v0, v28, v0
	s_waitcnt vmcnt(0)
	ds_bpermute_b32 v4, v13, v0
	s_waitcnt lgkmcnt(4)
	v_add_f32_e32 v1, v29, v1
	s_waitcnt lgkmcnt(3)
	v_add_f32_e32 v3, v26, v3
	;; [unrolled: 2-line block ×3, first 2 shown]
	ds_bpermute_b32 v6, v13, v1
	s_waitcnt lgkmcnt(1)
	v_add_f32_e32 v2, v0, v4
	ds_bpermute_b32 v4, v13, v3
	ds_bpermute_b32 v7, v13, v5
	s_waitcnt lgkmcnt(0)
	v_add_f32_e32 v0, v1, v6
	ds_bpermute_b32 v6, v14, v25
	v_add_f32_e32 v3, v3, v4
	ds_bpermute_b32 v4, v14, v23
	;; [unrolled: 2-line block ×3, first 2 shown]
	s_waitcnt lgkmcnt(2)
	v_add_f32_e32 v6, v25, v6
	ds_bpermute_b32 v7, v13, v6
	s_waitcnt lgkmcnt(2)
	v_add_f32_e32 v10, v23, v4
	ds_bpermute_b32 v11, v13, v10
	;; [unrolled: 3-line block ×5, first 2 shown]
	s_waitcnt lgkmcnt(2)
	v_add_f32_e32 v4, v8, v9
	v_add_f32_e32 v8, v22, v12
	s_waitcnt lgkmcnt(1)
	v_add_f32_e32 v7, v21, v7
	v_mov_b32_e32 v21, v13
	s_waitcnt lgkmcnt(0)
	v_add_f32_e32 v11, v19, v11
	ds_bpermute_b32 v9, v13, v8
	ds_bpermute_b32 v12, v14, v18
	;; [unrolled: 1-line block ×3, first 2 shown]
	s_waitcnt lgkmcnt(0)
	s_barrier
	ds_bpermute_b32 v10, v14, v20
	v_add_f32_e32 v17, v18, v12
	v_add_f32_e32 v12, v8, v9
	;; [unrolled: 1-line block ×3, first 2 shown]
	buffer_load_dword v11, off, s[48:51], 0 offset:364 ; 4-byte Folded Reload
	ds_bpermute_b32 v13, v13, v7
	s_waitcnt lgkmcnt(1)
	v_add_f32_e32 v14, v20, v10
	ds_bpermute_b32 v15, v21, v14
	ds_bpermute_b32 v18, v21, v17
	s_waitcnt lgkmcnt(2)
	v_add_f32_e32 v10, v7, v13
	s_waitcnt lgkmcnt(1)
	v_add_f32_e32 v9, v14, v15
	;; [unrolled: 2-line block ×3, first 2 shown]
	s_waitcnt vmcnt(0)
	v_and_b32_e32 v13, 0x3c3, v11
	v_cmp_eq_u32_e32 vcc, 64, v13
	s_and_saveexec_b64 s[0:1], vcc
	s_cbranch_execz .LBB271_1209
; %bb.1208:
	v_add_u32_e32 v11, 0x190, v30
	ds_write2_b32 v11, v2, v0 offset1:16
	ds_write2_b32 v11, v1, v3 offset0:32 offset1:48
	ds_write2_b32 v11, v5, v4 offset0:64 offset1:80
	;; [unrolled: 1-line block ×5, first 2 shown]
.LBB271_1209:
	s_or_b64 exec, exec, s[0:1]
	buffer_load_dword v11, off, s[48:51], 0 offset:364 ; 4-byte Folded Reload
	s_waitcnt vmcnt(0) lgkmcnt(0)
	s_barrier
	v_cmp_gt_u32_e32 vcc, 64, v11
	v_lshrrev_b32_e32 v11, 2, v11
	s_and_saveexec_b64 s[0:1], vcc
	s_cbranch_execz .LBB271_1224
; %bb.1210:
	buffer_load_dword v14, off, s[48:51], 0 offset:16 ; 4-byte Folded Reload
	s_waitcnt vmcnt(0)
	v_cmp_eq_u32_e32 vcc, 0, v14
	v_mov_b32_e32 v14, 0x190
	v_lshl_add_u32 v14, v11, 2, v14
	s_and_saveexec_b64 s[2:3], vcc
	s_cbranch_execnz .LBB271_1227
; %bb.1211:
	s_or_b64 exec, exec, s[2:3]
	s_and_saveexec_b64 s[2:3], vcc
	s_cbranch_execnz .LBB271_1228
.LBB271_1212:
	s_or_b64 exec, exec, s[2:3]
	s_and_saveexec_b64 s[2:3], vcc
	s_cbranch_execnz .LBB271_1229
.LBB271_1213:
	s_or_b64 exec, exec, s[2:3]
	s_and_saveexec_b64 s[2:3], vcc
	s_cbranch_execnz .LBB271_1230
.LBB271_1214:
	s_or_b64 exec, exec, s[2:3]
	s_and_saveexec_b64 s[2:3], vcc
	s_cbranch_execnz .LBB271_1231
.LBB271_1215:
	s_or_b64 exec, exec, s[2:3]
	s_and_saveexec_b64 s[2:3], vcc
	s_cbranch_execnz .LBB271_1232
.LBB271_1216:
	s_or_b64 exec, exec, s[2:3]
	s_and_saveexec_b64 s[2:3], vcc
	s_cbranch_execnz .LBB271_1233
.LBB271_1217:
	s_or_b64 exec, exec, s[2:3]
	s_and_saveexec_b64 s[2:3], vcc
	s_cbranch_execnz .LBB271_1234
.LBB271_1218:
	s_or_b64 exec, exec, s[2:3]
	s_and_saveexec_b64 s[2:3], vcc
	s_cbranch_execnz .LBB271_1235
.LBB271_1219:
	s_or_b64 exec, exec, s[2:3]
	s_and_saveexec_b64 s[2:3], vcc
	s_cbranch_execnz .LBB271_1236
.LBB271_1220:
	s_or_b64 exec, exec, s[2:3]
	s_and_saveexec_b64 s[2:3], vcc
	s_cbranch_execnz .LBB271_1237
.LBB271_1221:
	s_or_b64 exec, exec, s[2:3]
	s_and_saveexec_b64 s[2:3], vcc
	s_cbranch_execz .LBB271_1223
.LBB271_1222:
	ds_read_b32 v14, v14 offset:704
	s_waitcnt lgkmcnt(0)
	v_add_f32_e32 v7, v7, v14
.LBB271_1223:
	s_or_b64 exec, exec, s[2:3]
.LBB271_1224:
	s_or_b64 exec, exec, s[0:1]
	v_cmp_eq_u32_e32 vcc, 0, v13
	s_barrier
	s_and_saveexec_b64 s[0:1], vcc
	s_cbranch_execz .LBB271_1226
; %bb.1225:
	s_mul_i32 s0, s10, s11
	s_mul_i32 s0, s0, s9
	s_mulk_i32 s0, 0xc0
	s_ashr_i32 s1, s0, 31
	s_lshl_b64 s[0:1], s[0:1], 1
	s_add_u32 s2, s22, s0
	s_mul_i32 s0, s11, s20
	s_addc_u32 s3, s23, s1
	s_ashr_i32 s1, s0, 31
	s_lshl_b64 s[0:1], s[0:1], 1
	s_add_u32 s2, s2, s0
	s_mul_i32 s0, s8, 0xc0
	s_addc_u32 s3, s3, s1
	s_ashr_i32 s1, s0, 31
	s_lshl_b64 s[0:1], s[0:1], 1
	s_add_u32 s0, s2, s0
	s_addc_u32 s1, s3, s1
	v_lshlrev_b32_e32 v11, 1, v11
	;;#ASMSTART
	v_cvt_f16_f32 v2, v2;

	;;#ASMEND
	global_store_short v11, v2, s[0:1]
	;;#ASMSTART
	v_cvt_f16_f32 v0, v0;

	;;#ASMEND
	global_store_short v11, v0, s[0:1] offset:32
	;;#ASMSTART
	v_cvt_f16_f32 v0, v1;

	;;#ASMEND
	global_store_short v11, v0, s[0:1] offset:64
	;; [unrolled: 5-line block ×11, first 2 shown]
.LBB271_1226:
	s_endpgm
.LBB271_1227:
	ds_read_b32 v15, v14
	s_waitcnt lgkmcnt(0)
	v_add_f32_e32 v2, v2, v15
	s_or_b64 exec, exec, s[2:3]
	s_and_saveexec_b64 s[2:3], vcc
	s_cbranch_execz .LBB271_1212
.LBB271_1228:
	ds_read_b32 v15, v14 offset:64
	s_waitcnt lgkmcnt(0)
	v_add_f32_e32 v0, v0, v15
	s_or_b64 exec, exec, s[2:3]
	s_and_saveexec_b64 s[2:3], vcc
	s_cbranch_execz .LBB271_1213
.LBB271_1229:
	ds_read_b32 v15, v14 offset:128
	s_waitcnt lgkmcnt(0)
	v_add_f32_e32 v1, v1, v15
	s_or_b64 exec, exec, s[2:3]
	s_and_saveexec_b64 s[2:3], vcc
	s_cbranch_execz .LBB271_1214
.LBB271_1230:
	ds_read_b32 v15, v14 offset:192
	s_waitcnt lgkmcnt(0)
	v_add_f32_e32 v3, v3, v15
	s_or_b64 exec, exec, s[2:3]
	s_and_saveexec_b64 s[2:3], vcc
	s_cbranch_execz .LBB271_1215
.LBB271_1231:
	ds_read_b32 v15, v14 offset:256
	s_waitcnt lgkmcnt(0)
	v_add_f32_e32 v5, v5, v15
	s_or_b64 exec, exec, s[2:3]
	s_and_saveexec_b64 s[2:3], vcc
	s_cbranch_execz .LBB271_1216
.LBB271_1232:
	ds_read_b32 v15, v14 offset:320
	s_waitcnt lgkmcnt(0)
	v_add_f32_e32 v4, v4, v15
	s_or_b64 exec, exec, s[2:3]
	s_and_saveexec_b64 s[2:3], vcc
	s_cbranch_execz .LBB271_1217
.LBB271_1233:
	ds_read_b32 v15, v14 offset:384
	s_waitcnt lgkmcnt(0)
	v_add_f32_e32 v6, v6, v15
	s_or_b64 exec, exec, s[2:3]
	s_and_saveexec_b64 s[2:3], vcc
	s_cbranch_execz .LBB271_1218
.LBB271_1234:
	ds_read_b32 v15, v14 offset:448
	s_waitcnt lgkmcnt(0)
	v_add_f32_e32 v12, v12, v15
	s_or_b64 exec, exec, s[2:3]
	s_and_saveexec_b64 s[2:3], vcc
	s_cbranch_execz .LBB271_1219
.LBB271_1235:
	ds_read_b32 v15, v14 offset:512
	s_waitcnt lgkmcnt(0)
	v_add_f32_e32 v10, v10, v15
	s_or_b64 exec, exec, s[2:3]
	s_and_saveexec_b64 s[2:3], vcc
	s_cbranch_execz .LBB271_1220
.LBB271_1236:
	ds_read_b32 v15, v14 offset:576
	s_waitcnt lgkmcnt(0)
	v_add_f32_e32 v9, v9, v15
	s_or_b64 exec, exec, s[2:3]
	s_and_saveexec_b64 s[2:3], vcc
	s_cbranch_execz .LBB271_1221
.LBB271_1237:
	ds_read_b32 v15, v14 offset:640
	s_waitcnt lgkmcnt(0)
	v_add_f32_e32 v8, v8, v15
	s_or_b64 exec, exec, s[2:3]
	s_and_saveexec_b64 s[2:3], vcc
	s_cbranch_execnz .LBB271_1222
	s_branch .LBB271_1223
	.section	.rodata,"a",@progbits
	.p2align	6, 0x0
	.amdhsa_kernel _ZN4vllm25paged_attention_v1_kernelIthLi192ELi32ELi128ELNS_18Fp8KVCacheDataTypeE1ELb0EEEvPT_PKS2_PKT0_S8_ifPKiSA_iPKfiiiSC_SC_iiiii
		.amdhsa_group_segment_fixed_size 400
		.amdhsa_private_segment_fixed_size 380
		.amdhsa_kernarg_size 384
		.amdhsa_user_sgpr_count 6
		.amdhsa_user_sgpr_private_segment_buffer 1
		.amdhsa_user_sgpr_dispatch_ptr 0
		.amdhsa_user_sgpr_queue_ptr 0
		.amdhsa_user_sgpr_kernarg_segment_ptr 1
		.amdhsa_user_sgpr_dispatch_id 0
		.amdhsa_user_sgpr_flat_scratch_init 0
		.amdhsa_user_sgpr_private_segment_size 0
		.amdhsa_uses_dynamic_stack 0
		.amdhsa_system_sgpr_private_segment_wavefront_offset 1
		.amdhsa_system_sgpr_workgroup_id_x 1
		.amdhsa_system_sgpr_workgroup_id_y 1
		.amdhsa_system_sgpr_workgroup_id_z 1
		.amdhsa_system_sgpr_workgroup_info 0
		.amdhsa_system_vgpr_workitem_id 0
		.amdhsa_next_free_vgpr 64
		.amdhsa_next_free_sgpr 52
		.amdhsa_reserve_vcc 1
		.amdhsa_reserve_flat_scratch 0
		.amdhsa_float_round_mode_32 0
		.amdhsa_float_round_mode_16_64 0
		.amdhsa_float_denorm_mode_32 3
		.amdhsa_float_denorm_mode_16_64 3
		.amdhsa_dx10_clamp 1
		.amdhsa_ieee_mode 1
		.amdhsa_fp16_overflow 0
		.amdhsa_exception_fp_ieee_invalid_op 0
		.amdhsa_exception_fp_denorm_src 0
		.amdhsa_exception_fp_ieee_div_zero 0
		.amdhsa_exception_fp_ieee_overflow 0
		.amdhsa_exception_fp_ieee_underflow 0
		.amdhsa_exception_fp_ieee_inexact 0
		.amdhsa_exception_int_div_zero 0
	.end_amdhsa_kernel
	.section	.text._ZN4vllm25paged_attention_v1_kernelIthLi192ELi32ELi128ELNS_18Fp8KVCacheDataTypeE1ELb0EEEvPT_PKS2_PKT0_S8_ifPKiSA_iPKfiiiSC_SC_iiiii,"axG",@progbits,_ZN4vllm25paged_attention_v1_kernelIthLi192ELi32ELi128ELNS_18Fp8KVCacheDataTypeE1ELb0EEEvPT_PKS2_PKT0_S8_ifPKiSA_iPKfiiiSC_SC_iiiii,comdat
.Lfunc_end271:
	.size	_ZN4vllm25paged_attention_v1_kernelIthLi192ELi32ELi128ELNS_18Fp8KVCacheDataTypeE1ELb0EEEvPT_PKS2_PKT0_S8_ifPKiSA_iPKfiiiSC_SC_iiiii, .Lfunc_end271-_ZN4vllm25paged_attention_v1_kernelIthLi192ELi32ELi128ELNS_18Fp8KVCacheDataTypeE1ELb0EEEvPT_PKS2_PKT0_S8_ifPKiSA_iPKfiiiSC_SC_iiiii
                                        ; -- End function
	.set _ZN4vllm25paged_attention_v1_kernelIthLi192ELi32ELi128ELNS_18Fp8KVCacheDataTypeE1ELb0EEEvPT_PKS2_PKT0_S8_ifPKiSA_iPKfiiiSC_SC_iiiii.num_vgpr, 64
	.set _ZN4vllm25paged_attention_v1_kernelIthLi192ELi32ELi128ELNS_18Fp8KVCacheDataTypeE1ELb0EEEvPT_PKS2_PKT0_S8_ifPKiSA_iPKfiiiSC_SC_iiiii.num_agpr, 0
	.set _ZN4vllm25paged_attention_v1_kernelIthLi192ELi32ELi128ELNS_18Fp8KVCacheDataTypeE1ELb0EEEvPT_PKS2_PKT0_S8_ifPKiSA_iPKfiiiSC_SC_iiiii.numbered_sgpr, 52
	.set _ZN4vllm25paged_attention_v1_kernelIthLi192ELi32ELi128ELNS_18Fp8KVCacheDataTypeE1ELb0EEEvPT_PKS2_PKT0_S8_ifPKiSA_iPKfiiiSC_SC_iiiii.num_named_barrier, 0
	.set _ZN4vllm25paged_attention_v1_kernelIthLi192ELi32ELi128ELNS_18Fp8KVCacheDataTypeE1ELb0EEEvPT_PKS2_PKT0_S8_ifPKiSA_iPKfiiiSC_SC_iiiii.private_seg_size, 380
	.set _ZN4vllm25paged_attention_v1_kernelIthLi192ELi32ELi128ELNS_18Fp8KVCacheDataTypeE1ELb0EEEvPT_PKS2_PKT0_S8_ifPKiSA_iPKfiiiSC_SC_iiiii.uses_vcc, 1
	.set _ZN4vllm25paged_attention_v1_kernelIthLi192ELi32ELi128ELNS_18Fp8KVCacheDataTypeE1ELb0EEEvPT_PKS2_PKT0_S8_ifPKiSA_iPKfiiiSC_SC_iiiii.uses_flat_scratch, 0
	.set _ZN4vllm25paged_attention_v1_kernelIthLi192ELi32ELi128ELNS_18Fp8KVCacheDataTypeE1ELb0EEEvPT_PKS2_PKT0_S8_ifPKiSA_iPKfiiiSC_SC_iiiii.has_dyn_sized_stack, 0
	.set _ZN4vllm25paged_attention_v1_kernelIthLi192ELi32ELi128ELNS_18Fp8KVCacheDataTypeE1ELb0EEEvPT_PKS2_PKT0_S8_ifPKiSA_iPKfiiiSC_SC_iiiii.has_recursion, 0
	.set _ZN4vllm25paged_attention_v1_kernelIthLi192ELi32ELi128ELNS_18Fp8KVCacheDataTypeE1ELb0EEEvPT_PKS2_PKT0_S8_ifPKiSA_iPKfiiiSC_SC_iiiii.has_indirect_call, 0
	.section	.AMDGPU.csdata,"",@progbits
; Kernel info:
; codeLenInByte = 48900
; TotalNumSgprs: 56
; NumVgprs: 64
; ScratchSize: 380
; MemoryBound: 0
; FloatMode: 240
; IeeeMode: 1
; LDSByteSize: 400 bytes/workgroup (compile time only)
; SGPRBlocks: 6
; VGPRBlocks: 15
; NumSGPRsForWavesPerEU: 56
; NumVGPRsForWavesPerEU: 64
; Occupancy: 4
; WaveLimiterHint : 1
; COMPUTE_PGM_RSRC2:SCRATCH_EN: 1
; COMPUTE_PGM_RSRC2:USER_SGPR: 6
; COMPUTE_PGM_RSRC2:TRAP_HANDLER: 0
; COMPUTE_PGM_RSRC2:TGID_X_EN: 1
; COMPUTE_PGM_RSRC2:TGID_Y_EN: 1
; COMPUTE_PGM_RSRC2:TGID_Z_EN: 1
; COMPUTE_PGM_RSRC2:TIDIG_COMP_CNT: 0
	.text
	.p2align	2                               ; -- Begin function _ZN4vllm22paged_attention_kernelIthLi256ELi32ELi128ELNS_18Fp8KVCacheDataTypeE1ELb0ELi0EEEvPfS2_PT_PKS3_PKT0_S9_ifPKiSB_iPKfiiiSD_SD_iiiii
	.type	_ZN4vllm22paged_attention_kernelIthLi256ELi32ELi128ELNS_18Fp8KVCacheDataTypeE1ELb0ELi0EEEvPfS2_PT_PKS3_PKT0_S9_ifPKiSB_iPKfiiiSD_SD_iiiii,@function
_ZN4vllm22paged_attention_kernelIthLi256ELi32ELi128ELNS_18Fp8KVCacheDataTypeE1ELb0ELi0EEEvPfS2_PT_PKS3_PKT0_S9_ifPKiSB_iPKfiiiSD_SD_iiiii: ; @_ZN4vllm22paged_attention_kernelIthLi256ELi32ELi128ELNS_18Fp8KVCacheDataTypeE1ELb0ELi0EEEvPfS2_PT_PKS3_PKT0_S9_ifPKiSB_iPKfiiiSD_SD_iiiii
; %bb.0:
	s_waitcnt vmcnt(0) expcnt(0) lgkmcnt(0)
	buffer_store_dword v40, off, s[0:3], s32 offset:60 ; 4-byte Folded Spill
	buffer_store_dword v41, off, s[0:3], s32 offset:56 ; 4-byte Folded Spill
	;; [unrolled: 1-line block ×15, first 2 shown]
	buffer_store_dword v63, off, s[0:3], s32 ; 4-byte Folded Spill
	s_mov_b32 s16, s13
	s_ashr_i32 s17, s13, 31
	s_lshl_b64 s[4:5], s[16:17], 2
	buffer_store_dword v18, off, s[0:3], s32 offset:392 ; 4-byte Folded Spill
	buffer_store_dword v11, off, s[0:3], s32 offset:636 ; 4-byte Folded Spill
	;; [unrolled: 1-line block ×8, first 2 shown]
	v_mov_b32_e32 v1, s5
	v_add_co_u32_e32 v0, vcc, s4, v12
	buffer_store_dword v22, off, s[0:3], s32 offset:64 ; 4-byte Folded Spill
	s_nop 0
	buffer_store_dword v23, off, s[0:3], s32 offset:68 ; 4-byte Folded Spill
	buffer_store_dword v20, off, s[0:3], s32 offset:604 ; 4-byte Folded Spill
	s_nop 0
	buffer_store_dword v21, off, s[0:3], s32 offset:608 ; 4-byte Folded Spill
	v_addc_co_u32_e32 v1, vcc, v13, v1, vcc
	flat_load_dword v27, v[0:1]
	v_sub_u32_e32 v6, 0, v8
	v_max_i32_e32 v6, v8, v6
	v_cvt_f32_u32_e32 v7, v6
	s_load_dword s4, s[8:9], 0x10
	s_load_dword s6, s[8:9], 0x0
	v_sub_u32_e32 v1, 0, v6
	v_rcp_iflag_f32_e32 v0, v7
	s_mov_b32 s20, s15
	s_waitcnt lgkmcnt(0)
	s_lshr_b32 s4, s4, 16
	s_cmp_lg_u32 s4, 0
	v_mul_f32_e32 v0, 0x4f7ffffe, v0
	v_cvt_u32_f32_e32 v0, v0
	s_cselect_b64 s[4:5], -1, 0
	s_cmp_lg_u64 s[4:5], 0
	s_addc_u32 s15, s6, 0
	v_mul_lo_u32 v1, v1, v0
	s_abs_i32 s4, s15
	s_abs_i32 s10, s12
	v_mul_hi_u32 v1, v0, v1
	v_add_u32_e32 v0, v0, v1
	v_mul_hi_u32 v0, s4, v0
	v_mul_lo_u32 v1, v0, v6
	v_add_u32_e32 v7, 1, v0
	v_sub_u32_e32 v1, s4, v1
	v_cmp_ge_u32_e32 vcc, v1, v6
	v_cndmask_b32_e32 v0, v0, v7, vcc
	v_sub_u32_e32 v7, v1, v6
	v_cndmask_b32_e32 v1, v1, v7, vcc
	v_add_u32_e32 v7, 1, v0
	v_cmp_ge_u32_e32 vcc, v1, v6
	v_xor_b32_e32 v1, s15, v8
	v_cndmask_b32_e32 v0, v0, v7, vcc
	v_ashrrev_i32_e32 v1, 31, v1
	v_xor_b32_e32 v0, v0, v1
	v_sub_u32_e32 v1, v0, v1
	v_sub_u32_e32 v0, 0, v1
	v_max_i32_e32 v0, v1, v0
	v_cvt_f32_u32_e32 v6, v0
	v_sub_u32_e32 v7, 0, v0
	v_cmp_ne_u64_e32 vcc, 0, v[15:16]
	v_rcp_iflag_f32_e32 v6, v6
	v_mul_f32_e32 v6, 0x4f7ffffe, v6
	v_cvt_u32_f32_e32 v6, v6
	v_mul_lo_u32 v7, v7, v6
	v_mul_hi_u32 v7, v6, v7
	v_add_u32_e32 v6, v6, v7
	v_mad_u64_u32 v[12:13], s[4:5], s10, v6, 0
	v_mov_b32_e32 v6, 0
	buffer_store_dword v6, off, s[0:3], s32 offset:624 ; 4-byte Folded Spill
	s_and_saveexec_b64 s[4:5], vcc
	s_cbranch_execz .LBB272_2
; %bb.1:
	s_ashr_i32 s13, s12, 31
	s_lshl_b64 s[6:7], s[12:13], 2
	v_mov_b32_e32 v7, s7
	v_add_co_u32_e32 v6, vcc, s6, v15
	v_addc_co_u32_e32 v7, vcc, v16, v7, vcc
	flat_load_dword v6, v[6:7]
	s_waitcnt vmcnt(0) lgkmcnt(0)
	buffer_store_dword v6, off, s[0:3], s32 offset:624 ; 4-byte Folded Spill
.LBB272_2:
	s_or_b64 exec, exec, s[4:5]
	v_and_b32_e32 v12, 0x3ff, v31
	s_ashr_i32 s11, s12, 31
	v_ashrrev_i32_e32 v1, 31, v1
	v_and_b32_e32 v6, 1, v31
	s_lshl_b32 s18, s12, 8
	v_cmp_gt_u32_e64 s[4:5], 64, v12
	v_lshlrev_b32_e32 v7, 3, v12
	buffer_store_dword v7, off, s[0:3], s32 offset:680 ; 4-byte Folded Spill
	s_and_saveexec_b64 s[6:7], s[4:5]
	s_cbranch_execz .LBB272_4
; %bb.3:
	v_mul_lo_u32 v7, v17, s16
	s_ashr_i32 s19, s18, 31
	s_lshl_b64 s[12:13], s[18:19], 1
	v_ashrrev_i32_e32 v8, 31, v7
	v_lshlrev_b64 v[7:8], 1, v[7:8]
	v_add_co_u32_e32 v2, vcc, v2, v7
	v_addc_co_u32_e32 v3, vcc, v3, v8, vcc
	v_mov_b32_e32 v7, s13
	v_add_co_u32_e32 v2, vcc, s12, v2
	v_addc_co_u32_e32 v3, vcc, v3, v7, vcc
	v_lshlrev_b32_e32 v7, 3, v12
	v_add_co_u32_e32 v2, vcc, v2, v7
	v_addc_co_u32_e32 v3, vcc, 0, v3, vcc
	flat_load_dwordx2 v[2:3], v[2:3]
	v_lshlrev_b32_e32 v7, 2, v12
	v_and_b32_e32 v7, 0xff8, v7
	v_lshl_add_u32 v7, v6, 8, v7
	s_waitcnt vmcnt(0) lgkmcnt(0)
	ds_write_b64 v7, v[2:3]
.LBB272_4:
	s_or_b64 exec, exec, s[6:7]
	s_waitcnt vmcnt(0)
	v_add_u32_e32 v2, 31, v27
	v_ashrrev_i32_e32 v3, 31, v2
	v_lshrrev_b32_e32 v3, 27, v3
	v_add_u32_e32 v2, v2, v3
	v_mul_lo_u32 v3, v13, v0
	v_ashrrev_i32_e32 v9, 5, v2
	v_xor_b32_e32 v1, s11, v1
	v_lshrrev_b32_e32 v10, 6, v12
	v_sub_u32_e32 v2, s10, v3
	v_cmp_ge_u32_e32 vcc, v2, v0
	v_sub_u32_e32 v7, v2, v0
	v_add_u32_e32 v3, 1, v13
	v_cndmask_b32_e32 v2, v2, v7, vcc
	v_cndmask_b32_e32 v3, v13, v3, vcc
	v_cmp_ge_u32_e32 vcc, v2, v0
	v_mul_lo_u32 v2, v14, s16
	v_add_u32_e32 v7, 1, v3
	v_cndmask_b32_e32 v0, v3, v7, vcc
	v_xor_b32_e32 v0, v0, v1
	v_sub_u32_e32 v8, v0, v1
	v_ashrrev_i32_e32 v3, 31, v2
	v_cmp_ge_i32_e64 s[6:7], v10, v9
	v_mbcnt_lo_u32_b32 v7, -1, 0
                                        ; implicit-def: $vgpr0
	s_waitcnt lgkmcnt(0)
	s_barrier
	buffer_store_dword v9, off, s[0:3], s32 offset:84 ; 4-byte Folded Spill
	buffer_store_dword v10, off, s[0:3], s32 offset:80 ; 4-byte Folded Spill
                                        ; kill: killed $vgpr0
                                        ; implicit-def: $vgpr0
                                        ; implicit-def: $vgpr1
	s_and_saveexec_b64 s[10:11], s[6:7]
	s_xor_b64 s[10:11], exec, s[10:11]
	s_cbranch_execz .LBB272_6
; %bb.5:
                                        ; implicit-def: $vgpr4
	v_mbcnt_hi_u32_b32 v0, -1, v7
                                        ; kill: killed $vgpr4
                                        ; implicit-def: $vgpr4
	buffer_store_dword v0, off, s[0:3], s32 offset:600 ; 4-byte Folded Spill
	v_and_b32_e32 v0, 64, v0
                                        ; kill: killed $vgpr4
                                        ; implicit-def: $vgpr4
	v_add_u32_e32 v1, 64, v0
	buffer_store_dword v4, off, s[0:3], s32 offset:604 ; 4-byte Folded Spill
	s_nop 0
	buffer_store_dword v5, off, s[0:3], s32 offset:608 ; 4-byte Folded Spill
                                        ; implicit-def: $vgpr4
                                        ; implicit-def: $vgpr5
                                        ; implicit-def: $vgpr6
                                        ; implicit-def: $vgpr7
.LBB272_6:
	s_or_saveexec_b64 s[12:13], s[10:11]
	v_mul_lo_u32 v8, v8, v19
	s_load_dword s19, s[8:9], 0x14
	s_load_dword s17, s[8:9], 0x8
	v_lshlrev_b64 v[2:3], 2, v[2:3]
	v_mov_b32_e32 v10, 0xff7fffff
	buffer_store_dword v8, off, s[0:3], s32 offset:656 ; 4-byte Folded Spill
	v_ashrrev_i32_e32 v8, 31, v8
	buffer_store_dword v8, off, s[0:3], s32 offset:660 ; 4-byte Folded Spill
	buffer_store_dword v2, off, s[0:3], s32 offset:644 ; 4-byte Folded Spill
	s_nop 0
	buffer_store_dword v3, off, s[0:3], s32 offset:648 ; 4-byte Folded Spill
	v_lshrrev_b32_e32 v2, 4, v12
	buffer_store_dword v2, off, s[0:3], s32 offset:652 ; 4-byte Folded Spill
	buffer_store_dword v12, off, s[0:3], s32 offset:632 ; 4-byte Folded Spill
	s_xor_b64 exec, exec, s[12:13]
	s_cbranch_execz .LBB272_780
; %bb.7:
	buffer_load_dword v1, off, s[0:3], s32 offset:656 ; 4-byte Folded Reload
	buffer_load_dword v2, off, s[0:3], s32 offset:660 ; 4-byte Folded Reload
	v_bfe_u32 v0, v12, 1, 5
	v_lshlrev_b32_e32 v3, 4, v0
	s_ashr_i32 s21, s20, 31
	s_lshl_b64 s[22:23], s[20:21], 2
	s_getpc_b64 s[24:25]
	s_add_u32 s24, s24, llvm.amdgcn.dynlds.offset.table@rel32@lo+4
	s_addc_u32 s25, s25, llvm.amdgcn.dynlds.offset.table@rel32@hi+12
	s_add_u32 s22, s24, s22
	v_lshlrev_b32_e32 v34, 8, v6
	v_cmp_eq_u32_e64 s[8:9], 0, v6
	s_addc_u32 s23, s25, s23
	s_mov_b64 s[24:25], 0
	s_movk_i32 s21, 0x80
	s_movk_i32 s42, 0x7f
	s_mov_b32 s43, 0x8000
	s_mov_b32 s44, 0xffffff
	s_waitcnt vmcnt(1)
	v_add_co_u32_e32 v1, vcc, v4, v1
	s_waitcnt vmcnt(0)
	v_addc_co_u32_e32 v2, vcc, v5, v2, vcc
	v_add_co_u32_e32 v1, vcc, v1, v3
	v_addc_co_u32_e32 v2, vcc, 0, v2, vcc
	buffer_store_dword v1, off, s[0:3], s32 offset:616 ; 4-byte Folded Spill
	s_nop 0
	buffer_store_dword v2, off, s[0:3], s32 offset:620 ; 4-byte Folded Spill
	buffer_load_dword v1, off, s[0:3], s32 offset:624 ; 4-byte Folded Reload
	v_lshlrev_b32_e32 v2, 2, v6
	buffer_store_dword v2, off, s[0:3], s32 offset:72 ; 4-byte Folded Spill
	v_mov_b32_e32 v5, 0
	s_waitcnt vmcnt(1)
	v_cmp_neq_f32_e64 s[10:11], 0, v1
	v_or_b32_e32 v1, 8, v2
	buffer_store_dword v1, off, s[0:3], s32 offset:76 ; 4-byte Folded Spill
	buffer_load_dword v1, off, s[0:3], s32 offset:652 ; 4-byte Folded Reload
	s_nop 0
	buffer_load_dword v2, off, s[0:3], s32 offset:644 ; 4-byte Folded Reload
	buffer_load_dword v3, off, s[0:3], s32 offset:648 ; 4-byte Folded Reload
	s_waitcnt vmcnt(2)
	v_and_b32_e32 v1, 60, v1
	s_waitcnt vmcnt(1)
	v_add_co_u32_e32 v1, vcc, v1, v2
	s_waitcnt vmcnt(0)
	v_addc_co_u32_e32 v2, vcc, 0, v3, vcc
	buffer_load_dword v3, off, s[0:3], s32 offset:640 ; 4-byte Folded Reload
	s_waitcnt vmcnt(0)
	v_add_co_u32_e32 v3, vcc, v3, v1
	buffer_load_dword v1, off, s[0:3], s32 offset:636 ; 4-byte Folded Reload
	s_waitcnt vmcnt(0)
	v_addc_co_u32_e32 v4, vcc, v1, v2, vcc
	buffer_load_dword v1, off, s[0:3], s32 offset:80 ; 4-byte Folded Reload
	s_waitcnt vmcnt(0)
	v_lshl_or_b32 v2, v1, 5, v0
	v_lshlrev_b32_e32 v0, 2, v0
	v_lshl_or_b32 v0, v1, 7, v0
	buffer_store_dword v0, off, s[0:3], s32 offset:380 ; 4-byte Folded Spill
	v_mov_b32_e32 v0, 0xff7fffff
	buffer_store_dword v0, off, s[0:3], s32 offset:612 ; 4-byte Folded Spill
	v_mbcnt_hi_u32_b32 v0, -1, v7
	v_mov_b32_e32 v8, v1
	buffer_store_dword v2, off, s[0:3], s32 offset:376 ; 4-byte Folded Spill
	buffer_store_dword v0, off, s[0:3], s32 offset:600 ; 4-byte Folded Spill
	s_branch .LBB272_9
.LBB272_8:                              ;   in Loop: Header=BB272_9 Depth=1
	s_or_b64 exec, exec, s[26:27]
	s_waitcnt lgkmcnt(0)
	buffer_load_dword v3, off, s[0:3], s32 offset:396 ; 4-byte Folded Reload
	buffer_load_dword v4, off, s[0:3], s32 offset:400 ; 4-byte Folded Reload
	;; [unrolled: 1-line block ×3, first 2 shown]
	s_waitcnt vmcnt(3)
	v_add_u32_e32 v8, 2, v8
	s_waitcnt vmcnt(2)
	v_add_co_u32_e32 v3, vcc, 8, v3
	s_waitcnt vmcnt(0)
	v_add_u32_e32 v2, 64, v2
	buffer_store_dword v2, off, s[0:3], s32 offset:376 ; 4-byte Folded Spill
	buffer_load_dword v2, off, s[0:3], s32 offset:84 ; 4-byte Folded Reload
	v_addc_co_u32_e32 v4, vcc, 0, v4, vcc
	s_waitcnt vmcnt(0)
	v_cmp_ge_i32_e32 vcc, v8, v2
	buffer_load_dword v2, off, s[0:3], s32 offset:380 ; 4-byte Folded Reload
	s_or_b64 s[24:25], vcc, s[24:25]
	s_waitcnt vmcnt(0)
	v_add_u32_e32 v2, 0x100, v2
	buffer_store_dword v2, off, s[0:3], s32 offset:380 ; 4-byte Folded Spill
	s_andn2_b64 exec, exec, s[24:25]
	s_cbranch_execz .LBB272_779
.LBB272_9:                              ; =>This Inner Loop Header: Depth=1
	buffer_store_dword v8, off, s[0:3], s32 offset:404 ; 4-byte Folded Spill
	buffer_store_dword v3, off, s[0:3], s32 offset:396 ; 4-byte Folded Spill
	s_nop 0
	buffer_store_dword v4, off, s[0:3], s32 offset:400 ; 4-byte Folded Spill
	flat_load_dword v0, v[3:4]
	buffer_load_dword v1, off, s[0:3], s32 offset:392 ; 4-byte Folded Reload
	s_nop 0
	buffer_load_dword v2, off, s[0:3], s32 offset:616 ; 4-byte Folded Reload
	buffer_load_dword v3, off, s[0:3], s32 offset:620 ; 4-byte Folded Reload
	s_waitcnt vmcnt(0) lgkmcnt(0)
	v_mad_i64_i32 v[16:17], s[26:27], v0, v1, v[2:3]
	buffer_load_dword v0, off, s[0:3], s32 offset:72 ; 4-byte Folded Reload
	s_waitcnt vmcnt(0)
	v_add_co_u32_e32 v24, vcc, v16, v0
	v_addc_co_u32_e32 v25, vcc, 0, v17, vcc
	flat_load_dword v8, v[24:25]
	buffer_load_dword v0, off, s[0:3], s32 offset:604 ; 4-byte Folded Reload
	buffer_load_dword v1, off, s[0:3], s32 offset:608 ; 4-byte Folded Reload
	s_waitcnt vmcnt(0) lgkmcnt(0)
	v_cmp_ne_u16_sdwa s[28:29], v8, v5 src0_sel:BYTE_0 src1_sel:DWORD
	flat_load_dword v51, v[0:1]
	v_mov_b32_e32 v0, 0
	buffer_store_dword v0, off, s[0:3], s32 offset:88 ; 4-byte Folded Spill
	s_and_saveexec_b64 s[26:27], s[28:29]
	s_cbranch_execz .LBB272_15
; %bb.10:                               ;   in Loop: Header=BB272_9 Depth=1
	v_cmp_ne_u16_sdwa s[40:41], v8, s21 src0_sel:BYTE_0 src1_sel:DWORD
	v_mov_b32_e32 v0, 0x8000
	buffer_store_dword v0, off, s[0:3], s32 offset:88 ; 4-byte Folded Spill
	s_and_saveexec_b64 s[28:29], s[40:41]
	s_cbranch_execz .LBB272_14
; %bb.11:                               ;   in Loop: Header=BB272_9 Depth=1
	v_and_b32_e32 v0, 0x7f, v8
	v_cmp_ne_u32_e32 vcc, s42, v0
	v_mov_b32_e32 v1, 0x7c01
	buffer_store_dword v1, off, s[0:3], s32 offset:88 ; 4-byte Folded Spill
	s_and_saveexec_b64 s[40:41], vcc
	s_cbranch_execz .LBB272_13
; %bb.12:                               ;   in Loop: Header=BB272_9 Depth=1
	v_and_b32_e32 v3, 7, v8
	v_ffbh_u32_e32 v1, v3
	v_min_u32_e32 v6, 32, v1
	v_subrev_u32_e32 v1, 28, v6
	v_lshlrev_b64 v[1:2], v1, v[8:9]
	v_lshrrev_b32_e32 v4, 3, v0
	v_sub_u32_e32 v2, 29, v6
	v_cmp_gt_u32_e32 vcc, 8, v0
	v_cndmask_b32_e32 v0, v4, v2, vcc
	v_mov_b32_e32 v4, 0x2000
	v_lshl_add_u32 v0, v0, 10, v4
	v_lshlrev_b32_e32 v2, 8, v8
	v_and_b32_e32 v1, 7, v1
	v_and_b32_e32 v0, 0xfc00, v0
	v_cndmask_b32_e32 v1, v3, v1, vcc
	v_and_or_b32 v0, v2, s43, v0
	v_lshl_or_b32 v0, v1, 7, v0
	buffer_store_dword v0, off, s[0:3], s32 offset:88 ; 4-byte Folded Spill
.LBB272_13:                             ;   in Loop: Header=BB272_9 Depth=1
	s_or_b64 exec, exec, s[40:41]
.LBB272_14:                             ;   in Loop: Header=BB272_9 Depth=1
	s_or_b64 exec, exec, s[28:29]
.LBB272_15:                             ;   in Loop: Header=BB272_9 Depth=1
	s_or_b64 exec, exec, s[26:27]
	v_lshrrev_b16_e32 v4, 8, v8
	v_mov_b32_e32 v0, 0
	v_cmp_ne_u16_e32 vcc, 0, v4
	buffer_store_dword v0, off, s[0:3], s32 offset:92 ; 4-byte Folded Spill
	v_mov_b32_e32 v0, 0
	buffer_store_dword v0, off, s[0:3], s32 offset:96 ; 4-byte Folded Spill
	s_and_saveexec_b64 s[26:27], vcc
	s_cbranch_execz .LBB272_21
; %bb.16:                               ;   in Loop: Header=BB272_9 Depth=1
	v_cmp_ne_u16_e32 vcc, s21, v4
	v_bfrev_b32_e32 v0, 1
	buffer_store_dword v0, off, s[0:3], s32 offset:96 ; 4-byte Folded Spill
	s_and_saveexec_b64 s[28:29], vcc
	s_cbranch_execz .LBB272_20
; %bb.17:                               ;   in Loop: Header=BB272_9 Depth=1
	v_and_b32_e32 v0, 0x7f, v4
	v_cmp_ne_u32_e32 vcc, s42, v0
	v_mov_b32_e32 v1, 0x7c010000
	buffer_store_dword v1, off, s[0:3], s32 offset:96 ; 4-byte Folded Spill
	s_and_saveexec_b64 s[40:41], vcc
	s_cbranch_execz .LBB272_19
; %bb.18:                               ;   in Loop: Header=BB272_9 Depth=1
	v_and_b32_e32 v3, 7, v4
	v_ffbh_u32_e32 v1, v3
	v_min_u32_e32 v7, 32, v1
	v_subrev_u32_e32 v1, 28, v7
	v_lshlrev_b64 v[1:2], v1, v[4:5]
	v_lshrrev_b32_e32 v6, 3, v0
	v_sub_u32_e32 v2, 29, v7
	v_cmp_gt_u32_e32 vcc, 8, v0
	v_cndmask_b32_e32 v0, v6, v2, vcc
	v_lshlrev_b32_e32 v2, 8, v4
	v_mov_b32_e32 v4, 0x2000
	v_lshl_add_u32 v0, v0, 10, v4
	v_and_b32_e32 v1, 7, v1
	v_and_or_b32 v0, v2, s43, v0
	v_cndmask_b32_e32 v1, v3, v1, vcc
	v_lshlrev_b32_e32 v0, 16, v0
	v_lshl_or_b32 v0, v1, 23, v0
	buffer_store_dword v0, off, s[0:3], s32 offset:96 ; 4-byte Folded Spill
.LBB272_19:                             ;   in Loop: Header=BB272_9 Depth=1
	s_or_b64 exec, exec, s[40:41]
.LBB272_20:                             ;   in Loop: Header=BB272_9 Depth=1
	s_or_b64 exec, exec, s[28:29]
.LBB272_21:                             ;   in Loop: Header=BB272_9 Depth=1
	s_or_b64 exec, exec, s[26:27]
	v_lshrrev_b32_e32 v4, 16, v8
	v_cmp_ne_u16_sdwa s[28:29], v4, v5 src0_sel:BYTE_0 src1_sel:DWORD
	s_and_saveexec_b64 s[26:27], s[28:29]
	s_cbranch_execz .LBB272_27
; %bb.22:                               ;   in Loop: Header=BB272_9 Depth=1
	v_cmp_ne_u16_sdwa s[40:41], v4, s21 src0_sel:BYTE_0 src1_sel:DWORD
	v_mov_b32_e32 v0, 0x8000
	buffer_store_dword v0, off, s[0:3], s32 offset:92 ; 4-byte Folded Spill
	s_and_saveexec_b64 s[28:29], s[40:41]
	s_cbranch_execz .LBB272_26
; %bb.23:                               ;   in Loop: Header=BB272_9 Depth=1
	v_bfe_u32 v0, v8, 16, 7
	v_cmp_ne_u32_e32 vcc, s42, v0
	v_mov_b32_e32 v1, 0x7c01
	buffer_store_dword v1, off, s[0:3], s32 offset:92 ; 4-byte Folded Spill
	s_and_saveexec_b64 s[40:41], vcc
	s_cbranch_execz .LBB272_25
; %bb.24:                               ;   in Loop: Header=BB272_9 Depth=1
	v_and_b32_e32 v3, 7, v4
	v_ffbh_u32_e32 v1, v3
	v_min_u32_e32 v7, 32, v1
	v_subrev_u32_e32 v1, 28, v7
	v_lshlrev_b64 v[1:2], v1, v[4:5]
	v_lshrrev_b32_e32 v6, 3, v0
	v_sub_u32_e32 v2, 29, v7
	v_cmp_gt_u32_e32 vcc, 8, v0
	v_cndmask_b32_e32 v0, v6, v2, vcc
	v_lshlrev_b32_e32 v2, 8, v4
	v_mov_b32_e32 v4, 0x2000
	v_lshl_add_u32 v0, v0, 10, v4
	v_and_b32_e32 v1, 7, v1
	v_and_b32_e32 v0, 0xfc00, v0
	v_cndmask_b32_e32 v1, v3, v1, vcc
	v_and_or_b32 v0, v2, s43, v0
	v_lshl_or_b32 v0, v1, 7, v0
	buffer_store_dword v0, off, s[0:3], s32 offset:92 ; 4-byte Folded Spill
.LBB272_25:                             ;   in Loop: Header=BB272_9 Depth=1
	s_or_b64 exec, exec, s[40:41]
.LBB272_26:                             ;   in Loop: Header=BB272_9 Depth=1
	s_or_b64 exec, exec, s[28:29]
.LBB272_27:                             ;   in Loop: Header=BB272_9 Depth=1
	s_or_b64 exec, exec, s[26:27]
	v_mov_b32_e32 v0, 0
	v_cmp_lt_u32_e32 vcc, s44, v8
	buffer_store_dword v0, off, s[0:3], s32 offset:100 ; 4-byte Folded Spill
	v_mov_b32_e32 v0, 0
	buffer_store_dword v0, off, s[0:3], s32 offset:384 ; 4-byte Folded Spill
	s_and_saveexec_b64 s[26:27], vcc
	s_cbranch_execz .LBB272_33
; %bb.28:                               ;   in Loop: Header=BB272_9 Depth=1
	v_lshrrev_b32_e32 v4, 24, v8
	v_cmp_ne_u32_e32 vcc, s21, v4
	v_bfrev_b32_e32 v1, 1
	s_and_saveexec_b64 s[28:29], vcc
	s_cbranch_execz .LBB272_32
; %bb.29:                               ;   in Loop: Header=BB272_9 Depth=1
	v_and_b32_e32 v0, 0x7f, v4
	v_cmp_ne_u32_e32 vcc, s42, v0
	v_mov_b32_e32 v1, 0x7c010000
	s_and_saveexec_b64 s[40:41], vcc
	s_cbranch_execz .LBB272_31
; %bb.30:                               ;   in Loop: Header=BB272_9 Depth=1
	v_and_b32_e32 v3, 7, v4
	v_ffbh_u32_e32 v1, v3
	v_min_u32_e32 v7, 32, v1
	v_subrev_u32_e32 v1, 28, v7
	v_lshlrev_b64 v[1:2], v1, v[4:5]
	v_lshrrev_b32_e32 v6, 3, v0
	v_sub_u32_e32 v2, 29, v7
	v_cmp_gt_u32_e32 vcc, 8, v0
	v_cndmask_b32_e32 v0, v6, v2, vcc
	v_lshlrev_b32_e32 v2, 8, v4
	v_mov_b32_e32 v4, 0x2000
	v_lshl_add_u32 v0, v0, 10, v4
	v_and_b32_e32 v1, 7, v1
	v_and_or_b32 v0, v2, s43, v0
	v_cndmask_b32_e32 v1, v3, v1, vcc
	v_lshlrev_b32_e32 v0, 16, v0
	v_lshl_or_b32 v1, v1, 23, v0
.LBB272_31:                             ;   in Loop: Header=BB272_9 Depth=1
	s_or_b64 exec, exec, s[40:41]
.LBB272_32:                             ;   in Loop: Header=BB272_9 Depth=1
	s_or_b64 exec, exec, s[28:29]
	buffer_store_dword v1, off, s[0:3], s32 offset:384 ; 4-byte Folded Spill
.LBB272_33:                             ;   in Loop: Header=BB272_9 Depth=1
	s_or_b64 exec, exec, s[26:27]
	flat_load_dword v8, v[24:25] offset:8
	s_waitcnt vmcnt(0) lgkmcnt(0)
	v_cmp_ne_u16_sdwa s[28:29], v8, v5 src0_sel:BYTE_0 src1_sel:DWORD
	s_and_saveexec_b64 s[26:27], s[28:29]
	s_cbranch_execz .LBB272_39
; %bb.34:                               ;   in Loop: Header=BB272_9 Depth=1
	v_cmp_ne_u16_sdwa s[40:41], v8, s21 src0_sel:BYTE_0 src1_sel:DWORD
	v_mov_b32_e32 v0, 0x8000
	buffer_store_dword v0, off, s[0:3], s32 offset:100 ; 4-byte Folded Spill
	s_and_saveexec_b64 s[28:29], s[40:41]
	s_cbranch_execz .LBB272_38
; %bb.35:                               ;   in Loop: Header=BB272_9 Depth=1
	v_and_b32_e32 v0, 0x7f, v8
	v_cmp_ne_u32_e32 vcc, s42, v0
	v_mov_b32_e32 v1, 0x7c01
	buffer_store_dword v1, off, s[0:3], s32 offset:100 ; 4-byte Folded Spill
	s_and_saveexec_b64 s[40:41], vcc
	s_cbranch_execz .LBB272_37
; %bb.36:                               ;   in Loop: Header=BB272_9 Depth=1
	v_and_b32_e32 v3, 7, v8
	v_ffbh_u32_e32 v1, v3
	v_min_u32_e32 v6, 32, v1
	v_subrev_u32_e32 v1, 28, v6
	v_lshlrev_b64 v[1:2], v1, v[8:9]
	v_lshrrev_b32_e32 v4, 3, v0
	v_sub_u32_e32 v2, 29, v6
	v_cmp_gt_u32_e32 vcc, 8, v0
	v_cndmask_b32_e32 v0, v4, v2, vcc
	v_mov_b32_e32 v4, 0x2000
	v_lshl_add_u32 v0, v0, 10, v4
	v_lshlrev_b32_e32 v2, 8, v8
	v_and_b32_e32 v1, 7, v1
	v_and_b32_e32 v0, 0xfc00, v0
	v_cndmask_b32_e32 v1, v3, v1, vcc
	v_and_or_b32 v0, v2, s43, v0
	v_lshl_or_b32 v0, v1, 7, v0
	buffer_store_dword v0, off, s[0:3], s32 offset:100 ; 4-byte Folded Spill
.LBB272_37:                             ;   in Loop: Header=BB272_9 Depth=1
	s_or_b64 exec, exec, s[40:41]
.LBB272_38:                             ;   in Loop: Header=BB272_9 Depth=1
	s_or_b64 exec, exec, s[28:29]
.LBB272_39:                             ;   in Loop: Header=BB272_9 Depth=1
	s_or_b64 exec, exec, s[26:27]
	v_lshrrev_b16_e32 v4, 8, v8
	v_mov_b32_e32 v0, 0
	v_cmp_ne_u16_e32 vcc, 0, v4
	buffer_store_dword v0, off, s[0:3], s32 offset:104 ; 4-byte Folded Spill
	v_mov_b32_e32 v0, 0
	buffer_store_dword v0, off, s[0:3], s32 offset:108 ; 4-byte Folded Spill
	s_and_saveexec_b64 s[26:27], vcc
	s_cbranch_execz .LBB272_45
; %bb.40:                               ;   in Loop: Header=BB272_9 Depth=1
	v_cmp_ne_u16_e32 vcc, s21, v4
	v_bfrev_b32_e32 v0, 1
	buffer_store_dword v0, off, s[0:3], s32 offset:108 ; 4-byte Folded Spill
	s_and_saveexec_b64 s[28:29], vcc
	s_cbranch_execz .LBB272_44
; %bb.41:                               ;   in Loop: Header=BB272_9 Depth=1
	v_and_b32_e32 v0, 0x7f, v4
	v_cmp_ne_u32_e32 vcc, s42, v0
	v_mov_b32_e32 v1, 0x7c010000
	buffer_store_dword v1, off, s[0:3], s32 offset:108 ; 4-byte Folded Spill
	s_and_saveexec_b64 s[40:41], vcc
	s_cbranch_execz .LBB272_43
; %bb.42:                               ;   in Loop: Header=BB272_9 Depth=1
	v_and_b32_e32 v3, 7, v4
	v_ffbh_u32_e32 v1, v3
	v_min_u32_e32 v7, 32, v1
	v_subrev_u32_e32 v1, 28, v7
	v_lshlrev_b64 v[1:2], v1, v[4:5]
	v_lshrrev_b32_e32 v6, 3, v0
	v_sub_u32_e32 v2, 29, v7
	v_cmp_gt_u32_e32 vcc, 8, v0
	v_cndmask_b32_e32 v0, v6, v2, vcc
	v_lshlrev_b32_e32 v2, 8, v4
	v_mov_b32_e32 v4, 0x2000
	v_lshl_add_u32 v0, v0, 10, v4
	v_and_b32_e32 v1, 7, v1
	v_and_or_b32 v0, v2, s43, v0
	v_cndmask_b32_e32 v1, v3, v1, vcc
	v_lshlrev_b32_e32 v0, 16, v0
	v_lshl_or_b32 v0, v1, 23, v0
	buffer_store_dword v0, off, s[0:3], s32 offset:108 ; 4-byte Folded Spill
.LBB272_43:                             ;   in Loop: Header=BB272_9 Depth=1
	s_or_b64 exec, exec, s[40:41]
.LBB272_44:                             ;   in Loop: Header=BB272_9 Depth=1
	s_or_b64 exec, exec, s[28:29]
.LBB272_45:                             ;   in Loop: Header=BB272_9 Depth=1
	s_or_b64 exec, exec, s[26:27]
	v_lshrrev_b32_e32 v4, 16, v8
	v_cmp_ne_u16_sdwa s[28:29], v4, v5 src0_sel:BYTE_0 src1_sel:DWORD
	s_and_saveexec_b64 s[26:27], s[28:29]
	s_cbranch_execz .LBB272_51
; %bb.46:                               ;   in Loop: Header=BB272_9 Depth=1
	v_cmp_ne_u16_sdwa s[40:41], v4, s21 src0_sel:BYTE_0 src1_sel:DWORD
	v_mov_b32_e32 v0, 0x8000
	buffer_store_dword v0, off, s[0:3], s32 offset:104 ; 4-byte Folded Spill
	s_and_saveexec_b64 s[28:29], s[40:41]
	s_cbranch_execz .LBB272_50
; %bb.47:                               ;   in Loop: Header=BB272_9 Depth=1
	v_bfe_u32 v0, v8, 16, 7
	v_cmp_ne_u32_e32 vcc, s42, v0
	v_mov_b32_e32 v1, 0x7c01
	buffer_store_dword v1, off, s[0:3], s32 offset:104 ; 4-byte Folded Spill
	s_and_saveexec_b64 s[40:41], vcc
	s_cbranch_execz .LBB272_49
; %bb.48:                               ;   in Loop: Header=BB272_9 Depth=1
	v_and_b32_e32 v3, 7, v4
	v_ffbh_u32_e32 v1, v3
	v_min_u32_e32 v7, 32, v1
	v_subrev_u32_e32 v1, 28, v7
	v_lshlrev_b64 v[1:2], v1, v[4:5]
	v_lshrrev_b32_e32 v6, 3, v0
	v_sub_u32_e32 v2, 29, v7
	v_cmp_gt_u32_e32 vcc, 8, v0
	v_cndmask_b32_e32 v0, v6, v2, vcc
	v_lshlrev_b32_e32 v2, 8, v4
	v_mov_b32_e32 v4, 0x2000
	v_lshl_add_u32 v0, v0, 10, v4
	v_and_b32_e32 v1, 7, v1
	v_and_b32_e32 v0, 0xfc00, v0
	v_cndmask_b32_e32 v1, v3, v1, vcc
	v_and_or_b32 v0, v2, s43, v0
	v_lshl_or_b32 v0, v1, 7, v0
	buffer_store_dword v0, off, s[0:3], s32 offset:104 ; 4-byte Folded Spill
.LBB272_49:                             ;   in Loop: Header=BB272_9 Depth=1
	s_or_b64 exec, exec, s[40:41]
.LBB272_50:                             ;   in Loop: Header=BB272_9 Depth=1
	s_or_b64 exec, exec, s[28:29]
.LBB272_51:                             ;   in Loop: Header=BB272_9 Depth=1
	s_or_b64 exec, exec, s[26:27]
	v_mov_b32_e32 v0, 0
	v_cmp_lt_u32_e32 vcc, s44, v8
	buffer_store_dword v0, off, s[0:3], s32 offset:112 ; 4-byte Folded Spill
	v_mov_b32_e32 v0, 0
	buffer_store_dword v0, off, s[0:3], s32 offset:388 ; 4-byte Folded Spill
	s_and_saveexec_b64 s[26:27], vcc
	s_cbranch_execz .LBB272_57
; %bb.52:                               ;   in Loop: Header=BB272_9 Depth=1
	v_lshrrev_b32_e32 v4, 24, v8
	v_cmp_ne_u32_e32 vcc, s21, v4
	v_bfrev_b32_e32 v1, 1
	s_and_saveexec_b64 s[28:29], vcc
	s_cbranch_execz .LBB272_56
; %bb.53:                               ;   in Loop: Header=BB272_9 Depth=1
	v_and_b32_e32 v0, 0x7f, v4
	v_cmp_ne_u32_e32 vcc, s42, v0
	v_mov_b32_e32 v1, 0x7c010000
	s_and_saveexec_b64 s[40:41], vcc
	s_cbranch_execz .LBB272_55
; %bb.54:                               ;   in Loop: Header=BB272_9 Depth=1
	v_and_b32_e32 v3, 7, v4
	v_ffbh_u32_e32 v1, v3
	v_min_u32_e32 v7, 32, v1
	v_subrev_u32_e32 v1, 28, v7
	v_lshlrev_b64 v[1:2], v1, v[4:5]
	v_lshrrev_b32_e32 v6, 3, v0
	v_sub_u32_e32 v2, 29, v7
	v_cmp_gt_u32_e32 vcc, 8, v0
	v_cndmask_b32_e32 v0, v6, v2, vcc
	v_lshlrev_b32_e32 v2, 8, v4
	v_mov_b32_e32 v4, 0x2000
	v_lshl_add_u32 v0, v0, 10, v4
	v_and_b32_e32 v1, 7, v1
	v_and_or_b32 v0, v2, s43, v0
	v_cndmask_b32_e32 v1, v3, v1, vcc
	v_lshlrev_b32_e32 v0, 16, v0
	v_lshl_or_b32 v1, v1, 23, v0
.LBB272_55:                             ;   in Loop: Header=BB272_9 Depth=1
	s_or_b64 exec, exec, s[40:41]
.LBB272_56:                             ;   in Loop: Header=BB272_9 Depth=1
	s_or_b64 exec, exec, s[28:29]
	buffer_store_dword v1, off, s[0:3], s32 offset:388 ; 4-byte Folded Spill
.LBB272_57:                             ;   in Loop: Header=BB272_9 Depth=1
	s_or_b64 exec, exec, s[26:27]
	flat_load_dword v8, v[24:25] offset:512
	s_waitcnt vmcnt(0) lgkmcnt(0)
	v_cmp_ne_u16_sdwa s[28:29], v8, v5 src0_sel:BYTE_0 src1_sel:DWORD
	s_and_saveexec_b64 s[26:27], s[28:29]
	s_cbranch_execz .LBB272_63
; %bb.58:                               ;   in Loop: Header=BB272_9 Depth=1
	v_cmp_ne_u16_sdwa s[40:41], v8, s21 src0_sel:BYTE_0 src1_sel:DWORD
	v_mov_b32_e32 v0, 0x8000
	buffer_store_dword v0, off, s[0:3], s32 offset:112 ; 4-byte Folded Spill
	s_and_saveexec_b64 s[28:29], s[40:41]
	s_cbranch_execz .LBB272_62
; %bb.59:                               ;   in Loop: Header=BB272_9 Depth=1
	v_and_b32_e32 v0, 0x7f, v8
	v_cmp_ne_u32_e32 vcc, s42, v0
	v_mov_b32_e32 v1, 0x7c01
	buffer_store_dword v1, off, s[0:3], s32 offset:112 ; 4-byte Folded Spill
	s_and_saveexec_b64 s[40:41], vcc
	s_cbranch_execz .LBB272_61
; %bb.60:                               ;   in Loop: Header=BB272_9 Depth=1
	v_and_b32_e32 v3, 7, v8
	v_ffbh_u32_e32 v1, v3
	v_min_u32_e32 v6, 32, v1
	v_subrev_u32_e32 v1, 28, v6
	v_lshlrev_b64 v[1:2], v1, v[8:9]
	v_lshrrev_b32_e32 v4, 3, v0
	v_sub_u32_e32 v2, 29, v6
	v_cmp_gt_u32_e32 vcc, 8, v0
	v_cndmask_b32_e32 v0, v4, v2, vcc
	v_mov_b32_e32 v4, 0x2000
	v_lshl_add_u32 v0, v0, 10, v4
	v_lshlrev_b32_e32 v2, 8, v8
	v_and_b32_e32 v1, 7, v1
	v_and_b32_e32 v0, 0xfc00, v0
	v_cndmask_b32_e32 v1, v3, v1, vcc
	v_and_or_b32 v0, v2, s43, v0
	v_lshl_or_b32 v0, v1, 7, v0
	buffer_store_dword v0, off, s[0:3], s32 offset:112 ; 4-byte Folded Spill
.LBB272_61:                             ;   in Loop: Header=BB272_9 Depth=1
	s_or_b64 exec, exec, s[40:41]
.LBB272_62:                             ;   in Loop: Header=BB272_9 Depth=1
	s_or_b64 exec, exec, s[28:29]
.LBB272_63:                             ;   in Loop: Header=BB272_9 Depth=1
	s_or_b64 exec, exec, s[26:27]
	v_lshrrev_b16_e32 v4, 8, v8
	v_mov_b32_e32 v0, 0
	v_cmp_ne_u16_e32 vcc, 0, v4
	buffer_store_dword v0, off, s[0:3], s32 offset:116 ; 4-byte Folded Spill
	v_mov_b32_e32 v0, 0
	buffer_store_dword v0, off, s[0:3], s32 offset:120 ; 4-byte Folded Spill
	s_and_saveexec_b64 s[26:27], vcc
	s_cbranch_execz .LBB272_69
; %bb.64:                               ;   in Loop: Header=BB272_9 Depth=1
	v_cmp_ne_u16_e32 vcc, s21, v4
	v_bfrev_b32_e32 v0, 1
	buffer_store_dword v0, off, s[0:3], s32 offset:120 ; 4-byte Folded Spill
	s_and_saveexec_b64 s[28:29], vcc
	s_cbranch_execz .LBB272_68
; %bb.65:                               ;   in Loop: Header=BB272_9 Depth=1
	v_and_b32_e32 v0, 0x7f, v4
	v_cmp_ne_u32_e32 vcc, s42, v0
	v_mov_b32_e32 v1, 0x7c010000
	buffer_store_dword v1, off, s[0:3], s32 offset:120 ; 4-byte Folded Spill
	s_and_saveexec_b64 s[40:41], vcc
	s_cbranch_execz .LBB272_67
; %bb.66:                               ;   in Loop: Header=BB272_9 Depth=1
	v_and_b32_e32 v3, 7, v4
	v_ffbh_u32_e32 v1, v3
	v_min_u32_e32 v7, 32, v1
	v_subrev_u32_e32 v1, 28, v7
	v_lshlrev_b64 v[1:2], v1, v[4:5]
	v_lshrrev_b32_e32 v6, 3, v0
	v_sub_u32_e32 v2, 29, v7
	v_cmp_gt_u32_e32 vcc, 8, v0
	v_cndmask_b32_e32 v0, v6, v2, vcc
	v_lshlrev_b32_e32 v2, 8, v4
	v_mov_b32_e32 v4, 0x2000
	v_lshl_add_u32 v0, v0, 10, v4
	v_and_b32_e32 v1, 7, v1
	v_and_or_b32 v0, v2, s43, v0
	v_cndmask_b32_e32 v1, v3, v1, vcc
	v_lshlrev_b32_e32 v0, 16, v0
	v_lshl_or_b32 v0, v1, 23, v0
	buffer_store_dword v0, off, s[0:3], s32 offset:120 ; 4-byte Folded Spill
.LBB272_67:                             ;   in Loop: Header=BB272_9 Depth=1
	s_or_b64 exec, exec, s[40:41]
.LBB272_68:                             ;   in Loop: Header=BB272_9 Depth=1
	s_or_b64 exec, exec, s[28:29]
.LBB272_69:                             ;   in Loop: Header=BB272_9 Depth=1
	s_or_b64 exec, exec, s[26:27]
	v_lshrrev_b32_e32 v4, 16, v8
	v_cmp_ne_u16_sdwa s[28:29], v4, v5 src0_sel:BYTE_0 src1_sel:DWORD
	s_and_saveexec_b64 s[26:27], s[28:29]
	s_cbranch_execz .LBB272_75
; %bb.70:                               ;   in Loop: Header=BB272_9 Depth=1
	v_cmp_ne_u16_sdwa s[40:41], v4, s21 src0_sel:BYTE_0 src1_sel:DWORD
	v_mov_b32_e32 v0, 0x8000
	buffer_store_dword v0, off, s[0:3], s32 offset:116 ; 4-byte Folded Spill
	s_and_saveexec_b64 s[28:29], s[40:41]
	s_cbranch_execz .LBB272_74
; %bb.71:                               ;   in Loop: Header=BB272_9 Depth=1
	v_bfe_u32 v0, v8, 16, 7
	v_cmp_ne_u32_e32 vcc, s42, v0
	v_mov_b32_e32 v1, 0x7c01
	buffer_store_dword v1, off, s[0:3], s32 offset:116 ; 4-byte Folded Spill
	s_and_saveexec_b64 s[40:41], vcc
	s_cbranch_execz .LBB272_73
; %bb.72:                               ;   in Loop: Header=BB272_9 Depth=1
	v_and_b32_e32 v3, 7, v4
	v_ffbh_u32_e32 v1, v3
	v_min_u32_e32 v7, 32, v1
	v_subrev_u32_e32 v1, 28, v7
	v_lshlrev_b64 v[1:2], v1, v[4:5]
	v_lshrrev_b32_e32 v6, 3, v0
	v_sub_u32_e32 v2, 29, v7
	v_cmp_gt_u32_e32 vcc, 8, v0
	v_cndmask_b32_e32 v0, v6, v2, vcc
	v_lshlrev_b32_e32 v2, 8, v4
	v_mov_b32_e32 v4, 0x2000
	v_lshl_add_u32 v0, v0, 10, v4
	v_and_b32_e32 v1, 7, v1
	v_and_b32_e32 v0, 0xfc00, v0
	v_cndmask_b32_e32 v1, v3, v1, vcc
	v_and_or_b32 v0, v2, s43, v0
	v_lshl_or_b32 v0, v1, 7, v0
	buffer_store_dword v0, off, s[0:3], s32 offset:116 ; 4-byte Folded Spill
.LBB272_73:                             ;   in Loop: Header=BB272_9 Depth=1
	s_or_b64 exec, exec, s[40:41]
.LBB272_74:                             ;   in Loop: Header=BB272_9 Depth=1
	s_or_b64 exec, exec, s[28:29]
.LBB272_75:                             ;   in Loop: Header=BB272_9 Depth=1
	s_or_b64 exec, exec, s[26:27]
	v_mov_b32_e32 v0, 0
	v_cmp_lt_u32_e32 vcc, s44, v8
	buffer_store_dword v0, off, s[0:3], s32 offset:128 ; 4-byte Folded Spill
	v_mov_b32_e32 v0, 0
	buffer_store_dword v0, off, s[0:3], s32 offset:124 ; 4-byte Folded Spill
	s_and_saveexec_b64 s[26:27], vcc
	s_cbranch_execz .LBB272_81
; %bb.76:                               ;   in Loop: Header=BB272_9 Depth=1
	v_lshrrev_b32_e32 v4, 24, v8
	v_cmp_ne_u32_e32 vcc, s21, v4
	v_bfrev_b32_e32 v0, 1
	buffer_store_dword v0, off, s[0:3], s32 offset:124 ; 4-byte Folded Spill
	s_and_saveexec_b64 s[28:29], vcc
	s_cbranch_execz .LBB272_80
; %bb.77:                               ;   in Loop: Header=BB272_9 Depth=1
	v_and_b32_e32 v0, 0x7f, v4
	v_cmp_ne_u32_e32 vcc, s42, v0
	v_mov_b32_e32 v1, 0x7c010000
	buffer_store_dword v1, off, s[0:3], s32 offset:124 ; 4-byte Folded Spill
	s_and_saveexec_b64 s[40:41], vcc
	s_cbranch_execz .LBB272_79
; %bb.78:                               ;   in Loop: Header=BB272_9 Depth=1
	v_and_b32_e32 v3, 7, v4
	v_ffbh_u32_e32 v1, v3
	v_min_u32_e32 v7, 32, v1
	v_subrev_u32_e32 v1, 28, v7
	v_lshlrev_b64 v[1:2], v1, v[4:5]
	v_lshrrev_b32_e32 v6, 3, v0
	v_sub_u32_e32 v2, 29, v7
	v_cmp_gt_u32_e32 vcc, 8, v0
	v_cndmask_b32_e32 v0, v6, v2, vcc
	v_lshlrev_b32_e32 v2, 8, v4
	v_mov_b32_e32 v4, 0x2000
	v_lshl_add_u32 v0, v0, 10, v4
	v_and_b32_e32 v1, 7, v1
	v_and_or_b32 v0, v2, s43, v0
	v_cndmask_b32_e32 v1, v3, v1, vcc
	v_lshlrev_b32_e32 v0, 16, v0
	v_lshl_or_b32 v0, v1, 23, v0
	buffer_store_dword v0, off, s[0:3], s32 offset:124 ; 4-byte Folded Spill
.LBB272_79:                             ;   in Loop: Header=BB272_9 Depth=1
	s_or_b64 exec, exec, s[40:41]
.LBB272_80:                             ;   in Loop: Header=BB272_9 Depth=1
	s_or_b64 exec, exec, s[28:29]
.LBB272_81:                             ;   in Loop: Header=BB272_9 Depth=1
	s_or_b64 exec, exec, s[26:27]
	flat_load_dword v8, v[24:25] offset:520
	s_waitcnt vmcnt(0) lgkmcnt(0)
	v_cmp_ne_u16_sdwa s[28:29], v8, v5 src0_sel:BYTE_0 src1_sel:DWORD
	s_and_saveexec_b64 s[26:27], s[28:29]
	s_cbranch_execz .LBB272_87
; %bb.82:                               ;   in Loop: Header=BB272_9 Depth=1
	v_cmp_ne_u16_sdwa s[40:41], v8, s21 src0_sel:BYTE_0 src1_sel:DWORD
	v_mov_b32_e32 v0, 0x8000
	buffer_store_dword v0, off, s[0:3], s32 offset:128 ; 4-byte Folded Spill
	s_and_saveexec_b64 s[28:29], s[40:41]
	s_cbranch_execz .LBB272_86
; %bb.83:                               ;   in Loop: Header=BB272_9 Depth=1
	v_and_b32_e32 v0, 0x7f, v8
	v_cmp_ne_u32_e32 vcc, s42, v0
	v_mov_b32_e32 v1, 0x7c01
	buffer_store_dword v1, off, s[0:3], s32 offset:128 ; 4-byte Folded Spill
	s_and_saveexec_b64 s[40:41], vcc
	s_cbranch_execz .LBB272_85
; %bb.84:                               ;   in Loop: Header=BB272_9 Depth=1
	v_and_b32_e32 v3, 7, v8
	v_ffbh_u32_e32 v1, v3
	v_min_u32_e32 v6, 32, v1
	v_subrev_u32_e32 v1, 28, v6
	v_lshlrev_b64 v[1:2], v1, v[8:9]
	v_lshrrev_b32_e32 v4, 3, v0
	v_sub_u32_e32 v2, 29, v6
	v_cmp_gt_u32_e32 vcc, 8, v0
	v_cndmask_b32_e32 v0, v4, v2, vcc
	v_mov_b32_e32 v4, 0x2000
	v_lshl_add_u32 v0, v0, 10, v4
	v_lshlrev_b32_e32 v2, 8, v8
	v_and_b32_e32 v1, 7, v1
	v_and_b32_e32 v0, 0xfc00, v0
	v_cndmask_b32_e32 v1, v3, v1, vcc
	v_and_or_b32 v0, v2, s43, v0
	v_lshl_or_b32 v0, v1, 7, v0
	buffer_store_dword v0, off, s[0:3], s32 offset:128 ; 4-byte Folded Spill
.LBB272_85:                             ;   in Loop: Header=BB272_9 Depth=1
	s_or_b64 exec, exec, s[40:41]
.LBB272_86:                             ;   in Loop: Header=BB272_9 Depth=1
	s_or_b64 exec, exec, s[28:29]
.LBB272_87:                             ;   in Loop: Header=BB272_9 Depth=1
	s_or_b64 exec, exec, s[26:27]
	v_lshrrev_b16_e32 v4, 8, v8
	v_mov_b32_e32 v0, 0
	v_cmp_ne_u16_e32 vcc, 0, v4
	buffer_store_dword v0, off, s[0:3], s32 offset:132 ; 4-byte Folded Spill
	v_mov_b32_e32 v0, 0
	buffer_store_dword v0, off, s[0:3], s32 offset:136 ; 4-byte Folded Spill
	s_and_saveexec_b64 s[26:27], vcc
	s_cbranch_execz .LBB272_93
; %bb.88:                               ;   in Loop: Header=BB272_9 Depth=1
	v_cmp_ne_u16_e32 vcc, s21, v4
	v_bfrev_b32_e32 v0, 1
	buffer_store_dword v0, off, s[0:3], s32 offset:136 ; 4-byte Folded Spill
	s_and_saveexec_b64 s[28:29], vcc
	s_cbranch_execz .LBB272_92
; %bb.89:                               ;   in Loop: Header=BB272_9 Depth=1
	v_and_b32_e32 v0, 0x7f, v4
	v_cmp_ne_u32_e32 vcc, s42, v0
	v_mov_b32_e32 v1, 0x7c010000
	buffer_store_dword v1, off, s[0:3], s32 offset:136 ; 4-byte Folded Spill
	s_and_saveexec_b64 s[40:41], vcc
	s_cbranch_execz .LBB272_91
; %bb.90:                               ;   in Loop: Header=BB272_9 Depth=1
	v_and_b32_e32 v2, 7, v4
	v_lshrrev_b32_e32 v3, 3, v0
	v_cmp_gt_u32_e32 vcc, 8, v0
	v_ffbh_u32_e32 v0, v2
	v_min_u32_e32 v6, 32, v0
	v_subrev_u32_e32 v0, 28, v6
	v_lshlrev_b64 v[0:1], v0, v[4:5]
	v_sub_u32_e32 v1, 29, v6
	v_cndmask_b32_e32 v1, v3, v1, vcc
	v_lshlrev_b32_e32 v3, 8, v4
	v_mov_b32_e32 v4, 0x2000
	v_lshl_add_u32 v1, v1, 10, v4
	v_and_b32_e32 v0, 7, v0
	v_and_or_b32 v1, v3, s43, v1
	v_cndmask_b32_e32 v0, v2, v0, vcc
	v_lshlrev_b32_e32 v1, 16, v1
	v_lshl_or_b32 v0, v0, 23, v1
	buffer_store_dword v0, off, s[0:3], s32 offset:136 ; 4-byte Folded Spill
.LBB272_91:                             ;   in Loop: Header=BB272_9 Depth=1
	s_or_b64 exec, exec, s[40:41]
.LBB272_92:                             ;   in Loop: Header=BB272_9 Depth=1
	s_or_b64 exec, exec, s[28:29]
.LBB272_93:                             ;   in Loop: Header=BB272_9 Depth=1
	s_or_b64 exec, exec, s[26:27]
	v_lshrrev_b32_e32 v4, 16, v8
	v_cmp_ne_u16_sdwa s[28:29], v4, v5 src0_sel:BYTE_0 src1_sel:DWORD
	s_and_saveexec_b64 s[26:27], s[28:29]
	s_cbranch_execz .LBB272_99
; %bb.94:                               ;   in Loop: Header=BB272_9 Depth=1
	v_cmp_ne_u16_sdwa s[40:41], v4, s21 src0_sel:BYTE_0 src1_sel:DWORD
	v_mov_b32_e32 v0, 0x8000
	buffer_store_dword v0, off, s[0:3], s32 offset:132 ; 4-byte Folded Spill
	s_and_saveexec_b64 s[28:29], s[40:41]
	s_cbranch_execz .LBB272_98
; %bb.95:                               ;   in Loop: Header=BB272_9 Depth=1
	v_bfe_u32 v0, v8, 16, 7
	v_cmp_ne_u32_e32 vcc, s42, v0
	v_mov_b32_e32 v1, 0x7c01
	buffer_store_dword v1, off, s[0:3], s32 offset:132 ; 4-byte Folded Spill
	s_and_saveexec_b64 s[40:41], vcc
	s_cbranch_execz .LBB272_97
; %bb.96:                               ;   in Loop: Header=BB272_9 Depth=1
	v_and_b32_e32 v2, 7, v4
	v_lshrrev_b32_e32 v3, 3, v0
	v_cmp_gt_u32_e32 vcc, 8, v0
	v_ffbh_u32_e32 v0, v2
	v_min_u32_e32 v6, 32, v0
	v_subrev_u32_e32 v0, 28, v6
	v_lshlrev_b64 v[0:1], v0, v[4:5]
	v_sub_u32_e32 v1, 29, v6
	v_cndmask_b32_e32 v1, v3, v1, vcc
	v_lshlrev_b32_e32 v3, 8, v4
	v_mov_b32_e32 v4, 0x2000
	v_lshl_add_u32 v1, v1, 10, v4
	v_and_b32_e32 v0, 7, v0
	v_and_b32_e32 v1, 0xfc00, v1
	v_cndmask_b32_e32 v0, v2, v0, vcc
	v_and_or_b32 v1, v3, s43, v1
	v_lshl_or_b32 v0, v0, 7, v1
	buffer_store_dword v0, off, s[0:3], s32 offset:132 ; 4-byte Folded Spill
.LBB272_97:                             ;   in Loop: Header=BB272_9 Depth=1
	s_or_b64 exec, exec, s[40:41]
.LBB272_98:                             ;   in Loop: Header=BB272_9 Depth=1
	s_or_b64 exec, exec, s[28:29]
.LBB272_99:                             ;   in Loop: Header=BB272_9 Depth=1
	s_or_b64 exec, exec, s[26:27]
	v_mov_b32_e32 v0, 0
	v_cmp_lt_u32_e32 vcc, s44, v8
	buffer_store_dword v0, off, s[0:3], s32 offset:148 ; 4-byte Folded Spill
	v_mov_b32_e32 v0, 0
	buffer_store_dword v0, off, s[0:3], s32 offset:140 ; 4-byte Folded Spill
	s_and_saveexec_b64 s[26:27], vcc
	s_cbranch_execz .LBB272_105
; %bb.100:                              ;   in Loop: Header=BB272_9 Depth=1
	v_lshrrev_b32_e32 v4, 24, v8
	v_cmp_ne_u32_e32 vcc, s21, v4
	v_bfrev_b32_e32 v0, 1
	buffer_store_dword v0, off, s[0:3], s32 offset:140 ; 4-byte Folded Spill
	s_and_saveexec_b64 s[28:29], vcc
	s_cbranch_execz .LBB272_104
; %bb.101:                              ;   in Loop: Header=BB272_9 Depth=1
	v_and_b32_e32 v0, 0x7f, v4
	v_cmp_ne_u32_e32 vcc, s42, v0
	v_mov_b32_e32 v1, 0x7c010000
	buffer_store_dword v1, off, s[0:3], s32 offset:140 ; 4-byte Folded Spill
	s_and_saveexec_b64 s[40:41], vcc
	s_cbranch_execz .LBB272_103
; %bb.102:                              ;   in Loop: Header=BB272_9 Depth=1
	v_and_b32_e32 v2, 7, v4
	v_lshrrev_b32_e32 v3, 3, v0
	v_cmp_gt_u32_e32 vcc, 8, v0
	v_ffbh_u32_e32 v0, v2
	v_min_u32_e32 v6, 32, v0
	v_subrev_u32_e32 v0, 28, v6
	v_lshlrev_b64 v[0:1], v0, v[4:5]
	v_sub_u32_e32 v1, 29, v6
	v_cndmask_b32_e32 v1, v3, v1, vcc
	v_lshlrev_b32_e32 v3, 8, v4
	v_mov_b32_e32 v4, 0x2000
	v_lshl_add_u32 v1, v1, 10, v4
	v_and_b32_e32 v0, 7, v0
	v_and_or_b32 v1, v3, s43, v1
	v_cndmask_b32_e32 v0, v2, v0, vcc
	v_lshlrev_b32_e32 v1, 16, v1
	v_lshl_or_b32 v0, v0, 23, v1
	buffer_store_dword v0, off, s[0:3], s32 offset:140 ; 4-byte Folded Spill
.LBB272_103:                            ;   in Loop: Header=BB272_9 Depth=1
	s_or_b64 exec, exec, s[40:41]
.LBB272_104:                            ;   in Loop: Header=BB272_9 Depth=1
	s_or_b64 exec, exec, s[28:29]
.LBB272_105:                            ;   in Loop: Header=BB272_9 Depth=1
	s_or_b64 exec, exec, s[26:27]
	flat_load_dword v8, v[24:25] offset:1024
	s_waitcnt vmcnt(0) lgkmcnt(0)
	v_cmp_ne_u16_sdwa s[28:29], v8, v5 src0_sel:BYTE_0 src1_sel:DWORD
	s_and_saveexec_b64 s[26:27], s[28:29]
	s_cbranch_execz .LBB272_111
; %bb.106:                              ;   in Loop: Header=BB272_9 Depth=1
	v_cmp_ne_u16_sdwa s[40:41], v8, s21 src0_sel:BYTE_0 src1_sel:DWORD
	v_mov_b32_e32 v0, 0x8000
	buffer_store_dword v0, off, s[0:3], s32 offset:148 ; 4-byte Folded Spill
	s_and_saveexec_b64 s[28:29], s[40:41]
	s_cbranch_execz .LBB272_110
; %bb.107:                              ;   in Loop: Header=BB272_9 Depth=1
	v_and_b32_e32 v0, 0x7f, v8
	v_cmp_ne_u32_e32 vcc, s42, v0
	v_mov_b32_e32 v1, 0x7c01
	buffer_store_dword v1, off, s[0:3], s32 offset:148 ; 4-byte Folded Spill
	s_and_saveexec_b64 s[40:41], vcc
	s_cbranch_execz .LBB272_109
; %bb.108:                              ;   in Loop: Header=BB272_9 Depth=1
	v_and_b32_e32 v2, 7, v8
	v_lshrrev_b32_e32 v3, 3, v0
	v_cmp_gt_u32_e32 vcc, 8, v0
	v_ffbh_u32_e32 v0, v2
	v_min_u32_e32 v4, 32, v0
	v_subrev_u32_e32 v0, 28, v4
	v_lshlrev_b64 v[0:1], v0, v[8:9]
	v_sub_u32_e32 v1, 29, v4
	v_cndmask_b32_e32 v1, v3, v1, vcc
	v_mov_b32_e32 v4, 0x2000
	v_lshl_add_u32 v1, v1, 10, v4
	v_lshlrev_b32_e32 v3, 8, v8
	v_and_b32_e32 v0, 7, v0
	v_and_b32_e32 v1, 0xfc00, v1
	v_cndmask_b32_e32 v0, v2, v0, vcc
	v_and_or_b32 v1, v3, s43, v1
	v_lshl_or_b32 v0, v0, 7, v1
	buffer_store_dword v0, off, s[0:3], s32 offset:148 ; 4-byte Folded Spill
.LBB272_109:                            ;   in Loop: Header=BB272_9 Depth=1
	s_or_b64 exec, exec, s[40:41]
.LBB272_110:                            ;   in Loop: Header=BB272_9 Depth=1
	s_or_b64 exec, exec, s[28:29]
.LBB272_111:                            ;   in Loop: Header=BB272_9 Depth=1
	s_or_b64 exec, exec, s[26:27]
	v_lshrrev_b16_e32 v4, 8, v8
	v_mov_b32_e32 v0, 0
	v_cmp_ne_u16_e32 vcc, 0, v4
	buffer_store_dword v0, off, s[0:3], s32 offset:152 ; 4-byte Folded Spill
	v_mov_b32_e32 v0, 0
	buffer_store_dword v0, off, s[0:3], s32 offset:156 ; 4-byte Folded Spill
	s_and_saveexec_b64 s[26:27], vcc
	s_cbranch_execz .LBB272_117
; %bb.112:                              ;   in Loop: Header=BB272_9 Depth=1
	v_cmp_ne_u16_e32 vcc, s21, v4
	v_bfrev_b32_e32 v0, 1
	buffer_store_dword v0, off, s[0:3], s32 offset:156 ; 4-byte Folded Spill
	s_and_saveexec_b64 s[28:29], vcc
	s_cbranch_execz .LBB272_116
; %bb.113:                              ;   in Loop: Header=BB272_9 Depth=1
	v_and_b32_e32 v0, 0x7f, v4
	v_cmp_ne_u32_e32 vcc, s42, v0
	v_mov_b32_e32 v1, 0x7c010000
	buffer_store_dword v1, off, s[0:3], s32 offset:156 ; 4-byte Folded Spill
	s_and_saveexec_b64 s[40:41], vcc
	s_cbranch_execz .LBB272_115
; %bb.114:                              ;   in Loop: Header=BB272_9 Depth=1
	v_and_b32_e32 v2, 7, v4
	v_lshrrev_b32_e32 v3, 3, v0
	v_cmp_gt_u32_e32 vcc, 8, v0
	v_ffbh_u32_e32 v0, v2
	v_min_u32_e32 v6, 32, v0
	v_subrev_u32_e32 v0, 28, v6
	v_lshlrev_b64 v[0:1], v0, v[4:5]
	v_sub_u32_e32 v1, 29, v6
	v_cndmask_b32_e32 v1, v3, v1, vcc
	v_lshlrev_b32_e32 v3, 8, v4
	v_mov_b32_e32 v4, 0x2000
	v_lshl_add_u32 v1, v1, 10, v4
	v_and_b32_e32 v0, 7, v0
	v_and_or_b32 v1, v3, s43, v1
	v_cndmask_b32_e32 v0, v2, v0, vcc
	v_lshlrev_b32_e32 v1, 16, v1
	v_lshl_or_b32 v0, v0, 23, v1
	buffer_store_dword v0, off, s[0:3], s32 offset:156 ; 4-byte Folded Spill
.LBB272_115:                            ;   in Loop: Header=BB272_9 Depth=1
	s_or_b64 exec, exec, s[40:41]
.LBB272_116:                            ;   in Loop: Header=BB272_9 Depth=1
	s_or_b64 exec, exec, s[28:29]
.LBB272_117:                            ;   in Loop: Header=BB272_9 Depth=1
	s_or_b64 exec, exec, s[26:27]
	v_lshrrev_b32_e32 v4, 16, v8
	v_cmp_ne_u16_sdwa s[28:29], v4, v5 src0_sel:BYTE_0 src1_sel:DWORD
	s_and_saveexec_b64 s[26:27], s[28:29]
	s_cbranch_execz .LBB272_123
; %bb.118:                              ;   in Loop: Header=BB272_9 Depth=1
	v_cmp_ne_u16_sdwa s[40:41], v4, s21 src0_sel:BYTE_0 src1_sel:DWORD
	v_mov_b32_e32 v0, 0x8000
	buffer_store_dword v0, off, s[0:3], s32 offset:152 ; 4-byte Folded Spill
	s_and_saveexec_b64 s[28:29], s[40:41]
	s_cbranch_execz .LBB272_122
; %bb.119:                              ;   in Loop: Header=BB272_9 Depth=1
	v_bfe_u32 v0, v8, 16, 7
	v_cmp_ne_u32_e32 vcc, s42, v0
	v_mov_b32_e32 v1, 0x7c01
	buffer_store_dword v1, off, s[0:3], s32 offset:152 ; 4-byte Folded Spill
	s_and_saveexec_b64 s[40:41], vcc
	s_cbranch_execz .LBB272_121
; %bb.120:                              ;   in Loop: Header=BB272_9 Depth=1
	v_and_b32_e32 v2, 7, v4
	v_lshrrev_b32_e32 v3, 3, v0
	v_cmp_gt_u32_e32 vcc, 8, v0
	v_ffbh_u32_e32 v0, v2
	v_min_u32_e32 v6, 32, v0
	v_subrev_u32_e32 v0, 28, v6
	v_lshlrev_b64 v[0:1], v0, v[4:5]
	v_sub_u32_e32 v1, 29, v6
	v_cndmask_b32_e32 v1, v3, v1, vcc
	v_lshlrev_b32_e32 v3, 8, v4
	v_mov_b32_e32 v4, 0x2000
	v_lshl_add_u32 v1, v1, 10, v4
	v_and_b32_e32 v0, 7, v0
	v_and_b32_e32 v1, 0xfc00, v1
	v_cndmask_b32_e32 v0, v2, v0, vcc
	v_and_or_b32 v1, v3, s43, v1
	v_lshl_or_b32 v0, v0, 7, v1
	buffer_store_dword v0, off, s[0:3], s32 offset:152 ; 4-byte Folded Spill
.LBB272_121:                            ;   in Loop: Header=BB272_9 Depth=1
	s_or_b64 exec, exec, s[40:41]
.LBB272_122:                            ;   in Loop: Header=BB272_9 Depth=1
	s_or_b64 exec, exec, s[28:29]
.LBB272_123:                            ;   in Loop: Header=BB272_9 Depth=1
	s_or_b64 exec, exec, s[26:27]
	v_mov_b32_e32 v0, 0
	v_cmp_lt_u32_e32 vcc, s44, v8
	buffer_store_dword v0, off, s[0:3], s32 offset:164 ; 4-byte Folded Spill
	v_mov_b32_e32 v0, 0
	buffer_store_dword v0, off, s[0:3], s32 offset:160 ; 4-byte Folded Spill
	s_and_saveexec_b64 s[26:27], vcc
	s_cbranch_execz .LBB272_129
; %bb.124:                              ;   in Loop: Header=BB272_9 Depth=1
	v_lshrrev_b32_e32 v4, 24, v8
	v_cmp_ne_u32_e32 vcc, s21, v4
	v_bfrev_b32_e32 v0, 1
	buffer_store_dword v0, off, s[0:3], s32 offset:160 ; 4-byte Folded Spill
	s_and_saveexec_b64 s[28:29], vcc
	s_cbranch_execz .LBB272_128
; %bb.125:                              ;   in Loop: Header=BB272_9 Depth=1
	v_and_b32_e32 v0, 0x7f, v4
	v_cmp_ne_u32_e32 vcc, s42, v0
	v_mov_b32_e32 v1, 0x7c010000
	buffer_store_dword v1, off, s[0:3], s32 offset:160 ; 4-byte Folded Spill
	s_and_saveexec_b64 s[40:41], vcc
	s_cbranch_execz .LBB272_127
; %bb.126:                              ;   in Loop: Header=BB272_9 Depth=1
	v_and_b32_e32 v2, 7, v4
	v_lshrrev_b32_e32 v3, 3, v0
	v_cmp_gt_u32_e32 vcc, 8, v0
	v_ffbh_u32_e32 v0, v2
	v_min_u32_e32 v6, 32, v0
	v_subrev_u32_e32 v0, 28, v6
	v_lshlrev_b64 v[0:1], v0, v[4:5]
	v_sub_u32_e32 v1, 29, v6
	v_cndmask_b32_e32 v1, v3, v1, vcc
	v_lshlrev_b32_e32 v3, 8, v4
	v_mov_b32_e32 v4, 0x2000
	v_lshl_add_u32 v1, v1, 10, v4
	v_and_b32_e32 v0, 7, v0
	v_and_or_b32 v1, v3, s43, v1
	v_cndmask_b32_e32 v0, v2, v0, vcc
	v_lshlrev_b32_e32 v1, 16, v1
	v_lshl_or_b32 v0, v0, 23, v1
	buffer_store_dword v0, off, s[0:3], s32 offset:160 ; 4-byte Folded Spill
.LBB272_127:                            ;   in Loop: Header=BB272_9 Depth=1
	s_or_b64 exec, exec, s[40:41]
.LBB272_128:                            ;   in Loop: Header=BB272_9 Depth=1
	s_or_b64 exec, exec, s[28:29]
.LBB272_129:                            ;   in Loop: Header=BB272_9 Depth=1
	s_or_b64 exec, exec, s[26:27]
	flat_load_dword v8, v[24:25] offset:1032
	s_waitcnt vmcnt(0) lgkmcnt(0)
	v_cmp_ne_u16_sdwa s[28:29], v8, v5 src0_sel:BYTE_0 src1_sel:DWORD
	s_and_saveexec_b64 s[26:27], s[28:29]
	s_cbranch_execz .LBB272_135
; %bb.130:                              ;   in Loop: Header=BB272_9 Depth=1
	v_cmp_ne_u16_sdwa s[40:41], v8, s21 src0_sel:BYTE_0 src1_sel:DWORD
	v_mov_b32_e32 v0, 0x8000
	buffer_store_dword v0, off, s[0:3], s32 offset:164 ; 4-byte Folded Spill
	s_and_saveexec_b64 s[28:29], s[40:41]
	s_cbranch_execz .LBB272_134
; %bb.131:                              ;   in Loop: Header=BB272_9 Depth=1
	v_and_b32_e32 v0, 0x7f, v8
	v_cmp_ne_u32_e32 vcc, s42, v0
	v_mov_b32_e32 v1, 0x7c01
	buffer_store_dword v1, off, s[0:3], s32 offset:164 ; 4-byte Folded Spill
	s_and_saveexec_b64 s[40:41], vcc
	s_cbranch_execz .LBB272_133
; %bb.132:                              ;   in Loop: Header=BB272_9 Depth=1
	v_and_b32_e32 v2, 7, v8
	v_lshrrev_b32_e32 v3, 3, v0
	v_cmp_gt_u32_e32 vcc, 8, v0
	v_ffbh_u32_e32 v0, v2
	v_min_u32_e32 v4, 32, v0
	v_subrev_u32_e32 v0, 28, v4
	v_lshlrev_b64 v[0:1], v0, v[8:9]
	v_sub_u32_e32 v1, 29, v4
	v_cndmask_b32_e32 v1, v3, v1, vcc
	v_mov_b32_e32 v4, 0x2000
	v_lshl_add_u32 v1, v1, 10, v4
	v_lshlrev_b32_e32 v3, 8, v8
	v_and_b32_e32 v0, 7, v0
	v_and_b32_e32 v1, 0xfc00, v1
	v_cndmask_b32_e32 v0, v2, v0, vcc
	v_and_or_b32 v1, v3, s43, v1
	v_lshl_or_b32 v0, v0, 7, v1
	buffer_store_dword v0, off, s[0:3], s32 offset:164 ; 4-byte Folded Spill
.LBB272_133:                            ;   in Loop: Header=BB272_9 Depth=1
	s_or_b64 exec, exec, s[40:41]
.LBB272_134:                            ;   in Loop: Header=BB272_9 Depth=1
	s_or_b64 exec, exec, s[28:29]
.LBB272_135:                            ;   in Loop: Header=BB272_9 Depth=1
	s_or_b64 exec, exec, s[26:27]
	v_lshrrev_b16_e32 v4, 8, v8
	v_mov_b32_e32 v0, 0
	v_cmp_ne_u16_e32 vcc, 0, v4
	buffer_store_dword v0, off, s[0:3], s32 offset:168 ; 4-byte Folded Spill
	v_mov_b32_e32 v0, 0
	buffer_store_dword v0, off, s[0:3], s32 offset:172 ; 4-byte Folded Spill
	s_and_saveexec_b64 s[26:27], vcc
	s_cbranch_execz .LBB272_141
; %bb.136:                              ;   in Loop: Header=BB272_9 Depth=1
	v_cmp_ne_u16_e32 vcc, s21, v4
	v_bfrev_b32_e32 v0, 1
	buffer_store_dword v0, off, s[0:3], s32 offset:172 ; 4-byte Folded Spill
	s_and_saveexec_b64 s[28:29], vcc
	s_cbranch_execz .LBB272_140
; %bb.137:                              ;   in Loop: Header=BB272_9 Depth=1
	v_and_b32_e32 v0, 0x7f, v4
	v_cmp_ne_u32_e32 vcc, s42, v0
	v_mov_b32_e32 v1, 0x7c010000
	buffer_store_dword v1, off, s[0:3], s32 offset:172 ; 4-byte Folded Spill
	s_and_saveexec_b64 s[40:41], vcc
	s_cbranch_execz .LBB272_139
; %bb.138:                              ;   in Loop: Header=BB272_9 Depth=1
	v_and_b32_e32 v2, 7, v4
	v_lshrrev_b32_e32 v3, 3, v0
	v_cmp_gt_u32_e32 vcc, 8, v0
	v_ffbh_u32_e32 v0, v2
	v_min_u32_e32 v6, 32, v0
	v_subrev_u32_e32 v0, 28, v6
	v_lshlrev_b64 v[0:1], v0, v[4:5]
	v_sub_u32_e32 v1, 29, v6
	v_cndmask_b32_e32 v1, v3, v1, vcc
	v_lshlrev_b32_e32 v3, 8, v4
	v_mov_b32_e32 v4, 0x2000
	v_lshl_add_u32 v1, v1, 10, v4
	v_and_b32_e32 v0, 7, v0
	v_and_or_b32 v1, v3, s43, v1
	v_cndmask_b32_e32 v0, v2, v0, vcc
	v_lshlrev_b32_e32 v1, 16, v1
	v_lshl_or_b32 v0, v0, 23, v1
	buffer_store_dword v0, off, s[0:3], s32 offset:172 ; 4-byte Folded Spill
.LBB272_139:                            ;   in Loop: Header=BB272_9 Depth=1
	s_or_b64 exec, exec, s[40:41]
.LBB272_140:                            ;   in Loop: Header=BB272_9 Depth=1
	s_or_b64 exec, exec, s[28:29]
.LBB272_141:                            ;   in Loop: Header=BB272_9 Depth=1
	s_or_b64 exec, exec, s[26:27]
	v_lshrrev_b32_e32 v4, 16, v8
	v_cmp_ne_u16_sdwa s[28:29], v4, v5 src0_sel:BYTE_0 src1_sel:DWORD
	s_and_saveexec_b64 s[26:27], s[28:29]
	s_cbranch_execz .LBB272_147
; %bb.142:                              ;   in Loop: Header=BB272_9 Depth=1
	v_cmp_ne_u16_sdwa s[40:41], v4, s21 src0_sel:BYTE_0 src1_sel:DWORD
	v_mov_b32_e32 v0, 0x8000
	buffer_store_dword v0, off, s[0:3], s32 offset:168 ; 4-byte Folded Spill
	s_and_saveexec_b64 s[28:29], s[40:41]
	s_cbranch_execz .LBB272_146
; %bb.143:                              ;   in Loop: Header=BB272_9 Depth=1
	v_bfe_u32 v0, v8, 16, 7
	v_cmp_ne_u32_e32 vcc, s42, v0
	v_mov_b32_e32 v1, 0x7c01
	buffer_store_dword v1, off, s[0:3], s32 offset:168 ; 4-byte Folded Spill
	s_and_saveexec_b64 s[40:41], vcc
	s_cbranch_execz .LBB272_145
; %bb.144:                              ;   in Loop: Header=BB272_9 Depth=1
	v_and_b32_e32 v2, 7, v4
	v_lshrrev_b32_e32 v3, 3, v0
	v_cmp_gt_u32_e32 vcc, 8, v0
	v_ffbh_u32_e32 v0, v2
	v_min_u32_e32 v6, 32, v0
	v_subrev_u32_e32 v0, 28, v6
	v_lshlrev_b64 v[0:1], v0, v[4:5]
	v_sub_u32_e32 v1, 29, v6
	v_cndmask_b32_e32 v1, v3, v1, vcc
	v_lshlrev_b32_e32 v3, 8, v4
	v_mov_b32_e32 v4, 0x2000
	v_lshl_add_u32 v1, v1, 10, v4
	v_and_b32_e32 v0, 7, v0
	v_and_b32_e32 v1, 0xfc00, v1
	v_cndmask_b32_e32 v0, v2, v0, vcc
	v_and_or_b32 v1, v3, s43, v1
	v_lshl_or_b32 v0, v0, 7, v1
	buffer_store_dword v0, off, s[0:3], s32 offset:168 ; 4-byte Folded Spill
.LBB272_145:                            ;   in Loop: Header=BB272_9 Depth=1
	s_or_b64 exec, exec, s[40:41]
.LBB272_146:                            ;   in Loop: Header=BB272_9 Depth=1
	s_or_b64 exec, exec, s[28:29]
.LBB272_147:                            ;   in Loop: Header=BB272_9 Depth=1
	s_or_b64 exec, exec, s[26:27]
	v_mov_b32_e32 v0, 0
	v_cmp_lt_u32_e32 vcc, s44, v8
	buffer_store_dword v0, off, s[0:3], s32 offset:180 ; 4-byte Folded Spill
	v_mov_b32_e32 v0, 0
	buffer_store_dword v0, off, s[0:3], s32 offset:176 ; 4-byte Folded Spill
	s_and_saveexec_b64 s[26:27], vcc
	s_cbranch_execz .LBB272_153
; %bb.148:                              ;   in Loop: Header=BB272_9 Depth=1
	v_lshrrev_b32_e32 v4, 24, v8
	v_cmp_ne_u32_e32 vcc, s21, v4
	v_bfrev_b32_e32 v0, 1
	buffer_store_dword v0, off, s[0:3], s32 offset:176 ; 4-byte Folded Spill
	s_and_saveexec_b64 s[28:29], vcc
	s_cbranch_execz .LBB272_152
; %bb.149:                              ;   in Loop: Header=BB272_9 Depth=1
	v_and_b32_e32 v0, 0x7f, v4
	v_cmp_ne_u32_e32 vcc, s42, v0
	v_mov_b32_e32 v1, 0x7c010000
	buffer_store_dword v1, off, s[0:3], s32 offset:176 ; 4-byte Folded Spill
	s_and_saveexec_b64 s[40:41], vcc
	s_cbranch_execz .LBB272_151
; %bb.150:                              ;   in Loop: Header=BB272_9 Depth=1
	v_and_b32_e32 v2, 7, v4
	v_lshrrev_b32_e32 v3, 3, v0
	v_cmp_gt_u32_e32 vcc, 8, v0
	v_ffbh_u32_e32 v0, v2
	v_min_u32_e32 v6, 32, v0
	v_subrev_u32_e32 v0, 28, v6
	v_lshlrev_b64 v[0:1], v0, v[4:5]
	v_sub_u32_e32 v1, 29, v6
	v_cndmask_b32_e32 v1, v3, v1, vcc
	v_lshlrev_b32_e32 v3, 8, v4
	v_mov_b32_e32 v4, 0x2000
	v_lshl_add_u32 v1, v1, 10, v4
	v_and_b32_e32 v0, 7, v0
	v_and_or_b32 v1, v3, s43, v1
	v_cndmask_b32_e32 v0, v2, v0, vcc
	v_lshlrev_b32_e32 v1, 16, v1
	v_lshl_or_b32 v0, v0, 23, v1
	buffer_store_dword v0, off, s[0:3], s32 offset:176 ; 4-byte Folded Spill
.LBB272_151:                            ;   in Loop: Header=BB272_9 Depth=1
	s_or_b64 exec, exec, s[40:41]
.LBB272_152:                            ;   in Loop: Header=BB272_9 Depth=1
	s_or_b64 exec, exec, s[28:29]
.LBB272_153:                            ;   in Loop: Header=BB272_9 Depth=1
	s_or_b64 exec, exec, s[26:27]
	flat_load_dword v8, v[24:25] offset:1536
	s_waitcnt vmcnt(0) lgkmcnt(0)
	v_cmp_ne_u16_sdwa s[28:29], v8, v5 src0_sel:BYTE_0 src1_sel:DWORD
	s_and_saveexec_b64 s[26:27], s[28:29]
	s_cbranch_execz .LBB272_159
; %bb.154:                              ;   in Loop: Header=BB272_9 Depth=1
	v_cmp_ne_u16_sdwa s[40:41], v8, s21 src0_sel:BYTE_0 src1_sel:DWORD
	v_mov_b32_e32 v0, 0x8000
	buffer_store_dword v0, off, s[0:3], s32 offset:180 ; 4-byte Folded Spill
	s_and_saveexec_b64 s[28:29], s[40:41]
	s_cbranch_execz .LBB272_158
; %bb.155:                              ;   in Loop: Header=BB272_9 Depth=1
	v_and_b32_e32 v0, 0x7f, v8
	v_cmp_ne_u32_e32 vcc, s42, v0
	v_mov_b32_e32 v1, 0x7c01
	buffer_store_dword v1, off, s[0:3], s32 offset:180 ; 4-byte Folded Spill
	s_and_saveexec_b64 s[40:41], vcc
	s_cbranch_execz .LBB272_157
; %bb.156:                              ;   in Loop: Header=BB272_9 Depth=1
	v_and_b32_e32 v2, 7, v8
	v_lshrrev_b32_e32 v3, 3, v0
	v_cmp_gt_u32_e32 vcc, 8, v0
	v_ffbh_u32_e32 v0, v2
	v_min_u32_e32 v4, 32, v0
	v_subrev_u32_e32 v0, 28, v4
	v_lshlrev_b64 v[0:1], v0, v[8:9]
	v_sub_u32_e32 v1, 29, v4
	v_cndmask_b32_e32 v1, v3, v1, vcc
	v_mov_b32_e32 v4, 0x2000
	v_lshl_add_u32 v1, v1, 10, v4
	v_lshlrev_b32_e32 v3, 8, v8
	v_and_b32_e32 v0, 7, v0
	v_and_b32_e32 v1, 0xfc00, v1
	v_cndmask_b32_e32 v0, v2, v0, vcc
	v_and_or_b32 v1, v3, s43, v1
	v_lshl_or_b32 v0, v0, 7, v1
	buffer_store_dword v0, off, s[0:3], s32 offset:180 ; 4-byte Folded Spill
.LBB272_157:                            ;   in Loop: Header=BB272_9 Depth=1
	s_or_b64 exec, exec, s[40:41]
.LBB272_158:                            ;   in Loop: Header=BB272_9 Depth=1
	s_or_b64 exec, exec, s[28:29]
.LBB272_159:                            ;   in Loop: Header=BB272_9 Depth=1
	s_or_b64 exec, exec, s[26:27]
	v_lshrrev_b16_e32 v4, 8, v8
	v_mov_b32_e32 v0, 0
	v_cmp_ne_u16_e32 vcc, 0, v4
	buffer_store_dword v0, off, s[0:3], s32 offset:184 ; 4-byte Folded Spill
	v_mov_b32_e32 v0, 0
	buffer_store_dword v0, off, s[0:3], s32 offset:188 ; 4-byte Folded Spill
	s_and_saveexec_b64 s[26:27], vcc
	s_cbranch_execz .LBB272_165
; %bb.160:                              ;   in Loop: Header=BB272_9 Depth=1
	v_cmp_ne_u16_e32 vcc, s21, v4
	v_bfrev_b32_e32 v0, 1
	buffer_store_dword v0, off, s[0:3], s32 offset:188 ; 4-byte Folded Spill
	s_and_saveexec_b64 s[28:29], vcc
	s_cbranch_execz .LBB272_164
; %bb.161:                              ;   in Loop: Header=BB272_9 Depth=1
	v_and_b32_e32 v0, 0x7f, v4
	v_cmp_ne_u32_e32 vcc, s42, v0
	v_mov_b32_e32 v1, 0x7c010000
	buffer_store_dword v1, off, s[0:3], s32 offset:188 ; 4-byte Folded Spill
	s_and_saveexec_b64 s[40:41], vcc
	s_cbranch_execz .LBB272_163
; %bb.162:                              ;   in Loop: Header=BB272_9 Depth=1
	v_and_b32_e32 v2, 7, v4
	v_lshrrev_b32_e32 v3, 3, v0
	v_cmp_gt_u32_e32 vcc, 8, v0
	v_ffbh_u32_e32 v0, v2
	v_min_u32_e32 v6, 32, v0
	v_subrev_u32_e32 v0, 28, v6
	v_lshlrev_b64 v[0:1], v0, v[4:5]
	v_sub_u32_e32 v1, 29, v6
	v_cndmask_b32_e32 v1, v3, v1, vcc
	v_lshlrev_b32_e32 v3, 8, v4
	v_mov_b32_e32 v4, 0x2000
	v_lshl_add_u32 v1, v1, 10, v4
	v_and_b32_e32 v0, 7, v0
	v_and_or_b32 v1, v3, s43, v1
	v_cndmask_b32_e32 v0, v2, v0, vcc
	v_lshlrev_b32_e32 v1, 16, v1
	v_lshl_or_b32 v0, v0, 23, v1
	buffer_store_dword v0, off, s[0:3], s32 offset:188 ; 4-byte Folded Spill
.LBB272_163:                            ;   in Loop: Header=BB272_9 Depth=1
	s_or_b64 exec, exec, s[40:41]
.LBB272_164:                            ;   in Loop: Header=BB272_9 Depth=1
	s_or_b64 exec, exec, s[28:29]
.LBB272_165:                            ;   in Loop: Header=BB272_9 Depth=1
	s_or_b64 exec, exec, s[26:27]
	v_lshrrev_b32_e32 v4, 16, v8
	v_cmp_ne_u16_sdwa s[28:29], v4, v5 src0_sel:BYTE_0 src1_sel:DWORD
	s_and_saveexec_b64 s[26:27], s[28:29]
	s_cbranch_execz .LBB272_171
; %bb.166:                              ;   in Loop: Header=BB272_9 Depth=1
	v_cmp_ne_u16_sdwa s[40:41], v4, s21 src0_sel:BYTE_0 src1_sel:DWORD
	v_mov_b32_e32 v0, 0x8000
	buffer_store_dword v0, off, s[0:3], s32 offset:184 ; 4-byte Folded Spill
	s_and_saveexec_b64 s[28:29], s[40:41]
	s_cbranch_execz .LBB272_170
; %bb.167:                              ;   in Loop: Header=BB272_9 Depth=1
	v_bfe_u32 v0, v8, 16, 7
	v_cmp_ne_u32_e32 vcc, s42, v0
	v_mov_b32_e32 v1, 0x7c01
	buffer_store_dword v1, off, s[0:3], s32 offset:184 ; 4-byte Folded Spill
	s_and_saveexec_b64 s[40:41], vcc
	s_cbranch_execz .LBB272_169
; %bb.168:                              ;   in Loop: Header=BB272_9 Depth=1
	v_and_b32_e32 v2, 7, v4
	v_lshrrev_b32_e32 v3, 3, v0
	v_cmp_gt_u32_e32 vcc, 8, v0
	v_ffbh_u32_e32 v0, v2
	v_min_u32_e32 v6, 32, v0
	v_subrev_u32_e32 v0, 28, v6
	v_lshlrev_b64 v[0:1], v0, v[4:5]
	v_sub_u32_e32 v1, 29, v6
	v_cndmask_b32_e32 v1, v3, v1, vcc
	v_lshlrev_b32_e32 v3, 8, v4
	v_mov_b32_e32 v4, 0x2000
	v_lshl_add_u32 v1, v1, 10, v4
	v_and_b32_e32 v0, 7, v0
	v_and_b32_e32 v1, 0xfc00, v1
	v_cndmask_b32_e32 v0, v2, v0, vcc
	v_and_or_b32 v1, v3, s43, v1
	v_lshl_or_b32 v0, v0, 7, v1
	buffer_store_dword v0, off, s[0:3], s32 offset:184 ; 4-byte Folded Spill
.LBB272_169:                            ;   in Loop: Header=BB272_9 Depth=1
	s_or_b64 exec, exec, s[40:41]
.LBB272_170:                            ;   in Loop: Header=BB272_9 Depth=1
	s_or_b64 exec, exec, s[28:29]
.LBB272_171:                            ;   in Loop: Header=BB272_9 Depth=1
	s_or_b64 exec, exec, s[26:27]
	v_mov_b32_e32 v0, 0
	v_cmp_lt_u32_e32 vcc, s44, v8
	buffer_store_dword v0, off, s[0:3], s32 offset:196 ; 4-byte Folded Spill
	v_mov_b32_e32 v0, 0
	buffer_store_dword v0, off, s[0:3], s32 offset:192 ; 4-byte Folded Spill
	s_and_saveexec_b64 s[26:27], vcc
	s_cbranch_execz .LBB272_177
; %bb.172:                              ;   in Loop: Header=BB272_9 Depth=1
	v_lshrrev_b32_e32 v4, 24, v8
	v_cmp_ne_u32_e32 vcc, s21, v4
	v_bfrev_b32_e32 v0, 1
	buffer_store_dword v0, off, s[0:3], s32 offset:192 ; 4-byte Folded Spill
	s_and_saveexec_b64 s[28:29], vcc
	s_cbranch_execz .LBB272_176
; %bb.173:                              ;   in Loop: Header=BB272_9 Depth=1
	v_and_b32_e32 v0, 0x7f, v4
	v_cmp_ne_u32_e32 vcc, s42, v0
	v_mov_b32_e32 v1, 0x7c010000
	buffer_store_dword v1, off, s[0:3], s32 offset:192 ; 4-byte Folded Spill
	s_and_saveexec_b64 s[40:41], vcc
	s_cbranch_execz .LBB272_175
; %bb.174:                              ;   in Loop: Header=BB272_9 Depth=1
	v_and_b32_e32 v2, 7, v4
	v_lshrrev_b32_e32 v3, 3, v0
	v_cmp_gt_u32_e32 vcc, 8, v0
	v_ffbh_u32_e32 v0, v2
	v_min_u32_e32 v6, 32, v0
	v_subrev_u32_e32 v0, 28, v6
	v_lshlrev_b64 v[0:1], v0, v[4:5]
	v_sub_u32_e32 v1, 29, v6
	v_cndmask_b32_e32 v1, v3, v1, vcc
	v_lshlrev_b32_e32 v3, 8, v4
	v_mov_b32_e32 v4, 0x2000
	v_lshl_add_u32 v1, v1, 10, v4
	v_and_b32_e32 v0, 7, v0
	v_and_or_b32 v1, v3, s43, v1
	v_cndmask_b32_e32 v0, v2, v0, vcc
	v_lshlrev_b32_e32 v1, 16, v1
	v_lshl_or_b32 v0, v0, 23, v1
	buffer_store_dword v0, off, s[0:3], s32 offset:192 ; 4-byte Folded Spill
.LBB272_175:                            ;   in Loop: Header=BB272_9 Depth=1
	s_or_b64 exec, exec, s[40:41]
.LBB272_176:                            ;   in Loop: Header=BB272_9 Depth=1
	s_or_b64 exec, exec, s[28:29]
.LBB272_177:                            ;   in Loop: Header=BB272_9 Depth=1
	s_or_b64 exec, exec, s[26:27]
	flat_load_dword v8, v[24:25] offset:1544
	s_waitcnt vmcnt(0) lgkmcnt(0)
	v_cmp_ne_u16_sdwa s[28:29], v8, v5 src0_sel:BYTE_0 src1_sel:DWORD
	s_and_saveexec_b64 s[26:27], s[28:29]
	s_cbranch_execz .LBB272_183
; %bb.178:                              ;   in Loop: Header=BB272_9 Depth=1
	v_cmp_ne_u16_sdwa s[40:41], v8, s21 src0_sel:BYTE_0 src1_sel:DWORD
	v_mov_b32_e32 v0, 0x8000
	buffer_store_dword v0, off, s[0:3], s32 offset:196 ; 4-byte Folded Spill
	s_and_saveexec_b64 s[28:29], s[40:41]
	s_cbranch_execz .LBB272_182
; %bb.179:                              ;   in Loop: Header=BB272_9 Depth=1
	v_and_b32_e32 v0, 0x7f, v8
	v_cmp_ne_u32_e32 vcc, s42, v0
	v_mov_b32_e32 v1, 0x7c01
	buffer_store_dword v1, off, s[0:3], s32 offset:196 ; 4-byte Folded Spill
	s_and_saveexec_b64 s[40:41], vcc
	s_cbranch_execz .LBB272_181
; %bb.180:                              ;   in Loop: Header=BB272_9 Depth=1
	v_and_b32_e32 v2, 7, v8
	v_lshrrev_b32_e32 v3, 3, v0
	v_cmp_gt_u32_e32 vcc, 8, v0
	v_ffbh_u32_e32 v0, v2
	v_min_u32_e32 v4, 32, v0
	v_subrev_u32_e32 v0, 28, v4
	v_lshlrev_b64 v[0:1], v0, v[8:9]
	v_sub_u32_e32 v1, 29, v4
	v_cndmask_b32_e32 v1, v3, v1, vcc
	v_mov_b32_e32 v4, 0x2000
	v_lshl_add_u32 v1, v1, 10, v4
	v_lshlrev_b32_e32 v3, 8, v8
	v_and_b32_e32 v0, 7, v0
	v_and_b32_e32 v1, 0xfc00, v1
	v_cndmask_b32_e32 v0, v2, v0, vcc
	v_and_or_b32 v1, v3, s43, v1
	v_lshl_or_b32 v0, v0, 7, v1
	buffer_store_dword v0, off, s[0:3], s32 offset:196 ; 4-byte Folded Spill
.LBB272_181:                            ;   in Loop: Header=BB272_9 Depth=1
	s_or_b64 exec, exec, s[40:41]
.LBB272_182:                            ;   in Loop: Header=BB272_9 Depth=1
	s_or_b64 exec, exec, s[28:29]
.LBB272_183:                            ;   in Loop: Header=BB272_9 Depth=1
	s_or_b64 exec, exec, s[26:27]
	v_lshrrev_b16_e32 v4, 8, v8
	v_mov_b32_e32 v0, 0
	v_cmp_ne_u16_e32 vcc, 0, v4
	buffer_store_dword v0, off, s[0:3], s32 offset:200 ; 4-byte Folded Spill
	v_mov_b32_e32 v0, 0
	buffer_store_dword v0, off, s[0:3], s32 offset:204 ; 4-byte Folded Spill
	s_and_saveexec_b64 s[26:27], vcc
	s_cbranch_execz .LBB272_189
; %bb.184:                              ;   in Loop: Header=BB272_9 Depth=1
	v_cmp_ne_u16_e32 vcc, s21, v4
	v_bfrev_b32_e32 v0, 1
	buffer_store_dword v0, off, s[0:3], s32 offset:204 ; 4-byte Folded Spill
	s_and_saveexec_b64 s[28:29], vcc
	s_cbranch_execz .LBB272_188
; %bb.185:                              ;   in Loop: Header=BB272_9 Depth=1
	v_and_b32_e32 v0, 0x7f, v4
	v_cmp_ne_u32_e32 vcc, s42, v0
	v_mov_b32_e32 v1, 0x7c010000
	buffer_store_dword v1, off, s[0:3], s32 offset:204 ; 4-byte Folded Spill
	s_and_saveexec_b64 s[40:41], vcc
	s_cbranch_execz .LBB272_187
; %bb.186:                              ;   in Loop: Header=BB272_9 Depth=1
	v_and_b32_e32 v2, 7, v4
	v_lshrrev_b32_e32 v3, 3, v0
	v_cmp_gt_u32_e32 vcc, 8, v0
	v_ffbh_u32_e32 v0, v2
	v_min_u32_e32 v6, 32, v0
	v_subrev_u32_e32 v0, 28, v6
	v_lshlrev_b64 v[0:1], v0, v[4:5]
	v_sub_u32_e32 v1, 29, v6
	v_cndmask_b32_e32 v1, v3, v1, vcc
	v_lshlrev_b32_e32 v3, 8, v4
	v_mov_b32_e32 v4, 0x2000
	v_lshl_add_u32 v1, v1, 10, v4
	v_and_b32_e32 v0, 7, v0
	v_and_or_b32 v1, v3, s43, v1
	v_cndmask_b32_e32 v0, v2, v0, vcc
	v_lshlrev_b32_e32 v1, 16, v1
	v_lshl_or_b32 v0, v0, 23, v1
	buffer_store_dword v0, off, s[0:3], s32 offset:204 ; 4-byte Folded Spill
.LBB272_187:                            ;   in Loop: Header=BB272_9 Depth=1
	s_or_b64 exec, exec, s[40:41]
.LBB272_188:                            ;   in Loop: Header=BB272_9 Depth=1
	s_or_b64 exec, exec, s[28:29]
.LBB272_189:                            ;   in Loop: Header=BB272_9 Depth=1
	s_or_b64 exec, exec, s[26:27]
	v_lshrrev_b32_e32 v4, 16, v8
	v_cmp_ne_u16_sdwa s[28:29], v4, v5 src0_sel:BYTE_0 src1_sel:DWORD
	s_and_saveexec_b64 s[26:27], s[28:29]
	s_cbranch_execz .LBB272_195
; %bb.190:                              ;   in Loop: Header=BB272_9 Depth=1
	v_cmp_ne_u16_sdwa s[40:41], v4, s21 src0_sel:BYTE_0 src1_sel:DWORD
	v_mov_b32_e32 v0, 0x8000
	buffer_store_dword v0, off, s[0:3], s32 offset:200 ; 4-byte Folded Spill
	s_and_saveexec_b64 s[28:29], s[40:41]
	s_cbranch_execz .LBB272_194
; %bb.191:                              ;   in Loop: Header=BB272_9 Depth=1
	v_bfe_u32 v0, v8, 16, 7
	v_cmp_ne_u32_e32 vcc, s42, v0
	v_mov_b32_e32 v1, 0x7c01
	buffer_store_dword v1, off, s[0:3], s32 offset:200 ; 4-byte Folded Spill
	s_and_saveexec_b64 s[40:41], vcc
	s_cbranch_execz .LBB272_193
; %bb.192:                              ;   in Loop: Header=BB272_9 Depth=1
	v_and_b32_e32 v2, 7, v4
	v_lshrrev_b32_e32 v3, 3, v0
	v_cmp_gt_u32_e32 vcc, 8, v0
	v_ffbh_u32_e32 v0, v2
	v_min_u32_e32 v6, 32, v0
	v_subrev_u32_e32 v0, 28, v6
	v_lshlrev_b64 v[0:1], v0, v[4:5]
	v_sub_u32_e32 v1, 29, v6
	v_cndmask_b32_e32 v1, v3, v1, vcc
	v_lshlrev_b32_e32 v3, 8, v4
	v_mov_b32_e32 v4, 0x2000
	v_lshl_add_u32 v1, v1, 10, v4
	v_and_b32_e32 v0, 7, v0
	v_and_b32_e32 v1, 0xfc00, v1
	v_cndmask_b32_e32 v0, v2, v0, vcc
	v_and_or_b32 v1, v3, s43, v1
	v_lshl_or_b32 v0, v0, 7, v1
	buffer_store_dword v0, off, s[0:3], s32 offset:200 ; 4-byte Folded Spill
.LBB272_193:                            ;   in Loop: Header=BB272_9 Depth=1
	s_or_b64 exec, exec, s[40:41]
.LBB272_194:                            ;   in Loop: Header=BB272_9 Depth=1
	s_or_b64 exec, exec, s[28:29]
.LBB272_195:                            ;   in Loop: Header=BB272_9 Depth=1
	s_or_b64 exec, exec, s[26:27]
	v_mov_b32_e32 v0, 0
	v_cmp_lt_u32_e32 vcc, s44, v8
	buffer_store_dword v0, off, s[0:3], s32 offset:212 ; 4-byte Folded Spill
	v_mov_b32_e32 v0, 0
	buffer_store_dword v0, off, s[0:3], s32 offset:208 ; 4-byte Folded Spill
	s_and_saveexec_b64 s[26:27], vcc
	s_cbranch_execz .LBB272_201
; %bb.196:                              ;   in Loop: Header=BB272_9 Depth=1
	v_lshrrev_b32_e32 v4, 24, v8
	v_cmp_ne_u32_e32 vcc, s21, v4
	v_bfrev_b32_e32 v0, 1
	buffer_store_dword v0, off, s[0:3], s32 offset:208 ; 4-byte Folded Spill
	s_and_saveexec_b64 s[28:29], vcc
	s_cbranch_execz .LBB272_200
; %bb.197:                              ;   in Loop: Header=BB272_9 Depth=1
	v_and_b32_e32 v0, 0x7f, v4
	v_cmp_ne_u32_e32 vcc, s42, v0
	v_mov_b32_e32 v1, 0x7c010000
	buffer_store_dword v1, off, s[0:3], s32 offset:208 ; 4-byte Folded Spill
	s_and_saveexec_b64 s[40:41], vcc
	s_cbranch_execz .LBB272_199
; %bb.198:                              ;   in Loop: Header=BB272_9 Depth=1
	v_and_b32_e32 v2, 7, v4
	v_lshrrev_b32_e32 v3, 3, v0
	v_cmp_gt_u32_e32 vcc, 8, v0
	v_ffbh_u32_e32 v0, v2
	v_min_u32_e32 v6, 32, v0
	v_subrev_u32_e32 v0, 28, v6
	v_lshlrev_b64 v[0:1], v0, v[4:5]
	v_sub_u32_e32 v1, 29, v6
	v_cndmask_b32_e32 v1, v3, v1, vcc
	v_lshlrev_b32_e32 v3, 8, v4
	v_mov_b32_e32 v4, 0x2000
	v_lshl_add_u32 v1, v1, 10, v4
	v_and_b32_e32 v0, 7, v0
	v_and_or_b32 v1, v3, s43, v1
	v_cndmask_b32_e32 v0, v2, v0, vcc
	v_lshlrev_b32_e32 v1, 16, v1
	v_lshl_or_b32 v0, v0, 23, v1
	buffer_store_dword v0, off, s[0:3], s32 offset:208 ; 4-byte Folded Spill
.LBB272_199:                            ;   in Loop: Header=BB272_9 Depth=1
	s_or_b64 exec, exec, s[40:41]
.LBB272_200:                            ;   in Loop: Header=BB272_9 Depth=1
	s_or_b64 exec, exec, s[28:29]
.LBB272_201:                            ;   in Loop: Header=BB272_9 Depth=1
	s_or_b64 exec, exec, s[26:27]
	flat_load_dword v8, v[24:25] offset:2048
	s_waitcnt vmcnt(0) lgkmcnt(0)
	v_cmp_ne_u16_sdwa s[28:29], v8, v5 src0_sel:BYTE_0 src1_sel:DWORD
	s_and_saveexec_b64 s[26:27], s[28:29]
	s_cbranch_execz .LBB272_207
; %bb.202:                              ;   in Loop: Header=BB272_9 Depth=1
	v_cmp_ne_u16_sdwa s[40:41], v8, s21 src0_sel:BYTE_0 src1_sel:DWORD
	v_mov_b32_e32 v0, 0x8000
	buffer_store_dword v0, off, s[0:3], s32 offset:212 ; 4-byte Folded Spill
	s_and_saveexec_b64 s[28:29], s[40:41]
	s_cbranch_execz .LBB272_206
; %bb.203:                              ;   in Loop: Header=BB272_9 Depth=1
	v_and_b32_e32 v0, 0x7f, v8
	v_cmp_ne_u32_e32 vcc, s42, v0
	v_mov_b32_e32 v1, 0x7c01
	buffer_store_dword v1, off, s[0:3], s32 offset:212 ; 4-byte Folded Spill
	s_and_saveexec_b64 s[40:41], vcc
	s_cbranch_execz .LBB272_205
; %bb.204:                              ;   in Loop: Header=BB272_9 Depth=1
	v_and_b32_e32 v2, 7, v8
	v_lshrrev_b32_e32 v3, 3, v0
	v_cmp_gt_u32_e32 vcc, 8, v0
	v_ffbh_u32_e32 v0, v2
	v_min_u32_e32 v4, 32, v0
	v_subrev_u32_e32 v0, 28, v4
	v_lshlrev_b64 v[0:1], v0, v[8:9]
	v_sub_u32_e32 v1, 29, v4
	v_cndmask_b32_e32 v1, v3, v1, vcc
	v_mov_b32_e32 v4, 0x2000
	v_lshl_add_u32 v1, v1, 10, v4
	v_lshlrev_b32_e32 v3, 8, v8
	v_and_b32_e32 v0, 7, v0
	v_and_b32_e32 v1, 0xfc00, v1
	v_cndmask_b32_e32 v0, v2, v0, vcc
	v_and_or_b32 v1, v3, s43, v1
	v_lshl_or_b32 v0, v0, 7, v1
	buffer_store_dword v0, off, s[0:3], s32 offset:212 ; 4-byte Folded Spill
.LBB272_205:                            ;   in Loop: Header=BB272_9 Depth=1
	s_or_b64 exec, exec, s[40:41]
.LBB272_206:                            ;   in Loop: Header=BB272_9 Depth=1
	s_or_b64 exec, exec, s[28:29]
.LBB272_207:                            ;   in Loop: Header=BB272_9 Depth=1
	s_or_b64 exec, exec, s[26:27]
	v_lshrrev_b16_e32 v4, 8, v8
	v_mov_b32_e32 v0, 0
	v_cmp_ne_u16_e32 vcc, 0, v4
	buffer_store_dword v0, off, s[0:3], s32 offset:216 ; 4-byte Folded Spill
	v_mov_b32_e32 v0, 0
	buffer_store_dword v0, off, s[0:3], s32 offset:220 ; 4-byte Folded Spill
	s_and_saveexec_b64 s[26:27], vcc
	s_cbranch_execz .LBB272_213
; %bb.208:                              ;   in Loop: Header=BB272_9 Depth=1
	v_cmp_ne_u16_e32 vcc, s21, v4
	v_bfrev_b32_e32 v0, 1
	buffer_store_dword v0, off, s[0:3], s32 offset:220 ; 4-byte Folded Spill
	s_and_saveexec_b64 s[28:29], vcc
	s_cbranch_execz .LBB272_212
; %bb.209:                              ;   in Loop: Header=BB272_9 Depth=1
	v_and_b32_e32 v0, 0x7f, v4
	v_cmp_ne_u32_e32 vcc, s42, v0
	v_mov_b32_e32 v1, 0x7c010000
	buffer_store_dword v1, off, s[0:3], s32 offset:220 ; 4-byte Folded Spill
	s_and_saveexec_b64 s[40:41], vcc
	s_cbranch_execz .LBB272_211
; %bb.210:                              ;   in Loop: Header=BB272_9 Depth=1
	v_and_b32_e32 v2, 7, v4
	v_lshrrev_b32_e32 v3, 3, v0
	v_cmp_gt_u32_e32 vcc, 8, v0
	v_ffbh_u32_e32 v0, v2
	v_min_u32_e32 v6, 32, v0
	v_subrev_u32_e32 v0, 28, v6
	v_lshlrev_b64 v[0:1], v0, v[4:5]
	v_sub_u32_e32 v1, 29, v6
	v_cndmask_b32_e32 v1, v3, v1, vcc
	v_lshlrev_b32_e32 v3, 8, v4
	v_mov_b32_e32 v4, 0x2000
	v_lshl_add_u32 v1, v1, 10, v4
	v_and_b32_e32 v0, 7, v0
	v_and_or_b32 v1, v3, s43, v1
	v_cndmask_b32_e32 v0, v2, v0, vcc
	v_lshlrev_b32_e32 v1, 16, v1
	v_lshl_or_b32 v0, v0, 23, v1
	buffer_store_dword v0, off, s[0:3], s32 offset:220 ; 4-byte Folded Spill
.LBB272_211:                            ;   in Loop: Header=BB272_9 Depth=1
	s_or_b64 exec, exec, s[40:41]
.LBB272_212:                            ;   in Loop: Header=BB272_9 Depth=1
	s_or_b64 exec, exec, s[28:29]
.LBB272_213:                            ;   in Loop: Header=BB272_9 Depth=1
	s_or_b64 exec, exec, s[26:27]
	v_lshrrev_b32_e32 v4, 16, v8
	v_cmp_ne_u16_sdwa s[28:29], v4, v5 src0_sel:BYTE_0 src1_sel:DWORD
	s_and_saveexec_b64 s[26:27], s[28:29]
	s_cbranch_execz .LBB272_219
; %bb.214:                              ;   in Loop: Header=BB272_9 Depth=1
	v_cmp_ne_u16_sdwa s[40:41], v4, s21 src0_sel:BYTE_0 src1_sel:DWORD
	v_mov_b32_e32 v0, 0x8000
	buffer_store_dword v0, off, s[0:3], s32 offset:216 ; 4-byte Folded Spill
	s_and_saveexec_b64 s[28:29], s[40:41]
	s_cbranch_execz .LBB272_218
; %bb.215:                              ;   in Loop: Header=BB272_9 Depth=1
	v_bfe_u32 v0, v8, 16, 7
	v_cmp_ne_u32_e32 vcc, s42, v0
	v_mov_b32_e32 v1, 0x7c01
	buffer_store_dword v1, off, s[0:3], s32 offset:216 ; 4-byte Folded Spill
	s_and_saveexec_b64 s[40:41], vcc
	s_cbranch_execz .LBB272_217
; %bb.216:                              ;   in Loop: Header=BB272_9 Depth=1
	v_and_b32_e32 v2, 7, v4
	v_lshrrev_b32_e32 v3, 3, v0
	v_cmp_gt_u32_e32 vcc, 8, v0
	v_ffbh_u32_e32 v0, v2
	v_min_u32_e32 v6, 32, v0
	v_subrev_u32_e32 v0, 28, v6
	v_lshlrev_b64 v[0:1], v0, v[4:5]
	v_sub_u32_e32 v1, 29, v6
	v_cndmask_b32_e32 v1, v3, v1, vcc
	v_lshlrev_b32_e32 v3, 8, v4
	v_mov_b32_e32 v4, 0x2000
	v_lshl_add_u32 v1, v1, 10, v4
	v_and_b32_e32 v0, 7, v0
	v_and_b32_e32 v1, 0xfc00, v1
	v_cndmask_b32_e32 v0, v2, v0, vcc
	v_and_or_b32 v1, v3, s43, v1
	v_lshl_or_b32 v0, v0, 7, v1
	buffer_store_dword v0, off, s[0:3], s32 offset:216 ; 4-byte Folded Spill
.LBB272_217:                            ;   in Loop: Header=BB272_9 Depth=1
	s_or_b64 exec, exec, s[40:41]
.LBB272_218:                            ;   in Loop: Header=BB272_9 Depth=1
	s_or_b64 exec, exec, s[28:29]
.LBB272_219:                            ;   in Loop: Header=BB272_9 Depth=1
	s_or_b64 exec, exec, s[26:27]
	v_cmp_lt_u32_e32 vcc, s44, v8
	v_mov_b32_e32 v35, 0
	v_mov_b32_e32 v0, 0
	buffer_store_dword v0, off, s[0:3], s32 offset:224 ; 4-byte Folded Spill
	s_and_saveexec_b64 s[26:27], vcc
	s_cbranch_execz .LBB272_225
; %bb.220:                              ;   in Loop: Header=BB272_9 Depth=1
	v_lshrrev_b32_e32 v4, 24, v8
	v_cmp_ne_u32_e32 vcc, s21, v4
	v_bfrev_b32_e32 v0, 1
	buffer_store_dword v0, off, s[0:3], s32 offset:224 ; 4-byte Folded Spill
	s_and_saveexec_b64 s[28:29], vcc
	s_cbranch_execz .LBB272_224
; %bb.221:                              ;   in Loop: Header=BB272_9 Depth=1
	v_and_b32_e32 v0, 0x7f, v4
	v_cmp_ne_u32_e32 vcc, s42, v0
	v_mov_b32_e32 v1, 0x7c010000
	buffer_store_dword v1, off, s[0:3], s32 offset:224 ; 4-byte Folded Spill
	s_and_saveexec_b64 s[40:41], vcc
	s_cbranch_execz .LBB272_223
; %bb.222:                              ;   in Loop: Header=BB272_9 Depth=1
	v_and_b32_e32 v2, 7, v4
	v_lshrrev_b32_e32 v3, 3, v0
	v_cmp_gt_u32_e32 vcc, 8, v0
	v_ffbh_u32_e32 v0, v2
	v_min_u32_e32 v6, 32, v0
	v_subrev_u32_e32 v0, 28, v6
	v_lshlrev_b64 v[0:1], v0, v[4:5]
	v_sub_u32_e32 v1, 29, v6
	v_cndmask_b32_e32 v1, v3, v1, vcc
	v_lshlrev_b32_e32 v3, 8, v4
	v_mov_b32_e32 v4, 0x2000
	v_lshl_add_u32 v1, v1, 10, v4
	v_and_b32_e32 v0, 7, v0
	v_and_or_b32 v1, v3, s43, v1
	v_cndmask_b32_e32 v0, v2, v0, vcc
	v_lshlrev_b32_e32 v1, 16, v1
	v_lshl_or_b32 v0, v0, 23, v1
	buffer_store_dword v0, off, s[0:3], s32 offset:224 ; 4-byte Folded Spill
.LBB272_223:                            ;   in Loop: Header=BB272_9 Depth=1
	s_or_b64 exec, exec, s[40:41]
.LBB272_224:                            ;   in Loop: Header=BB272_9 Depth=1
	s_or_b64 exec, exec, s[28:29]
.LBB272_225:                            ;   in Loop: Header=BB272_9 Depth=1
	s_or_b64 exec, exec, s[26:27]
	flat_load_dword v8, v[24:25] offset:2056
	s_waitcnt vmcnt(0) lgkmcnt(0)
	v_cmp_ne_u16_sdwa s[28:29], v8, v5 src0_sel:BYTE_0 src1_sel:DWORD
	s_and_saveexec_b64 s[26:27], s[28:29]
	s_cbranch_execz .LBB272_231
; %bb.226:                              ;   in Loop: Header=BB272_9 Depth=1
	v_cmp_ne_u16_sdwa s[40:41], v8, s21 src0_sel:BYTE_0 src1_sel:DWORD
	v_mov_b32_e32 v35, 0x8000
	s_and_saveexec_b64 s[28:29], s[40:41]
	s_cbranch_execz .LBB272_230
; %bb.227:                              ;   in Loop: Header=BB272_9 Depth=1
	v_and_b32_e32 v0, 0x7f, v8
	v_cmp_ne_u32_e32 vcc, s42, v0
	v_mov_b32_e32 v35, 0x7c01
	s_and_saveexec_b64 s[40:41], vcc
	s_cbranch_execz .LBB272_229
; %bb.228:                              ;   in Loop: Header=BB272_9 Depth=1
	v_and_b32_e32 v2, 7, v8
	v_lshrrev_b32_e32 v3, 3, v0
	v_cmp_gt_u32_e32 vcc, 8, v0
	v_ffbh_u32_e32 v0, v2
	v_min_u32_e32 v4, 32, v0
	v_subrev_u32_e32 v0, 28, v4
	v_lshlrev_b64 v[0:1], v0, v[8:9]
	v_sub_u32_e32 v1, 29, v4
	v_cndmask_b32_e32 v1, v3, v1, vcc
	v_mov_b32_e32 v4, 0x2000
	v_lshl_add_u32 v1, v1, 10, v4
	v_lshlrev_b32_e32 v3, 8, v8
	v_and_b32_e32 v0, 7, v0
	v_and_b32_e32 v1, 0xfc00, v1
	v_cndmask_b32_e32 v0, v2, v0, vcc
	v_and_or_b32 v1, v3, s43, v1
	v_lshl_or_b32 v35, v0, 7, v1
.LBB272_229:                            ;   in Loop: Header=BB272_9 Depth=1
	s_or_b64 exec, exec, s[40:41]
.LBB272_230:                            ;   in Loop: Header=BB272_9 Depth=1
	s_or_b64 exec, exec, s[28:29]
.LBB272_231:                            ;   in Loop: Header=BB272_9 Depth=1
	s_or_b64 exec, exec, s[26:27]
	v_lshrrev_b16_e32 v4, 8, v8
	v_cmp_ne_u16_e32 vcc, 0, v4
	v_mov_b32_e32 v45, 0
	v_mov_b32_e32 v13, 0
	s_and_saveexec_b64 s[26:27], vcc
	s_cbranch_execz .LBB272_237
; %bb.232:                              ;   in Loop: Header=BB272_9 Depth=1
	v_cmp_ne_u16_e32 vcc, s21, v4
	v_bfrev_b32_e32 v13, 1
	s_and_saveexec_b64 s[28:29], vcc
	s_cbranch_execz .LBB272_236
; %bb.233:                              ;   in Loop: Header=BB272_9 Depth=1
	v_and_b32_e32 v0, 0x7f, v4
	v_cmp_ne_u32_e32 vcc, s42, v0
	v_mov_b32_e32 v13, 0x7c010000
	s_and_saveexec_b64 s[40:41], vcc
	s_cbranch_execz .LBB272_235
; %bb.234:                              ;   in Loop: Header=BB272_9 Depth=1
	v_and_b32_e32 v2, 7, v4
	v_lshrrev_b32_e32 v3, 3, v0
	v_cmp_gt_u32_e32 vcc, 8, v0
	v_ffbh_u32_e32 v0, v2
	v_min_u32_e32 v6, 32, v0
	v_subrev_u32_e32 v0, 28, v6
	v_lshlrev_b64 v[0:1], v0, v[4:5]
	v_sub_u32_e32 v1, 29, v6
	v_cndmask_b32_e32 v1, v3, v1, vcc
	v_lshlrev_b32_e32 v3, 8, v4
	v_mov_b32_e32 v4, 0x2000
	v_lshl_add_u32 v1, v1, 10, v4
	v_and_b32_e32 v0, 7, v0
	v_and_or_b32 v1, v3, s43, v1
	v_cndmask_b32_e32 v0, v2, v0, vcc
	v_lshlrev_b32_e32 v1, 16, v1
	v_lshl_or_b32 v13, v0, 23, v1
.LBB272_235:                            ;   in Loop: Header=BB272_9 Depth=1
	s_or_b64 exec, exec, s[40:41]
.LBB272_236:                            ;   in Loop: Header=BB272_9 Depth=1
	s_or_b64 exec, exec, s[28:29]
.LBB272_237:                            ;   in Loop: Header=BB272_9 Depth=1
	s_or_b64 exec, exec, s[26:27]
	v_lshrrev_b32_e32 v4, 16, v8
	v_cmp_ne_u16_sdwa s[28:29], v4, v5 src0_sel:BYTE_0 src1_sel:DWORD
	s_and_saveexec_b64 s[26:27], s[28:29]
	s_cbranch_execz .LBB272_243
; %bb.238:                              ;   in Loop: Header=BB272_9 Depth=1
	v_cmp_ne_u16_sdwa s[40:41], v4, s21 src0_sel:BYTE_0 src1_sel:DWORD
	v_mov_b32_e32 v45, 0x8000
	s_and_saveexec_b64 s[28:29], s[40:41]
	s_cbranch_execz .LBB272_242
; %bb.239:                              ;   in Loop: Header=BB272_9 Depth=1
	v_bfe_u32 v0, v8, 16, 7
	v_cmp_ne_u32_e32 vcc, s42, v0
	v_mov_b32_e32 v45, 0x7c01
	s_and_saveexec_b64 s[40:41], vcc
	s_cbranch_execz .LBB272_241
; %bb.240:                              ;   in Loop: Header=BB272_9 Depth=1
	v_and_b32_e32 v2, 7, v4
	v_lshrrev_b32_e32 v3, 3, v0
	v_cmp_gt_u32_e32 vcc, 8, v0
	v_ffbh_u32_e32 v0, v2
	v_min_u32_e32 v6, 32, v0
	v_subrev_u32_e32 v0, 28, v6
	v_lshlrev_b64 v[0:1], v0, v[4:5]
	v_sub_u32_e32 v1, 29, v6
	v_cndmask_b32_e32 v1, v3, v1, vcc
	v_lshlrev_b32_e32 v3, 8, v4
	v_mov_b32_e32 v4, 0x2000
	v_lshl_add_u32 v1, v1, 10, v4
	v_and_b32_e32 v0, 7, v0
	v_and_b32_e32 v1, 0xfc00, v1
	v_cndmask_b32_e32 v0, v2, v0, vcc
	v_and_or_b32 v1, v3, s43, v1
	v_lshl_or_b32 v45, v0, 7, v1
.LBB272_241:                            ;   in Loop: Header=BB272_9 Depth=1
	s_or_b64 exec, exec, s[40:41]
.LBB272_242:                            ;   in Loop: Header=BB272_9 Depth=1
	s_or_b64 exec, exec, s[28:29]
.LBB272_243:                            ;   in Loop: Header=BB272_9 Depth=1
	s_or_b64 exec, exec, s[26:27]
	v_cmp_lt_u32_e32 vcc, s44, v8
	v_mov_b32_e32 v0, 0
	v_mov_b32_e32 v19, 0
	buffer_store_dword v0, off, s[0:3], s32 offset:228 ; 4-byte Folded Spill
	s_and_saveexec_b64 s[26:27], vcc
	s_cbranch_execz .LBB272_249
; %bb.244:                              ;   in Loop: Header=BB272_9 Depth=1
	v_lshrrev_b32_e32 v4, 24, v8
	v_cmp_ne_u32_e32 vcc, s21, v4
	v_bfrev_b32_e32 v19, 1
	s_and_saveexec_b64 s[28:29], vcc
	s_cbranch_execz .LBB272_248
; %bb.245:                              ;   in Loop: Header=BB272_9 Depth=1
	v_and_b32_e32 v0, 0x7f, v4
	v_cmp_ne_u32_e32 vcc, s42, v0
	v_mov_b32_e32 v19, 0x7c010000
	s_and_saveexec_b64 s[40:41], vcc
	s_cbranch_execz .LBB272_247
; %bb.246:                              ;   in Loop: Header=BB272_9 Depth=1
	v_and_b32_e32 v2, 7, v4
	v_lshrrev_b32_e32 v3, 3, v0
	v_cmp_gt_u32_e32 vcc, 8, v0
	v_ffbh_u32_e32 v0, v2
	v_min_u32_e32 v6, 32, v0
	v_subrev_u32_e32 v0, 28, v6
	v_lshlrev_b64 v[0:1], v0, v[4:5]
	v_sub_u32_e32 v1, 29, v6
	v_cndmask_b32_e32 v1, v3, v1, vcc
	v_lshlrev_b32_e32 v3, 8, v4
	v_mov_b32_e32 v4, 0x2000
	v_lshl_add_u32 v1, v1, 10, v4
	v_and_b32_e32 v0, 7, v0
	v_and_or_b32 v1, v3, s43, v1
	v_cndmask_b32_e32 v0, v2, v0, vcc
	v_lshlrev_b32_e32 v1, 16, v1
	v_lshl_or_b32 v19, v0, 23, v1
.LBB272_247:                            ;   in Loop: Header=BB272_9 Depth=1
	s_or_b64 exec, exec, s[40:41]
.LBB272_248:                            ;   in Loop: Header=BB272_9 Depth=1
	s_or_b64 exec, exec, s[28:29]
.LBB272_249:                            ;   in Loop: Header=BB272_9 Depth=1
	s_or_b64 exec, exec, s[26:27]
	flat_load_dword v8, v[24:25] offset:2560
	s_waitcnt vmcnt(0) lgkmcnt(0)
	v_cmp_ne_u16_sdwa s[28:29], v8, v5 src0_sel:BYTE_0 src1_sel:DWORD
	s_and_saveexec_b64 s[26:27], s[28:29]
	s_cbranch_execz .LBB272_255
; %bb.250:                              ;   in Loop: Header=BB272_9 Depth=1
	v_cmp_ne_u16_sdwa s[40:41], v8, s21 src0_sel:BYTE_0 src1_sel:DWORD
	v_mov_b32_e32 v0, 0x8000
	buffer_store_dword v0, off, s[0:3], s32 offset:228 ; 4-byte Folded Spill
	s_and_saveexec_b64 s[28:29], s[40:41]
	s_cbranch_execz .LBB272_254
; %bb.251:                              ;   in Loop: Header=BB272_9 Depth=1
	v_and_b32_e32 v0, 0x7f, v8
	v_cmp_ne_u32_e32 vcc, s42, v0
	v_mov_b32_e32 v1, 0x7c01
	buffer_store_dword v1, off, s[0:3], s32 offset:228 ; 4-byte Folded Spill
	s_and_saveexec_b64 s[40:41], vcc
	s_cbranch_execz .LBB272_253
; %bb.252:                              ;   in Loop: Header=BB272_9 Depth=1
	v_and_b32_e32 v2, 7, v8
	v_lshrrev_b32_e32 v3, 3, v0
	v_cmp_gt_u32_e32 vcc, 8, v0
	v_ffbh_u32_e32 v0, v2
	v_min_u32_e32 v4, 32, v0
	v_subrev_u32_e32 v0, 28, v4
	v_lshlrev_b64 v[0:1], v0, v[8:9]
	v_sub_u32_e32 v1, 29, v4
	v_cndmask_b32_e32 v1, v3, v1, vcc
	v_mov_b32_e32 v4, 0x2000
	v_lshl_add_u32 v1, v1, 10, v4
	v_lshlrev_b32_e32 v3, 8, v8
	v_and_b32_e32 v0, 7, v0
	v_and_b32_e32 v1, 0xfc00, v1
	v_cndmask_b32_e32 v0, v2, v0, vcc
	v_and_or_b32 v1, v3, s43, v1
	v_lshl_or_b32 v0, v0, 7, v1
	buffer_store_dword v0, off, s[0:3], s32 offset:228 ; 4-byte Folded Spill
.LBB272_253:                            ;   in Loop: Header=BB272_9 Depth=1
	s_or_b64 exec, exec, s[40:41]
.LBB272_254:                            ;   in Loop: Header=BB272_9 Depth=1
	s_or_b64 exec, exec, s[28:29]
.LBB272_255:                            ;   in Loop: Header=BB272_9 Depth=1
	s_or_b64 exec, exec, s[26:27]
	v_lshrrev_b16_e32 v4, 8, v8
	v_mov_b32_e32 v0, 0
	v_cmp_ne_u16_e32 vcc, 0, v4
	buffer_store_dword v0, off, s[0:3], s32 offset:232 ; 4-byte Folded Spill
	v_mov_b32_e32 v0, 0
	buffer_store_dword v0, off, s[0:3], s32 offset:236 ; 4-byte Folded Spill
	s_and_saveexec_b64 s[26:27], vcc
	s_cbranch_execz .LBB272_261
; %bb.256:                              ;   in Loop: Header=BB272_9 Depth=1
	v_cmp_ne_u16_e32 vcc, s21, v4
	v_bfrev_b32_e32 v0, 1
	buffer_store_dword v0, off, s[0:3], s32 offset:236 ; 4-byte Folded Spill
	s_and_saveexec_b64 s[28:29], vcc
	s_cbranch_execz .LBB272_260
; %bb.257:                              ;   in Loop: Header=BB272_9 Depth=1
	v_and_b32_e32 v0, 0x7f, v4
	v_cmp_ne_u32_e32 vcc, s42, v0
	v_mov_b32_e32 v1, 0x7c010000
	buffer_store_dword v1, off, s[0:3], s32 offset:236 ; 4-byte Folded Spill
	s_and_saveexec_b64 s[40:41], vcc
	s_cbranch_execz .LBB272_259
; %bb.258:                              ;   in Loop: Header=BB272_9 Depth=1
	v_and_b32_e32 v2, 7, v4
	v_lshrrev_b32_e32 v3, 3, v0
	v_cmp_gt_u32_e32 vcc, 8, v0
	v_ffbh_u32_e32 v0, v2
	v_min_u32_e32 v6, 32, v0
	v_subrev_u32_e32 v0, 28, v6
	v_lshlrev_b64 v[0:1], v0, v[4:5]
	v_sub_u32_e32 v1, 29, v6
	v_cndmask_b32_e32 v1, v3, v1, vcc
	v_lshlrev_b32_e32 v3, 8, v4
	v_mov_b32_e32 v4, 0x2000
	v_lshl_add_u32 v1, v1, 10, v4
	v_and_b32_e32 v0, 7, v0
	v_and_or_b32 v1, v3, s43, v1
	v_cndmask_b32_e32 v0, v2, v0, vcc
	v_lshlrev_b32_e32 v1, 16, v1
	v_lshl_or_b32 v0, v0, 23, v1
	buffer_store_dword v0, off, s[0:3], s32 offset:236 ; 4-byte Folded Spill
.LBB272_259:                            ;   in Loop: Header=BB272_9 Depth=1
	s_or_b64 exec, exec, s[40:41]
.LBB272_260:                            ;   in Loop: Header=BB272_9 Depth=1
	s_or_b64 exec, exec, s[28:29]
.LBB272_261:                            ;   in Loop: Header=BB272_9 Depth=1
	s_or_b64 exec, exec, s[26:27]
	v_lshrrev_b32_e32 v4, 16, v8
	v_cmp_ne_u16_sdwa s[28:29], v4, v5 src0_sel:BYTE_0 src1_sel:DWORD
	s_and_saveexec_b64 s[26:27], s[28:29]
	s_cbranch_execz .LBB272_267
; %bb.262:                              ;   in Loop: Header=BB272_9 Depth=1
	v_cmp_ne_u16_sdwa s[40:41], v4, s21 src0_sel:BYTE_0 src1_sel:DWORD
	v_mov_b32_e32 v0, 0x8000
	buffer_store_dword v0, off, s[0:3], s32 offset:232 ; 4-byte Folded Spill
	s_and_saveexec_b64 s[28:29], s[40:41]
	s_cbranch_execz .LBB272_266
; %bb.263:                              ;   in Loop: Header=BB272_9 Depth=1
	v_bfe_u32 v0, v8, 16, 7
	v_cmp_ne_u32_e32 vcc, s42, v0
	v_mov_b32_e32 v1, 0x7c01
	buffer_store_dword v1, off, s[0:3], s32 offset:232 ; 4-byte Folded Spill
	s_and_saveexec_b64 s[40:41], vcc
	s_cbranch_execz .LBB272_265
; %bb.264:                              ;   in Loop: Header=BB272_9 Depth=1
	v_and_b32_e32 v2, 7, v4
	v_lshrrev_b32_e32 v3, 3, v0
	v_cmp_gt_u32_e32 vcc, 8, v0
	v_ffbh_u32_e32 v0, v2
	v_min_u32_e32 v6, 32, v0
	v_subrev_u32_e32 v0, 28, v6
	v_lshlrev_b64 v[0:1], v0, v[4:5]
	v_sub_u32_e32 v1, 29, v6
	v_cndmask_b32_e32 v1, v3, v1, vcc
	v_lshlrev_b32_e32 v3, 8, v4
	v_mov_b32_e32 v4, 0x2000
	v_lshl_add_u32 v1, v1, 10, v4
	v_and_b32_e32 v0, 7, v0
	v_and_b32_e32 v1, 0xfc00, v1
	v_cndmask_b32_e32 v0, v2, v0, vcc
	v_and_or_b32 v1, v3, s43, v1
	v_lshl_or_b32 v0, v0, 7, v1
	buffer_store_dword v0, off, s[0:3], s32 offset:232 ; 4-byte Folded Spill
.LBB272_265:                            ;   in Loop: Header=BB272_9 Depth=1
	s_or_b64 exec, exec, s[40:41]
.LBB272_266:                            ;   in Loop: Header=BB272_9 Depth=1
	s_or_b64 exec, exec, s[28:29]
.LBB272_267:                            ;   in Loop: Header=BB272_9 Depth=1
	s_or_b64 exec, exec, s[26:27]
	v_mov_b32_e32 v0, 0
	v_cmp_lt_u32_e32 vcc, s44, v8
	buffer_store_dword v0, off, s[0:3], s32 offset:244 ; 4-byte Folded Spill
	v_mov_b32_e32 v0, 0
	buffer_store_dword v0, off, s[0:3], s32 offset:240 ; 4-byte Folded Spill
	s_and_saveexec_b64 s[26:27], vcc
	s_cbranch_execz .LBB272_273
; %bb.268:                              ;   in Loop: Header=BB272_9 Depth=1
	v_lshrrev_b32_e32 v4, 24, v8
	v_cmp_ne_u32_e32 vcc, s21, v4
	v_bfrev_b32_e32 v0, 1
	buffer_store_dword v0, off, s[0:3], s32 offset:240 ; 4-byte Folded Spill
	s_and_saveexec_b64 s[28:29], vcc
	s_cbranch_execz .LBB272_272
; %bb.269:                              ;   in Loop: Header=BB272_9 Depth=1
	v_and_b32_e32 v0, 0x7f, v4
	v_cmp_ne_u32_e32 vcc, s42, v0
	v_mov_b32_e32 v1, 0x7c010000
	buffer_store_dword v1, off, s[0:3], s32 offset:240 ; 4-byte Folded Spill
	s_and_saveexec_b64 s[40:41], vcc
	s_cbranch_execz .LBB272_271
; %bb.270:                              ;   in Loop: Header=BB272_9 Depth=1
	v_and_b32_e32 v2, 7, v4
	v_lshrrev_b32_e32 v3, 3, v0
	v_cmp_gt_u32_e32 vcc, 8, v0
	v_ffbh_u32_e32 v0, v2
	v_min_u32_e32 v6, 32, v0
	v_subrev_u32_e32 v0, 28, v6
	v_lshlrev_b64 v[0:1], v0, v[4:5]
	v_sub_u32_e32 v1, 29, v6
	v_cndmask_b32_e32 v1, v3, v1, vcc
	v_lshlrev_b32_e32 v3, 8, v4
	v_mov_b32_e32 v4, 0x2000
	v_lshl_add_u32 v1, v1, 10, v4
	v_and_b32_e32 v0, 7, v0
	v_and_or_b32 v1, v3, s43, v1
	v_cndmask_b32_e32 v0, v2, v0, vcc
	v_lshlrev_b32_e32 v1, 16, v1
	v_lshl_or_b32 v0, v0, 23, v1
	buffer_store_dword v0, off, s[0:3], s32 offset:240 ; 4-byte Folded Spill
.LBB272_271:                            ;   in Loop: Header=BB272_9 Depth=1
	s_or_b64 exec, exec, s[40:41]
.LBB272_272:                            ;   in Loop: Header=BB272_9 Depth=1
	s_or_b64 exec, exec, s[28:29]
.LBB272_273:                            ;   in Loop: Header=BB272_9 Depth=1
	s_or_b64 exec, exec, s[26:27]
	flat_load_dword v8, v[24:25] offset:2568
	s_waitcnt vmcnt(0) lgkmcnt(0)
	v_cmp_ne_u16_sdwa s[28:29], v8, v5 src0_sel:BYTE_0 src1_sel:DWORD
	s_and_saveexec_b64 s[26:27], s[28:29]
	s_cbranch_execz .LBB272_279
; %bb.274:                              ;   in Loop: Header=BB272_9 Depth=1
	v_cmp_ne_u16_sdwa s[40:41], v8, s21 src0_sel:BYTE_0 src1_sel:DWORD
	v_mov_b32_e32 v0, 0x8000
	buffer_store_dword v0, off, s[0:3], s32 offset:244 ; 4-byte Folded Spill
	s_and_saveexec_b64 s[28:29], s[40:41]
	s_cbranch_execz .LBB272_278
; %bb.275:                              ;   in Loop: Header=BB272_9 Depth=1
	v_and_b32_e32 v0, 0x7f, v8
	v_cmp_ne_u32_e32 vcc, s42, v0
	v_mov_b32_e32 v1, 0x7c01
	buffer_store_dword v1, off, s[0:3], s32 offset:244 ; 4-byte Folded Spill
	s_and_saveexec_b64 s[40:41], vcc
	s_cbranch_execz .LBB272_277
; %bb.276:                              ;   in Loop: Header=BB272_9 Depth=1
	v_and_b32_e32 v2, 7, v8
	v_lshrrev_b32_e32 v3, 3, v0
	v_cmp_gt_u32_e32 vcc, 8, v0
	v_ffbh_u32_e32 v0, v2
	v_min_u32_e32 v4, 32, v0
	v_subrev_u32_e32 v0, 28, v4
	v_lshlrev_b64 v[0:1], v0, v[8:9]
	v_sub_u32_e32 v1, 29, v4
	v_cndmask_b32_e32 v1, v3, v1, vcc
	v_mov_b32_e32 v4, 0x2000
	v_lshl_add_u32 v1, v1, 10, v4
	v_lshlrev_b32_e32 v3, 8, v8
	v_and_b32_e32 v0, 7, v0
	v_and_b32_e32 v1, 0xfc00, v1
	v_cndmask_b32_e32 v0, v2, v0, vcc
	v_and_or_b32 v1, v3, s43, v1
	v_lshl_or_b32 v0, v0, 7, v1
	buffer_store_dword v0, off, s[0:3], s32 offset:244 ; 4-byte Folded Spill
.LBB272_277:                            ;   in Loop: Header=BB272_9 Depth=1
	s_or_b64 exec, exec, s[40:41]
.LBB272_278:                            ;   in Loop: Header=BB272_9 Depth=1
	s_or_b64 exec, exec, s[28:29]
.LBB272_279:                            ;   in Loop: Header=BB272_9 Depth=1
	s_or_b64 exec, exec, s[26:27]
	v_lshrrev_b16_e32 v4, 8, v8
	v_mov_b32_e32 v0, 0
	v_cmp_ne_u16_e32 vcc, 0, v4
	buffer_store_dword v0, off, s[0:3], s32 offset:248 ; 4-byte Folded Spill
	v_mov_b32_e32 v0, 0
	buffer_store_dword v0, off, s[0:3], s32 offset:252 ; 4-byte Folded Spill
	s_and_saveexec_b64 s[26:27], vcc
	s_cbranch_execz .LBB272_285
; %bb.280:                              ;   in Loop: Header=BB272_9 Depth=1
	v_cmp_ne_u16_e32 vcc, s21, v4
	v_bfrev_b32_e32 v0, 1
	buffer_store_dword v0, off, s[0:3], s32 offset:252 ; 4-byte Folded Spill
	s_and_saveexec_b64 s[28:29], vcc
	s_cbranch_execz .LBB272_284
; %bb.281:                              ;   in Loop: Header=BB272_9 Depth=1
	v_and_b32_e32 v0, 0x7f, v4
	v_cmp_ne_u32_e32 vcc, s42, v0
	v_mov_b32_e32 v1, 0x7c010000
	buffer_store_dword v1, off, s[0:3], s32 offset:252 ; 4-byte Folded Spill
	s_and_saveexec_b64 s[40:41], vcc
	s_cbranch_execz .LBB272_283
; %bb.282:                              ;   in Loop: Header=BB272_9 Depth=1
	v_and_b32_e32 v2, 7, v4
	v_lshrrev_b32_e32 v3, 3, v0
	v_cmp_gt_u32_e32 vcc, 8, v0
	v_ffbh_u32_e32 v0, v2
	v_min_u32_e32 v6, 32, v0
	v_subrev_u32_e32 v0, 28, v6
	v_lshlrev_b64 v[0:1], v0, v[4:5]
	v_sub_u32_e32 v1, 29, v6
	v_cndmask_b32_e32 v1, v3, v1, vcc
	v_lshlrev_b32_e32 v3, 8, v4
	v_mov_b32_e32 v4, 0x2000
	v_lshl_add_u32 v1, v1, 10, v4
	v_and_b32_e32 v0, 7, v0
	v_and_or_b32 v1, v3, s43, v1
	v_cndmask_b32_e32 v0, v2, v0, vcc
	v_lshlrev_b32_e32 v1, 16, v1
	v_lshl_or_b32 v0, v0, 23, v1
	buffer_store_dword v0, off, s[0:3], s32 offset:252 ; 4-byte Folded Spill
.LBB272_283:                            ;   in Loop: Header=BB272_9 Depth=1
	s_or_b64 exec, exec, s[40:41]
.LBB272_284:                            ;   in Loop: Header=BB272_9 Depth=1
	s_or_b64 exec, exec, s[28:29]
.LBB272_285:                            ;   in Loop: Header=BB272_9 Depth=1
	s_or_b64 exec, exec, s[26:27]
	v_lshrrev_b32_e32 v4, 16, v8
	v_cmp_ne_u16_sdwa s[28:29], v4, v5 src0_sel:BYTE_0 src1_sel:DWORD
	s_and_saveexec_b64 s[26:27], s[28:29]
	s_cbranch_execz .LBB272_291
; %bb.286:                              ;   in Loop: Header=BB272_9 Depth=1
	v_cmp_ne_u16_sdwa s[40:41], v4, s21 src0_sel:BYTE_0 src1_sel:DWORD
	v_mov_b32_e32 v0, 0x8000
	buffer_store_dword v0, off, s[0:3], s32 offset:248 ; 4-byte Folded Spill
	s_and_saveexec_b64 s[28:29], s[40:41]
	s_cbranch_execz .LBB272_290
; %bb.287:                              ;   in Loop: Header=BB272_9 Depth=1
	v_bfe_u32 v0, v8, 16, 7
	v_cmp_ne_u32_e32 vcc, s42, v0
	v_mov_b32_e32 v1, 0x7c01
	buffer_store_dword v1, off, s[0:3], s32 offset:248 ; 4-byte Folded Spill
	s_and_saveexec_b64 s[40:41], vcc
	s_cbranch_execz .LBB272_289
; %bb.288:                              ;   in Loop: Header=BB272_9 Depth=1
	v_and_b32_e32 v2, 7, v4
	v_lshrrev_b32_e32 v3, 3, v0
	v_cmp_gt_u32_e32 vcc, 8, v0
	v_ffbh_u32_e32 v0, v2
	v_min_u32_e32 v6, 32, v0
	v_subrev_u32_e32 v0, 28, v6
	v_lshlrev_b64 v[0:1], v0, v[4:5]
	v_sub_u32_e32 v1, 29, v6
	v_cndmask_b32_e32 v1, v3, v1, vcc
	v_lshlrev_b32_e32 v3, 8, v4
	v_mov_b32_e32 v4, 0x2000
	v_lshl_add_u32 v1, v1, 10, v4
	v_and_b32_e32 v0, 7, v0
	v_and_b32_e32 v1, 0xfc00, v1
	v_cndmask_b32_e32 v0, v2, v0, vcc
	v_and_or_b32 v1, v3, s43, v1
	v_lshl_or_b32 v0, v0, 7, v1
	buffer_store_dword v0, off, s[0:3], s32 offset:248 ; 4-byte Folded Spill
.LBB272_289:                            ;   in Loop: Header=BB272_9 Depth=1
	s_or_b64 exec, exec, s[40:41]
.LBB272_290:                            ;   in Loop: Header=BB272_9 Depth=1
	s_or_b64 exec, exec, s[28:29]
.LBB272_291:                            ;   in Loop: Header=BB272_9 Depth=1
	s_or_b64 exec, exec, s[26:27]
	v_mov_b32_e32 v0, 0
	v_cmp_lt_u32_e32 vcc, s44, v8
	buffer_store_dword v0, off, s[0:3], s32 offset:260 ; 4-byte Folded Spill
	v_mov_b32_e32 v0, 0
	buffer_store_dword v0, off, s[0:3], s32 offset:256 ; 4-byte Folded Spill
	s_and_saveexec_b64 s[26:27], vcc
	s_cbranch_execz .LBB272_297
; %bb.292:                              ;   in Loop: Header=BB272_9 Depth=1
	v_lshrrev_b32_e32 v4, 24, v8
	v_cmp_ne_u32_e32 vcc, s21, v4
	v_bfrev_b32_e32 v0, 1
	buffer_store_dword v0, off, s[0:3], s32 offset:256 ; 4-byte Folded Spill
	s_and_saveexec_b64 s[28:29], vcc
	s_cbranch_execz .LBB272_296
; %bb.293:                              ;   in Loop: Header=BB272_9 Depth=1
	v_and_b32_e32 v0, 0x7f, v4
	v_cmp_ne_u32_e32 vcc, s42, v0
	v_mov_b32_e32 v1, 0x7c010000
	buffer_store_dword v1, off, s[0:3], s32 offset:256 ; 4-byte Folded Spill
	s_and_saveexec_b64 s[40:41], vcc
	s_cbranch_execz .LBB272_295
; %bb.294:                              ;   in Loop: Header=BB272_9 Depth=1
	v_and_b32_e32 v2, 7, v4
	v_lshrrev_b32_e32 v3, 3, v0
	v_cmp_gt_u32_e32 vcc, 8, v0
	v_ffbh_u32_e32 v0, v2
	v_min_u32_e32 v6, 32, v0
	v_subrev_u32_e32 v0, 28, v6
	v_lshlrev_b64 v[0:1], v0, v[4:5]
	v_sub_u32_e32 v1, 29, v6
	v_cndmask_b32_e32 v1, v3, v1, vcc
	v_lshlrev_b32_e32 v3, 8, v4
	v_mov_b32_e32 v4, 0x2000
	v_lshl_add_u32 v1, v1, 10, v4
	v_and_b32_e32 v0, 7, v0
	v_and_or_b32 v1, v3, s43, v1
	v_cndmask_b32_e32 v0, v2, v0, vcc
	v_lshlrev_b32_e32 v1, 16, v1
	v_lshl_or_b32 v0, v0, 23, v1
	buffer_store_dword v0, off, s[0:3], s32 offset:256 ; 4-byte Folded Spill
.LBB272_295:                            ;   in Loop: Header=BB272_9 Depth=1
	s_or_b64 exec, exec, s[40:41]
.LBB272_296:                            ;   in Loop: Header=BB272_9 Depth=1
	s_or_b64 exec, exec, s[28:29]
.LBB272_297:                            ;   in Loop: Header=BB272_9 Depth=1
	s_or_b64 exec, exec, s[26:27]
	flat_load_dword v8, v[24:25] offset:3072
	s_waitcnt vmcnt(0) lgkmcnt(0)
	v_cmp_ne_u16_sdwa s[28:29], v8, v5 src0_sel:BYTE_0 src1_sel:DWORD
	s_and_saveexec_b64 s[26:27], s[28:29]
	s_cbranch_execz .LBB272_303
; %bb.298:                              ;   in Loop: Header=BB272_9 Depth=1
	v_cmp_ne_u16_sdwa s[40:41], v8, s21 src0_sel:BYTE_0 src1_sel:DWORD
	v_mov_b32_e32 v0, 0x8000
	buffer_store_dword v0, off, s[0:3], s32 offset:260 ; 4-byte Folded Spill
	s_and_saveexec_b64 s[28:29], s[40:41]
	s_cbranch_execz .LBB272_302
; %bb.299:                              ;   in Loop: Header=BB272_9 Depth=1
	v_and_b32_e32 v0, 0x7f, v8
	v_cmp_ne_u32_e32 vcc, s42, v0
	v_mov_b32_e32 v1, 0x7c01
	buffer_store_dword v1, off, s[0:3], s32 offset:260 ; 4-byte Folded Spill
	s_and_saveexec_b64 s[40:41], vcc
	s_cbranch_execz .LBB272_301
; %bb.300:                              ;   in Loop: Header=BB272_9 Depth=1
	v_and_b32_e32 v2, 7, v8
	v_lshrrev_b32_e32 v3, 3, v0
	v_cmp_gt_u32_e32 vcc, 8, v0
	v_ffbh_u32_e32 v0, v2
	v_min_u32_e32 v4, 32, v0
	v_subrev_u32_e32 v0, 28, v4
	v_lshlrev_b64 v[0:1], v0, v[8:9]
	v_sub_u32_e32 v1, 29, v4
	v_cndmask_b32_e32 v1, v3, v1, vcc
	v_mov_b32_e32 v4, 0x2000
	v_lshl_add_u32 v1, v1, 10, v4
	v_lshlrev_b32_e32 v3, 8, v8
	v_and_b32_e32 v0, 7, v0
	v_and_b32_e32 v1, 0xfc00, v1
	v_cndmask_b32_e32 v0, v2, v0, vcc
	v_and_or_b32 v1, v3, s43, v1
	v_lshl_or_b32 v0, v0, 7, v1
	buffer_store_dword v0, off, s[0:3], s32 offset:260 ; 4-byte Folded Spill
.LBB272_301:                            ;   in Loop: Header=BB272_9 Depth=1
	s_or_b64 exec, exec, s[40:41]
.LBB272_302:                            ;   in Loop: Header=BB272_9 Depth=1
	s_or_b64 exec, exec, s[28:29]
.LBB272_303:                            ;   in Loop: Header=BB272_9 Depth=1
	s_or_b64 exec, exec, s[26:27]
	v_lshrrev_b16_e32 v4, 8, v8
	v_mov_b32_e32 v0, 0
	v_cmp_ne_u16_e32 vcc, 0, v4
	buffer_store_dword v0, off, s[0:3], s32 offset:264 ; 4-byte Folded Spill
	v_mov_b32_e32 v0, 0
	buffer_store_dword v0, off, s[0:3], s32 offset:268 ; 4-byte Folded Spill
	s_and_saveexec_b64 s[26:27], vcc
	s_cbranch_execz .LBB272_309
; %bb.304:                              ;   in Loop: Header=BB272_9 Depth=1
	v_cmp_ne_u16_e32 vcc, s21, v4
	v_bfrev_b32_e32 v0, 1
	buffer_store_dword v0, off, s[0:3], s32 offset:268 ; 4-byte Folded Spill
	s_and_saveexec_b64 s[28:29], vcc
	s_cbranch_execz .LBB272_308
; %bb.305:                              ;   in Loop: Header=BB272_9 Depth=1
	v_and_b32_e32 v0, 0x7f, v4
	v_cmp_ne_u32_e32 vcc, s42, v0
	v_mov_b32_e32 v1, 0x7c010000
	buffer_store_dword v1, off, s[0:3], s32 offset:268 ; 4-byte Folded Spill
	s_and_saveexec_b64 s[40:41], vcc
	s_cbranch_execz .LBB272_307
; %bb.306:                              ;   in Loop: Header=BB272_9 Depth=1
	v_and_b32_e32 v2, 7, v4
	v_lshrrev_b32_e32 v3, 3, v0
	v_cmp_gt_u32_e32 vcc, 8, v0
	v_ffbh_u32_e32 v0, v2
	v_min_u32_e32 v6, 32, v0
	v_subrev_u32_e32 v0, 28, v6
	v_lshlrev_b64 v[0:1], v0, v[4:5]
	v_sub_u32_e32 v1, 29, v6
	v_cndmask_b32_e32 v1, v3, v1, vcc
	v_lshlrev_b32_e32 v3, 8, v4
	v_mov_b32_e32 v4, 0x2000
	v_lshl_add_u32 v1, v1, 10, v4
	v_and_b32_e32 v0, 7, v0
	v_and_or_b32 v1, v3, s43, v1
	v_cndmask_b32_e32 v0, v2, v0, vcc
	v_lshlrev_b32_e32 v1, 16, v1
	v_lshl_or_b32 v0, v0, 23, v1
	buffer_store_dword v0, off, s[0:3], s32 offset:268 ; 4-byte Folded Spill
.LBB272_307:                            ;   in Loop: Header=BB272_9 Depth=1
	s_or_b64 exec, exec, s[40:41]
.LBB272_308:                            ;   in Loop: Header=BB272_9 Depth=1
	s_or_b64 exec, exec, s[28:29]
.LBB272_309:                            ;   in Loop: Header=BB272_9 Depth=1
	s_or_b64 exec, exec, s[26:27]
	v_lshrrev_b32_e32 v4, 16, v8
	v_cmp_ne_u16_sdwa s[28:29], v4, v5 src0_sel:BYTE_0 src1_sel:DWORD
	s_and_saveexec_b64 s[26:27], s[28:29]
	s_cbranch_execz .LBB272_315
; %bb.310:                              ;   in Loop: Header=BB272_9 Depth=1
	v_cmp_ne_u16_sdwa s[40:41], v4, s21 src0_sel:BYTE_0 src1_sel:DWORD
	v_mov_b32_e32 v0, 0x8000
	buffer_store_dword v0, off, s[0:3], s32 offset:264 ; 4-byte Folded Spill
	s_and_saveexec_b64 s[28:29], s[40:41]
	s_cbranch_execz .LBB272_314
; %bb.311:                              ;   in Loop: Header=BB272_9 Depth=1
	v_bfe_u32 v0, v8, 16, 7
	v_cmp_ne_u32_e32 vcc, s42, v0
	v_mov_b32_e32 v1, 0x7c01
	buffer_store_dword v1, off, s[0:3], s32 offset:264 ; 4-byte Folded Spill
	s_and_saveexec_b64 s[40:41], vcc
	s_cbranch_execz .LBB272_313
; %bb.312:                              ;   in Loop: Header=BB272_9 Depth=1
	v_and_b32_e32 v2, 7, v4
	v_lshrrev_b32_e32 v3, 3, v0
	v_cmp_gt_u32_e32 vcc, 8, v0
	v_ffbh_u32_e32 v0, v2
	v_min_u32_e32 v6, 32, v0
	v_subrev_u32_e32 v0, 28, v6
	v_lshlrev_b64 v[0:1], v0, v[4:5]
	v_sub_u32_e32 v1, 29, v6
	v_cndmask_b32_e32 v1, v3, v1, vcc
	v_lshlrev_b32_e32 v3, 8, v4
	v_mov_b32_e32 v4, 0x2000
	v_lshl_add_u32 v1, v1, 10, v4
	v_and_b32_e32 v0, 7, v0
	v_and_b32_e32 v1, 0xfc00, v1
	v_cndmask_b32_e32 v0, v2, v0, vcc
	v_and_or_b32 v1, v3, s43, v1
	v_lshl_or_b32 v0, v0, 7, v1
	buffer_store_dword v0, off, s[0:3], s32 offset:264 ; 4-byte Folded Spill
.LBB272_313:                            ;   in Loop: Header=BB272_9 Depth=1
	s_or_b64 exec, exec, s[40:41]
.LBB272_314:                            ;   in Loop: Header=BB272_9 Depth=1
	s_or_b64 exec, exec, s[28:29]
.LBB272_315:                            ;   in Loop: Header=BB272_9 Depth=1
	s_or_b64 exec, exec, s[26:27]
	v_mov_b32_e32 v0, 0
	v_cmp_lt_u32_e32 vcc, s44, v8
	buffer_store_dword v0, off, s[0:3], s32 offset:276 ; 4-byte Folded Spill
	v_mov_b32_e32 v0, 0
	buffer_store_dword v0, off, s[0:3], s32 offset:272 ; 4-byte Folded Spill
	s_and_saveexec_b64 s[26:27], vcc
	s_cbranch_execz .LBB272_321
; %bb.316:                              ;   in Loop: Header=BB272_9 Depth=1
	v_lshrrev_b32_e32 v4, 24, v8
	v_cmp_ne_u32_e32 vcc, s21, v4
	v_bfrev_b32_e32 v0, 1
	buffer_store_dword v0, off, s[0:3], s32 offset:272 ; 4-byte Folded Spill
	s_and_saveexec_b64 s[28:29], vcc
	s_cbranch_execz .LBB272_320
; %bb.317:                              ;   in Loop: Header=BB272_9 Depth=1
	v_and_b32_e32 v0, 0x7f, v4
	v_cmp_ne_u32_e32 vcc, s42, v0
	v_mov_b32_e32 v1, 0x7c010000
	buffer_store_dword v1, off, s[0:3], s32 offset:272 ; 4-byte Folded Spill
	s_and_saveexec_b64 s[40:41], vcc
	s_cbranch_execz .LBB272_319
; %bb.318:                              ;   in Loop: Header=BB272_9 Depth=1
	v_and_b32_e32 v2, 7, v4
	v_lshrrev_b32_e32 v3, 3, v0
	v_cmp_gt_u32_e32 vcc, 8, v0
	v_ffbh_u32_e32 v0, v2
	v_min_u32_e32 v6, 32, v0
	v_subrev_u32_e32 v0, 28, v6
	v_lshlrev_b64 v[0:1], v0, v[4:5]
	v_sub_u32_e32 v1, 29, v6
	v_cndmask_b32_e32 v1, v3, v1, vcc
	v_lshlrev_b32_e32 v3, 8, v4
	v_mov_b32_e32 v4, 0x2000
	v_lshl_add_u32 v1, v1, 10, v4
	v_and_b32_e32 v0, 7, v0
	v_and_or_b32 v1, v3, s43, v1
	v_cndmask_b32_e32 v0, v2, v0, vcc
	v_lshlrev_b32_e32 v1, 16, v1
	v_lshl_or_b32 v0, v0, 23, v1
	buffer_store_dword v0, off, s[0:3], s32 offset:272 ; 4-byte Folded Spill
.LBB272_319:                            ;   in Loop: Header=BB272_9 Depth=1
	s_or_b64 exec, exec, s[40:41]
.LBB272_320:                            ;   in Loop: Header=BB272_9 Depth=1
	s_or_b64 exec, exec, s[28:29]
.LBB272_321:                            ;   in Loop: Header=BB272_9 Depth=1
	s_or_b64 exec, exec, s[26:27]
	flat_load_dword v8, v[24:25] offset:3080
	s_waitcnt vmcnt(0) lgkmcnt(0)
	v_cmp_ne_u16_sdwa s[28:29], v8, v5 src0_sel:BYTE_0 src1_sel:DWORD
	s_and_saveexec_b64 s[26:27], s[28:29]
	s_cbranch_execz .LBB272_327
; %bb.322:                              ;   in Loop: Header=BB272_9 Depth=1
	v_cmp_ne_u16_sdwa s[40:41], v8, s21 src0_sel:BYTE_0 src1_sel:DWORD
	v_mov_b32_e32 v0, 0x8000
	buffer_store_dword v0, off, s[0:3], s32 offset:276 ; 4-byte Folded Spill
	s_and_saveexec_b64 s[28:29], s[40:41]
	s_cbranch_execz .LBB272_326
; %bb.323:                              ;   in Loop: Header=BB272_9 Depth=1
	v_and_b32_e32 v0, 0x7f, v8
	v_cmp_ne_u32_e32 vcc, s42, v0
	v_mov_b32_e32 v1, 0x7c01
	buffer_store_dword v1, off, s[0:3], s32 offset:276 ; 4-byte Folded Spill
	s_and_saveexec_b64 s[40:41], vcc
	s_cbranch_execz .LBB272_325
; %bb.324:                              ;   in Loop: Header=BB272_9 Depth=1
	v_and_b32_e32 v2, 7, v8
	v_lshrrev_b32_e32 v3, 3, v0
	v_cmp_gt_u32_e32 vcc, 8, v0
	v_ffbh_u32_e32 v0, v2
	v_min_u32_e32 v4, 32, v0
	v_subrev_u32_e32 v0, 28, v4
	v_lshlrev_b64 v[0:1], v0, v[8:9]
	v_sub_u32_e32 v1, 29, v4
	v_cndmask_b32_e32 v1, v3, v1, vcc
	v_mov_b32_e32 v4, 0x2000
	v_lshl_add_u32 v1, v1, 10, v4
	v_lshlrev_b32_e32 v3, 8, v8
	v_and_b32_e32 v0, 7, v0
	v_and_b32_e32 v1, 0xfc00, v1
	v_cndmask_b32_e32 v0, v2, v0, vcc
	v_and_or_b32 v1, v3, s43, v1
	v_lshl_or_b32 v0, v0, 7, v1
	buffer_store_dword v0, off, s[0:3], s32 offset:276 ; 4-byte Folded Spill
.LBB272_325:                            ;   in Loop: Header=BB272_9 Depth=1
	s_or_b64 exec, exec, s[40:41]
.LBB272_326:                            ;   in Loop: Header=BB272_9 Depth=1
	s_or_b64 exec, exec, s[28:29]
.LBB272_327:                            ;   in Loop: Header=BB272_9 Depth=1
	s_or_b64 exec, exec, s[26:27]
	v_lshrrev_b16_e32 v4, 8, v8
	v_mov_b32_e32 v0, 0
	v_cmp_ne_u16_e32 vcc, 0, v4
	buffer_store_dword v0, off, s[0:3], s32 offset:280 ; 4-byte Folded Spill
	v_mov_b32_e32 v0, 0
	buffer_store_dword v0, off, s[0:3], s32 offset:284 ; 4-byte Folded Spill
	s_and_saveexec_b64 s[26:27], vcc
	s_cbranch_execz .LBB272_333
; %bb.328:                              ;   in Loop: Header=BB272_9 Depth=1
	v_cmp_ne_u16_e32 vcc, s21, v4
	v_bfrev_b32_e32 v0, 1
	buffer_store_dword v0, off, s[0:3], s32 offset:284 ; 4-byte Folded Spill
	s_and_saveexec_b64 s[28:29], vcc
	s_cbranch_execz .LBB272_332
; %bb.329:                              ;   in Loop: Header=BB272_9 Depth=1
	v_and_b32_e32 v0, 0x7f, v4
	v_cmp_ne_u32_e32 vcc, s42, v0
	v_mov_b32_e32 v1, 0x7c010000
	buffer_store_dword v1, off, s[0:3], s32 offset:284 ; 4-byte Folded Spill
	s_and_saveexec_b64 s[40:41], vcc
	s_cbranch_execz .LBB272_331
; %bb.330:                              ;   in Loop: Header=BB272_9 Depth=1
	v_and_b32_e32 v2, 7, v4
	v_lshrrev_b32_e32 v3, 3, v0
	v_cmp_gt_u32_e32 vcc, 8, v0
	v_ffbh_u32_e32 v0, v2
	v_min_u32_e32 v6, 32, v0
	v_subrev_u32_e32 v0, 28, v6
	v_lshlrev_b64 v[0:1], v0, v[4:5]
	v_sub_u32_e32 v1, 29, v6
	v_cndmask_b32_e32 v1, v3, v1, vcc
	v_lshlrev_b32_e32 v3, 8, v4
	v_mov_b32_e32 v4, 0x2000
	v_lshl_add_u32 v1, v1, 10, v4
	v_and_b32_e32 v0, 7, v0
	v_and_or_b32 v1, v3, s43, v1
	v_cndmask_b32_e32 v0, v2, v0, vcc
	v_lshlrev_b32_e32 v1, 16, v1
	v_lshl_or_b32 v0, v0, 23, v1
	buffer_store_dword v0, off, s[0:3], s32 offset:284 ; 4-byte Folded Spill
.LBB272_331:                            ;   in Loop: Header=BB272_9 Depth=1
	s_or_b64 exec, exec, s[40:41]
.LBB272_332:                            ;   in Loop: Header=BB272_9 Depth=1
	s_or_b64 exec, exec, s[28:29]
.LBB272_333:                            ;   in Loop: Header=BB272_9 Depth=1
	s_or_b64 exec, exec, s[26:27]
	v_lshrrev_b32_e32 v4, 16, v8
	v_cmp_ne_u16_sdwa s[28:29], v4, v5 src0_sel:BYTE_0 src1_sel:DWORD
	s_and_saveexec_b64 s[26:27], s[28:29]
	s_cbranch_execz .LBB272_339
; %bb.334:                              ;   in Loop: Header=BB272_9 Depth=1
	v_cmp_ne_u16_sdwa s[40:41], v4, s21 src0_sel:BYTE_0 src1_sel:DWORD
	v_mov_b32_e32 v0, 0x8000
	buffer_store_dword v0, off, s[0:3], s32 offset:280 ; 4-byte Folded Spill
	s_and_saveexec_b64 s[28:29], s[40:41]
	s_cbranch_execz .LBB272_338
; %bb.335:                              ;   in Loop: Header=BB272_9 Depth=1
	v_bfe_u32 v0, v8, 16, 7
	v_cmp_ne_u32_e32 vcc, s42, v0
	v_mov_b32_e32 v1, 0x7c01
	buffer_store_dword v1, off, s[0:3], s32 offset:280 ; 4-byte Folded Spill
	s_and_saveexec_b64 s[40:41], vcc
	s_cbranch_execz .LBB272_337
; %bb.336:                              ;   in Loop: Header=BB272_9 Depth=1
	v_and_b32_e32 v2, 7, v4
	v_lshrrev_b32_e32 v3, 3, v0
	v_cmp_gt_u32_e32 vcc, 8, v0
	v_ffbh_u32_e32 v0, v2
	v_min_u32_e32 v6, 32, v0
	v_subrev_u32_e32 v0, 28, v6
	v_lshlrev_b64 v[0:1], v0, v[4:5]
	v_sub_u32_e32 v1, 29, v6
	v_cndmask_b32_e32 v1, v3, v1, vcc
	v_lshlrev_b32_e32 v3, 8, v4
	v_mov_b32_e32 v4, 0x2000
	v_lshl_add_u32 v1, v1, 10, v4
	v_and_b32_e32 v0, 7, v0
	v_and_b32_e32 v1, 0xfc00, v1
	v_cndmask_b32_e32 v0, v2, v0, vcc
	v_and_or_b32 v1, v3, s43, v1
	v_lshl_or_b32 v0, v0, 7, v1
	buffer_store_dword v0, off, s[0:3], s32 offset:280 ; 4-byte Folded Spill
.LBB272_337:                            ;   in Loop: Header=BB272_9 Depth=1
	s_or_b64 exec, exec, s[40:41]
.LBB272_338:                            ;   in Loop: Header=BB272_9 Depth=1
	s_or_b64 exec, exec, s[28:29]
.LBB272_339:                            ;   in Loop: Header=BB272_9 Depth=1
	s_or_b64 exec, exec, s[26:27]
	v_mov_b32_e32 v0, 0
	v_cmp_lt_u32_e32 vcc, s44, v8
	buffer_store_dword v0, off, s[0:3], s32 offset:292 ; 4-byte Folded Spill
	v_mov_b32_e32 v0, 0
	buffer_store_dword v0, off, s[0:3], s32 offset:288 ; 4-byte Folded Spill
	s_and_saveexec_b64 s[26:27], vcc
	s_cbranch_execz .LBB272_345
; %bb.340:                              ;   in Loop: Header=BB272_9 Depth=1
	v_lshrrev_b32_e32 v4, 24, v8
	v_cmp_ne_u32_e32 vcc, s21, v4
	v_bfrev_b32_e32 v0, 1
	buffer_store_dword v0, off, s[0:3], s32 offset:288 ; 4-byte Folded Spill
	s_and_saveexec_b64 s[28:29], vcc
	s_cbranch_execz .LBB272_344
; %bb.341:                              ;   in Loop: Header=BB272_9 Depth=1
	v_and_b32_e32 v0, 0x7f, v4
	v_cmp_ne_u32_e32 vcc, s42, v0
	v_mov_b32_e32 v1, 0x7c010000
	buffer_store_dword v1, off, s[0:3], s32 offset:288 ; 4-byte Folded Spill
	s_and_saveexec_b64 s[40:41], vcc
	s_cbranch_execz .LBB272_343
; %bb.342:                              ;   in Loop: Header=BB272_9 Depth=1
	v_and_b32_e32 v2, 7, v4
	v_lshrrev_b32_e32 v3, 3, v0
	v_cmp_gt_u32_e32 vcc, 8, v0
	v_ffbh_u32_e32 v0, v2
	v_min_u32_e32 v6, 32, v0
	v_subrev_u32_e32 v0, 28, v6
	v_lshlrev_b64 v[0:1], v0, v[4:5]
	v_sub_u32_e32 v1, 29, v6
	v_cndmask_b32_e32 v1, v3, v1, vcc
	v_lshlrev_b32_e32 v3, 8, v4
	v_mov_b32_e32 v4, 0x2000
	v_lshl_add_u32 v1, v1, 10, v4
	v_and_b32_e32 v0, 7, v0
	v_and_or_b32 v1, v3, s43, v1
	v_cndmask_b32_e32 v0, v2, v0, vcc
	v_lshlrev_b32_e32 v1, 16, v1
	v_lshl_or_b32 v0, v0, 23, v1
	buffer_store_dword v0, off, s[0:3], s32 offset:288 ; 4-byte Folded Spill
.LBB272_343:                            ;   in Loop: Header=BB272_9 Depth=1
	s_or_b64 exec, exec, s[40:41]
.LBB272_344:                            ;   in Loop: Header=BB272_9 Depth=1
	s_or_b64 exec, exec, s[28:29]
.LBB272_345:                            ;   in Loop: Header=BB272_9 Depth=1
	s_or_b64 exec, exec, s[26:27]
	flat_load_dword v8, v[24:25] offset:3584
	s_waitcnt vmcnt(0) lgkmcnt(0)
	v_cmp_ne_u16_sdwa s[28:29], v8, v5 src0_sel:BYTE_0 src1_sel:DWORD
	s_and_saveexec_b64 s[26:27], s[28:29]
	s_cbranch_execz .LBB272_351
; %bb.346:                              ;   in Loop: Header=BB272_9 Depth=1
	v_cmp_ne_u16_sdwa s[40:41], v8, s21 src0_sel:BYTE_0 src1_sel:DWORD
	v_mov_b32_e32 v0, 0x8000
	buffer_store_dword v0, off, s[0:3], s32 offset:292 ; 4-byte Folded Spill
	s_and_saveexec_b64 s[28:29], s[40:41]
	s_cbranch_execz .LBB272_350
; %bb.347:                              ;   in Loop: Header=BB272_9 Depth=1
	v_and_b32_e32 v0, 0x7f, v8
	v_cmp_ne_u32_e32 vcc, s42, v0
	v_mov_b32_e32 v1, 0x7c01
	buffer_store_dword v1, off, s[0:3], s32 offset:292 ; 4-byte Folded Spill
	s_and_saveexec_b64 s[40:41], vcc
	s_cbranch_execz .LBB272_349
; %bb.348:                              ;   in Loop: Header=BB272_9 Depth=1
	v_and_b32_e32 v2, 7, v8
	v_lshrrev_b32_e32 v3, 3, v0
	v_cmp_gt_u32_e32 vcc, 8, v0
	v_ffbh_u32_e32 v0, v2
	v_min_u32_e32 v4, 32, v0
	v_subrev_u32_e32 v0, 28, v4
	v_lshlrev_b64 v[0:1], v0, v[8:9]
	v_sub_u32_e32 v1, 29, v4
	v_cndmask_b32_e32 v1, v3, v1, vcc
	v_mov_b32_e32 v4, 0x2000
	v_lshl_add_u32 v1, v1, 10, v4
	v_lshlrev_b32_e32 v3, 8, v8
	v_and_b32_e32 v0, 7, v0
	v_and_b32_e32 v1, 0xfc00, v1
	v_cndmask_b32_e32 v0, v2, v0, vcc
	v_and_or_b32 v1, v3, s43, v1
	v_lshl_or_b32 v0, v0, 7, v1
	buffer_store_dword v0, off, s[0:3], s32 offset:292 ; 4-byte Folded Spill
.LBB272_349:                            ;   in Loop: Header=BB272_9 Depth=1
	s_or_b64 exec, exec, s[40:41]
.LBB272_350:                            ;   in Loop: Header=BB272_9 Depth=1
	s_or_b64 exec, exec, s[28:29]
.LBB272_351:                            ;   in Loop: Header=BB272_9 Depth=1
	s_or_b64 exec, exec, s[26:27]
	v_lshrrev_b16_e32 v4, 8, v8
	v_mov_b32_e32 v0, 0
	v_cmp_ne_u16_e32 vcc, 0, v4
	buffer_store_dword v0, off, s[0:3], s32 offset:296 ; 4-byte Folded Spill
	v_mov_b32_e32 v0, 0
	buffer_store_dword v0, off, s[0:3], s32 offset:300 ; 4-byte Folded Spill
	s_and_saveexec_b64 s[26:27], vcc
	s_cbranch_execz .LBB272_357
; %bb.352:                              ;   in Loop: Header=BB272_9 Depth=1
	v_cmp_ne_u16_e32 vcc, s21, v4
	v_bfrev_b32_e32 v0, 1
	buffer_store_dword v0, off, s[0:3], s32 offset:300 ; 4-byte Folded Spill
	s_and_saveexec_b64 s[28:29], vcc
	s_cbranch_execz .LBB272_356
; %bb.353:                              ;   in Loop: Header=BB272_9 Depth=1
	v_and_b32_e32 v0, 0x7f, v4
	v_cmp_ne_u32_e32 vcc, s42, v0
	v_mov_b32_e32 v1, 0x7c010000
	buffer_store_dword v1, off, s[0:3], s32 offset:300 ; 4-byte Folded Spill
	s_and_saveexec_b64 s[40:41], vcc
	s_cbranch_execz .LBB272_355
; %bb.354:                              ;   in Loop: Header=BB272_9 Depth=1
	v_and_b32_e32 v2, 7, v4
	v_lshrrev_b32_e32 v3, 3, v0
	v_cmp_gt_u32_e32 vcc, 8, v0
	v_ffbh_u32_e32 v0, v2
	v_min_u32_e32 v6, 32, v0
	v_subrev_u32_e32 v0, 28, v6
	v_lshlrev_b64 v[0:1], v0, v[4:5]
	v_sub_u32_e32 v1, 29, v6
	v_cndmask_b32_e32 v1, v3, v1, vcc
	v_lshlrev_b32_e32 v3, 8, v4
	v_mov_b32_e32 v4, 0x2000
	v_lshl_add_u32 v1, v1, 10, v4
	v_and_b32_e32 v0, 7, v0
	v_and_or_b32 v1, v3, s43, v1
	v_cndmask_b32_e32 v0, v2, v0, vcc
	v_lshlrev_b32_e32 v1, 16, v1
	v_lshl_or_b32 v0, v0, 23, v1
	buffer_store_dword v0, off, s[0:3], s32 offset:300 ; 4-byte Folded Spill
.LBB272_355:                            ;   in Loop: Header=BB272_9 Depth=1
	s_or_b64 exec, exec, s[40:41]
.LBB272_356:                            ;   in Loop: Header=BB272_9 Depth=1
	s_or_b64 exec, exec, s[28:29]
.LBB272_357:                            ;   in Loop: Header=BB272_9 Depth=1
	s_or_b64 exec, exec, s[26:27]
	v_lshrrev_b32_e32 v4, 16, v8
	v_cmp_ne_u16_sdwa s[28:29], v4, v5 src0_sel:BYTE_0 src1_sel:DWORD
	s_and_saveexec_b64 s[26:27], s[28:29]
	s_cbranch_execz .LBB272_363
; %bb.358:                              ;   in Loop: Header=BB272_9 Depth=1
	v_cmp_ne_u16_sdwa s[40:41], v4, s21 src0_sel:BYTE_0 src1_sel:DWORD
	v_mov_b32_e32 v0, 0x8000
	buffer_store_dword v0, off, s[0:3], s32 offset:296 ; 4-byte Folded Spill
	s_and_saveexec_b64 s[28:29], s[40:41]
	s_cbranch_execz .LBB272_362
; %bb.359:                              ;   in Loop: Header=BB272_9 Depth=1
	v_bfe_u32 v0, v8, 16, 7
	v_cmp_ne_u32_e32 vcc, s42, v0
	v_mov_b32_e32 v1, 0x7c01
	buffer_store_dword v1, off, s[0:3], s32 offset:296 ; 4-byte Folded Spill
	s_and_saveexec_b64 s[40:41], vcc
	s_cbranch_execz .LBB272_361
; %bb.360:                              ;   in Loop: Header=BB272_9 Depth=1
	v_and_b32_e32 v2, 7, v4
	v_lshrrev_b32_e32 v3, 3, v0
	v_cmp_gt_u32_e32 vcc, 8, v0
	v_ffbh_u32_e32 v0, v2
	v_min_u32_e32 v6, 32, v0
	v_subrev_u32_e32 v0, 28, v6
	v_lshlrev_b64 v[0:1], v0, v[4:5]
	v_sub_u32_e32 v1, 29, v6
	v_cndmask_b32_e32 v1, v3, v1, vcc
	v_lshlrev_b32_e32 v3, 8, v4
	v_mov_b32_e32 v4, 0x2000
	v_lshl_add_u32 v1, v1, 10, v4
	v_and_b32_e32 v0, 7, v0
	v_and_b32_e32 v1, 0xfc00, v1
	v_cndmask_b32_e32 v0, v2, v0, vcc
	v_and_or_b32 v1, v3, s43, v1
	v_lshl_or_b32 v0, v0, 7, v1
	buffer_store_dword v0, off, s[0:3], s32 offset:296 ; 4-byte Folded Spill
.LBB272_361:                            ;   in Loop: Header=BB272_9 Depth=1
	s_or_b64 exec, exec, s[40:41]
.LBB272_362:                            ;   in Loop: Header=BB272_9 Depth=1
	s_or_b64 exec, exec, s[28:29]
.LBB272_363:                            ;   in Loop: Header=BB272_9 Depth=1
	s_or_b64 exec, exec, s[26:27]
	v_mov_b32_e32 v0, 0
	v_cmp_lt_u32_e32 vcc, s44, v8
	buffer_store_dword v0, off, s[0:3], s32 offset:308 ; 4-byte Folded Spill
	v_mov_b32_e32 v0, 0
	buffer_store_dword v0, off, s[0:3], s32 offset:304 ; 4-byte Folded Spill
	s_and_saveexec_b64 s[26:27], vcc
	s_cbranch_execz .LBB272_369
; %bb.364:                              ;   in Loop: Header=BB272_9 Depth=1
	v_lshrrev_b32_e32 v4, 24, v8
	v_cmp_ne_u32_e32 vcc, s21, v4
	v_bfrev_b32_e32 v0, 1
	buffer_store_dword v0, off, s[0:3], s32 offset:304 ; 4-byte Folded Spill
	s_and_saveexec_b64 s[28:29], vcc
	s_cbranch_execz .LBB272_368
; %bb.365:                              ;   in Loop: Header=BB272_9 Depth=1
	v_and_b32_e32 v0, 0x7f, v4
	v_cmp_ne_u32_e32 vcc, s42, v0
	v_mov_b32_e32 v1, 0x7c010000
	buffer_store_dword v1, off, s[0:3], s32 offset:304 ; 4-byte Folded Spill
	s_and_saveexec_b64 s[40:41], vcc
	s_cbranch_execz .LBB272_367
; %bb.366:                              ;   in Loop: Header=BB272_9 Depth=1
	v_and_b32_e32 v2, 7, v4
	v_lshrrev_b32_e32 v3, 3, v0
	v_cmp_gt_u32_e32 vcc, 8, v0
	v_ffbh_u32_e32 v0, v2
	v_min_u32_e32 v6, 32, v0
	v_subrev_u32_e32 v0, 28, v6
	v_lshlrev_b64 v[0:1], v0, v[4:5]
	v_sub_u32_e32 v1, 29, v6
	v_cndmask_b32_e32 v1, v3, v1, vcc
	v_lshlrev_b32_e32 v3, 8, v4
	v_mov_b32_e32 v4, 0x2000
	v_lshl_add_u32 v1, v1, 10, v4
	v_and_b32_e32 v0, 7, v0
	v_and_or_b32 v1, v3, s43, v1
	v_cndmask_b32_e32 v0, v2, v0, vcc
	v_lshlrev_b32_e32 v1, 16, v1
	v_lshl_or_b32 v0, v0, 23, v1
	buffer_store_dword v0, off, s[0:3], s32 offset:304 ; 4-byte Folded Spill
.LBB272_367:                            ;   in Loop: Header=BB272_9 Depth=1
	s_or_b64 exec, exec, s[40:41]
.LBB272_368:                            ;   in Loop: Header=BB272_9 Depth=1
	s_or_b64 exec, exec, s[28:29]
.LBB272_369:                            ;   in Loop: Header=BB272_9 Depth=1
	s_or_b64 exec, exec, s[26:27]
	flat_load_dword v8, v[24:25] offset:3592
	s_waitcnt vmcnt(0) lgkmcnt(0)
	v_cmp_ne_u16_sdwa s[28:29], v8, v5 src0_sel:BYTE_0 src1_sel:DWORD
	s_and_saveexec_b64 s[26:27], s[28:29]
	s_cbranch_execz .LBB272_375
; %bb.370:                              ;   in Loop: Header=BB272_9 Depth=1
	v_cmp_ne_u16_sdwa s[40:41], v8, s21 src0_sel:BYTE_0 src1_sel:DWORD
	v_mov_b32_e32 v0, 0x8000
	buffer_store_dword v0, off, s[0:3], s32 offset:308 ; 4-byte Folded Spill
	s_and_saveexec_b64 s[28:29], s[40:41]
	s_cbranch_execz .LBB272_374
; %bb.371:                              ;   in Loop: Header=BB272_9 Depth=1
	v_and_b32_e32 v0, 0x7f, v8
	v_cmp_ne_u32_e32 vcc, s42, v0
	v_mov_b32_e32 v1, 0x7c01
	buffer_store_dword v1, off, s[0:3], s32 offset:308 ; 4-byte Folded Spill
	s_and_saveexec_b64 s[40:41], vcc
	s_cbranch_execz .LBB272_373
; %bb.372:                              ;   in Loop: Header=BB272_9 Depth=1
	v_and_b32_e32 v2, 7, v8
	v_lshrrev_b32_e32 v3, 3, v0
	v_cmp_gt_u32_e32 vcc, 8, v0
	v_ffbh_u32_e32 v0, v2
	v_min_u32_e32 v4, 32, v0
	v_subrev_u32_e32 v0, 28, v4
	v_lshlrev_b64 v[0:1], v0, v[8:9]
	v_sub_u32_e32 v1, 29, v4
	v_cndmask_b32_e32 v1, v3, v1, vcc
	v_mov_b32_e32 v4, 0x2000
	v_lshl_add_u32 v1, v1, 10, v4
	v_lshlrev_b32_e32 v3, 8, v8
	v_and_b32_e32 v0, 7, v0
	v_and_b32_e32 v1, 0xfc00, v1
	v_cndmask_b32_e32 v0, v2, v0, vcc
	v_and_or_b32 v1, v3, s43, v1
	v_lshl_or_b32 v0, v0, 7, v1
	buffer_store_dword v0, off, s[0:3], s32 offset:308 ; 4-byte Folded Spill
.LBB272_373:                            ;   in Loop: Header=BB272_9 Depth=1
	s_or_b64 exec, exec, s[40:41]
.LBB272_374:                            ;   in Loop: Header=BB272_9 Depth=1
	s_or_b64 exec, exec, s[28:29]
.LBB272_375:                            ;   in Loop: Header=BB272_9 Depth=1
	s_or_b64 exec, exec, s[26:27]
	v_lshrrev_b16_e32 v4, 8, v8
	v_mov_b32_e32 v0, 0
	v_cmp_ne_u16_e32 vcc, 0, v4
	buffer_store_dword v0, off, s[0:3], s32 offset:312 ; 4-byte Folded Spill
	v_mov_b32_e32 v0, 0
	buffer_store_dword v0, off, s[0:3], s32 offset:316 ; 4-byte Folded Spill
	s_and_saveexec_b64 s[26:27], vcc
	s_cbranch_execz .LBB272_381
; %bb.376:                              ;   in Loop: Header=BB272_9 Depth=1
	v_cmp_ne_u16_e32 vcc, s21, v4
	v_bfrev_b32_e32 v0, 1
	buffer_store_dword v0, off, s[0:3], s32 offset:316 ; 4-byte Folded Spill
	s_and_saveexec_b64 s[28:29], vcc
	s_cbranch_execz .LBB272_380
; %bb.377:                              ;   in Loop: Header=BB272_9 Depth=1
	v_and_b32_e32 v0, 0x7f, v4
	v_cmp_ne_u32_e32 vcc, s42, v0
	v_mov_b32_e32 v1, 0x7c010000
	buffer_store_dword v1, off, s[0:3], s32 offset:316 ; 4-byte Folded Spill
	s_and_saveexec_b64 s[40:41], vcc
	s_cbranch_execz .LBB272_379
; %bb.378:                              ;   in Loop: Header=BB272_9 Depth=1
	v_and_b32_e32 v2, 7, v4
	v_lshrrev_b32_e32 v3, 3, v0
	v_cmp_gt_u32_e32 vcc, 8, v0
	v_ffbh_u32_e32 v0, v2
	v_min_u32_e32 v6, 32, v0
	v_subrev_u32_e32 v0, 28, v6
	v_lshlrev_b64 v[0:1], v0, v[4:5]
	v_sub_u32_e32 v1, 29, v6
	v_cndmask_b32_e32 v1, v3, v1, vcc
	v_lshlrev_b32_e32 v3, 8, v4
	v_mov_b32_e32 v4, 0x2000
	v_lshl_add_u32 v1, v1, 10, v4
	v_and_b32_e32 v0, 7, v0
	v_and_or_b32 v1, v3, s43, v1
	v_cndmask_b32_e32 v0, v2, v0, vcc
	v_lshlrev_b32_e32 v1, 16, v1
	v_lshl_or_b32 v0, v0, 23, v1
	buffer_store_dword v0, off, s[0:3], s32 offset:316 ; 4-byte Folded Spill
.LBB272_379:                            ;   in Loop: Header=BB272_9 Depth=1
	s_or_b64 exec, exec, s[40:41]
.LBB272_380:                            ;   in Loop: Header=BB272_9 Depth=1
	s_or_b64 exec, exec, s[28:29]
.LBB272_381:                            ;   in Loop: Header=BB272_9 Depth=1
	s_or_b64 exec, exec, s[26:27]
	v_lshrrev_b32_e32 v4, 16, v8
	v_cmp_ne_u16_sdwa s[28:29], v4, v5 src0_sel:BYTE_0 src1_sel:DWORD
	s_and_saveexec_b64 s[26:27], s[28:29]
	s_cbranch_execz .LBB272_387
; %bb.382:                              ;   in Loop: Header=BB272_9 Depth=1
	v_cmp_ne_u16_sdwa s[40:41], v4, s21 src0_sel:BYTE_0 src1_sel:DWORD
	v_mov_b32_e32 v0, 0x8000
	buffer_store_dword v0, off, s[0:3], s32 offset:312 ; 4-byte Folded Spill
	s_and_saveexec_b64 s[28:29], s[40:41]
	s_cbranch_execz .LBB272_386
; %bb.383:                              ;   in Loop: Header=BB272_9 Depth=1
	v_bfe_u32 v0, v8, 16, 7
	v_cmp_ne_u32_e32 vcc, s42, v0
	v_mov_b32_e32 v1, 0x7c01
	buffer_store_dword v1, off, s[0:3], s32 offset:312 ; 4-byte Folded Spill
	s_and_saveexec_b64 s[40:41], vcc
	s_cbranch_execz .LBB272_385
; %bb.384:                              ;   in Loop: Header=BB272_9 Depth=1
	v_and_b32_e32 v2, 7, v4
	v_lshrrev_b32_e32 v3, 3, v0
	v_cmp_gt_u32_e32 vcc, 8, v0
	v_ffbh_u32_e32 v0, v2
	v_min_u32_e32 v6, 32, v0
	v_subrev_u32_e32 v0, 28, v6
	v_lshlrev_b64 v[0:1], v0, v[4:5]
	v_sub_u32_e32 v1, 29, v6
	v_cndmask_b32_e32 v1, v3, v1, vcc
	v_lshlrev_b32_e32 v3, 8, v4
	v_mov_b32_e32 v4, 0x2000
	v_lshl_add_u32 v1, v1, 10, v4
	v_and_b32_e32 v0, 7, v0
	v_and_b32_e32 v1, 0xfc00, v1
	v_cndmask_b32_e32 v0, v2, v0, vcc
	v_and_or_b32 v1, v3, s43, v1
	v_lshl_or_b32 v0, v0, 7, v1
	buffer_store_dword v0, off, s[0:3], s32 offset:312 ; 4-byte Folded Spill
.LBB272_385:                            ;   in Loop: Header=BB272_9 Depth=1
	s_or_b64 exec, exec, s[40:41]
.LBB272_386:                            ;   in Loop: Header=BB272_9 Depth=1
	s_or_b64 exec, exec, s[28:29]
.LBB272_387:                            ;   in Loop: Header=BB272_9 Depth=1
	s_or_b64 exec, exec, s[26:27]
	v_mov_b32_e32 v0, 0
	v_cmp_lt_u32_e32 vcc, s44, v8
	buffer_store_dword v0, off, s[0:3], s32 offset:324 ; 4-byte Folded Spill
	v_mov_b32_e32 v0, 0
	buffer_store_dword v0, off, s[0:3], s32 offset:320 ; 4-byte Folded Spill
	s_and_saveexec_b64 s[26:27], vcc
	s_cbranch_execz .LBB272_393
; %bb.388:                              ;   in Loop: Header=BB272_9 Depth=1
	v_lshrrev_b32_e32 v4, 24, v8
	v_cmp_ne_u32_e32 vcc, s21, v4
	v_bfrev_b32_e32 v0, 1
	buffer_store_dword v0, off, s[0:3], s32 offset:320 ; 4-byte Folded Spill
	s_and_saveexec_b64 s[28:29], vcc
	s_cbranch_execz .LBB272_392
; %bb.389:                              ;   in Loop: Header=BB272_9 Depth=1
	v_and_b32_e32 v0, 0x7f, v4
	v_cmp_ne_u32_e32 vcc, s42, v0
	v_mov_b32_e32 v1, 0x7c010000
	buffer_store_dword v1, off, s[0:3], s32 offset:320 ; 4-byte Folded Spill
	s_and_saveexec_b64 s[40:41], vcc
	s_cbranch_execz .LBB272_391
; %bb.390:                              ;   in Loop: Header=BB272_9 Depth=1
	v_and_b32_e32 v2, 7, v4
	v_lshrrev_b32_e32 v3, 3, v0
	v_cmp_gt_u32_e32 vcc, 8, v0
	v_ffbh_u32_e32 v0, v2
	v_min_u32_e32 v6, 32, v0
	v_subrev_u32_e32 v0, 28, v6
	v_lshlrev_b64 v[0:1], v0, v[4:5]
	v_sub_u32_e32 v1, 29, v6
	v_cndmask_b32_e32 v1, v3, v1, vcc
	v_lshlrev_b32_e32 v3, 8, v4
	v_mov_b32_e32 v4, 0x2000
	v_lshl_add_u32 v1, v1, 10, v4
	v_and_b32_e32 v0, 7, v0
	v_and_or_b32 v1, v3, s43, v1
	v_cndmask_b32_e32 v0, v2, v0, vcc
	v_lshlrev_b32_e32 v1, 16, v1
	v_lshl_or_b32 v0, v0, 23, v1
	buffer_store_dword v0, off, s[0:3], s32 offset:320 ; 4-byte Folded Spill
.LBB272_391:                            ;   in Loop: Header=BB272_9 Depth=1
	s_or_b64 exec, exec, s[40:41]
.LBB272_392:                            ;   in Loop: Header=BB272_9 Depth=1
	s_or_b64 exec, exec, s[28:29]
.LBB272_393:                            ;   in Loop: Header=BB272_9 Depth=1
	s_or_b64 exec, exec, s[26:27]
	buffer_load_dword v2, off, s[0:3], s32 offset:72 ; 4-byte Folded Reload
	v_add_co_u32_e32 v0, vcc, 0x1000, v16
	v_addc_co_u32_e32 v1, vcc, 0, v17, vcc
	s_waitcnt vmcnt(0)
	v_add_co_u32_e32 v2, vcc, v0, v2
	v_addc_co_u32_e32 v3, vcc, 0, v1, vcc
	flat_load_dword v8, v[2:3]
	s_waitcnt vmcnt(0) lgkmcnt(0)
	v_cmp_ne_u16_sdwa s[28:29], v8, v5 src0_sel:BYTE_0 src1_sel:DWORD
	s_and_saveexec_b64 s[26:27], s[28:29]
	s_cbranch_execz .LBB272_399
; %bb.394:                              ;   in Loop: Header=BB272_9 Depth=1
	v_cmp_ne_u16_sdwa s[40:41], v8, s21 src0_sel:BYTE_0 src1_sel:DWORD
	v_mov_b32_e32 v2, 0x8000
	buffer_store_dword v2, off, s[0:3], s32 offset:324 ; 4-byte Folded Spill
	s_and_saveexec_b64 s[28:29], s[40:41]
	s_cbranch_execz .LBB272_398
; %bb.395:                              ;   in Loop: Header=BB272_9 Depth=1
	v_and_b32_e32 v2, 0x7f, v8
	v_cmp_ne_u32_e32 vcc, s42, v2
	v_mov_b32_e32 v3, 0x7c01
	buffer_store_dword v3, off, s[0:3], s32 offset:324 ; 4-byte Folded Spill
	s_and_saveexec_b64 s[40:41], vcc
	s_cbranch_execz .LBB272_397
; %bb.396:                              ;   in Loop: Header=BB272_9 Depth=1
	v_and_b32_e32 v4, 7, v8
	v_lshrrev_b32_e32 v6, 3, v2
	v_cmp_gt_u32_e32 vcc, 8, v2
	v_ffbh_u32_e32 v2, v4
	v_min_u32_e32 v7, 32, v2
	v_subrev_u32_e32 v2, 28, v7
	v_lshlrev_b64 v[2:3], v2, v[8:9]
	v_sub_u32_e32 v3, 29, v7
	v_cndmask_b32_e32 v3, v6, v3, vcc
	v_mov_b32_e32 v7, 0x2000
	v_lshl_add_u32 v3, v3, 10, v7
	v_lshlrev_b32_e32 v6, 8, v8
	v_and_b32_e32 v2, 7, v2
	v_and_b32_e32 v3, 0xfc00, v3
	v_cndmask_b32_e32 v2, v4, v2, vcc
	v_and_or_b32 v3, v6, s43, v3
	v_lshl_or_b32 v2, v2, 7, v3
	buffer_store_dword v2, off, s[0:3], s32 offset:324 ; 4-byte Folded Spill
.LBB272_397:                            ;   in Loop: Header=BB272_9 Depth=1
	s_or_b64 exec, exec, s[40:41]
.LBB272_398:                            ;   in Loop: Header=BB272_9 Depth=1
	s_or_b64 exec, exec, s[28:29]
.LBB272_399:                            ;   in Loop: Header=BB272_9 Depth=1
	s_or_b64 exec, exec, s[26:27]
	v_lshrrev_b16_e32 v4, 8, v8
	v_mov_b32_e32 v2, 0
	v_cmp_ne_u16_e32 vcc, 0, v4
	buffer_store_dword v2, off, s[0:3], s32 offset:328 ; 4-byte Folded Spill
	v_mov_b32_e32 v2, 0
	buffer_store_dword v2, off, s[0:3], s32 offset:332 ; 4-byte Folded Spill
	s_and_saveexec_b64 s[26:27], vcc
	s_cbranch_execz .LBB272_405
; %bb.400:                              ;   in Loop: Header=BB272_9 Depth=1
	v_cmp_ne_u16_e32 vcc, s21, v4
	v_bfrev_b32_e32 v2, 1
	buffer_store_dword v2, off, s[0:3], s32 offset:332 ; 4-byte Folded Spill
	s_and_saveexec_b64 s[28:29], vcc
	s_cbranch_execz .LBB272_404
; %bb.401:                              ;   in Loop: Header=BB272_9 Depth=1
	v_and_b32_e32 v2, 0x7f, v4
	v_cmp_ne_u32_e32 vcc, s42, v2
	v_mov_b32_e32 v3, 0x7c010000
	buffer_store_dword v3, off, s[0:3], s32 offset:332 ; 4-byte Folded Spill
	s_and_saveexec_b64 s[40:41], vcc
	s_cbranch_execz .LBB272_403
; %bb.402:                              ;   in Loop: Header=BB272_9 Depth=1
	v_and_b32_e32 v6, 7, v4
	v_lshrrev_b32_e32 v7, 3, v2
	v_cmp_gt_u32_e32 vcc, 8, v2
	v_ffbh_u32_e32 v2, v6
	v_min_u32_e32 v9, 32, v2
	v_subrev_u32_e32 v2, 28, v9
	v_lshlrev_b64 v[2:3], v2, v[4:5]
	v_sub_u32_e32 v3, 29, v9
	v_cndmask_b32_e32 v3, v7, v3, vcc
	v_mov_b32_e32 v7, 0x2000
	v_lshlrev_b32_e32 v4, 8, v4
	v_lshl_add_u32 v3, v3, 10, v7
	v_and_b32_e32 v2, 7, v2
	v_and_or_b32 v3, v4, s43, v3
	v_cndmask_b32_e32 v2, v6, v2, vcc
	v_lshlrev_b32_e32 v3, 16, v3
	v_lshl_or_b32 v2, v2, 23, v3
	buffer_store_dword v2, off, s[0:3], s32 offset:332 ; 4-byte Folded Spill
.LBB272_403:                            ;   in Loop: Header=BB272_9 Depth=1
	s_or_b64 exec, exec, s[40:41]
.LBB272_404:                            ;   in Loop: Header=BB272_9 Depth=1
	s_or_b64 exec, exec, s[28:29]
.LBB272_405:                            ;   in Loop: Header=BB272_9 Depth=1
	s_or_b64 exec, exec, s[26:27]
	v_lshrrev_b32_e32 v4, 16, v8
	v_cmp_ne_u16_sdwa s[28:29], v4, v5 src0_sel:BYTE_0 src1_sel:DWORD
	s_and_saveexec_b64 s[26:27], s[28:29]
	s_cbranch_execz .LBB272_411
; %bb.406:                              ;   in Loop: Header=BB272_9 Depth=1
	v_cmp_ne_u16_sdwa s[40:41], v4, s21 src0_sel:BYTE_0 src1_sel:DWORD
	v_mov_b32_e32 v2, 0x8000
	buffer_store_dword v2, off, s[0:3], s32 offset:328 ; 4-byte Folded Spill
	s_and_saveexec_b64 s[28:29], s[40:41]
	s_cbranch_execz .LBB272_410
; %bb.407:                              ;   in Loop: Header=BB272_9 Depth=1
	v_bfe_u32 v2, v8, 16, 7
	v_cmp_ne_u32_e32 vcc, s42, v2
	v_mov_b32_e32 v3, 0x7c01
	buffer_store_dword v3, off, s[0:3], s32 offset:328 ; 4-byte Folded Spill
	s_and_saveexec_b64 s[40:41], vcc
	s_cbranch_execz .LBB272_409
; %bb.408:                              ;   in Loop: Header=BB272_9 Depth=1
	v_and_b32_e32 v6, 7, v4
	v_lshrrev_b32_e32 v7, 3, v2
	v_cmp_gt_u32_e32 vcc, 8, v2
	v_ffbh_u32_e32 v2, v6
	v_min_u32_e32 v9, 32, v2
	v_subrev_u32_e32 v2, 28, v9
	v_lshlrev_b64 v[2:3], v2, v[4:5]
	v_sub_u32_e32 v3, 29, v9
	v_cndmask_b32_e32 v3, v7, v3, vcc
	v_mov_b32_e32 v7, 0x2000
	v_lshl_add_u32 v3, v3, 10, v7
	v_lshlrev_b32_e32 v4, 8, v4
	v_and_b32_e32 v2, 7, v2
	v_and_b32_e32 v3, 0xfc00, v3
	v_cndmask_b32_e32 v2, v6, v2, vcc
	v_and_or_b32 v3, v4, s43, v3
	v_lshl_or_b32 v2, v2, 7, v3
	buffer_store_dword v2, off, s[0:3], s32 offset:328 ; 4-byte Folded Spill
.LBB272_409:                            ;   in Loop: Header=BB272_9 Depth=1
	s_or_b64 exec, exec, s[40:41]
.LBB272_410:                            ;   in Loop: Header=BB272_9 Depth=1
	s_or_b64 exec, exec, s[28:29]
.LBB272_411:                            ;   in Loop: Header=BB272_9 Depth=1
	s_or_b64 exec, exec, s[26:27]
	v_mov_b32_e32 v2, 0
	v_cmp_lt_u32_e32 vcc, s44, v8
	buffer_store_dword v2, off, s[0:3], s32 offset:340 ; 4-byte Folded Spill
	v_mov_b32_e32 v2, 0
	buffer_store_dword v2, off, s[0:3], s32 offset:336 ; 4-byte Folded Spill
	s_and_saveexec_b64 s[26:27], vcc
	s_cbranch_execz .LBB272_417
; %bb.412:                              ;   in Loop: Header=BB272_9 Depth=1
	v_lshrrev_b32_e32 v4, 24, v8
	v_cmp_ne_u32_e32 vcc, s21, v4
	v_bfrev_b32_e32 v2, 1
	buffer_store_dword v2, off, s[0:3], s32 offset:336 ; 4-byte Folded Spill
	s_and_saveexec_b64 s[28:29], vcc
	s_cbranch_execz .LBB272_416
; %bb.413:                              ;   in Loop: Header=BB272_9 Depth=1
	v_and_b32_e32 v2, 0x7f, v4
	v_cmp_ne_u32_e32 vcc, s42, v2
	v_mov_b32_e32 v3, 0x7c010000
	buffer_store_dword v3, off, s[0:3], s32 offset:336 ; 4-byte Folded Spill
	s_and_saveexec_b64 s[40:41], vcc
	s_cbranch_execz .LBB272_415
; %bb.414:                              ;   in Loop: Header=BB272_9 Depth=1
	v_and_b32_e32 v6, 7, v4
	v_lshrrev_b32_e32 v7, 3, v2
	v_cmp_gt_u32_e32 vcc, 8, v2
	v_ffbh_u32_e32 v2, v6
	v_min_u32_e32 v8, 32, v2
	v_subrev_u32_e32 v2, 28, v8
	v_lshlrev_b64 v[2:3], v2, v[4:5]
	v_sub_u32_e32 v3, 29, v8
	v_cndmask_b32_e32 v3, v7, v3, vcc
	v_mov_b32_e32 v7, 0x2000
	v_lshlrev_b32_e32 v4, 8, v4
	v_lshl_add_u32 v3, v3, 10, v7
	v_and_b32_e32 v2, 7, v2
	v_and_or_b32 v3, v4, s43, v3
	v_cndmask_b32_e32 v2, v6, v2, vcc
	v_lshlrev_b32_e32 v3, 16, v3
	v_lshl_or_b32 v2, v2, 23, v3
	buffer_store_dword v2, off, s[0:3], s32 offset:336 ; 4-byte Folded Spill
.LBB272_415:                            ;   in Loop: Header=BB272_9 Depth=1
	s_or_b64 exec, exec, s[40:41]
.LBB272_416:                            ;   in Loop: Header=BB272_9 Depth=1
	s_or_b64 exec, exec, s[28:29]
.LBB272_417:                            ;   in Loop: Header=BB272_9 Depth=1
	s_or_b64 exec, exec, s[26:27]
	buffer_load_dword v2, off, s[0:3], s32 offset:76 ; 4-byte Folded Reload
	s_waitcnt vmcnt(0)
	v_add_co_u32_e32 v0, vcc, v0, v2
	v_addc_co_u32_e32 v1, vcc, 0, v1, vcc
	flat_load_dword v8, v[0:1]
	s_waitcnt vmcnt(0) lgkmcnt(0)
	v_cmp_ne_u16_sdwa s[28:29], v8, v5 src0_sel:BYTE_0 src1_sel:DWORD
	s_and_saveexec_b64 s[26:27], s[28:29]
	s_cbranch_execz .LBB272_423
; %bb.418:                              ;   in Loop: Header=BB272_9 Depth=1
	v_cmp_ne_u16_sdwa s[40:41], v8, s21 src0_sel:BYTE_0 src1_sel:DWORD
	v_mov_b32_e32 v0, 0x8000
	buffer_store_dword v0, off, s[0:3], s32 offset:340 ; 4-byte Folded Spill
	s_and_saveexec_b64 s[28:29], s[40:41]
	s_cbranch_execz .LBB272_422
; %bb.419:                              ;   in Loop: Header=BB272_9 Depth=1
	v_and_b32_e32 v0, 0x7f, v8
	v_cmp_ne_u32_e32 vcc, s42, v0
	v_mov_b32_e32 v1, 0x7c01
	buffer_store_dword v1, off, s[0:3], s32 offset:340 ; 4-byte Folded Spill
	s_and_saveexec_b64 s[40:41], vcc
	s_cbranch_execz .LBB272_421
; %bb.420:                              ;   in Loop: Header=BB272_9 Depth=1
	v_and_b32_e32 v2, 7, v8
	v_lshrrev_b32_e32 v3, 3, v0
	v_cmp_gt_u32_e32 vcc, 8, v0
	v_ffbh_u32_e32 v0, v2
	v_min_u32_e32 v4, 32, v0
	v_subrev_u32_e32 v0, 28, v4
	v_lshlrev_b64 v[0:1], v0, v[8:9]
	v_sub_u32_e32 v1, 29, v4
	v_cndmask_b32_e32 v1, v3, v1, vcc
	v_mov_b32_e32 v4, 0x2000
	v_lshl_add_u32 v1, v1, 10, v4
	v_lshlrev_b32_e32 v3, 8, v8
	v_and_b32_e32 v0, 7, v0
	v_and_b32_e32 v1, 0xfc00, v1
	v_cndmask_b32_e32 v0, v2, v0, vcc
	v_and_or_b32 v1, v3, s43, v1
	v_lshl_or_b32 v0, v0, 7, v1
	buffer_store_dword v0, off, s[0:3], s32 offset:340 ; 4-byte Folded Spill
.LBB272_421:                            ;   in Loop: Header=BB272_9 Depth=1
	s_or_b64 exec, exec, s[40:41]
.LBB272_422:                            ;   in Loop: Header=BB272_9 Depth=1
	s_or_b64 exec, exec, s[28:29]
.LBB272_423:                            ;   in Loop: Header=BB272_9 Depth=1
	s_or_b64 exec, exec, s[26:27]
	v_lshrrev_b16_e32 v4, 8, v8
	v_mov_b32_e32 v0, 0
	v_cmp_ne_u16_e32 vcc, 0, v4
	buffer_store_dword v0, off, s[0:3], s32 offset:344 ; 4-byte Folded Spill
	v_mov_b32_e32 v0, 0
	buffer_store_dword v0, off, s[0:3], s32 offset:372 ; 4-byte Folded Spill
	s_and_saveexec_b64 s[26:27], vcc
	s_cbranch_execz .LBB272_429
; %bb.424:                              ;   in Loop: Header=BB272_9 Depth=1
	v_cmp_ne_u16_e32 vcc, s21, v4
	v_bfrev_b32_e32 v0, 1
	buffer_store_dword v0, off, s[0:3], s32 offset:372 ; 4-byte Folded Spill
	s_and_saveexec_b64 s[28:29], vcc
	s_cbranch_execz .LBB272_428
; %bb.425:                              ;   in Loop: Header=BB272_9 Depth=1
	v_and_b32_e32 v0, 0x7f, v4
	v_cmp_ne_u32_e32 vcc, s42, v0
	v_mov_b32_e32 v1, 0x7c010000
	buffer_store_dword v1, off, s[0:3], s32 offset:372 ; 4-byte Folded Spill
	s_and_saveexec_b64 s[40:41], vcc
	s_cbranch_execz .LBB272_427
; %bb.426:                              ;   in Loop: Header=BB272_9 Depth=1
	v_and_b32_e32 v2, 7, v4
	v_lshrrev_b32_e32 v3, 3, v0
	v_cmp_gt_u32_e32 vcc, 8, v0
	v_ffbh_u32_e32 v0, v2
	v_min_u32_e32 v6, 32, v0
	v_subrev_u32_e32 v0, 28, v6
	v_lshlrev_b64 v[0:1], v0, v[4:5]
	v_sub_u32_e32 v1, 29, v6
	v_cndmask_b32_e32 v1, v3, v1, vcc
	v_lshlrev_b32_e32 v3, 8, v4
	v_mov_b32_e32 v4, 0x2000
	v_lshl_add_u32 v1, v1, 10, v4
	v_and_b32_e32 v0, 7, v0
	v_and_or_b32 v1, v3, s43, v1
	v_cndmask_b32_e32 v0, v2, v0, vcc
	v_lshlrev_b32_e32 v1, 16, v1
	v_lshl_or_b32 v0, v0, 23, v1
	buffer_store_dword v0, off, s[0:3], s32 offset:372 ; 4-byte Folded Spill
.LBB272_427:                            ;   in Loop: Header=BB272_9 Depth=1
	s_or_b64 exec, exec, s[40:41]
.LBB272_428:                            ;   in Loop: Header=BB272_9 Depth=1
	s_or_b64 exec, exec, s[28:29]
.LBB272_429:                            ;   in Loop: Header=BB272_9 Depth=1
	s_or_b64 exec, exec, s[26:27]
	v_lshrrev_b32_e32 v4, 16, v8
	v_cmp_ne_u16_sdwa s[28:29], v4, v5 src0_sel:BYTE_0 src1_sel:DWORD
	s_and_saveexec_b64 s[26:27], s[28:29]
	s_cbranch_execz .LBB272_435
; %bb.430:                              ;   in Loop: Header=BB272_9 Depth=1
	v_cmp_ne_u16_sdwa s[40:41], v4, s21 src0_sel:BYTE_0 src1_sel:DWORD
	v_mov_b32_e32 v0, 0x8000
	buffer_store_dword v0, off, s[0:3], s32 offset:344 ; 4-byte Folded Spill
	s_and_saveexec_b64 s[28:29], s[40:41]
	s_cbranch_execz .LBB272_434
; %bb.431:                              ;   in Loop: Header=BB272_9 Depth=1
	v_bfe_u32 v0, v8, 16, 7
	v_cmp_ne_u32_e32 vcc, s42, v0
	v_mov_b32_e32 v1, 0x7c01
	buffer_store_dword v1, off, s[0:3], s32 offset:344 ; 4-byte Folded Spill
	s_and_saveexec_b64 s[40:41], vcc
	s_cbranch_execz .LBB272_433
; %bb.432:                              ;   in Loop: Header=BB272_9 Depth=1
	v_and_b32_e32 v2, 7, v4
	v_lshrrev_b32_e32 v3, 3, v0
	v_cmp_gt_u32_e32 vcc, 8, v0
	v_ffbh_u32_e32 v0, v2
	v_min_u32_e32 v6, 32, v0
	v_subrev_u32_e32 v0, 28, v6
	v_lshlrev_b64 v[0:1], v0, v[4:5]
	v_sub_u32_e32 v1, 29, v6
	v_cndmask_b32_e32 v1, v3, v1, vcc
	v_lshlrev_b32_e32 v3, 8, v4
	v_mov_b32_e32 v4, 0x2000
	v_lshl_add_u32 v1, v1, 10, v4
	v_and_b32_e32 v0, 7, v0
	v_and_b32_e32 v1, 0xfc00, v1
	v_cndmask_b32_e32 v0, v2, v0, vcc
	v_and_or_b32 v1, v3, s43, v1
	v_lshl_or_b32 v0, v0, 7, v1
	buffer_store_dword v0, off, s[0:3], s32 offset:344 ; 4-byte Folded Spill
.LBB272_433:                            ;   in Loop: Header=BB272_9 Depth=1
	s_or_b64 exec, exec, s[40:41]
.LBB272_434:                            ;   in Loop: Header=BB272_9 Depth=1
	s_or_b64 exec, exec, s[28:29]
.LBB272_435:                            ;   in Loop: Header=BB272_9 Depth=1
	s_or_b64 exec, exec, s[26:27]
	v_cmp_lt_u32_e32 vcc, s44, v8
	v_mov_b32_e32 v0, 0
	v_mov_b32_e32 v37, 0
	buffer_store_dword v0, off, s[0:3], s32 offset:348 ; 4-byte Folded Spill
	s_and_saveexec_b64 s[26:27], vcc
	s_cbranch_execz .LBB272_441
; %bb.436:                              ;   in Loop: Header=BB272_9 Depth=1
	v_lshrrev_b32_e32 v4, 24, v8
	v_cmp_ne_u32_e32 vcc, s21, v4
	v_bfrev_b32_e32 v37, 1
	s_and_saveexec_b64 s[28:29], vcc
	s_cbranch_execz .LBB272_440
; %bb.437:                              ;   in Loop: Header=BB272_9 Depth=1
	v_and_b32_e32 v0, 0x7f, v4
	v_cmp_ne_u32_e32 vcc, s42, v0
	v_mov_b32_e32 v37, 0x7c010000
	s_and_saveexec_b64 s[40:41], vcc
	s_cbranch_execz .LBB272_439
; %bb.438:                              ;   in Loop: Header=BB272_9 Depth=1
	v_and_b32_e32 v2, 7, v4
	v_lshrrev_b32_e32 v3, 3, v0
	v_cmp_gt_u32_e32 vcc, 8, v0
	v_ffbh_u32_e32 v0, v2
	v_min_u32_e32 v6, 32, v0
	v_subrev_u32_e32 v0, 28, v6
	v_lshlrev_b64 v[0:1], v0, v[4:5]
	v_sub_u32_e32 v1, 29, v6
	v_cndmask_b32_e32 v1, v3, v1, vcc
	v_lshlrev_b32_e32 v3, 8, v4
	v_mov_b32_e32 v4, 0x2000
	v_lshl_add_u32 v1, v1, 10, v4
	v_and_b32_e32 v0, 7, v0
	v_and_or_b32 v1, v3, s43, v1
	v_cndmask_b32_e32 v0, v2, v0, vcc
	v_lshlrev_b32_e32 v1, 16, v1
	v_lshl_or_b32 v37, v0, 23, v1
.LBB272_439:                            ;   in Loop: Header=BB272_9 Depth=1
	s_or_b64 exec, exec, s[40:41]
.LBB272_440:                            ;   in Loop: Header=BB272_9 Depth=1
	s_or_b64 exec, exec, s[28:29]
.LBB272_441:                            ;   in Loop: Header=BB272_9 Depth=1
	s_or_b64 exec, exec, s[26:27]
	buffer_load_dword v2, off, s[0:3], s32 offset:72 ; 4-byte Folded Reload
	v_add_co_u32_e32 v0, vcc, 0x1200, v16
	v_addc_co_u32_e32 v1, vcc, 0, v17, vcc
	s_waitcnt vmcnt(0)
	v_add_co_u32_e32 v2, vcc, v0, v2
	v_addc_co_u32_e32 v3, vcc, 0, v1, vcc
	flat_load_dword v8, v[2:3]
	s_waitcnt vmcnt(0) lgkmcnt(0)
	v_cmp_ne_u16_sdwa s[28:29], v8, v5 src0_sel:BYTE_0 src1_sel:DWORD
	s_and_saveexec_b64 s[26:27], s[28:29]
	s_cbranch_execz .LBB272_447
; %bb.442:                              ;   in Loop: Header=BB272_9 Depth=1
	v_cmp_ne_u16_sdwa s[40:41], v8, s21 src0_sel:BYTE_0 src1_sel:DWORD
	v_mov_b32_e32 v2, 0x8000
	buffer_store_dword v2, off, s[0:3], s32 offset:348 ; 4-byte Folded Spill
	s_and_saveexec_b64 s[28:29], s[40:41]
	s_cbranch_execz .LBB272_446
; %bb.443:                              ;   in Loop: Header=BB272_9 Depth=1
	v_and_b32_e32 v2, 0x7f, v8
	v_cmp_ne_u32_e32 vcc, s42, v2
	v_mov_b32_e32 v3, 0x7c01
	buffer_store_dword v3, off, s[0:3], s32 offset:348 ; 4-byte Folded Spill
	s_and_saveexec_b64 s[40:41], vcc
	s_cbranch_execz .LBB272_445
; %bb.444:                              ;   in Loop: Header=BB272_9 Depth=1
	v_and_b32_e32 v4, 7, v8
	v_lshrrev_b32_e32 v6, 3, v2
	v_cmp_gt_u32_e32 vcc, 8, v2
	v_ffbh_u32_e32 v2, v4
	v_min_u32_e32 v7, 32, v2
	v_subrev_u32_e32 v2, 28, v7
	v_lshlrev_b64 v[2:3], v2, v[8:9]
	v_sub_u32_e32 v3, 29, v7
	v_cndmask_b32_e32 v3, v6, v3, vcc
	v_mov_b32_e32 v7, 0x2000
	v_lshl_add_u32 v3, v3, 10, v7
	v_lshlrev_b32_e32 v6, 8, v8
	v_and_b32_e32 v2, 7, v2
	v_and_b32_e32 v3, 0xfc00, v3
	v_cndmask_b32_e32 v2, v4, v2, vcc
	v_and_or_b32 v3, v6, s43, v3
	v_lshl_or_b32 v2, v2, 7, v3
	buffer_store_dword v2, off, s[0:3], s32 offset:348 ; 4-byte Folded Spill
.LBB272_445:                            ;   in Loop: Header=BB272_9 Depth=1
	s_or_b64 exec, exec, s[40:41]
.LBB272_446:                            ;   in Loop: Header=BB272_9 Depth=1
	s_or_b64 exec, exec, s[28:29]
.LBB272_447:                            ;   in Loop: Header=BB272_9 Depth=1
	s_or_b64 exec, exec, s[26:27]
	v_lshrrev_b16_e32 v4, 8, v8
	v_cmp_ne_u16_e32 vcc, 0, v4
	v_mov_b32_e32 v2, 0
	v_mov_b32_e32 v59, 0
	buffer_store_dword v2, off, s[0:3], s32 offset:352 ; 4-byte Folded Spill
	s_and_saveexec_b64 s[26:27], vcc
	s_cbranch_execz .LBB272_453
; %bb.448:                              ;   in Loop: Header=BB272_9 Depth=1
	v_cmp_ne_u16_e32 vcc, s21, v4
	v_bfrev_b32_e32 v59, 1
	s_and_saveexec_b64 s[28:29], vcc
	s_cbranch_execz .LBB272_452
; %bb.449:                              ;   in Loop: Header=BB272_9 Depth=1
	v_and_b32_e32 v2, 0x7f, v4
	v_cmp_ne_u32_e32 vcc, s42, v2
	v_mov_b32_e32 v59, 0x7c010000
	s_and_saveexec_b64 s[40:41], vcc
	s_cbranch_execz .LBB272_451
; %bb.450:                              ;   in Loop: Header=BB272_9 Depth=1
	v_and_b32_e32 v6, 7, v4
	v_lshrrev_b32_e32 v7, 3, v2
	v_cmp_gt_u32_e32 vcc, 8, v2
	v_ffbh_u32_e32 v2, v6
	v_min_u32_e32 v9, 32, v2
	v_subrev_u32_e32 v2, 28, v9
	v_lshlrev_b64 v[2:3], v2, v[4:5]
	v_sub_u32_e32 v3, 29, v9
	v_cndmask_b32_e32 v3, v7, v3, vcc
	v_mov_b32_e32 v7, 0x2000
	v_lshlrev_b32_e32 v4, 8, v4
	v_lshl_add_u32 v3, v3, 10, v7
	v_and_b32_e32 v2, 7, v2
	v_and_or_b32 v3, v4, s43, v3
	v_cndmask_b32_e32 v2, v6, v2, vcc
	v_lshlrev_b32_e32 v3, 16, v3
	v_lshl_or_b32 v59, v2, 23, v3
.LBB272_451:                            ;   in Loop: Header=BB272_9 Depth=1
	s_or_b64 exec, exec, s[40:41]
.LBB272_452:                            ;   in Loop: Header=BB272_9 Depth=1
	s_or_b64 exec, exec, s[28:29]
.LBB272_453:                            ;   in Loop: Header=BB272_9 Depth=1
	s_or_b64 exec, exec, s[26:27]
	v_lshrrev_b32_e32 v4, 16, v8
	v_cmp_ne_u16_sdwa s[28:29], v4, v5 src0_sel:BYTE_0 src1_sel:DWORD
	s_and_saveexec_b64 s[26:27], s[28:29]
	s_cbranch_execz .LBB272_459
; %bb.454:                              ;   in Loop: Header=BB272_9 Depth=1
	v_cmp_ne_u16_sdwa s[40:41], v4, s21 src0_sel:BYTE_0 src1_sel:DWORD
	v_mov_b32_e32 v2, 0x8000
	buffer_store_dword v2, off, s[0:3], s32 offset:352 ; 4-byte Folded Spill
	s_and_saveexec_b64 s[28:29], s[40:41]
	s_cbranch_execz .LBB272_458
; %bb.455:                              ;   in Loop: Header=BB272_9 Depth=1
	v_bfe_u32 v2, v8, 16, 7
	v_cmp_ne_u32_e32 vcc, s42, v2
	v_mov_b32_e32 v3, 0x7c01
	buffer_store_dword v3, off, s[0:3], s32 offset:352 ; 4-byte Folded Spill
	s_and_saveexec_b64 s[40:41], vcc
	s_cbranch_execz .LBB272_457
; %bb.456:                              ;   in Loop: Header=BB272_9 Depth=1
	v_and_b32_e32 v6, 7, v4
	v_lshrrev_b32_e32 v7, 3, v2
	v_cmp_gt_u32_e32 vcc, 8, v2
	v_ffbh_u32_e32 v2, v6
	v_min_u32_e32 v9, 32, v2
	v_subrev_u32_e32 v2, 28, v9
	v_lshlrev_b64 v[2:3], v2, v[4:5]
	v_sub_u32_e32 v3, 29, v9
	v_cndmask_b32_e32 v3, v7, v3, vcc
	v_mov_b32_e32 v7, 0x2000
	v_lshl_add_u32 v3, v3, 10, v7
	v_lshlrev_b32_e32 v4, 8, v4
	v_and_b32_e32 v2, 7, v2
	v_and_b32_e32 v3, 0xfc00, v3
	v_cndmask_b32_e32 v2, v6, v2, vcc
	v_and_or_b32 v3, v4, s43, v3
	v_lshl_or_b32 v2, v2, 7, v3
	buffer_store_dword v2, off, s[0:3], s32 offset:352 ; 4-byte Folded Spill
.LBB272_457:                            ;   in Loop: Header=BB272_9 Depth=1
	s_or_b64 exec, exec, s[40:41]
.LBB272_458:                            ;   in Loop: Header=BB272_9 Depth=1
	s_or_b64 exec, exec, s[28:29]
.LBB272_459:                            ;   in Loop: Header=BB272_9 Depth=1
	s_or_b64 exec, exec, s[26:27]
	v_cmp_lt_u32_e32 vcc, s44, v8
	v_mov_b32_e32 v2, 0
	v_mov_b32_e32 v48, 0
	buffer_store_dword v2, off, s[0:3], s32 offset:356 ; 4-byte Folded Spill
	s_and_saveexec_b64 s[26:27], vcc
	s_cbranch_execz .LBB272_465
; %bb.460:                              ;   in Loop: Header=BB272_9 Depth=1
	v_lshrrev_b32_e32 v4, 24, v8
	v_cmp_ne_u32_e32 vcc, s21, v4
	v_bfrev_b32_e32 v48, 1
	s_and_saveexec_b64 s[28:29], vcc
	s_cbranch_execz .LBB272_464
; %bb.461:                              ;   in Loop: Header=BB272_9 Depth=1
	v_and_b32_e32 v2, 0x7f, v4
	v_cmp_ne_u32_e32 vcc, s42, v2
	v_mov_b32_e32 v48, 0x7c010000
	s_and_saveexec_b64 s[40:41], vcc
	s_cbranch_execz .LBB272_463
; %bb.462:                              ;   in Loop: Header=BB272_9 Depth=1
	v_and_b32_e32 v6, 7, v4
	v_lshrrev_b32_e32 v7, 3, v2
	v_cmp_gt_u32_e32 vcc, 8, v2
	v_ffbh_u32_e32 v2, v6
	v_min_u32_e32 v8, 32, v2
	v_subrev_u32_e32 v2, 28, v8
	v_lshlrev_b64 v[2:3], v2, v[4:5]
	v_sub_u32_e32 v3, 29, v8
	v_cndmask_b32_e32 v3, v7, v3, vcc
	v_mov_b32_e32 v7, 0x2000
	v_lshlrev_b32_e32 v4, 8, v4
	v_lshl_add_u32 v3, v3, 10, v7
	v_and_b32_e32 v2, 7, v2
	v_and_or_b32 v3, v4, s43, v3
	v_cndmask_b32_e32 v2, v6, v2, vcc
	v_lshlrev_b32_e32 v3, 16, v3
	v_lshl_or_b32 v48, v2, 23, v3
.LBB272_463:                            ;   in Loop: Header=BB272_9 Depth=1
	s_or_b64 exec, exec, s[40:41]
.LBB272_464:                            ;   in Loop: Header=BB272_9 Depth=1
	s_or_b64 exec, exec, s[28:29]
.LBB272_465:                            ;   in Loop: Header=BB272_9 Depth=1
	s_or_b64 exec, exec, s[26:27]
	buffer_load_dword v2, off, s[0:3], s32 offset:76 ; 4-byte Folded Reload
	s_waitcnt vmcnt(0)
	v_add_co_u32_e32 v0, vcc, v0, v2
	v_addc_co_u32_e32 v1, vcc, 0, v1, vcc
	flat_load_dword v8, v[0:1]
	s_waitcnt vmcnt(0) lgkmcnt(0)
	v_cmp_ne_u16_sdwa s[28:29], v8, v5 src0_sel:BYTE_0 src1_sel:DWORD
	s_and_saveexec_b64 s[26:27], s[28:29]
	s_cbranch_execz .LBB272_471
; %bb.466:                              ;   in Loop: Header=BB272_9 Depth=1
	v_cmp_ne_u16_sdwa s[40:41], v8, s21 src0_sel:BYTE_0 src1_sel:DWORD
	v_mov_b32_e32 v0, 0x8000
	buffer_store_dword v0, off, s[0:3], s32 offset:356 ; 4-byte Folded Spill
	s_and_saveexec_b64 s[28:29], s[40:41]
	s_cbranch_execz .LBB272_470
; %bb.467:                              ;   in Loop: Header=BB272_9 Depth=1
	v_and_b32_e32 v0, 0x7f, v8
	v_cmp_ne_u32_e32 vcc, s42, v0
	v_mov_b32_e32 v1, 0x7c01
	buffer_store_dword v1, off, s[0:3], s32 offset:356 ; 4-byte Folded Spill
	s_and_saveexec_b64 s[40:41], vcc
	s_cbranch_execz .LBB272_469
; %bb.468:                              ;   in Loop: Header=BB272_9 Depth=1
	v_and_b32_e32 v2, 7, v8
	v_lshrrev_b32_e32 v3, 3, v0
	v_cmp_gt_u32_e32 vcc, 8, v0
	v_ffbh_u32_e32 v0, v2
	v_min_u32_e32 v4, 32, v0
	v_subrev_u32_e32 v0, 28, v4
	v_lshlrev_b64 v[0:1], v0, v[8:9]
	v_sub_u32_e32 v1, 29, v4
	v_cndmask_b32_e32 v1, v3, v1, vcc
	v_mov_b32_e32 v4, 0x2000
	v_lshl_add_u32 v1, v1, 10, v4
	v_lshlrev_b32_e32 v3, 8, v8
	v_and_b32_e32 v0, 7, v0
	v_and_b32_e32 v1, 0xfc00, v1
	v_cndmask_b32_e32 v0, v2, v0, vcc
	v_and_or_b32 v1, v3, s43, v1
	v_lshl_or_b32 v0, v0, 7, v1
	buffer_store_dword v0, off, s[0:3], s32 offset:356 ; 4-byte Folded Spill
.LBB272_469:                            ;   in Loop: Header=BB272_9 Depth=1
	s_or_b64 exec, exec, s[40:41]
.LBB272_470:                            ;   in Loop: Header=BB272_9 Depth=1
	s_or_b64 exec, exec, s[28:29]
.LBB272_471:                            ;   in Loop: Header=BB272_9 Depth=1
	s_or_b64 exec, exec, s[26:27]
	v_lshrrev_b16_e32 v4, 8, v8
	v_cmp_ne_u16_e32 vcc, 0, v4
	v_mov_b32_e32 v0, 0
	v_mov_b32_e32 v62, 0
	buffer_store_dword v0, off, s[0:3], s32 offset:360 ; 4-byte Folded Spill
	s_and_saveexec_b64 s[26:27], vcc
	s_cbranch_execz .LBB272_477
; %bb.472:                              ;   in Loop: Header=BB272_9 Depth=1
	v_cmp_ne_u16_e32 vcc, s21, v4
	v_bfrev_b32_e32 v62, 1
	s_and_saveexec_b64 s[28:29], vcc
	s_cbranch_execz .LBB272_476
; %bb.473:                              ;   in Loop: Header=BB272_9 Depth=1
	v_and_b32_e32 v0, 0x7f, v4
	v_cmp_ne_u32_e32 vcc, s42, v0
	v_mov_b32_e32 v62, 0x7c010000
	s_and_saveexec_b64 s[40:41], vcc
	s_cbranch_execz .LBB272_475
; %bb.474:                              ;   in Loop: Header=BB272_9 Depth=1
	v_and_b32_e32 v2, 7, v4
	v_lshrrev_b32_e32 v3, 3, v0
	v_cmp_gt_u32_e32 vcc, 8, v0
	v_ffbh_u32_e32 v0, v2
	v_min_u32_e32 v6, 32, v0
	v_subrev_u32_e32 v0, 28, v6
	v_lshlrev_b64 v[0:1], v0, v[4:5]
	v_sub_u32_e32 v1, 29, v6
	v_cndmask_b32_e32 v1, v3, v1, vcc
	v_lshlrev_b32_e32 v3, 8, v4
	v_mov_b32_e32 v4, 0x2000
	v_lshl_add_u32 v1, v1, 10, v4
	v_and_b32_e32 v0, 7, v0
	v_and_or_b32 v1, v3, s43, v1
	v_cndmask_b32_e32 v0, v2, v0, vcc
	v_lshlrev_b32_e32 v1, 16, v1
	v_lshl_or_b32 v62, v0, 23, v1
.LBB272_475:                            ;   in Loop: Header=BB272_9 Depth=1
	s_or_b64 exec, exec, s[40:41]
.LBB272_476:                            ;   in Loop: Header=BB272_9 Depth=1
	s_or_b64 exec, exec, s[28:29]
.LBB272_477:                            ;   in Loop: Header=BB272_9 Depth=1
	s_or_b64 exec, exec, s[26:27]
	v_lshrrev_b32_e32 v4, 16, v8
	v_cmp_ne_u16_sdwa s[28:29], v4, v5 src0_sel:BYTE_0 src1_sel:DWORD
	s_and_saveexec_b64 s[26:27], s[28:29]
	s_cbranch_execz .LBB272_483
; %bb.478:                              ;   in Loop: Header=BB272_9 Depth=1
	v_cmp_ne_u16_sdwa s[40:41], v4, s21 src0_sel:BYTE_0 src1_sel:DWORD
	v_mov_b32_e32 v0, 0x8000
	buffer_store_dword v0, off, s[0:3], s32 offset:360 ; 4-byte Folded Spill
	s_and_saveexec_b64 s[28:29], s[40:41]
	s_cbranch_execz .LBB272_482
; %bb.479:                              ;   in Loop: Header=BB272_9 Depth=1
	v_bfe_u32 v0, v8, 16, 7
	v_cmp_ne_u32_e32 vcc, s42, v0
	v_mov_b32_e32 v1, 0x7c01
	buffer_store_dword v1, off, s[0:3], s32 offset:360 ; 4-byte Folded Spill
	s_and_saveexec_b64 s[40:41], vcc
	s_cbranch_execz .LBB272_481
; %bb.480:                              ;   in Loop: Header=BB272_9 Depth=1
	v_and_b32_e32 v2, 7, v4
	v_lshrrev_b32_e32 v3, 3, v0
	v_cmp_gt_u32_e32 vcc, 8, v0
	v_ffbh_u32_e32 v0, v2
	v_min_u32_e32 v6, 32, v0
	v_subrev_u32_e32 v0, 28, v6
	v_lshlrev_b64 v[0:1], v0, v[4:5]
	v_sub_u32_e32 v1, 29, v6
	v_cndmask_b32_e32 v1, v3, v1, vcc
	v_lshlrev_b32_e32 v3, 8, v4
	v_mov_b32_e32 v4, 0x2000
	v_lshl_add_u32 v1, v1, 10, v4
	v_and_b32_e32 v0, 7, v0
	v_and_b32_e32 v1, 0xfc00, v1
	v_cndmask_b32_e32 v0, v2, v0, vcc
	v_and_or_b32 v1, v3, s43, v1
	v_lshl_or_b32 v0, v0, 7, v1
	buffer_store_dword v0, off, s[0:3], s32 offset:360 ; 4-byte Folded Spill
.LBB272_481:                            ;   in Loop: Header=BB272_9 Depth=1
	s_or_b64 exec, exec, s[40:41]
.LBB272_482:                            ;   in Loop: Header=BB272_9 Depth=1
	s_or_b64 exec, exec, s[28:29]
.LBB272_483:                            ;   in Loop: Header=BB272_9 Depth=1
	s_or_b64 exec, exec, s[26:27]
	v_cmp_lt_u32_e32 vcc, s44, v8
	v_mov_b32_e32 v0, 0
	v_mov_b32_e32 v44, 0
	buffer_store_dword v0, off, s[0:3], s32 offset:364 ; 4-byte Folded Spill
	s_and_saveexec_b64 s[26:27], vcc
	s_cbranch_execz .LBB272_489
; %bb.484:                              ;   in Loop: Header=BB272_9 Depth=1
	v_lshrrev_b32_e32 v4, 24, v8
	v_cmp_ne_u32_e32 vcc, s21, v4
	v_bfrev_b32_e32 v44, 1
	s_and_saveexec_b64 s[28:29], vcc
	s_cbranch_execz .LBB272_488
; %bb.485:                              ;   in Loop: Header=BB272_9 Depth=1
	v_and_b32_e32 v0, 0x7f, v4
	v_cmp_ne_u32_e32 vcc, s42, v0
	v_mov_b32_e32 v44, 0x7c010000
	s_and_saveexec_b64 s[40:41], vcc
	s_cbranch_execz .LBB272_487
; %bb.486:                              ;   in Loop: Header=BB272_9 Depth=1
	v_and_b32_e32 v2, 7, v4
	v_lshrrev_b32_e32 v3, 3, v0
	v_cmp_gt_u32_e32 vcc, 8, v0
	v_ffbh_u32_e32 v0, v2
	v_min_u32_e32 v6, 32, v0
	v_subrev_u32_e32 v0, 28, v6
	v_lshlrev_b64 v[0:1], v0, v[4:5]
	v_sub_u32_e32 v1, 29, v6
	v_cndmask_b32_e32 v1, v3, v1, vcc
	v_lshlrev_b32_e32 v3, 8, v4
	v_mov_b32_e32 v4, 0x2000
	v_lshl_add_u32 v1, v1, 10, v4
	v_and_b32_e32 v0, 7, v0
	v_and_or_b32 v1, v3, s43, v1
	v_cndmask_b32_e32 v0, v2, v0, vcc
	v_lshlrev_b32_e32 v1, 16, v1
	v_lshl_or_b32 v44, v0, 23, v1
.LBB272_487:                            ;   in Loop: Header=BB272_9 Depth=1
	s_or_b64 exec, exec, s[40:41]
.LBB272_488:                            ;   in Loop: Header=BB272_9 Depth=1
	s_or_b64 exec, exec, s[28:29]
.LBB272_489:                            ;   in Loop: Header=BB272_9 Depth=1
	s_or_b64 exec, exec, s[26:27]
	buffer_load_dword v0, off, s[0:3], s32 offset:72 ; 4-byte Folded Reload
	v_add_co_u32_e32 v2, vcc, 0x1400, v16
	v_addc_co_u32_e32 v3, vcc, 0, v17, vcc
	s_waitcnt vmcnt(0)
	v_add_co_u32_e32 v0, vcc, v2, v0
	v_addc_co_u32_e32 v1, vcc, 0, v3, vcc
	flat_load_dword v8, v[0:1]
	s_waitcnt vmcnt(0) lgkmcnt(0)
	v_cmp_ne_u16_sdwa s[28:29], v8, v5 src0_sel:BYTE_0 src1_sel:DWORD
	s_and_saveexec_b64 s[26:27], s[28:29]
	s_cbranch_execz .LBB272_495
; %bb.490:                              ;   in Loop: Header=BB272_9 Depth=1
	v_cmp_ne_u16_sdwa s[40:41], v8, s21 src0_sel:BYTE_0 src1_sel:DWORD
	v_mov_b32_e32 v0, 0x8000
	buffer_store_dword v0, off, s[0:3], s32 offset:364 ; 4-byte Folded Spill
	s_and_saveexec_b64 s[28:29], s[40:41]
	s_cbranch_execz .LBB272_494
; %bb.491:                              ;   in Loop: Header=BB272_9 Depth=1
	v_and_b32_e32 v0, 0x7f, v8
	v_cmp_ne_u32_e32 vcc, s42, v0
	v_mov_b32_e32 v1, 0x7c01
	buffer_store_dword v1, off, s[0:3], s32 offset:364 ; 4-byte Folded Spill
	s_and_saveexec_b64 s[40:41], vcc
	s_cbranch_execz .LBB272_493
; %bb.492:                              ;   in Loop: Header=BB272_9 Depth=1
	v_and_b32_e32 v4, 7, v8
	v_lshrrev_b32_e32 v6, 3, v0
	v_cmp_gt_u32_e32 vcc, 8, v0
	v_ffbh_u32_e32 v0, v4
	v_min_u32_e32 v7, 32, v0
	v_subrev_u32_e32 v0, 28, v7
	v_lshlrev_b64 v[0:1], v0, v[8:9]
	v_sub_u32_e32 v1, 29, v7
	v_cndmask_b32_e32 v1, v6, v1, vcc
	v_mov_b32_e32 v7, 0x2000
	v_lshl_add_u32 v1, v1, 10, v7
	v_lshlrev_b32_e32 v6, 8, v8
	v_and_b32_e32 v0, 7, v0
	v_and_b32_e32 v1, 0xfc00, v1
	v_cndmask_b32_e32 v0, v4, v0, vcc
	v_and_or_b32 v1, v6, s43, v1
	v_lshl_or_b32 v0, v0, 7, v1
	buffer_store_dword v0, off, s[0:3], s32 offset:364 ; 4-byte Folded Spill
.LBB272_493:                            ;   in Loop: Header=BB272_9 Depth=1
	s_or_b64 exec, exec, s[40:41]
.LBB272_494:                            ;   in Loop: Header=BB272_9 Depth=1
	s_or_b64 exec, exec, s[28:29]
.LBB272_495:                            ;   in Loop: Header=BB272_9 Depth=1
	s_or_b64 exec, exec, s[26:27]
	v_lshrrev_b16_e32 v4, 8, v8
	v_cmp_ne_u16_e32 vcc, 0, v4
	v_mov_b32_e32 v0, 0
	v_mov_b32_e32 v1, 0
	buffer_store_dword v0, off, s[0:3], s32 offset:368 ; 4-byte Folded Spill
	s_and_saveexec_b64 s[26:27], vcc
	s_cbranch_execz .LBB272_501
; %bb.496:                              ;   in Loop: Header=BB272_9 Depth=1
	v_cmp_ne_u16_e32 vcc, s21, v4
	v_bfrev_b32_e32 v1, 1
	s_and_saveexec_b64 s[28:29], vcc
	s_cbranch_execz .LBB272_500
; %bb.497:                              ;   in Loop: Header=BB272_9 Depth=1
	v_and_b32_e32 v0, 0x7f, v4
	v_cmp_ne_u32_e32 vcc, s42, v0
	v_mov_b32_e32 v1, 0x7c010000
	s_and_saveexec_b64 s[40:41], vcc
	s_cbranch_execz .LBB272_499
; %bb.498:                              ;   in Loop: Header=BB272_9 Depth=1
	v_and_b32_e32 v6, 7, v4
	v_lshrrev_b32_e32 v7, 3, v0
	v_cmp_gt_u32_e32 vcc, 8, v0
	v_ffbh_u32_e32 v0, v6
	v_min_u32_e32 v9, 32, v0
	v_subrev_u32_e32 v0, 28, v9
	v_lshlrev_b64 v[0:1], v0, v[4:5]
	v_sub_u32_e32 v1, 29, v9
	v_cndmask_b32_e32 v1, v7, v1, vcc
	v_mov_b32_e32 v7, 0x2000
	v_lshlrev_b32_e32 v4, 8, v4
	v_lshl_add_u32 v1, v1, 10, v7
	v_and_b32_e32 v0, 7, v0
	v_and_or_b32 v1, v4, s43, v1
	v_cndmask_b32_e32 v0, v6, v0, vcc
	v_lshlrev_b32_e32 v1, 16, v1
	v_lshl_or_b32 v1, v0, 23, v1
.LBB272_499:                            ;   in Loop: Header=BB272_9 Depth=1
	s_or_b64 exec, exec, s[40:41]
.LBB272_500:                            ;   in Loop: Header=BB272_9 Depth=1
	s_or_b64 exec, exec, s[28:29]
.LBB272_501:                            ;   in Loop: Header=BB272_9 Depth=1
	s_or_b64 exec, exec, s[26:27]
	v_lshrrev_b32_e32 v4, 16, v8
	v_cmp_ne_u16_sdwa s[28:29], v4, v5 src0_sel:BYTE_0 src1_sel:DWORD
	s_and_saveexec_b64 s[26:27], s[28:29]
	s_cbranch_execz .LBB272_507
; %bb.502:                              ;   in Loop: Header=BB272_9 Depth=1
	v_cmp_ne_u16_sdwa s[40:41], v4, s21 src0_sel:BYTE_0 src1_sel:DWORD
	v_mov_b32_e32 v0, 0x8000
	buffer_store_dword v0, off, s[0:3], s32 offset:368 ; 4-byte Folded Spill
	s_and_saveexec_b64 s[28:29], s[40:41]
	s_cbranch_execz .LBB272_506
; %bb.503:                              ;   in Loop: Header=BB272_9 Depth=1
	v_bfe_u32 v0, v8, 16, 7
	v_cmp_ne_u32_e32 vcc, s42, v0
	v_mov_b32_e32 v6, 0x7c01
	buffer_store_dword v6, off, s[0:3], s32 offset:368 ; 4-byte Folded Spill
	s_and_saveexec_b64 s[40:41], vcc
	s_cbranch_execz .LBB272_505
; %bb.504:                              ;   in Loop: Header=BB272_9 Depth=1
	v_and_b32_e32 v9, 7, v4
	v_lshrrev_b32_e32 v10, 3, v0
	v_cmp_gt_u32_e32 vcc, 8, v0
	v_ffbh_u32_e32 v0, v9
	v_min_u32_e32 v0, 32, v0
	v_subrev_u32_e32 v6, 28, v0
	v_lshlrev_b64 v[6:7], v6, v[4:5]
	v_sub_u32_e32 v0, 29, v0
	v_cndmask_b32_e32 v0, v10, v0, vcc
	v_mov_b32_e32 v7, 0x2000
	v_lshl_add_u32 v0, v0, 10, v7
	v_lshlrev_b32_e32 v4, 8, v4
	v_and_b32_e32 v6, 7, v6
	v_and_b32_e32 v0, 0xfc00, v0
	v_cndmask_b32_e32 v6, v9, v6, vcc
	v_and_or_b32 v0, v4, s43, v0
	v_lshl_or_b32 v0, v6, 7, v0
	buffer_store_dword v0, off, s[0:3], s32 offset:368 ; 4-byte Folded Spill
.LBB272_505:                            ;   in Loop: Header=BB272_9 Depth=1
	s_or_b64 exec, exec, s[40:41]
.LBB272_506:                            ;   in Loop: Header=BB272_9 Depth=1
	s_or_b64 exec, exec, s[28:29]
.LBB272_507:                            ;   in Loop: Header=BB272_9 Depth=1
	s_or_b64 exec, exec, s[26:27]
	v_cmp_lt_u32_e32 vcc, s44, v8
	v_mov_b32_e32 v47, 0
	v_mov_b32_e32 v10, 0
	s_and_saveexec_b64 s[26:27], vcc
	s_cbranch_execz .LBB272_513
; %bb.508:                              ;   in Loop: Header=BB272_9 Depth=1
	v_lshrrev_b32_e32 v4, 24, v8
	v_cmp_ne_u32_e32 vcc, s21, v4
	v_bfrev_b32_e32 v10, 1
	s_and_saveexec_b64 s[28:29], vcc
	s_cbranch_execz .LBB272_512
; %bb.509:                              ;   in Loop: Header=BB272_9 Depth=1
	v_and_b32_e32 v6, 0x7f, v4
	v_cmp_ne_u32_e32 vcc, s42, v6
	v_mov_b32_e32 v10, 0x7c010000
	s_and_saveexec_b64 s[40:41], vcc
	s_cbranch_execz .LBB272_511
; %bb.510:                              ;   in Loop: Header=BB272_9 Depth=1
	v_and_b32_e32 v8, 7, v4
	v_lshrrev_b32_e32 v9, 3, v6
	v_cmp_gt_u32_e32 vcc, 8, v6
	v_ffbh_u32_e32 v6, v8
	v_min_u32_e32 v10, 32, v6
	v_subrev_u32_e32 v6, 28, v10
	v_lshlrev_b64 v[6:7], v6, v[4:5]
	v_sub_u32_e32 v7, 29, v10
	v_cndmask_b32_e32 v7, v9, v7, vcc
	v_mov_b32_e32 v9, 0x2000
	v_lshlrev_b32_e32 v4, 8, v4
	v_lshl_add_u32 v7, v7, 10, v9
	v_and_b32_e32 v6, 7, v6
	v_and_or_b32 v4, v4, s43, v7
	v_cndmask_b32_e32 v6, v8, v6, vcc
	v_lshlrev_b32_e32 v4, 16, v4
	v_lshl_or_b32 v10, v6, 23, v4
.LBB272_511:                            ;   in Loop: Header=BB272_9 Depth=1
	s_or_b64 exec, exec, s[40:41]
.LBB272_512:                            ;   in Loop: Header=BB272_9 Depth=1
	s_or_b64 exec, exec, s[28:29]
.LBB272_513:                            ;   in Loop: Header=BB272_9 Depth=1
	s_or_b64 exec, exec, s[26:27]
	buffer_load_dword v4, off, s[0:3], s32 offset:76 ; 4-byte Folded Reload
	s_waitcnt vmcnt(0)
	v_add_co_u32_e32 v2, vcc, v2, v4
	v_addc_co_u32_e32 v3, vcc, 0, v3, vcc
	flat_load_dword v8, v[2:3]
	s_waitcnt vmcnt(0) lgkmcnt(0)
	v_cmp_ne_u16_sdwa s[28:29], v8, v5 src0_sel:BYTE_0 src1_sel:DWORD
	s_and_saveexec_b64 s[26:27], s[28:29]
	s_cbranch_execz .LBB272_519
; %bb.514:                              ;   in Loop: Header=BB272_9 Depth=1
	v_cmp_ne_u16_sdwa s[40:41], v8, s21 src0_sel:BYTE_0 src1_sel:DWORD
	v_mov_b32_e32 v47, 0x8000
	s_and_saveexec_b64 s[28:29], s[40:41]
	s_cbranch_execz .LBB272_518
; %bb.515:                              ;   in Loop: Header=BB272_9 Depth=1
	v_and_b32_e32 v2, 0x7f, v8
	v_cmp_ne_u32_e32 vcc, s42, v2
	v_mov_b32_e32 v47, 0x7c01
	s_and_saveexec_b64 s[40:41], vcc
	s_cbranch_execz .LBB272_517
; %bb.516:                              ;   in Loop: Header=BB272_9 Depth=1
	v_and_b32_e32 v0, 7, v8
	v_lshrrev_b32_e32 v4, 3, v2
	v_cmp_gt_u32_e32 vcc, 8, v2
	v_ffbh_u32_e32 v2, v0
	v_min_u32_e32 v6, 32, v2
	v_subrev_u32_e32 v2, 28, v6
	v_lshlrev_b64 v[2:3], v2, v[8:9]
	v_sub_u32_e32 v3, 29, v6
	v_cndmask_b32_e32 v3, v4, v3, vcc
	v_mov_b32_e32 v6, 0x2000
	v_lshl_add_u32 v3, v3, 10, v6
	v_and_b32_e32 v2, 7, v2
	v_lshlrev_b32_e32 v4, 8, v8
	v_cndmask_b32_e32 v0, v0, v2, vcc
	v_and_b32_e32 v2, 0xfc00, v3
	v_and_or_b32 v2, v4, s43, v2
	v_lshl_or_b32 v47, v0, 7, v2
.LBB272_517:                            ;   in Loop: Header=BB272_9 Depth=1
	s_or_b64 exec, exec, s[40:41]
.LBB272_518:                            ;   in Loop: Header=BB272_9 Depth=1
	s_or_b64 exec, exec, s[28:29]
.LBB272_519:                            ;   in Loop: Header=BB272_9 Depth=1
	s_or_b64 exec, exec, s[26:27]
	v_lshrrev_b16_e32 v4, 8, v8
	v_cmp_ne_u16_e32 vcc, 0, v4
	v_mov_b32_e32 v30, 0
	v_mov_b32_e32 v3, 0
	s_and_saveexec_b64 s[26:27], vcc
	s_cbranch_execz .LBB272_525
; %bb.520:                              ;   in Loop: Header=BB272_9 Depth=1
	v_cmp_ne_u16_e32 vcc, s21, v4
	v_bfrev_b32_e32 v3, 1
	s_and_saveexec_b64 s[28:29], vcc
	s_cbranch_execz .LBB272_524
; %bb.521:                              ;   in Loop: Header=BB272_9 Depth=1
	v_and_b32_e32 v2, 0x7f, v4
	v_cmp_ne_u32_e32 vcc, s42, v2
	v_mov_b32_e32 v3, 0x7c010000
	s_and_saveexec_b64 s[40:41], vcc
	s_cbranch_execz .LBB272_523
; %bb.522:                              ;   in Loop: Header=BB272_9 Depth=1
	v_and_b32_e32 v6, 7, v4
	v_lshrrev_b32_e32 v7, 3, v2
	v_cmp_gt_u32_e32 vcc, 8, v2
	v_ffbh_u32_e32 v2, v6
	v_min_u32_e32 v9, 32, v2
	v_subrev_u32_e32 v2, 28, v9
	v_lshlrev_b64 v[2:3], v2, v[4:5]
	v_sub_u32_e32 v3, 29, v9
	v_cndmask_b32_e32 v3, v7, v3, vcc
	v_mov_b32_e32 v7, 0x2000
	v_lshlrev_b32_e32 v4, 8, v4
	v_lshl_add_u32 v3, v3, 10, v7
	v_and_b32_e32 v2, 7, v2
	v_and_or_b32 v3, v4, s43, v3
	v_cndmask_b32_e32 v2, v6, v2, vcc
	v_lshlrev_b32_e32 v3, 16, v3
	v_lshl_or_b32 v3, v2, 23, v3
.LBB272_523:                            ;   in Loop: Header=BB272_9 Depth=1
	s_or_b64 exec, exec, s[40:41]
.LBB272_524:                            ;   in Loop: Header=BB272_9 Depth=1
	s_or_b64 exec, exec, s[28:29]
.LBB272_525:                            ;   in Loop: Header=BB272_9 Depth=1
	s_or_b64 exec, exec, s[26:27]
	v_lshrrev_b32_e32 v4, 16, v8
	v_cmp_ne_u16_sdwa s[28:29], v4, v5 src0_sel:BYTE_0 src1_sel:DWORD
	s_and_saveexec_b64 s[26:27], s[28:29]
	s_cbranch_execz .LBB272_531
; %bb.526:                              ;   in Loop: Header=BB272_9 Depth=1
	v_cmp_ne_u16_sdwa s[40:41], v4, s21 src0_sel:BYTE_0 src1_sel:DWORD
	v_mov_b32_e32 v30, 0x8000
	s_and_saveexec_b64 s[28:29], s[40:41]
	s_cbranch_execz .LBB272_530
; %bb.527:                              ;   in Loop: Header=BB272_9 Depth=1
	v_bfe_u32 v2, v8, 16, 7
	v_cmp_ne_u32_e32 vcc, s42, v2
	v_mov_b32_e32 v30, 0x7c01
	s_and_saveexec_b64 s[40:41], vcc
	s_cbranch_execz .LBB272_529
; %bb.528:                              ;   in Loop: Header=BB272_9 Depth=1
	v_and_b32_e32 v9, 7, v4
	v_lshrrev_b32_e32 v11, 3, v2
	v_cmp_gt_u32_e32 vcc, 8, v2
	v_ffbh_u32_e32 v2, v9
	v_min_u32_e32 v2, 32, v2
	v_subrev_u32_e32 v6, 28, v2
	v_lshlrev_b64 v[6:7], v6, v[4:5]
	v_sub_u32_e32 v2, 29, v2
	v_cndmask_b32_e32 v2, v11, v2, vcc
	v_mov_b32_e32 v7, 0x2000
	v_lshl_add_u32 v2, v2, 10, v7
	v_lshlrev_b32_e32 v4, 8, v4
	v_and_b32_e32 v6, 7, v6
	v_and_b32_e32 v2, 0xfc00, v2
	v_cndmask_b32_e32 v6, v9, v6, vcc
	v_and_or_b32 v2, v4, s43, v2
	v_lshl_or_b32 v30, v6, 7, v2
.LBB272_529:                            ;   in Loop: Header=BB272_9 Depth=1
	s_or_b64 exec, exec, s[40:41]
.LBB272_530:                            ;   in Loop: Header=BB272_9 Depth=1
	s_or_b64 exec, exec, s[28:29]
.LBB272_531:                            ;   in Loop: Header=BB272_9 Depth=1
	s_or_b64 exec, exec, s[26:27]
	v_cmp_lt_u32_e32 vcc, s44, v8
	v_mov_b32_e32 v7, 0
	v_mov_b32_e32 v32, 0
	s_and_saveexec_b64 s[26:27], vcc
	s_cbranch_execz .LBB272_537
; %bb.532:                              ;   in Loop: Header=BB272_9 Depth=1
	v_lshrrev_b32_e32 v4, 24, v8
	v_cmp_ne_u32_e32 vcc, s21, v4
	v_bfrev_b32_e32 v32, 1
	s_and_saveexec_b64 s[28:29], vcc
	s_cbranch_execz .LBB272_536
; %bb.533:                              ;   in Loop: Header=BB272_9 Depth=1
	v_and_b32_e32 v2, 0x7f, v4
	v_cmp_ne_u32_e32 vcc, s42, v2
	v_mov_b32_e32 v32, 0x7c010000
	s_and_saveexec_b64 s[40:41], vcc
	s_cbranch_execz .LBB272_535
; %bb.534:                              ;   in Loop: Header=BB272_9 Depth=1
	v_and_b32_e32 v6, 7, v4
	v_lshrrev_b32_e32 v11, 3, v2
	v_cmp_gt_u32_e32 vcc, 8, v2
	v_ffbh_u32_e32 v2, v6
	v_min_u32_e32 v2, 32, v2
	v_subrev_u32_e32 v8, 28, v2
	v_lshlrev_b64 v[8:9], v8, v[4:5]
	v_sub_u32_e32 v2, 29, v2
	v_cndmask_b32_e32 v2, v11, v2, vcc
	v_mov_b32_e32 v9, 0x2000
	v_lshlrev_b32_e32 v4, 8, v4
	v_lshl_add_u32 v2, v2, 10, v9
	v_and_b32_e32 v8, 7, v8
	v_and_or_b32 v2, v4, s43, v2
	v_cndmask_b32_e32 v6, v6, v8, vcc
	v_lshlrev_b32_e32 v2, 16, v2
	v_lshl_or_b32 v32, v6, 23, v2
.LBB272_535:                            ;   in Loop: Header=BB272_9 Depth=1
	s_or_b64 exec, exec, s[40:41]
.LBB272_536:                            ;   in Loop: Header=BB272_9 Depth=1
	s_or_b64 exec, exec, s[28:29]
.LBB272_537:                            ;   in Loop: Header=BB272_9 Depth=1
	s_or_b64 exec, exec, s[26:27]
	buffer_load_dword v4, off, s[0:3], s32 offset:72 ; 4-byte Folded Reload
	v_add_co_u32_e32 v2, vcc, 0x1600, v16
	v_addc_co_u32_e32 v6, vcc, 0, v17, vcc
	s_waitcnt vmcnt(0)
	v_add_co_u32_e32 v8, vcc, v2, v4
	v_addc_co_u32_e32 v9, vcc, 0, v6, vcc
	flat_load_dword v8, v[8:9]
	s_waitcnt vmcnt(0) lgkmcnt(0)
	v_cmp_ne_u16_sdwa s[28:29], v8, v5 src0_sel:BYTE_0 src1_sel:DWORD
	s_and_saveexec_b64 s[26:27], s[28:29]
	s_cbranch_execz .LBB272_543
; %bb.538:                              ;   in Loop: Header=BB272_9 Depth=1
	v_cmp_ne_u16_sdwa s[40:41], v8, s21 src0_sel:BYTE_0 src1_sel:DWORD
	v_mov_b32_e32 v7, 0x8000
	s_and_saveexec_b64 s[28:29], s[40:41]
	s_cbranch_execz .LBB272_542
; %bb.539:                              ;   in Loop: Header=BB272_9 Depth=1
	v_and_b32_e32 v4, 0x7f, v8
	v_cmp_ne_u32_e32 vcc, s42, v4
	v_mov_b32_e32 v7, 0x7c01
	s_and_saveexec_b64 s[40:41], vcc
	s_cbranch_execz .LBB272_541
; %bb.540:                              ;   in Loop: Header=BB272_9 Depth=1
	v_and_b32_e32 v7, 7, v8
	v_lshrrev_b32_e32 v9, 3, v4
	v_cmp_gt_u32_e32 vcc, 8, v4
	v_ffbh_u32_e32 v4, v7
	v_min_u32_e32 v4, 32, v4
	v_subrev_u32_e32 v11, 28, v4
	v_lshlrev_b64 v[11:12], v11, v[8:9]
	v_sub_u32_e32 v4, 29, v4
	v_cndmask_b32_e32 v4, v9, v4, vcc
	v_mov_b32_e32 v12, 0x2000
	v_lshl_add_u32 v4, v4, 10, v12
	v_lshlrev_b32_e32 v9, 8, v8
	v_and_b32_e32 v11, 7, v11
	v_and_b32_e32 v4, 0xfc00, v4
	v_cndmask_b32_e32 v7, v7, v11, vcc
	v_and_or_b32 v4, v9, s43, v4
	v_lshl_or_b32 v7, v7, 7, v4
.LBB272_541:                            ;   in Loop: Header=BB272_9 Depth=1
	s_or_b64 exec, exec, s[40:41]
.LBB272_542:                            ;   in Loop: Header=BB272_9 Depth=1
	s_or_b64 exec, exec, s[28:29]
.LBB272_543:                            ;   in Loop: Header=BB272_9 Depth=1
	s_or_b64 exec, exec, s[26:27]
	v_lshrrev_b16_e32 v4, 8, v8
	v_cmp_ne_u16_e32 vcc, 0, v4
	v_mov_b32_e32 v28, 0
	v_mov_b32_e32 v39, 0
	s_and_saveexec_b64 s[26:27], vcc
	s_cbranch_execz .LBB272_549
; %bb.544:                              ;   in Loop: Header=BB272_9 Depth=1
	v_cmp_ne_u16_e32 vcc, s21, v4
	v_bfrev_b32_e32 v39, 1
	s_and_saveexec_b64 s[28:29], vcc
	s_cbranch_execz .LBB272_548
; %bb.545:                              ;   in Loop: Header=BB272_9 Depth=1
	v_and_b32_e32 v9, 0x7f, v4
	v_cmp_ne_u32_e32 vcc, s42, v9
	v_mov_b32_e32 v39, 0x7c010000
	s_and_saveexec_b64 s[40:41], vcc
	s_cbranch_execz .LBB272_547
; %bb.546:                              ;   in Loop: Header=BB272_9 Depth=1
	v_and_b32_e32 v14, 7, v4
	v_lshrrev_b32_e32 v15, 3, v9
	v_cmp_gt_u32_e32 vcc, 8, v9
	v_ffbh_u32_e32 v9, v14
	v_min_u32_e32 v9, 32, v9
	v_subrev_u32_e32 v11, 28, v9
	v_lshlrev_b64 v[11:12], v11, v[4:5]
	v_sub_u32_e32 v9, 29, v9
	v_cndmask_b32_e32 v9, v15, v9, vcc
	v_mov_b32_e32 v12, 0x2000
	v_lshlrev_b32_e32 v4, 8, v4
	v_lshl_add_u32 v9, v9, 10, v12
	v_and_b32_e32 v11, 7, v11
	v_and_or_b32 v4, v4, s43, v9
	v_cndmask_b32_e32 v11, v14, v11, vcc
	v_lshlrev_b32_e32 v4, 16, v4
	v_lshl_or_b32 v39, v11, 23, v4
.LBB272_547:                            ;   in Loop: Header=BB272_9 Depth=1
	s_or_b64 exec, exec, s[40:41]
.LBB272_548:                            ;   in Loop: Header=BB272_9 Depth=1
	s_or_b64 exec, exec, s[28:29]
.LBB272_549:                            ;   in Loop: Header=BB272_9 Depth=1
	s_or_b64 exec, exec, s[26:27]
	v_lshrrev_b32_e32 v4, 16, v8
	v_cmp_ne_u16_sdwa s[28:29], v4, v5 src0_sel:BYTE_0 src1_sel:DWORD
	s_and_saveexec_b64 s[26:27], s[28:29]
	s_cbranch_execz .LBB272_555
; %bb.550:                              ;   in Loop: Header=BB272_9 Depth=1
	v_cmp_ne_u16_sdwa s[40:41], v4, s21 src0_sel:BYTE_0 src1_sel:DWORD
	v_mov_b32_e32 v28, 0x8000
	s_and_saveexec_b64 s[28:29], s[40:41]
	s_cbranch_execz .LBB272_554
; %bb.551:                              ;   in Loop: Header=BB272_9 Depth=1
	v_bfe_u32 v9, v8, 16, 7
	v_cmp_ne_u32_e32 vcc, s42, v9
	v_mov_b32_e32 v28, 0x7c01
	s_and_saveexec_b64 s[40:41], vcc
	s_cbranch_execz .LBB272_553
; %bb.552:                              ;   in Loop: Header=BB272_9 Depth=1
	v_and_b32_e32 v14, 7, v4
	v_lshrrev_b32_e32 v15, 3, v9
	v_cmp_gt_u32_e32 vcc, 8, v9
	v_ffbh_u32_e32 v9, v14
	v_min_u32_e32 v9, 32, v9
	v_subrev_u32_e32 v11, 28, v9
	v_lshlrev_b64 v[11:12], v11, v[4:5]
	v_sub_u32_e32 v9, 29, v9
	v_cndmask_b32_e32 v9, v15, v9, vcc
	v_mov_b32_e32 v12, 0x2000
	v_lshl_add_u32 v9, v9, 10, v12
	v_lshlrev_b32_e32 v4, 8, v4
	v_and_b32_e32 v11, 7, v11
	v_and_b32_e32 v9, 0xfc00, v9
	v_cndmask_b32_e32 v11, v14, v11, vcc
	v_and_or_b32 v4, v4, s43, v9
	v_lshl_or_b32 v28, v11, 7, v4
.LBB272_553:                            ;   in Loop: Header=BB272_9 Depth=1
	s_or_b64 exec, exec, s[40:41]
.LBB272_554:                            ;   in Loop: Header=BB272_9 Depth=1
	s_or_b64 exec, exec, s[28:29]
.LBB272_555:                            ;   in Loop: Header=BB272_9 Depth=1
	s_or_b64 exec, exec, s[26:27]
	v_cmp_lt_u32_e32 vcc, s44, v8
	v_mov_b32_e32 v53, 0
	v_mov_b32_e32 v50, 0
	s_and_saveexec_b64 s[26:27], vcc
	s_cbranch_execz .LBB272_561
; %bb.556:                              ;   in Loop: Header=BB272_9 Depth=1
	v_lshrrev_b32_e32 v4, 24, v8
	v_cmp_ne_u32_e32 vcc, s21, v4
	v_bfrev_b32_e32 v50, 1
	s_and_saveexec_b64 s[28:29], vcc
	s_cbranch_execz .LBB272_560
; %bb.557:                              ;   in Loop: Header=BB272_9 Depth=1
	v_and_b32_e32 v8, 0x7f, v4
	v_cmp_ne_u32_e32 vcc, s42, v8
	v_mov_b32_e32 v50, 0x7c010000
	s_and_saveexec_b64 s[40:41], vcc
	s_cbranch_execz .LBB272_559
; %bb.558:                              ;   in Loop: Header=BB272_9 Depth=1
	v_and_b32_e32 v11, 7, v4
	v_lshrrev_b32_e32 v12, 3, v8
	v_cmp_gt_u32_e32 vcc, 8, v8
	v_ffbh_u32_e32 v8, v11
	v_min_u32_e32 v14, 32, v8
	v_subrev_u32_e32 v8, 28, v14
	v_lshlrev_b64 v[8:9], v8, v[4:5]
	v_sub_u32_e32 v9, 29, v14
	v_cndmask_b32_e32 v9, v12, v9, vcc
	v_mov_b32_e32 v12, 0x2000
	v_lshlrev_b32_e32 v4, 8, v4
	v_lshl_add_u32 v9, v9, 10, v12
	v_and_b32_e32 v8, 7, v8
	v_and_or_b32 v4, v4, s43, v9
	v_cndmask_b32_e32 v8, v11, v8, vcc
	v_lshlrev_b32_e32 v4, 16, v4
	v_lshl_or_b32 v50, v8, 23, v4
.LBB272_559:                            ;   in Loop: Header=BB272_9 Depth=1
	s_or_b64 exec, exec, s[40:41]
.LBB272_560:                            ;   in Loop: Header=BB272_9 Depth=1
	s_or_b64 exec, exec, s[28:29]
.LBB272_561:                            ;   in Loop: Header=BB272_9 Depth=1
	s_or_b64 exec, exec, s[26:27]
	buffer_load_dword v4, off, s[0:3], s32 offset:76 ; 4-byte Folded Reload
	s_waitcnt vmcnt(0)
	v_add_co_u32_e32 v8, vcc, v2, v4
	v_addc_co_u32_e32 v9, vcc, 0, v6, vcc
	flat_load_dword v8, v[8:9]
	s_waitcnt vmcnt(0) lgkmcnt(0)
	v_cmp_ne_u16_sdwa s[28:29], v8, v5 src0_sel:BYTE_0 src1_sel:DWORD
	s_and_saveexec_b64 s[26:27], s[28:29]
	s_cbranch_execz .LBB272_567
; %bb.562:                              ;   in Loop: Header=BB272_9 Depth=1
	v_cmp_ne_u16_sdwa s[40:41], v8, s21 src0_sel:BYTE_0 src1_sel:DWORD
	v_mov_b32_e32 v53, 0x8000
	s_and_saveexec_b64 s[28:29], s[40:41]
	s_cbranch_execz .LBB272_566
; %bb.563:                              ;   in Loop: Header=BB272_9 Depth=1
	v_and_b32_e32 v2, 0x7f, v8
	v_cmp_ne_u32_e32 vcc, s42, v2
	v_mov_b32_e32 v53, 0x7c01
	s_and_saveexec_b64 s[40:41], vcc
	s_cbranch_execz .LBB272_565
; %bb.564:                              ;   in Loop: Header=BB272_9 Depth=1
	v_and_b32_e32 v4, 7, v8
	v_lshrrev_b32_e32 v6, 3, v2
	v_cmp_gt_u32_e32 vcc, 8, v2
	v_ffbh_u32_e32 v2, v4
	v_min_u32_e32 v2, 32, v2
	v_subrev_u32_e32 v9, 28, v2
	v_sub_u32_e32 v2, 29, v2
	v_lshlrev_b64 v[11:12], v9, v[8:9]
	v_cndmask_b32_e32 v2, v6, v2, vcc
	v_mov_b32_e32 v9, 0x2000
	v_lshl_add_u32 v2, v2, 10, v9
	v_lshlrev_b32_e32 v6, 8, v8
	v_and_b32_e32 v9, 7, v11
	v_and_b32_e32 v2, 0xfc00, v2
	v_cndmask_b32_e32 v4, v4, v9, vcc
	v_and_or_b32 v2, v6, s43, v2
	v_lshl_or_b32 v53, v4, 7, v2
.LBB272_565:                            ;   in Loop: Header=BB272_9 Depth=1
	s_or_b64 exec, exec, s[40:41]
.LBB272_566:                            ;   in Loop: Header=BB272_9 Depth=1
	s_or_b64 exec, exec, s[28:29]
.LBB272_567:                            ;   in Loop: Header=BB272_9 Depth=1
	s_or_b64 exec, exec, s[26:27]
	v_lshrrev_b16_e32 v4, 8, v8
	v_cmp_ne_u16_e32 vcc, 0, v4
	v_mov_b32_e32 v60, 0
	v_mov_b32_e32 v31, 0
	s_and_saveexec_b64 s[26:27], vcc
	s_cbranch_execz .LBB272_573
; %bb.568:                              ;   in Loop: Header=BB272_9 Depth=1
	v_cmp_ne_u16_e32 vcc, s21, v4
	v_bfrev_b32_e32 v31, 1
	s_and_saveexec_b64 s[28:29], vcc
	s_cbranch_execz .LBB272_572
; %bb.569:                              ;   in Loop: Header=BB272_9 Depth=1
	v_and_b32_e32 v2, 0x7f, v4
	v_cmp_ne_u32_e32 vcc, s42, v2
	v_mov_b32_e32 v31, 0x7c010000
	s_and_saveexec_b64 s[40:41], vcc
	s_cbranch_execz .LBB272_571
; %bb.570:                              ;   in Loop: Header=BB272_9 Depth=1
	v_and_b32_e32 v6, 7, v4
	v_lshrrev_b32_e32 v9, 3, v2
	v_cmp_gt_u32_e32 vcc, 8, v2
	v_ffbh_u32_e32 v2, v6
	v_min_u32_e32 v2, 32, v2
	v_subrev_u32_e32 v11, 28, v2
	v_sub_u32_e32 v2, 29, v2
	v_lshlrev_b64 v[11:12], v11, v[4:5]
	v_cndmask_b32_e32 v2, v9, v2, vcc
	v_mov_b32_e32 v9, 0x2000
	v_lshlrev_b32_e32 v4, 8, v4
	v_lshl_add_u32 v2, v2, 10, v9
	v_and_b32_e32 v9, 7, v11
	v_and_or_b32 v2, v4, s43, v2
	v_cndmask_b32_e32 v6, v6, v9, vcc
	v_lshlrev_b32_e32 v2, 16, v2
	v_lshl_or_b32 v31, v6, 23, v2
.LBB272_571:                            ;   in Loop: Header=BB272_9 Depth=1
	s_or_b64 exec, exec, s[40:41]
.LBB272_572:                            ;   in Loop: Header=BB272_9 Depth=1
	s_or_b64 exec, exec, s[28:29]
.LBB272_573:                            ;   in Loop: Header=BB272_9 Depth=1
	s_or_b64 exec, exec, s[26:27]
	v_lshrrev_b32_e32 v4, 16, v8
	v_cmp_ne_u16_sdwa s[28:29], v4, v5 src0_sel:BYTE_0 src1_sel:DWORD
	s_and_saveexec_b64 s[26:27], s[28:29]
	s_cbranch_execz .LBB272_579
; %bb.574:                              ;   in Loop: Header=BB272_9 Depth=1
	v_cmp_ne_u16_sdwa s[40:41], v4, s21 src0_sel:BYTE_0 src1_sel:DWORD
	v_mov_b32_e32 v60, 0x8000
	s_and_saveexec_b64 s[28:29], s[40:41]
	s_cbranch_execz .LBB272_578
; %bb.575:                              ;   in Loop: Header=BB272_9 Depth=1
	v_bfe_u32 v2, v8, 16, 7
	v_cmp_ne_u32_e32 vcc, s42, v2
	v_mov_b32_e32 v60, 0x7c01
	s_and_saveexec_b64 s[40:41], vcc
	s_cbranch_execz .LBB272_577
; %bb.576:                              ;   in Loop: Header=BB272_9 Depth=1
	v_and_b32_e32 v6, 7, v4
	v_lshrrev_b32_e32 v9, 3, v2
	v_cmp_gt_u32_e32 vcc, 8, v2
	v_ffbh_u32_e32 v2, v6
	v_min_u32_e32 v2, 32, v2
	v_subrev_u32_e32 v11, 28, v2
	v_sub_u32_e32 v2, 29, v2
	v_lshlrev_b64 v[11:12], v11, v[4:5]
	v_cndmask_b32_e32 v2, v9, v2, vcc
	v_mov_b32_e32 v9, 0x2000
	v_lshl_add_u32 v2, v2, 10, v9
	v_lshlrev_b32_e32 v4, 8, v4
	v_and_b32_e32 v9, 7, v11
	v_and_b32_e32 v2, 0xfc00, v2
	v_cndmask_b32_e32 v6, v6, v9, vcc
	v_and_or_b32 v2, v4, s43, v2
	v_lshl_or_b32 v60, v6, 7, v2
.LBB272_577:                            ;   in Loop: Header=BB272_9 Depth=1
	s_or_b64 exec, exec, s[40:41]
.LBB272_578:                            ;   in Loop: Header=BB272_9 Depth=1
	s_or_b64 exec, exec, s[28:29]
.LBB272_579:                            ;   in Loop: Header=BB272_9 Depth=1
	s_or_b64 exec, exec, s[26:27]
	v_cmp_lt_u32_e32 vcc, s44, v8
	v_mov_b32_e32 v9, 0
	v_mov_b32_e32 v6, 0
	s_and_saveexec_b64 s[26:27], vcc
	s_cbranch_execz .LBB272_585
; %bb.580:                              ;   in Loop: Header=BB272_9 Depth=1
	v_lshrrev_b32_e32 v4, 24, v8
	v_cmp_ne_u32_e32 vcc, s21, v4
	v_bfrev_b32_e32 v6, 1
	s_and_saveexec_b64 s[28:29], vcc
	s_cbranch_execz .LBB272_584
; %bb.581:                              ;   in Loop: Header=BB272_9 Depth=1
	v_and_b32_e32 v2, 0x7f, v4
	v_cmp_ne_u32_e32 vcc, s42, v2
	v_mov_b32_e32 v6, 0x7c010000
	s_and_saveexec_b64 s[40:41], vcc
	s_cbranch_execz .LBB272_583
; %bb.582:                              ;   in Loop: Header=BB272_9 Depth=1
	v_and_b32_e32 v6, 7, v4
	v_lshrrev_b32_e32 v8, 3, v2
	v_cmp_gt_u32_e32 vcc, 8, v2
	v_ffbh_u32_e32 v2, v6
	v_min_u32_e32 v2, 32, v2
	v_subrev_u32_e32 v11, 28, v2
	v_sub_u32_e32 v2, 29, v2
	v_lshlrev_b64 v[11:12], v11, v[4:5]
	v_cndmask_b32_e32 v2, v8, v2, vcc
	v_mov_b32_e32 v8, 0x2000
	v_lshlrev_b32_e32 v4, 8, v4
	v_lshl_add_u32 v2, v2, 10, v8
	v_and_b32_e32 v8, 7, v11
	v_and_or_b32 v2, v4, s43, v2
	v_cndmask_b32_e32 v6, v6, v8, vcc
	v_lshlrev_b32_e32 v2, 16, v2
	v_lshl_or_b32 v6, v6, 23, v2
.LBB272_583:                            ;   in Loop: Header=BB272_9 Depth=1
	s_or_b64 exec, exec, s[40:41]
.LBB272_584:                            ;   in Loop: Header=BB272_9 Depth=1
	s_or_b64 exec, exec, s[28:29]
.LBB272_585:                            ;   in Loop: Header=BB272_9 Depth=1
	s_or_b64 exec, exec, s[26:27]
	buffer_load_dword v2, off, s[0:3], s32 offset:72 ; 4-byte Folded Reload
	v_add_co_u32_e32 v11, vcc, 0x1800, v16
	v_addc_co_u32_e32 v12, vcc, 0, v17, vcc
	s_waitcnt vmcnt(0)
	v_add_co_u32_e32 v14, vcc, v11, v2
	v_addc_co_u32_e32 v15, vcc, 0, v12, vcc
	flat_load_dword v8, v[14:15]
	s_waitcnt vmcnt(0) lgkmcnt(0)
	v_cmp_ne_u16_sdwa s[28:29], v8, v5 src0_sel:BYTE_0 src1_sel:DWORD
	s_and_saveexec_b64 s[26:27], s[28:29]
	s_cbranch_execz .LBB272_591
; %bb.586:                              ;   in Loop: Header=BB272_9 Depth=1
	v_cmp_ne_u16_sdwa s[40:41], v8, s21 src0_sel:BYTE_0 src1_sel:DWORD
	v_mov_b32_e32 v9, 0x8000
	s_and_saveexec_b64 s[28:29], s[40:41]
	s_cbranch_execz .LBB272_590
; %bb.587:                              ;   in Loop: Header=BB272_9 Depth=1
	v_and_b32_e32 v2, 0x7f, v8
	v_cmp_ne_u32_e32 vcc, s42, v2
	v_mov_b32_e32 v9, 0x7c01
	s_and_saveexec_b64 s[40:41], vcc
	s_cbranch_execz .LBB272_589
; %bb.588:                              ;   in Loop: Header=BB272_9 Depth=1
	v_and_b32_e32 v4, 7, v8
	v_lshrrev_b32_e32 v9, 3, v2
	v_cmp_gt_u32_e32 vcc, 8, v2
	v_ffbh_u32_e32 v2, v4
	v_min_u32_e32 v2, 32, v2
	v_subrev_u32_e32 v14, 28, v2
	v_lshlrev_b64 v[14:15], v14, v[8:9]
	v_sub_u32_e32 v2, 29, v2
	v_cndmask_b32_e32 v2, v9, v2, vcc
	v_mov_b32_e32 v15, 0x2000
	v_lshl_add_u32 v2, v2, 10, v15
	v_lshlrev_b32_e32 v9, 8, v8
	v_and_b32_e32 v14, 7, v14
	v_and_b32_e32 v2, 0xfc00, v2
	v_cndmask_b32_e32 v4, v4, v14, vcc
	v_and_or_b32 v2, v9, s43, v2
	v_lshl_or_b32 v9, v4, 7, v2
.LBB272_589:                            ;   in Loop: Header=BB272_9 Depth=1
	s_or_b64 exec, exec, s[40:41]
.LBB272_590:                            ;   in Loop: Header=BB272_9 Depth=1
	s_or_b64 exec, exec, s[28:29]
.LBB272_591:                            ;   in Loop: Header=BB272_9 Depth=1
	s_or_b64 exec, exec, s[26:27]
	v_lshrrev_b16_e32 v4, 8, v8
	v_cmp_ne_u16_e32 vcc, 0, v4
	v_mov_b32_e32 v49, 0
	v_mov_b32_e32 v2, 0
	s_and_saveexec_b64 s[26:27], vcc
	s_cbranch_execz .LBB272_597
; %bb.592:                              ;   in Loop: Header=BB272_9 Depth=1
	v_cmp_ne_u16_e32 vcc, s21, v4
	v_bfrev_b32_e32 v2, 1
	s_and_saveexec_b64 s[28:29], vcc
	s_cbranch_execz .LBB272_596
; %bb.593:                              ;   in Loop: Header=BB272_9 Depth=1
	v_and_b32_e32 v14, 0x7f, v4
	v_cmp_ne_u32_e32 vcc, s42, v14
	v_mov_b32_e32 v2, 0x7c010000
	s_and_saveexec_b64 s[40:41], vcc
	s_cbranch_execz .LBB272_595
; %bb.594:                              ;   in Loop: Header=BB272_9 Depth=1
	v_and_b32_e32 v2, 7, v4
	v_lshrrev_b32_e32 v18, 3, v14
	v_cmp_gt_u32_e32 vcc, 8, v14
	v_ffbh_u32_e32 v14, v2
	v_min_u32_e32 v20, 32, v14
	v_subrev_u32_e32 v14, 28, v20
	v_lshlrev_b64 v[14:15], v14, v[4:5]
	v_sub_u32_e32 v15, 29, v20
	v_cndmask_b32_e32 v15, v18, v15, vcc
	v_mov_b32_e32 v18, 0x2000
	v_lshlrev_b32_e32 v4, 8, v4
	v_lshl_add_u32 v15, v15, 10, v18
	v_and_b32_e32 v14, 7, v14
	v_and_or_b32 v4, v4, s43, v15
	v_cndmask_b32_e32 v2, v2, v14, vcc
	v_lshlrev_b32_e32 v4, 16, v4
	v_lshl_or_b32 v2, v2, 23, v4
.LBB272_595:                            ;   in Loop: Header=BB272_9 Depth=1
	s_or_b64 exec, exec, s[40:41]
.LBB272_596:                            ;   in Loop: Header=BB272_9 Depth=1
	s_or_b64 exec, exec, s[28:29]
.LBB272_597:                            ;   in Loop: Header=BB272_9 Depth=1
	s_or_b64 exec, exec, s[26:27]
	v_lshrrev_b32_e32 v4, 16, v8
	v_cmp_ne_u16_sdwa s[28:29], v4, v5 src0_sel:BYTE_0 src1_sel:DWORD
	s_and_saveexec_b64 s[26:27], s[28:29]
	s_cbranch_execz .LBB272_603
; %bb.598:                              ;   in Loop: Header=BB272_9 Depth=1
	v_cmp_ne_u16_sdwa s[40:41], v4, s21 src0_sel:BYTE_0 src1_sel:DWORD
	v_mov_b32_e32 v49, 0x8000
	s_and_saveexec_b64 s[28:29], s[40:41]
	s_cbranch_execz .LBB272_602
; %bb.599:                              ;   in Loop: Header=BB272_9 Depth=1
	v_bfe_u32 v14, v8, 16, 7
	v_cmp_ne_u32_e32 vcc, s42, v14
	v_mov_b32_e32 v49, 0x7c01
	s_and_saveexec_b64 s[40:41], vcc
	s_cbranch_execz .LBB272_601
; %bb.600:                              ;   in Loop: Header=BB272_9 Depth=1
	v_and_b32_e32 v18, 7, v4
	v_lshrrev_b32_e32 v20, 3, v14
	v_cmp_gt_u32_e32 vcc, 8, v14
	v_ffbh_u32_e32 v14, v18
	v_min_u32_e32 v21, 32, v14
	v_subrev_u32_e32 v14, 28, v21
	v_lshlrev_b64 v[14:15], v14, v[4:5]
	v_sub_u32_e32 v15, 29, v21
	v_cndmask_b32_e32 v15, v20, v15, vcc
	v_mov_b32_e32 v20, 0x2000
	v_lshl_add_u32 v15, v15, 10, v20
	v_lshlrev_b32_e32 v4, 8, v4
	v_and_b32_e32 v14, 7, v14
	v_and_b32_e32 v15, 0xfc00, v15
	v_cndmask_b32_e32 v14, v18, v14, vcc
	v_and_or_b32 v4, v4, s43, v15
	v_lshl_or_b32 v49, v14, 7, v4
.LBB272_601:                            ;   in Loop: Header=BB272_9 Depth=1
	s_or_b64 exec, exec, s[40:41]
.LBB272_602:                            ;   in Loop: Header=BB272_9 Depth=1
	s_or_b64 exec, exec, s[28:29]
.LBB272_603:                            ;   in Loop: Header=BB272_9 Depth=1
	s_or_b64 exec, exec, s[26:27]
	v_cmp_lt_u32_e32 vcc, s44, v8
	v_mov_b32_e32 v36, 0
	v_mov_b32_e32 v33, 0
	s_and_saveexec_b64 s[26:27], vcc
	s_cbranch_execz .LBB272_609
; %bb.604:                              ;   in Loop: Header=BB272_9 Depth=1
	v_lshrrev_b32_e32 v4, 24, v8
	v_cmp_ne_u32_e32 vcc, s21, v4
	v_bfrev_b32_e32 v33, 1
	s_and_saveexec_b64 s[28:29], vcc
	s_cbranch_execz .LBB272_608
; %bb.605:                              ;   in Loop: Header=BB272_9 Depth=1
	v_and_b32_e32 v8, 0x7f, v4
	v_cmp_ne_u32_e32 vcc, s42, v8
	v_mov_b32_e32 v33, 0x7c010000
	s_and_saveexec_b64 s[40:41], vcc
	s_cbranch_execz .LBB272_607
; %bb.606:                              ;   in Loop: Header=BB272_9 Depth=1
	v_and_b32_e32 v18, 7, v4
	v_lshrrev_b32_e32 v20, 3, v8
	v_cmp_gt_u32_e32 vcc, 8, v8
	v_ffbh_u32_e32 v8, v18
	v_min_u32_e32 v8, 32, v8
	v_subrev_u32_e32 v14, 28, v8
	v_lshlrev_b64 v[14:15], v14, v[4:5]
	v_sub_u32_e32 v8, 29, v8
	v_cndmask_b32_e32 v8, v20, v8, vcc
	v_mov_b32_e32 v15, 0x2000
	v_lshlrev_b32_e32 v4, 8, v4
	v_lshl_add_u32 v8, v8, 10, v15
	v_and_b32_e32 v14, 7, v14
	v_and_or_b32 v4, v4, s43, v8
	v_cndmask_b32_e32 v14, v18, v14, vcc
	v_lshlrev_b32_e32 v4, 16, v4
	v_lshl_or_b32 v33, v14, 23, v4
.LBB272_607:                            ;   in Loop: Header=BB272_9 Depth=1
	s_or_b64 exec, exec, s[40:41]
.LBB272_608:                            ;   in Loop: Header=BB272_9 Depth=1
	s_or_b64 exec, exec, s[28:29]
.LBB272_609:                            ;   in Loop: Header=BB272_9 Depth=1
	s_or_b64 exec, exec, s[26:27]
	buffer_load_dword v4, off, s[0:3], s32 offset:76 ; 4-byte Folded Reload
	s_waitcnt vmcnt(0)
	v_add_co_u32_e32 v11, vcc, v11, v4
	v_addc_co_u32_e32 v12, vcc, 0, v12, vcc
	flat_load_dword v8, v[11:12]
	s_waitcnt vmcnt(0) lgkmcnt(0)
	v_cmp_ne_u16_sdwa s[28:29], v8, v5 src0_sel:BYTE_0 src1_sel:DWORD
	s_and_saveexec_b64 s[26:27], s[28:29]
	s_cbranch_execz .LBB272_615
; %bb.610:                              ;   in Loop: Header=BB272_9 Depth=1
	v_cmp_ne_u16_sdwa s[40:41], v8, s21 src0_sel:BYTE_0 src1_sel:DWORD
	v_mov_b32_e32 v36, 0x8000
	s_and_saveexec_b64 s[28:29], s[40:41]
	s_cbranch_execz .LBB272_614
; %bb.611:                              ;   in Loop: Header=BB272_9 Depth=1
	v_and_b32_e32 v4, 0x7f, v8
	v_cmp_ne_u32_e32 vcc, s42, v4
	v_mov_b32_e32 v36, 0x7c01
	s_and_saveexec_b64 s[40:41], vcc
	s_cbranch_execz .LBB272_613
; %bb.612:                              ;   in Loop: Header=BB272_9 Depth=1
	v_and_b32_e32 v14, 7, v8
	v_lshrrev_b32_e32 v15, 3, v4
	v_cmp_gt_u32_e32 vcc, 8, v4
	v_ffbh_u32_e32 v4, v14
	v_min_u32_e32 v4, 32, v4
	v_subrev_u32_e32 v11, 28, v4
	v_sub_u32_e32 v4, 29, v4
	v_lshlrev_b64 v[11:12], v11, v[8:9]
	v_cndmask_b32_e32 v4, v15, v4, vcc
	v_mov_b32_e32 v15, 0x2000
	v_lshl_add_u32 v4, v4, 10, v15
	v_lshlrev_b32_e32 v12, 8, v8
	v_and_b32_e32 v11, 7, v11
	v_and_b32_e32 v4, 0xfc00, v4
	v_cndmask_b32_e32 v11, v14, v11, vcc
	v_and_or_b32 v4, v12, s43, v4
	v_lshl_or_b32 v36, v11, 7, v4
.LBB272_613:                            ;   in Loop: Header=BB272_9 Depth=1
	s_or_b64 exec, exec, s[40:41]
.LBB272_614:                            ;   in Loop: Header=BB272_9 Depth=1
	s_or_b64 exec, exec, s[28:29]
.LBB272_615:                            ;   in Loop: Header=BB272_9 Depth=1
	s_or_b64 exec, exec, s[26:27]
	v_lshrrev_b16_e32 v4, 8, v8
	v_cmp_ne_u16_e32 vcc, 0, v4
	v_mov_b32_e32 v22, 0
	v_mov_b32_e32 v23, 0
	s_and_saveexec_b64 s[26:27], vcc
	s_cbranch_execz .LBB272_621
; %bb.616:                              ;   in Loop: Header=BB272_9 Depth=1
	v_cmp_ne_u16_e32 vcc, s21, v4
	v_bfrev_b32_e32 v23, 1
	s_and_saveexec_b64 s[28:29], vcc
	s_cbranch_execz .LBB272_620
; %bb.617:                              ;   in Loop: Header=BB272_9 Depth=1
	v_and_b32_e32 v11, 0x7f, v4
	v_cmp_ne_u32_e32 vcc, s42, v11
	v_mov_b32_e32 v23, 0x7c010000
	s_and_saveexec_b64 s[40:41], vcc
	s_cbranch_execz .LBB272_619
; %bb.618:                              ;   in Loop: Header=BB272_9 Depth=1
	v_and_b32_e32 v14, 7, v4
	v_lshrrev_b32_e32 v15, 3, v11
	v_cmp_gt_u32_e32 vcc, 8, v11
	v_ffbh_u32_e32 v11, v14
	v_min_u32_e32 v18, 32, v11
	v_subrev_u32_e32 v11, 28, v18
	v_lshlrev_b64 v[11:12], v11, v[4:5]
	v_sub_u32_e32 v12, 29, v18
	v_cndmask_b32_e32 v12, v15, v12, vcc
	v_mov_b32_e32 v15, 0x2000
	v_lshlrev_b32_e32 v4, 8, v4
	v_lshl_add_u32 v12, v12, 10, v15
	v_and_b32_e32 v11, 7, v11
	v_and_or_b32 v4, v4, s43, v12
	v_cndmask_b32_e32 v11, v14, v11, vcc
	v_lshlrev_b32_e32 v4, 16, v4
	v_lshl_or_b32 v23, v11, 23, v4
.LBB272_619:                            ;   in Loop: Header=BB272_9 Depth=1
	s_or_b64 exec, exec, s[40:41]
.LBB272_620:                            ;   in Loop: Header=BB272_9 Depth=1
	s_or_b64 exec, exec, s[28:29]
.LBB272_621:                            ;   in Loop: Header=BB272_9 Depth=1
	s_or_b64 exec, exec, s[26:27]
	v_lshrrev_b32_e32 v4, 16, v8
	v_cmp_ne_u16_sdwa s[28:29], v4, v5 src0_sel:BYTE_0 src1_sel:DWORD
	s_and_saveexec_b64 s[26:27], s[28:29]
	s_cbranch_execz .LBB272_627
; %bb.622:                              ;   in Loop: Header=BB272_9 Depth=1
	v_cmp_ne_u16_sdwa s[40:41], v4, s21 src0_sel:BYTE_0 src1_sel:DWORD
	v_mov_b32_e32 v22, 0x8000
	s_and_saveexec_b64 s[28:29], s[40:41]
	s_cbranch_execz .LBB272_626
; %bb.623:                              ;   in Loop: Header=BB272_9 Depth=1
	v_bfe_u32 v11, v8, 16, 7
	v_cmp_ne_u32_e32 vcc, s42, v11
	v_mov_b32_e32 v22, 0x7c01
	s_and_saveexec_b64 s[40:41], vcc
	s_cbranch_execz .LBB272_625
; %bb.624:                              ;   in Loop: Header=BB272_9 Depth=1
	v_and_b32_e32 v14, 7, v4
	v_lshrrev_b32_e32 v15, 3, v11
	v_cmp_gt_u32_e32 vcc, 8, v11
	v_ffbh_u32_e32 v11, v14
	v_min_u32_e32 v18, 32, v11
	v_subrev_u32_e32 v11, 28, v18
	v_lshlrev_b64 v[11:12], v11, v[4:5]
	v_sub_u32_e32 v12, 29, v18
	v_cndmask_b32_e32 v12, v15, v12, vcc
	v_mov_b32_e32 v15, 0x2000
	v_lshl_add_u32 v12, v12, 10, v15
	v_lshlrev_b32_e32 v4, 8, v4
	v_and_b32_e32 v11, 7, v11
	v_and_b32_e32 v12, 0xfc00, v12
	v_cndmask_b32_e32 v11, v14, v11, vcc
	v_and_or_b32 v4, v4, s43, v12
	v_lshl_or_b32 v22, v11, 7, v4
.LBB272_625:                            ;   in Loop: Header=BB272_9 Depth=1
	s_or_b64 exec, exec, s[40:41]
.LBB272_626:                            ;   in Loop: Header=BB272_9 Depth=1
	s_or_b64 exec, exec, s[28:29]
.LBB272_627:                            ;   in Loop: Header=BB272_9 Depth=1
	s_or_b64 exec, exec, s[26:27]
	v_cmp_lt_u32_e32 vcc, s44, v8
	v_mov_b32_e32 v24, 0
	v_mov_b32_e32 v46, 0
	s_and_saveexec_b64 s[26:27], vcc
	s_cbranch_execz .LBB272_633
; %bb.628:                              ;   in Loop: Header=BB272_9 Depth=1
	v_lshrrev_b32_e32 v4, 24, v8
	v_cmp_ne_u32_e32 vcc, s21, v4
	v_bfrev_b32_e32 v46, 1
	s_and_saveexec_b64 s[28:29], vcc
	s_cbranch_execz .LBB272_632
; %bb.629:                              ;   in Loop: Header=BB272_9 Depth=1
	v_and_b32_e32 v8, 0x7f, v4
	v_cmp_ne_u32_e32 vcc, s42, v8
	v_mov_b32_e32 v46, 0x7c010000
	s_and_saveexec_b64 s[40:41], vcc
	s_cbranch_execz .LBB272_631
; %bb.630:                              ;   in Loop: Header=BB272_9 Depth=1
	v_and_b32_e32 v14, 7, v4
	v_lshrrev_b32_e32 v15, 3, v8
	v_cmp_gt_u32_e32 vcc, 8, v8
	v_ffbh_u32_e32 v8, v14
	v_min_u32_e32 v8, 32, v8
	v_subrev_u32_e32 v11, 28, v8
	v_lshlrev_b64 v[11:12], v11, v[4:5]
	v_sub_u32_e32 v8, 29, v8
	v_cndmask_b32_e32 v8, v15, v8, vcc
	v_mov_b32_e32 v12, 0x2000
	v_lshlrev_b32_e32 v4, 8, v4
	v_lshl_add_u32 v8, v8, 10, v12
	v_and_b32_e32 v11, 7, v11
	v_and_or_b32 v4, v4, s43, v8
	v_cndmask_b32_e32 v11, v14, v11, vcc
	v_lshlrev_b32_e32 v4, 16, v4
	v_lshl_or_b32 v46, v11, 23, v4
.LBB272_631:                            ;   in Loop: Header=BB272_9 Depth=1
	s_or_b64 exec, exec, s[40:41]
.LBB272_632:                            ;   in Loop: Header=BB272_9 Depth=1
	s_or_b64 exec, exec, s[28:29]
.LBB272_633:                            ;   in Loop: Header=BB272_9 Depth=1
	s_or_b64 exec, exec, s[26:27]
	buffer_load_dword v4, off, s[0:3], s32 offset:72 ; 4-byte Folded Reload
	v_add_co_u32_e32 v11, vcc, 0x1a00, v16
	v_addc_co_u32_e32 v12, vcc, 0, v17, vcc
	s_waitcnt vmcnt(0)
	v_add_co_u32_e32 v14, vcc, v11, v4
	v_addc_co_u32_e32 v15, vcc, 0, v12, vcc
	flat_load_dword v8, v[14:15]
	s_waitcnt vmcnt(0) lgkmcnt(0)
	v_cmp_ne_u16_sdwa s[28:29], v8, v5 src0_sel:BYTE_0 src1_sel:DWORD
	s_and_saveexec_b64 s[26:27], s[28:29]
	s_cbranch_execz .LBB272_639
; %bb.634:                              ;   in Loop: Header=BB272_9 Depth=1
	v_cmp_ne_u16_sdwa s[40:41], v8, s21 src0_sel:BYTE_0 src1_sel:DWORD
	v_mov_b32_e32 v24, 0x8000
	s_and_saveexec_b64 s[28:29], s[40:41]
	s_cbranch_execz .LBB272_638
; %bb.635:                              ;   in Loop: Header=BB272_9 Depth=1
	v_and_b32_e32 v4, 0x7f, v8
	v_cmp_ne_u32_e32 vcc, s42, v4
	v_mov_b32_e32 v24, 0x7c01
	s_and_saveexec_b64 s[40:41], vcc
	s_cbranch_execz .LBB272_637
; %bb.636:                              ;   in Loop: Header=BB272_9 Depth=1
	v_and_b32_e32 v18, 7, v8
	v_lshrrev_b32_e32 v20, 3, v4
	v_cmp_gt_u32_e32 vcc, 8, v4
	v_ffbh_u32_e32 v4, v18
	v_min_u32_e32 v4, 32, v4
	v_subrev_u32_e32 v14, 28, v4
	v_sub_u32_e32 v4, 29, v4
	v_lshlrev_b64 v[14:15], v14, v[8:9]
	v_cndmask_b32_e32 v4, v20, v4, vcc
	v_mov_b32_e32 v20, 0x2000
	v_lshl_add_u32 v4, v4, 10, v20
	v_lshlrev_b32_e32 v15, 8, v8
	v_and_b32_e32 v14, 7, v14
	v_and_b32_e32 v4, 0xfc00, v4
	v_cndmask_b32_e32 v14, v18, v14, vcc
	v_and_or_b32 v4, v15, s43, v4
	v_lshl_or_b32 v24, v14, 7, v4
.LBB272_637:                            ;   in Loop: Header=BB272_9 Depth=1
	s_or_b64 exec, exec, s[40:41]
.LBB272_638:                            ;   in Loop: Header=BB272_9 Depth=1
	s_or_b64 exec, exec, s[28:29]
.LBB272_639:                            ;   in Loop: Header=BB272_9 Depth=1
	s_or_b64 exec, exec, s[26:27]
	v_lshrrev_b16_e32 v4, 8, v8
	v_cmp_ne_u16_e32 vcc, 0, v4
	v_mov_b32_e32 v18, 0
	v_mov_b32_e32 v14, 0
	s_and_saveexec_b64 s[26:27], vcc
	s_cbranch_execz .LBB272_645
; %bb.640:                              ;   in Loop: Header=BB272_9 Depth=1
	v_cmp_ne_u16_e32 vcc, s21, v4
	v_bfrev_b32_e32 v14, 1
	s_and_saveexec_b64 s[28:29], vcc
	s_cbranch_execz .LBB272_644
; %bb.641:                              ;   in Loop: Header=BB272_9 Depth=1
	v_and_b32_e32 v15, 0x7f, v4
	v_cmp_ne_u32_e32 vcc, s42, v15
	v_mov_b32_e32 v14, 0x7c010000
	s_and_saveexec_b64 s[40:41], vcc
	s_cbranch_execz .LBB272_643
; %bb.642:                              ;   in Loop: Header=BB272_9 Depth=1
	v_and_b32_e32 v20, 7, v4
	v_ffbh_u32_e32 v14, v20
	v_min_u32_e32 v25, 32, v14
	v_subrev_u32_e32 v14, 28, v25
	v_lshrrev_b32_e32 v21, 3, v15
	v_cmp_gt_u32_e32 vcc, 8, v15
	v_lshlrev_b64 v[14:15], v14, v[4:5]
	v_sub_u32_e32 v15, 29, v25
	v_cndmask_b32_e32 v15, v21, v15, vcc
	v_mov_b32_e32 v21, 0x2000
	v_lshlrev_b32_e32 v4, 8, v4
	v_lshl_add_u32 v15, v15, 10, v21
	v_and_b32_e32 v14, 7, v14
	v_and_or_b32 v4, v4, s43, v15
	v_cndmask_b32_e32 v14, v20, v14, vcc
	v_lshlrev_b32_e32 v4, 16, v4
	v_lshl_or_b32 v14, v14, 23, v4
.LBB272_643:                            ;   in Loop: Header=BB272_9 Depth=1
	s_or_b64 exec, exec, s[40:41]
.LBB272_644:                            ;   in Loop: Header=BB272_9 Depth=1
	s_or_b64 exec, exec, s[28:29]
.LBB272_645:                            ;   in Loop: Header=BB272_9 Depth=1
	s_or_b64 exec, exec, s[26:27]
	v_lshrrev_b32_e32 v4, 16, v8
	v_cmp_ne_u16_sdwa s[28:29], v4, v5 src0_sel:BYTE_0 src1_sel:DWORD
	s_and_saveexec_b64 s[26:27], s[28:29]
	s_cbranch_execz .LBB272_651
; %bb.646:                              ;   in Loop: Header=BB272_9 Depth=1
	v_cmp_ne_u16_sdwa s[40:41], v4, s21 src0_sel:BYTE_0 src1_sel:DWORD
	v_mov_b32_e32 v18, 0x8000
	s_and_saveexec_b64 s[28:29], s[40:41]
	s_cbranch_execz .LBB272_650
; %bb.647:                              ;   in Loop: Header=BB272_9 Depth=1
	v_bfe_u32 v15, v8, 16, 7
	v_cmp_ne_u32_e32 vcc, s42, v15
	v_mov_b32_e32 v18, 0x7c01
	s_and_saveexec_b64 s[40:41], vcc
	s_cbranch_execz .LBB272_649
; %bb.648:                              ;   in Loop: Header=BB272_9 Depth=1
	v_and_b32_e32 v18, 7, v4
	v_lshrrev_b32_e32 v25, 3, v15
	v_cmp_gt_u32_e32 vcc, 8, v15
	v_ffbh_u32_e32 v15, v18
	v_min_u32_e32 v15, 32, v15
	v_subrev_u32_e32 v20, 28, v15
	v_lshlrev_b64 v[20:21], v20, v[4:5]
	v_sub_u32_e32 v15, 29, v15
	v_cndmask_b32_e32 v15, v25, v15, vcc
	v_mov_b32_e32 v21, 0x2000
	v_lshl_add_u32 v15, v15, 10, v21
	v_lshlrev_b32_e32 v4, 8, v4
	v_and_b32_e32 v20, 7, v20
	v_and_b32_e32 v15, 0xfc00, v15
	v_cndmask_b32_e32 v18, v18, v20, vcc
	v_and_or_b32 v4, v4, s43, v15
	v_lshl_or_b32 v18, v18, 7, v4
.LBB272_649:                            ;   in Loop: Header=BB272_9 Depth=1
	s_or_b64 exec, exec, s[40:41]
.LBB272_650:                            ;   in Loop: Header=BB272_9 Depth=1
	s_or_b64 exec, exec, s[28:29]
.LBB272_651:                            ;   in Loop: Header=BB272_9 Depth=1
	s_or_b64 exec, exec, s[26:27]
	v_cmp_lt_u32_e32 vcc, s44, v8
	v_mov_b32_e32 v21, 0
	v_mov_b32_e32 v20, 0
	s_and_saveexec_b64 s[26:27], vcc
	s_cbranch_execz .LBB272_657
; %bb.652:                              ;   in Loop: Header=BB272_9 Depth=1
	v_lshrrev_b32_e32 v4, 24, v8
	v_cmp_ne_u32_e32 vcc, s21, v4
	v_bfrev_b32_e32 v20, 1
	s_and_saveexec_b64 s[28:29], vcc
	s_cbranch_execz .LBB272_656
; %bb.653:                              ;   in Loop: Header=BB272_9 Depth=1
	v_and_b32_e32 v8, 0x7f, v4
	v_cmp_ne_u32_e32 vcc, s42, v8
	v_mov_b32_e32 v20, 0x7c010000
	s_and_saveexec_b64 s[40:41], vcc
	s_cbranch_execz .LBB272_655
; %bb.654:                              ;   in Loop: Header=BB272_9 Depth=1
	v_and_b32_e32 v15, 7, v4
	v_lshrrev_b32_e32 v20, 3, v8
	v_cmp_gt_u32_e32 vcc, 8, v8
	v_ffbh_u32_e32 v8, v15
	v_min_u32_e32 v8, 32, v8
	v_subrev_u32_e32 v25, 28, v8
	v_sub_u32_e32 v8, 29, v8
	v_lshlrev_b64 v[54:55], v25, v[4:5]
	v_cndmask_b32_e32 v8, v20, v8, vcc
	v_mov_b32_e32 v20, 0x2000
	v_lshlrev_b32_e32 v4, 8, v4
	v_lshl_add_u32 v8, v8, 10, v20
	v_and_b32_e32 v20, 7, v54
	v_and_or_b32 v4, v4, s43, v8
	v_cndmask_b32_e32 v15, v15, v20, vcc
	v_lshlrev_b32_e32 v4, 16, v4
	v_lshl_or_b32 v20, v15, 23, v4
.LBB272_655:                            ;   in Loop: Header=BB272_9 Depth=1
	s_or_b64 exec, exec, s[40:41]
.LBB272_656:                            ;   in Loop: Header=BB272_9 Depth=1
	s_or_b64 exec, exec, s[28:29]
.LBB272_657:                            ;   in Loop: Header=BB272_9 Depth=1
	s_or_b64 exec, exec, s[26:27]
	buffer_load_dword v4, off, s[0:3], s32 offset:76 ; 4-byte Folded Reload
	s_waitcnt vmcnt(0)
	v_add_co_u32_e32 v11, vcc, v11, v4
	v_addc_co_u32_e32 v12, vcc, 0, v12, vcc
	flat_load_dword v8, v[11:12]
	s_waitcnt vmcnt(0) lgkmcnt(0)
	v_cmp_ne_u16_sdwa s[28:29], v8, v5 src0_sel:BYTE_0 src1_sel:DWORD
	s_and_saveexec_b64 s[26:27], s[28:29]
	s_cbranch_execz .LBB272_663
; %bb.658:                              ;   in Loop: Header=BB272_9 Depth=1
	v_cmp_ne_u16_sdwa s[40:41], v8, s21 src0_sel:BYTE_0 src1_sel:DWORD
	v_mov_b32_e32 v21, 0x8000
	s_and_saveexec_b64 s[28:29], s[40:41]
	s_cbranch_execz .LBB272_662
; %bb.659:                              ;   in Loop: Header=BB272_9 Depth=1
	v_and_b32_e32 v4, 0x7f, v8
	v_cmp_ne_u32_e32 vcc, s42, v4
	v_mov_b32_e32 v21, 0x7c01
	s_and_saveexec_b64 s[40:41], vcc
	s_cbranch_execz .LBB272_661
; %bb.660:                              ;   in Loop: Header=BB272_9 Depth=1
	v_and_b32_e32 v15, 7, v8
	v_lshrrev_b32_e32 v21, 3, v4
	v_cmp_gt_u32_e32 vcc, 8, v4
	v_ffbh_u32_e32 v4, v15
	v_min_u32_e32 v4, 32, v4
	v_subrev_u32_e32 v11, 28, v4
	v_sub_u32_e32 v4, 29, v4
	v_lshlrev_b64 v[11:12], v11, v[8:9]
	v_cndmask_b32_e32 v4, v21, v4, vcc
	v_mov_b32_e32 v21, 0x2000
	v_lshl_add_u32 v4, v4, 10, v21
	v_lshlrev_b32_e32 v12, 8, v8
	v_and_b32_e32 v11, 7, v11
	v_and_b32_e32 v4, 0xfc00, v4
	v_cndmask_b32_e32 v11, v15, v11, vcc
	v_and_or_b32 v4, v12, s43, v4
	v_lshl_or_b32 v21, v11, 7, v4
.LBB272_661:                            ;   in Loop: Header=BB272_9 Depth=1
	s_or_b64 exec, exec, s[40:41]
.LBB272_662:                            ;   in Loop: Header=BB272_9 Depth=1
	s_or_b64 exec, exec, s[28:29]
.LBB272_663:                            ;   in Loop: Header=BB272_9 Depth=1
	s_or_b64 exec, exec, s[26:27]
	v_lshrrev_b16_e32 v4, 8, v8
	v_cmp_ne_u16_e32 vcc, 0, v4
	v_mov_b32_e32 v12, 0
	v_mov_b32_e32 v56, 0
	s_and_saveexec_b64 s[26:27], vcc
	s_cbranch_execz .LBB272_669
; %bb.664:                              ;   in Loop: Header=BB272_9 Depth=1
	v_cmp_ne_u16_e32 vcc, s21, v4
	v_bfrev_b32_e32 v56, 1
	s_and_saveexec_b64 s[28:29], vcc
	s_cbranch_execz .LBB272_668
; %bb.665:                              ;   in Loop: Header=BB272_9 Depth=1
	v_and_b32_e32 v11, 0x7f, v4
	v_cmp_ne_u32_e32 vcc, s42, v11
	v_mov_b32_e32 v56, 0x7c010000
	s_and_saveexec_b64 s[40:41], vcc
	s_cbranch_execz .LBB272_667
; %bb.666:                              ;   in Loop: Header=BB272_9 Depth=1
	v_and_b32_e32 v15, 7, v4
	v_lshrrev_b32_e32 v25, 3, v11
	v_cmp_gt_u32_e32 vcc, 8, v11
	v_ffbh_u32_e32 v11, v15
	v_min_u32_e32 v11, 32, v11
	v_subrev_u32_e32 v26, 28, v11
	v_sub_u32_e32 v11, 29, v11
	v_lshlrev_b64 v[54:55], v26, v[4:5]
	v_cndmask_b32_e32 v11, v25, v11, vcc
	v_mov_b32_e32 v25, 0x2000
	v_lshlrev_b32_e32 v4, 8, v4
	v_lshl_add_u32 v11, v11, 10, v25
	v_and_b32_e32 v25, 7, v54
	v_and_or_b32 v4, v4, s43, v11
	v_cndmask_b32_e32 v15, v15, v25, vcc
	v_lshlrev_b32_e32 v4, 16, v4
	v_lshl_or_b32 v56, v15, 23, v4
.LBB272_667:                            ;   in Loop: Header=BB272_9 Depth=1
	s_or_b64 exec, exec, s[40:41]
.LBB272_668:                            ;   in Loop: Header=BB272_9 Depth=1
	s_or_b64 exec, exec, s[28:29]
.LBB272_669:                            ;   in Loop: Header=BB272_9 Depth=1
	s_or_b64 exec, exec, s[26:27]
	v_lshrrev_b32_e32 v4, 16, v8
	v_cmp_ne_u16_sdwa s[28:29], v4, v5 src0_sel:BYTE_0 src1_sel:DWORD
	s_and_saveexec_b64 s[26:27], s[28:29]
	s_cbranch_execz .LBB272_675
; %bb.670:                              ;   in Loop: Header=BB272_9 Depth=1
	v_cmp_ne_u16_sdwa s[40:41], v4, s21 src0_sel:BYTE_0 src1_sel:DWORD
	v_mov_b32_e32 v12, 0x8000
	s_and_saveexec_b64 s[28:29], s[40:41]
	s_cbranch_execz .LBB272_674
; %bb.671:                              ;   in Loop: Header=BB272_9 Depth=1
	v_bfe_u32 v11, v8, 16, 7
	v_cmp_ne_u32_e32 vcc, s42, v11
	v_mov_b32_e32 v12, 0x7c01
	s_and_saveexec_b64 s[40:41], vcc
	s_cbranch_execz .LBB272_673
; %bb.672:                              ;   in Loop: Header=BB272_9 Depth=1
	v_and_b32_e32 v15, 7, v4
	v_lshrrev_b32_e32 v25, 3, v11
	v_cmp_gt_u32_e32 vcc, 8, v11
	v_ffbh_u32_e32 v11, v15
	v_min_u32_e32 v26, 32, v11
	v_subrev_u32_e32 v11, 28, v26
	v_lshlrev_b64 v[11:12], v11, v[4:5]
	v_sub_u32_e32 v12, 29, v26
	v_cndmask_b32_e32 v12, v25, v12, vcc
	v_mov_b32_e32 v25, 0x2000
	v_lshl_add_u32 v12, v12, 10, v25
	v_lshlrev_b32_e32 v4, 8, v4
	v_and_b32_e32 v11, 7, v11
	v_and_b32_e32 v12, 0xfc00, v12
	v_cndmask_b32_e32 v11, v15, v11, vcc
	v_and_or_b32 v4, v4, s43, v12
	v_lshl_or_b32 v12, v11, 7, v4
.LBB272_673:                            ;   in Loop: Header=BB272_9 Depth=1
	s_or_b64 exec, exec, s[40:41]
.LBB272_674:                            ;   in Loop: Header=BB272_9 Depth=1
	s_or_b64 exec, exec, s[28:29]
.LBB272_675:                            ;   in Loop: Header=BB272_9 Depth=1
	s_or_b64 exec, exec, s[26:27]
	v_cmp_lt_u32_e32 vcc, s44, v8
	v_mov_b32_e32 v40, 0
	v_mov_b32_e32 v58, 0
	s_and_saveexec_b64 s[26:27], vcc
	s_cbranch_execz .LBB272_681
; %bb.676:                              ;   in Loop: Header=BB272_9 Depth=1
	v_lshrrev_b32_e32 v4, 24, v8
	v_cmp_ne_u32_e32 vcc, s21, v4
	v_bfrev_b32_e32 v58, 1
	s_and_saveexec_b64 s[28:29], vcc
	s_cbranch_execz .LBB272_680
; %bb.677:                              ;   in Loop: Header=BB272_9 Depth=1
	v_and_b32_e32 v8, 0x7f, v4
	v_cmp_ne_u32_e32 vcc, s42, v8
	v_mov_b32_e32 v58, 0x7c010000
	s_and_saveexec_b64 s[40:41], vcc
	s_cbranch_execz .LBB272_679
; %bb.678:                              ;   in Loop: Header=BB272_9 Depth=1
	v_and_b32_e32 v11, 7, v4
	v_lshrrev_b32_e32 v15, 3, v8
	v_cmp_gt_u32_e32 vcc, 8, v8
	v_ffbh_u32_e32 v8, v11
	v_min_u32_e32 v8, 32, v8
	v_subrev_u32_e32 v25, 28, v8
	v_sub_u32_e32 v8, 29, v8
	v_lshlrev_b64 v[54:55], v25, v[4:5]
	v_cndmask_b32_e32 v8, v15, v8, vcc
	v_mov_b32_e32 v15, 0x2000
	v_lshlrev_b32_e32 v4, 8, v4
	v_lshl_add_u32 v8, v8, 10, v15
	v_and_b32_e32 v15, 7, v54
	v_and_or_b32 v4, v4, s43, v8
	v_cndmask_b32_e32 v11, v11, v15, vcc
	v_lshlrev_b32_e32 v4, 16, v4
	v_lshl_or_b32 v58, v11, 23, v4
.LBB272_679:                            ;   in Loop: Header=BB272_9 Depth=1
	s_or_b64 exec, exec, s[40:41]
.LBB272_680:                            ;   in Loop: Header=BB272_9 Depth=1
	s_or_b64 exec, exec, s[28:29]
.LBB272_681:                            ;   in Loop: Header=BB272_9 Depth=1
	s_or_b64 exec, exec, s[26:27]
	buffer_load_dword v4, off, s[0:3], s32 offset:72 ; 4-byte Folded Reload
	v_add_co_u32_e32 v11, vcc, 0x1c00, v16
	v_addc_co_u32_e32 v29, vcc, 0, v17, vcc
	s_waitcnt vmcnt(0)
	v_add_co_u32_e32 v54, vcc, v11, v4
	v_addc_co_u32_e32 v55, vcc, 0, v29, vcc
	flat_load_dword v8, v[54:55]
	s_waitcnt vmcnt(0) lgkmcnt(0)
	v_cmp_ne_u16_sdwa s[28:29], v8, v5 src0_sel:BYTE_0 src1_sel:DWORD
	s_and_saveexec_b64 s[26:27], s[28:29]
	s_cbranch_execz .LBB272_687
; %bb.682:                              ;   in Loop: Header=BB272_9 Depth=1
	v_cmp_ne_u16_sdwa s[40:41], v8, s21 src0_sel:BYTE_0 src1_sel:DWORD
	v_mov_b32_e32 v40, 0x8000
	s_and_saveexec_b64 s[28:29], s[40:41]
	s_cbranch_execz .LBB272_686
; %bb.683:                              ;   in Loop: Header=BB272_9 Depth=1
	v_and_b32_e32 v4, 0x7f, v8
	v_cmp_ne_u32_e32 vcc, s42, v4
	v_mov_b32_e32 v40, 0x7c01
	s_and_saveexec_b64 s[40:41], vcc
	s_cbranch_execz .LBB272_685
; %bb.684:                              ;   in Loop: Header=BB272_9 Depth=1
	v_and_b32_e32 v15, 7, v8
	v_lshrrev_b32_e32 v25, 3, v4
	v_cmp_gt_u32_e32 vcc, 8, v4
	v_ffbh_u32_e32 v4, v15
	v_min_u32_e32 v4, 32, v4
	v_subrev_u32_e32 v26, 28, v4
	v_sub_u32_e32 v4, 29, v4
	v_lshlrev_b64 v[54:55], v26, v[8:9]
	v_cndmask_b32_e32 v4, v25, v4, vcc
	v_mov_b32_e32 v26, 0x2000
	v_lshl_add_u32 v4, v4, 10, v26
	v_lshlrev_b32_e32 v25, 8, v8
	v_and_b32_e32 v26, 7, v54
	v_and_b32_e32 v4, 0xfc00, v4
	v_cndmask_b32_e32 v15, v15, v26, vcc
	v_and_or_b32 v4, v25, s43, v4
	v_lshl_or_b32 v40, v15, 7, v4
.LBB272_685:                            ;   in Loop: Header=BB272_9 Depth=1
	s_or_b64 exec, exec, s[40:41]
.LBB272_686:                            ;   in Loop: Header=BB272_9 Depth=1
	s_or_b64 exec, exec, s[28:29]
.LBB272_687:                            ;   in Loop: Header=BB272_9 Depth=1
	s_or_b64 exec, exec, s[26:27]
	v_lshrrev_b16_e32 v4, 8, v8
	v_cmp_ne_u16_e32 vcc, 0, v4
	v_mov_b32_e32 v15, 0
	v_mov_b32_e32 v38, 0
	s_and_saveexec_b64 s[26:27], vcc
	s_cbranch_execz .LBB272_693
; %bb.688:                              ;   in Loop: Header=BB272_9 Depth=1
	v_cmp_ne_u16_e32 vcc, s21, v4
	v_bfrev_b32_e32 v38, 1
	s_and_saveexec_b64 s[28:29], vcc
	s_cbranch_execz .LBB272_692
; %bb.689:                              ;   in Loop: Header=BB272_9 Depth=1
	v_and_b32_e32 v52, 0x7f, v4
	v_cmp_ne_u32_e32 vcc, s42, v52
	v_mov_b32_e32 v38, 0x7c010000
	s_and_saveexec_b64 s[40:41], vcc
	s_cbranch_execz .LBB272_691
; %bb.690:                              ;   in Loop: Header=BB272_9 Depth=1
	v_and_b32_e32 v25, 7, v4
	v_ffbh_u32_e32 v38, v25
	v_min_u32_e32 v38, 32, v38
	v_lshrrev_b32_e32 v26, 3, v52
	v_cmp_gt_u32_e32 vcc, 8, v52
	v_subrev_u32_e32 v52, 28, v38
	v_sub_u32_e32 v38, 29, v38
	v_lshlrev_b64 v[54:55], v52, v[4:5]
	v_cndmask_b32_e32 v26, v26, v38, vcc
	v_mov_b32_e32 v38, v35
	v_mov_b32_e32 v35, 0x2000
	v_lshlrev_b32_e32 v4, 8, v4
	v_lshl_add_u32 v26, v26, 10, v35
	v_mov_b32_e32 v35, v38
	v_and_b32_e32 v38, 7, v54
	v_and_or_b32 v4, v4, s43, v26
	v_cndmask_b32_e32 v25, v25, v38, vcc
	v_lshlrev_b32_e32 v4, 16, v4
	v_lshl_or_b32 v38, v25, 23, v4
.LBB272_691:                            ;   in Loop: Header=BB272_9 Depth=1
	s_or_b64 exec, exec, s[40:41]
.LBB272_692:                            ;   in Loop: Header=BB272_9 Depth=1
	s_or_b64 exec, exec, s[28:29]
.LBB272_693:                            ;   in Loop: Header=BB272_9 Depth=1
	s_or_b64 exec, exec, s[26:27]
	v_lshrrev_b32_e32 v4, 16, v8
	v_cmp_ne_u16_sdwa s[28:29], v4, v5 src0_sel:BYTE_0 src1_sel:DWORD
	s_and_saveexec_b64 s[26:27], s[28:29]
	s_cbranch_execz .LBB272_699
; %bb.694:                              ;   in Loop: Header=BB272_9 Depth=1
	v_cmp_ne_u16_sdwa s[40:41], v4, s21 src0_sel:BYTE_0 src1_sel:DWORD
	v_mov_b32_e32 v15, 0x8000
	s_and_saveexec_b64 s[28:29], s[40:41]
	s_cbranch_execz .LBB272_698
; %bb.695:                              ;   in Loop: Header=BB272_9 Depth=1
	v_bfe_u32 v52, v8, 16, 7
	v_cmp_ne_u32_e32 vcc, s42, v52
	v_mov_b32_e32 v15, 0x7c01
	s_and_saveexec_b64 s[40:41], vcc
	s_cbranch_execz .LBB272_697
; %bb.696:                              ;   in Loop: Header=BB272_9 Depth=1
	v_and_b32_e32 v15, 7, v4
	v_ffbh_u32_e32 v26, v15
	v_min_u32_e32 v26, 32, v26
	v_lshrrev_b32_e32 v25, 3, v52
	v_cmp_gt_u32_e32 vcc, 8, v52
	v_subrev_u32_e32 v52, 28, v26
	v_sub_u32_e32 v26, 29, v26
	v_lshlrev_b64 v[54:55], v52, v[4:5]
	v_cndmask_b32_e32 v25, v25, v26, vcc
	v_mov_b32_e32 v26, 0x2000
	v_lshl_add_u32 v25, v25, 10, v26
	v_lshlrev_b32_e32 v4, 8, v4
	v_and_b32_e32 v26, 7, v54
	v_and_b32_e32 v25, 0xfc00, v25
	v_cndmask_b32_e32 v15, v15, v26, vcc
	v_and_or_b32 v4, v4, s43, v25
	v_lshl_or_b32 v15, v15, 7, v4
.LBB272_697:                            ;   in Loop: Header=BB272_9 Depth=1
	s_or_b64 exec, exec, s[40:41]
.LBB272_698:                            ;   in Loop: Header=BB272_9 Depth=1
	s_or_b64 exec, exec, s[28:29]
.LBB272_699:                            ;   in Loop: Header=BB272_9 Depth=1
	s_or_b64 exec, exec, s[26:27]
	v_cmp_lt_u32_e32 vcc, s44, v8
	v_mov_b32_e32 v41, 0
	v_mov_b32_e32 v54, 0
	s_and_saveexec_b64 s[26:27], vcc
	s_cbranch_execz .LBB272_705
; %bb.700:                              ;   in Loop: Header=BB272_9 Depth=1
	v_lshrrev_b32_e32 v4, 24, v8
	v_cmp_ne_u32_e32 vcc, s21, v4
	v_bfrev_b32_e32 v54, 1
	s_and_saveexec_b64 s[28:29], vcc
	s_cbranch_execz .LBB272_704
; %bb.701:                              ;   in Loop: Header=BB272_9 Depth=1
	v_and_b32_e32 v8, 0x7f, v4
	v_cmp_ne_u32_e32 vcc, s42, v8
	v_mov_b32_e32 v54, 0x7c010000
	s_and_saveexec_b64 s[40:41], vcc
	s_cbranch_execz .LBB272_703
; %bb.702:                              ;   in Loop: Header=BB272_9 Depth=1
	v_and_b32_e32 v25, 7, v4
	v_lshrrev_b32_e32 v26, 3, v8
	v_cmp_gt_u32_e32 vcc, 8, v8
	v_ffbh_u32_e32 v8, v25
	v_min_u32_e32 v8, 32, v8
	v_subrev_u32_e32 v52, 28, v8
	v_sub_u32_e32 v8, 29, v8
	v_lshlrev_b64 v[54:55], v52, v[4:5]
	v_cndmask_b32_e32 v8, v26, v8, vcc
	v_mov_b32_e32 v26, 0x2000
	v_lshlrev_b32_e32 v4, 8, v4
	v_lshl_add_u32 v8, v8, 10, v26
	v_and_b32_e32 v26, 7, v54
	v_and_or_b32 v4, v4, s43, v8
	v_cndmask_b32_e32 v25, v25, v26, vcc
	v_lshlrev_b32_e32 v4, 16, v4
	v_lshl_or_b32 v54, v25, 23, v4
.LBB272_703:                            ;   in Loop: Header=BB272_9 Depth=1
	s_or_b64 exec, exec, s[40:41]
.LBB272_704:                            ;   in Loop: Header=BB272_9 Depth=1
	s_or_b64 exec, exec, s[28:29]
.LBB272_705:                            ;   in Loop: Header=BB272_9 Depth=1
	s_or_b64 exec, exec, s[26:27]
	buffer_load_dword v4, off, s[0:3], s32 offset:76 ; 4-byte Folded Reload
	s_waitcnt vmcnt(0)
	v_add_co_u32_e32 v42, vcc, v11, v4
	v_addc_co_u32_e32 v43, vcc, 0, v29, vcc
	flat_load_dword v8, v[42:43]
	s_waitcnt vmcnt(0) lgkmcnt(0)
	v_cmp_ne_u16_sdwa s[28:29], v8, v5 src0_sel:BYTE_0 src1_sel:DWORD
	s_and_saveexec_b64 s[26:27], s[28:29]
	s_cbranch_execz .LBB272_711
; %bb.706:                              ;   in Loop: Header=BB272_9 Depth=1
	v_cmp_ne_u16_sdwa s[40:41], v8, s21 src0_sel:BYTE_0 src1_sel:DWORD
	v_mov_b32_e32 v41, 0x8000
	s_and_saveexec_b64 s[28:29], s[40:41]
	s_cbranch_execz .LBB272_710
; %bb.707:                              ;   in Loop: Header=BB272_9 Depth=1
	v_and_b32_e32 v4, 0x7f, v8
	v_cmp_ne_u32_e32 vcc, s42, v4
	v_mov_b32_e32 v41, 0x7c01
	s_and_saveexec_b64 s[40:41], vcc
	s_cbranch_execz .LBB272_709
; %bb.708:                              ;   in Loop: Header=BB272_9 Depth=1
	v_and_b32_e32 v11, 7, v8
	v_lshrrev_b32_e32 v25, 3, v4
	v_cmp_gt_u32_e32 vcc, 8, v4
	v_ffbh_u32_e32 v4, v11
	v_min_u32_e32 v4, 32, v4
	v_subrev_u32_e32 v26, 28, v4
	v_sub_u32_e32 v4, 29, v4
	v_lshlrev_b64 v[41:42], v26, v[8:9]
	v_cndmask_b32_e32 v4, v25, v4, vcc
	v_mov_b32_e32 v26, 0x2000
	v_lshl_add_u32 v4, v4, 10, v26
	v_lshlrev_b32_e32 v25, 8, v8
	v_and_b32_e32 v26, 7, v41
	v_and_b32_e32 v4, 0xfc00, v4
	v_cndmask_b32_e32 v11, v11, v26, vcc
	v_and_or_b32 v4, v25, s43, v4
	v_lshl_or_b32 v41, v11, 7, v4
.LBB272_709:                            ;   in Loop: Header=BB272_9 Depth=1
	s_or_b64 exec, exec, s[40:41]
.LBB272_710:                            ;   in Loop: Header=BB272_9 Depth=1
	s_or_b64 exec, exec, s[28:29]
.LBB272_711:                            ;   in Loop: Header=BB272_9 Depth=1
	s_or_b64 exec, exec, s[26:27]
	v_lshrrev_b16_e32 v4, 8, v8
	v_cmp_ne_u16_e32 vcc, 0, v4
	v_mov_b32_e32 v42, 0
	v_mov_b32_e32 v29, 0
	s_and_saveexec_b64 s[26:27], vcc
	s_cbranch_execz .LBB272_717
; %bb.712:                              ;   in Loop: Header=BB272_9 Depth=1
	v_cmp_ne_u16_e32 vcc, s21, v4
	v_bfrev_b32_e32 v29, 1
	s_and_saveexec_b64 s[28:29], vcc
	s_cbranch_execz .LBB272_716
; %bb.713:                              ;   in Loop: Header=BB272_9 Depth=1
	v_and_b32_e32 v11, 0x7f, v4
	v_cmp_ne_u32_e32 vcc, s42, v11
	v_mov_b32_e32 v29, 0x7c010000
	s_and_saveexec_b64 s[40:41], vcc
	s_cbranch_execz .LBB272_715
; %bb.714:                              ;   in Loop: Header=BB272_9 Depth=1
	v_and_b32_e32 v29, 7, v4
	v_lshrrev_b32_e32 v52, 3, v11
	v_cmp_gt_u32_e32 vcc, 8, v11
	v_ffbh_u32_e32 v11, v29
	v_min_u32_e32 v11, 32, v11
	v_subrev_u32_e32 v25, 28, v11
	v_lshlrev_b64 v[25:26], v25, v[4:5]
	v_sub_u32_e32 v11, 29, v11
	v_cndmask_b32_e32 v11, v52, v11, vcc
	v_mov_b32_e32 v26, 0x2000
	v_lshlrev_b32_e32 v4, 8, v4
	v_lshl_add_u32 v11, v11, 10, v26
	v_and_b32_e32 v25, 7, v25
	v_and_or_b32 v4, v4, s43, v11
	v_cndmask_b32_e32 v25, v29, v25, vcc
	v_lshlrev_b32_e32 v4, 16, v4
	v_lshl_or_b32 v29, v25, 23, v4
.LBB272_715:                            ;   in Loop: Header=BB272_9 Depth=1
	s_or_b64 exec, exec, s[40:41]
.LBB272_716:                            ;   in Loop: Header=BB272_9 Depth=1
	s_or_b64 exec, exec, s[28:29]
.LBB272_717:                            ;   in Loop: Header=BB272_9 Depth=1
	s_or_b64 exec, exec, s[26:27]
	v_lshrrev_b32_e32 v4, 16, v8
	v_cmp_ne_u16_sdwa s[28:29], v4, v5 src0_sel:BYTE_0 src1_sel:DWORD
	s_and_saveexec_b64 s[26:27], s[28:29]
	s_cbranch_execz .LBB272_723
; %bb.718:                              ;   in Loop: Header=BB272_9 Depth=1
	v_cmp_ne_u16_sdwa s[40:41], v4, s21 src0_sel:BYTE_0 src1_sel:DWORD
	v_mov_b32_e32 v42, 0x8000
	s_and_saveexec_b64 s[28:29], s[40:41]
	s_cbranch_execz .LBB272_722
; %bb.719:                              ;   in Loop: Header=BB272_9 Depth=1
	v_bfe_u32 v11, v8, 16, 7
	v_cmp_ne_u32_e32 vcc, s42, v11
	v_mov_b32_e32 v42, 0x7c01
	s_and_saveexec_b64 s[40:41], vcc
	s_cbranch_execz .LBB272_721
; %bb.720:                              ;   in Loop: Header=BB272_9 Depth=1
	v_and_b32_e32 v52, 7, v4
	v_lshrrev_b32_e32 v55, 3, v11
	v_cmp_gt_u32_e32 vcc, 8, v11
	v_ffbh_u32_e32 v11, v52
	v_min_u32_e32 v11, 32, v11
	v_subrev_u32_e32 v25, 28, v11
	v_lshlrev_b64 v[25:26], v25, v[4:5]
	v_sub_u32_e32 v11, 29, v11
	v_cndmask_b32_e32 v11, v55, v11, vcc
	v_mov_b32_e32 v26, 0x2000
	v_lshl_add_u32 v11, v11, 10, v26
	v_lshlrev_b32_e32 v4, 8, v4
	v_and_b32_e32 v25, 7, v25
	v_and_b32_e32 v11, 0xfc00, v11
	v_cndmask_b32_e32 v25, v52, v25, vcc
	v_and_or_b32 v4, v4, s43, v11
	v_lshl_or_b32 v42, v25, 7, v4
.LBB272_721:                            ;   in Loop: Header=BB272_9 Depth=1
	s_or_b64 exec, exec, s[40:41]
.LBB272_722:                            ;   in Loop: Header=BB272_9 Depth=1
	s_or_b64 exec, exec, s[28:29]
.LBB272_723:                            ;   in Loop: Header=BB272_9 Depth=1
	s_or_b64 exec, exec, s[26:27]
	v_cmp_lt_u32_e32 vcc, s44, v8
	v_mov_b32_e32 v57, 0
	v_mov_b32_e32 v61, 0
	s_and_saveexec_b64 s[26:27], vcc
	s_cbranch_execz .LBB272_729
; %bb.724:                              ;   in Loop: Header=BB272_9 Depth=1
	v_lshrrev_b32_e32 v4, 24, v8
	v_cmp_ne_u32_e32 vcc, s21, v4
	v_bfrev_b32_e32 v61, 1
	s_and_saveexec_b64 s[28:29], vcc
	s_cbranch_execz .LBB272_728
; %bb.725:                              ;   in Loop: Header=BB272_9 Depth=1
	v_and_b32_e32 v8, 0x7f, v4
	v_cmp_ne_u32_e32 vcc, s42, v8
	v_mov_b32_e32 v61, 0x7c010000
	s_and_saveexec_b64 s[40:41], vcc
	s_cbranch_execz .LBB272_727
; %bb.726:                              ;   in Loop: Header=BB272_9 Depth=1
	v_and_b32_e32 v11, 7, v4
	v_lshrrev_b32_e32 v52, 3, v8
	v_cmp_gt_u32_e32 vcc, 8, v8
	v_ffbh_u32_e32 v8, v11
	v_min_u32_e32 v8, 32, v8
	v_subrev_u32_e32 v25, 28, v8
	v_lshlrev_b64 v[25:26], v25, v[4:5]
	v_sub_u32_e32 v8, 29, v8
	v_cndmask_b32_e32 v8, v52, v8, vcc
	v_mov_b32_e32 v26, 0x2000
	v_lshlrev_b32_e32 v4, 8, v4
	v_lshl_add_u32 v8, v8, 10, v26
	v_and_b32_e32 v25, 7, v25
	v_and_or_b32 v4, v4, s43, v8
	v_cndmask_b32_e32 v11, v11, v25, vcc
	v_lshlrev_b32_e32 v4, 16, v4
	v_lshl_or_b32 v61, v11, 23, v4
.LBB272_727:                            ;   in Loop: Header=BB272_9 Depth=1
	s_or_b64 exec, exec, s[40:41]
.LBB272_728:                            ;   in Loop: Header=BB272_9 Depth=1
	s_or_b64 exec, exec, s[28:29]
.LBB272_729:                            ;   in Loop: Header=BB272_9 Depth=1
	s_or_b64 exec, exec, s[26:27]
	buffer_load_dword v4, off, s[0:3], s32 offset:72 ; 4-byte Folded Reload
	v_add_co_u32_e32 v52, vcc, 0x1e00, v16
	v_addc_co_u32_e32 v63, vcc, 0, v17, vcc
	s_waitcnt vmcnt(0)
	v_add_co_u32_e32 v16, vcc, v52, v4
	v_addc_co_u32_e32 v17, vcc, 0, v63, vcc
	flat_load_dword v8, v[16:17]
	s_waitcnt vmcnt(0) lgkmcnt(0)
	v_cmp_ne_u16_sdwa s[28:29], v8, v5 src0_sel:BYTE_0 src1_sel:DWORD
	s_and_saveexec_b64 s[26:27], s[28:29]
	s_cbranch_execz .LBB272_735
; %bb.730:                              ;   in Loop: Header=BB272_9 Depth=1
	v_cmp_ne_u16_sdwa s[40:41], v8, s21 src0_sel:BYTE_0 src1_sel:DWORD
	v_mov_b32_e32 v57, 0x8000
	s_and_saveexec_b64 s[28:29], s[40:41]
	s_cbranch_execz .LBB272_734
; %bb.731:                              ;   in Loop: Header=BB272_9 Depth=1
	v_and_b32_e32 v4, 0x7f, v8
	v_cmp_ne_u32_e32 vcc, s42, v4
	v_mov_b32_e32 v57, 0x7c01
	s_and_saveexec_b64 s[40:41], vcc
	s_cbranch_execz .LBB272_733
; %bb.732:                              ;   in Loop: Header=BB272_9 Depth=1
	v_and_b32_e32 v11, 7, v8
	v_lshrrev_b32_e32 v25, 3, v4
	v_cmp_gt_u32_e32 vcc, 8, v4
	v_ffbh_u32_e32 v4, v11
	v_min_u32_e32 v4, 32, v4
	v_subrev_u32_e32 v16, 28, v4
	v_sub_u32_e32 v4, 29, v4
	v_lshlrev_b64 v[16:17], v16, v[8:9]
	v_cndmask_b32_e32 v4, v25, v4, vcc
	v_mov_b32_e32 v25, 0x2000
	v_lshl_add_u32 v4, v4, 10, v25
	v_lshlrev_b32_e32 v17, 8, v8
	v_and_b32_e32 v16, 7, v16
	v_and_b32_e32 v4, 0xfc00, v4
	v_cndmask_b32_e32 v11, v11, v16, vcc
	v_and_or_b32 v4, v17, s43, v4
	v_lshl_or_b32 v57, v11, 7, v4
.LBB272_733:                            ;   in Loop: Header=BB272_9 Depth=1
	s_or_b64 exec, exec, s[40:41]
.LBB272_734:                            ;   in Loop: Header=BB272_9 Depth=1
	s_or_b64 exec, exec, s[28:29]
.LBB272_735:                            ;   in Loop: Header=BB272_9 Depth=1
	s_or_b64 exec, exec, s[26:27]
	v_lshrrev_b16_e32 v4, 8, v8
	v_cmp_ne_u16_e32 vcc, 0, v4
	v_mov_b32_e32 v16, 0
	v_mov_b32_e32 v17, 0
	s_and_saveexec_b64 s[26:27], vcc
	s_cbranch_execz .LBB272_741
; %bb.736:                              ;   in Loop: Header=BB272_9 Depth=1
	v_cmp_ne_u16_e32 vcc, s21, v4
	v_bfrev_b32_e32 v17, 1
	s_and_saveexec_b64 s[28:29], vcc
	s_cbranch_execz .LBB272_740
; %bb.737:                              ;   in Loop: Header=BB272_9 Depth=1
	v_and_b32_e32 v11, 0x7f, v4
	v_cmp_ne_u32_e32 vcc, s42, v11
	v_mov_b32_e32 v17, 0x7c010000
	s_and_saveexec_b64 s[40:41], vcc
	s_cbranch_execz .LBB272_739
; %bb.738:                              ;   in Loop: Header=BB272_9 Depth=1
	v_and_b32_e32 v17, 7, v4
	v_lshrrev_b32_e32 v55, 3, v11
	v_cmp_gt_u32_e32 vcc, 8, v11
	v_ffbh_u32_e32 v11, v17
	v_min_u32_e32 v11, 32, v11
	v_subrev_u32_e32 v25, 28, v11
	v_lshlrev_b64 v[25:26], v25, v[4:5]
	v_sub_u32_e32 v11, 29, v11
	v_cndmask_b32_e32 v11, v55, v11, vcc
	v_mov_b32_e32 v26, 0x2000
	v_lshlrev_b32_e32 v4, 8, v4
	v_lshl_add_u32 v11, v11, 10, v26
	v_and_b32_e32 v25, 7, v25
	v_and_or_b32 v4, v4, s43, v11
	v_cndmask_b32_e32 v17, v17, v25, vcc
	v_lshlrev_b32_e32 v4, 16, v4
	v_lshl_or_b32 v17, v17, 23, v4
.LBB272_739:                            ;   in Loop: Header=BB272_9 Depth=1
	s_or_b64 exec, exec, s[40:41]
.LBB272_740:                            ;   in Loop: Header=BB272_9 Depth=1
	s_or_b64 exec, exec, s[28:29]
.LBB272_741:                            ;   in Loop: Header=BB272_9 Depth=1
	s_or_b64 exec, exec, s[26:27]
	v_lshrrev_b32_e32 v4, 16, v8
	v_cmp_ne_u16_sdwa s[28:29], v4, v5 src0_sel:BYTE_0 src1_sel:DWORD
	s_and_saveexec_b64 s[26:27], s[28:29]
	s_cbranch_execz .LBB272_747
; %bb.742:                              ;   in Loop: Header=BB272_9 Depth=1
	v_cmp_ne_u16_sdwa s[40:41], v4, s21 src0_sel:BYTE_0 src1_sel:DWORD
	v_mov_b32_e32 v16, 0x8000
	s_and_saveexec_b64 s[28:29], s[40:41]
	s_cbranch_execz .LBB272_746
; %bb.743:                              ;   in Loop: Header=BB272_9 Depth=1
	v_bfe_u32 v11, v8, 16, 7
	v_cmp_ne_u32_e32 vcc, s42, v11
	v_mov_b32_e32 v16, 0x7c01
	s_and_saveexec_b64 s[40:41], vcc
	s_cbranch_execz .LBB272_745
; %bb.744:                              ;   in Loop: Header=BB272_9 Depth=1
	v_and_b32_e32 v16, 7, v4
	v_lshrrev_b32_e32 v55, 3, v11
	v_cmp_gt_u32_e32 vcc, 8, v11
	v_ffbh_u32_e32 v11, v16
	v_min_u32_e32 v11, 32, v11
	v_subrev_u32_e32 v25, 28, v11
	v_lshlrev_b64 v[25:26], v25, v[4:5]
	v_sub_u32_e32 v11, 29, v11
	v_cndmask_b32_e32 v11, v55, v11, vcc
	v_mov_b32_e32 v26, 0x2000
	v_lshl_add_u32 v11, v11, 10, v26
	v_lshlrev_b32_e32 v4, 8, v4
	v_and_b32_e32 v25, 7, v25
	v_and_b32_e32 v11, 0xfc00, v11
	v_cndmask_b32_e32 v16, v16, v25, vcc
	v_and_or_b32 v4, v4, s43, v11
	v_lshl_or_b32 v16, v16, 7, v4
.LBB272_745:                            ;   in Loop: Header=BB272_9 Depth=1
	s_or_b64 exec, exec, s[40:41]
.LBB272_746:                            ;   in Loop: Header=BB272_9 Depth=1
	s_or_b64 exec, exec, s[28:29]
.LBB272_747:                            ;   in Loop: Header=BB272_9 Depth=1
	s_or_b64 exec, exec, s[26:27]
	v_cmp_lt_u32_e32 vcc, s44, v8
	v_mov_b32_e32 v43, 0
	v_mov_b32_e32 v11, 0
	s_and_saveexec_b64 s[26:27], vcc
	s_cbranch_execz .LBB272_753
; %bb.748:                              ;   in Loop: Header=BB272_9 Depth=1
	v_lshrrev_b32_e32 v4, 24, v8
	v_cmp_ne_u32_e32 vcc, s21, v4
	v_bfrev_b32_e32 v11, 1
	s_and_saveexec_b64 s[28:29], vcc
	s_cbranch_execz .LBB272_752
; %bb.749:                              ;   in Loop: Header=BB272_9 Depth=1
	v_and_b32_e32 v8, 0x7f, v4
	v_cmp_ne_u32_e32 vcc, s42, v8
	v_mov_b32_e32 v11, 0x7c010000
	s_and_saveexec_b64 s[40:41], vcc
	s_cbranch_execz .LBB272_751
; %bb.750:                              ;   in Loop: Header=BB272_9 Depth=1
	v_and_b32_e32 v11, 7, v4
	v_lshrrev_b32_e32 v55, 3, v8
	v_cmp_gt_u32_e32 vcc, 8, v8
	v_ffbh_u32_e32 v8, v11
	v_min_u32_e32 v8, 32, v8
	v_subrev_u32_e32 v25, 28, v8
	v_lshlrev_b64 v[25:26], v25, v[4:5]
	v_sub_u32_e32 v8, 29, v8
	v_cndmask_b32_e32 v8, v55, v8, vcc
	v_mov_b32_e32 v26, 0x2000
	v_lshlrev_b32_e32 v4, 8, v4
	v_lshl_add_u32 v8, v8, 10, v26
	v_and_b32_e32 v25, 7, v25
	v_and_or_b32 v4, v4, s43, v8
	v_cndmask_b32_e32 v11, v11, v25, vcc
	v_lshlrev_b32_e32 v4, 16, v4
	v_lshl_or_b32 v11, v11, 23, v4
.LBB272_751:                            ;   in Loop: Header=BB272_9 Depth=1
	s_or_b64 exec, exec, s[40:41]
.LBB272_752:                            ;   in Loop: Header=BB272_9 Depth=1
	s_or_b64 exec, exec, s[28:29]
.LBB272_753:                            ;   in Loop: Header=BB272_9 Depth=1
	s_or_b64 exec, exec, s[26:27]
	buffer_load_dword v4, off, s[0:3], s32 offset:76 ; 4-byte Folded Reload
	s_waitcnt vmcnt(0)
	v_add_co_u32_e32 v25, vcc, v52, v4
	v_addc_co_u32_e32 v26, vcc, 0, v63, vcc
	flat_load_dword v8, v[25:26]
	s_waitcnt vmcnt(0) lgkmcnt(0)
	v_cmp_ne_u16_sdwa s[28:29], v8, v5 src0_sel:BYTE_0 src1_sel:DWORD
	s_and_saveexec_b64 s[26:27], s[28:29]
	s_cbranch_execz .LBB272_759
; %bb.754:                              ;   in Loop: Header=BB272_9 Depth=1
	v_cmp_ne_u16_sdwa s[40:41], v8, s21 src0_sel:BYTE_0 src1_sel:DWORD
	v_mov_b32_e32 v43, 0x8000
	s_and_saveexec_b64 s[28:29], s[40:41]
	s_cbranch_execz .LBB272_758
; %bb.755:                              ;   in Loop: Header=BB272_9 Depth=1
	v_and_b32_e32 v4, 0x7f, v8
	v_cmp_ne_u32_e32 vcc, s42, v4
	v_mov_b32_e32 v43, 0x7c01
	s_and_saveexec_b64 s[40:41], vcc
	s_cbranch_execz .LBB272_757
; %bb.756:                              ;   in Loop: Header=BB272_9 Depth=1
	v_and_b32_e32 v52, 7, v8
	v_lshrrev_b32_e32 v55, 3, v4
	v_cmp_gt_u32_e32 vcc, 8, v4
	v_ffbh_u32_e32 v4, v52
	v_min_u32_e32 v4, 32, v4
	v_subrev_u32_e32 v25, 28, v4
	v_sub_u32_e32 v4, 29, v4
	v_lshlrev_b64 v[25:26], v25, v[8:9]
	v_cndmask_b32_e32 v4, v55, v4, vcc
	v_mov_b32_e32 v55, v35
	v_mov_b32_e32 v35, 0x2000
	v_lshl_add_u32 v4, v4, 10, v35
	v_lshlrev_b32_e32 v26, 8, v8
	v_and_b32_e32 v25, 7, v25
	v_and_b32_e32 v4, 0xfc00, v4
	v_cndmask_b32_e32 v25, v52, v25, vcc
	v_and_or_b32 v4, v26, s43, v4
	v_mov_b32_e32 v35, v55
	v_lshl_or_b32 v43, v25, 7, v4
.LBB272_757:                            ;   in Loop: Header=BB272_9 Depth=1
	s_or_b64 exec, exec, s[40:41]
.LBB272_758:                            ;   in Loop: Header=BB272_9 Depth=1
	s_or_b64 exec, exec, s[28:29]
.LBB272_759:                            ;   in Loop: Header=BB272_9 Depth=1
	s_or_b64 exec, exec, s[26:27]
	v_lshrrev_b16_e32 v4, 8, v8
	v_cmp_ne_u16_e32 vcc, 0, v4
	v_mov_b32_e32 v63, 0
	v_mov_b32_e32 v52, 0
	s_and_saveexec_b64 s[26:27], vcc
	s_cbranch_execz .LBB272_765
; %bb.760:                              ;   in Loop: Header=BB272_9 Depth=1
	v_cmp_ne_u16_e32 vcc, s21, v4
	v_bfrev_b32_e32 v52, 1
	s_and_saveexec_b64 s[28:29], vcc
	s_cbranch_execz .LBB272_764
; %bb.761:                              ;   in Loop: Header=BB272_9 Depth=1
	v_and_b32_e32 v55, 0x7f, v4
	v_cmp_ne_u32_e32 vcc, s42, v55
	v_mov_b32_e32 v52, 0x7c010000
	s_and_saveexec_b64 s[40:41], vcc
	s_cbranch_execz .LBB272_763
; %bb.762:                              ;   in Loop: Header=BB272_9 Depth=1
	v_and_b32_e32 v52, 7, v4
	v_ffbh_u32_e32 v25, v52
	v_mov_b32_e32 v0, v19
	v_mov_b32_e32 v19, v13
	;; [unrolled: 1-line block ×4, first 2 shown]
	v_lshrrev_b32_e32 v35, 3, v55
	v_cmp_gt_u32_e32 vcc, 8, v55
	v_min_u32_e32 v55, 32, v25
	v_subrev_u32_e32 v25, 28, v55
	v_lshlrev_b64 v[25:26], v25, v[4:5]
	v_sub_u32_e32 v26, 29, v55
	v_cndmask_b32_e32 v26, v35, v26, vcc
	v_mov_b32_e32 v35, 0x2000
	v_lshlrev_b32_e32 v4, 8, v4
	v_lshl_add_u32 v26, v26, 10, v35
	v_and_b32_e32 v25, 7, v25
	v_and_or_b32 v4, v4, s43, v26
	v_cndmask_b32_e32 v25, v52, v25, vcc
	v_lshlrev_b32_e32 v4, 16, v4
	v_mov_b32_e32 v35, v45
	v_mov_b32_e32 v45, v13
	;; [unrolled: 1-line block ×4, first 2 shown]
	v_lshl_or_b32 v52, v25, 23, v4
.LBB272_763:                            ;   in Loop: Header=BB272_9 Depth=1
	s_or_b64 exec, exec, s[40:41]
.LBB272_764:                            ;   in Loop: Header=BB272_9 Depth=1
	s_or_b64 exec, exec, s[28:29]
.LBB272_765:                            ;   in Loop: Header=BB272_9 Depth=1
	s_or_b64 exec, exec, s[26:27]
	v_lshrrev_b32_e32 v4, 16, v8
	v_cmp_ne_u16_sdwa s[28:29], v4, v5 src0_sel:BYTE_0 src1_sel:DWORD
	s_and_saveexec_b64 s[26:27], s[28:29]
	s_cbranch_execz .LBB272_771
; %bb.766:                              ;   in Loop: Header=BB272_9 Depth=1
	v_cmp_ne_u16_sdwa s[40:41], v4, s21 src0_sel:BYTE_0 src1_sel:DWORD
	v_mov_b32_e32 v63, 0x8000
	s_and_saveexec_b64 s[28:29], s[40:41]
	s_cbranch_execz .LBB272_770
; %bb.767:                              ;   in Loop: Header=BB272_9 Depth=1
	v_bfe_u32 v55, v8, 16, 7
	v_cmp_ne_u32_e32 vcc, s42, v55
	v_mov_b32_e32 v63, 0x7c01
	s_and_saveexec_b64 s[40:41], vcc
	s_cbranch_execz .LBB272_769
; %bb.768:                              ;   in Loop: Header=BB272_9 Depth=1
	v_mov_b32_e32 v0, v19
	v_mov_b32_e32 v19, v13
	;; [unrolled: 1-line block ×4, first 2 shown]
	v_and_b32_e32 v35, 7, v4
	v_ffbh_u32_e32 v25, v35
	v_lshrrev_b32_e32 v63, 3, v55
	v_cmp_gt_u32_e32 vcc, 8, v55
	v_min_u32_e32 v55, 32, v25
	v_subrev_u32_e32 v25, 28, v55
	v_lshlrev_b64 v[25:26], v25, v[4:5]
	v_sub_u32_e32 v26, 29, v55
	v_cndmask_b32_e32 v26, v63, v26, vcc
	v_mov_b32_e32 v55, 0x2000
	v_lshl_add_u32 v26, v26, 10, v55
	v_lshlrev_b32_e32 v4, 8, v4
	v_and_b32_e32 v25, 7, v25
	v_and_b32_e32 v26, 0xfc00, v26
	v_cndmask_b32_e32 v25, v35, v25, vcc
	v_and_or_b32 v4, v4, s43, v26
	v_mov_b32_e32 v35, v45
	v_mov_b32_e32 v45, v13
	;; [unrolled: 1-line block ×4, first 2 shown]
	v_lshl_or_b32 v63, v25, 7, v4
.LBB272_769:                            ;   in Loop: Header=BB272_9 Depth=1
	s_or_b64 exec, exec, s[40:41]
.LBB272_770:                            ;   in Loop: Header=BB272_9 Depth=1
	s_or_b64 exec, exec, s[28:29]
.LBB272_771:                            ;   in Loop: Header=BB272_9 Depth=1
	s_or_b64 exec, exec, s[26:27]
	v_cmp_lt_u32_e32 vcc, s44, v8
	v_mov_b32_e32 v55, 0
	s_and_saveexec_b64 s[26:27], vcc
	s_cbranch_execz .LBB272_777
; %bb.772:                              ;   in Loop: Header=BB272_9 Depth=1
	v_lshrrev_b32_e32 v4, 24, v8
	v_cmp_ne_u32_e32 vcc, s21, v4
	v_bfrev_b32_e32 v55, 1
	s_and_saveexec_b64 s[28:29], vcc
	s_cbranch_execz .LBB272_776
; %bb.773:                              ;   in Loop: Header=BB272_9 Depth=1
	v_and_b32_e32 v8, 0x7f, v4
	v_cmp_ne_u32_e32 vcc, s42, v8
	v_mov_b32_e32 v55, 0x7c010000
	s_and_saveexec_b64 s[40:41], vcc
	s_cbranch_execz .LBB272_775
; %bb.774:                              ;   in Loop: Header=BB272_9 Depth=1
	v_mov_b32_e32 v0, v19
	v_mov_b32_e32 v19, v13
	v_mov_b32_e32 v13, v45
	v_mov_b32_e32 v45, v35
	v_and_b32_e32 v35, 7, v4
	v_lshrrev_b32_e32 v55, 3, v8
	v_cmp_gt_u32_e32 vcc, 8, v8
	v_ffbh_u32_e32 v8, v35
	v_min_u32_e32 v8, 32, v8
	v_subrev_u32_e32 v25, 28, v8
	v_lshlrev_b64 v[25:26], v25, v[4:5]
	v_sub_u32_e32 v8, 29, v8
	v_cndmask_b32_e32 v8, v55, v8, vcc
	v_mov_b32_e32 v26, 0x2000
	v_lshlrev_b32_e32 v4, 8, v4
	v_lshl_add_u32 v8, v8, 10, v26
	v_and_b32_e32 v25, 7, v25
	v_and_or_b32 v4, v4, s43, v8
	v_cndmask_b32_e32 v25, v35, v25, vcc
	v_lshlrev_b32_e32 v4, 16, v4
	v_mov_b32_e32 v35, v45
	v_mov_b32_e32 v45, v13
	;; [unrolled: 1-line block ×4, first 2 shown]
	v_lshl_or_b32 v55, v25, 23, v4
.LBB272_775:                            ;   in Loop: Header=BB272_9 Depth=1
	s_or_b64 exec, exec, s[40:41]
.LBB272_776:                            ;   in Loop: Header=BB272_9 Depth=1
	s_or_b64 exec, exec, s[28:29]
.LBB272_777:                            ;   in Loop: Header=BB272_9 Depth=1
	s_or_b64 exec, exec, s[26:27]
	v_or_b32_e32 v4, v17, v57
	v_fma_mixlo_f16 v0, v51, v17, 0 op_sel:[0,1,0] op_sel_hi:[0,1,0]
	buffer_store_dword v0, off, s[0:3], s32 offset:416 ; 4-byte Folded Spill
	v_fma_mixlo_f16 v0, v51, v4, 0 op_sel_hi:[0,1,0]
	v_or_b32_e32 v4, v11, v16
	buffer_store_dword v0, off, s[0:3], s32 offset:420 ; 4-byte Folded Spill
	v_fma_mixlo_f16 v0, v51, v4, 0 op_sel_hi:[0,1,0]
	buffer_store_dword v0, off, s[0:3], s32 offset:412 ; 4-byte Folded Spill
	v_fma_mixlo_f16 v0, v51, v11, 0 op_sel:[0,1,0] op_sel_hi:[0,1,0]
	buffer_store_dword v0, off, s[0:3], s32 offset:408 ; 4-byte Folded Spill
	v_or_b32_e32 v4, v29, v41
	v_fma_mixlo_f16 v0, v51, v29, 0 op_sel:[0,1,0] op_sel_hi:[0,1,0]
	buffer_store_dword v0, off, s[0:3], s32 offset:432 ; 4-byte Folded Spill
	v_fma_mixlo_f16 v0, v51, v4, 0 op_sel_hi:[0,1,0]
	v_or_b32_e32 v4, v61, v42
	buffer_store_dword v0, off, s[0:3], s32 offset:436 ; 4-byte Folded Spill
	v_fma_mixlo_f16 v0, v51, v4, 0 op_sel_hi:[0,1,0]
	buffer_store_dword v0, off, s[0:3], s32 offset:428 ; 4-byte Folded Spill
	v_fma_mixlo_f16 v0, v51, v61, 0 op_sel:[0,1,0] op_sel_hi:[0,1,0]
	buffer_store_dword v0, off, s[0:3], s32 offset:424 ; 4-byte Folded Spill
	;; [unrolled: 10-line block ×9, first 2 shown]
	v_or_b32_e32 v0, v3, v47
	v_fma_mixlo_f16 v0, v51, v0, 0 op_sel_hi:[0,1,0]
	buffer_store_dword v0, off, s[0:3], s32 offset:564 ; 4-byte Folded Spill
	v_or_b32_e32 v0, v32, v30
	v_fma_mixlo_f16 v0, v51, v0, 0 op_sel_hi:[0,1,0]
	buffer_store_dword v0, off, s[0:3], s32 offset:556 ; 4-byte Folded Spill
	v_fma_mixlo_f16 v0, v51, v32, 0 op_sel:[0,1,0] op_sel_hi:[0,1,0]
	buffer_store_dword v0, off, s[0:3], s32 offset:552 ; 4-byte Folded Spill
	buffer_load_dword v0, off, s[0:3], s32 offset:364 ; 4-byte Folded Reload
	v_fma_mixlo_f16 v2, v51, v3, 0 op_sel:[0,1,0] op_sel_hi:[0,1,0]
	buffer_store_dword v2, off, s[0:3], s32 offset:560 ; 4-byte Folded Spill
	v_fma_mixlo_f16 v36, v51, v19, 0 op_sel:[0,1,0] op_sel_hi:[0,1,0]
	v_fma_mixlo_f16 v33, v51, v13, 0 op_sel:[0,1,0] op_sel_hi:[0,1,0]
	v_or_b32_e32 v43, v52, v43
	s_waitcnt vmcnt(1)
	v_or_b32_e32 v0, v1, v0
	v_fma_mixlo_f16 v0, v51, v0, 0 op_sel_hi:[0,1,0]
	buffer_store_dword v0, off, s[0:3], s32 offset:572 ; 4-byte Folded Spill
	buffer_load_dword v0, off, s[0:3], s32 offset:368 ; 4-byte Folded Reload
	v_fma_mixlo_f16 v1, v51, v1, 0 op_sel:[0,1,0] op_sel_hi:[0,1,0]
	buffer_store_dword v1, off, s[0:3], s32 offset:568 ; 4-byte Folded Spill
	v_fma_mixlo_f16 v1, v51, v62, 0 op_sel:[0,1,0] op_sel_hi:[0,1,0]
	buffer_store_dword v1, off, s[0:3], s32 offset:576 ; 4-byte Folded Spill
	;; [unrolled: 2-line block ×3, first 2 shown]
	s_waitcnt vmcnt(3)
	v_or_b32_e32 v0, v10, v0
	v_fma_mixlo_f16 v0, v51, v0, 0 op_sel_hi:[0,1,0]
	buffer_store_dword v0, off, s[0:3], s32 offset:368 ; 4-byte Folded Spill
	v_fma_mixlo_f16 v0, v51, v10, 0 op_sel:[0,1,0] op_sel_hi:[0,1,0]
	buffer_store_dword v0, off, s[0:3], s32 offset:364 ; 4-byte Folded Spill
	buffer_load_dword v0, off, s[0:3], s32 offset:356 ; 4-byte Folded Reload
	s_waitcnt vmcnt(0)
	v_or_b32_e32 v0, v62, v0
	v_fma_mixlo_f16 v0, v51, v0, 0 op_sel_hi:[0,1,0]
	buffer_store_dword v0, off, s[0:3], s32 offset:580 ; 4-byte Folded Spill
	buffer_load_dword v0, off, s[0:3], s32 offset:360 ; 4-byte Folded Reload
	s_waitcnt vmcnt(0)
	v_or_b32_e32 v0, v44, v0
	v_fma_mixlo_f16 v0, v51, v0, 0 op_sel_hi:[0,1,0]
	buffer_store_dword v0, off, s[0:3], s32 offset:360 ; 4-byte Folded Spill
	v_fma_mixlo_f16 v0, v51, v44, 0 op_sel:[0,1,0] op_sel_hi:[0,1,0]
	buffer_store_dword v0, off, s[0:3], s32 offset:356 ; 4-byte Folded Spill
	buffer_load_dword v0, off, s[0:3], s32 offset:348 ; 4-byte Folded Reload
	s_waitcnt vmcnt(0)
	v_or_b32_e32 v0, v59, v0
	v_fma_mixlo_f16 v0, v51, v0, 0 op_sel_hi:[0,1,0]
	buffer_store_dword v0, off, s[0:3], s32 offset:588 ; 4-byte Folded Spill
	buffer_load_dword v0, off, s[0:3], s32 offset:352 ; 4-byte Folded Reload
	s_waitcnt vmcnt(0)
	v_or_b32_e32 v0, v48, v0
	v_fma_mixlo_f16 v0, v51, v0, 0 op_sel_hi:[0,1,0]
	buffer_store_dword v0, off, s[0:3], s32 offset:352 ; 4-byte Folded Spill
	v_fma_mixlo_f16 v0, v51, v48, 0 op_sel:[0,1,0] op_sel_hi:[0,1,0]
	buffer_store_dword v0, off, s[0:3], s32 offset:348 ; 4-byte Folded Spill
	buffer_load_dword v0, off, s[0:3], s32 offset:340 ; 4-byte Folded Reload
	s_nop 0
	buffer_load_dword v1, off, s[0:3], s32 offset:372 ; 4-byte Folded Reload
	s_waitcnt vmcnt(0)
	v_or_b32_e32 v0, v1, v0
	v_fma_mixlo_f16 v0, v51, v0, 0 op_sel_hi:[0,1,0]
	buffer_store_dword v0, off, s[0:3], s32 offset:592 ; 4-byte Folded Spill
	buffer_load_dword v0, off, s[0:3], s32 offset:344 ; 4-byte Folded Reload
	v_fma_mixlo_f16 v1, v51, v1, 0 op_sel:[0,1,0] op_sel_hi:[0,1,0]
	buffer_store_dword v1, off, s[0:3], s32 offset:372 ; 4-byte Folded Spill
	s_waitcnt vmcnt(1)
	v_or_b32_e32 v0, v37, v0
	v_fma_mixlo_f16 v0, v51, v0, 0 op_sel_hi:[0,1,0]
	buffer_store_dword v0, off, s[0:3], s32 offset:344 ; 4-byte Folded Spill
	v_fma_mixlo_f16 v0, v51, v37, 0 op_sel:[0,1,0] op_sel_hi:[0,1,0]
	buffer_store_dword v0, off, s[0:3], s32 offset:340 ; 4-byte Folded Spill
	buffer_load_dword v0, off, s[0:3], s32 offset:324 ; 4-byte Folded Reload
	s_nop 0
	buffer_load_dword v1, off, s[0:3], s32 offset:332 ; 4-byte Folded Reload
	v_fma_mixlo_f16 v37, v51, v52, 0 op_sel:[0,1,0] op_sel_hi:[0,1,0]
	v_or_b32_e32 v52, v55, v63
	v_fma_mixlo_f16 v63, v51, v55, 0 op_sel:[0,1,0] op_sel_hi:[0,1,0]
	s_waitcnt vmcnt(0)
	v_or_b32_e32 v0, v1, v0
	v_fma_mixlo_f16 v1, v51, v1, 0 op_sel:[0,1,0] op_sel_hi:[0,1,0]
	v_fma_mixlo_f16 v0, v51, v0, 0 op_sel_hi:[0,1,0]
	buffer_store_dword v1, off, s[0:3], s32 offset:332 ; 4-byte Folded Spill
	buffer_store_dword v0, off, s[0:3], s32 offset:596 ; 4-byte Folded Spill
	buffer_load_dword v0, off, s[0:3], s32 offset:328 ; 4-byte Folded Reload
	s_nop 0
	buffer_load_dword v1, off, s[0:3], s32 offset:336 ; 4-byte Folded Reload
	s_waitcnt vmcnt(0)
	v_or_b32_e32 v0, v1, v0
	v_fma_mixlo_f16 v0, v51, v0, 0 op_sel_hi:[0,1,0]
	buffer_store_dword v0, off, s[0:3], s32 offset:328 ; 4-byte Folded Spill
	v_fma_mixlo_f16 v0, v51, v1, 0 op_sel:[0,1,0] op_sel_hi:[0,1,0]
	buffer_store_dword v0, off, s[0:3], s32 offset:324 ; 4-byte Folded Spill
	buffer_load_dword v0, off, s[0:3], s32 offset:308 ; 4-byte Folded Reload
	s_nop 0
	buffer_load_dword v1, off, s[0:3], s32 offset:316 ; 4-byte Folded Reload
	s_waitcnt vmcnt(0)
	v_or_b32_e32 v0, v1, v0
	v_fma_mixlo_f16 v1, v51, v1, 0 op_sel:[0,1,0] op_sel_hi:[0,1,0]
	v_fma_mixlo_f16 v0, v51, v0, 0 op_sel_hi:[0,1,0]
	buffer_store_dword v1, off, s[0:3], s32 offset:316 ; 4-byte Folded Spill
	buffer_store_dword v0, off, s[0:3], s32 offset:336 ; 4-byte Folded Spill
	buffer_load_dword v0, off, s[0:3], s32 offset:312 ; 4-byte Folded Reload
	s_nop 0
	buffer_load_dword v1, off, s[0:3], s32 offset:320 ; 4-byte Folded Reload
	s_waitcnt vmcnt(0)
	v_or_b32_e32 v0, v1, v0
	v_fma_mixlo_f16 v0, v51, v0, 0 op_sel_hi:[0,1,0]
	buffer_store_dword v0, off, s[0:3], s32 offset:312 ; 4-byte Folded Spill
	v_fma_mixlo_f16 v0, v51, v1, 0 op_sel:[0,1,0] op_sel_hi:[0,1,0]
	buffer_store_dword v0, off, s[0:3], s32 offset:308 ; 4-byte Folded Spill
	buffer_load_dword v0, off, s[0:3], s32 offset:292 ; 4-byte Folded Reload
	s_nop 0
	buffer_load_dword v1, off, s[0:3], s32 offset:300 ; 4-byte Folded Reload
	;; [unrolled: 18-line block ×4, first 2 shown]
	s_waitcnt vmcnt(0)
	v_or_b32_e32 v0, v1, v0
	v_fma_mixlo_f16 v60, v51, v1, 0 op_sel:[0,1,0] op_sel_hi:[0,1,0]
	v_fma_mixlo_f16 v46, v51, v0, 0 op_sel_hi:[0,1,0]
	buffer_load_dword v0, off, s[0:3], s32 offset:264 ; 4-byte Folded Reload
	buffer_load_dword v1, off, s[0:3], s32 offset:272 ; 4-byte Folded Reload
	s_waitcnt vmcnt(0)
	v_or_b32_e32 v0, v1, v0
	v_fma_mixlo_f16 v61, v51, v0, 0 op_sel_hi:[0,1,0]
	v_fma_mixlo_f16 v62, v51, v1, 0 op_sel:[0,1,0] op_sel_hi:[0,1,0]
	buffer_load_dword v0, off, s[0:3], s32 offset:244 ; 4-byte Folded Reload
	buffer_load_dword v1, off, s[0:3], s32 offset:252 ; 4-byte Folded Reload
	s_waitcnt vmcnt(0)
	v_or_b32_e32 v0, v1, v0
	v_fma_mixlo_f16 v53, v51, v1, 0 op_sel:[0,1,0] op_sel_hi:[0,1,0]
	v_fma_mixlo_f16 v50, v51, v0, 0 op_sel_hi:[0,1,0]
	buffer_load_dword v0, off, s[0:3], s32 offset:248 ; 4-byte Folded Reload
	buffer_load_dword v1, off, s[0:3], s32 offset:256 ; 4-byte Folded Reload
	s_waitcnt vmcnt(0)
	v_or_b32_e32 v0, v1, v0
	v_fma_mixlo_f16 v40, v51, v0, 0 op_sel_hi:[0,1,0]
	v_fma_mixlo_f16 v44, v51, v1, 0 op_sel:[0,1,0] op_sel_hi:[0,1,0]
	buffer_load_dword v0, off, s[0:3], s32 offset:228 ; 4-byte Folded Reload
	buffer_load_dword v1, off, s[0:3], s32 offset:236 ; 4-byte Folded Reload
	s_waitcnt vmcnt(0)
	v_or_b32_e32 v0, v1, v0
	v_fma_mixlo_f16 v41, v51, v1, 0 op_sel:[0,1,0] op_sel_hi:[0,1,0]
	v_fma_mixlo_f16 v38, v51, v0, 0 op_sel_hi:[0,1,0]
	buffer_load_dword v0, off, s[0:3], s32 offset:232 ; 4-byte Folded Reload
	buffer_load_dword v1, off, s[0:3], s32 offset:240 ; 4-byte Folded Reload
	s_waitcnt vmcnt(0)
	v_or_b32_e32 v0, v1, v0
	v_fma_mixlo_f16 v39, v51, v0, 0 op_sel_hi:[0,1,0]
	v_or_b32_e32 v0, v13, v35
	v_fma_mixlo_f16 v32, v51, v0, 0 op_sel_hi:[0,1,0]
	v_or_b32_e32 v0, v19, v45
	v_fma_mixlo_f16 v49, v51, v1, 0 op_sel:[0,1,0] op_sel_hi:[0,1,0]
	v_fma_mixlo_f16 v35, v51, v0, 0 op_sel_hi:[0,1,0]
	buffer_load_dword v0, off, s[0:3], s32 offset:212 ; 4-byte Folded Reload
	buffer_load_dword v1, off, s[0:3], s32 offset:220 ; 4-byte Folded Reload
	s_waitcnt vmcnt(0)
	v_or_b32_e32 v0, v1, v0
	v_fma_mixlo_f16 v54, v51, v1, 0 op_sel:[0,1,0] op_sel_hi:[0,1,0]
	v_fma_mixlo_f16 v42, v51, v0, 0 op_sel_hi:[0,1,0]
	buffer_load_dword v0, off, s[0:3], s32 offset:216 ; 4-byte Folded Reload
	buffer_load_dword v1, off, s[0:3], s32 offset:224 ; 4-byte Folded Reload
	s_waitcnt vmcnt(0)
	v_or_b32_e32 v0, v1, v0
	v_fma_mixlo_f16 v56, v51, v0, 0 op_sel_hi:[0,1,0]
	v_fma_mixlo_f16 v45, v51, v1, 0 op_sel:[0,1,0] op_sel_hi:[0,1,0]
	buffer_load_dword v0, off, s[0:3], s32 offset:196 ; 4-byte Folded Reload
	buffer_load_dword v1, off, s[0:3], s32 offset:204 ; 4-byte Folded Reload
	s_waitcnt vmcnt(0)
	v_or_b32_e32 v0, v1, v0
	v_fma_mixlo_f16 v57, v51, v1, 0 op_sel:[0,1,0] op_sel_hi:[0,1,0]
	v_fma_mixlo_f16 v58, v51, v0, 0 op_sel_hi:[0,1,0]
	buffer_load_dword v0, off, s[0:3], s32 offset:200 ; 4-byte Folded Reload
	buffer_load_dword v1, off, s[0:3], s32 offset:208 ; 4-byte Folded Reload
	s_waitcnt vmcnt(0)
	v_or_b32_e32 v0, v1, v0
	v_fma_mixlo_f16 v30, v51, v0, 0 op_sel_hi:[0,1,0]
	v_fma_mixlo_f16 v31, v51, v1, 0 op_sel:[0,1,0] op_sel_hi:[0,1,0]
	;; [unrolled: 12-line block ×7, first 2 shown]
	buffer_load_dword v0, off, s[0:3], s32 offset:100 ; 4-byte Folded Reload
	buffer_load_dword v1, off, s[0:3], s32 offset:108 ; 4-byte Folded Reload
	s_waitcnt vmcnt(0)
	v_or_b32_e32 v0, v1, v0
	v_fma_mixlo_f16 v10, v51, v1, 0 op_sel:[0,1,0] op_sel_hi:[0,1,0]
	v_fma_mixlo_f16 v12, v51, v0, 0 op_sel_hi:[0,1,0]
	buffer_load_dword v0, off, s[0:3], s32 offset:104 ; 4-byte Folded Reload
	buffer_load_dword v1, off, s[0:3], s32 offset:388 ; 4-byte Folded Reload
	v_and_b32_e32 v12, 0xffff, v12
	v_and_b32_e32 v10, 0xffff, v10
	s_waitcnt vmcnt(0)
	v_or_b32_e32 v0, v1, v0
	v_fma_mixlo_f16 v18, v51, v0, 0 op_sel_hi:[0,1,0]
	v_fma_mixlo_f16 v13, v51, v1, 0 op_sel:[0,1,0] op_sel_hi:[0,1,0]
	buffer_load_dword v0, off, s[0:3], s32 offset:88 ; 4-byte Folded Reload
	buffer_load_dword v1, off, s[0:3], s32 offset:96 ; 4-byte Folded Reload
	;; [unrolled: 1-line block ×4, first 2 shown]
	v_and_b32_e32 v13, 0xffff, v13
	buffer_store_dword v37, off, s[0:3], s32 offset:92 ; 4-byte Folded Spill
	v_fma_mixlo_f16 v37, v51, v43, 0 op_sel_hi:[0,1,0]
	buffer_store_dword v37, off, s[0:3], s32 offset:96 ; 4-byte Folded Spill
	v_fma_mixlo_f16 v37, v51, v52, 0 op_sel_hi:[0,1,0]
	buffer_store_dword v37, off, s[0:3], s32 offset:88 ; 4-byte Folded Spill
	s_waitcnt vmcnt(5)
	v_or_b32_e32 v0, v1, v0
	s_waitcnt vmcnt(3)
	v_or_b32_e32 v2, v3, v2
	v_fma_mixlo_f16 v1, v51, v1, 0 op_sel:[0,1,0] op_sel_hi:[0,1,0]
	v_fma_mixlo_f16 v0, v51, v0, 0 op_sel_hi:[0,1,0]
	v_fma_mixlo_f16 v2, v51, v2, 0 op_sel_hi:[0,1,0]
	v_fma_mixlo_f16 v3, v51, v3, 0 op_sel:[0,1,0] op_sel_hi:[0,1,0]
	ds_read_b64 v[51:52], v34
	v_and_b32_e32 v0, 0xffff, v0
	s_waitcnt lgkmcnt(0)
	v_lshrrev_b32_e32 v37, 16, v51
	v_and_b32_e32 v48, 0xffff, v51
	;;#ASMSTART
	v_cvt_f32_f16 v55, v48;
	;;#ASMEND
	;;#ASMSTART
	v_cvt_f32_f16 v51, v37;
	;;#ASMEND
	;; [unrolled: 3-line block ×3, first 2 shown]
	v_and_b32_e32 v0, 0xffff, v1
	v_lshrrev_b32_e32 v1, 16, v52
	v_and_b32_e32 v37, 0xffff, v52
	;;#ASMSTART
	v_cvt_f32_f16 v0, v0;
	;;#ASMEND
	;;#ASMSTART
	v_cvt_f32_f16 v52, v37;
	;;#ASMEND
	;; [unrolled: 3-line block ×3, first 2 shown]
	v_and_b32_e32 v1, 0xffff, v2
	;;#ASMSTART
	v_cvt_f32_f16 v59, v1;
	;;#ASMEND
	v_and_b32_e32 v1, 0xffff, v3
	;;#ASMSTART
	v_cvt_f32_f16 v3, v1;
	;;#ASMEND
	ds_read_b64 v[1:2], v34 offset:8
	s_waitcnt lgkmcnt(0)
	v_lshrrev_b32_e32 v48, 16, v1
	v_and_b32_e32 v1, 0xffff, v1
	;;#ASMSTART
	v_cvt_f32_f16 v1, v1;
	;;#ASMEND
	;;#ASMSTART
	v_cvt_f32_f16 v48, v48;
	;;#ASMEND
	;;#ASMSTART
	v_cvt_f32_f16 v12, v12;
	;;#ASMEND
	;;#ASMSTART
	v_cvt_f32_f16 v47, v10;
	;;#ASMEND
	v_mul_f32_e32 v10, v1, v12
	v_mul_f32_e32 v12, v48, v47
	v_fmac_f32_e32 v12, v51, v0
	v_lshrrev_b32_e32 v1, 16, v2
	v_and_b32_e32 v0, 0xffff, v2
	v_and_b32_e32 v2, 0xffff, v18
	;;#ASMSTART
	v_cvt_f32_f16 v0, v0;
	;;#ASMEND
	;;#ASMSTART
	v_cvt_f32_f16 v1, v1;
	;;#ASMEND
	;; [unrolled: 3-line block ×4, first 2 shown]
	v_mul_f32_e32 v13, v0, v2
	v_mul_f32_e32 v18, v1, v18
	ds_read_b64 v[0:1], v34 offset:16
	v_fmac_f32_e32 v10, v55, v43
	v_fmac_f32_e32 v18, v37, v3
	v_and_b32_e32 v3, 0xffff, v4
	v_and_b32_e32 v4, 0xffff, v6
	s_waitcnt lgkmcnt(0)
	v_lshrrev_b32_e32 v2, 16, v0
	v_and_b32_e32 v0, 0xffff, v0
	;;#ASMSTART
	v_cvt_f32_f16 v0, v0;
	;;#ASMEND
	;;#ASMSTART
	v_cvt_f32_f16 v2, v2;
	;;#ASMEND
	;; [unrolled: 3-line block ×4, first 2 shown]
	v_fmac_f32_e32 v10, v0, v3
	v_fmac_f32_e32 v12, v2, v4
	v_lshrrev_b32_e32 v2, 16, v1
	v_and_b32_e32 v0, 0xffff, v1
	v_fmac_f32_e32 v13, v52, v59
	;;#ASMSTART
	v_cvt_f32_f16 v0, v0;
	;;#ASMEND
	;;#ASMSTART
	v_cvt_f32_f16 v1, v2;
	;;#ASMEND
	v_and_b32_e32 v2, 0xffff, v7
	v_and_b32_e32 v3, 0xffff, v8
	;;#ASMSTART
	v_cvt_f32_f16 v2, v2;
	;;#ASMEND
	;;#ASMSTART
	v_cvt_f32_f16 v3, v3;
	;;#ASMEND
	v_fmac_f32_e32 v13, v0, v2
	v_fmac_f32_e32 v18, v1, v3
	ds_read_b64 v[0:1], v34 offset:24
	v_and_b32_e32 v3, 0xffff, v9
	v_and_b32_e32 v4, 0xffff, v11
	s_waitcnt lgkmcnt(0)
	v_lshrrev_b32_e32 v2, 16, v0
	v_and_b32_e32 v0, 0xffff, v0
	;;#ASMSTART
	v_cvt_f32_f16 v0, v0;
	;;#ASMEND
	;;#ASMSTART
	v_cvt_f32_f16 v2, v2;
	;;#ASMEND
	;;#ASMSTART
	v_cvt_f32_f16 v3, v3;
	;;#ASMEND
	;;#ASMSTART
	v_cvt_f32_f16 v4, v4;
	;;#ASMEND
	v_fmac_f32_e32 v10, v0, v3
	v_fmac_f32_e32 v12, v2, v4
	v_lshrrev_b32_e32 v2, 16, v1
	v_and_b32_e32 v0, 0xffff, v1
	;;#ASMSTART
	v_cvt_f32_f16 v0, v0;
	;;#ASMEND
	;;#ASMSTART
	v_cvt_f32_f16 v1, v2;
	;;#ASMEND
	v_and_b32_e32 v2, 0xffff, v14
	v_and_b32_e32 v3, 0xffff, v15
	;;#ASMSTART
	v_cvt_f32_f16 v2, v2;
	;;#ASMEND
	;;#ASMSTART
	v_cvt_f32_f16 v3, v3;
	;;#ASMEND
	v_fmac_f32_e32 v13, v0, v2
	v_fmac_f32_e32 v18, v1, v3
	ds_read_b64 v[0:1], v34 offset:32
	v_and_b32_e32 v3, 0xffff, v16
	v_and_b32_e32 v4, 0xffff, v17
	s_waitcnt lgkmcnt(0)
	v_lshrrev_b32_e32 v2, 16, v0
	v_and_b32_e32 v0, 0xffff, v0
	;;#ASMSTART
	v_cvt_f32_f16 v0, v0;
	;;#ASMEND
	;;#ASMSTART
	v_cvt_f32_f16 v2, v2;
	;;#ASMEND
	;;#ASMSTART
	v_cvt_f32_f16 v3, v3;
	;;#ASMEND
	;;#ASMSTART
	v_cvt_f32_f16 v4, v4;
	;;#ASMEND
	v_fmac_f32_e32 v10, v0, v3
	v_fmac_f32_e32 v12, v2, v4
	v_lshrrev_b32_e32 v2, 16, v1
	v_and_b32_e32 v0, 0xffff, v1
	;; [unrolled: 38-line block ×10, first 2 shown]
	;;#ASMSTART
	v_cvt_f32_f16 v0, v0;
	;;#ASMEND
	;;#ASMSTART
	v_cvt_f32_f16 v1, v2;
	;;#ASMEND
	v_and_b32_e32 v2, 0xffff, v61
	v_and_b32_e32 v3, 0xffff, v62
	;;#ASMSTART
	v_cvt_f32_f16 v2, v2;
	;;#ASMEND
	;;#ASMSTART
	v_cvt_f32_f16 v3, v3;
	;;#ASMEND
	v_fmac_f32_e32 v13, v0, v2
	v_fmac_f32_e32 v18, v1, v3
	ds_read_b64 v[0:1], v34 offset:104
	s_waitcnt lgkmcnt(0)
	v_lshrrev_b32_e32 v2, 16, v0
	v_and_b32_e32 v0, 0xffff, v0
	;;#ASMSTART
	v_cvt_f32_f16 v0, v0;
	;;#ASMEND
	;;#ASMSTART
	v_cvt_f32_f16 v2, v2;
	;;#ASMEND
	buffer_load_dword v3, off, s[0:3], s32 offset:304 ; 4-byte Folded Reload
	s_waitcnt vmcnt(0)
	v_and_b32_e32 v3, 0xffff, v3
	;;#ASMSTART
	v_cvt_f32_f16 v3, v3;
	;;#ASMEND
	buffer_load_dword v4, off, s[0:3], s32 offset:284 ; 4-byte Folded Reload
	v_fmac_f32_e32 v10, v0, v3
	v_and_b32_e32 v0, 0xffff, v1
	s_waitcnt vmcnt(0)
	v_and_b32_e32 v4, 0xffff, v4
	;;#ASMSTART
	v_cvt_f32_f16 v4, v4;
	;;#ASMEND
	v_fmac_f32_e32 v12, v2, v4
	v_lshrrev_b32_e32 v2, 16, v1
	;;#ASMSTART
	v_cvt_f32_f16 v0, v0;
	;;#ASMEND
	;;#ASMSTART
	v_cvt_f32_f16 v1, v2;
	;;#ASMEND
	buffer_load_dword v2, off, s[0:3], s32 offset:280 ; 4-byte Folded Reload
	s_waitcnt vmcnt(0)
	v_and_b32_e32 v2, 0xffff, v2
	;;#ASMSTART
	v_cvt_f32_f16 v2, v2;
	;;#ASMEND
	buffer_load_dword v3, off, s[0:3], s32 offset:276 ; 4-byte Folded Reload
	v_fmac_f32_e32 v13, v0, v2
	s_waitcnt vmcnt(0)
	v_and_b32_e32 v3, 0xffff, v3
	;;#ASMSTART
	v_cvt_f32_f16 v3, v3;
	;;#ASMEND
	v_fmac_f32_e32 v18, v1, v3
	ds_read_b64 v[0:1], v34 offset:112
	s_waitcnt lgkmcnt(0)
	v_lshrrev_b32_e32 v2, 16, v0
	v_and_b32_e32 v0, 0xffff, v0
	;;#ASMSTART
	v_cvt_f32_f16 v0, v0;
	;;#ASMEND
	;;#ASMSTART
	v_cvt_f32_f16 v2, v2;
	;;#ASMEND
	buffer_load_dword v3, off, s[0:3], s32 offset:320 ; 4-byte Folded Reload
	s_waitcnt vmcnt(0)
	v_and_b32_e32 v3, 0xffff, v3
	;;#ASMSTART
	v_cvt_f32_f16 v3, v3;
	;;#ASMEND
	buffer_load_dword v4, off, s[0:3], s32 offset:300 ; 4-byte Folded Reload
	v_fmac_f32_e32 v10, v0, v3
	v_and_b32_e32 v0, 0xffff, v1
	s_waitcnt vmcnt(0)
	v_and_b32_e32 v4, 0xffff, v4
	;;#ASMSTART
	v_cvt_f32_f16 v4, v4;
	;;#ASMEND
	v_fmac_f32_e32 v12, v2, v4
	v_lshrrev_b32_e32 v2, 16, v1
	;;#ASMSTART
	v_cvt_f32_f16 v0, v0;
	;;#ASMEND
	;;#ASMSTART
	v_cvt_f32_f16 v1, v2;
	;;#ASMEND
	buffer_load_dword v2, off, s[0:3], s32 offset:296 ; 4-byte Folded Reload
	s_waitcnt vmcnt(0)
	v_and_b32_e32 v2, 0xffff, v2
	;;#ASMSTART
	v_cvt_f32_f16 v2, v2;
	;;#ASMEND
	buffer_load_dword v3, off, s[0:3], s32 offset:292 ; 4-byte Folded Reload
	v_fmac_f32_e32 v13, v0, v2
	s_waitcnt vmcnt(0)
	v_and_b32_e32 v3, 0xffff, v3
	;;#ASMSTART
	v_cvt_f32_f16 v3, v3;
	;;#ASMEND
	;; [unrolled: 46-line block ×6, first 2 shown]
	ds_read_b64 v[16:17], v34 offset:152
	v_fmac_f32_e32 v18, v1, v3
	s_waitcnt lgkmcnt(0)
	v_lshrrev_b32_e32 v0, 16, v16
	v_and_b32_e32 v1, 0xffff, v16
	;;#ASMSTART
	v_cvt_f32_f16 v2, v1;
	;;#ASMEND
	;;#ASMSTART
	v_cvt_f32_f16 v0, v0;
	;;#ASMEND
	buffer_load_dword v1, off, s[0:3], s32 offset:580 ; 4-byte Folded Reload
	s_waitcnt vmcnt(0)
	v_and_b32_e32 v1, 0xffff, v1
	;;#ASMSTART
	v_cvt_f32_f16 v3, v1;
	;;#ASMEND
	buffer_load_dword v1, off, s[0:3], s32 offset:576 ; 4-byte Folded Reload
	v_fmac_f32_e32 v10, v2, v3
	s_waitcnt vmcnt(0)
	v_and_b32_e32 v1, 0xffff, v1
	;;#ASMSTART
	v_cvt_f32_f16 v1, v1;
	;;#ASMEND
	v_fmac_f32_e32 v12, v0, v1
	v_lshrrev_b32_e32 v1, 16, v17
	v_and_b32_e32 v0, 0xffff, v17
	;;#ASMSTART
	v_cvt_f32_f16 v0, v0;
	;;#ASMEND
	;;#ASMSTART
	v_cvt_f32_f16 v1, v1;
	;;#ASMEND
	buffer_load_dword v2, off, s[0:3], s32 offset:360 ; 4-byte Folded Reload
	s_waitcnt vmcnt(0)
	v_and_b32_e32 v2, 0xffff, v2
	;;#ASMSTART
	v_cvt_f32_f16 v2, v2;
	;;#ASMEND
	buffer_load_dword v3, off, s[0:3], s32 offset:356 ; 4-byte Folded Reload
	v_fmac_f32_e32 v13, v0, v2
	s_waitcnt vmcnt(0)
	v_and_b32_e32 v3, 0xffff, v3
	;;#ASMSTART
	v_cvt_f32_f16 v3, v3;
	;;#ASMEND
	v_fmac_f32_e32 v18, v1, v3
	ds_read_b64 v[0:1], v34 offset:160
	s_waitcnt lgkmcnt(0)
	v_lshrrev_b32_e32 v2, 16, v0
	v_and_b32_e32 v0, 0xffff, v0
	;;#ASMSTART
	v_cvt_f32_f16 v0, v0;
	;;#ASMEND
	;;#ASMSTART
	v_cvt_f32_f16 v2, v2;
	;;#ASMEND
	buffer_load_dword v3, off, s[0:3], s32 offset:572 ; 4-byte Folded Reload
	s_waitcnt vmcnt(0)
	v_and_b32_e32 v3, 0xffff, v3
	;;#ASMSTART
	v_cvt_f32_f16 v3, v3;
	;;#ASMEND
	buffer_load_dword v4, off, s[0:3], s32 offset:568 ; 4-byte Folded Reload
	v_fmac_f32_e32 v10, v0, v3
	v_and_b32_e32 v0, 0xffff, v1
	s_waitcnt vmcnt(0)
	v_and_b32_e32 v4, 0xffff, v4
	;;#ASMSTART
	v_cvt_f32_f16 v4, v4;
	;;#ASMEND
	v_fmac_f32_e32 v12, v2, v4
	v_lshrrev_b32_e32 v2, 16, v1
	;;#ASMSTART
	v_cvt_f32_f16 v0, v0;
	;;#ASMEND
	;;#ASMSTART
	v_cvt_f32_f16 v1, v2;
	;;#ASMEND
	buffer_load_dword v2, off, s[0:3], s32 offset:368 ; 4-byte Folded Reload
	s_waitcnt vmcnt(0)
	v_and_b32_e32 v2, 0xffff, v2
	;;#ASMSTART
	v_cvt_f32_f16 v2, v2;
	;;#ASMEND
	buffer_load_dword v3, off, s[0:3], s32 offset:364 ; 4-byte Folded Reload
	v_fmac_f32_e32 v13, v0, v2
	s_waitcnt vmcnt(0)
	v_and_b32_e32 v3, 0xffff, v3
	;;#ASMSTART
	v_cvt_f32_f16 v3, v3;
	;;#ASMEND
	v_fmac_f32_e32 v18, v1, v3
	ds_read_b64 v[0:1], v34 offset:168
	s_waitcnt lgkmcnt(0)
	v_lshrrev_b32_e32 v2, 16, v0
	v_and_b32_e32 v0, 0xffff, v0
	;;#ASMSTART
	v_cvt_f32_f16 v0, v0;
	;;#ASMEND
	;;#ASMSTART
	v_cvt_f32_f16 v2, v2;
	;;#ASMEND
	buffer_load_dword v3, off, s[0:3], s32 offset:564 ; 4-byte Folded Reload
	s_waitcnt vmcnt(0)
	v_and_b32_e32 v3, 0xffff, v3
	;;#ASMSTART
	v_cvt_f32_f16 v3, v3;
	;;#ASMEND
	buffer_load_dword v4, off, s[0:3], s32 offset:560 ; 4-byte Folded Reload
	v_fmac_f32_e32 v10, v0, v3
	v_and_b32_e32 v0, 0xffff, v1
	s_waitcnt vmcnt(0)
	v_and_b32_e32 v4, 0xffff, v4
	;;#ASMSTART
	v_cvt_f32_f16 v4, v4;
	;;#ASMEND
	v_fmac_f32_e32 v12, v2, v4
	v_lshrrev_b32_e32 v2, 16, v1
	;; [unrolled: 46-line block ×11, first 2 shown]
	;;#ASMSTART
	v_cvt_f32_f16 v0, v0;
	;;#ASMEND
	;;#ASMSTART
	v_cvt_f32_f16 v1, v2;
	;;#ASMEND
	buffer_load_dword v2, off, s[0:3], s32 offset:412 ; 4-byte Folded Reload
	s_waitcnt vmcnt(0)
	v_and_b32_e32 v2, 0xffff, v2
	;;#ASMSTART
	v_cvt_f32_f16 v2, v2;
	;;#ASMEND
	buffer_load_dword v3, off, s[0:3], s32 offset:408 ; 4-byte Folded Reload
	v_fmac_f32_e32 v13, v0, v2
	s_waitcnt vmcnt(0)
	v_and_b32_e32 v3, 0xffff, v3
	;;#ASMSTART
	v_cvt_f32_f16 v3, v3;
	;;#ASMEND
	v_fmac_f32_e32 v18, v1, v3
	ds_read_b64 v[0:1], v34 offset:248
	s_waitcnt lgkmcnt(0)
	v_lshrrev_b32_e32 v2, 16, v0
	v_and_b32_e32 v0, 0xffff, v0
	;;#ASMSTART
	v_cvt_f32_f16 v0, v0;
	;;#ASMEND
	;;#ASMSTART
	v_cvt_f32_f16 v2, v2;
	;;#ASMEND
	buffer_load_dword v3, off, s[0:3], s32 offset:96 ; 4-byte Folded Reload
	s_waitcnt vmcnt(0)
	v_and_b32_e32 v3, 0xffff, v3
	;;#ASMSTART
	v_cvt_f32_f16 v3, v3;
	;;#ASMEND
	buffer_load_dword v4, off, s[0:3], s32 offset:92 ; 4-byte Folded Reload
	v_fmac_f32_e32 v10, v0, v3
	v_and_b32_e32 v0, 0xffff, v1
	v_and_b32_e32 v3, 0xffff, v63
	s_waitcnt vmcnt(0)
	v_and_b32_e32 v4, 0xffff, v4
	;;#ASMSTART
	v_cvt_f32_f16 v4, v4;
	;;#ASMEND
	v_fmac_f32_e32 v12, v2, v4
	v_lshrrev_b32_e32 v2, 16, v1
	;;#ASMSTART
	v_cvt_f32_f16 v0, v0;
	;;#ASMEND
	;;#ASMSTART
	v_cvt_f32_f16 v1, v2;
	;;#ASMEND
	buffer_load_dword v2, off, s[0:3], s32 offset:88 ; 4-byte Folded Reload
	s_waitcnt vmcnt(0)
	v_and_b32_e32 v2, 0xffff, v2
	;;#ASMSTART
	v_cvt_f32_f16 v2, v2;
	;;#ASMEND
	;;#ASMSTART
	v_cvt_f32_f16 v3, v3;
	;;#ASMEND
	buffer_load_dword v4, off, s[0:3], s32 offset:600 ; 4-byte Folded Reload
	v_fmac_f32_e32 v13, v0, v2
	v_add_f32_e32 v0, v10, v12
	v_fmac_f32_e32 v18, v1, v3
	v_add_f32_e32 v0, v0, v13
	v_add_f32_e32 v2, v18, v0
	s_waitcnt vmcnt(0)
	v_and_b32_e32 v0, 64, v4
	v_xor_b32_e32 v3, 1, v4
	v_add_u32_e32 v1, 64, v0
	v_cmp_lt_i32_e32 vcc, v3, v1
	v_cndmask_b32_e32 v3, v4, v3, vcc
	v_lshlrev_b32_e32 v3, 2, v3
	ds_bpermute_b32 v3, v3, v2
	s_mov_b64 s[26:27], exec
	buffer_load_dword v8, off, s[0:3], s32 offset:404 ; 4-byte Folded Reload
	s_and_b64 s[28:29], s[26:27], s[8:9]
	s_mov_b64 exec, s[28:29]
	s_cbranch_execz .LBB272_8
; %bb.778:                              ;   in Loop: Header=BB272_9 Depth=1
	buffer_load_dword v7, off, s[0:3], s32 offset:376 ; 4-byte Folded Reload
	buffer_load_dword v6, off, s[0:3], s32 offset:624 ; 4-byte Folded Reload
	s_waitcnt lgkmcnt(0)
	v_add_f32_e32 v2, v2, v3
	buffer_load_dword v3, off, s[0:3], s32 offset:380 ; 4-byte Folded Reload
	v_sub_u32_e32 v4, 1, v27
	s_load_dword s28, s[22:23], 0x0
	s_waitcnt vmcnt(2)
	v_add_u32_e32 v4, v4, v7
	v_cvt_f32_i32_e32 v4, v4
	v_cmp_lt_i32_e32 vcc, v7, v27
	s_waitcnt vmcnt(0) lgkmcnt(0)
	v_add_u32_e32 v3, s28, v3
	v_mul_f32_e32 v4, v6, v4
	buffer_load_dword v6, off, s[0:3], s32 offset:628 ; 4-byte Folded Reload
	v_cndmask_b32_e64 v4, 0, v4, s[10:11]
	s_waitcnt vmcnt(0)
	v_fmac_f32_e32 v4, v6, v2
	v_cndmask_b32_e32 v2, 0, v4, vcc
	ds_write_b32 v3, v2
	buffer_load_dword v3, off, s[0:3], s32 offset:612 ; 4-byte Folded Reload
	s_waitcnt vmcnt(0)
	v_max_f32_e32 v2, v3, v3
	v_max_f32_e32 v2, v2, v4
	v_cndmask_b32_e32 v3, v3, v2, vcc
	buffer_store_dword v3, off, s[0:3], s32 offset:612 ; 4-byte Folded Spill
	s_branch .LBB272_8
.LBB272_779:
	s_or_b64 exec, exec, s[24:25]
	buffer_load_dword v12, off, s[0:3], s32 offset:632 ; 4-byte Folded Reload
	buffer_load_dword v10, off, s[0:3], s32 offset:612 ; 4-byte Folded Reload
.LBB272_780:
	s_or_b64 exec, exec, s[12:13]
	buffer_load_dword v9, off, s[0:3], s32 offset:600 ; 4-byte Folded Reload
	s_waitcnt vmcnt(1)
	v_max_f32_e32 v4, v10, v10
	v_and_b32_e32 v26, 63, v12
	s_waitcnt lgkmcnt(0)
	s_lshr_b32 s19, s19, 16
	s_waitcnt vmcnt(0)
	v_xor_b32_e32 v2, 32, v9
	v_cmp_lt_i32_e32 vcc, v2, v1
	v_cndmask_b32_e32 v2, v9, v2, vcc
	v_lshlrev_b32_e32 v2, 2, v2
	ds_bpermute_b32 v3, v2, v10
	v_xor_b32_e32 v5, 16, v9
	v_cmp_lt_i32_e32 vcc, v5, v1
	v_xor_b32_e32 v6, 8, v9
	v_xor_b32_e32 v7, 4, v9
	s_waitcnt lgkmcnt(0)
	v_max_f32_e32 v3, v3, v3
	v_max_f32_e32 v4, v4, v3
	v_cndmask_b32_e32 v3, v9, v5, vcc
	v_lshlrev_b32_e32 v3, 2, v3
	ds_bpermute_b32 v5, v3, v4
	v_cmp_lt_i32_e32 vcc, v6, v1
	v_xor_b32_e32 v8, 2, v9
	s_waitcnt lgkmcnt(0)
	v_max_f32_e32 v5, v5, v5
	v_max_f32_e32 v5, v4, v5
	v_cndmask_b32_e32 v4, v9, v6, vcc
	v_lshlrev_b32_e32 v4, 2, v4
	ds_bpermute_b32 v6, v4, v5
	v_cmp_lt_i32_e32 vcc, v7, v1
	s_waitcnt lgkmcnt(0)
	v_max_f32_e32 v6, v6, v6
	v_max_f32_e32 v6, v5, v6
	v_cndmask_b32_e32 v5, v9, v7, vcc
	v_lshlrev_b32_e32 v5, 2, v5
	ds_bpermute_b32 v7, v5, v6
	v_cmp_lt_i32_e32 vcc, v8, v1
	s_waitcnt lgkmcnt(0)
	v_max_f32_e32 v7, v7, v7
	v_max_f32_e32 v7, v6, v7
	v_cndmask_b32_e32 v6, v9, v8, vcc
	v_lshlrev_b32_e32 v17, 2, v6
	buffer_load_dword v6, off, s[0:3], s32 offset:80 ; 4-byte Folded Reload
	ds_bpermute_b32 v8, v17, v7
	v_cmp_eq_u32_e32 vcc, 0, v26
	s_waitcnt vmcnt(0)
	v_lshlrev_b32_e32 v6, 2, v6
	s_and_saveexec_b64 s[8:9], vcc
	s_cbranch_execz .LBB272_782
; %bb.781:
	s_waitcnt lgkmcnt(0)
	v_max_f32_e32 v8, v8, v8
	v_max_f32_e32 v7, v7, v7
	;; [unrolled: 1-line block ×3, first 2 shown]
	ds_write_b32 v6, v7 offset:512
.LBB272_782:
	s_or_b64 exec, exec, s[8:9]
	v_cmp_gt_u32_e64 s[8:9], 2, v26
	s_waitcnt lgkmcnt(0)
	v_mov_b32_e32 v8, 0xff7fffff
	v_lshlrev_b32_e32 v7, 2, v26
	s_barrier
	s_and_saveexec_b64 s[10:11], s[8:9]
; %bb.783:
	ds_read_b32 v8, v7 offset:512
; %bb.784:
	s_or_b64 exec, exec, s[10:11]
	buffer_load_dword v10, off, s[0:3], s32 offset:600 ; 4-byte Folded Reload
	v_lshlrev_b32_e32 v0, 2, v0
	s_waitcnt vmcnt(0)
	v_xor_b32_e32 v9, 1, v10
	v_cmp_lt_i32_e64 s[10:11], v9, v1
	v_cndmask_b32_e64 v1, v10, v9, s[10:11]
	v_lshlrev_b32_e32 v28, 2, v1
	s_waitcnt lgkmcnt(0)
	ds_bpermute_b32 v1, v28, v8
	v_max_f32_e32 v8, v8, v8
	s_waitcnt lgkmcnt(0)
	v_max_f32_e32 v1, v1, v1
	v_max_f32_e32 v1, v8, v1
	ds_bpermute_b32 v1, v0, v1
	buffer_load_dword v0, off, s[0:3], s32 offset:84 ; 4-byte Folded Reload
	v_mov_b32_e32 v8, 0
	s_waitcnt vmcnt(0)
	v_lshlrev_b32_e32 v0, 5, v0
	v_min_i32_e32 v0, v0, v27
	v_cmp_lt_i32_e64 s[10:11], v12, v0
	s_and_saveexec_b64 s[22:23], s[10:11]
	s_cbranch_execz .LBB272_788
; %bb.785:
	s_ashr_i32 s21, s20, 31
	s_lshl_b64 s[12:13], s[20:21], 2
	s_getpc_b64 s[24:25]
	s_add_u32 s24, s24, llvm.amdgcn.dynlds.offset.table@rel32@lo+4
	s_addc_u32 s25, s25, llvm.amdgcn.dynlds.offset.table@rel32@hi+12
	s_add_u32 s12, s24, s12
	s_addc_u32 s13, s25, s13
	s_load_dword s12, s[12:13], 0x0
	v_mov_b32_e32 v8, 0
	s_mov_b64 s[24:25], 0
	v_mov_b32_e32 v10, v12
	s_waitcnt lgkmcnt(0)
	v_lshl_add_u32 v9, v12, 2, s12
.LBB272_786:                            ; =>This Inner Loop Header: Depth=1
	ds_read_b32 v11, v9
	v_add_u32_e32 v10, 0x80, v10
	v_cmp_ge_i32_e64 s[12:13], v10, v0
	s_or_b64 s[24:25], s[12:13], s[24:25]
	s_waitcnt lgkmcnt(0)
	v_sub_f32_e32 v11, v11, v1
	v_mul_f32_e32 v11, 0x3fb8aa3b, v11
	v_exp_f32_e32 v11, v11
	ds_write_b32 v9, v11
	v_add_f32_e32 v8, v8, v11
	v_add_u32_e32 v9, 0x200, v9
	s_andn2_b64 exec, exec, s[24:25]
	s_cbranch_execnz .LBB272_786
; %bb.787:
	s_or_b64 exec, exec, s[24:25]
.LBB272_788:
	s_or_b64 exec, exec, s[22:23]
	s_waitcnt lgkmcnt(0)
	ds_bpermute_b32 v1, v2, v8
	s_waitcnt lgkmcnt(0)
	v_add_f32_e32 v1, v8, v1
	ds_bpermute_b32 v2, v3, v1
	s_waitcnt lgkmcnt(0)
	v_add_f32_e32 v1, v1, v2
	;; [unrolled: 3-line block ×6, first 2 shown]
	s_and_saveexec_b64 s[12:13], vcc
; %bb.789:
	ds_write_b32 v6, v1 offset:520
; %bb.790:
	s_or_b64 exec, exec, s[12:13]
	s_waitcnt lgkmcnt(0)
	s_barrier
	s_and_saveexec_b64 s[12:13], s[8:9]
; %bb.791:
	ds_read_b32 v1, v7 offset:520
; %bb.792:
	s_or_b64 exec, exec, s[12:13]
	buffer_load_dword v3, off, s[0:3], s32 offset:600 ; 4-byte Folded Reload
	s_waitcnt lgkmcnt(0)
	ds_bpermute_b32 v2, v28, v1
	s_waitcnt lgkmcnt(0)
	v_add_f32_e32 v1, v1, v2
	s_waitcnt vmcnt(0)
	v_lshlrev_b32_e32 v3, 2, v3
	v_and_b32_e32 v2, 0xffffff00, v3
	ds_bpermute_b32 v1, v2, v1
	s_and_saveexec_b64 s[8:9], s[10:11]
	s_cbranch_execz .LBB272_795
; %bb.793:
	s_waitcnt lgkmcnt(0)
	v_add_f32_e32 v2, 0x358637bd, v1
	v_div_scale_f32 v1, s[10:11], v2, v2, 1.0
	v_div_scale_f32 v3, vcc, 1.0, v2, 1.0
	s_ashr_i32 s21, s20, 31
	s_getpc_b64 s[10:11]
	s_add_u32 s10, s10, llvm.amdgcn.dynlds.offset.table@rel32@lo+4
	s_addc_u32 s11, s11, llvm.amdgcn.dynlds.offset.table@rel32@hi+12
	s_lshl_b64 s[12:13], s[20:21], 2
	s_add_u32 s10, s10, s12
	s_addc_u32 s11, s11, s13
	s_load_dword s12, s[10:11], 0x0
	s_mov_b64 s[10:11], 0
	v_rcp_f32_e32 v4, v1
	v_fma_f32 v5, -v1, v4, 1.0
	v_fmac_f32_e32 v4, v5, v4
	v_mul_f32_e32 v5, v3, v4
	v_fma_f32 v6, -v1, v5, v3
	v_fmac_f32_e32 v5, v6, v4
	v_fma_f32 v1, -v1, v5, v3
	v_div_fmas_f32 v3, v1, v4, v5
	s_waitcnt lgkmcnt(0)
	v_lshl_add_u32 v1, v12, 2, s12
	v_div_fixup_f32 v2, v3, v2, 1.0
	v_mov_b32_e32 v3, v12
.LBB272_794:                            ; =>This Inner Loop Header: Depth=1
	ds_read_b32 v4, v1
	v_add_u32_e32 v3, 0x80, v3
	v_cmp_ge_i32_e32 vcc, v3, v0
	s_or_b64 s[10:11], vcc, s[10:11]
	s_waitcnt lgkmcnt(0)
	v_mul_f32_e32 v4, v2, v4
	ds_write_b32 v1, v4
	v_add_u32_e32 v1, 0x200, v1
	s_andn2_b64 exec, exec, s[10:11]
	s_cbranch_execnz .LBB272_794
.LBB272_795:
	s_or_b64 exec, exec, s[8:9]
	s_waitcnt lgkmcnt(0)
	s_barrier
	s_and_saveexec_b64 s[8:9], s[6:7]
	s_xor_b64 s[6:7], exec, s[8:9]
; %bb.796:
                                        ; implicit-def: $vgpr0
                                        ; kill: killed $vgpr0
	s_ashr_i32 s21, s20, 31
                                        ; implicit-def: $vgpr0
                                        ; kill: killed $vgpr0
                                        ; implicit-def: $vgpr27
                                        ; implicit-def: $vgpr0
                                        ; kill: killed $vgpr0
                                        ; implicit-def: $vgpr0
                                        ; kill: killed $vgpr0
	;; [unrolled: 2-line block ×5, first 2 shown]
                                        ; implicit-def: $vgpr0_vgpr1
                                        ; kill: killed $vgpr0_vgpr1
                                        ; implicit-def: $vgpr0
                                        ; kill: killed $vgpr0
                                        ; implicit-def: $vgpr0
                                        ; kill: killed $vgpr0
	;; [unrolled: 2-line block ×3, first 2 shown]
                                        ; implicit-def: $vgpr0_vgpr1
                                        ; kill: killed $vgpr0_vgpr1
                                        ; implicit-def: $vgpr0
                                        ; kill: killed $vgpr0
; %bb.797:
	s_or_saveexec_b64 s[8:9], s[6:7]
	v_mov_b32_e32 v4, s20
	v_mov_b32_e32 v51, 0
	;; [unrolled: 1-line block ×3, first 2 shown]
	v_and_b32_e32 v29, 3, v12
	v_mov_b32_e32 v52, 0
	v_mov_b32_e32 v50, 0
	;; [unrolled: 1-line block ×15, first 2 shown]
	s_xor_b64 exec, exec, s[8:9]
	s_cbranch_execz .LBB272_1601
; %bb.798:
	buffer_store_dword v28, off, s[0:3], s32 offset:164 ; 4-byte Folded Spill
	buffer_store_dword v17, off, s[0:3], s32 offset:160 ; 4-byte Folded Spill
	;; [unrolled: 1-line block ×3, first 2 shown]
	buffer_load_dword v2, off, s[0:3], s32 offset:680 ; 4-byte Folded Reload
	buffer_load_dword v1, off, s[0:3], s32 offset:676 ; 4-byte Folded Reload
	;; [unrolled: 1-line block ×3, first 2 shown]
	s_ashr_i32 s21, s20, 31
	s_lshl_b64 s[6:7], s[20:21], 2
	s_getpc_b64 s[12:13]
	s_add_u32 s12, s12, llvm.amdgcn.dynlds.offset.table@rel32@lo+4
	s_addc_u32 s13, s13, llvm.amdgcn.dynlds.offset.table@rel32@hi+12
	s_add_u32 s6, s12, s6
	s_addc_u32 s7, s13, s7
	s_mov_b32 s10, -1
	s_mov_b32 s11, 0xffffff
	v_mov_b32_e32 v7, 0
	s_mov_b64 s[12:13], 0
	s_movk_i32 s28, 0x80
	s_movk_i32 s29, 0x7f
	s_mov_b32 s40, 0x8000
	v_mov_b32_e32 v53, 0x2000
	v_mov_b32_e32 v21, 0
	;; [unrolled: 1-line block ×17, first 2 shown]
	s_waitcnt vmcnt(2)
	v_and_b32_e32 v0, 24, v2
	s_waitcnt vmcnt(0)
	v_add_co_u32_e32 v4, vcc, v1, v3
	buffer_load_dword v1, off, s[0:3], s32 offset:672 ; 4-byte Folded Reload
	buffer_load_dword v3, off, s[0:3], s32 offset:660 ; 4-byte Folded Reload
	s_waitcnt vmcnt(0)
	v_addc_co_u32_e32 v5, vcc, v1, v3, vcc
	v_and_b32_e32 v1, 0x1f8, v2
	buffer_store_dword v4, off, s[0:3], s32 offset:140 ; 4-byte Folded Spill
	s_nop 0
	buffer_store_dword v5, off, s[0:3], s32 offset:144 ; 4-byte Folded Spill
	buffer_store_dword v1, off, s[0:3], s32 offset:148 ; 4-byte Folded Spill
	v_or_b32_e32 v1, 0x1e00, v2
	buffer_store_dword v1, off, s[0:3], s32 offset:152 ; 4-byte Folded Spill
	buffer_load_dword v1, off, s[0:3], s32 offset:652 ; 4-byte Folded Reload
	s_load_dword s6, s[6:7], 0x0
	buffer_load_dword v2, off, s[0:3], s32 offset:644 ; 4-byte Folded Reload
	buffer_load_dword v3, off, s[0:3], s32 offset:648 ; 4-byte Folded Reload
	;; [unrolled: 1-line block ×3, first 2 shown]
	s_waitcnt vmcnt(3)
	v_and_b32_e32 v1, 60, v1
	s_waitcnt vmcnt(2)
	v_add_co_u32_e32 v1, vcc, v1, v2
	buffer_load_dword v2, off, s[0:3], s32 offset:640 ; 4-byte Folded Reload
	s_waitcnt vmcnt(2)
	v_addc_co_u32_e32 v3, vcc, 0, v3, vcc
	buffer_store_dword v29, off, s[0:3], s32 offset:168 ; 4-byte Folded Spill
	s_waitcnt vmcnt(1)
	v_add_co_u32_e32 v2, vcc, v2, v1
	buffer_load_dword v1, off, s[0:3], s32 offset:636 ; 4-byte Folded Reload
	s_waitcnt vmcnt(0)
	v_addc_co_u32_e32 v3, vcc, v1, v3, vcc
	v_lshlrev_b32_e32 v1, 5, v4
	v_or3_b32 v19, v1, v0, 7
	v_lshlrev_b32_e32 v0, 5, v29
	v_lshl_or_b32 v0, v4, 7, v0
	s_waitcnt lgkmcnt(0)
	v_add_u32_e32 v32, s6, v0
	s_branch .LBB272_800
.LBB272_799:                            ;   in Loop: Header=BB272_800 Depth=1
	s_or_b64 exec, exec, s[22:23]
	v_add_f32_e32 v4, v30, v4
	v_add_f32_e32 v36, v36, v4
	buffer_load_dword v4, off, s[0:3], s32 offset:136 ; 4-byte Folded Reload
	v_add_f32_e32 v5, v5, v15
	v_add_f32_e32 v35, v35, v5
	;; [unrolled: 1-line block ×7, first 2 shown]
	v_add_co_u32_e32 v2, vcc, 8, v2
	v_add_f32_e32 v25, v25, v9
	v_add_f32_e32 v9, v58, v59
	v_addc_co_u32_e32 v3, vcc, 0, v3, vcc
	v_add_f32_e32 v33, v33, v9
	v_add_f32_e32 v9, v16, v57
	v_add_f32_e32 v34, v34, v9
	v_add_u32_e32 v19, 64, v19
	v_add_u32_e32 v32, 0x100, v32
	s_waitcnt vmcnt(0)
	v_add_f32_e32 v4, v4, v31
	v_add_f32_e32 v37, v37, v4
	buffer_load_dword v4, off, s[0:3], s32 offset:128 ; 4-byte Folded Reload
	buffer_load_dword v5, off, s[0:3], s32 offset:132 ; 4-byte Folded Reload
	s_waitcnt vmcnt(0)
	v_add_f32_e32 v4, v4, v5
	v_add_f32_e32 v38, v38, v4
	buffer_load_dword v4, off, s[0:3], s32 offset:120 ; 4-byte Folded Reload
	buffer_load_dword v5, off, s[0:3], s32 offset:124 ; 4-byte Folded Reload
	s_waitcnt vmcnt(0)
	v_add_f32_e32 v4, v4, v5
	v_add_f32_e32 v39, v39, v4
	buffer_load_dword v4, off, s[0:3], s32 offset:112 ; 4-byte Folded Reload
	buffer_load_dword v5, off, s[0:3], s32 offset:116 ; 4-byte Folded Reload
	s_waitcnt vmcnt(0)
	v_add_f32_e32 v4, v4, v5
	v_add_f32_e32 v48, v48, v4
	buffer_load_dword v4, off, s[0:3], s32 offset:104 ; 4-byte Folded Reload
	buffer_load_dword v5, off, s[0:3], s32 offset:108 ; 4-byte Folded Reload
	s_waitcnt vmcnt(0)
	v_add_f32_e32 v4, v4, v5
	v_add_f32_e32 v49, v49, v4
	buffer_load_dword v4, off, s[0:3], s32 offset:96 ; 4-byte Folded Reload
	buffer_load_dword v5, off, s[0:3], s32 offset:100 ; 4-byte Folded Reload
	s_waitcnt vmcnt(0)
	v_add_f32_e32 v4, v4, v5
	v_add_f32_e32 v50, v50, v4
	buffer_load_dword v4, off, s[0:3], s32 offset:88 ; 4-byte Folded Reload
	buffer_load_dword v5, off, s[0:3], s32 offset:92 ; 4-byte Folded Reload
	s_waitcnt vmcnt(0)
	v_add_f32_e32 v4, v4, v5
	v_add_f32_e32 v52, v52, v4
	buffer_load_dword v4, off, s[0:3], s32 offset:72 ; 4-byte Folded Reload
	buffer_load_dword v5, off, s[0:3], s32 offset:76 ; 4-byte Folded Reload
	s_waitcnt vmcnt(0)
	v_add_f32_e32 v4, v4, v5
	v_add_f32_e32 v51, v51, v4
	;;#ASMSTART
	v_pk_mul_f16 v4, v55, v8;

	;;#ASMEND
	;;#ASMSTART
	v_pk_mul_f16 v5, v40, v6;

	;;#ASMEND
	;; [unrolled: 4-line block ×4, first 2 shown]
	;;#ASMSTART
	v_pk_add_f16 v4, v4, v5;

	;;#ASMEND
	;;#ASMSTART
	v_pk_add_f16 v1, v4, v1;

	;;#ASMEND
	;; [unrolled: 4-line block ×3, first 2 shown]
	v_lshrrev_b32_e32 v1, 16, v0
	v_and_b32_e32 v0, 0xffff, v0
	;;#ASMSTART
	v_cvt_f32_f16 v0, v0;
	;;#ASMEND
	;;#ASMSTART
	v_cvt_f32_f16 v1, v1;
	;;#ASMEND
	v_add_f32_e32 v0, v0, v1
	buffer_load_dword v1, off, s[0:3], s32 offset:80 ; 4-byte Folded Reload
	v_add_f32_e32 v21, v21, v0
	buffer_load_dword v0, off, s[0:3], s32 offset:84 ; 4-byte Folded Reload
	s_waitcnt vmcnt(1)
	v_add_u32_e32 v1, 2, v1
	buffer_store_dword v1, off, s[0:3], s32 offset:80 ; 4-byte Folded Spill
	s_waitcnt vmcnt(1)
	v_cmp_ge_i32_e32 vcc, v1, v0
	s_or_b64 s[12:13], vcc, s[12:13]
	s_andn2_b64 exec, exec, s[12:13]
	s_cbranch_execz .LBB272_1600
.LBB272_800:                            ; =>This Inner Loop Header: Depth=1
	flat_load_dword v6, v[2:3]
	ds_read2_b64 v[8:11], v32 offset1:1
	ds_read2_b64 v[14:17], v32 offset0:2 offset1:3
	s_waitcnt lgkmcnt(0)
	;;#ASMSTART
	v_cvt_f16_f32 v0, v8;

	;;#ASMEND
	;;#ASMSTART
	v_cvt_f16_f32 v1, v9;

	;;#ASMEND
	;; [unrolled: 4-line block ×6, first 2 shown]
	buffer_load_dword v8, off, s[0:3], s32 offset:392 ; 4-byte Folded Reload
	buffer_load_dword v9, off, s[0:3], s32 offset:140 ; 4-byte Folded Reload
	;; [unrolled: 1-line block ×3, first 2 shown]
	;;#ASMSTART
	v_cvt_f16_f32 v16, v16;

	;;#ASMEND
	;;#ASMSTART
	v_cvt_f16_f32 v17, v17;

	;;#ASMEND
	s_waitcnt vmcnt(0)
	v_mad_i64_i32 v[8:9], s[6:7], v6, v8, v[9:10]
	buffer_load_dword v6, off, s[0:3], s32 offset:148 ; 4-byte Folded Reload
	s_waitcnt vmcnt(0)
	v_add_co_u32_e32 v10, vcc, v8, v6
	v_addc_co_u32_e32 v11, vcc, 0, v9, vcc
	flat_load_dwordx2 v[12:13], v[10:11]
	buffer_load_dword v22, off, s[0:3], s32 offset:64 ; 4-byte Folded Reload
	buffer_load_dword v23, off, s[0:3], s32 offset:68 ; 4-byte Folded Reload
	s_waitcnt vmcnt(0) lgkmcnt(0)
	v_cmp_ne_u16_sdwa s[22:23], v12, v7 src0_sel:BYTE_0 src1_sel:DWORD
	flat_load_dword v18, v[22:23]
	v_mov_b32_e32 v22, 0
	s_and_saveexec_b64 s[6:7], s[22:23]
	s_cbranch_execz .LBB272_806
; %bb.801:                              ;   in Loop: Header=BB272_800 Depth=1
	v_cmp_ne_u16_sdwa s[24:25], v12, s28 src0_sel:BYTE_0 src1_sel:DWORD
	v_mov_b32_e32 v22, 0x8000
	s_and_saveexec_b64 s[22:23], s[24:25]
	s_cbranch_execz .LBB272_805
; %bb.802:                              ;   in Loop: Header=BB272_800 Depth=1
	v_and_b32_e32 v6, 0x7f, v12
	v_cmp_ne_u32_e32 vcc, s29, v6
	v_mov_b32_e32 v22, 0x7c01
	s_and_saveexec_b64 s[24:25], vcc
	s_cbranch_execz .LBB272_804
; %bb.803:                              ;   in Loop: Header=BB272_800 Depth=1
	v_and_b32_e32 v26, 7, v12
	v_ffbh_u32_e32 v22, v26
	v_min_u32_e32 v29, 32, v22
	v_subrev_u32_e32 v22, 28, v29
	v_lshlrev_b64 v[22:23], v22, v[12:13]
	v_lshrrev_b32_e32 v28, 3, v6
	v_sub_u32_e32 v23, 29, v29
	v_cmp_gt_u32_e32 vcc, 8, v6
	v_cndmask_b32_e32 v6, v28, v23, vcc
	v_lshl_add_u32 v6, v6, 10, v53
	v_lshlrev_b32_e32 v23, 8, v12
	v_and_b32_e32 v22, 7, v22
	v_and_b32_e32 v6, 0xfc00, v6
	v_cndmask_b32_e32 v22, v26, v22, vcc
	v_and_or_b32 v6, v23, s40, v6
	v_lshl_or_b32 v22, v22, 7, v6
.LBB272_804:                            ;   in Loop: Header=BB272_800 Depth=1
	s_or_b64 exec, exec, s[24:25]
.LBB272_805:                            ;   in Loop: Header=BB272_800 Depth=1
	s_or_b64 exec, exec, s[22:23]
.LBB272_806:                            ;   in Loop: Header=BB272_800 Depth=1
	s_or_b64 exec, exec, s[6:7]
	v_lshrrev_b16_e32 v6, 8, v12
	v_cmp_ne_u16_e32 vcc, 0, v6
	v_mov_b32_e32 v26, 0
	v_mov_b32_e32 v23, 0
	s_and_saveexec_b64 s[6:7], vcc
	s_cbranch_execz .LBB272_812
; %bb.807:                              ;   in Loop: Header=BB272_800 Depth=1
	v_cmp_ne_u16_e32 vcc, s28, v6
	v_bfrev_b32_e32 v23, 1
	s_and_saveexec_b64 s[22:23], vcc
	s_cbranch_execz .LBB272_811
; %bb.808:                              ;   in Loop: Header=BB272_800 Depth=1
	v_and_b32_e32 v28, 0x7f, v6
	v_cmp_ne_u32_e32 vcc, s29, v28
	v_mov_b32_e32 v23, 0x7c010000
	s_and_saveexec_b64 s[24:25], vcc
	s_cbranch_execz .LBB272_810
; %bb.809:                              ;   in Loop: Header=BB272_800 Depth=1
	v_and_b32_e32 v23, 7, v6
	v_lshrrev_b32_e32 v30, 3, v28
	v_cmp_gt_u32_e32 vcc, 8, v28
	v_ffbh_u32_e32 v28, v23
	v_min_u32_e32 v31, 32, v28
	v_subrev_u32_e32 v28, 28, v31
	v_lshlrev_b64 v[28:29], v28, v[6:7]
	v_sub_u32_e32 v29, 29, v31
	v_cndmask_b32_e32 v29, v30, v29, vcc
	v_lshlrev_b32_e32 v6, 8, v6
	v_lshl_add_u32 v29, v29, 10, v53
	v_and_b32_e32 v28, 7, v28
	v_and_or_b32 v6, v6, s40, v29
	v_cndmask_b32_e32 v23, v23, v28, vcc
	v_lshlrev_b32_e32 v6, 16, v6
	v_lshl_or_b32 v23, v23, 23, v6
.LBB272_810:                            ;   in Loop: Header=BB272_800 Depth=1
	s_or_b64 exec, exec, s[24:25]
.LBB272_811:                            ;   in Loop: Header=BB272_800 Depth=1
	s_or_b64 exec, exec, s[22:23]
.LBB272_812:                            ;   in Loop: Header=BB272_800 Depth=1
	s_or_b64 exec, exec, s[6:7]
	v_lshrrev_b32_e32 v6, 16, v12
	v_cmp_ne_u16_sdwa s[22:23], v6, v7 src0_sel:BYTE_0 src1_sel:DWORD
	s_and_saveexec_b64 s[6:7], s[22:23]
	s_cbranch_execz .LBB272_818
; %bb.813:                              ;   in Loop: Header=BB272_800 Depth=1
	v_cmp_ne_u16_sdwa s[24:25], v6, s28 src0_sel:BYTE_0 src1_sel:DWORD
	v_mov_b32_e32 v26, 0x8000
	s_and_saveexec_b64 s[22:23], s[24:25]
	s_cbranch_execz .LBB272_817
; %bb.814:                              ;   in Loop: Header=BB272_800 Depth=1
	v_bfe_u32 v28, v12, 16, 7
	v_cmp_ne_u32_e32 vcc, s29, v28
	v_mov_b32_e32 v26, 0x7c01
	s_and_saveexec_b64 s[24:25], vcc
	s_cbranch_execz .LBB272_816
; %bb.815:                              ;   in Loop: Header=BB272_800 Depth=1
	v_and_b32_e32 v26, 7, v6
	v_lshrrev_b32_e32 v30, 3, v28
	v_cmp_gt_u32_e32 vcc, 8, v28
	v_ffbh_u32_e32 v28, v26
	v_min_u32_e32 v31, 32, v28
	v_subrev_u32_e32 v28, 28, v31
	v_lshlrev_b64 v[28:29], v28, v[6:7]
	v_sub_u32_e32 v29, 29, v31
	v_cndmask_b32_e32 v29, v30, v29, vcc
	v_lshl_add_u32 v29, v29, 10, v53
	v_and_b32_e32 v28, 7, v28
	v_lshlrev_b32_e32 v6, 8, v6
	v_cndmask_b32_e32 v26, v26, v28, vcc
	v_and_b32_e32 v28, 0xfc00, v29
	v_and_or_b32 v6, v6, s40, v28
	v_lshl_or_b32 v26, v26, 7, v6
.LBB272_816:                            ;   in Loop: Header=BB272_800 Depth=1
	s_or_b64 exec, exec, s[24:25]
.LBB272_817:                            ;   in Loop: Header=BB272_800 Depth=1
	s_or_b64 exec, exec, s[22:23]
.LBB272_818:                            ;   in Loop: Header=BB272_800 Depth=1
	s_or_b64 exec, exec, s[6:7]
	v_cmp_lt_u32_e32 vcc, s11, v12
	v_mov_b32_e32 v28, 0
	v_mov_b32_e32 v29, 0
	s_and_saveexec_b64 s[6:7], vcc
	s_cbranch_execz .LBB272_824
; %bb.819:                              ;   in Loop: Header=BB272_800 Depth=1
	v_lshrrev_b32_e32 v6, 24, v12
	v_cmp_ne_u32_e32 vcc, s28, v6
	v_bfrev_b32_e32 v29, 1
	s_and_saveexec_b64 s[22:23], vcc
	s_cbranch_execz .LBB272_823
; %bb.820:                              ;   in Loop: Header=BB272_800 Depth=1
	v_and_b32_e32 v30, 0x7f, v6
	v_cmp_ne_u32_e32 vcc, s29, v30
	v_mov_b32_e32 v29, 0x7c010000
	s_and_saveexec_b64 s[24:25], vcc
	s_cbranch_execz .LBB272_822
; %bb.821:                              ;   in Loop: Header=BB272_800 Depth=1
	v_and_b32_e32 v31, 7, v6
	v_ffbh_u32_e32 v29, v31
	v_min_u32_e32 v55, 32, v29
	v_subrev_u32_e32 v29, 28, v55
	v_lshrrev_b32_e32 v54, 3, v30
	v_cmp_gt_u32_e32 vcc, 8, v30
	v_lshlrev_b64 v[29:30], v29, v[6:7]
	v_sub_u32_e32 v30, 29, v55
	v_cndmask_b32_e32 v30, v54, v30, vcc
	v_lshlrev_b32_e32 v6, 8, v6
	v_lshl_add_u32 v30, v30, 10, v53
	v_and_b32_e32 v29, 7, v29
	v_and_or_b32 v6, v6, s40, v30
	v_cndmask_b32_e32 v29, v31, v29, vcc
	v_lshlrev_b32_e32 v6, 16, v6
	v_lshl_or_b32 v29, v29, 23, v6
.LBB272_822:                            ;   in Loop: Header=BB272_800 Depth=1
	s_or_b64 exec, exec, s[24:25]
.LBB272_823:                            ;   in Loop: Header=BB272_800 Depth=1
	s_or_b64 exec, exec, s[22:23]
.LBB272_824:                            ;   in Loop: Header=BB272_800 Depth=1
	s_or_b64 exec, exec, s[6:7]
	v_mov_b32_e32 v6, v13
	v_cmp_ne_u16_sdwa s[22:23], v13, v7 src0_sel:BYTE_0 src1_sel:DWORD
	s_and_saveexec_b64 s[6:7], s[22:23]
	s_cbranch_execz .LBB272_830
; %bb.825:                              ;   in Loop: Header=BB272_800 Depth=1
	v_cmp_ne_u16_sdwa s[24:25], v13, s28 src0_sel:BYTE_0 src1_sel:DWORD
	v_mov_b32_e32 v28, 0x8000
	s_and_saveexec_b64 s[22:23], s[24:25]
	s_cbranch_execz .LBB272_829
; %bb.826:                              ;   in Loop: Header=BB272_800 Depth=1
	v_and_b32_e32 v30, 0x7f, v13
	v_cmp_ne_u32_e32 vcc, s29, v30
	v_mov_b32_e32 v28, 0x7c01
	s_and_saveexec_b64 s[24:25], vcc
	s_cbranch_execz .LBB272_828
; %bb.827:                              ;   in Loop: Header=BB272_800 Depth=1
	v_and_b32_e32 v28, 7, v13
	v_lshrrev_b32_e32 v54, 3, v30
	v_cmp_gt_u32_e32 vcc, 8, v30
	v_ffbh_u32_e32 v30, v28
	v_min_u32_e32 v55, 32, v30
	v_subrev_u32_e32 v30, 28, v55
	v_lshlrev_b64 v[30:31], v30, v[6:7]
	v_sub_u32_e32 v31, 29, v55
	v_cndmask_b32_e32 v31, v54, v31, vcc
	v_lshl_add_u32 v31, v31, 10, v53
	v_and_b32_e32 v30, 7, v30
	v_lshlrev_b32_e32 v54, 8, v13
	v_cndmask_b32_e32 v28, v28, v30, vcc
	v_and_b32_e32 v30, 0xfc00, v31
	v_and_or_b32 v30, v54, s40, v30
	v_lshl_or_b32 v28, v28, 7, v30
.LBB272_828:                            ;   in Loop: Header=BB272_800 Depth=1
	s_or_b64 exec, exec, s[24:25]
.LBB272_829:                            ;   in Loop: Header=BB272_800 Depth=1
	s_or_b64 exec, exec, s[22:23]
.LBB272_830:                            ;   in Loop: Header=BB272_800 Depth=1
	s_or_b64 exec, exec, s[6:7]
	v_lshrrev_b16_e32 v6, 8, v6
	v_cmp_ne_u16_e32 vcc, 0, v6
	v_mov_b32_e32 v30, 0
	v_mov_b32_e32 v31, 0
	s_and_saveexec_b64 s[6:7], vcc
	s_cbranch_execz .LBB272_836
; %bb.831:                              ;   in Loop: Header=BB272_800 Depth=1
	v_cmp_ne_u16_e32 vcc, s28, v6
	v_bfrev_b32_e32 v31, 1
	s_and_saveexec_b64 s[22:23], vcc
	s_cbranch_execz .LBB272_835
; %bb.832:                              ;   in Loop: Header=BB272_800 Depth=1
	v_and_b32_e32 v54, 0x7f, v6
	v_cmp_ne_u32_e32 vcc, s29, v54
	v_mov_b32_e32 v31, 0x7c010000
	s_and_saveexec_b64 s[24:25], vcc
	s_cbranch_execz .LBB272_834
; %bb.833:                              ;   in Loop: Header=BB272_800 Depth=1
	v_and_b32_e32 v31, 7, v6
	v_lshrrev_b32_e32 v40, 3, v54
	v_cmp_gt_u32_e32 vcc, 8, v54
	v_ffbh_u32_e32 v54, v31
	v_min_u32_e32 v41, 32, v54
	v_subrev_u32_e32 v54, 28, v41
	v_lshlrev_b64 v[54:55], v54, v[6:7]
	v_sub_u32_e32 v55, 29, v41
	v_cndmask_b32_e32 v55, v40, v55, vcc
	v_lshlrev_b32_e32 v6, 8, v6
	v_lshl_add_u32 v55, v55, 10, v53
	v_and_b32_e32 v54, 7, v54
	v_and_or_b32 v6, v6, s40, v55
	v_cndmask_b32_e32 v31, v31, v54, vcc
	v_lshlrev_b32_e32 v6, 16, v6
	v_lshl_or_b32 v31, v31, 23, v6
.LBB272_834:                            ;   in Loop: Header=BB272_800 Depth=1
	s_or_b64 exec, exec, s[24:25]
.LBB272_835:                            ;   in Loop: Header=BB272_800 Depth=1
	s_or_b64 exec, exec, s[22:23]
.LBB272_836:                            ;   in Loop: Header=BB272_800 Depth=1
	s_or_b64 exec, exec, s[6:7]
	v_lshrrev_b32_e32 v6, 16, v13
	v_cmp_ne_u16_sdwa s[22:23], v6, v7 src0_sel:BYTE_0 src1_sel:DWORD
	s_and_saveexec_b64 s[6:7], s[22:23]
	s_cbranch_execz .LBB272_842
; %bb.837:                              ;   in Loop: Header=BB272_800 Depth=1
	v_cmp_ne_u16_sdwa s[24:25], v6, s28 src0_sel:BYTE_0 src1_sel:DWORD
	v_mov_b32_e32 v30, 0x8000
	s_and_saveexec_b64 s[22:23], s[24:25]
	s_cbranch_execz .LBB272_841
; %bb.838:                              ;   in Loop: Header=BB272_800 Depth=1
	v_bfe_u32 v54, v13, 16, 7
	v_cmp_ne_u32_e32 vcc, s29, v54
	v_mov_b32_e32 v30, 0x7c01
	s_and_saveexec_b64 s[24:25], vcc
	s_cbranch_execz .LBB272_840
; %bb.839:                              ;   in Loop: Header=BB272_800 Depth=1
	v_and_b32_e32 v30, 7, v6
	v_lshrrev_b32_e32 v40, 3, v54
	v_cmp_gt_u32_e32 vcc, 8, v54
	v_ffbh_u32_e32 v54, v30
	v_min_u32_e32 v41, 32, v54
	v_subrev_u32_e32 v54, 28, v41
	v_lshlrev_b64 v[54:55], v54, v[6:7]
	v_sub_u32_e32 v55, 29, v41
	v_cndmask_b32_e32 v55, v40, v55, vcc
	v_lshl_add_u32 v55, v55, 10, v53
	v_and_b32_e32 v54, 7, v54
	v_lshlrev_b32_e32 v6, 8, v6
	v_cndmask_b32_e32 v30, v30, v54, vcc
	v_and_b32_e32 v54, 0xfc00, v55
	v_and_or_b32 v6, v6, s40, v54
	v_lshl_or_b32 v30, v30, 7, v6
.LBB272_840:                            ;   in Loop: Header=BB272_800 Depth=1
	s_or_b64 exec, exec, s[24:25]
.LBB272_841:                            ;   in Loop: Header=BB272_800 Depth=1
	s_or_b64 exec, exec, s[22:23]
.LBB272_842:                            ;   in Loop: Header=BB272_800 Depth=1
	s_or_b64 exec, exec, s[6:7]
	v_cmp_lt_u64_e32 vcc, s[10:11], v[12:13]
	v_mov_b32_e32 v55, 0
	s_and_saveexec_b64 s[6:7], vcc
	s_cbranch_execz .LBB272_848
; %bb.843:                              ;   in Loop: Header=BB272_800 Depth=1
	v_lshrrev_b32_e32 v6, 24, v13
	v_cmp_ne_u32_e32 vcc, s28, v6
	v_bfrev_b32_e32 v55, 1
	s_and_saveexec_b64 s[22:23], vcc
	s_cbranch_execz .LBB272_847
; %bb.844:                              ;   in Loop: Header=BB272_800 Depth=1
	v_and_b32_e32 v12, 0x7f, v6
	v_cmp_ne_u32_e32 vcc, s29, v12
	v_mov_b32_e32 v55, 0x7c010000
	s_and_saveexec_b64 s[24:25], vcc
	s_cbranch_execz .LBB272_846
; %bb.845:                              ;   in Loop: Header=BB272_800 Depth=1
	v_and_b32_e32 v54, 7, v6
	v_lshrrev_b32_e32 v55, 3, v12
	v_cmp_gt_u32_e32 vcc, 8, v12
	v_ffbh_u32_e32 v12, v54
	v_min_u32_e32 v40, 32, v12
	v_subrev_u32_e32 v12, 28, v40
	v_lshlrev_b64 v[12:13], v12, v[6:7]
	v_sub_u32_e32 v13, 29, v40
	v_cndmask_b32_e32 v13, v55, v13, vcc
	v_lshlrev_b32_e32 v6, 8, v6
	v_lshl_add_u32 v13, v13, 10, v53
	v_and_b32_e32 v12, 7, v12
	v_and_or_b32 v6, v6, s40, v13
	v_cndmask_b32_e32 v12, v54, v12, vcc
	v_lshlrev_b32_e32 v6, 16, v6
	v_lshl_or_b32 v55, v12, 23, v6
.LBB272_846:                            ;   in Loop: Header=BB272_800 Depth=1
	s_or_b64 exec, exec, s[24:25]
.LBB272_847:                            ;   in Loop: Header=BB272_800 Depth=1
	s_or_b64 exec, exec, s[22:23]
.LBB272_848:                            ;   in Loop: Header=BB272_800 Depth=1
	s_or_b64 exec, exec, s[6:7]
	buffer_load_dword v6, off, s[0:3], s32 offset:84 ; 4-byte Folded Reload
	buffer_load_dword v12, off, s[0:3], s32 offset:80 ; 4-byte Folded Reload
	s_waitcnt vmcnt(0) lgkmcnt(0)
	v_fma_mixlo_f16 v13, v18, v23, 0 op_sel:[0,1,0] op_sel_hi:[0,1,0]
	v_lshlrev_b32_e32 v40, 16, v13
	v_or_b32_e32 v13, v31, v28
	v_fma_mixlo_f16 v13, v18, v13, 0 op_sel_hi:[0,1,0]
	v_and_b32_e32 v28, 0xffff, v13
	v_add_u32_e32 v54, -7, v19
	v_add_u32_e32 v56, -6, v19
	v_add_u32_e32 v47, -5, v19
	v_add_u32_e32 v46, -4, v19
	v_add_u32_e32 v45, -3, v19
	v_add_u32_e32 v44, -2, v19
	v_add_u32_e32 v43, -1, v19
	v_add_u32_e32 v6, -1, v6
	v_cmp_eq_u32_e64 s[6:7], v6, v12
	v_fma_mixlo_f16 v12, v18, v29, 0 op_sel:[0,1,0] op_sel_hi:[0,1,0]
	v_or_b32_e32 v6, v29, v26
	v_lshlrev_b32_e32 v26, 16, v12
	v_or_b32_e32 v12, v23, v22
	v_or_b32_e32 v23, v55, v30
	v_fma_mixlo_f16 v6, v18, v6, 0 op_sel_hi:[0,1,0]
	v_fma_mixlo_f16 v12, v18, v12, 0 op_sel_hi:[0,1,0]
	v_fma_mixlo_f16 v22, v18, v31, 0 op_sel:[0,1,0] op_sel_hi:[0,1,0]
	v_fma_mixlo_f16 v30, v18, v23, 0 op_sel_hi:[0,1,0]
	v_fma_mixlo_f16 v18, v18, v55, 0 op_sel:[0,1,0] op_sel_hi:[0,1,0]
	v_and_b32_e32 v29, 0xffff, v6
	v_and_b32_e32 v41, 0xffff, v12
	v_lshlrev_b32_e32 v22, 16, v22
	v_lshlrev_b32_e32 v23, 16, v18
	v_and_b32_e32 v30, 0xffff, v30
	v_or_b32_e32 v6, v26, v29
	v_or_b32_e32 v12, v40, v41
	;; [unrolled: 1-line block ×4, first 2 shown]
	s_and_saveexec_b64 s[22:23], s[6:7]
	s_cbranch_execz .LBB272_850
; %bb.849:                              ;   in Loop: Header=BB272_800 Depth=1
	v_cmp_lt_i32_e32 vcc, v54, v27
	v_cndmask_b32_e32 v6, 0, v41, vcc
	v_cmp_lt_i32_e32 vcc, v56, v27
	v_cndmask_b32_e32 v12, 0, v40, vcc
	v_cmp_lt_i32_e32 vcc, v47, v27
	v_or_b32_e32 v12, v6, v12
	v_cndmask_b32_e32 v6, 0, v29, vcc
	v_cmp_lt_i32_e32 vcc, v46, v27
	v_cndmask_b32_e32 v13, 0, v26, vcc
	v_cmp_lt_i32_e32 vcc, v45, v27
	v_or_b32_e32 v6, v6, v13
	;; [unrolled: 5-line block ×3, first 2 shown]
	v_cndmask_b32_e32 v18, 0, v30, vcc
	v_cmp_lt_i32_e32 vcc, v19, v27
	v_cndmask_b32_e32 v22, 0, v23, vcc
	v_or_b32_e32 v18, v18, v22
.LBB272_850:                            ;   in Loop: Header=BB272_800 Depth=1
	s_or_b64 exec, exec, s[22:23]
	v_and_b32_e32 v0, 0xffff, v0
	v_lshl_or_b32 v55, v1, 16, v0
	v_and_b32_e32 v0, 0xffff, v4
	v_lshl_or_b32 v40, v5, 16, v0
	;; [unrolled: 2-line block ×4, first 2 shown]
	;;#ASMSTART
	v_pk_mul_f16 v0, v55, v12;

	;;#ASMEND
	;;#ASMSTART
	v_pk_mul_f16 v1, v40, v6;

	;;#ASMEND
	;; [unrolled: 4-line block ×4, first 2 shown]
	;;#ASMSTART
	v_pk_add_f16 v0, v0, v1;

	;;#ASMEND
	;;#ASMSTART
	v_pk_add_f16 v0, v0, v4;

	;;#ASMEND
	;; [unrolled: 4-line block ×3, first 2 shown]
	v_lshrrev_b32_e32 v1, 16, v0
	v_and_b32_e32 v0, 0xffff, v0
	;;#ASMSTART
	v_cvt_f32_f16 v0, v0;
	;;#ASMEND
	buffer_store_dword v0, off, s[0:3], s32 offset:72 ; 4-byte Folded Spill
	;;#ASMSTART
	v_cvt_f32_f16 v0, v1;
	;;#ASMEND
	buffer_store_dword v0, off, s[0:3], s32 offset:76 ; 4-byte Folded Spill
	flat_load_dwordx2 v[12:13], v[10:11] offset:512
	s_nop 0
	buffer_load_dword v0, off, s[0:3], s32 offset:64 ; 4-byte Folded Reload
	buffer_load_dword v1, off, s[0:3], s32 offset:68 ; 4-byte Folded Reload
	v_mov_b32_e32 v4, 0
	s_waitcnt vmcnt(0) lgkmcnt(0)
	v_cmp_ne_u16_sdwa s[24:25], v12, v7 src0_sel:BYTE_0 src1_sel:DWORD
	flat_load_dword v0, v[0:1]
	v_mov_b32_e32 v1, 0
	s_and_saveexec_b64 s[22:23], s[24:25]
	s_cbranch_execz .LBB272_856
; %bb.851:                              ;   in Loop: Header=BB272_800 Depth=1
	v_cmp_ne_u16_sdwa s[26:27], v12, s28 src0_sel:BYTE_0 src1_sel:DWORD
	v_mov_b32_e32 v4, 0x8000
	s_and_saveexec_b64 s[24:25], s[26:27]
	s_cbranch_execz .LBB272_855
; %bb.852:                              ;   in Loop: Header=BB272_800 Depth=1
	v_and_b32_e32 v5, 0x7f, v12
	v_cmp_ne_u32_e32 vcc, s29, v5
	v_mov_b32_e32 v4, 0x7c01
	s_and_saveexec_b64 s[26:27], vcc
	s_cbranch_execz .LBB272_854
; %bb.853:                              ;   in Loop: Header=BB272_800 Depth=1
	v_and_b32_e32 v6, 7, v12
	v_ffbh_u32_e32 v4, v6
	v_min_u32_e32 v15, 32, v4
	v_subrev_u32_e32 v4, 28, v15
	v_lshrrev_b32_e32 v14, 3, v5
	v_cmp_gt_u32_e32 vcc, 8, v5
	v_lshlrev_b64 v[4:5], v4, v[12:13]
	v_sub_u32_e32 v5, 29, v15
	v_cndmask_b32_e32 v5, v14, v5, vcc
	v_lshl_add_u32 v5, v5, 10, v53
	v_lshlrev_b32_e32 v14, 8, v12
	v_and_b32_e32 v4, 7, v4
	v_and_b32_e32 v5, 0xfc00, v5
	v_cndmask_b32_e32 v4, v6, v4, vcc
	v_and_or_b32 v5, v14, s40, v5
	v_lshl_or_b32 v4, v4, 7, v5
.LBB272_854:                            ;   in Loop: Header=BB272_800 Depth=1
	s_or_b64 exec, exec, s[26:27]
.LBB272_855:                            ;   in Loop: Header=BB272_800 Depth=1
	s_or_b64 exec, exec, s[24:25]
.LBB272_856:                            ;   in Loop: Header=BB272_800 Depth=1
	s_or_b64 exec, exec, s[22:23]
	v_lshrrev_b16_e32 v6, 8, v12
	v_cmp_ne_u16_e32 vcc, 0, v6
	s_and_saveexec_b64 s[22:23], vcc
	s_cbranch_execz .LBB272_862
; %bb.857:                              ;   in Loop: Header=BB272_800 Depth=1
	v_cmp_ne_u16_e32 vcc, s28, v6
	v_bfrev_b32_e32 v1, 1
	s_and_saveexec_b64 s[24:25], vcc
	s_cbranch_execz .LBB272_861
; %bb.858:                              ;   in Loop: Header=BB272_800 Depth=1
	v_and_b32_e32 v5, 0x7f, v6
	v_cmp_ne_u32_e32 vcc, s29, v5
	v_mov_b32_e32 v1, 0x7c010000
	s_and_saveexec_b64 s[26:27], vcc
	s_cbranch_execz .LBB272_860
; %bb.859:                              ;   in Loop: Header=BB272_800 Depth=1
	v_and_b32_e32 v1, 7, v6
	v_lshrrev_b32_e32 v16, 3, v5
	v_cmp_gt_u32_e32 vcc, 8, v5
	v_ffbh_u32_e32 v5, v1
	v_min_u32_e32 v5, 32, v5
	v_subrev_u32_e32 v14, 28, v5
	v_sub_u32_e32 v5, 29, v5
	v_lshlrev_b64 v[14:15], v14, v[6:7]
	v_cndmask_b32_e32 v5, v16, v5, vcc
	v_lshlrev_b32_e32 v6, 8, v6
	v_lshl_add_u32 v5, v5, 10, v53
	v_and_b32_e32 v14, 7, v14
	v_and_or_b32 v5, v6, s40, v5
	v_cndmask_b32_e32 v1, v1, v14, vcc
	v_lshlrev_b32_e32 v5, 16, v5
	v_lshl_or_b32 v1, v1, 23, v5
.LBB272_860:                            ;   in Loop: Header=BB272_800 Depth=1
	s_or_b64 exec, exec, s[26:27]
.LBB272_861:                            ;   in Loop: Header=BB272_800 Depth=1
	s_or_b64 exec, exec, s[24:25]
.LBB272_862:                            ;   in Loop: Header=BB272_800 Depth=1
	s_or_b64 exec, exec, s[22:23]
	v_lshrrev_b32_e32 v6, 16, v12
	v_cmp_ne_u16_sdwa s[24:25], v6, v7 src0_sel:BYTE_0 src1_sel:DWORD
	v_mov_b32_e32 v5, 0
	v_mov_b32_e32 v14, 0
	s_and_saveexec_b64 s[22:23], s[24:25]
	s_cbranch_execz .LBB272_868
; %bb.863:                              ;   in Loop: Header=BB272_800 Depth=1
	v_cmp_ne_u16_sdwa s[26:27], v6, s28 src0_sel:BYTE_0 src1_sel:DWORD
	v_mov_b32_e32 v14, 0x8000
	s_and_saveexec_b64 s[24:25], s[26:27]
	s_cbranch_execz .LBB272_867
; %bb.864:                              ;   in Loop: Header=BB272_800 Depth=1
	v_bfe_u32 v15, v12, 16, 7
	v_cmp_ne_u32_e32 vcc, s29, v15
	v_mov_b32_e32 v14, 0x7c01
	s_and_saveexec_b64 s[26:27], vcc
	s_cbranch_execz .LBB272_866
; %bb.865:                              ;   in Loop: Header=BB272_800 Depth=1
	v_and_b32_e32 v16, 7, v6
	v_ffbh_u32_e32 v14, v16
	v_min_u32_e32 v18, 32, v14
	v_subrev_u32_e32 v14, 28, v18
	v_lshrrev_b32_e32 v17, 3, v15
	v_cmp_gt_u32_e32 vcc, 8, v15
	v_lshlrev_b64 v[14:15], v14, v[6:7]
	v_sub_u32_e32 v15, 29, v18
	v_cndmask_b32_e32 v15, v17, v15, vcc
	v_lshl_add_u32 v15, v15, 10, v53
	v_lshlrev_b32_e32 v6, 8, v6
	v_and_b32_e32 v14, 7, v14
	v_and_b32_e32 v15, 0xfc00, v15
	v_cndmask_b32_e32 v14, v16, v14, vcc
	v_and_or_b32 v6, v6, s40, v15
	v_lshl_or_b32 v14, v14, 7, v6
.LBB272_866:                            ;   in Loop: Header=BB272_800 Depth=1
	s_or_b64 exec, exec, s[26:27]
.LBB272_867:                            ;   in Loop: Header=BB272_800 Depth=1
	s_or_b64 exec, exec, s[24:25]
.LBB272_868:                            ;   in Loop: Header=BB272_800 Depth=1
	s_or_b64 exec, exec, s[22:23]
	v_cmp_lt_u32_e32 vcc, s11, v12
	s_and_saveexec_b64 s[22:23], vcc
	s_cbranch_execz .LBB272_874
; %bb.869:                              ;   in Loop: Header=BB272_800 Depth=1
	v_lshrrev_b32_e32 v6, 24, v12
	v_cmp_ne_u32_e32 vcc, s28, v6
	v_bfrev_b32_e32 v5, 1
	s_and_saveexec_b64 s[24:25], vcc
	s_cbranch_execz .LBB272_873
; %bb.870:                              ;   in Loop: Header=BB272_800 Depth=1
	v_and_b32_e32 v15, 0x7f, v6
	v_cmp_ne_u32_e32 vcc, s29, v15
	v_mov_b32_e32 v5, 0x7c010000
	s_and_saveexec_b64 s[26:27], vcc
	s_cbranch_execz .LBB272_872
; %bb.871:                              ;   in Loop: Header=BB272_800 Depth=1
	v_and_b32_e32 v5, 7, v6
	v_lshrrev_b32_e32 v17, 3, v15
	v_cmp_gt_u32_e32 vcc, 8, v15
	v_ffbh_u32_e32 v15, v5
	v_min_u32_e32 v18, 32, v15
	v_subrev_u32_e32 v15, 28, v18
	v_lshlrev_b64 v[15:16], v15, v[6:7]
	v_sub_u32_e32 v16, 29, v18
	v_cndmask_b32_e32 v16, v17, v16, vcc
	v_lshlrev_b32_e32 v6, 8, v6
	v_lshl_add_u32 v16, v16, 10, v53
	v_and_b32_e32 v15, 7, v15
	v_and_or_b32 v6, v6, s40, v16
	v_cndmask_b32_e32 v5, v5, v15, vcc
	v_lshlrev_b32_e32 v6, 16, v6
	v_lshl_or_b32 v5, v5, 23, v6
.LBB272_872:                            ;   in Loop: Header=BB272_800 Depth=1
	s_or_b64 exec, exec, s[26:27]
.LBB272_873:                            ;   in Loop: Header=BB272_800 Depth=1
	s_or_b64 exec, exec, s[24:25]
.LBB272_874:                            ;   in Loop: Header=BB272_800 Depth=1
	s_or_b64 exec, exec, s[22:23]
	v_mov_b32_e32 v6, v13
	v_cmp_ne_u16_sdwa s[24:25], v13, v7 src0_sel:BYTE_0 src1_sel:DWORD
	v_mov_b32_e32 v15, 0
	v_mov_b32_e32 v16, 0
	s_and_saveexec_b64 s[22:23], s[24:25]
	s_cbranch_execz .LBB272_880
; %bb.875:                              ;   in Loop: Header=BB272_800 Depth=1
	v_cmp_ne_u16_sdwa s[26:27], v13, s28 src0_sel:BYTE_0 src1_sel:DWORD
	v_mov_b32_e32 v16, 0x8000
	s_and_saveexec_b64 s[24:25], s[26:27]
	s_cbranch_execz .LBB272_879
; %bb.876:                              ;   in Loop: Header=BB272_800 Depth=1
	v_and_b32_e32 v17, 0x7f, v13
	v_cmp_ne_u32_e32 vcc, s29, v17
	v_mov_b32_e32 v16, 0x7c01
	s_and_saveexec_b64 s[26:27], vcc
	s_cbranch_execz .LBB272_878
; %bb.877:                              ;   in Loop: Header=BB272_800 Depth=1
	v_and_b32_e32 v18, 7, v13
	v_ffbh_u32_e32 v16, v18
	v_min_u32_e32 v23, 32, v16
	v_subrev_u32_e32 v16, 28, v23
	v_lshrrev_b32_e32 v22, 3, v17
	v_cmp_gt_u32_e32 vcc, 8, v17
	v_lshlrev_b64 v[16:17], v16, v[6:7]
	v_sub_u32_e32 v17, 29, v23
	v_cndmask_b32_e32 v17, v22, v17, vcc
	v_lshl_add_u32 v17, v17, 10, v53
	v_lshlrev_b32_e32 v22, 8, v13
	v_and_b32_e32 v16, 7, v16
	v_and_b32_e32 v17, 0xfc00, v17
	v_cndmask_b32_e32 v16, v18, v16, vcc
	v_and_or_b32 v17, v22, s40, v17
	v_lshl_or_b32 v16, v16, 7, v17
.LBB272_878:                            ;   in Loop: Header=BB272_800 Depth=1
	s_or_b64 exec, exec, s[26:27]
.LBB272_879:                            ;   in Loop: Header=BB272_800 Depth=1
	s_or_b64 exec, exec, s[24:25]
.LBB272_880:                            ;   in Loop: Header=BB272_800 Depth=1
	s_or_b64 exec, exec, s[22:23]
	v_lshrrev_b16_e32 v6, 8, v6
	v_cmp_ne_u16_e32 vcc, 0, v6
	v_mov_b32_e32 v17, 0
	s_and_saveexec_b64 s[22:23], vcc
	s_cbranch_execz .LBB272_886
; %bb.881:                              ;   in Loop: Header=BB272_800 Depth=1
	v_cmp_ne_u16_e32 vcc, s28, v6
	v_bfrev_b32_e32 v17, 1
	s_and_saveexec_b64 s[24:25], vcc
	s_cbranch_execz .LBB272_885
; %bb.882:                              ;   in Loop: Header=BB272_800 Depth=1
	v_and_b32_e32 v18, 0x7f, v6
	v_cmp_ne_u32_e32 vcc, s29, v18
	v_mov_b32_e32 v17, 0x7c010000
	s_and_saveexec_b64 s[26:27], vcc
	s_cbranch_execz .LBB272_884
; %bb.883:                              ;   in Loop: Header=BB272_800 Depth=1
	v_and_b32_e32 v22, 7, v6
	v_ffbh_u32_e32 v17, v22
	v_min_u32_e32 v26, 32, v17
	v_subrev_u32_e32 v17, 28, v26
	v_lshrrev_b32_e32 v23, 3, v18
	v_cmp_gt_u32_e32 vcc, 8, v18
	v_lshlrev_b64 v[17:18], v17, v[6:7]
	v_sub_u32_e32 v18, 29, v26
	v_cndmask_b32_e32 v18, v23, v18, vcc
	v_lshlrev_b32_e32 v6, 8, v6
	v_lshl_add_u32 v18, v18, 10, v53
	v_and_b32_e32 v17, 7, v17
	v_and_or_b32 v6, v6, s40, v18
	v_cndmask_b32_e32 v17, v22, v17, vcc
	v_lshlrev_b32_e32 v6, 16, v6
	v_lshl_or_b32 v17, v17, 23, v6
.LBB272_884:                            ;   in Loop: Header=BB272_800 Depth=1
	s_or_b64 exec, exec, s[26:27]
.LBB272_885:                            ;   in Loop: Header=BB272_800 Depth=1
	s_or_b64 exec, exec, s[24:25]
.LBB272_886:                            ;   in Loop: Header=BB272_800 Depth=1
	s_or_b64 exec, exec, s[22:23]
	v_lshrrev_b32_e32 v6, 16, v13
	v_cmp_ne_u16_sdwa s[24:25], v6, v7 src0_sel:BYTE_0 src1_sel:DWORD
	s_and_saveexec_b64 s[22:23], s[24:25]
	s_cbranch_execz .LBB272_892
; %bb.887:                              ;   in Loop: Header=BB272_800 Depth=1
	v_cmp_ne_u16_sdwa s[26:27], v6, s28 src0_sel:BYTE_0 src1_sel:DWORD
	v_mov_b32_e32 v15, 0x8000
	s_and_saveexec_b64 s[24:25], s[26:27]
	s_cbranch_execz .LBB272_891
; %bb.888:                              ;   in Loop: Header=BB272_800 Depth=1
	v_bfe_u32 v18, v13, 16, 7
	v_cmp_ne_u32_e32 vcc, s29, v18
	v_mov_b32_e32 v15, 0x7c01
	s_and_saveexec_b64 s[26:27], vcc
	s_cbranch_execz .LBB272_890
; %bb.889:                              ;   in Loop: Header=BB272_800 Depth=1
	v_and_b32_e32 v15, 7, v6
	v_lshrrev_b32_e32 v26, 3, v18
	v_cmp_gt_u32_e32 vcc, 8, v18
	v_ffbh_u32_e32 v18, v15
	v_min_u32_e32 v18, 32, v18
	v_subrev_u32_e32 v22, 28, v18
	v_sub_u32_e32 v18, 29, v18
	v_lshlrev_b64 v[22:23], v22, v[6:7]
	v_cndmask_b32_e32 v18, v26, v18, vcc
	v_lshl_add_u32 v18, v18, 10, v53
	v_lshlrev_b32_e32 v6, 8, v6
	v_and_b32_e32 v22, 7, v22
	v_and_b32_e32 v18, 0xfc00, v18
	v_cndmask_b32_e32 v15, v15, v22, vcc
	v_and_or_b32 v6, v6, s40, v18
	v_lshl_or_b32 v15, v15, 7, v6
.LBB272_890:                            ;   in Loop: Header=BB272_800 Depth=1
	s_or_b64 exec, exec, s[26:27]
.LBB272_891:                            ;   in Loop: Header=BB272_800 Depth=1
	s_or_b64 exec, exec, s[24:25]
.LBB272_892:                            ;   in Loop: Header=BB272_800 Depth=1
	s_or_b64 exec, exec, s[22:23]
	v_cmp_lt_u64_e32 vcc, s[10:11], v[12:13]
	v_mov_b32_e32 v12, 0
	s_and_saveexec_b64 s[22:23], vcc
	s_cbranch_execz .LBB272_898
; %bb.893:                              ;   in Loop: Header=BB272_800 Depth=1
	v_lshrrev_b32_e32 v6, 24, v13
	v_cmp_ne_u32_e32 vcc, s28, v6
	v_bfrev_b32_e32 v12, 1
	s_and_saveexec_b64 s[24:25], vcc
	s_cbranch_execz .LBB272_897
; %bb.894:                              ;   in Loop: Header=BB272_800 Depth=1
	v_and_b32_e32 v13, 0x7f, v6
	v_cmp_ne_u32_e32 vcc, s29, v13
	v_mov_b32_e32 v12, 0x7c010000
	s_and_saveexec_b64 s[26:27], vcc
	s_cbranch_execz .LBB272_896
; %bb.895:                              ;   in Loop: Header=BB272_800 Depth=1
	v_and_b32_e32 v18, 7, v6
	v_ffbh_u32_e32 v12, v18
	v_min_u32_e32 v23, 32, v12
	v_subrev_u32_e32 v12, 28, v23
	v_lshrrev_b32_e32 v22, 3, v13
	v_cmp_gt_u32_e32 vcc, 8, v13
	v_lshlrev_b64 v[12:13], v12, v[6:7]
	v_sub_u32_e32 v13, 29, v23
	v_cndmask_b32_e32 v13, v22, v13, vcc
	v_lshlrev_b32_e32 v6, 8, v6
	v_lshl_add_u32 v13, v13, 10, v53
	v_and_b32_e32 v12, 7, v12
	v_and_or_b32 v6, v6, s40, v13
	v_cndmask_b32_e32 v12, v18, v12, vcc
	v_lshlrev_b32_e32 v6, 16, v6
	v_lshl_or_b32 v12, v12, 23, v6
.LBB272_896:                            ;   in Loop: Header=BB272_800 Depth=1
	s_or_b64 exec, exec, s[26:27]
.LBB272_897:                            ;   in Loop: Header=BB272_800 Depth=1
	s_or_b64 exec, exec, s[24:25]
.LBB272_898:                            ;   in Loop: Header=BB272_800 Depth=1
	s_or_b64 exec, exec, s[22:23]
	v_or_b32_e32 v4, v1, v4
	s_waitcnt vmcnt(0) lgkmcnt(0)
	v_fma_mixlo_f16 v1, v0, v1, 0 op_sel:[0,1,0] op_sel_hi:[0,1,0]
	v_or_b32_e32 v13, v5, v14
	v_fma_mixlo_f16 v5, v0, v5, 0 op_sel:[0,1,0] op_sel_hi:[0,1,0]
	v_lshlrev_b32_e32 v18, 16, v1
	v_fma_mixlo_f16 v1, v0, v4, 0 op_sel_hi:[0,1,0]
	v_or_b32_e32 v4, v17, v16
	v_or_b32_e32 v15, v12, v15
	v_lshlrev_b32_e32 v6, 16, v5
	v_fma_mixlo_f16 v5, v0, v13, 0 op_sel_hi:[0,1,0]
	v_fma_mixlo_f16 v14, v0, v17, 0 op_sel:[0,1,0] op_sel_hi:[0,1,0]
	v_fma_mixlo_f16 v4, v0, v4, 0 op_sel_hi:[0,1,0]
	v_fma_mixlo_f16 v15, v0, v15, 0 op_sel_hi:[0,1,0]
	v_fma_mixlo_f16 v0, v0, v12, 0 op_sel:[0,1,0] op_sel_hi:[0,1,0]
	v_and_b32_e32 v13, 0xffff, v5
	v_and_b32_e32 v22, 0xffff, v1
	v_lshlrev_b32_e32 v14, 16, v14
	v_and_b32_e32 v16, 0xffff, v4
	v_lshlrev_b32_e32 v0, 16, v0
	v_and_b32_e32 v12, 0xffff, v15
	v_or_b32_e32 v5, v6, v13
	v_or_b32_e32 v1, v18, v22
	;; [unrolled: 1-line block ×4, first 2 shown]
	s_and_saveexec_b64 s[22:23], s[6:7]
	s_cbranch_execz .LBB272_900
; %bb.899:                              ;   in Loop: Header=BB272_800 Depth=1
	v_cmp_lt_i32_e32 vcc, v54, v27
	v_cndmask_b32_e32 v1, 0, v22, vcc
	v_cmp_lt_i32_e32 vcc, v56, v27
	v_cndmask_b32_e32 v4, 0, v18, vcc
	v_cmp_lt_i32_e32 vcc, v47, v27
	v_or_b32_e32 v1, v1, v4
	v_cndmask_b32_e32 v4, 0, v13, vcc
	v_cmp_lt_i32_e32 vcc, v46, v27
	v_cndmask_b32_e32 v5, 0, v6, vcc
	v_cmp_lt_i32_e32 vcc, v45, v27
	v_or_b32_e32 v5, v4, v5
	;; [unrolled: 5-line block ×3, first 2 shown]
	v_cndmask_b32_e32 v6, 0, v12, vcc
	v_cmp_lt_i32_e32 vcc, v19, v27
	v_cndmask_b32_e32 v0, 0, v0, vcc
	v_or_b32_e32 v15, v6, v0
.LBB272_900:                            ;   in Loop: Header=BB272_800 Depth=1
	s_or_b64 exec, exec, s[22:23]
	;;#ASMSTART
	v_pk_mul_f16 v0, v55, v1;

	;;#ASMEND
	;;#ASMSTART
	v_pk_mul_f16 v1, v40, v5;

	;;#ASMEND
	;; [unrolled: 4-line block ×4, first 2 shown]
	;;#ASMSTART
	v_pk_add_f16 v0, v0, v1;

	;;#ASMEND
	;;#ASMSTART
	v_pk_add_f16 v0, v0, v4;

	;;#ASMEND
	;; [unrolled: 4-line block ×3, first 2 shown]
	v_lshrrev_b32_e32 v1, 16, v0
	v_and_b32_e32 v0, 0xffff, v0
	;;#ASMSTART
	v_cvt_f32_f16 v0, v0;
	;;#ASMEND
	buffer_store_dword v0, off, s[0:3], s32 offset:88 ; 4-byte Folded Spill
	;;#ASMSTART
	v_cvt_f32_f16 v0, v1;
	;;#ASMEND
	buffer_store_dword v0, off, s[0:3], s32 offset:92 ; 4-byte Folded Spill
	flat_load_dwordx2 v[12:13], v[10:11] offset:1024
	s_nop 0
	buffer_load_dword v0, off, s[0:3], s32 offset:64 ; 4-byte Folded Reload
	buffer_load_dword v1, off, s[0:3], s32 offset:68 ; 4-byte Folded Reload
	v_mov_b32_e32 v4, 0
	s_waitcnt vmcnt(0) lgkmcnt(0)
	v_cmp_ne_u16_sdwa s[24:25], v12, v7 src0_sel:BYTE_0 src1_sel:DWORD
	flat_load_dword v0, v[0:1]
	v_mov_b32_e32 v1, 0
	s_and_saveexec_b64 s[22:23], s[24:25]
	s_cbranch_execz .LBB272_906
; %bb.901:                              ;   in Loop: Header=BB272_800 Depth=1
	v_cmp_ne_u16_sdwa s[26:27], v12, s28 src0_sel:BYTE_0 src1_sel:DWORD
	v_mov_b32_e32 v4, 0x8000
	s_and_saveexec_b64 s[24:25], s[26:27]
	s_cbranch_execz .LBB272_905
; %bb.902:                              ;   in Loop: Header=BB272_800 Depth=1
	v_and_b32_e32 v5, 0x7f, v12
	v_cmp_ne_u32_e32 vcc, s29, v5
	v_mov_b32_e32 v4, 0x7c01
	s_and_saveexec_b64 s[26:27], vcc
	s_cbranch_execz .LBB272_904
; %bb.903:                              ;   in Loop: Header=BB272_800 Depth=1
	v_and_b32_e32 v6, 7, v12
	v_ffbh_u32_e32 v4, v6
	v_min_u32_e32 v15, 32, v4
	v_subrev_u32_e32 v4, 28, v15
	v_lshrrev_b32_e32 v14, 3, v5
	v_cmp_gt_u32_e32 vcc, 8, v5
	v_lshlrev_b64 v[4:5], v4, v[12:13]
	v_sub_u32_e32 v5, 29, v15
	v_cndmask_b32_e32 v5, v14, v5, vcc
	v_lshl_add_u32 v5, v5, 10, v53
	v_lshlrev_b32_e32 v14, 8, v12
	v_and_b32_e32 v4, 7, v4
	v_and_b32_e32 v5, 0xfc00, v5
	v_cndmask_b32_e32 v4, v6, v4, vcc
	v_and_or_b32 v5, v14, s40, v5
	v_lshl_or_b32 v4, v4, 7, v5
.LBB272_904:                            ;   in Loop: Header=BB272_800 Depth=1
	s_or_b64 exec, exec, s[26:27]
.LBB272_905:                            ;   in Loop: Header=BB272_800 Depth=1
	s_or_b64 exec, exec, s[24:25]
.LBB272_906:                            ;   in Loop: Header=BB272_800 Depth=1
	s_or_b64 exec, exec, s[22:23]
	v_lshrrev_b16_e32 v6, 8, v12
	v_cmp_ne_u16_e32 vcc, 0, v6
	s_and_saveexec_b64 s[22:23], vcc
	s_cbranch_execz .LBB272_912
; %bb.907:                              ;   in Loop: Header=BB272_800 Depth=1
	v_cmp_ne_u16_e32 vcc, s28, v6
	v_bfrev_b32_e32 v1, 1
	s_and_saveexec_b64 s[24:25], vcc
	s_cbranch_execz .LBB272_911
; %bb.908:                              ;   in Loop: Header=BB272_800 Depth=1
	v_and_b32_e32 v5, 0x7f, v6
	v_cmp_ne_u32_e32 vcc, s29, v5
	v_mov_b32_e32 v1, 0x7c010000
	s_and_saveexec_b64 s[26:27], vcc
	s_cbranch_execz .LBB272_910
; %bb.909:                              ;   in Loop: Header=BB272_800 Depth=1
	v_and_b32_e32 v1, 7, v6
	v_lshrrev_b32_e32 v16, 3, v5
	v_cmp_gt_u32_e32 vcc, 8, v5
	v_ffbh_u32_e32 v5, v1
	v_min_u32_e32 v5, 32, v5
	v_subrev_u32_e32 v14, 28, v5
	v_sub_u32_e32 v5, 29, v5
	v_lshlrev_b64 v[14:15], v14, v[6:7]
	v_cndmask_b32_e32 v5, v16, v5, vcc
	v_lshlrev_b32_e32 v6, 8, v6
	v_lshl_add_u32 v5, v5, 10, v53
	v_and_b32_e32 v14, 7, v14
	v_and_or_b32 v5, v6, s40, v5
	v_cndmask_b32_e32 v1, v1, v14, vcc
	v_lshlrev_b32_e32 v5, 16, v5
	v_lshl_or_b32 v1, v1, 23, v5
.LBB272_910:                            ;   in Loop: Header=BB272_800 Depth=1
	s_or_b64 exec, exec, s[26:27]
.LBB272_911:                            ;   in Loop: Header=BB272_800 Depth=1
	s_or_b64 exec, exec, s[24:25]
.LBB272_912:                            ;   in Loop: Header=BB272_800 Depth=1
	s_or_b64 exec, exec, s[22:23]
	v_lshrrev_b32_e32 v6, 16, v12
	v_cmp_ne_u16_sdwa s[24:25], v6, v7 src0_sel:BYTE_0 src1_sel:DWORD
	v_mov_b32_e32 v5, 0
	v_mov_b32_e32 v14, 0
	s_and_saveexec_b64 s[22:23], s[24:25]
	s_cbranch_execz .LBB272_918
; %bb.913:                              ;   in Loop: Header=BB272_800 Depth=1
	v_cmp_ne_u16_sdwa s[26:27], v6, s28 src0_sel:BYTE_0 src1_sel:DWORD
	v_mov_b32_e32 v14, 0x8000
	s_and_saveexec_b64 s[24:25], s[26:27]
	s_cbranch_execz .LBB272_917
; %bb.914:                              ;   in Loop: Header=BB272_800 Depth=1
	v_bfe_u32 v15, v12, 16, 7
	v_cmp_ne_u32_e32 vcc, s29, v15
	v_mov_b32_e32 v14, 0x7c01
	s_and_saveexec_b64 s[26:27], vcc
	s_cbranch_execz .LBB272_916
; %bb.915:                              ;   in Loop: Header=BB272_800 Depth=1
	v_and_b32_e32 v16, 7, v6
	v_ffbh_u32_e32 v14, v16
	v_min_u32_e32 v18, 32, v14
	v_subrev_u32_e32 v14, 28, v18
	v_lshrrev_b32_e32 v17, 3, v15
	v_cmp_gt_u32_e32 vcc, 8, v15
	v_lshlrev_b64 v[14:15], v14, v[6:7]
	v_sub_u32_e32 v15, 29, v18
	v_cndmask_b32_e32 v15, v17, v15, vcc
	v_lshl_add_u32 v15, v15, 10, v53
	v_lshlrev_b32_e32 v6, 8, v6
	v_and_b32_e32 v14, 7, v14
	v_and_b32_e32 v15, 0xfc00, v15
	v_cndmask_b32_e32 v14, v16, v14, vcc
	v_and_or_b32 v6, v6, s40, v15
	v_lshl_or_b32 v14, v14, 7, v6
.LBB272_916:                            ;   in Loop: Header=BB272_800 Depth=1
	s_or_b64 exec, exec, s[26:27]
.LBB272_917:                            ;   in Loop: Header=BB272_800 Depth=1
	s_or_b64 exec, exec, s[24:25]
.LBB272_918:                            ;   in Loop: Header=BB272_800 Depth=1
	s_or_b64 exec, exec, s[22:23]
	v_cmp_lt_u32_e32 vcc, s11, v12
	s_and_saveexec_b64 s[22:23], vcc
	s_cbranch_execz .LBB272_924
; %bb.919:                              ;   in Loop: Header=BB272_800 Depth=1
	v_lshrrev_b32_e32 v6, 24, v12
	v_cmp_ne_u32_e32 vcc, s28, v6
	v_bfrev_b32_e32 v5, 1
	s_and_saveexec_b64 s[24:25], vcc
	s_cbranch_execz .LBB272_923
; %bb.920:                              ;   in Loop: Header=BB272_800 Depth=1
	v_and_b32_e32 v15, 0x7f, v6
	v_cmp_ne_u32_e32 vcc, s29, v15
	v_mov_b32_e32 v5, 0x7c010000
	s_and_saveexec_b64 s[26:27], vcc
	s_cbranch_execz .LBB272_922
; %bb.921:                              ;   in Loop: Header=BB272_800 Depth=1
	v_and_b32_e32 v5, 7, v6
	v_lshrrev_b32_e32 v17, 3, v15
	v_cmp_gt_u32_e32 vcc, 8, v15
	v_ffbh_u32_e32 v15, v5
	v_min_u32_e32 v18, 32, v15
	v_subrev_u32_e32 v15, 28, v18
	v_lshlrev_b64 v[15:16], v15, v[6:7]
	v_sub_u32_e32 v16, 29, v18
	v_cndmask_b32_e32 v16, v17, v16, vcc
	v_lshlrev_b32_e32 v6, 8, v6
	v_lshl_add_u32 v16, v16, 10, v53
	v_and_b32_e32 v15, 7, v15
	v_and_or_b32 v6, v6, s40, v16
	v_cndmask_b32_e32 v5, v5, v15, vcc
	v_lshlrev_b32_e32 v6, 16, v6
	v_lshl_or_b32 v5, v5, 23, v6
.LBB272_922:                            ;   in Loop: Header=BB272_800 Depth=1
	s_or_b64 exec, exec, s[26:27]
.LBB272_923:                            ;   in Loop: Header=BB272_800 Depth=1
	s_or_b64 exec, exec, s[24:25]
.LBB272_924:                            ;   in Loop: Header=BB272_800 Depth=1
	s_or_b64 exec, exec, s[22:23]
	v_mov_b32_e32 v6, v13
	v_cmp_ne_u16_sdwa s[24:25], v13, v7 src0_sel:BYTE_0 src1_sel:DWORD
	v_mov_b32_e32 v15, 0
	v_mov_b32_e32 v16, 0
	s_and_saveexec_b64 s[22:23], s[24:25]
	s_cbranch_execz .LBB272_930
; %bb.925:                              ;   in Loop: Header=BB272_800 Depth=1
	v_cmp_ne_u16_sdwa s[26:27], v13, s28 src0_sel:BYTE_0 src1_sel:DWORD
	v_mov_b32_e32 v16, 0x8000
	s_and_saveexec_b64 s[24:25], s[26:27]
	s_cbranch_execz .LBB272_929
; %bb.926:                              ;   in Loop: Header=BB272_800 Depth=1
	v_and_b32_e32 v17, 0x7f, v13
	v_cmp_ne_u32_e32 vcc, s29, v17
	v_mov_b32_e32 v16, 0x7c01
	s_and_saveexec_b64 s[26:27], vcc
	s_cbranch_execz .LBB272_928
; %bb.927:                              ;   in Loop: Header=BB272_800 Depth=1
	v_and_b32_e32 v18, 7, v13
	v_ffbh_u32_e32 v16, v18
	v_min_u32_e32 v23, 32, v16
	v_subrev_u32_e32 v16, 28, v23
	v_lshrrev_b32_e32 v22, 3, v17
	v_cmp_gt_u32_e32 vcc, 8, v17
	v_lshlrev_b64 v[16:17], v16, v[6:7]
	v_sub_u32_e32 v17, 29, v23
	v_cndmask_b32_e32 v17, v22, v17, vcc
	v_lshl_add_u32 v17, v17, 10, v53
	v_lshlrev_b32_e32 v22, 8, v13
	v_and_b32_e32 v16, 7, v16
	v_and_b32_e32 v17, 0xfc00, v17
	v_cndmask_b32_e32 v16, v18, v16, vcc
	v_and_or_b32 v17, v22, s40, v17
	v_lshl_or_b32 v16, v16, 7, v17
.LBB272_928:                            ;   in Loop: Header=BB272_800 Depth=1
	s_or_b64 exec, exec, s[26:27]
.LBB272_929:                            ;   in Loop: Header=BB272_800 Depth=1
	s_or_b64 exec, exec, s[24:25]
.LBB272_930:                            ;   in Loop: Header=BB272_800 Depth=1
	s_or_b64 exec, exec, s[22:23]
	v_lshrrev_b16_e32 v6, 8, v6
	v_cmp_ne_u16_e32 vcc, 0, v6
	v_mov_b32_e32 v17, 0
	s_and_saveexec_b64 s[22:23], vcc
	s_cbranch_execz .LBB272_936
; %bb.931:                              ;   in Loop: Header=BB272_800 Depth=1
	v_cmp_ne_u16_e32 vcc, s28, v6
	v_bfrev_b32_e32 v17, 1
	s_and_saveexec_b64 s[24:25], vcc
	s_cbranch_execz .LBB272_935
; %bb.932:                              ;   in Loop: Header=BB272_800 Depth=1
	v_and_b32_e32 v18, 0x7f, v6
	v_cmp_ne_u32_e32 vcc, s29, v18
	v_mov_b32_e32 v17, 0x7c010000
	s_and_saveexec_b64 s[26:27], vcc
	s_cbranch_execz .LBB272_934
; %bb.933:                              ;   in Loop: Header=BB272_800 Depth=1
	v_and_b32_e32 v22, 7, v6
	v_ffbh_u32_e32 v17, v22
	v_min_u32_e32 v26, 32, v17
	v_subrev_u32_e32 v17, 28, v26
	v_lshrrev_b32_e32 v23, 3, v18
	v_cmp_gt_u32_e32 vcc, 8, v18
	v_lshlrev_b64 v[17:18], v17, v[6:7]
	v_sub_u32_e32 v18, 29, v26
	v_cndmask_b32_e32 v18, v23, v18, vcc
	v_lshlrev_b32_e32 v6, 8, v6
	v_lshl_add_u32 v18, v18, 10, v53
	v_and_b32_e32 v17, 7, v17
	v_and_or_b32 v6, v6, s40, v18
	v_cndmask_b32_e32 v17, v22, v17, vcc
	v_lshlrev_b32_e32 v6, 16, v6
	v_lshl_or_b32 v17, v17, 23, v6
.LBB272_934:                            ;   in Loop: Header=BB272_800 Depth=1
	s_or_b64 exec, exec, s[26:27]
.LBB272_935:                            ;   in Loop: Header=BB272_800 Depth=1
	s_or_b64 exec, exec, s[24:25]
.LBB272_936:                            ;   in Loop: Header=BB272_800 Depth=1
	s_or_b64 exec, exec, s[22:23]
	v_lshrrev_b32_e32 v6, 16, v13
	v_cmp_ne_u16_sdwa s[24:25], v6, v7 src0_sel:BYTE_0 src1_sel:DWORD
	s_and_saveexec_b64 s[22:23], s[24:25]
	s_cbranch_execz .LBB272_942
; %bb.937:                              ;   in Loop: Header=BB272_800 Depth=1
	v_cmp_ne_u16_sdwa s[26:27], v6, s28 src0_sel:BYTE_0 src1_sel:DWORD
	v_mov_b32_e32 v15, 0x8000
	s_and_saveexec_b64 s[24:25], s[26:27]
	s_cbranch_execz .LBB272_941
; %bb.938:                              ;   in Loop: Header=BB272_800 Depth=1
	v_bfe_u32 v18, v13, 16, 7
	v_cmp_ne_u32_e32 vcc, s29, v18
	v_mov_b32_e32 v15, 0x7c01
	s_and_saveexec_b64 s[26:27], vcc
	s_cbranch_execz .LBB272_940
; %bb.939:                              ;   in Loop: Header=BB272_800 Depth=1
	v_and_b32_e32 v15, 7, v6
	v_lshrrev_b32_e32 v26, 3, v18
	v_cmp_gt_u32_e32 vcc, 8, v18
	v_ffbh_u32_e32 v18, v15
	v_min_u32_e32 v18, 32, v18
	v_subrev_u32_e32 v22, 28, v18
	v_sub_u32_e32 v18, 29, v18
	v_lshlrev_b64 v[22:23], v22, v[6:7]
	v_cndmask_b32_e32 v18, v26, v18, vcc
	v_lshl_add_u32 v18, v18, 10, v53
	v_lshlrev_b32_e32 v6, 8, v6
	v_and_b32_e32 v22, 7, v22
	v_and_b32_e32 v18, 0xfc00, v18
	v_cndmask_b32_e32 v15, v15, v22, vcc
	v_and_or_b32 v6, v6, s40, v18
	v_lshl_or_b32 v15, v15, 7, v6
.LBB272_940:                            ;   in Loop: Header=BB272_800 Depth=1
	s_or_b64 exec, exec, s[26:27]
.LBB272_941:                            ;   in Loop: Header=BB272_800 Depth=1
	s_or_b64 exec, exec, s[24:25]
.LBB272_942:                            ;   in Loop: Header=BB272_800 Depth=1
	s_or_b64 exec, exec, s[22:23]
	v_cmp_lt_u64_e32 vcc, s[10:11], v[12:13]
	v_mov_b32_e32 v12, 0
	s_and_saveexec_b64 s[22:23], vcc
	s_cbranch_execz .LBB272_948
; %bb.943:                              ;   in Loop: Header=BB272_800 Depth=1
	v_lshrrev_b32_e32 v6, 24, v13
	v_cmp_ne_u32_e32 vcc, s28, v6
	v_bfrev_b32_e32 v12, 1
	s_and_saveexec_b64 s[24:25], vcc
	s_cbranch_execz .LBB272_947
; %bb.944:                              ;   in Loop: Header=BB272_800 Depth=1
	v_and_b32_e32 v13, 0x7f, v6
	v_cmp_ne_u32_e32 vcc, s29, v13
	v_mov_b32_e32 v12, 0x7c010000
	s_and_saveexec_b64 s[26:27], vcc
	s_cbranch_execz .LBB272_946
; %bb.945:                              ;   in Loop: Header=BB272_800 Depth=1
	v_and_b32_e32 v18, 7, v6
	v_ffbh_u32_e32 v12, v18
	v_min_u32_e32 v23, 32, v12
	v_subrev_u32_e32 v12, 28, v23
	v_lshrrev_b32_e32 v22, 3, v13
	v_cmp_gt_u32_e32 vcc, 8, v13
	v_lshlrev_b64 v[12:13], v12, v[6:7]
	v_sub_u32_e32 v13, 29, v23
	v_cndmask_b32_e32 v13, v22, v13, vcc
	v_lshlrev_b32_e32 v6, 8, v6
	v_lshl_add_u32 v13, v13, 10, v53
	v_and_b32_e32 v12, 7, v12
	v_and_or_b32 v6, v6, s40, v13
	v_cndmask_b32_e32 v12, v18, v12, vcc
	v_lshlrev_b32_e32 v6, 16, v6
	v_lshl_or_b32 v12, v12, 23, v6
.LBB272_946:                            ;   in Loop: Header=BB272_800 Depth=1
	s_or_b64 exec, exec, s[26:27]
.LBB272_947:                            ;   in Loop: Header=BB272_800 Depth=1
	s_or_b64 exec, exec, s[24:25]
.LBB272_948:                            ;   in Loop: Header=BB272_800 Depth=1
	s_or_b64 exec, exec, s[22:23]
	v_or_b32_e32 v4, v1, v4
	s_waitcnt vmcnt(0) lgkmcnt(0)
	v_fma_mixlo_f16 v1, v0, v1, 0 op_sel:[0,1,0] op_sel_hi:[0,1,0]
	v_or_b32_e32 v13, v5, v14
	v_fma_mixlo_f16 v5, v0, v5, 0 op_sel:[0,1,0] op_sel_hi:[0,1,0]
	v_lshlrev_b32_e32 v18, 16, v1
	v_fma_mixlo_f16 v1, v0, v4, 0 op_sel_hi:[0,1,0]
	v_or_b32_e32 v4, v17, v16
	v_or_b32_e32 v15, v12, v15
	v_lshlrev_b32_e32 v6, 16, v5
	v_fma_mixlo_f16 v5, v0, v13, 0 op_sel_hi:[0,1,0]
	v_fma_mixlo_f16 v14, v0, v17, 0 op_sel:[0,1,0] op_sel_hi:[0,1,0]
	v_fma_mixlo_f16 v4, v0, v4, 0 op_sel_hi:[0,1,0]
	v_fma_mixlo_f16 v15, v0, v15, 0 op_sel_hi:[0,1,0]
	v_fma_mixlo_f16 v0, v0, v12, 0 op_sel:[0,1,0] op_sel_hi:[0,1,0]
	v_and_b32_e32 v13, 0xffff, v5
	v_and_b32_e32 v22, 0xffff, v1
	v_lshlrev_b32_e32 v14, 16, v14
	v_and_b32_e32 v16, 0xffff, v4
	v_lshlrev_b32_e32 v0, 16, v0
	v_and_b32_e32 v12, 0xffff, v15
	v_or_b32_e32 v5, v6, v13
	v_or_b32_e32 v1, v18, v22
	;; [unrolled: 1-line block ×4, first 2 shown]
	s_and_saveexec_b64 s[22:23], s[6:7]
	s_cbranch_execz .LBB272_950
; %bb.949:                              ;   in Loop: Header=BB272_800 Depth=1
	v_cmp_lt_i32_e32 vcc, v54, v27
	v_cndmask_b32_e32 v1, 0, v22, vcc
	v_cmp_lt_i32_e32 vcc, v56, v27
	v_cndmask_b32_e32 v4, 0, v18, vcc
	v_cmp_lt_i32_e32 vcc, v47, v27
	v_or_b32_e32 v1, v1, v4
	v_cndmask_b32_e32 v4, 0, v13, vcc
	v_cmp_lt_i32_e32 vcc, v46, v27
	v_cndmask_b32_e32 v5, 0, v6, vcc
	v_cmp_lt_i32_e32 vcc, v45, v27
	v_or_b32_e32 v5, v4, v5
	;; [unrolled: 5-line block ×3, first 2 shown]
	v_cndmask_b32_e32 v6, 0, v12, vcc
	v_cmp_lt_i32_e32 vcc, v19, v27
	v_cndmask_b32_e32 v0, 0, v0, vcc
	v_or_b32_e32 v15, v6, v0
.LBB272_950:                            ;   in Loop: Header=BB272_800 Depth=1
	s_or_b64 exec, exec, s[22:23]
	;;#ASMSTART
	v_pk_mul_f16 v0, v55, v1;

	;;#ASMEND
	;;#ASMSTART
	v_pk_mul_f16 v1, v40, v5;

	;;#ASMEND
	;; [unrolled: 4-line block ×4, first 2 shown]
	;;#ASMSTART
	v_pk_add_f16 v0, v0, v1;

	;;#ASMEND
	;;#ASMSTART
	v_pk_add_f16 v0, v0, v4;

	;;#ASMEND
	;; [unrolled: 4-line block ×3, first 2 shown]
	v_lshrrev_b32_e32 v1, 16, v0
	v_and_b32_e32 v0, 0xffff, v0
	;;#ASMSTART
	v_cvt_f32_f16 v0, v0;
	;;#ASMEND
	buffer_store_dword v0, off, s[0:3], s32 offset:96 ; 4-byte Folded Spill
	;;#ASMSTART
	v_cvt_f32_f16 v0, v1;
	;;#ASMEND
	buffer_store_dword v0, off, s[0:3], s32 offset:100 ; 4-byte Folded Spill
	flat_load_dwordx2 v[12:13], v[10:11] offset:1536
	s_nop 0
	buffer_load_dword v0, off, s[0:3], s32 offset:64 ; 4-byte Folded Reload
	buffer_load_dword v1, off, s[0:3], s32 offset:68 ; 4-byte Folded Reload
	v_mov_b32_e32 v4, 0
	s_waitcnt vmcnt(0) lgkmcnt(0)
	v_cmp_ne_u16_sdwa s[24:25], v12, v7 src0_sel:BYTE_0 src1_sel:DWORD
	flat_load_dword v0, v[0:1]
	v_mov_b32_e32 v1, 0
	s_and_saveexec_b64 s[22:23], s[24:25]
	s_cbranch_execz .LBB272_956
; %bb.951:                              ;   in Loop: Header=BB272_800 Depth=1
	v_cmp_ne_u16_sdwa s[26:27], v12, s28 src0_sel:BYTE_0 src1_sel:DWORD
	v_mov_b32_e32 v4, 0x8000
	s_and_saveexec_b64 s[24:25], s[26:27]
	s_cbranch_execz .LBB272_955
; %bb.952:                              ;   in Loop: Header=BB272_800 Depth=1
	v_and_b32_e32 v5, 0x7f, v12
	v_cmp_ne_u32_e32 vcc, s29, v5
	v_mov_b32_e32 v4, 0x7c01
	s_and_saveexec_b64 s[26:27], vcc
	s_cbranch_execz .LBB272_954
; %bb.953:                              ;   in Loop: Header=BB272_800 Depth=1
	v_and_b32_e32 v6, 7, v12
	v_ffbh_u32_e32 v4, v6
	v_min_u32_e32 v15, 32, v4
	v_subrev_u32_e32 v4, 28, v15
	v_lshrrev_b32_e32 v14, 3, v5
	v_cmp_gt_u32_e32 vcc, 8, v5
	v_lshlrev_b64 v[4:5], v4, v[12:13]
	v_sub_u32_e32 v5, 29, v15
	v_cndmask_b32_e32 v5, v14, v5, vcc
	v_lshl_add_u32 v5, v5, 10, v53
	v_lshlrev_b32_e32 v14, 8, v12
	v_and_b32_e32 v4, 7, v4
	v_and_b32_e32 v5, 0xfc00, v5
	v_cndmask_b32_e32 v4, v6, v4, vcc
	v_and_or_b32 v5, v14, s40, v5
	v_lshl_or_b32 v4, v4, 7, v5
.LBB272_954:                            ;   in Loop: Header=BB272_800 Depth=1
	s_or_b64 exec, exec, s[26:27]
.LBB272_955:                            ;   in Loop: Header=BB272_800 Depth=1
	s_or_b64 exec, exec, s[24:25]
.LBB272_956:                            ;   in Loop: Header=BB272_800 Depth=1
	s_or_b64 exec, exec, s[22:23]
	v_lshrrev_b16_e32 v6, 8, v12
	v_cmp_ne_u16_e32 vcc, 0, v6
	s_and_saveexec_b64 s[22:23], vcc
	s_cbranch_execz .LBB272_962
; %bb.957:                              ;   in Loop: Header=BB272_800 Depth=1
	v_cmp_ne_u16_e32 vcc, s28, v6
	v_bfrev_b32_e32 v1, 1
	s_and_saveexec_b64 s[24:25], vcc
	s_cbranch_execz .LBB272_961
; %bb.958:                              ;   in Loop: Header=BB272_800 Depth=1
	v_and_b32_e32 v5, 0x7f, v6
	v_cmp_ne_u32_e32 vcc, s29, v5
	v_mov_b32_e32 v1, 0x7c010000
	s_and_saveexec_b64 s[26:27], vcc
	s_cbranch_execz .LBB272_960
; %bb.959:                              ;   in Loop: Header=BB272_800 Depth=1
	v_and_b32_e32 v1, 7, v6
	v_lshrrev_b32_e32 v16, 3, v5
	v_cmp_gt_u32_e32 vcc, 8, v5
	v_ffbh_u32_e32 v5, v1
	v_min_u32_e32 v5, 32, v5
	v_subrev_u32_e32 v14, 28, v5
	v_sub_u32_e32 v5, 29, v5
	v_lshlrev_b64 v[14:15], v14, v[6:7]
	v_cndmask_b32_e32 v5, v16, v5, vcc
	v_lshlrev_b32_e32 v6, 8, v6
	v_lshl_add_u32 v5, v5, 10, v53
	v_and_b32_e32 v14, 7, v14
	v_and_or_b32 v5, v6, s40, v5
	v_cndmask_b32_e32 v1, v1, v14, vcc
	v_lshlrev_b32_e32 v5, 16, v5
	v_lshl_or_b32 v1, v1, 23, v5
.LBB272_960:                            ;   in Loop: Header=BB272_800 Depth=1
	s_or_b64 exec, exec, s[26:27]
.LBB272_961:                            ;   in Loop: Header=BB272_800 Depth=1
	s_or_b64 exec, exec, s[24:25]
.LBB272_962:                            ;   in Loop: Header=BB272_800 Depth=1
	s_or_b64 exec, exec, s[22:23]
	v_lshrrev_b32_e32 v6, 16, v12
	v_cmp_ne_u16_sdwa s[24:25], v6, v7 src0_sel:BYTE_0 src1_sel:DWORD
	v_mov_b32_e32 v5, 0
	v_mov_b32_e32 v14, 0
	s_and_saveexec_b64 s[22:23], s[24:25]
	s_cbranch_execz .LBB272_968
; %bb.963:                              ;   in Loop: Header=BB272_800 Depth=1
	v_cmp_ne_u16_sdwa s[26:27], v6, s28 src0_sel:BYTE_0 src1_sel:DWORD
	v_mov_b32_e32 v14, 0x8000
	s_and_saveexec_b64 s[24:25], s[26:27]
	s_cbranch_execz .LBB272_967
; %bb.964:                              ;   in Loop: Header=BB272_800 Depth=1
	v_bfe_u32 v15, v12, 16, 7
	v_cmp_ne_u32_e32 vcc, s29, v15
	v_mov_b32_e32 v14, 0x7c01
	s_and_saveexec_b64 s[26:27], vcc
	s_cbranch_execz .LBB272_966
; %bb.965:                              ;   in Loop: Header=BB272_800 Depth=1
	v_and_b32_e32 v16, 7, v6
	v_ffbh_u32_e32 v14, v16
	v_min_u32_e32 v18, 32, v14
	v_subrev_u32_e32 v14, 28, v18
	v_lshrrev_b32_e32 v17, 3, v15
	v_cmp_gt_u32_e32 vcc, 8, v15
	v_lshlrev_b64 v[14:15], v14, v[6:7]
	v_sub_u32_e32 v15, 29, v18
	v_cndmask_b32_e32 v15, v17, v15, vcc
	v_lshl_add_u32 v15, v15, 10, v53
	v_lshlrev_b32_e32 v6, 8, v6
	v_and_b32_e32 v14, 7, v14
	v_and_b32_e32 v15, 0xfc00, v15
	v_cndmask_b32_e32 v14, v16, v14, vcc
	v_and_or_b32 v6, v6, s40, v15
	v_lshl_or_b32 v14, v14, 7, v6
.LBB272_966:                            ;   in Loop: Header=BB272_800 Depth=1
	s_or_b64 exec, exec, s[26:27]
.LBB272_967:                            ;   in Loop: Header=BB272_800 Depth=1
	s_or_b64 exec, exec, s[24:25]
.LBB272_968:                            ;   in Loop: Header=BB272_800 Depth=1
	s_or_b64 exec, exec, s[22:23]
	v_cmp_lt_u32_e32 vcc, s11, v12
	s_and_saveexec_b64 s[22:23], vcc
	s_cbranch_execz .LBB272_974
; %bb.969:                              ;   in Loop: Header=BB272_800 Depth=1
	v_lshrrev_b32_e32 v6, 24, v12
	v_cmp_ne_u32_e32 vcc, s28, v6
	v_bfrev_b32_e32 v5, 1
	s_and_saveexec_b64 s[24:25], vcc
	s_cbranch_execz .LBB272_973
; %bb.970:                              ;   in Loop: Header=BB272_800 Depth=1
	v_and_b32_e32 v15, 0x7f, v6
	v_cmp_ne_u32_e32 vcc, s29, v15
	v_mov_b32_e32 v5, 0x7c010000
	s_and_saveexec_b64 s[26:27], vcc
	s_cbranch_execz .LBB272_972
; %bb.971:                              ;   in Loop: Header=BB272_800 Depth=1
	v_and_b32_e32 v5, 7, v6
	v_lshrrev_b32_e32 v17, 3, v15
	v_cmp_gt_u32_e32 vcc, 8, v15
	v_ffbh_u32_e32 v15, v5
	v_min_u32_e32 v18, 32, v15
	v_subrev_u32_e32 v15, 28, v18
	v_lshlrev_b64 v[15:16], v15, v[6:7]
	v_sub_u32_e32 v16, 29, v18
	v_cndmask_b32_e32 v16, v17, v16, vcc
	v_lshlrev_b32_e32 v6, 8, v6
	v_lshl_add_u32 v16, v16, 10, v53
	v_and_b32_e32 v15, 7, v15
	v_and_or_b32 v6, v6, s40, v16
	v_cndmask_b32_e32 v5, v5, v15, vcc
	v_lshlrev_b32_e32 v6, 16, v6
	v_lshl_or_b32 v5, v5, 23, v6
.LBB272_972:                            ;   in Loop: Header=BB272_800 Depth=1
	s_or_b64 exec, exec, s[26:27]
.LBB272_973:                            ;   in Loop: Header=BB272_800 Depth=1
	s_or_b64 exec, exec, s[24:25]
.LBB272_974:                            ;   in Loop: Header=BB272_800 Depth=1
	s_or_b64 exec, exec, s[22:23]
	v_mov_b32_e32 v6, v13
	v_cmp_ne_u16_sdwa s[24:25], v13, v7 src0_sel:BYTE_0 src1_sel:DWORD
	v_mov_b32_e32 v15, 0
	v_mov_b32_e32 v16, 0
	s_and_saveexec_b64 s[22:23], s[24:25]
	s_cbranch_execz .LBB272_980
; %bb.975:                              ;   in Loop: Header=BB272_800 Depth=1
	v_cmp_ne_u16_sdwa s[26:27], v13, s28 src0_sel:BYTE_0 src1_sel:DWORD
	v_mov_b32_e32 v16, 0x8000
	s_and_saveexec_b64 s[24:25], s[26:27]
	s_cbranch_execz .LBB272_979
; %bb.976:                              ;   in Loop: Header=BB272_800 Depth=1
	v_and_b32_e32 v17, 0x7f, v13
	v_cmp_ne_u32_e32 vcc, s29, v17
	v_mov_b32_e32 v16, 0x7c01
	s_and_saveexec_b64 s[26:27], vcc
	s_cbranch_execz .LBB272_978
; %bb.977:                              ;   in Loop: Header=BB272_800 Depth=1
	v_and_b32_e32 v18, 7, v13
	v_ffbh_u32_e32 v16, v18
	v_min_u32_e32 v23, 32, v16
	v_subrev_u32_e32 v16, 28, v23
	v_lshrrev_b32_e32 v22, 3, v17
	v_cmp_gt_u32_e32 vcc, 8, v17
	v_lshlrev_b64 v[16:17], v16, v[6:7]
	v_sub_u32_e32 v17, 29, v23
	v_cndmask_b32_e32 v17, v22, v17, vcc
	v_lshl_add_u32 v17, v17, 10, v53
	v_lshlrev_b32_e32 v22, 8, v13
	v_and_b32_e32 v16, 7, v16
	v_and_b32_e32 v17, 0xfc00, v17
	v_cndmask_b32_e32 v16, v18, v16, vcc
	v_and_or_b32 v17, v22, s40, v17
	v_lshl_or_b32 v16, v16, 7, v17
.LBB272_978:                            ;   in Loop: Header=BB272_800 Depth=1
	s_or_b64 exec, exec, s[26:27]
.LBB272_979:                            ;   in Loop: Header=BB272_800 Depth=1
	s_or_b64 exec, exec, s[24:25]
.LBB272_980:                            ;   in Loop: Header=BB272_800 Depth=1
	s_or_b64 exec, exec, s[22:23]
	v_lshrrev_b16_e32 v6, 8, v6
	v_cmp_ne_u16_e32 vcc, 0, v6
	v_mov_b32_e32 v17, 0
	s_and_saveexec_b64 s[22:23], vcc
	s_cbranch_execz .LBB272_986
; %bb.981:                              ;   in Loop: Header=BB272_800 Depth=1
	v_cmp_ne_u16_e32 vcc, s28, v6
	v_bfrev_b32_e32 v17, 1
	s_and_saveexec_b64 s[24:25], vcc
	s_cbranch_execz .LBB272_985
; %bb.982:                              ;   in Loop: Header=BB272_800 Depth=1
	v_and_b32_e32 v18, 0x7f, v6
	v_cmp_ne_u32_e32 vcc, s29, v18
	v_mov_b32_e32 v17, 0x7c010000
	s_and_saveexec_b64 s[26:27], vcc
	s_cbranch_execz .LBB272_984
; %bb.983:                              ;   in Loop: Header=BB272_800 Depth=1
	v_and_b32_e32 v22, 7, v6
	v_ffbh_u32_e32 v17, v22
	v_min_u32_e32 v26, 32, v17
	v_subrev_u32_e32 v17, 28, v26
	v_lshrrev_b32_e32 v23, 3, v18
	v_cmp_gt_u32_e32 vcc, 8, v18
	v_lshlrev_b64 v[17:18], v17, v[6:7]
	v_sub_u32_e32 v18, 29, v26
	v_cndmask_b32_e32 v18, v23, v18, vcc
	v_lshlrev_b32_e32 v6, 8, v6
	v_lshl_add_u32 v18, v18, 10, v53
	v_and_b32_e32 v17, 7, v17
	v_and_or_b32 v6, v6, s40, v18
	v_cndmask_b32_e32 v17, v22, v17, vcc
	v_lshlrev_b32_e32 v6, 16, v6
	v_lshl_or_b32 v17, v17, 23, v6
.LBB272_984:                            ;   in Loop: Header=BB272_800 Depth=1
	s_or_b64 exec, exec, s[26:27]
.LBB272_985:                            ;   in Loop: Header=BB272_800 Depth=1
	s_or_b64 exec, exec, s[24:25]
.LBB272_986:                            ;   in Loop: Header=BB272_800 Depth=1
	s_or_b64 exec, exec, s[22:23]
	v_lshrrev_b32_e32 v6, 16, v13
	v_cmp_ne_u16_sdwa s[24:25], v6, v7 src0_sel:BYTE_0 src1_sel:DWORD
	s_and_saveexec_b64 s[22:23], s[24:25]
	s_cbranch_execz .LBB272_992
; %bb.987:                              ;   in Loop: Header=BB272_800 Depth=1
	v_cmp_ne_u16_sdwa s[26:27], v6, s28 src0_sel:BYTE_0 src1_sel:DWORD
	v_mov_b32_e32 v15, 0x8000
	s_and_saveexec_b64 s[24:25], s[26:27]
	s_cbranch_execz .LBB272_991
; %bb.988:                              ;   in Loop: Header=BB272_800 Depth=1
	v_bfe_u32 v18, v13, 16, 7
	v_cmp_ne_u32_e32 vcc, s29, v18
	v_mov_b32_e32 v15, 0x7c01
	s_and_saveexec_b64 s[26:27], vcc
	s_cbranch_execz .LBB272_990
; %bb.989:                              ;   in Loop: Header=BB272_800 Depth=1
	v_and_b32_e32 v15, 7, v6
	v_lshrrev_b32_e32 v26, 3, v18
	v_cmp_gt_u32_e32 vcc, 8, v18
	v_ffbh_u32_e32 v18, v15
	v_min_u32_e32 v18, 32, v18
	v_subrev_u32_e32 v22, 28, v18
	v_sub_u32_e32 v18, 29, v18
	v_lshlrev_b64 v[22:23], v22, v[6:7]
	v_cndmask_b32_e32 v18, v26, v18, vcc
	v_lshl_add_u32 v18, v18, 10, v53
	v_lshlrev_b32_e32 v6, 8, v6
	v_and_b32_e32 v22, 7, v22
	v_and_b32_e32 v18, 0xfc00, v18
	v_cndmask_b32_e32 v15, v15, v22, vcc
	v_and_or_b32 v6, v6, s40, v18
	v_lshl_or_b32 v15, v15, 7, v6
.LBB272_990:                            ;   in Loop: Header=BB272_800 Depth=1
	s_or_b64 exec, exec, s[26:27]
.LBB272_991:                            ;   in Loop: Header=BB272_800 Depth=1
	s_or_b64 exec, exec, s[24:25]
.LBB272_992:                            ;   in Loop: Header=BB272_800 Depth=1
	s_or_b64 exec, exec, s[22:23]
	v_cmp_lt_u64_e32 vcc, s[10:11], v[12:13]
	v_mov_b32_e32 v12, 0
	s_and_saveexec_b64 s[22:23], vcc
	s_cbranch_execz .LBB272_998
; %bb.993:                              ;   in Loop: Header=BB272_800 Depth=1
	v_lshrrev_b32_e32 v6, 24, v13
	v_cmp_ne_u32_e32 vcc, s28, v6
	v_bfrev_b32_e32 v12, 1
	s_and_saveexec_b64 s[24:25], vcc
	s_cbranch_execz .LBB272_997
; %bb.994:                              ;   in Loop: Header=BB272_800 Depth=1
	v_and_b32_e32 v13, 0x7f, v6
	v_cmp_ne_u32_e32 vcc, s29, v13
	v_mov_b32_e32 v12, 0x7c010000
	s_and_saveexec_b64 s[26:27], vcc
	s_cbranch_execz .LBB272_996
; %bb.995:                              ;   in Loop: Header=BB272_800 Depth=1
	v_and_b32_e32 v18, 7, v6
	v_ffbh_u32_e32 v12, v18
	v_min_u32_e32 v23, 32, v12
	v_subrev_u32_e32 v12, 28, v23
	v_lshrrev_b32_e32 v22, 3, v13
	v_cmp_gt_u32_e32 vcc, 8, v13
	v_lshlrev_b64 v[12:13], v12, v[6:7]
	v_sub_u32_e32 v13, 29, v23
	v_cndmask_b32_e32 v13, v22, v13, vcc
	v_lshlrev_b32_e32 v6, 8, v6
	v_lshl_add_u32 v13, v13, 10, v53
	v_and_b32_e32 v12, 7, v12
	v_and_or_b32 v6, v6, s40, v13
	v_cndmask_b32_e32 v12, v18, v12, vcc
	v_lshlrev_b32_e32 v6, 16, v6
	v_lshl_or_b32 v12, v12, 23, v6
.LBB272_996:                            ;   in Loop: Header=BB272_800 Depth=1
	s_or_b64 exec, exec, s[26:27]
.LBB272_997:                            ;   in Loop: Header=BB272_800 Depth=1
	s_or_b64 exec, exec, s[24:25]
.LBB272_998:                            ;   in Loop: Header=BB272_800 Depth=1
	s_or_b64 exec, exec, s[22:23]
	v_or_b32_e32 v4, v1, v4
	s_waitcnt vmcnt(0) lgkmcnt(0)
	v_fma_mixlo_f16 v1, v0, v1, 0 op_sel:[0,1,0] op_sel_hi:[0,1,0]
	v_or_b32_e32 v13, v5, v14
	v_fma_mixlo_f16 v5, v0, v5, 0 op_sel:[0,1,0] op_sel_hi:[0,1,0]
	v_lshlrev_b32_e32 v18, 16, v1
	v_fma_mixlo_f16 v1, v0, v4, 0 op_sel_hi:[0,1,0]
	v_or_b32_e32 v4, v17, v16
	v_or_b32_e32 v15, v12, v15
	v_lshlrev_b32_e32 v6, 16, v5
	v_fma_mixlo_f16 v5, v0, v13, 0 op_sel_hi:[0,1,0]
	v_fma_mixlo_f16 v14, v0, v17, 0 op_sel:[0,1,0] op_sel_hi:[0,1,0]
	v_fma_mixlo_f16 v4, v0, v4, 0 op_sel_hi:[0,1,0]
	v_fma_mixlo_f16 v15, v0, v15, 0 op_sel_hi:[0,1,0]
	v_fma_mixlo_f16 v0, v0, v12, 0 op_sel:[0,1,0] op_sel_hi:[0,1,0]
	v_and_b32_e32 v13, 0xffff, v5
	v_and_b32_e32 v22, 0xffff, v1
	v_lshlrev_b32_e32 v14, 16, v14
	v_and_b32_e32 v16, 0xffff, v4
	v_lshlrev_b32_e32 v0, 16, v0
	v_and_b32_e32 v12, 0xffff, v15
	v_or_b32_e32 v5, v6, v13
	v_or_b32_e32 v1, v18, v22
	;; [unrolled: 1-line block ×4, first 2 shown]
	s_and_saveexec_b64 s[22:23], s[6:7]
	s_cbranch_execz .LBB272_1000
; %bb.999:                              ;   in Loop: Header=BB272_800 Depth=1
	v_cmp_lt_i32_e32 vcc, v54, v27
	v_cndmask_b32_e32 v1, 0, v22, vcc
	v_cmp_lt_i32_e32 vcc, v56, v27
	v_cndmask_b32_e32 v4, 0, v18, vcc
	v_cmp_lt_i32_e32 vcc, v47, v27
	v_or_b32_e32 v1, v1, v4
	v_cndmask_b32_e32 v4, 0, v13, vcc
	v_cmp_lt_i32_e32 vcc, v46, v27
	v_cndmask_b32_e32 v5, 0, v6, vcc
	v_cmp_lt_i32_e32 vcc, v45, v27
	v_or_b32_e32 v5, v4, v5
	;; [unrolled: 5-line block ×3, first 2 shown]
	v_cndmask_b32_e32 v6, 0, v12, vcc
	v_cmp_lt_i32_e32 vcc, v19, v27
	v_cndmask_b32_e32 v0, 0, v0, vcc
	v_or_b32_e32 v15, v6, v0
.LBB272_1000:                           ;   in Loop: Header=BB272_800 Depth=1
	s_or_b64 exec, exec, s[22:23]
	;;#ASMSTART
	v_pk_mul_f16 v0, v55, v1;

	;;#ASMEND
	;;#ASMSTART
	v_pk_mul_f16 v1, v40, v5;

	;;#ASMEND
	;; [unrolled: 4-line block ×4, first 2 shown]
	;;#ASMSTART
	v_pk_add_f16 v0, v0, v1;

	;;#ASMEND
	;;#ASMSTART
	v_pk_add_f16 v0, v0, v4;

	;;#ASMEND
	;; [unrolled: 4-line block ×3, first 2 shown]
	v_lshrrev_b32_e32 v1, 16, v0
	v_and_b32_e32 v0, 0xffff, v0
	;;#ASMSTART
	v_cvt_f32_f16 v0, v0;
	;;#ASMEND
	buffer_store_dword v0, off, s[0:3], s32 offset:104 ; 4-byte Folded Spill
	;;#ASMSTART
	v_cvt_f32_f16 v0, v1;
	;;#ASMEND
	buffer_store_dword v0, off, s[0:3], s32 offset:108 ; 4-byte Folded Spill
	flat_load_dwordx2 v[12:13], v[10:11] offset:2048
	s_nop 0
	buffer_load_dword v0, off, s[0:3], s32 offset:64 ; 4-byte Folded Reload
	buffer_load_dword v1, off, s[0:3], s32 offset:68 ; 4-byte Folded Reload
	v_mov_b32_e32 v4, 0
	s_waitcnt vmcnt(0) lgkmcnt(0)
	v_cmp_ne_u16_sdwa s[24:25], v12, v7 src0_sel:BYTE_0 src1_sel:DWORD
	flat_load_dword v0, v[0:1]
	v_mov_b32_e32 v1, 0
	s_and_saveexec_b64 s[22:23], s[24:25]
	s_cbranch_execz .LBB272_1006
; %bb.1001:                             ;   in Loop: Header=BB272_800 Depth=1
	v_cmp_ne_u16_sdwa s[26:27], v12, s28 src0_sel:BYTE_0 src1_sel:DWORD
	v_mov_b32_e32 v4, 0x8000
	s_and_saveexec_b64 s[24:25], s[26:27]
	s_cbranch_execz .LBB272_1005
; %bb.1002:                             ;   in Loop: Header=BB272_800 Depth=1
	v_and_b32_e32 v5, 0x7f, v12
	v_cmp_ne_u32_e32 vcc, s29, v5
	v_mov_b32_e32 v4, 0x7c01
	s_and_saveexec_b64 s[26:27], vcc
	s_cbranch_execz .LBB272_1004
; %bb.1003:                             ;   in Loop: Header=BB272_800 Depth=1
	v_and_b32_e32 v6, 7, v12
	v_ffbh_u32_e32 v4, v6
	v_min_u32_e32 v15, 32, v4
	v_subrev_u32_e32 v4, 28, v15
	v_lshrrev_b32_e32 v14, 3, v5
	v_cmp_gt_u32_e32 vcc, 8, v5
	v_lshlrev_b64 v[4:5], v4, v[12:13]
	v_sub_u32_e32 v5, 29, v15
	v_cndmask_b32_e32 v5, v14, v5, vcc
	v_lshl_add_u32 v5, v5, 10, v53
	v_lshlrev_b32_e32 v14, 8, v12
	v_and_b32_e32 v4, 7, v4
	v_and_b32_e32 v5, 0xfc00, v5
	v_cndmask_b32_e32 v4, v6, v4, vcc
	v_and_or_b32 v5, v14, s40, v5
	v_lshl_or_b32 v4, v4, 7, v5
.LBB272_1004:                           ;   in Loop: Header=BB272_800 Depth=1
	s_or_b64 exec, exec, s[26:27]
.LBB272_1005:                           ;   in Loop: Header=BB272_800 Depth=1
	s_or_b64 exec, exec, s[24:25]
.LBB272_1006:                           ;   in Loop: Header=BB272_800 Depth=1
	s_or_b64 exec, exec, s[22:23]
	v_lshrrev_b16_e32 v6, 8, v12
	v_cmp_ne_u16_e32 vcc, 0, v6
	s_and_saveexec_b64 s[22:23], vcc
	s_cbranch_execz .LBB272_1012
; %bb.1007:                             ;   in Loop: Header=BB272_800 Depth=1
	v_cmp_ne_u16_e32 vcc, s28, v6
	v_bfrev_b32_e32 v1, 1
	s_and_saveexec_b64 s[24:25], vcc
	s_cbranch_execz .LBB272_1011
; %bb.1008:                             ;   in Loop: Header=BB272_800 Depth=1
	v_and_b32_e32 v5, 0x7f, v6
	v_cmp_ne_u32_e32 vcc, s29, v5
	v_mov_b32_e32 v1, 0x7c010000
	s_and_saveexec_b64 s[26:27], vcc
	s_cbranch_execz .LBB272_1010
; %bb.1009:                             ;   in Loop: Header=BB272_800 Depth=1
	v_and_b32_e32 v1, 7, v6
	v_lshrrev_b32_e32 v16, 3, v5
	v_cmp_gt_u32_e32 vcc, 8, v5
	v_ffbh_u32_e32 v5, v1
	v_min_u32_e32 v5, 32, v5
	v_subrev_u32_e32 v14, 28, v5
	v_sub_u32_e32 v5, 29, v5
	v_lshlrev_b64 v[14:15], v14, v[6:7]
	v_cndmask_b32_e32 v5, v16, v5, vcc
	v_lshlrev_b32_e32 v6, 8, v6
	v_lshl_add_u32 v5, v5, 10, v53
	v_and_b32_e32 v14, 7, v14
	v_and_or_b32 v5, v6, s40, v5
	v_cndmask_b32_e32 v1, v1, v14, vcc
	v_lshlrev_b32_e32 v5, 16, v5
	v_lshl_or_b32 v1, v1, 23, v5
.LBB272_1010:                           ;   in Loop: Header=BB272_800 Depth=1
	s_or_b64 exec, exec, s[26:27]
.LBB272_1011:                           ;   in Loop: Header=BB272_800 Depth=1
	s_or_b64 exec, exec, s[24:25]
.LBB272_1012:                           ;   in Loop: Header=BB272_800 Depth=1
	s_or_b64 exec, exec, s[22:23]
	v_lshrrev_b32_e32 v6, 16, v12
	v_cmp_ne_u16_sdwa s[24:25], v6, v7 src0_sel:BYTE_0 src1_sel:DWORD
	v_mov_b32_e32 v5, 0
	v_mov_b32_e32 v14, 0
	s_and_saveexec_b64 s[22:23], s[24:25]
	s_cbranch_execz .LBB272_1018
; %bb.1013:                             ;   in Loop: Header=BB272_800 Depth=1
	v_cmp_ne_u16_sdwa s[26:27], v6, s28 src0_sel:BYTE_0 src1_sel:DWORD
	v_mov_b32_e32 v14, 0x8000
	s_and_saveexec_b64 s[24:25], s[26:27]
	s_cbranch_execz .LBB272_1017
; %bb.1014:                             ;   in Loop: Header=BB272_800 Depth=1
	v_bfe_u32 v15, v12, 16, 7
	v_cmp_ne_u32_e32 vcc, s29, v15
	v_mov_b32_e32 v14, 0x7c01
	s_and_saveexec_b64 s[26:27], vcc
	s_cbranch_execz .LBB272_1016
; %bb.1015:                             ;   in Loop: Header=BB272_800 Depth=1
	v_and_b32_e32 v16, 7, v6
	v_ffbh_u32_e32 v14, v16
	v_min_u32_e32 v18, 32, v14
	v_subrev_u32_e32 v14, 28, v18
	v_lshrrev_b32_e32 v17, 3, v15
	v_cmp_gt_u32_e32 vcc, 8, v15
	v_lshlrev_b64 v[14:15], v14, v[6:7]
	v_sub_u32_e32 v15, 29, v18
	v_cndmask_b32_e32 v15, v17, v15, vcc
	v_lshl_add_u32 v15, v15, 10, v53
	v_lshlrev_b32_e32 v6, 8, v6
	v_and_b32_e32 v14, 7, v14
	v_and_b32_e32 v15, 0xfc00, v15
	v_cndmask_b32_e32 v14, v16, v14, vcc
	v_and_or_b32 v6, v6, s40, v15
	v_lshl_or_b32 v14, v14, 7, v6
.LBB272_1016:                           ;   in Loop: Header=BB272_800 Depth=1
	s_or_b64 exec, exec, s[26:27]
.LBB272_1017:                           ;   in Loop: Header=BB272_800 Depth=1
	s_or_b64 exec, exec, s[24:25]
.LBB272_1018:                           ;   in Loop: Header=BB272_800 Depth=1
	s_or_b64 exec, exec, s[22:23]
	v_cmp_lt_u32_e32 vcc, s11, v12
	s_and_saveexec_b64 s[22:23], vcc
	s_cbranch_execz .LBB272_1024
; %bb.1019:                             ;   in Loop: Header=BB272_800 Depth=1
	v_lshrrev_b32_e32 v6, 24, v12
	v_cmp_ne_u32_e32 vcc, s28, v6
	v_bfrev_b32_e32 v5, 1
	s_and_saveexec_b64 s[24:25], vcc
	s_cbranch_execz .LBB272_1023
; %bb.1020:                             ;   in Loop: Header=BB272_800 Depth=1
	v_and_b32_e32 v15, 0x7f, v6
	v_cmp_ne_u32_e32 vcc, s29, v15
	v_mov_b32_e32 v5, 0x7c010000
	s_and_saveexec_b64 s[26:27], vcc
	s_cbranch_execz .LBB272_1022
; %bb.1021:                             ;   in Loop: Header=BB272_800 Depth=1
	v_and_b32_e32 v5, 7, v6
	v_lshrrev_b32_e32 v17, 3, v15
	v_cmp_gt_u32_e32 vcc, 8, v15
	v_ffbh_u32_e32 v15, v5
	v_min_u32_e32 v18, 32, v15
	v_subrev_u32_e32 v15, 28, v18
	v_lshlrev_b64 v[15:16], v15, v[6:7]
	v_sub_u32_e32 v16, 29, v18
	v_cndmask_b32_e32 v16, v17, v16, vcc
	v_lshlrev_b32_e32 v6, 8, v6
	v_lshl_add_u32 v16, v16, 10, v53
	v_and_b32_e32 v15, 7, v15
	v_and_or_b32 v6, v6, s40, v16
	v_cndmask_b32_e32 v5, v5, v15, vcc
	v_lshlrev_b32_e32 v6, 16, v6
	v_lshl_or_b32 v5, v5, 23, v6
.LBB272_1022:                           ;   in Loop: Header=BB272_800 Depth=1
	s_or_b64 exec, exec, s[26:27]
.LBB272_1023:                           ;   in Loop: Header=BB272_800 Depth=1
	s_or_b64 exec, exec, s[24:25]
.LBB272_1024:                           ;   in Loop: Header=BB272_800 Depth=1
	s_or_b64 exec, exec, s[22:23]
	v_mov_b32_e32 v6, v13
	v_cmp_ne_u16_sdwa s[24:25], v13, v7 src0_sel:BYTE_0 src1_sel:DWORD
	v_mov_b32_e32 v15, 0
	v_mov_b32_e32 v16, 0
	s_and_saveexec_b64 s[22:23], s[24:25]
	s_cbranch_execz .LBB272_1030
; %bb.1025:                             ;   in Loop: Header=BB272_800 Depth=1
	v_cmp_ne_u16_sdwa s[26:27], v13, s28 src0_sel:BYTE_0 src1_sel:DWORD
	v_mov_b32_e32 v16, 0x8000
	s_and_saveexec_b64 s[24:25], s[26:27]
	s_cbranch_execz .LBB272_1029
; %bb.1026:                             ;   in Loop: Header=BB272_800 Depth=1
	v_and_b32_e32 v17, 0x7f, v13
	v_cmp_ne_u32_e32 vcc, s29, v17
	v_mov_b32_e32 v16, 0x7c01
	s_and_saveexec_b64 s[26:27], vcc
	s_cbranch_execz .LBB272_1028
; %bb.1027:                             ;   in Loop: Header=BB272_800 Depth=1
	v_and_b32_e32 v18, 7, v13
	v_ffbh_u32_e32 v16, v18
	v_min_u32_e32 v23, 32, v16
	v_subrev_u32_e32 v16, 28, v23
	v_lshrrev_b32_e32 v22, 3, v17
	v_cmp_gt_u32_e32 vcc, 8, v17
	v_lshlrev_b64 v[16:17], v16, v[6:7]
	v_sub_u32_e32 v17, 29, v23
	v_cndmask_b32_e32 v17, v22, v17, vcc
	v_lshl_add_u32 v17, v17, 10, v53
	v_lshlrev_b32_e32 v22, 8, v13
	v_and_b32_e32 v16, 7, v16
	v_and_b32_e32 v17, 0xfc00, v17
	v_cndmask_b32_e32 v16, v18, v16, vcc
	v_and_or_b32 v17, v22, s40, v17
	v_lshl_or_b32 v16, v16, 7, v17
.LBB272_1028:                           ;   in Loop: Header=BB272_800 Depth=1
	s_or_b64 exec, exec, s[26:27]
.LBB272_1029:                           ;   in Loop: Header=BB272_800 Depth=1
	s_or_b64 exec, exec, s[24:25]
.LBB272_1030:                           ;   in Loop: Header=BB272_800 Depth=1
	s_or_b64 exec, exec, s[22:23]
	v_lshrrev_b16_e32 v6, 8, v6
	v_cmp_ne_u16_e32 vcc, 0, v6
	v_mov_b32_e32 v17, 0
	s_and_saveexec_b64 s[22:23], vcc
	s_cbranch_execz .LBB272_1036
; %bb.1031:                             ;   in Loop: Header=BB272_800 Depth=1
	v_cmp_ne_u16_e32 vcc, s28, v6
	v_bfrev_b32_e32 v17, 1
	s_and_saveexec_b64 s[24:25], vcc
	s_cbranch_execz .LBB272_1035
; %bb.1032:                             ;   in Loop: Header=BB272_800 Depth=1
	v_and_b32_e32 v18, 0x7f, v6
	v_cmp_ne_u32_e32 vcc, s29, v18
	v_mov_b32_e32 v17, 0x7c010000
	s_and_saveexec_b64 s[26:27], vcc
	s_cbranch_execz .LBB272_1034
; %bb.1033:                             ;   in Loop: Header=BB272_800 Depth=1
	v_and_b32_e32 v22, 7, v6
	v_ffbh_u32_e32 v17, v22
	v_min_u32_e32 v26, 32, v17
	v_subrev_u32_e32 v17, 28, v26
	v_lshrrev_b32_e32 v23, 3, v18
	v_cmp_gt_u32_e32 vcc, 8, v18
	v_lshlrev_b64 v[17:18], v17, v[6:7]
	v_sub_u32_e32 v18, 29, v26
	v_cndmask_b32_e32 v18, v23, v18, vcc
	v_lshlrev_b32_e32 v6, 8, v6
	v_lshl_add_u32 v18, v18, 10, v53
	v_and_b32_e32 v17, 7, v17
	v_and_or_b32 v6, v6, s40, v18
	v_cndmask_b32_e32 v17, v22, v17, vcc
	v_lshlrev_b32_e32 v6, 16, v6
	v_lshl_or_b32 v17, v17, 23, v6
.LBB272_1034:                           ;   in Loop: Header=BB272_800 Depth=1
	s_or_b64 exec, exec, s[26:27]
.LBB272_1035:                           ;   in Loop: Header=BB272_800 Depth=1
	s_or_b64 exec, exec, s[24:25]
.LBB272_1036:                           ;   in Loop: Header=BB272_800 Depth=1
	s_or_b64 exec, exec, s[22:23]
	v_lshrrev_b32_e32 v6, 16, v13
	v_cmp_ne_u16_sdwa s[24:25], v6, v7 src0_sel:BYTE_0 src1_sel:DWORD
	s_and_saveexec_b64 s[22:23], s[24:25]
	s_cbranch_execz .LBB272_1042
; %bb.1037:                             ;   in Loop: Header=BB272_800 Depth=1
	v_cmp_ne_u16_sdwa s[26:27], v6, s28 src0_sel:BYTE_0 src1_sel:DWORD
	v_mov_b32_e32 v15, 0x8000
	s_and_saveexec_b64 s[24:25], s[26:27]
	s_cbranch_execz .LBB272_1041
; %bb.1038:                             ;   in Loop: Header=BB272_800 Depth=1
	v_bfe_u32 v18, v13, 16, 7
	v_cmp_ne_u32_e32 vcc, s29, v18
	v_mov_b32_e32 v15, 0x7c01
	s_and_saveexec_b64 s[26:27], vcc
	s_cbranch_execz .LBB272_1040
; %bb.1039:                             ;   in Loop: Header=BB272_800 Depth=1
	v_and_b32_e32 v15, 7, v6
	v_lshrrev_b32_e32 v26, 3, v18
	v_cmp_gt_u32_e32 vcc, 8, v18
	v_ffbh_u32_e32 v18, v15
	v_min_u32_e32 v18, 32, v18
	v_subrev_u32_e32 v22, 28, v18
	v_sub_u32_e32 v18, 29, v18
	v_lshlrev_b64 v[22:23], v22, v[6:7]
	v_cndmask_b32_e32 v18, v26, v18, vcc
	v_lshl_add_u32 v18, v18, 10, v53
	v_lshlrev_b32_e32 v6, 8, v6
	v_and_b32_e32 v22, 7, v22
	v_and_b32_e32 v18, 0xfc00, v18
	v_cndmask_b32_e32 v15, v15, v22, vcc
	v_and_or_b32 v6, v6, s40, v18
	v_lshl_or_b32 v15, v15, 7, v6
.LBB272_1040:                           ;   in Loop: Header=BB272_800 Depth=1
	s_or_b64 exec, exec, s[26:27]
.LBB272_1041:                           ;   in Loop: Header=BB272_800 Depth=1
	s_or_b64 exec, exec, s[24:25]
.LBB272_1042:                           ;   in Loop: Header=BB272_800 Depth=1
	s_or_b64 exec, exec, s[22:23]
	v_cmp_lt_u64_e32 vcc, s[10:11], v[12:13]
	v_mov_b32_e32 v12, 0
	s_and_saveexec_b64 s[22:23], vcc
	s_cbranch_execz .LBB272_1048
; %bb.1043:                             ;   in Loop: Header=BB272_800 Depth=1
	v_lshrrev_b32_e32 v6, 24, v13
	v_cmp_ne_u32_e32 vcc, s28, v6
	v_bfrev_b32_e32 v12, 1
	s_and_saveexec_b64 s[24:25], vcc
	s_cbranch_execz .LBB272_1047
; %bb.1044:                             ;   in Loop: Header=BB272_800 Depth=1
	v_and_b32_e32 v13, 0x7f, v6
	v_cmp_ne_u32_e32 vcc, s29, v13
	v_mov_b32_e32 v12, 0x7c010000
	s_and_saveexec_b64 s[26:27], vcc
	s_cbranch_execz .LBB272_1046
; %bb.1045:                             ;   in Loop: Header=BB272_800 Depth=1
	v_and_b32_e32 v18, 7, v6
	v_ffbh_u32_e32 v12, v18
	v_min_u32_e32 v23, 32, v12
	v_subrev_u32_e32 v12, 28, v23
	v_lshrrev_b32_e32 v22, 3, v13
	v_cmp_gt_u32_e32 vcc, 8, v13
	v_lshlrev_b64 v[12:13], v12, v[6:7]
	v_sub_u32_e32 v13, 29, v23
	v_cndmask_b32_e32 v13, v22, v13, vcc
	v_lshlrev_b32_e32 v6, 8, v6
	v_lshl_add_u32 v13, v13, 10, v53
	v_and_b32_e32 v12, 7, v12
	v_and_or_b32 v6, v6, s40, v13
	v_cndmask_b32_e32 v12, v18, v12, vcc
	v_lshlrev_b32_e32 v6, 16, v6
	v_lshl_or_b32 v12, v12, 23, v6
.LBB272_1046:                           ;   in Loop: Header=BB272_800 Depth=1
	s_or_b64 exec, exec, s[26:27]
.LBB272_1047:                           ;   in Loop: Header=BB272_800 Depth=1
	s_or_b64 exec, exec, s[24:25]
.LBB272_1048:                           ;   in Loop: Header=BB272_800 Depth=1
	s_or_b64 exec, exec, s[22:23]
	v_or_b32_e32 v4, v1, v4
	s_waitcnt vmcnt(0) lgkmcnt(0)
	v_fma_mixlo_f16 v1, v0, v1, 0 op_sel:[0,1,0] op_sel_hi:[0,1,0]
	v_or_b32_e32 v13, v5, v14
	v_fma_mixlo_f16 v5, v0, v5, 0 op_sel:[0,1,0] op_sel_hi:[0,1,0]
	v_lshlrev_b32_e32 v18, 16, v1
	v_fma_mixlo_f16 v1, v0, v4, 0 op_sel_hi:[0,1,0]
	v_or_b32_e32 v4, v17, v16
	v_or_b32_e32 v15, v12, v15
	v_lshlrev_b32_e32 v6, 16, v5
	v_fma_mixlo_f16 v5, v0, v13, 0 op_sel_hi:[0,1,0]
	v_fma_mixlo_f16 v14, v0, v17, 0 op_sel:[0,1,0] op_sel_hi:[0,1,0]
	v_fma_mixlo_f16 v4, v0, v4, 0 op_sel_hi:[0,1,0]
	v_fma_mixlo_f16 v15, v0, v15, 0 op_sel_hi:[0,1,0]
	v_fma_mixlo_f16 v0, v0, v12, 0 op_sel:[0,1,0] op_sel_hi:[0,1,0]
	v_and_b32_e32 v13, 0xffff, v5
	v_and_b32_e32 v22, 0xffff, v1
	v_lshlrev_b32_e32 v14, 16, v14
	v_and_b32_e32 v16, 0xffff, v4
	v_lshlrev_b32_e32 v0, 16, v0
	v_and_b32_e32 v12, 0xffff, v15
	v_or_b32_e32 v5, v6, v13
	v_or_b32_e32 v1, v18, v22
	;; [unrolled: 1-line block ×4, first 2 shown]
	s_and_saveexec_b64 s[22:23], s[6:7]
	s_cbranch_execz .LBB272_1050
; %bb.1049:                             ;   in Loop: Header=BB272_800 Depth=1
	v_cmp_lt_i32_e32 vcc, v54, v27
	v_cndmask_b32_e32 v1, 0, v22, vcc
	v_cmp_lt_i32_e32 vcc, v56, v27
	v_cndmask_b32_e32 v4, 0, v18, vcc
	v_cmp_lt_i32_e32 vcc, v47, v27
	v_or_b32_e32 v1, v1, v4
	v_cndmask_b32_e32 v4, 0, v13, vcc
	v_cmp_lt_i32_e32 vcc, v46, v27
	v_cndmask_b32_e32 v5, 0, v6, vcc
	v_cmp_lt_i32_e32 vcc, v45, v27
	v_or_b32_e32 v5, v4, v5
	v_cndmask_b32_e32 v4, 0, v16, vcc
	v_cmp_lt_i32_e32 vcc, v44, v27
	v_cndmask_b32_e32 v6, 0, v14, vcc
	v_cmp_lt_i32_e32 vcc, v43, v27
	v_or_b32_e32 v4, v4, v6
	v_cndmask_b32_e32 v6, 0, v12, vcc
	v_cmp_lt_i32_e32 vcc, v19, v27
	v_cndmask_b32_e32 v0, 0, v0, vcc
	v_or_b32_e32 v15, v6, v0
.LBB272_1050:                           ;   in Loop: Header=BB272_800 Depth=1
	s_or_b64 exec, exec, s[22:23]
	;;#ASMSTART
	v_pk_mul_f16 v0, v55, v1;

	;;#ASMEND
	;;#ASMSTART
	v_pk_mul_f16 v1, v40, v5;

	;;#ASMEND
	;; [unrolled: 4-line block ×4, first 2 shown]
	;;#ASMSTART
	v_pk_add_f16 v0, v0, v1;

	;;#ASMEND
	;;#ASMSTART
	v_pk_add_f16 v0, v0, v4;

	;;#ASMEND
	;; [unrolled: 4-line block ×3, first 2 shown]
	v_lshrrev_b32_e32 v1, 16, v0
	v_and_b32_e32 v0, 0xffff, v0
	;;#ASMSTART
	v_cvt_f32_f16 v0, v0;
	;;#ASMEND
	buffer_store_dword v0, off, s[0:3], s32 offset:112 ; 4-byte Folded Spill
	;;#ASMSTART
	v_cvt_f32_f16 v0, v1;
	;;#ASMEND
	buffer_store_dword v0, off, s[0:3], s32 offset:116 ; 4-byte Folded Spill
	flat_load_dwordx2 v[12:13], v[10:11] offset:2560
	s_nop 0
	buffer_load_dword v0, off, s[0:3], s32 offset:64 ; 4-byte Folded Reload
	buffer_load_dword v1, off, s[0:3], s32 offset:68 ; 4-byte Folded Reload
	v_mov_b32_e32 v5, 0
	v_mov_b32_e32 v14, 0
	s_waitcnt vmcnt(0) lgkmcnt(0)
	v_cmp_ne_u16_sdwa s[24:25], v12, v7 src0_sel:BYTE_0 src1_sel:DWORD
	flat_load_dword v4, v[0:1]
	s_and_saveexec_b64 s[22:23], s[24:25]
	s_cbranch_execz .LBB272_1056
; %bb.1051:                             ;   in Loop: Header=BB272_800 Depth=1
	v_cmp_ne_u16_sdwa s[26:27], v12, s28 src0_sel:BYTE_0 src1_sel:DWORD
	v_mov_b32_e32 v14, 0x8000
	s_and_saveexec_b64 s[24:25], s[26:27]
	s_cbranch_execz .LBB272_1055
; %bb.1052:                             ;   in Loop: Header=BB272_800 Depth=1
	v_and_b32_e32 v0, 0x7f, v12
	v_cmp_ne_u32_e32 vcc, s29, v0
	v_mov_b32_e32 v14, 0x7c01
	s_and_saveexec_b64 s[26:27], vcc
	s_cbranch_execz .LBB272_1054
; %bb.1053:                             ;   in Loop: Header=BB272_800 Depth=1
	v_and_b32_e32 v6, 7, v12
	v_lshrrev_b32_e32 v14, 3, v0
	v_cmp_gt_u32_e32 vcc, 8, v0
	v_ffbh_u32_e32 v0, v6
	v_min_u32_e32 v15, 32, v0
	v_subrev_u32_e32 v0, 28, v15
	v_lshlrev_b64 v[0:1], v0, v[12:13]
	v_sub_u32_e32 v1, 29, v15
	v_cndmask_b32_e32 v1, v14, v1, vcc
	v_lshl_add_u32 v1, v1, 10, v53
	v_lshlrev_b32_e32 v14, 8, v12
	v_and_b32_e32 v0, 7, v0
	v_and_b32_e32 v1, 0xfc00, v1
	v_cndmask_b32_e32 v0, v6, v0, vcc
	v_and_or_b32 v1, v14, s40, v1
	v_lshl_or_b32 v14, v0, 7, v1
.LBB272_1054:                           ;   in Loop: Header=BB272_800 Depth=1
	s_or_b64 exec, exec, s[26:27]
.LBB272_1055:                           ;   in Loop: Header=BB272_800 Depth=1
	s_or_b64 exec, exec, s[24:25]
.LBB272_1056:                           ;   in Loop: Header=BB272_800 Depth=1
	s_or_b64 exec, exec, s[22:23]
	v_lshrrev_b16_e32 v6, 8, v12
	v_cmp_ne_u16_e32 vcc, 0, v6
	s_and_saveexec_b64 s[22:23], vcc
	s_cbranch_execz .LBB272_1062
; %bb.1057:                             ;   in Loop: Header=BB272_800 Depth=1
	v_cmp_ne_u16_e32 vcc, s28, v6
	v_bfrev_b32_e32 v5, 1
	s_and_saveexec_b64 s[24:25], vcc
	s_cbranch_execz .LBB272_1061
; %bb.1058:                             ;   in Loop: Header=BB272_800 Depth=1
	v_and_b32_e32 v0, 0x7f, v6
	v_cmp_ne_u32_e32 vcc, s29, v0
	v_mov_b32_e32 v5, 0x7c010000
	s_and_saveexec_b64 s[26:27], vcc
	s_cbranch_execz .LBB272_1060
; %bb.1059:                             ;   in Loop: Header=BB272_800 Depth=1
	v_and_b32_e32 v5, 7, v6
	v_lshrrev_b32_e32 v15, 3, v0
	v_cmp_gt_u32_e32 vcc, 8, v0
	v_ffbh_u32_e32 v0, v5
	v_min_u32_e32 v16, 32, v0
	v_subrev_u32_e32 v0, 28, v16
	v_lshlrev_b64 v[0:1], v0, v[6:7]
	v_sub_u32_e32 v1, 29, v16
	v_cndmask_b32_e32 v1, v15, v1, vcc
	v_lshlrev_b32_e32 v6, 8, v6
	v_lshl_add_u32 v1, v1, 10, v53
	v_and_b32_e32 v0, 7, v0
	v_and_or_b32 v1, v6, s40, v1
	v_cndmask_b32_e32 v0, v5, v0, vcc
	v_lshlrev_b32_e32 v1, 16, v1
	v_lshl_or_b32 v5, v0, 23, v1
.LBB272_1060:                           ;   in Loop: Header=BB272_800 Depth=1
	s_or_b64 exec, exec, s[26:27]
.LBB272_1061:                           ;   in Loop: Header=BB272_800 Depth=1
	s_or_b64 exec, exec, s[24:25]
.LBB272_1062:                           ;   in Loop: Header=BB272_800 Depth=1
	s_or_b64 exec, exec, s[22:23]
	v_lshrrev_b32_e32 v6, 16, v12
	v_cmp_ne_u16_sdwa s[24:25], v6, v7 src0_sel:BYTE_0 src1_sel:DWORD
	v_mov_b32_e32 v15, 0
	v_mov_b32_e32 v16, 0
	s_and_saveexec_b64 s[22:23], s[24:25]
	s_cbranch_execz .LBB272_1068
; %bb.1063:                             ;   in Loop: Header=BB272_800 Depth=1
	v_cmp_ne_u16_sdwa s[26:27], v6, s28 src0_sel:BYTE_0 src1_sel:DWORD
	v_mov_b32_e32 v16, 0x8000
	s_and_saveexec_b64 s[24:25], s[26:27]
	s_cbranch_execz .LBB272_1067
; %bb.1064:                             ;   in Loop: Header=BB272_800 Depth=1
	v_bfe_u32 v0, v12, 16, 7
	v_cmp_ne_u32_e32 vcc, s29, v0
	v_mov_b32_e32 v16, 0x7c01
	s_and_saveexec_b64 s[26:27], vcc
	s_cbranch_execz .LBB272_1066
; %bb.1065:                             ;   in Loop: Header=BB272_800 Depth=1
	v_and_b32_e32 v16, 7, v6
	v_lshrrev_b32_e32 v17, 3, v0
	v_cmp_gt_u32_e32 vcc, 8, v0
	v_ffbh_u32_e32 v0, v16
	v_min_u32_e32 v18, 32, v0
	v_subrev_u32_e32 v0, 28, v18
	v_lshlrev_b64 v[0:1], v0, v[6:7]
	v_sub_u32_e32 v1, 29, v18
	v_cndmask_b32_e32 v1, v17, v1, vcc
	v_lshl_add_u32 v1, v1, 10, v53
	v_lshlrev_b32_e32 v6, 8, v6
	v_and_b32_e32 v0, 7, v0
	v_and_b32_e32 v1, 0xfc00, v1
	v_cndmask_b32_e32 v0, v16, v0, vcc
	v_and_or_b32 v1, v6, s40, v1
	v_lshl_or_b32 v16, v0, 7, v1
.LBB272_1066:                           ;   in Loop: Header=BB272_800 Depth=1
	s_or_b64 exec, exec, s[26:27]
.LBB272_1067:                           ;   in Loop: Header=BB272_800 Depth=1
	s_or_b64 exec, exec, s[24:25]
.LBB272_1068:                           ;   in Loop: Header=BB272_800 Depth=1
	s_or_b64 exec, exec, s[22:23]
	v_cmp_lt_u32_e32 vcc, s11, v12
	s_and_saveexec_b64 s[22:23], vcc
	s_cbranch_execz .LBB272_1074
; %bb.1069:                             ;   in Loop: Header=BB272_800 Depth=1
	v_lshrrev_b32_e32 v6, 24, v12
	v_cmp_ne_u32_e32 vcc, s28, v6
	v_bfrev_b32_e32 v15, 1
	s_and_saveexec_b64 s[24:25], vcc
	s_cbranch_execz .LBB272_1073
; %bb.1070:                             ;   in Loop: Header=BB272_800 Depth=1
	v_and_b32_e32 v0, 0x7f, v6
	v_cmp_ne_u32_e32 vcc, s29, v0
	v_mov_b32_e32 v15, 0x7c010000
	s_and_saveexec_b64 s[26:27], vcc
	s_cbranch_execz .LBB272_1072
; %bb.1071:                             ;   in Loop: Header=BB272_800 Depth=1
	v_and_b32_e32 v15, 7, v6
	v_lshrrev_b32_e32 v17, 3, v0
	v_cmp_gt_u32_e32 vcc, 8, v0
	v_ffbh_u32_e32 v0, v15
	v_min_u32_e32 v18, 32, v0
	v_subrev_u32_e32 v0, 28, v18
	v_lshlrev_b64 v[0:1], v0, v[6:7]
	v_sub_u32_e32 v1, 29, v18
	v_cndmask_b32_e32 v1, v17, v1, vcc
	v_lshlrev_b32_e32 v6, 8, v6
	v_lshl_add_u32 v1, v1, 10, v53
	v_and_b32_e32 v0, 7, v0
	v_and_or_b32 v1, v6, s40, v1
	v_cndmask_b32_e32 v0, v15, v0, vcc
	v_lshlrev_b32_e32 v1, 16, v1
	v_lshl_or_b32 v15, v0, 23, v1
.LBB272_1072:                           ;   in Loop: Header=BB272_800 Depth=1
	s_or_b64 exec, exec, s[26:27]
.LBB272_1073:                           ;   in Loop: Header=BB272_800 Depth=1
	s_or_b64 exec, exec, s[24:25]
.LBB272_1074:                           ;   in Loop: Header=BB272_800 Depth=1
	s_or_b64 exec, exec, s[22:23]
	v_mov_b32_e32 v6, v13
	v_cmp_ne_u16_sdwa s[24:25], v13, v7 src0_sel:BYTE_0 src1_sel:DWORD
	v_mov_b32_e32 v17, 0
	v_mov_b32_e32 v0, 0
	s_and_saveexec_b64 s[22:23], s[24:25]
	s_cbranch_execz .LBB272_1080
; %bb.1075:                             ;   in Loop: Header=BB272_800 Depth=1
	v_cmp_ne_u16_sdwa s[26:27], v13, s28 src0_sel:BYTE_0 src1_sel:DWORD
	v_mov_b32_e32 v0, 0x8000
	s_and_saveexec_b64 s[24:25], s[26:27]
	s_cbranch_execz .LBB272_1079
; %bb.1076:                             ;   in Loop: Header=BB272_800 Depth=1
	v_and_b32_e32 v1, 0x7f, v13
	v_cmp_ne_u32_e32 vcc, s29, v1
	v_mov_b32_e32 v0, 0x7c01
	s_and_saveexec_b64 s[26:27], vcc
	s_cbranch_execz .LBB272_1078
; %bb.1077:                             ;   in Loop: Header=BB272_800 Depth=1
	v_and_b32_e32 v18, 7, v13
	v_ffbh_u32_e32 v0, v18
	v_min_u32_e32 v23, 32, v0
	v_subrev_u32_e32 v0, 28, v23
	v_lshrrev_b32_e32 v22, 3, v1
	v_cmp_gt_u32_e32 vcc, 8, v1
	v_lshlrev_b64 v[0:1], v0, v[6:7]
	v_sub_u32_e32 v1, 29, v23
	v_cndmask_b32_e32 v1, v22, v1, vcc
	v_lshl_add_u32 v1, v1, 10, v53
	v_lshlrev_b32_e32 v22, 8, v13
	v_and_b32_e32 v0, 7, v0
	v_and_b32_e32 v1, 0xfc00, v1
	v_cndmask_b32_e32 v0, v18, v0, vcc
	v_and_or_b32 v1, v22, s40, v1
	v_lshl_or_b32 v0, v0, 7, v1
.LBB272_1078:                           ;   in Loop: Header=BB272_800 Depth=1
	s_or_b64 exec, exec, s[26:27]
.LBB272_1079:                           ;   in Loop: Header=BB272_800 Depth=1
	s_or_b64 exec, exec, s[24:25]
.LBB272_1080:                           ;   in Loop: Header=BB272_800 Depth=1
	s_or_b64 exec, exec, s[22:23]
	v_lshrrev_b16_e32 v6, 8, v6
	v_cmp_ne_u16_e32 vcc, 0, v6
	v_mov_b32_e32 v1, 0
	s_and_saveexec_b64 s[22:23], vcc
	s_cbranch_execz .LBB272_1086
; %bb.1081:                             ;   in Loop: Header=BB272_800 Depth=1
	v_cmp_ne_u16_e32 vcc, s28, v6
	v_bfrev_b32_e32 v1, 1
	s_and_saveexec_b64 s[24:25], vcc
	s_cbranch_execz .LBB272_1085
; %bb.1082:                             ;   in Loop: Header=BB272_800 Depth=1
	v_and_b32_e32 v18, 0x7f, v6
	v_cmp_ne_u32_e32 vcc, s29, v18
	v_mov_b32_e32 v1, 0x7c010000
	s_and_saveexec_b64 s[26:27], vcc
	s_cbranch_execz .LBB272_1084
; %bb.1083:                             ;   in Loop: Header=BB272_800 Depth=1
	v_and_b32_e32 v1, 7, v6
	v_lshrrev_b32_e32 v26, 3, v18
	v_cmp_gt_u32_e32 vcc, 8, v18
	v_ffbh_u32_e32 v18, v1
	v_min_u32_e32 v18, 32, v18
	v_subrev_u32_e32 v22, 28, v18
	v_sub_u32_e32 v18, 29, v18
	v_lshlrev_b64 v[22:23], v22, v[6:7]
	v_cndmask_b32_e32 v18, v26, v18, vcc
	v_lshlrev_b32_e32 v6, 8, v6
	v_lshl_add_u32 v18, v18, 10, v53
	v_and_b32_e32 v22, 7, v22
	v_and_or_b32 v6, v6, s40, v18
	v_cndmask_b32_e32 v1, v1, v22, vcc
	v_lshlrev_b32_e32 v6, 16, v6
	v_lshl_or_b32 v1, v1, 23, v6
.LBB272_1084:                           ;   in Loop: Header=BB272_800 Depth=1
	s_or_b64 exec, exec, s[26:27]
.LBB272_1085:                           ;   in Loop: Header=BB272_800 Depth=1
	s_or_b64 exec, exec, s[24:25]
.LBB272_1086:                           ;   in Loop: Header=BB272_800 Depth=1
	s_or_b64 exec, exec, s[22:23]
	v_lshrrev_b32_e32 v6, 16, v13
	v_cmp_ne_u16_sdwa s[24:25], v6, v7 src0_sel:BYTE_0 src1_sel:DWORD
	s_and_saveexec_b64 s[22:23], s[24:25]
	s_cbranch_execz .LBB272_1092
; %bb.1087:                             ;   in Loop: Header=BB272_800 Depth=1
	v_cmp_ne_u16_sdwa s[26:27], v6, s28 src0_sel:BYTE_0 src1_sel:DWORD
	v_mov_b32_e32 v17, 0x8000
	s_and_saveexec_b64 s[24:25], s[26:27]
	s_cbranch_execz .LBB272_1091
; %bb.1088:                             ;   in Loop: Header=BB272_800 Depth=1
	v_bfe_u32 v18, v13, 16, 7
	v_cmp_ne_u32_e32 vcc, s29, v18
	v_mov_b32_e32 v17, 0x7c01
	s_and_saveexec_b64 s[26:27], vcc
	s_cbranch_execz .LBB272_1090
; %bb.1089:                             ;   in Loop: Header=BB272_800 Depth=1
	v_and_b32_e32 v22, 7, v6
	v_ffbh_u32_e32 v17, v22
	v_min_u32_e32 v26, 32, v17
	v_subrev_u32_e32 v17, 28, v26
	v_lshrrev_b32_e32 v23, 3, v18
	v_cmp_gt_u32_e32 vcc, 8, v18
	v_lshlrev_b64 v[17:18], v17, v[6:7]
	v_sub_u32_e32 v18, 29, v26
	v_cndmask_b32_e32 v18, v23, v18, vcc
	v_lshl_add_u32 v18, v18, 10, v53
	v_lshlrev_b32_e32 v6, 8, v6
	v_and_b32_e32 v17, 7, v17
	v_and_b32_e32 v18, 0xfc00, v18
	v_cndmask_b32_e32 v17, v22, v17, vcc
	v_and_or_b32 v6, v6, s40, v18
	v_lshl_or_b32 v17, v17, 7, v6
.LBB272_1090:                           ;   in Loop: Header=BB272_800 Depth=1
	s_or_b64 exec, exec, s[26:27]
.LBB272_1091:                           ;   in Loop: Header=BB272_800 Depth=1
	s_or_b64 exec, exec, s[24:25]
.LBB272_1092:                           ;   in Loop: Header=BB272_800 Depth=1
	s_or_b64 exec, exec, s[22:23]
	v_cmp_lt_u64_e32 vcc, s[10:11], v[12:13]
	v_mov_b32_e32 v12, 0
	s_and_saveexec_b64 s[22:23], vcc
	s_cbranch_execz .LBB272_1098
; %bb.1093:                             ;   in Loop: Header=BB272_800 Depth=1
	v_lshrrev_b32_e32 v6, 24, v13
	v_cmp_ne_u32_e32 vcc, s28, v6
	v_bfrev_b32_e32 v12, 1
	s_and_saveexec_b64 s[24:25], vcc
	s_cbranch_execz .LBB272_1097
; %bb.1094:                             ;   in Loop: Header=BB272_800 Depth=1
	v_and_b32_e32 v13, 0x7f, v6
	v_cmp_ne_u32_e32 vcc, s29, v13
	v_mov_b32_e32 v12, 0x7c010000
	s_and_saveexec_b64 s[26:27], vcc
	s_cbranch_execz .LBB272_1096
; %bb.1095:                             ;   in Loop: Header=BB272_800 Depth=1
	v_and_b32_e32 v18, 7, v6
	v_ffbh_u32_e32 v12, v18
	v_min_u32_e32 v23, 32, v12
	v_subrev_u32_e32 v12, 28, v23
	v_lshrrev_b32_e32 v22, 3, v13
	v_cmp_gt_u32_e32 vcc, 8, v13
	v_lshlrev_b64 v[12:13], v12, v[6:7]
	v_sub_u32_e32 v13, 29, v23
	v_cndmask_b32_e32 v13, v22, v13, vcc
	v_lshlrev_b32_e32 v6, 8, v6
	v_lshl_add_u32 v13, v13, 10, v53
	v_and_b32_e32 v12, 7, v12
	v_and_or_b32 v6, v6, s40, v13
	v_cndmask_b32_e32 v12, v18, v12, vcc
	v_lshlrev_b32_e32 v6, 16, v6
	v_lshl_or_b32 v12, v12, 23, v6
.LBB272_1096:                           ;   in Loop: Header=BB272_800 Depth=1
	s_or_b64 exec, exec, s[26:27]
.LBB272_1097:                           ;   in Loop: Header=BB272_800 Depth=1
	s_or_b64 exec, exec, s[24:25]
.LBB272_1098:                           ;   in Loop: Header=BB272_800 Depth=1
	s_or_b64 exec, exec, s[22:23]
	v_or_b32_e32 v6, v15, v16
	v_or_b32_e32 v16, v5, v14
	s_waitcnt vmcnt(0) lgkmcnt(0)
	v_fma_mixlo_f16 v5, v4, v5, 0 op_sel:[0,1,0] op_sel_hi:[0,1,0]
	v_or_b32_e32 v0, v1, v0
	v_or_b32_e32 v17, v12, v17
	v_fma_mixlo_f16 v13, v4, v15, 0 op_sel:[0,1,0] op_sel_hi:[0,1,0]
	v_fma_mixlo_f16 v6, v4, v6, 0 op_sel_hi:[0,1,0]
	v_lshlrev_b32_e32 v14, 16, v5
	v_fma_mixlo_f16 v5, v4, v16, 0 op_sel_hi:[0,1,0]
	v_fma_mixlo_f16 v1, v4, v1, 0 op_sel:[0,1,0] op_sel_hi:[0,1,0]
	v_fma_mixlo_f16 v0, v4, v0, 0 op_sel_hi:[0,1,0]
	v_fma_mixlo_f16 v17, v4, v17, 0 op_sel_hi:[0,1,0]
	v_fma_mixlo_f16 v4, v4, v12, 0 op_sel:[0,1,0] op_sel_hi:[0,1,0]
	v_lshlrev_b32_e32 v13, 16, v13
	v_and_b32_e32 v15, 0xffff, v6
	v_and_b32_e32 v18, 0xffff, v5
	v_lshlrev_b32_e32 v1, 16, v1
	v_and_b32_e32 v16, 0xffff, v0
	v_lshlrev_b32_e32 v4, 16, v4
	v_and_b32_e32 v12, 0xffff, v17
	v_or_b32_e32 v6, v13, v15
	v_or_b32_e32 v5, v14, v18
	;; [unrolled: 1-line block ×4, first 2 shown]
	s_and_saveexec_b64 s[22:23], s[6:7]
	s_cbranch_execz .LBB272_1100
; %bb.1099:                             ;   in Loop: Header=BB272_800 Depth=1
	v_cmp_lt_i32_e32 vcc, v54, v27
	v_cndmask_b32_e32 v0, 0, v18, vcc
	v_cmp_lt_i32_e32 vcc, v56, v27
	v_cndmask_b32_e32 v5, 0, v14, vcc
	v_cmp_lt_i32_e32 vcc, v47, v27
	v_or_b32_e32 v5, v0, v5
	v_cndmask_b32_e32 v0, 0, v15, vcc
	v_cmp_lt_i32_e32 vcc, v46, v27
	v_cndmask_b32_e32 v6, 0, v13, vcc
	v_cmp_lt_i32_e32 vcc, v45, v27
	v_or_b32_e32 v6, v0, v6
	;; [unrolled: 5-line block ×3, first 2 shown]
	v_cndmask_b32_e32 v1, 0, v12, vcc
	v_cmp_lt_i32_e32 vcc, v19, v27
	v_cndmask_b32_e32 v4, 0, v4, vcc
	v_or_b32_e32 v17, v1, v4
.LBB272_1100:                           ;   in Loop: Header=BB272_800 Depth=1
	s_or_b64 exec, exec, s[22:23]
	;;#ASMSTART
	v_pk_mul_f16 v1, v55, v5;

	;;#ASMEND
	;;#ASMSTART
	v_pk_mul_f16 v4, v40, v6;

	;;#ASMEND
	;; [unrolled: 4-line block ×4, first 2 shown]
	;;#ASMSTART
	v_pk_add_f16 v1, v1, v4;

	;;#ASMEND
	;;#ASMSTART
	v_pk_add_f16 v0, v1, v0;

	;;#ASMEND
	;; [unrolled: 4-line block ×3, first 2 shown]
	v_lshrrev_b32_e32 v1, 16, v0
	v_and_b32_e32 v0, 0xffff, v0
	;;#ASMSTART
	v_cvt_f32_f16 v0, v0;
	;;#ASMEND
	buffer_store_dword v0, off, s[0:3], s32 offset:120 ; 4-byte Folded Spill
	;;#ASMSTART
	v_cvt_f32_f16 v0, v1;
	;;#ASMEND
	buffer_store_dword v0, off, s[0:3], s32 offset:124 ; 4-byte Folded Spill
	flat_load_dwordx2 v[12:13], v[10:11] offset:3072
	s_nop 0
	buffer_load_dword v0, off, s[0:3], s32 offset:64 ; 4-byte Folded Reload
	buffer_load_dword v1, off, s[0:3], s32 offset:68 ; 4-byte Folded Reload
	v_mov_b32_e32 v5, 0
	v_mov_b32_e32 v14, 0
	s_waitcnt vmcnt(0) lgkmcnt(0)
	v_cmp_ne_u16_sdwa s[24:25], v12, v7 src0_sel:BYTE_0 src1_sel:DWORD
	flat_load_dword v4, v[0:1]
	s_and_saveexec_b64 s[22:23], s[24:25]
	s_cbranch_execz .LBB272_1106
; %bb.1101:                             ;   in Loop: Header=BB272_800 Depth=1
	v_cmp_ne_u16_sdwa s[26:27], v12, s28 src0_sel:BYTE_0 src1_sel:DWORD
	v_mov_b32_e32 v14, 0x8000
	s_and_saveexec_b64 s[24:25], s[26:27]
	s_cbranch_execz .LBB272_1105
; %bb.1102:                             ;   in Loop: Header=BB272_800 Depth=1
	v_and_b32_e32 v0, 0x7f, v12
	v_cmp_ne_u32_e32 vcc, s29, v0
	v_mov_b32_e32 v14, 0x7c01
	s_and_saveexec_b64 s[26:27], vcc
	s_cbranch_execz .LBB272_1104
; %bb.1103:                             ;   in Loop: Header=BB272_800 Depth=1
	v_and_b32_e32 v6, 7, v12
	v_lshrrev_b32_e32 v14, 3, v0
	v_cmp_gt_u32_e32 vcc, 8, v0
	v_ffbh_u32_e32 v0, v6
	v_min_u32_e32 v15, 32, v0
	v_subrev_u32_e32 v0, 28, v15
	v_lshlrev_b64 v[0:1], v0, v[12:13]
	v_sub_u32_e32 v1, 29, v15
	v_cndmask_b32_e32 v1, v14, v1, vcc
	v_lshl_add_u32 v1, v1, 10, v53
	v_lshlrev_b32_e32 v14, 8, v12
	v_and_b32_e32 v0, 7, v0
	v_and_b32_e32 v1, 0xfc00, v1
	v_cndmask_b32_e32 v0, v6, v0, vcc
	v_and_or_b32 v1, v14, s40, v1
	v_lshl_or_b32 v14, v0, 7, v1
.LBB272_1104:                           ;   in Loop: Header=BB272_800 Depth=1
	s_or_b64 exec, exec, s[26:27]
.LBB272_1105:                           ;   in Loop: Header=BB272_800 Depth=1
	s_or_b64 exec, exec, s[24:25]
.LBB272_1106:                           ;   in Loop: Header=BB272_800 Depth=1
	s_or_b64 exec, exec, s[22:23]
	v_lshrrev_b16_e32 v6, 8, v12
	v_cmp_ne_u16_e32 vcc, 0, v6
	s_and_saveexec_b64 s[22:23], vcc
	s_cbranch_execz .LBB272_1112
; %bb.1107:                             ;   in Loop: Header=BB272_800 Depth=1
	v_cmp_ne_u16_e32 vcc, s28, v6
	v_bfrev_b32_e32 v5, 1
	s_and_saveexec_b64 s[24:25], vcc
	s_cbranch_execz .LBB272_1111
; %bb.1108:                             ;   in Loop: Header=BB272_800 Depth=1
	v_and_b32_e32 v0, 0x7f, v6
	v_cmp_ne_u32_e32 vcc, s29, v0
	v_mov_b32_e32 v5, 0x7c010000
	s_and_saveexec_b64 s[26:27], vcc
	s_cbranch_execz .LBB272_1110
; %bb.1109:                             ;   in Loop: Header=BB272_800 Depth=1
	v_and_b32_e32 v5, 7, v6
	v_lshrrev_b32_e32 v15, 3, v0
	v_cmp_gt_u32_e32 vcc, 8, v0
	v_ffbh_u32_e32 v0, v5
	v_min_u32_e32 v16, 32, v0
	v_subrev_u32_e32 v0, 28, v16
	v_lshlrev_b64 v[0:1], v0, v[6:7]
	v_sub_u32_e32 v1, 29, v16
	v_cndmask_b32_e32 v1, v15, v1, vcc
	v_lshlrev_b32_e32 v6, 8, v6
	v_lshl_add_u32 v1, v1, 10, v53
	v_and_b32_e32 v0, 7, v0
	v_and_or_b32 v1, v6, s40, v1
	v_cndmask_b32_e32 v0, v5, v0, vcc
	v_lshlrev_b32_e32 v1, 16, v1
	v_lshl_or_b32 v5, v0, 23, v1
.LBB272_1110:                           ;   in Loop: Header=BB272_800 Depth=1
	s_or_b64 exec, exec, s[26:27]
.LBB272_1111:                           ;   in Loop: Header=BB272_800 Depth=1
	s_or_b64 exec, exec, s[24:25]
.LBB272_1112:                           ;   in Loop: Header=BB272_800 Depth=1
	s_or_b64 exec, exec, s[22:23]
	v_lshrrev_b32_e32 v6, 16, v12
	v_cmp_ne_u16_sdwa s[24:25], v6, v7 src0_sel:BYTE_0 src1_sel:DWORD
	v_mov_b32_e32 v15, 0
	v_mov_b32_e32 v16, 0
	s_and_saveexec_b64 s[22:23], s[24:25]
	s_cbranch_execz .LBB272_1118
; %bb.1113:                             ;   in Loop: Header=BB272_800 Depth=1
	v_cmp_ne_u16_sdwa s[26:27], v6, s28 src0_sel:BYTE_0 src1_sel:DWORD
	v_mov_b32_e32 v16, 0x8000
	s_and_saveexec_b64 s[24:25], s[26:27]
	s_cbranch_execz .LBB272_1117
; %bb.1114:                             ;   in Loop: Header=BB272_800 Depth=1
	v_bfe_u32 v0, v12, 16, 7
	v_cmp_ne_u32_e32 vcc, s29, v0
	v_mov_b32_e32 v16, 0x7c01
	s_and_saveexec_b64 s[26:27], vcc
	s_cbranch_execz .LBB272_1116
; %bb.1115:                             ;   in Loop: Header=BB272_800 Depth=1
	v_and_b32_e32 v16, 7, v6
	v_lshrrev_b32_e32 v17, 3, v0
	v_cmp_gt_u32_e32 vcc, 8, v0
	v_ffbh_u32_e32 v0, v16
	v_min_u32_e32 v18, 32, v0
	v_subrev_u32_e32 v0, 28, v18
	v_lshlrev_b64 v[0:1], v0, v[6:7]
	v_sub_u32_e32 v1, 29, v18
	v_cndmask_b32_e32 v1, v17, v1, vcc
	v_lshl_add_u32 v1, v1, 10, v53
	v_lshlrev_b32_e32 v6, 8, v6
	v_and_b32_e32 v0, 7, v0
	v_and_b32_e32 v1, 0xfc00, v1
	v_cndmask_b32_e32 v0, v16, v0, vcc
	v_and_or_b32 v1, v6, s40, v1
	v_lshl_or_b32 v16, v0, 7, v1
.LBB272_1116:                           ;   in Loop: Header=BB272_800 Depth=1
	s_or_b64 exec, exec, s[26:27]
.LBB272_1117:                           ;   in Loop: Header=BB272_800 Depth=1
	s_or_b64 exec, exec, s[24:25]
.LBB272_1118:                           ;   in Loop: Header=BB272_800 Depth=1
	s_or_b64 exec, exec, s[22:23]
	v_cmp_lt_u32_e32 vcc, s11, v12
	s_and_saveexec_b64 s[22:23], vcc
	s_cbranch_execz .LBB272_1124
; %bb.1119:                             ;   in Loop: Header=BB272_800 Depth=1
	v_lshrrev_b32_e32 v6, 24, v12
	v_cmp_ne_u32_e32 vcc, s28, v6
	v_bfrev_b32_e32 v15, 1
	s_and_saveexec_b64 s[24:25], vcc
	s_cbranch_execz .LBB272_1123
; %bb.1120:                             ;   in Loop: Header=BB272_800 Depth=1
	v_and_b32_e32 v0, 0x7f, v6
	v_cmp_ne_u32_e32 vcc, s29, v0
	v_mov_b32_e32 v15, 0x7c010000
	s_and_saveexec_b64 s[26:27], vcc
	s_cbranch_execz .LBB272_1122
; %bb.1121:                             ;   in Loop: Header=BB272_800 Depth=1
	v_and_b32_e32 v15, 7, v6
	v_lshrrev_b32_e32 v17, 3, v0
	v_cmp_gt_u32_e32 vcc, 8, v0
	v_ffbh_u32_e32 v0, v15
	v_min_u32_e32 v18, 32, v0
	v_subrev_u32_e32 v0, 28, v18
	v_lshlrev_b64 v[0:1], v0, v[6:7]
	v_sub_u32_e32 v1, 29, v18
	v_cndmask_b32_e32 v1, v17, v1, vcc
	v_lshlrev_b32_e32 v6, 8, v6
	v_lshl_add_u32 v1, v1, 10, v53
	v_and_b32_e32 v0, 7, v0
	v_and_or_b32 v1, v6, s40, v1
	v_cndmask_b32_e32 v0, v15, v0, vcc
	v_lshlrev_b32_e32 v1, 16, v1
	v_lshl_or_b32 v15, v0, 23, v1
.LBB272_1122:                           ;   in Loop: Header=BB272_800 Depth=1
	s_or_b64 exec, exec, s[26:27]
.LBB272_1123:                           ;   in Loop: Header=BB272_800 Depth=1
	s_or_b64 exec, exec, s[24:25]
.LBB272_1124:                           ;   in Loop: Header=BB272_800 Depth=1
	s_or_b64 exec, exec, s[22:23]
	v_mov_b32_e32 v6, v13
	v_cmp_ne_u16_sdwa s[24:25], v13, v7 src0_sel:BYTE_0 src1_sel:DWORD
	v_mov_b32_e32 v17, 0
	v_mov_b32_e32 v0, 0
	s_and_saveexec_b64 s[22:23], s[24:25]
	s_cbranch_execz .LBB272_1130
; %bb.1125:                             ;   in Loop: Header=BB272_800 Depth=1
	v_cmp_ne_u16_sdwa s[26:27], v13, s28 src0_sel:BYTE_0 src1_sel:DWORD
	v_mov_b32_e32 v0, 0x8000
	s_and_saveexec_b64 s[24:25], s[26:27]
	s_cbranch_execz .LBB272_1129
; %bb.1126:                             ;   in Loop: Header=BB272_800 Depth=1
	v_and_b32_e32 v1, 0x7f, v13
	v_cmp_ne_u32_e32 vcc, s29, v1
	v_mov_b32_e32 v0, 0x7c01
	s_and_saveexec_b64 s[26:27], vcc
	s_cbranch_execz .LBB272_1128
; %bb.1127:                             ;   in Loop: Header=BB272_800 Depth=1
	v_and_b32_e32 v18, 7, v13
	v_ffbh_u32_e32 v0, v18
	v_min_u32_e32 v23, 32, v0
	v_subrev_u32_e32 v0, 28, v23
	v_lshrrev_b32_e32 v22, 3, v1
	v_cmp_gt_u32_e32 vcc, 8, v1
	v_lshlrev_b64 v[0:1], v0, v[6:7]
	v_sub_u32_e32 v1, 29, v23
	v_cndmask_b32_e32 v1, v22, v1, vcc
	v_lshl_add_u32 v1, v1, 10, v53
	v_lshlrev_b32_e32 v22, 8, v13
	v_and_b32_e32 v0, 7, v0
	v_and_b32_e32 v1, 0xfc00, v1
	v_cndmask_b32_e32 v0, v18, v0, vcc
	v_and_or_b32 v1, v22, s40, v1
	v_lshl_or_b32 v0, v0, 7, v1
.LBB272_1128:                           ;   in Loop: Header=BB272_800 Depth=1
	s_or_b64 exec, exec, s[26:27]
.LBB272_1129:                           ;   in Loop: Header=BB272_800 Depth=1
	s_or_b64 exec, exec, s[24:25]
.LBB272_1130:                           ;   in Loop: Header=BB272_800 Depth=1
	s_or_b64 exec, exec, s[22:23]
	v_lshrrev_b16_e32 v6, 8, v6
	v_cmp_ne_u16_e32 vcc, 0, v6
	v_mov_b32_e32 v1, 0
	s_and_saveexec_b64 s[22:23], vcc
	s_cbranch_execz .LBB272_1136
; %bb.1131:                             ;   in Loop: Header=BB272_800 Depth=1
	v_cmp_ne_u16_e32 vcc, s28, v6
	v_bfrev_b32_e32 v1, 1
	s_and_saveexec_b64 s[24:25], vcc
	s_cbranch_execz .LBB272_1135
; %bb.1132:                             ;   in Loop: Header=BB272_800 Depth=1
	v_and_b32_e32 v18, 0x7f, v6
	v_cmp_ne_u32_e32 vcc, s29, v18
	v_mov_b32_e32 v1, 0x7c010000
	s_and_saveexec_b64 s[26:27], vcc
	s_cbranch_execz .LBB272_1134
; %bb.1133:                             ;   in Loop: Header=BB272_800 Depth=1
	v_and_b32_e32 v1, 7, v6
	v_lshrrev_b32_e32 v26, 3, v18
	v_cmp_gt_u32_e32 vcc, 8, v18
	v_ffbh_u32_e32 v18, v1
	v_min_u32_e32 v18, 32, v18
	v_subrev_u32_e32 v22, 28, v18
	v_sub_u32_e32 v18, 29, v18
	v_lshlrev_b64 v[22:23], v22, v[6:7]
	v_cndmask_b32_e32 v18, v26, v18, vcc
	v_lshlrev_b32_e32 v6, 8, v6
	v_lshl_add_u32 v18, v18, 10, v53
	v_and_b32_e32 v22, 7, v22
	v_and_or_b32 v6, v6, s40, v18
	v_cndmask_b32_e32 v1, v1, v22, vcc
	v_lshlrev_b32_e32 v6, 16, v6
	v_lshl_or_b32 v1, v1, 23, v6
.LBB272_1134:                           ;   in Loop: Header=BB272_800 Depth=1
	s_or_b64 exec, exec, s[26:27]
.LBB272_1135:                           ;   in Loop: Header=BB272_800 Depth=1
	s_or_b64 exec, exec, s[24:25]
.LBB272_1136:                           ;   in Loop: Header=BB272_800 Depth=1
	s_or_b64 exec, exec, s[22:23]
	v_lshrrev_b32_e32 v6, 16, v13
	v_cmp_ne_u16_sdwa s[24:25], v6, v7 src0_sel:BYTE_0 src1_sel:DWORD
	s_and_saveexec_b64 s[22:23], s[24:25]
	s_cbranch_execz .LBB272_1142
; %bb.1137:                             ;   in Loop: Header=BB272_800 Depth=1
	v_cmp_ne_u16_sdwa s[26:27], v6, s28 src0_sel:BYTE_0 src1_sel:DWORD
	v_mov_b32_e32 v17, 0x8000
	s_and_saveexec_b64 s[24:25], s[26:27]
	s_cbranch_execz .LBB272_1141
; %bb.1138:                             ;   in Loop: Header=BB272_800 Depth=1
	v_bfe_u32 v18, v13, 16, 7
	v_cmp_ne_u32_e32 vcc, s29, v18
	v_mov_b32_e32 v17, 0x7c01
	s_and_saveexec_b64 s[26:27], vcc
	s_cbranch_execz .LBB272_1140
; %bb.1139:                             ;   in Loop: Header=BB272_800 Depth=1
	v_and_b32_e32 v22, 7, v6
	v_ffbh_u32_e32 v17, v22
	v_min_u32_e32 v26, 32, v17
	v_subrev_u32_e32 v17, 28, v26
	v_lshrrev_b32_e32 v23, 3, v18
	v_cmp_gt_u32_e32 vcc, 8, v18
	v_lshlrev_b64 v[17:18], v17, v[6:7]
	v_sub_u32_e32 v18, 29, v26
	v_cndmask_b32_e32 v18, v23, v18, vcc
	v_lshl_add_u32 v18, v18, 10, v53
	v_lshlrev_b32_e32 v6, 8, v6
	v_and_b32_e32 v17, 7, v17
	v_and_b32_e32 v18, 0xfc00, v18
	v_cndmask_b32_e32 v17, v22, v17, vcc
	v_and_or_b32 v6, v6, s40, v18
	v_lshl_or_b32 v17, v17, 7, v6
.LBB272_1140:                           ;   in Loop: Header=BB272_800 Depth=1
	s_or_b64 exec, exec, s[26:27]
.LBB272_1141:                           ;   in Loop: Header=BB272_800 Depth=1
	s_or_b64 exec, exec, s[24:25]
.LBB272_1142:                           ;   in Loop: Header=BB272_800 Depth=1
	s_or_b64 exec, exec, s[22:23]
	v_cmp_lt_u64_e32 vcc, s[10:11], v[12:13]
	v_mov_b32_e32 v12, 0
	s_and_saveexec_b64 s[22:23], vcc
	s_cbranch_execz .LBB272_1148
; %bb.1143:                             ;   in Loop: Header=BB272_800 Depth=1
	v_lshrrev_b32_e32 v6, 24, v13
	v_cmp_ne_u32_e32 vcc, s28, v6
	v_bfrev_b32_e32 v12, 1
	s_and_saveexec_b64 s[24:25], vcc
	s_cbranch_execz .LBB272_1147
; %bb.1144:                             ;   in Loop: Header=BB272_800 Depth=1
	v_and_b32_e32 v13, 0x7f, v6
	v_cmp_ne_u32_e32 vcc, s29, v13
	v_mov_b32_e32 v12, 0x7c010000
	s_and_saveexec_b64 s[26:27], vcc
	s_cbranch_execz .LBB272_1146
; %bb.1145:                             ;   in Loop: Header=BB272_800 Depth=1
	v_and_b32_e32 v18, 7, v6
	v_ffbh_u32_e32 v12, v18
	v_min_u32_e32 v23, 32, v12
	v_subrev_u32_e32 v12, 28, v23
	v_lshrrev_b32_e32 v22, 3, v13
	v_cmp_gt_u32_e32 vcc, 8, v13
	v_lshlrev_b64 v[12:13], v12, v[6:7]
	v_sub_u32_e32 v13, 29, v23
	v_cndmask_b32_e32 v13, v22, v13, vcc
	v_lshlrev_b32_e32 v6, 8, v6
	v_lshl_add_u32 v13, v13, 10, v53
	v_and_b32_e32 v12, 7, v12
	v_and_or_b32 v6, v6, s40, v13
	v_cndmask_b32_e32 v12, v18, v12, vcc
	v_lshlrev_b32_e32 v6, 16, v6
	v_lshl_or_b32 v12, v12, 23, v6
.LBB272_1146:                           ;   in Loop: Header=BB272_800 Depth=1
	s_or_b64 exec, exec, s[26:27]
.LBB272_1147:                           ;   in Loop: Header=BB272_800 Depth=1
	s_or_b64 exec, exec, s[24:25]
.LBB272_1148:                           ;   in Loop: Header=BB272_800 Depth=1
	s_or_b64 exec, exec, s[22:23]
	v_or_b32_e32 v6, v15, v16
	v_or_b32_e32 v16, v5, v14
	s_waitcnt vmcnt(0) lgkmcnt(0)
	v_fma_mixlo_f16 v5, v4, v5, 0 op_sel:[0,1,0] op_sel_hi:[0,1,0]
	v_or_b32_e32 v0, v1, v0
	v_or_b32_e32 v17, v12, v17
	v_fma_mixlo_f16 v13, v4, v15, 0 op_sel:[0,1,0] op_sel_hi:[0,1,0]
	v_fma_mixlo_f16 v6, v4, v6, 0 op_sel_hi:[0,1,0]
	v_lshlrev_b32_e32 v14, 16, v5
	v_fma_mixlo_f16 v5, v4, v16, 0 op_sel_hi:[0,1,0]
	v_fma_mixlo_f16 v1, v4, v1, 0 op_sel:[0,1,0] op_sel_hi:[0,1,0]
	v_fma_mixlo_f16 v0, v4, v0, 0 op_sel_hi:[0,1,0]
	v_fma_mixlo_f16 v17, v4, v17, 0 op_sel_hi:[0,1,0]
	v_fma_mixlo_f16 v4, v4, v12, 0 op_sel:[0,1,0] op_sel_hi:[0,1,0]
	v_lshlrev_b32_e32 v13, 16, v13
	v_and_b32_e32 v15, 0xffff, v6
	v_and_b32_e32 v18, 0xffff, v5
	v_lshlrev_b32_e32 v1, 16, v1
	v_and_b32_e32 v16, 0xffff, v0
	v_lshlrev_b32_e32 v4, 16, v4
	v_and_b32_e32 v12, 0xffff, v17
	v_or_b32_e32 v6, v13, v15
	v_or_b32_e32 v5, v14, v18
	;; [unrolled: 1-line block ×4, first 2 shown]
	s_and_saveexec_b64 s[22:23], s[6:7]
	s_cbranch_execz .LBB272_1150
; %bb.1149:                             ;   in Loop: Header=BB272_800 Depth=1
	v_cmp_lt_i32_e32 vcc, v54, v27
	v_cndmask_b32_e32 v0, 0, v18, vcc
	v_cmp_lt_i32_e32 vcc, v56, v27
	v_cndmask_b32_e32 v5, 0, v14, vcc
	v_cmp_lt_i32_e32 vcc, v47, v27
	v_or_b32_e32 v5, v0, v5
	v_cndmask_b32_e32 v0, 0, v15, vcc
	v_cmp_lt_i32_e32 vcc, v46, v27
	v_cndmask_b32_e32 v6, 0, v13, vcc
	v_cmp_lt_i32_e32 vcc, v45, v27
	v_or_b32_e32 v6, v0, v6
	;; [unrolled: 5-line block ×3, first 2 shown]
	v_cndmask_b32_e32 v1, 0, v12, vcc
	v_cmp_lt_i32_e32 vcc, v19, v27
	v_cndmask_b32_e32 v4, 0, v4, vcc
	v_or_b32_e32 v17, v1, v4
.LBB272_1150:                           ;   in Loop: Header=BB272_800 Depth=1
	s_or_b64 exec, exec, s[22:23]
	;;#ASMSTART
	v_pk_mul_f16 v1, v55, v5;

	;;#ASMEND
	;;#ASMSTART
	v_pk_mul_f16 v4, v40, v6;

	;;#ASMEND
	;; [unrolled: 4-line block ×4, first 2 shown]
	;;#ASMSTART
	v_pk_add_f16 v1, v1, v4;

	;;#ASMEND
	;;#ASMSTART
	v_pk_add_f16 v0, v1, v0;

	;;#ASMEND
	;;#ASMSTART
	v_pk_add_f16 v0, v0, v5;

	;;#ASMEND
	v_lshrrev_b32_e32 v1, 16, v0
	v_and_b32_e32 v0, 0xffff, v0
	;;#ASMSTART
	v_cvt_f32_f16 v0, v0;
	;;#ASMEND
	buffer_store_dword v0, off, s[0:3], s32 offset:128 ; 4-byte Folded Spill
	;;#ASMSTART
	v_cvt_f32_f16 v0, v1;
	;;#ASMEND
	buffer_store_dword v0, off, s[0:3], s32 offset:132 ; 4-byte Folded Spill
	flat_load_dwordx2 v[12:13], v[10:11] offset:3584
	s_nop 0
	buffer_load_dword v0, off, s[0:3], s32 offset:64 ; 4-byte Folded Reload
	buffer_load_dword v1, off, s[0:3], s32 offset:68 ; 4-byte Folded Reload
	v_mov_b32_e32 v5, 0
	v_mov_b32_e32 v15, 0
	s_waitcnt vmcnt(0) lgkmcnt(0)
	v_cmp_ne_u16_sdwa s[24:25], v12, v7 src0_sel:BYTE_0 src1_sel:DWORD
	flat_load_dword v4, v[0:1]
	s_and_saveexec_b64 s[22:23], s[24:25]
	s_cbranch_execz .LBB272_1156
; %bb.1151:                             ;   in Loop: Header=BB272_800 Depth=1
	v_cmp_ne_u16_sdwa s[26:27], v12, s28 src0_sel:BYTE_0 src1_sel:DWORD
	v_mov_b32_e32 v15, 0x8000
	s_and_saveexec_b64 s[24:25], s[26:27]
	s_cbranch_execz .LBB272_1155
; %bb.1152:                             ;   in Loop: Header=BB272_800 Depth=1
	v_and_b32_e32 v0, 0x7f, v12
	v_cmp_ne_u32_e32 vcc, s29, v0
	v_mov_b32_e32 v15, 0x7c01
	s_and_saveexec_b64 s[26:27], vcc
	s_cbranch_execz .LBB272_1154
; %bb.1153:                             ;   in Loop: Header=BB272_800 Depth=1
	v_and_b32_e32 v6, 7, v12
	v_lshrrev_b32_e32 v14, 3, v0
	v_cmp_gt_u32_e32 vcc, 8, v0
	v_ffbh_u32_e32 v0, v6
	v_min_u32_e32 v15, 32, v0
	v_subrev_u32_e32 v0, 28, v15
	v_lshlrev_b64 v[0:1], v0, v[12:13]
	v_sub_u32_e32 v1, 29, v15
	v_cndmask_b32_e32 v1, v14, v1, vcc
	v_lshl_add_u32 v1, v1, 10, v53
	v_lshlrev_b32_e32 v14, 8, v12
	v_and_b32_e32 v0, 7, v0
	v_and_b32_e32 v1, 0xfc00, v1
	v_cndmask_b32_e32 v0, v6, v0, vcc
	v_and_or_b32 v1, v14, s40, v1
	v_lshl_or_b32 v15, v0, 7, v1
.LBB272_1154:                           ;   in Loop: Header=BB272_800 Depth=1
	s_or_b64 exec, exec, s[26:27]
.LBB272_1155:                           ;   in Loop: Header=BB272_800 Depth=1
	s_or_b64 exec, exec, s[24:25]
.LBB272_1156:                           ;   in Loop: Header=BB272_800 Depth=1
	s_or_b64 exec, exec, s[22:23]
	v_lshrrev_b16_e32 v6, 8, v12
	v_cmp_ne_u16_e32 vcc, 0, v6
	s_and_saveexec_b64 s[22:23], vcc
	s_cbranch_execz .LBB272_1162
; %bb.1157:                             ;   in Loop: Header=BB272_800 Depth=1
	v_cmp_ne_u16_e32 vcc, s28, v6
	v_bfrev_b32_e32 v5, 1
	s_and_saveexec_b64 s[24:25], vcc
	s_cbranch_execz .LBB272_1161
; %bb.1158:                             ;   in Loop: Header=BB272_800 Depth=1
	v_and_b32_e32 v0, 0x7f, v6
	v_cmp_ne_u32_e32 vcc, s29, v0
	v_mov_b32_e32 v5, 0x7c010000
	s_and_saveexec_b64 s[26:27], vcc
	s_cbranch_execz .LBB272_1160
; %bb.1159:                             ;   in Loop: Header=BB272_800 Depth=1
	v_and_b32_e32 v5, 7, v6
	v_lshrrev_b32_e32 v14, 3, v0
	v_cmp_gt_u32_e32 vcc, 8, v0
	v_ffbh_u32_e32 v0, v5
	v_min_u32_e32 v16, 32, v0
	v_subrev_u32_e32 v0, 28, v16
	v_lshlrev_b64 v[0:1], v0, v[6:7]
	v_sub_u32_e32 v1, 29, v16
	v_cndmask_b32_e32 v1, v14, v1, vcc
	v_lshlrev_b32_e32 v6, 8, v6
	v_lshl_add_u32 v1, v1, 10, v53
	v_and_b32_e32 v0, 7, v0
	v_and_or_b32 v1, v6, s40, v1
	v_cndmask_b32_e32 v0, v5, v0, vcc
	v_lshlrev_b32_e32 v1, 16, v1
	v_lshl_or_b32 v5, v0, 23, v1
.LBB272_1160:                           ;   in Loop: Header=BB272_800 Depth=1
	s_or_b64 exec, exec, s[26:27]
.LBB272_1161:                           ;   in Loop: Header=BB272_800 Depth=1
	s_or_b64 exec, exec, s[24:25]
.LBB272_1162:                           ;   in Loop: Header=BB272_800 Depth=1
	s_or_b64 exec, exec, s[22:23]
	v_lshrrev_b32_e32 v6, 16, v12
	v_cmp_ne_u16_sdwa s[24:25], v6, v7 src0_sel:BYTE_0 src1_sel:DWORD
	v_mov_b32_e32 v16, 0
	v_mov_b32_e32 v22, 0
	s_and_saveexec_b64 s[22:23], s[24:25]
	s_cbranch_execz .LBB272_1168
; %bb.1163:                             ;   in Loop: Header=BB272_800 Depth=1
	v_cmp_ne_u16_sdwa s[26:27], v6, s28 src0_sel:BYTE_0 src1_sel:DWORD
	v_mov_b32_e32 v22, 0x8000
	s_and_saveexec_b64 s[24:25], s[26:27]
	s_cbranch_execz .LBB272_1167
; %bb.1164:                             ;   in Loop: Header=BB272_800 Depth=1
	v_bfe_u32 v0, v12, 16, 7
	v_cmp_ne_u32_e32 vcc, s29, v0
	v_mov_b32_e32 v22, 0x7c01
	s_and_saveexec_b64 s[26:27], vcc
	s_cbranch_execz .LBB272_1166
; %bb.1165:                             ;   in Loop: Header=BB272_800 Depth=1
	v_and_b32_e32 v14, 7, v6
	v_lshrrev_b32_e32 v17, 3, v0
	v_cmp_gt_u32_e32 vcc, 8, v0
	v_ffbh_u32_e32 v0, v14
	v_min_u32_e32 v18, 32, v0
	v_subrev_u32_e32 v0, 28, v18
	v_lshlrev_b64 v[0:1], v0, v[6:7]
	v_sub_u32_e32 v1, 29, v18
	v_cndmask_b32_e32 v1, v17, v1, vcc
	v_lshl_add_u32 v1, v1, 10, v53
	v_lshlrev_b32_e32 v6, 8, v6
	v_and_b32_e32 v0, 7, v0
	v_and_b32_e32 v1, 0xfc00, v1
	v_cndmask_b32_e32 v0, v14, v0, vcc
	v_and_or_b32 v1, v6, s40, v1
	v_lshl_or_b32 v22, v0, 7, v1
.LBB272_1166:                           ;   in Loop: Header=BB272_800 Depth=1
	s_or_b64 exec, exec, s[26:27]
.LBB272_1167:                           ;   in Loop: Header=BB272_800 Depth=1
	s_or_b64 exec, exec, s[24:25]
.LBB272_1168:                           ;   in Loop: Header=BB272_800 Depth=1
	s_or_b64 exec, exec, s[22:23]
	v_cmp_lt_u32_e32 vcc, s11, v12
	s_and_saveexec_b64 s[22:23], vcc
	s_cbranch_execz .LBB272_1174
; %bb.1169:                             ;   in Loop: Header=BB272_800 Depth=1
	v_lshrrev_b32_e32 v6, 24, v12
	v_cmp_ne_u32_e32 vcc, s28, v6
	v_bfrev_b32_e32 v16, 1
	s_and_saveexec_b64 s[24:25], vcc
	s_cbranch_execz .LBB272_1173
; %bb.1170:                             ;   in Loop: Header=BB272_800 Depth=1
	v_and_b32_e32 v0, 0x7f, v6
	v_cmp_ne_u32_e32 vcc, s29, v0
	v_mov_b32_e32 v16, 0x7c010000
	s_and_saveexec_b64 s[26:27], vcc
	s_cbranch_execz .LBB272_1172
; %bb.1171:                             ;   in Loop: Header=BB272_800 Depth=1
	v_and_b32_e32 v14, 7, v6
	v_lshrrev_b32_e32 v16, 3, v0
	v_cmp_gt_u32_e32 vcc, 8, v0
	v_ffbh_u32_e32 v0, v14
	v_min_u32_e32 v17, 32, v0
	v_subrev_u32_e32 v0, 28, v17
	v_lshlrev_b64 v[0:1], v0, v[6:7]
	v_sub_u32_e32 v1, 29, v17
	v_cndmask_b32_e32 v1, v16, v1, vcc
	v_lshlrev_b32_e32 v6, 8, v6
	v_lshl_add_u32 v1, v1, 10, v53
	v_and_b32_e32 v0, 7, v0
	v_and_or_b32 v1, v6, s40, v1
	v_cndmask_b32_e32 v0, v14, v0, vcc
	v_lshlrev_b32_e32 v1, 16, v1
	v_lshl_or_b32 v16, v0, 23, v1
.LBB272_1172:                           ;   in Loop: Header=BB272_800 Depth=1
	s_or_b64 exec, exec, s[26:27]
.LBB272_1173:                           ;   in Loop: Header=BB272_800 Depth=1
	s_or_b64 exec, exec, s[24:25]
.LBB272_1174:                           ;   in Loop: Header=BB272_800 Depth=1
	s_or_b64 exec, exec, s[22:23]
	v_mov_b32_e32 v6, v13
	v_cmp_ne_u16_sdwa s[24:25], v13, v7 src0_sel:BYTE_0 src1_sel:DWORD
	v_mov_b32_e32 v17, 0
	v_mov_b32_e32 v0, 0
	s_and_saveexec_b64 s[22:23], s[24:25]
	s_cbranch_execz .LBB272_1180
; %bb.1175:                             ;   in Loop: Header=BB272_800 Depth=1
	v_cmp_ne_u16_sdwa s[26:27], v13, s28 src0_sel:BYTE_0 src1_sel:DWORD
	v_mov_b32_e32 v0, 0x8000
	s_and_saveexec_b64 s[24:25], s[26:27]
	s_cbranch_execz .LBB272_1179
; %bb.1176:                             ;   in Loop: Header=BB272_800 Depth=1
	v_and_b32_e32 v1, 0x7f, v13
	v_cmp_ne_u32_e32 vcc, s29, v1
	v_mov_b32_e32 v0, 0x7c01
	s_and_saveexec_b64 s[26:27], vcc
	s_cbranch_execz .LBB272_1178
; %bb.1177:                             ;   in Loop: Header=BB272_800 Depth=1
	v_and_b32_e32 v14, 7, v13
	v_ffbh_u32_e32 v0, v14
	v_min_u32_e32 v23, 32, v0
	v_subrev_u32_e32 v0, 28, v23
	v_lshrrev_b32_e32 v18, 3, v1
	v_cmp_gt_u32_e32 vcc, 8, v1
	v_lshlrev_b64 v[0:1], v0, v[6:7]
	v_sub_u32_e32 v1, 29, v23
	v_cndmask_b32_e32 v1, v18, v1, vcc
	v_lshl_add_u32 v1, v1, 10, v53
	v_lshlrev_b32_e32 v18, 8, v13
	v_and_b32_e32 v0, 7, v0
	v_and_b32_e32 v1, 0xfc00, v1
	v_cndmask_b32_e32 v0, v14, v0, vcc
	v_and_or_b32 v1, v18, s40, v1
	v_lshl_or_b32 v0, v0, 7, v1
.LBB272_1178:                           ;   in Loop: Header=BB272_800 Depth=1
	s_or_b64 exec, exec, s[26:27]
.LBB272_1179:                           ;   in Loop: Header=BB272_800 Depth=1
	s_or_b64 exec, exec, s[24:25]
.LBB272_1180:                           ;   in Loop: Header=BB272_800 Depth=1
	s_or_b64 exec, exec, s[22:23]
	v_lshrrev_b16_e32 v6, 8, v6
	v_cmp_ne_u16_e32 vcc, 0, v6
	v_mov_b32_e32 v1, 0
	s_and_saveexec_b64 s[22:23], vcc
	s_cbranch_execz .LBB272_1186
; %bb.1181:                             ;   in Loop: Header=BB272_800 Depth=1
	v_cmp_ne_u16_e32 vcc, s28, v6
	v_bfrev_b32_e32 v1, 1
	s_and_saveexec_b64 s[24:25], vcc
	s_cbranch_execz .LBB272_1185
; %bb.1182:                             ;   in Loop: Header=BB272_800 Depth=1
	v_and_b32_e32 v18, 0x7f, v6
	v_cmp_ne_u32_e32 vcc, s29, v18
	v_mov_b32_e32 v1, 0x7c010000
	s_and_saveexec_b64 s[26:27], vcc
	s_cbranch_execz .LBB272_1184
; %bb.1183:                             ;   in Loop: Header=BB272_800 Depth=1
	v_and_b32_e32 v1, 7, v6
	v_lshrrev_b32_e32 v14, 3, v18
	v_cmp_gt_u32_e32 vcc, 8, v18
	v_ffbh_u32_e32 v18, v1
	v_min_u32_e32 v18, 32, v18
	v_subrev_u32_e32 v23, 28, v18
	v_sub_u32_e32 v18, 29, v18
	v_lshlrev_b64 v[29:30], v23, v[6:7]
	v_cndmask_b32_e32 v14, v14, v18, vcc
	v_lshlrev_b32_e32 v6, 8, v6
	v_lshl_add_u32 v14, v14, 10, v53
	v_and_b32_e32 v18, 7, v29
	v_and_or_b32 v6, v6, s40, v14
	v_cndmask_b32_e32 v1, v1, v18, vcc
	v_lshlrev_b32_e32 v6, 16, v6
	v_lshl_or_b32 v1, v1, 23, v6
.LBB272_1184:                           ;   in Loop: Header=BB272_800 Depth=1
	s_or_b64 exec, exec, s[26:27]
.LBB272_1185:                           ;   in Loop: Header=BB272_800 Depth=1
	s_or_b64 exec, exec, s[24:25]
.LBB272_1186:                           ;   in Loop: Header=BB272_800 Depth=1
	s_or_b64 exec, exec, s[22:23]
	v_lshrrev_b32_e32 v6, 16, v13
	v_cmp_ne_u16_sdwa s[24:25], v6, v7 src0_sel:BYTE_0 src1_sel:DWORD
	s_and_saveexec_b64 s[22:23], s[24:25]
	s_cbranch_execz .LBB272_1192
; %bb.1187:                             ;   in Loop: Header=BB272_800 Depth=1
	v_cmp_ne_u16_sdwa s[26:27], v6, s28 src0_sel:BYTE_0 src1_sel:DWORD
	v_mov_b32_e32 v17, 0x8000
	s_and_saveexec_b64 s[24:25], s[26:27]
	s_cbranch_execz .LBB272_1191
; %bb.1188:                             ;   in Loop: Header=BB272_800 Depth=1
	v_bfe_u32 v18, v13, 16, 7
	v_cmp_ne_u32_e32 vcc, s29, v18
	v_mov_b32_e32 v17, 0x7c01
	s_and_saveexec_b64 s[26:27], vcc
	s_cbranch_execz .LBB272_1190
; %bb.1189:                             ;   in Loop: Header=BB272_800 Depth=1
	v_and_b32_e32 v14, 7, v6
	v_ffbh_u32_e32 v17, v14
	v_min_u32_e32 v26, 32, v17
	v_subrev_u32_e32 v17, 28, v26
	v_lshrrev_b32_e32 v23, 3, v18
	v_cmp_gt_u32_e32 vcc, 8, v18
	v_lshlrev_b64 v[17:18], v17, v[6:7]
	v_sub_u32_e32 v18, 29, v26
	v_cndmask_b32_e32 v18, v23, v18, vcc
	v_lshl_add_u32 v18, v18, 10, v53
	v_and_b32_e32 v17, 7, v17
	v_lshlrev_b32_e32 v6, 8, v6
	v_cndmask_b32_e32 v14, v14, v17, vcc
	v_and_b32_e32 v17, 0xfc00, v18
	v_and_or_b32 v6, v6, s40, v17
	v_lshl_or_b32 v17, v14, 7, v6
.LBB272_1190:                           ;   in Loop: Header=BB272_800 Depth=1
	s_or_b64 exec, exec, s[26:27]
.LBB272_1191:                           ;   in Loop: Header=BB272_800 Depth=1
	s_or_b64 exec, exec, s[24:25]
.LBB272_1192:                           ;   in Loop: Header=BB272_800 Depth=1
	s_or_b64 exec, exec, s[22:23]
	v_cmp_lt_u64_e32 vcc, s[10:11], v[12:13]
	v_mov_b32_e32 v12, 0
	s_and_saveexec_b64 s[22:23], vcc
	s_cbranch_execz .LBB272_1198
; %bb.1193:                             ;   in Loop: Header=BB272_800 Depth=1
	v_lshrrev_b32_e32 v6, 24, v13
	v_cmp_ne_u32_e32 vcc, s28, v6
	v_bfrev_b32_e32 v12, 1
	s_and_saveexec_b64 s[24:25], vcc
	s_cbranch_execz .LBB272_1197
; %bb.1194:                             ;   in Loop: Header=BB272_800 Depth=1
	v_and_b32_e32 v13, 0x7f, v6
	v_cmp_ne_u32_e32 vcc, s29, v13
	v_mov_b32_e32 v12, 0x7c010000
	s_and_saveexec_b64 s[26:27], vcc
	s_cbranch_execz .LBB272_1196
; %bb.1195:                             ;   in Loop: Header=BB272_800 Depth=1
	v_and_b32_e32 v14, 7, v6
	v_ffbh_u32_e32 v12, v14
	v_min_u32_e32 v23, 32, v12
	v_subrev_u32_e32 v12, 28, v23
	v_lshrrev_b32_e32 v18, 3, v13
	v_cmp_gt_u32_e32 vcc, 8, v13
	v_lshlrev_b64 v[12:13], v12, v[6:7]
	v_sub_u32_e32 v13, 29, v23
	v_cndmask_b32_e32 v13, v18, v13, vcc
	v_lshlrev_b32_e32 v6, 8, v6
	v_lshl_add_u32 v13, v13, 10, v53
	v_and_b32_e32 v12, 7, v12
	v_and_or_b32 v6, v6, s40, v13
	v_cndmask_b32_e32 v12, v14, v12, vcc
	v_lshlrev_b32_e32 v6, 16, v6
	v_lshl_or_b32 v12, v12, 23, v6
.LBB272_1196:                           ;   in Loop: Header=BB272_800 Depth=1
	s_or_b64 exec, exec, s[26:27]
.LBB272_1197:                           ;   in Loop: Header=BB272_800 Depth=1
	s_or_b64 exec, exec, s[24:25]
.LBB272_1198:                           ;   in Loop: Header=BB272_800 Depth=1
	s_or_b64 exec, exec, s[22:23]
	v_or_b32_e32 v14, v5, v15
	s_waitcnt vmcnt(0) lgkmcnt(0)
	v_fma_mixlo_f16 v5, v4, v5, 0 op_sel:[0,1,0] op_sel_hi:[0,1,0]
	v_or_b32_e32 v6, v16, v22
	v_lshlrev_b32_e32 v15, 16, v5
	v_fma_mixlo_f16 v5, v4, v14, 0 op_sel_hi:[0,1,0]
	v_or_b32_e32 v0, v1, v0
	v_or_b32_e32 v14, v12, v17
	v_fma_mixlo_f16 v13, v4, v16, 0 op_sel:[0,1,0] op_sel_hi:[0,1,0]
	v_fma_mixlo_f16 v6, v4, v6, 0 op_sel_hi:[0,1,0]
	v_fma_mixlo_f16 v1, v4, v1, 0 op_sel:[0,1,0] op_sel_hi:[0,1,0]
	v_fma_mixlo_f16 v0, v4, v0, 0 op_sel_hi:[0,1,0]
	v_fma_mixlo_f16 v14, v4, v14, 0 op_sel_hi:[0,1,0]
	v_fma_mixlo_f16 v4, v4, v12, 0 op_sel:[0,1,0] op_sel_hi:[0,1,0]
	v_lshlrev_b32_e32 v13, 16, v13
	v_and_b32_e32 v16, 0xffff, v6
	v_and_b32_e32 v22, 0xffff, v5
	v_lshlrev_b32_e32 v1, 16, v1
	v_and_b32_e32 v18, 0xffff, v0
	v_lshlrev_b32_e32 v4, 16, v4
	v_and_b32_e32 v12, 0xffff, v14
	v_or_b32_e32 v6, v13, v16
	v_or_b32_e32 v5, v15, v22
	;; [unrolled: 1-line block ×4, first 2 shown]
	s_and_saveexec_b64 s[22:23], s[6:7]
	s_cbranch_execz .LBB272_1200
; %bb.1199:                             ;   in Loop: Header=BB272_800 Depth=1
	v_cmp_lt_i32_e32 vcc, v54, v27
	v_cndmask_b32_e32 v0, 0, v22, vcc
	v_cmp_lt_i32_e32 vcc, v56, v27
	v_cndmask_b32_e32 v5, 0, v15, vcc
	v_cmp_lt_i32_e32 vcc, v47, v27
	v_or_b32_e32 v5, v0, v5
	v_cndmask_b32_e32 v0, 0, v16, vcc
	v_cmp_lt_i32_e32 vcc, v46, v27
	v_cndmask_b32_e32 v6, 0, v13, vcc
	v_cmp_lt_i32_e32 vcc, v45, v27
	v_or_b32_e32 v6, v0, v6
	;; [unrolled: 5-line block ×3, first 2 shown]
	v_cndmask_b32_e32 v1, 0, v12, vcc
	v_cmp_lt_i32_e32 vcc, v19, v27
	v_cndmask_b32_e32 v4, 0, v4, vcc
	v_or_b32_e32 v17, v1, v4
.LBB272_1200:                           ;   in Loop: Header=BB272_800 Depth=1
	s_or_b64 exec, exec, s[22:23]
	;;#ASMSTART
	v_pk_mul_f16 v1, v55, v5;

	;;#ASMEND
	;;#ASMSTART
	v_pk_mul_f16 v4, v40, v6;

	;;#ASMEND
	;; [unrolled: 4-line block ×4, first 2 shown]
	;;#ASMSTART
	v_pk_add_f16 v1, v1, v4;

	;;#ASMEND
	;;#ASMSTART
	v_pk_add_f16 v0, v1, v0;

	;;#ASMEND
	;;#ASMSTART
	v_pk_add_f16 v0, v0, v5;

	;;#ASMEND
	v_lshrrev_b32_e32 v1, 16, v0
	v_and_b32_e32 v0, 0xffff, v0
	;;#ASMSTART
	v_cvt_f32_f16 v0, v0;
	;;#ASMEND
	buffer_store_dword v0, off, s[0:3], s32 offset:136 ; 4-byte Folded Spill
	v_add_co_u32_e32 v0, vcc, 0x1000, v10
	;;#ASMSTART
	v_cvt_f32_f16 v31, v1;
	;;#ASMEND
	v_addc_co_u32_e32 v1, vcc, 0, v11, vcc
	flat_load_dwordx2 v[12:13], v[0:1]
	s_nop 0
	buffer_load_dword v0, off, s[0:3], s32 offset:64 ; 4-byte Folded Reload
	buffer_load_dword v1, off, s[0:3], s32 offset:68 ; 4-byte Folded Reload
	v_mov_b32_e32 v5, 0
	v_mov_b32_e32 v15, 0
	s_waitcnt vmcnt(0) lgkmcnt(0)
	v_cmp_ne_u16_sdwa s[24:25], v12, v7 src0_sel:BYTE_0 src1_sel:DWORD
	flat_load_dword v4, v[0:1]
	s_and_saveexec_b64 s[22:23], s[24:25]
	s_cbranch_execz .LBB272_1206
; %bb.1201:                             ;   in Loop: Header=BB272_800 Depth=1
	v_cmp_ne_u16_sdwa s[26:27], v12, s28 src0_sel:BYTE_0 src1_sel:DWORD
	v_mov_b32_e32 v15, 0x8000
	s_and_saveexec_b64 s[24:25], s[26:27]
	s_cbranch_execz .LBB272_1205
; %bb.1202:                             ;   in Loop: Header=BB272_800 Depth=1
	v_and_b32_e32 v0, 0x7f, v12
	v_cmp_ne_u32_e32 vcc, s29, v0
	v_mov_b32_e32 v15, 0x7c01
	s_and_saveexec_b64 s[26:27], vcc
	s_cbranch_execz .LBB272_1204
; %bb.1203:                             ;   in Loop: Header=BB272_800 Depth=1
	v_and_b32_e32 v6, 7, v12
	v_lshrrev_b32_e32 v15, 3, v0
	v_cmp_gt_u32_e32 vcc, 8, v0
	v_ffbh_u32_e32 v0, v6
	v_min_u32_e32 v16, 32, v0
	v_subrev_u32_e32 v0, 28, v16
	v_lshlrev_b64 v[0:1], v0, v[12:13]
	v_sub_u32_e32 v1, 29, v16
	v_cndmask_b32_e32 v1, v15, v1, vcc
	v_lshl_add_u32 v1, v1, 10, v53
	v_lshlrev_b32_e32 v15, 8, v12
	v_and_b32_e32 v0, 7, v0
	v_and_b32_e32 v1, 0xfc00, v1
	v_cndmask_b32_e32 v0, v6, v0, vcc
	v_and_or_b32 v1, v15, s40, v1
	v_lshl_or_b32 v15, v0, 7, v1
.LBB272_1204:                           ;   in Loop: Header=BB272_800 Depth=1
	s_or_b64 exec, exec, s[26:27]
.LBB272_1205:                           ;   in Loop: Header=BB272_800 Depth=1
	s_or_b64 exec, exec, s[24:25]
.LBB272_1206:                           ;   in Loop: Header=BB272_800 Depth=1
	s_or_b64 exec, exec, s[22:23]
	v_lshrrev_b16_e32 v6, 8, v12
	v_cmp_ne_u16_e32 vcc, 0, v6
	s_and_saveexec_b64 s[22:23], vcc
	s_cbranch_execz .LBB272_1212
; %bb.1207:                             ;   in Loop: Header=BB272_800 Depth=1
	v_cmp_ne_u16_e32 vcc, s28, v6
	v_bfrev_b32_e32 v5, 1
	s_and_saveexec_b64 s[24:25], vcc
	s_cbranch_execz .LBB272_1211
; %bb.1208:                             ;   in Loop: Header=BB272_800 Depth=1
	v_and_b32_e32 v0, 0x7f, v6
	v_cmp_ne_u32_e32 vcc, s29, v0
	v_mov_b32_e32 v5, 0x7c010000
	s_and_saveexec_b64 s[26:27], vcc
	s_cbranch_execz .LBB272_1210
; %bb.1209:                             ;   in Loop: Header=BB272_800 Depth=1
	v_and_b32_e32 v5, 7, v6
	v_lshrrev_b32_e32 v16, 3, v0
	v_cmp_gt_u32_e32 vcc, 8, v0
	v_ffbh_u32_e32 v0, v5
	v_min_u32_e32 v17, 32, v0
	v_subrev_u32_e32 v0, 28, v17
	v_lshlrev_b64 v[0:1], v0, v[6:7]
	v_sub_u32_e32 v1, 29, v17
	v_cndmask_b32_e32 v1, v16, v1, vcc
	v_lshlrev_b32_e32 v6, 8, v6
	v_lshl_add_u32 v1, v1, 10, v53
	v_and_b32_e32 v0, 7, v0
	v_and_or_b32 v1, v6, s40, v1
	v_cndmask_b32_e32 v0, v5, v0, vcc
	v_lshlrev_b32_e32 v1, 16, v1
	v_lshl_or_b32 v5, v0, 23, v1
.LBB272_1210:                           ;   in Loop: Header=BB272_800 Depth=1
	s_or_b64 exec, exec, s[26:27]
.LBB272_1211:                           ;   in Loop: Header=BB272_800 Depth=1
	s_or_b64 exec, exec, s[24:25]
.LBB272_1212:                           ;   in Loop: Header=BB272_800 Depth=1
	s_or_b64 exec, exec, s[22:23]
	v_lshrrev_b32_e32 v6, 16, v12
	v_cmp_ne_u16_sdwa s[24:25], v6, v7 src0_sel:BYTE_0 src1_sel:DWORD
	v_mov_b32_e32 v16, 0
	v_mov_b32_e32 v22, 0
	s_and_saveexec_b64 s[22:23], s[24:25]
	s_cbranch_execz .LBB272_1218
; %bb.1213:                             ;   in Loop: Header=BB272_800 Depth=1
	v_cmp_ne_u16_sdwa s[26:27], v6, s28 src0_sel:BYTE_0 src1_sel:DWORD
	v_mov_b32_e32 v22, 0x8000
	s_and_saveexec_b64 s[24:25], s[26:27]
	s_cbranch_execz .LBB272_1217
; %bb.1214:                             ;   in Loop: Header=BB272_800 Depth=1
	v_bfe_u32 v0, v12, 16, 7
	v_cmp_ne_u32_e32 vcc, s29, v0
	v_mov_b32_e32 v22, 0x7c01
	s_and_saveexec_b64 s[26:27], vcc
	s_cbranch_execz .LBB272_1216
; %bb.1215:                             ;   in Loop: Header=BB272_800 Depth=1
	v_and_b32_e32 v17, 7, v6
	v_lshrrev_b32_e32 v18, 3, v0
	v_cmp_gt_u32_e32 vcc, 8, v0
	v_ffbh_u32_e32 v0, v17
	v_min_u32_e32 v22, 32, v0
	v_subrev_u32_e32 v0, 28, v22
	v_lshlrev_b64 v[0:1], v0, v[6:7]
	v_sub_u32_e32 v1, 29, v22
	v_cndmask_b32_e32 v1, v18, v1, vcc
	v_lshl_add_u32 v1, v1, 10, v53
	v_lshlrev_b32_e32 v6, 8, v6
	v_and_b32_e32 v0, 7, v0
	v_and_b32_e32 v1, 0xfc00, v1
	v_cndmask_b32_e32 v0, v17, v0, vcc
	v_and_or_b32 v1, v6, s40, v1
	v_lshl_or_b32 v22, v0, 7, v1
.LBB272_1216:                           ;   in Loop: Header=BB272_800 Depth=1
	s_or_b64 exec, exec, s[26:27]
.LBB272_1217:                           ;   in Loop: Header=BB272_800 Depth=1
	s_or_b64 exec, exec, s[24:25]
.LBB272_1218:                           ;   in Loop: Header=BB272_800 Depth=1
	s_or_b64 exec, exec, s[22:23]
	v_cmp_lt_u32_e32 vcc, s11, v12
	s_and_saveexec_b64 s[22:23], vcc
	s_cbranch_execz .LBB272_1224
; %bb.1219:                             ;   in Loop: Header=BB272_800 Depth=1
	v_lshrrev_b32_e32 v6, 24, v12
	v_cmp_ne_u32_e32 vcc, s28, v6
	v_bfrev_b32_e32 v16, 1
	s_and_saveexec_b64 s[24:25], vcc
	s_cbranch_execz .LBB272_1223
; %bb.1220:                             ;   in Loop: Header=BB272_800 Depth=1
	v_and_b32_e32 v0, 0x7f, v6
	v_cmp_ne_u32_e32 vcc, s29, v0
	v_mov_b32_e32 v16, 0x7c010000
	s_and_saveexec_b64 s[26:27], vcc
	s_cbranch_execz .LBB272_1222
; %bb.1221:                             ;   in Loop: Header=BB272_800 Depth=1
	v_and_b32_e32 v16, 7, v6
	v_lshrrev_b32_e32 v17, 3, v0
	v_cmp_gt_u32_e32 vcc, 8, v0
	v_ffbh_u32_e32 v0, v16
	v_min_u32_e32 v18, 32, v0
	v_subrev_u32_e32 v0, 28, v18
	v_lshlrev_b64 v[0:1], v0, v[6:7]
	v_sub_u32_e32 v1, 29, v18
	v_cndmask_b32_e32 v1, v17, v1, vcc
	v_lshlrev_b32_e32 v6, 8, v6
	v_lshl_add_u32 v1, v1, 10, v53
	v_and_b32_e32 v0, 7, v0
	v_and_or_b32 v1, v6, s40, v1
	v_cndmask_b32_e32 v0, v16, v0, vcc
	v_lshlrev_b32_e32 v1, 16, v1
	v_lshl_or_b32 v16, v0, 23, v1
.LBB272_1222:                           ;   in Loop: Header=BB272_800 Depth=1
	s_or_b64 exec, exec, s[26:27]
.LBB272_1223:                           ;   in Loop: Header=BB272_800 Depth=1
	s_or_b64 exec, exec, s[24:25]
.LBB272_1224:                           ;   in Loop: Header=BB272_800 Depth=1
	s_or_b64 exec, exec, s[22:23]
	v_mov_b32_e32 v6, v13
	v_cmp_ne_u16_sdwa s[24:25], v13, v7 src0_sel:BYTE_0 src1_sel:DWORD
	v_mov_b32_e32 v17, 0
	v_mov_b32_e32 v0, 0
	s_and_saveexec_b64 s[22:23], s[24:25]
	s_cbranch_execz .LBB272_1230
; %bb.1225:                             ;   in Loop: Header=BB272_800 Depth=1
	v_cmp_ne_u16_sdwa s[26:27], v13, s28 src0_sel:BYTE_0 src1_sel:DWORD
	v_mov_b32_e32 v0, 0x8000
	s_and_saveexec_b64 s[24:25], s[26:27]
	s_cbranch_execz .LBB272_1229
; %bb.1226:                             ;   in Loop: Header=BB272_800 Depth=1
	v_and_b32_e32 v1, 0x7f, v13
	v_cmp_ne_u32_e32 vcc, s29, v1
	v_mov_b32_e32 v0, 0x7c01
	s_and_saveexec_b64 s[26:27], vcc
	s_cbranch_execz .LBB272_1228
; %bb.1227:                             ;   in Loop: Header=BB272_800 Depth=1
	v_and_b32_e32 v18, 7, v13
	v_ffbh_u32_e32 v0, v18
	v_min_u32_e32 v26, 32, v0
	v_subrev_u32_e32 v0, 28, v26
	v_lshrrev_b32_e32 v23, 3, v1
	v_cmp_gt_u32_e32 vcc, 8, v1
	v_lshlrev_b64 v[0:1], v0, v[6:7]
	v_sub_u32_e32 v1, 29, v26
	v_cndmask_b32_e32 v1, v23, v1, vcc
	v_lshl_add_u32 v1, v1, 10, v53
	v_lshlrev_b32_e32 v23, 8, v13
	v_and_b32_e32 v0, 7, v0
	v_and_b32_e32 v1, 0xfc00, v1
	v_cndmask_b32_e32 v0, v18, v0, vcc
	v_and_or_b32 v1, v23, s40, v1
	v_lshl_or_b32 v0, v0, 7, v1
.LBB272_1228:                           ;   in Loop: Header=BB272_800 Depth=1
	s_or_b64 exec, exec, s[26:27]
.LBB272_1229:                           ;   in Loop: Header=BB272_800 Depth=1
	s_or_b64 exec, exec, s[24:25]
.LBB272_1230:                           ;   in Loop: Header=BB272_800 Depth=1
	s_or_b64 exec, exec, s[22:23]
	v_lshrrev_b16_e32 v6, 8, v6
	v_cmp_ne_u16_e32 vcc, 0, v6
	v_mov_b32_e32 v1, 0
	s_and_saveexec_b64 s[22:23], vcc
	s_cbranch_execz .LBB272_1236
; %bb.1231:                             ;   in Loop: Header=BB272_800 Depth=1
	v_cmp_ne_u16_e32 vcc, s28, v6
	v_bfrev_b32_e32 v1, 1
	s_and_saveexec_b64 s[24:25], vcc
	s_cbranch_execz .LBB272_1235
; %bb.1232:                             ;   in Loop: Header=BB272_800 Depth=1
	v_and_b32_e32 v18, 0x7f, v6
	v_cmp_ne_u32_e32 vcc, s29, v18
	v_mov_b32_e32 v1, 0x7c010000
	s_and_saveexec_b64 s[26:27], vcc
	s_cbranch_execz .LBB272_1234
; %bb.1233:                             ;   in Loop: Header=BB272_800 Depth=1
	v_and_b32_e32 v1, 7, v6
	v_lshrrev_b32_e32 v23, 3, v18
	v_cmp_gt_u32_e32 vcc, 8, v18
	v_ffbh_u32_e32 v18, v1
	v_min_u32_e32 v18, 32, v18
	v_subrev_u32_e32 v26, 28, v18
	v_sub_u32_e32 v18, 29, v18
	v_lshlrev_b64 v[57:58], v26, v[6:7]
	v_cndmask_b32_e32 v18, v23, v18, vcc
	v_lshlrev_b32_e32 v6, 8, v6
	v_lshl_add_u32 v18, v18, 10, v53
	v_and_b32_e32 v23, 7, v57
	v_and_or_b32 v6, v6, s40, v18
	v_cndmask_b32_e32 v1, v1, v23, vcc
	v_lshlrev_b32_e32 v6, 16, v6
	v_lshl_or_b32 v1, v1, 23, v6
.LBB272_1234:                           ;   in Loop: Header=BB272_800 Depth=1
	s_or_b64 exec, exec, s[26:27]
.LBB272_1235:                           ;   in Loop: Header=BB272_800 Depth=1
	s_or_b64 exec, exec, s[24:25]
.LBB272_1236:                           ;   in Loop: Header=BB272_800 Depth=1
	s_or_b64 exec, exec, s[22:23]
	v_lshrrev_b32_e32 v6, 16, v13
	v_cmp_ne_u16_sdwa s[24:25], v6, v7 src0_sel:BYTE_0 src1_sel:DWORD
	s_and_saveexec_b64 s[22:23], s[24:25]
	s_cbranch_execz .LBB272_1242
; %bb.1237:                             ;   in Loop: Header=BB272_800 Depth=1
	v_cmp_ne_u16_sdwa s[26:27], v6, s28 src0_sel:BYTE_0 src1_sel:DWORD
	v_mov_b32_e32 v17, 0x8000
	s_and_saveexec_b64 s[24:25], s[26:27]
	s_cbranch_execz .LBB272_1241
; %bb.1238:                             ;   in Loop: Header=BB272_800 Depth=1
	v_bfe_u32 v18, v13, 16, 7
	v_cmp_ne_u32_e32 vcc, s29, v18
	v_mov_b32_e32 v17, 0x7c01
	s_and_saveexec_b64 s[26:27], vcc
	s_cbranch_execz .LBB272_1240
; %bb.1239:                             ;   in Loop: Header=BB272_800 Depth=1
	v_and_b32_e32 v23, 7, v6
	v_ffbh_u32_e32 v17, v23
	v_min_u32_e32 v28, 32, v17
	v_subrev_u32_e32 v17, 28, v28
	v_lshrrev_b32_e32 v26, 3, v18
	v_cmp_gt_u32_e32 vcc, 8, v18
	v_lshlrev_b64 v[17:18], v17, v[6:7]
	v_sub_u32_e32 v18, 29, v28
	v_cndmask_b32_e32 v18, v26, v18, vcc
	v_lshl_add_u32 v18, v18, 10, v53
	v_lshlrev_b32_e32 v6, 8, v6
	v_and_b32_e32 v17, 7, v17
	v_and_b32_e32 v18, 0xfc00, v18
	v_cndmask_b32_e32 v17, v23, v17, vcc
	v_and_or_b32 v6, v6, s40, v18
	v_lshl_or_b32 v17, v17, 7, v6
.LBB272_1240:                           ;   in Loop: Header=BB272_800 Depth=1
	s_or_b64 exec, exec, s[26:27]
.LBB272_1241:                           ;   in Loop: Header=BB272_800 Depth=1
	s_or_b64 exec, exec, s[24:25]
.LBB272_1242:                           ;   in Loop: Header=BB272_800 Depth=1
	s_or_b64 exec, exec, s[22:23]
	v_cmp_lt_u64_e32 vcc, s[10:11], v[12:13]
	v_mov_b32_e32 v12, 0
	s_and_saveexec_b64 s[22:23], vcc
	s_cbranch_execz .LBB272_1248
; %bb.1243:                             ;   in Loop: Header=BB272_800 Depth=1
	v_lshrrev_b32_e32 v6, 24, v13
	v_cmp_ne_u32_e32 vcc, s28, v6
	v_bfrev_b32_e32 v12, 1
	s_and_saveexec_b64 s[24:25], vcc
	s_cbranch_execz .LBB272_1247
; %bb.1244:                             ;   in Loop: Header=BB272_800 Depth=1
	v_and_b32_e32 v13, 0x7f, v6
	v_cmp_ne_u32_e32 vcc, s29, v13
	v_mov_b32_e32 v12, 0x7c010000
	s_and_saveexec_b64 s[26:27], vcc
	s_cbranch_execz .LBB272_1246
; %bb.1245:                             ;   in Loop: Header=BB272_800 Depth=1
	v_and_b32_e32 v18, 7, v6
	v_ffbh_u32_e32 v12, v18
	v_min_u32_e32 v26, 32, v12
	v_subrev_u32_e32 v12, 28, v26
	v_lshrrev_b32_e32 v23, 3, v13
	v_cmp_gt_u32_e32 vcc, 8, v13
	v_lshlrev_b64 v[12:13], v12, v[6:7]
	v_sub_u32_e32 v13, 29, v26
	v_cndmask_b32_e32 v13, v23, v13, vcc
	v_lshlrev_b32_e32 v6, 8, v6
	v_lshl_add_u32 v13, v13, 10, v53
	v_and_b32_e32 v12, 7, v12
	v_and_or_b32 v6, v6, s40, v13
	v_cndmask_b32_e32 v12, v18, v12, vcc
	v_lshlrev_b32_e32 v6, 16, v6
	v_lshl_or_b32 v12, v12, 23, v6
.LBB272_1246:                           ;   in Loop: Header=BB272_800 Depth=1
	s_or_b64 exec, exec, s[26:27]
.LBB272_1247:                           ;   in Loop: Header=BB272_800 Depth=1
	s_or_b64 exec, exec, s[24:25]
.LBB272_1248:                           ;   in Loop: Header=BB272_800 Depth=1
	s_or_b64 exec, exec, s[22:23]
	v_or_b32_e32 v6, v16, v22
	v_or_b32_e32 v18, v5, v15
	s_waitcnt vmcnt(0) lgkmcnt(0)
	v_fma_mixlo_f16 v5, v4, v5, 0 op_sel:[0,1,0] op_sel_hi:[0,1,0]
	v_or_b32_e32 v0, v1, v0
	v_or_b32_e32 v17, v12, v17
	v_fma_mixlo_f16 v13, v4, v16, 0 op_sel:[0,1,0] op_sel_hi:[0,1,0]
	v_fma_mixlo_f16 v6, v4, v6, 0 op_sel_hi:[0,1,0]
	v_lshlrev_b32_e32 v15, 16, v5
	v_fma_mixlo_f16 v5, v4, v18, 0 op_sel_hi:[0,1,0]
	v_fma_mixlo_f16 v1, v4, v1, 0 op_sel:[0,1,0] op_sel_hi:[0,1,0]
	v_fma_mixlo_f16 v0, v4, v0, 0 op_sel_hi:[0,1,0]
	v_fma_mixlo_f16 v17, v4, v17, 0 op_sel_hi:[0,1,0]
	v_fma_mixlo_f16 v4, v4, v12, 0 op_sel:[0,1,0] op_sel_hi:[0,1,0]
	v_lshlrev_b32_e32 v13, 16, v13
	v_and_b32_e32 v16, 0xffff, v6
	v_and_b32_e32 v22, 0xffff, v5
	v_lshlrev_b32_e32 v1, 16, v1
	v_and_b32_e32 v18, 0xffff, v0
	v_lshlrev_b32_e32 v4, 16, v4
	v_and_b32_e32 v12, 0xffff, v17
	v_or_b32_e32 v6, v13, v16
	v_or_b32_e32 v5, v15, v22
	;; [unrolled: 1-line block ×4, first 2 shown]
	s_and_saveexec_b64 s[22:23], s[6:7]
	s_cbranch_execz .LBB272_1250
; %bb.1249:                             ;   in Loop: Header=BB272_800 Depth=1
	v_cmp_lt_i32_e32 vcc, v54, v27
	v_cndmask_b32_e32 v0, 0, v22, vcc
	v_cmp_lt_i32_e32 vcc, v56, v27
	v_cndmask_b32_e32 v5, 0, v15, vcc
	v_cmp_lt_i32_e32 vcc, v47, v27
	v_or_b32_e32 v5, v0, v5
	v_cndmask_b32_e32 v0, 0, v16, vcc
	v_cmp_lt_i32_e32 vcc, v46, v27
	v_cndmask_b32_e32 v6, 0, v13, vcc
	v_cmp_lt_i32_e32 vcc, v45, v27
	v_or_b32_e32 v6, v0, v6
	;; [unrolled: 5-line block ×3, first 2 shown]
	v_cndmask_b32_e32 v1, 0, v12, vcc
	v_cmp_lt_i32_e32 vcc, v19, v27
	v_cndmask_b32_e32 v4, 0, v4, vcc
	v_or_b32_e32 v17, v1, v4
.LBB272_1250:                           ;   in Loop: Header=BB272_800 Depth=1
	s_or_b64 exec, exec, s[22:23]
	;;#ASMSTART
	v_pk_mul_f16 v1, v55, v5;

	;;#ASMEND
	;;#ASMSTART
	v_pk_mul_f16 v4, v40, v6;

	;;#ASMEND
	;; [unrolled: 4-line block ×4, first 2 shown]
	;;#ASMSTART
	v_pk_add_f16 v1, v1, v4;

	;;#ASMEND
	;;#ASMSTART
	v_pk_add_f16 v0, v1, v0;

	;;#ASMEND
	;;#ASMSTART
	v_pk_add_f16 v0, v0, v5;

	;;#ASMEND
	v_lshrrev_b32_e32 v1, 16, v0
	v_and_b32_e32 v0, 0xffff, v0
	;;#ASMSTART
	v_cvt_f32_f16 v30, v0;
	;;#ASMEND
	v_add_co_u32_e32 v0, vcc, 0x1000, v10
	;;#ASMSTART
	v_cvt_f32_f16 v4, v1;
	;;#ASMEND
	v_addc_co_u32_e32 v1, vcc, 0, v11, vcc
	flat_load_dwordx2 v[12:13], v[0:1] offset:512
	s_nop 0
	buffer_load_dword v0, off, s[0:3], s32 offset:64 ; 4-byte Folded Reload
	buffer_load_dword v1, off, s[0:3], s32 offset:68 ; 4-byte Folded Reload
	v_mov_b32_e32 v15, 0
	v_mov_b32_e32 v16, 0
	s_waitcnt vmcnt(0) lgkmcnt(0)
	v_cmp_ne_u16_sdwa s[24:25], v12, v7 src0_sel:BYTE_0 src1_sel:DWORD
	flat_load_dword v5, v[0:1]
	s_and_saveexec_b64 s[22:23], s[24:25]
	s_cbranch_execz .LBB272_1256
; %bb.1251:                             ;   in Loop: Header=BB272_800 Depth=1
	v_cmp_ne_u16_sdwa s[26:27], v12, s28 src0_sel:BYTE_0 src1_sel:DWORD
	v_mov_b32_e32 v16, 0x8000
	s_and_saveexec_b64 s[24:25], s[26:27]
	s_cbranch_execz .LBB272_1255
; %bb.1252:                             ;   in Loop: Header=BB272_800 Depth=1
	v_and_b32_e32 v0, 0x7f, v12
	v_cmp_ne_u32_e32 vcc, s29, v0
	v_mov_b32_e32 v16, 0x7c01
	s_and_saveexec_b64 s[26:27], vcc
	s_cbranch_execz .LBB272_1254
; %bb.1253:                             ;   in Loop: Header=BB272_800 Depth=1
	v_and_b32_e32 v6, 7, v12
	v_lshrrev_b32_e32 v16, 3, v0
	v_cmp_gt_u32_e32 vcc, 8, v0
	v_ffbh_u32_e32 v0, v6
	v_min_u32_e32 v17, 32, v0
	v_subrev_u32_e32 v0, 28, v17
	v_lshlrev_b64 v[0:1], v0, v[12:13]
	v_sub_u32_e32 v1, 29, v17
	v_cndmask_b32_e32 v1, v16, v1, vcc
	v_lshl_add_u32 v1, v1, 10, v53
	v_lshlrev_b32_e32 v16, 8, v12
	v_and_b32_e32 v0, 7, v0
	v_and_b32_e32 v1, 0xfc00, v1
	v_cndmask_b32_e32 v0, v6, v0, vcc
	v_and_or_b32 v1, v16, s40, v1
	v_lshl_or_b32 v16, v0, 7, v1
.LBB272_1254:                           ;   in Loop: Header=BB272_800 Depth=1
	s_or_b64 exec, exec, s[26:27]
.LBB272_1255:                           ;   in Loop: Header=BB272_800 Depth=1
	s_or_b64 exec, exec, s[24:25]
.LBB272_1256:                           ;   in Loop: Header=BB272_800 Depth=1
	s_or_b64 exec, exec, s[22:23]
	v_lshrrev_b16_e32 v6, 8, v12
	v_cmp_ne_u16_e32 vcc, 0, v6
	s_and_saveexec_b64 s[22:23], vcc
	s_cbranch_execz .LBB272_1262
; %bb.1257:                             ;   in Loop: Header=BB272_800 Depth=1
	v_cmp_ne_u16_e32 vcc, s28, v6
	v_bfrev_b32_e32 v15, 1
	s_and_saveexec_b64 s[24:25], vcc
	s_cbranch_execz .LBB272_1261
; %bb.1258:                             ;   in Loop: Header=BB272_800 Depth=1
	v_and_b32_e32 v0, 0x7f, v6
	v_cmp_ne_u32_e32 vcc, s29, v0
	v_mov_b32_e32 v15, 0x7c010000
	s_and_saveexec_b64 s[26:27], vcc
	s_cbranch_execz .LBB272_1260
; %bb.1259:                             ;   in Loop: Header=BB272_800 Depth=1
	v_and_b32_e32 v15, 7, v6
	v_lshrrev_b32_e32 v17, 3, v0
	v_cmp_gt_u32_e32 vcc, 8, v0
	v_ffbh_u32_e32 v0, v15
	v_min_u32_e32 v18, 32, v0
	v_subrev_u32_e32 v0, 28, v18
	v_lshlrev_b64 v[0:1], v0, v[6:7]
	v_sub_u32_e32 v1, 29, v18
	v_cndmask_b32_e32 v1, v17, v1, vcc
	v_lshlrev_b32_e32 v6, 8, v6
	v_lshl_add_u32 v1, v1, 10, v53
	v_and_b32_e32 v0, 7, v0
	v_and_or_b32 v1, v6, s40, v1
	v_cndmask_b32_e32 v0, v15, v0, vcc
	v_lshlrev_b32_e32 v1, 16, v1
	v_lshl_or_b32 v15, v0, 23, v1
.LBB272_1260:                           ;   in Loop: Header=BB272_800 Depth=1
	s_or_b64 exec, exec, s[26:27]
.LBB272_1261:                           ;   in Loop: Header=BB272_800 Depth=1
	s_or_b64 exec, exec, s[24:25]
.LBB272_1262:                           ;   in Loop: Header=BB272_800 Depth=1
	s_or_b64 exec, exec, s[22:23]
	v_lshrrev_b32_e32 v6, 16, v12
	v_cmp_ne_u16_sdwa s[24:25], v6, v7 src0_sel:BYTE_0 src1_sel:DWORD
	v_mov_b32_e32 v22, 0
	v_mov_b32_e32 v23, 0
	s_and_saveexec_b64 s[22:23], s[24:25]
	s_cbranch_execz .LBB272_1268
; %bb.1263:                             ;   in Loop: Header=BB272_800 Depth=1
	v_cmp_ne_u16_sdwa s[26:27], v6, s28 src0_sel:BYTE_0 src1_sel:DWORD
	v_mov_b32_e32 v23, 0x8000
	s_and_saveexec_b64 s[24:25], s[26:27]
	s_cbranch_execz .LBB272_1267
; %bb.1264:                             ;   in Loop: Header=BB272_800 Depth=1
	v_bfe_u32 v0, v12, 16, 7
	v_cmp_ne_u32_e32 vcc, s29, v0
	v_mov_b32_e32 v23, 0x7c01
	s_and_saveexec_b64 s[26:27], vcc
	s_cbranch_execz .LBB272_1266
; %bb.1265:                             ;   in Loop: Header=BB272_800 Depth=1
	v_and_b32_e32 v17, 7, v6
	v_lshrrev_b32_e32 v18, 3, v0
	v_cmp_gt_u32_e32 vcc, 8, v0
	v_ffbh_u32_e32 v0, v17
	v_min_u32_e32 v23, 32, v0
	v_subrev_u32_e32 v0, 28, v23
	v_lshlrev_b64 v[0:1], v0, v[6:7]
	v_sub_u32_e32 v1, 29, v23
	v_cndmask_b32_e32 v1, v18, v1, vcc
	v_lshl_add_u32 v1, v1, 10, v53
	v_lshlrev_b32_e32 v6, 8, v6
	v_and_b32_e32 v0, 7, v0
	v_and_b32_e32 v1, 0xfc00, v1
	v_cndmask_b32_e32 v0, v17, v0, vcc
	v_and_or_b32 v1, v6, s40, v1
	v_lshl_or_b32 v23, v0, 7, v1
.LBB272_1266:                           ;   in Loop: Header=BB272_800 Depth=1
	s_or_b64 exec, exec, s[26:27]
.LBB272_1267:                           ;   in Loop: Header=BB272_800 Depth=1
	s_or_b64 exec, exec, s[24:25]
.LBB272_1268:                           ;   in Loop: Header=BB272_800 Depth=1
	s_or_b64 exec, exec, s[22:23]
	v_cmp_lt_u32_e32 vcc, s11, v12
	s_and_saveexec_b64 s[22:23], vcc
	s_cbranch_execz .LBB272_1274
; %bb.1269:                             ;   in Loop: Header=BB272_800 Depth=1
	v_lshrrev_b32_e32 v6, 24, v12
	v_cmp_ne_u32_e32 vcc, s28, v6
	v_bfrev_b32_e32 v22, 1
	s_and_saveexec_b64 s[24:25], vcc
	s_cbranch_execz .LBB272_1273
; %bb.1270:                             ;   in Loop: Header=BB272_800 Depth=1
	v_and_b32_e32 v0, 0x7f, v6
	v_cmp_ne_u32_e32 vcc, s29, v0
	v_mov_b32_e32 v22, 0x7c010000
	s_and_saveexec_b64 s[26:27], vcc
	s_cbranch_execz .LBB272_1272
; %bb.1271:                             ;   in Loop: Header=BB272_800 Depth=1
	v_and_b32_e32 v17, 7, v6
	v_lshrrev_b32_e32 v18, 3, v0
	v_cmp_gt_u32_e32 vcc, 8, v0
	v_ffbh_u32_e32 v0, v17
	v_min_u32_e32 v22, 32, v0
	v_subrev_u32_e32 v0, 28, v22
	v_lshlrev_b64 v[0:1], v0, v[6:7]
	v_sub_u32_e32 v1, 29, v22
	v_cndmask_b32_e32 v1, v18, v1, vcc
	v_lshlrev_b32_e32 v6, 8, v6
	v_lshl_add_u32 v1, v1, 10, v53
	v_and_b32_e32 v0, 7, v0
	v_and_or_b32 v1, v6, s40, v1
	v_cndmask_b32_e32 v0, v17, v0, vcc
	v_lshlrev_b32_e32 v1, 16, v1
	v_lshl_or_b32 v22, v0, 23, v1
.LBB272_1272:                           ;   in Loop: Header=BB272_800 Depth=1
	s_or_b64 exec, exec, s[26:27]
.LBB272_1273:                           ;   in Loop: Header=BB272_800 Depth=1
	s_or_b64 exec, exec, s[24:25]
.LBB272_1274:                           ;   in Loop: Header=BB272_800 Depth=1
	s_or_b64 exec, exec, s[22:23]
	v_mov_b32_e32 v6, v13
	v_cmp_ne_u16_sdwa s[24:25], v13, v7 src0_sel:BYTE_0 src1_sel:DWORD
	v_mov_b32_e32 v17, 0
	v_mov_b32_e32 v0, 0
	s_and_saveexec_b64 s[22:23], s[24:25]
	s_cbranch_execz .LBB272_1280
; %bb.1275:                             ;   in Loop: Header=BB272_800 Depth=1
	v_cmp_ne_u16_sdwa s[26:27], v13, s28 src0_sel:BYTE_0 src1_sel:DWORD
	v_mov_b32_e32 v0, 0x8000
	s_and_saveexec_b64 s[24:25], s[26:27]
	s_cbranch_execz .LBB272_1279
; %bb.1276:                             ;   in Loop: Header=BB272_800 Depth=1
	v_and_b32_e32 v1, 0x7f, v13
	v_cmp_ne_u32_e32 vcc, s29, v1
	v_mov_b32_e32 v0, 0x7c01
	s_and_saveexec_b64 s[26:27], vcc
	s_cbranch_execz .LBB272_1278
; %bb.1277:                             ;   in Loop: Header=BB272_800 Depth=1
	v_and_b32_e32 v18, 7, v13
	v_ffbh_u32_e32 v0, v18
	v_min_u32_e32 v28, 32, v0
	v_subrev_u32_e32 v0, 28, v28
	v_lshrrev_b32_e32 v26, 3, v1
	v_cmp_gt_u32_e32 vcc, 8, v1
	v_lshlrev_b64 v[0:1], v0, v[6:7]
	v_sub_u32_e32 v1, 29, v28
	v_cndmask_b32_e32 v1, v26, v1, vcc
	v_lshl_add_u32 v1, v1, 10, v53
	v_lshlrev_b32_e32 v26, 8, v13
	v_and_b32_e32 v0, 7, v0
	v_and_b32_e32 v1, 0xfc00, v1
	v_cndmask_b32_e32 v0, v18, v0, vcc
	v_and_or_b32 v1, v26, s40, v1
	v_lshl_or_b32 v0, v0, 7, v1
.LBB272_1278:                           ;   in Loop: Header=BB272_800 Depth=1
	s_or_b64 exec, exec, s[26:27]
.LBB272_1279:                           ;   in Loop: Header=BB272_800 Depth=1
	s_or_b64 exec, exec, s[24:25]
.LBB272_1280:                           ;   in Loop: Header=BB272_800 Depth=1
	s_or_b64 exec, exec, s[22:23]
	v_lshrrev_b16_e32 v6, 8, v6
	v_cmp_ne_u16_e32 vcc, 0, v6
	v_mov_b32_e32 v1, 0
	s_and_saveexec_b64 s[22:23], vcc
	s_cbranch_execz .LBB272_1286
; %bb.1281:                             ;   in Loop: Header=BB272_800 Depth=1
	v_cmp_ne_u16_e32 vcc, s28, v6
	v_bfrev_b32_e32 v1, 1
	s_and_saveexec_b64 s[24:25], vcc
	s_cbranch_execz .LBB272_1285
; %bb.1282:                             ;   in Loop: Header=BB272_800 Depth=1
	v_and_b32_e32 v18, 0x7f, v6
	v_cmp_ne_u32_e32 vcc, s29, v18
	v_mov_b32_e32 v1, 0x7c010000
	s_and_saveexec_b64 s[26:27], vcc
	s_cbranch_execz .LBB272_1284
; %bb.1283:                             ;   in Loop: Header=BB272_800 Depth=1
	v_and_b32_e32 v1, 7, v6
	v_lshrrev_b32_e32 v26, 3, v18
	v_cmp_gt_u32_e32 vcc, 8, v18
	v_ffbh_u32_e32 v18, v1
	v_min_u32_e32 v18, 32, v18
	v_subrev_u32_e32 v28, 28, v18
	v_sub_u32_e32 v18, 29, v18
	v_lshlrev_b64 v[57:58], v28, v[6:7]
	v_cndmask_b32_e32 v18, v26, v18, vcc
	v_lshlrev_b32_e32 v6, 8, v6
	v_lshl_add_u32 v18, v18, 10, v53
	v_and_b32_e32 v26, 7, v57
	v_and_or_b32 v6, v6, s40, v18
	v_cndmask_b32_e32 v1, v1, v26, vcc
	v_lshlrev_b32_e32 v6, 16, v6
	v_lshl_or_b32 v1, v1, 23, v6
.LBB272_1284:                           ;   in Loop: Header=BB272_800 Depth=1
	s_or_b64 exec, exec, s[26:27]
.LBB272_1285:                           ;   in Loop: Header=BB272_800 Depth=1
	s_or_b64 exec, exec, s[24:25]
.LBB272_1286:                           ;   in Loop: Header=BB272_800 Depth=1
	s_or_b64 exec, exec, s[22:23]
	v_lshrrev_b32_e32 v6, 16, v13
	v_cmp_ne_u16_sdwa s[24:25], v6, v7 src0_sel:BYTE_0 src1_sel:DWORD
	s_and_saveexec_b64 s[22:23], s[24:25]
	s_cbranch_execz .LBB272_1292
; %bb.1287:                             ;   in Loop: Header=BB272_800 Depth=1
	v_cmp_ne_u16_sdwa s[26:27], v6, s28 src0_sel:BYTE_0 src1_sel:DWORD
	v_mov_b32_e32 v17, 0x8000
	s_and_saveexec_b64 s[24:25], s[26:27]
	s_cbranch_execz .LBB272_1291
; %bb.1288:                             ;   in Loop: Header=BB272_800 Depth=1
	v_bfe_u32 v18, v13, 16, 7
	v_cmp_ne_u32_e32 vcc, s29, v18
	v_mov_b32_e32 v17, 0x7c01
	s_and_saveexec_b64 s[26:27], vcc
	s_cbranch_execz .LBB272_1290
; %bb.1289:                             ;   in Loop: Header=BB272_800 Depth=1
	v_and_b32_e32 v26, 7, v6
	v_ffbh_u32_e32 v17, v26
	v_min_u32_e32 v29, 32, v17
	v_subrev_u32_e32 v17, 28, v29
	v_lshrrev_b32_e32 v28, 3, v18
	v_cmp_gt_u32_e32 vcc, 8, v18
	v_lshlrev_b64 v[17:18], v17, v[6:7]
	v_sub_u32_e32 v18, 29, v29
	v_cndmask_b32_e32 v18, v28, v18, vcc
	v_lshl_add_u32 v18, v18, 10, v53
	v_lshlrev_b32_e32 v6, 8, v6
	v_and_b32_e32 v17, 7, v17
	v_and_b32_e32 v18, 0xfc00, v18
	v_cndmask_b32_e32 v17, v26, v17, vcc
	v_and_or_b32 v6, v6, s40, v18
	v_lshl_or_b32 v17, v17, 7, v6
.LBB272_1290:                           ;   in Loop: Header=BB272_800 Depth=1
	s_or_b64 exec, exec, s[26:27]
.LBB272_1291:                           ;   in Loop: Header=BB272_800 Depth=1
	s_or_b64 exec, exec, s[24:25]
.LBB272_1292:                           ;   in Loop: Header=BB272_800 Depth=1
	s_or_b64 exec, exec, s[22:23]
	v_cmp_lt_u64_e32 vcc, s[10:11], v[12:13]
	v_mov_b32_e32 v12, 0
	s_and_saveexec_b64 s[22:23], vcc
	s_cbranch_execz .LBB272_1298
; %bb.1293:                             ;   in Loop: Header=BB272_800 Depth=1
	v_lshrrev_b32_e32 v6, 24, v13
	v_cmp_ne_u32_e32 vcc, s28, v6
	v_bfrev_b32_e32 v12, 1
	s_and_saveexec_b64 s[24:25], vcc
	s_cbranch_execz .LBB272_1297
; %bb.1294:                             ;   in Loop: Header=BB272_800 Depth=1
	v_and_b32_e32 v13, 0x7f, v6
	v_cmp_ne_u32_e32 vcc, s29, v13
	v_mov_b32_e32 v12, 0x7c010000
	s_and_saveexec_b64 s[26:27], vcc
	s_cbranch_execz .LBB272_1296
; %bb.1295:                             ;   in Loop: Header=BB272_800 Depth=1
	v_and_b32_e32 v18, 7, v6
	v_ffbh_u32_e32 v12, v18
	v_min_u32_e32 v28, 32, v12
	v_subrev_u32_e32 v12, 28, v28
	v_lshrrev_b32_e32 v26, 3, v13
	v_cmp_gt_u32_e32 vcc, 8, v13
	v_lshlrev_b64 v[12:13], v12, v[6:7]
	v_sub_u32_e32 v13, 29, v28
	v_cndmask_b32_e32 v13, v26, v13, vcc
	v_lshlrev_b32_e32 v6, 8, v6
	v_lshl_add_u32 v13, v13, 10, v53
	v_and_b32_e32 v12, 7, v12
	v_and_or_b32 v6, v6, s40, v13
	v_cndmask_b32_e32 v12, v18, v12, vcc
	v_lshlrev_b32_e32 v6, 16, v6
	v_lshl_or_b32 v12, v12, 23, v6
.LBB272_1296:                           ;   in Loop: Header=BB272_800 Depth=1
	s_or_b64 exec, exec, s[26:27]
.LBB272_1297:                           ;   in Loop: Header=BB272_800 Depth=1
	s_or_b64 exec, exec, s[24:25]
.LBB272_1298:                           ;   in Loop: Header=BB272_800 Depth=1
	s_or_b64 exec, exec, s[22:23]
	s_waitcnt vmcnt(0) lgkmcnt(0)
	v_fma_mixlo_f16 v13, v5, v22, 0 op_sel:[0,1,0] op_sel_hi:[0,1,0]
	v_or_b32_e32 v6, v22, v23
	v_lshlrev_b32_e32 v18, 16, v13
	v_or_b32_e32 v13, v15, v16
	v_or_b32_e32 v0, v1, v0
	v_or_b32_e32 v17, v12, v17
	v_fma_mixlo_f16 v6, v5, v6, 0 op_sel_hi:[0,1,0]
	v_fma_mixlo_f16 v15, v5, v15, 0 op_sel:[0,1,0] op_sel_hi:[0,1,0]
	v_fma_mixlo_f16 v13, v5, v13, 0 op_sel_hi:[0,1,0]
	v_fma_mixlo_f16 v1, v5, v1, 0 op_sel:[0,1,0] op_sel_hi:[0,1,0]
	v_fma_mixlo_f16 v0, v5, v0, 0 op_sel_hi:[0,1,0]
	v_fma_mixlo_f16 v17, v5, v17, 0 op_sel_hi:[0,1,0]
	v_fma_mixlo_f16 v5, v5, v12, 0 op_sel:[0,1,0] op_sel_hi:[0,1,0]
	v_and_b32_e32 v22, 0xffff, v6
	v_lshlrev_b32_e32 v15, 16, v15
	v_and_b32_e32 v23, 0xffff, v13
	v_lshlrev_b32_e32 v1, 16, v1
	;; [unrolled: 2-line block ×3, first 2 shown]
	v_and_b32_e32 v12, 0xffff, v17
	v_or_b32_e32 v6, v18, v22
	v_or_b32_e32 v13, v15, v23
	;; [unrolled: 1-line block ×4, first 2 shown]
	s_and_saveexec_b64 s[22:23], s[6:7]
	s_cbranch_execz .LBB272_1300
; %bb.1299:                             ;   in Loop: Header=BB272_800 Depth=1
	v_cmp_lt_i32_e32 vcc, v54, v27
	v_cndmask_b32_e32 v0, 0, v23, vcc
	v_cmp_lt_i32_e32 vcc, v56, v27
	v_cndmask_b32_e32 v6, 0, v15, vcc
	v_cmp_lt_i32_e32 vcc, v47, v27
	v_or_b32_e32 v13, v0, v6
	v_cndmask_b32_e32 v0, 0, v22, vcc
	v_cmp_lt_i32_e32 vcc, v46, v27
	v_cndmask_b32_e32 v6, 0, v18, vcc
	v_cmp_lt_i32_e32 vcc, v45, v27
	v_or_b32_e32 v6, v0, v6
	v_cndmask_b32_e32 v0, 0, v16, vcc
	v_cmp_lt_i32_e32 vcc, v44, v27
	v_cndmask_b32_e32 v1, 0, v1, vcc
	v_cmp_lt_i32_e32 vcc, v43, v27
	v_or_b32_e32 v0, v0, v1
	v_cndmask_b32_e32 v1, 0, v12, vcc
	v_cmp_lt_i32_e32 vcc, v19, v27
	v_cndmask_b32_e32 v5, 0, v5, vcc
	v_or_b32_e32 v17, v1, v5
.LBB272_1300:                           ;   in Loop: Header=BB272_800 Depth=1
	s_or_b64 exec, exec, s[22:23]
	;;#ASMSTART
	v_pk_mul_f16 v1, v55, v13;

	;;#ASMEND
	;;#ASMSTART
	v_pk_mul_f16 v5, v40, v6;

	;;#ASMEND
	;; [unrolled: 4-line block ×4, first 2 shown]
	;;#ASMSTART
	v_pk_add_f16 v1, v1, v5;

	;;#ASMEND
	;;#ASMSTART
	v_pk_add_f16 v0, v1, v0;

	;;#ASMEND
	;; [unrolled: 4-line block ×3, first 2 shown]
	v_lshrrev_b32_e32 v1, 16, v0
	v_and_b32_e32 v0, 0xffff, v0
	;;#ASMSTART
	v_cvt_f32_f16 v5, v0;
	;;#ASMEND
	v_add_co_u32_e32 v0, vcc, 0x1000, v10
	;;#ASMSTART
	v_cvt_f32_f16 v15, v1;
	;;#ASMEND
	v_addc_co_u32_e32 v1, vcc, 0, v11, vcc
	flat_load_dwordx2 v[12:13], v[0:1] offset:1024
	s_nop 0
	buffer_load_dword v0, off, s[0:3], s32 offset:64 ; 4-byte Folded Reload
	buffer_load_dword v1, off, s[0:3], s32 offset:68 ; 4-byte Folded Reload
	v_mov_b32_e32 v22, 0
	v_mov_b32_e32 v23, 0
	s_waitcnt vmcnt(0) lgkmcnt(0)
	v_cmp_ne_u16_sdwa s[24:25], v12, v7 src0_sel:BYTE_0 src1_sel:DWORD
	flat_load_dword v16, v[0:1]
	s_and_saveexec_b64 s[22:23], s[24:25]
	s_cbranch_execz .LBB272_1306
; %bb.1301:                             ;   in Loop: Header=BB272_800 Depth=1
	v_cmp_ne_u16_sdwa s[26:27], v12, s28 src0_sel:BYTE_0 src1_sel:DWORD
	v_mov_b32_e32 v23, 0x8000
	s_and_saveexec_b64 s[24:25], s[26:27]
	s_cbranch_execz .LBB272_1305
; %bb.1302:                             ;   in Loop: Header=BB272_800 Depth=1
	v_and_b32_e32 v0, 0x7f, v12
	v_cmp_ne_u32_e32 vcc, s29, v0
	v_mov_b32_e32 v23, 0x7c01
	s_and_saveexec_b64 s[26:27], vcc
	s_cbranch_execz .LBB272_1304
; %bb.1303:                             ;   in Loop: Header=BB272_800 Depth=1
	v_and_b32_e32 v6, 7, v12
	v_lshrrev_b32_e32 v17, 3, v0
	v_cmp_gt_u32_e32 vcc, 8, v0
	v_ffbh_u32_e32 v0, v6
	v_min_u32_e32 v18, 32, v0
	v_subrev_u32_e32 v0, 28, v18
	v_lshlrev_b64 v[0:1], v0, v[12:13]
	v_sub_u32_e32 v1, 29, v18
	v_cndmask_b32_e32 v1, v17, v1, vcc
	v_lshl_add_u32 v1, v1, 10, v53
	v_lshlrev_b32_e32 v17, 8, v12
	v_and_b32_e32 v0, 7, v0
	v_and_b32_e32 v1, 0xfc00, v1
	v_cndmask_b32_e32 v0, v6, v0, vcc
	v_and_or_b32 v1, v17, s40, v1
	v_lshl_or_b32 v23, v0, 7, v1
.LBB272_1304:                           ;   in Loop: Header=BB272_800 Depth=1
	s_or_b64 exec, exec, s[26:27]
.LBB272_1305:                           ;   in Loop: Header=BB272_800 Depth=1
	s_or_b64 exec, exec, s[24:25]
.LBB272_1306:                           ;   in Loop: Header=BB272_800 Depth=1
	s_or_b64 exec, exec, s[22:23]
	v_lshrrev_b16_e32 v6, 8, v12
	v_cmp_ne_u16_e32 vcc, 0, v6
	s_and_saveexec_b64 s[22:23], vcc
	s_cbranch_execz .LBB272_1312
; %bb.1307:                             ;   in Loop: Header=BB272_800 Depth=1
	v_cmp_ne_u16_e32 vcc, s28, v6
	v_bfrev_b32_e32 v22, 1
	s_and_saveexec_b64 s[24:25], vcc
	s_cbranch_execz .LBB272_1311
; %bb.1308:                             ;   in Loop: Header=BB272_800 Depth=1
	v_and_b32_e32 v0, 0x7f, v6
	v_cmp_ne_u32_e32 vcc, s29, v0
	v_mov_b32_e32 v22, 0x7c010000
	s_and_saveexec_b64 s[26:27], vcc
	s_cbranch_execz .LBB272_1310
; %bb.1309:                             ;   in Loop: Header=BB272_800 Depth=1
	v_and_b32_e32 v17, 7, v6
	v_lshrrev_b32_e32 v18, 3, v0
	v_cmp_gt_u32_e32 vcc, 8, v0
	v_ffbh_u32_e32 v0, v17
	v_min_u32_e32 v22, 32, v0
	v_subrev_u32_e32 v0, 28, v22
	v_lshlrev_b64 v[0:1], v0, v[6:7]
	v_sub_u32_e32 v1, 29, v22
	v_cndmask_b32_e32 v1, v18, v1, vcc
	v_lshlrev_b32_e32 v6, 8, v6
	v_lshl_add_u32 v1, v1, 10, v53
	v_and_b32_e32 v0, 7, v0
	v_and_or_b32 v1, v6, s40, v1
	v_cndmask_b32_e32 v0, v17, v0, vcc
	v_lshlrev_b32_e32 v1, 16, v1
	v_lshl_or_b32 v22, v0, 23, v1
.LBB272_1310:                           ;   in Loop: Header=BB272_800 Depth=1
	s_or_b64 exec, exec, s[26:27]
.LBB272_1311:                           ;   in Loop: Header=BB272_800 Depth=1
	s_or_b64 exec, exec, s[24:25]
.LBB272_1312:                           ;   in Loop: Header=BB272_800 Depth=1
	s_or_b64 exec, exec, s[22:23]
	v_lshrrev_b32_e32 v6, 16, v12
	v_cmp_ne_u16_sdwa s[24:25], v6, v7 src0_sel:BYTE_0 src1_sel:DWORD
	v_mov_b32_e32 v57, 0
	v_mov_b32_e32 v58, 0
	s_and_saveexec_b64 s[22:23], s[24:25]
	s_cbranch_execz .LBB272_1318
; %bb.1313:                             ;   in Loop: Header=BB272_800 Depth=1
	v_cmp_ne_u16_sdwa s[26:27], v6, s28 src0_sel:BYTE_0 src1_sel:DWORD
	v_mov_b32_e32 v58, 0x8000
	s_and_saveexec_b64 s[24:25], s[26:27]
	s_cbranch_execz .LBB272_1317
; %bb.1314:                             ;   in Loop: Header=BB272_800 Depth=1
	v_bfe_u32 v0, v12, 16, 7
	v_cmp_ne_u32_e32 vcc, s29, v0
	v_mov_b32_e32 v58, 0x7c01
	s_and_saveexec_b64 s[26:27], vcc
	s_cbranch_execz .LBB272_1316
; %bb.1315:                             ;   in Loop: Header=BB272_800 Depth=1
	v_and_b32_e32 v17, 7, v6
	v_lshrrev_b32_e32 v18, 3, v0
	v_cmp_gt_u32_e32 vcc, 8, v0
	v_ffbh_u32_e32 v0, v17
	v_min_u32_e32 v26, 32, v0
	v_subrev_u32_e32 v0, 28, v26
	v_lshlrev_b64 v[0:1], v0, v[6:7]
	v_sub_u32_e32 v1, 29, v26
	v_cndmask_b32_e32 v1, v18, v1, vcc
	v_lshl_add_u32 v1, v1, 10, v53
	v_lshlrev_b32_e32 v6, 8, v6
	v_and_b32_e32 v0, 7, v0
	v_and_b32_e32 v1, 0xfc00, v1
	v_cndmask_b32_e32 v0, v17, v0, vcc
	v_and_or_b32 v1, v6, s40, v1
	v_lshl_or_b32 v58, v0, 7, v1
.LBB272_1316:                           ;   in Loop: Header=BB272_800 Depth=1
	s_or_b64 exec, exec, s[26:27]
.LBB272_1317:                           ;   in Loop: Header=BB272_800 Depth=1
	s_or_b64 exec, exec, s[24:25]
.LBB272_1318:                           ;   in Loop: Header=BB272_800 Depth=1
	s_or_b64 exec, exec, s[22:23]
	v_cmp_lt_u32_e32 vcc, s11, v12
	s_and_saveexec_b64 s[22:23], vcc
	s_cbranch_execz .LBB272_1324
; %bb.1319:                             ;   in Loop: Header=BB272_800 Depth=1
	v_lshrrev_b32_e32 v6, 24, v12
	v_cmp_ne_u32_e32 vcc, s28, v6
	v_bfrev_b32_e32 v57, 1
	s_and_saveexec_b64 s[24:25], vcc
	s_cbranch_execz .LBB272_1323
; %bb.1320:                             ;   in Loop: Header=BB272_800 Depth=1
	v_and_b32_e32 v0, 0x7f, v6
	v_cmp_ne_u32_e32 vcc, s29, v0
	v_mov_b32_e32 v57, 0x7c010000
	s_and_saveexec_b64 s[26:27], vcc
	s_cbranch_execz .LBB272_1322
; %bb.1321:                             ;   in Loop: Header=BB272_800 Depth=1
	v_and_b32_e32 v17, 7, v6
	v_lshrrev_b32_e32 v18, 3, v0
	v_cmp_gt_u32_e32 vcc, 8, v0
	v_ffbh_u32_e32 v0, v17
	v_min_u32_e32 v26, 32, v0
	v_subrev_u32_e32 v0, 28, v26
	v_lshlrev_b64 v[0:1], v0, v[6:7]
	v_sub_u32_e32 v1, 29, v26
	v_cndmask_b32_e32 v1, v18, v1, vcc
	v_lshlrev_b32_e32 v6, 8, v6
	v_lshl_add_u32 v1, v1, 10, v53
	v_and_b32_e32 v0, 7, v0
	v_and_or_b32 v1, v6, s40, v1
	v_cndmask_b32_e32 v0, v17, v0, vcc
	v_lshlrev_b32_e32 v1, 16, v1
	v_lshl_or_b32 v57, v0, 23, v1
.LBB272_1322:                           ;   in Loop: Header=BB272_800 Depth=1
	s_or_b64 exec, exec, s[26:27]
.LBB272_1323:                           ;   in Loop: Header=BB272_800 Depth=1
	s_or_b64 exec, exec, s[24:25]
.LBB272_1324:                           ;   in Loop: Header=BB272_800 Depth=1
	s_or_b64 exec, exec, s[22:23]
	v_mov_b32_e32 v6, v13
	v_cmp_ne_u16_sdwa s[24:25], v13, v7 src0_sel:BYTE_0 src1_sel:DWORD
	v_mov_b32_e32 v17, 0
	v_mov_b32_e32 v0, 0
	s_and_saveexec_b64 s[22:23], s[24:25]
	s_cbranch_execz .LBB272_1330
; %bb.1325:                             ;   in Loop: Header=BB272_800 Depth=1
	v_cmp_ne_u16_sdwa s[26:27], v13, s28 src0_sel:BYTE_0 src1_sel:DWORD
	v_mov_b32_e32 v0, 0x8000
	s_and_saveexec_b64 s[24:25], s[26:27]
	s_cbranch_execz .LBB272_1329
; %bb.1326:                             ;   in Loop: Header=BB272_800 Depth=1
	v_and_b32_e32 v1, 0x7f, v13
	v_cmp_ne_u32_e32 vcc, s29, v1
	v_mov_b32_e32 v0, 0x7c01
	s_and_saveexec_b64 s[26:27], vcc
	s_cbranch_execz .LBB272_1328
; %bb.1327:                             ;   in Loop: Header=BB272_800 Depth=1
	v_and_b32_e32 v18, 7, v13
	v_ffbh_u32_e32 v0, v18
	v_min_u32_e32 v28, 32, v0
	v_subrev_u32_e32 v0, 28, v28
	v_lshrrev_b32_e32 v26, 3, v1
	v_cmp_gt_u32_e32 vcc, 8, v1
	v_lshlrev_b64 v[0:1], v0, v[6:7]
	v_sub_u32_e32 v1, 29, v28
	v_cndmask_b32_e32 v1, v26, v1, vcc
	v_lshl_add_u32 v1, v1, 10, v53
	v_lshlrev_b32_e32 v26, 8, v13
	v_and_b32_e32 v0, 7, v0
	v_and_b32_e32 v1, 0xfc00, v1
	v_cndmask_b32_e32 v0, v18, v0, vcc
	v_and_or_b32 v1, v26, s40, v1
	v_lshl_or_b32 v0, v0, 7, v1
.LBB272_1328:                           ;   in Loop: Header=BB272_800 Depth=1
	s_or_b64 exec, exec, s[26:27]
.LBB272_1329:                           ;   in Loop: Header=BB272_800 Depth=1
	s_or_b64 exec, exec, s[24:25]
.LBB272_1330:                           ;   in Loop: Header=BB272_800 Depth=1
	s_or_b64 exec, exec, s[22:23]
	v_lshrrev_b16_e32 v6, 8, v6
	v_cmp_ne_u16_e32 vcc, 0, v6
	v_mov_b32_e32 v1, 0
	s_and_saveexec_b64 s[22:23], vcc
	s_cbranch_execz .LBB272_1336
; %bb.1331:                             ;   in Loop: Header=BB272_800 Depth=1
	v_cmp_ne_u16_e32 vcc, s28, v6
	v_bfrev_b32_e32 v1, 1
	s_and_saveexec_b64 s[24:25], vcc
	s_cbranch_execz .LBB272_1335
; %bb.1332:                             ;   in Loop: Header=BB272_800 Depth=1
	v_and_b32_e32 v18, 0x7f, v6
	v_cmp_ne_u32_e32 vcc, s29, v18
	v_mov_b32_e32 v1, 0x7c010000
	s_and_saveexec_b64 s[26:27], vcc
	s_cbranch_execz .LBB272_1334
; %bb.1333:                             ;   in Loop: Header=BB272_800 Depth=1
	v_and_b32_e32 v1, 7, v6
	v_lshrrev_b32_e32 v26, 3, v18
	v_cmp_gt_u32_e32 vcc, 8, v18
	v_ffbh_u32_e32 v18, v1
	v_min_u32_e32 v18, 32, v18
	v_subrev_u32_e32 v28, 28, v18
	v_sub_u32_e32 v18, 29, v18
	v_lshlrev_b64 v[59:60], v28, v[6:7]
	v_cndmask_b32_e32 v18, v26, v18, vcc
	v_lshlrev_b32_e32 v6, 8, v6
	v_lshl_add_u32 v18, v18, 10, v53
	v_and_b32_e32 v26, 7, v59
	v_and_or_b32 v6, v6, s40, v18
	v_cndmask_b32_e32 v1, v1, v26, vcc
	v_lshlrev_b32_e32 v6, 16, v6
	v_lshl_or_b32 v1, v1, 23, v6
.LBB272_1334:                           ;   in Loop: Header=BB272_800 Depth=1
	s_or_b64 exec, exec, s[26:27]
.LBB272_1335:                           ;   in Loop: Header=BB272_800 Depth=1
	s_or_b64 exec, exec, s[24:25]
.LBB272_1336:                           ;   in Loop: Header=BB272_800 Depth=1
	s_or_b64 exec, exec, s[22:23]
	v_lshrrev_b32_e32 v6, 16, v13
	v_cmp_ne_u16_sdwa s[24:25], v6, v7 src0_sel:BYTE_0 src1_sel:DWORD
	s_and_saveexec_b64 s[22:23], s[24:25]
	s_cbranch_execz .LBB272_1342
; %bb.1337:                             ;   in Loop: Header=BB272_800 Depth=1
	v_cmp_ne_u16_sdwa s[26:27], v6, s28 src0_sel:BYTE_0 src1_sel:DWORD
	v_mov_b32_e32 v17, 0x8000
	s_and_saveexec_b64 s[24:25], s[26:27]
	s_cbranch_execz .LBB272_1341
; %bb.1338:                             ;   in Loop: Header=BB272_800 Depth=1
	v_bfe_u32 v18, v13, 16, 7
	v_cmp_ne_u32_e32 vcc, s29, v18
	v_mov_b32_e32 v17, 0x7c01
	s_and_saveexec_b64 s[26:27], vcc
	s_cbranch_execz .LBB272_1340
; %bb.1339:                             ;   in Loop: Header=BB272_800 Depth=1
	v_and_b32_e32 v26, 7, v6
	v_ffbh_u32_e32 v17, v26
	v_min_u32_e32 v29, 32, v17
	v_subrev_u32_e32 v17, 28, v29
	v_lshrrev_b32_e32 v28, 3, v18
	v_cmp_gt_u32_e32 vcc, 8, v18
	v_lshlrev_b64 v[17:18], v17, v[6:7]
	v_sub_u32_e32 v18, 29, v29
	v_cndmask_b32_e32 v18, v28, v18, vcc
	v_lshl_add_u32 v18, v18, 10, v53
	v_lshlrev_b32_e32 v6, 8, v6
	v_and_b32_e32 v17, 7, v17
	v_and_b32_e32 v18, 0xfc00, v18
	v_cndmask_b32_e32 v17, v26, v17, vcc
	v_and_or_b32 v6, v6, s40, v18
	v_lshl_or_b32 v17, v17, 7, v6
.LBB272_1340:                           ;   in Loop: Header=BB272_800 Depth=1
	s_or_b64 exec, exec, s[26:27]
.LBB272_1341:                           ;   in Loop: Header=BB272_800 Depth=1
	s_or_b64 exec, exec, s[24:25]
.LBB272_1342:                           ;   in Loop: Header=BB272_800 Depth=1
	s_or_b64 exec, exec, s[22:23]
	v_cmp_lt_u64_e32 vcc, s[10:11], v[12:13]
	v_mov_b32_e32 v12, 0
	s_and_saveexec_b64 s[22:23], vcc
	s_cbranch_execz .LBB272_1348
; %bb.1343:                             ;   in Loop: Header=BB272_800 Depth=1
	v_lshrrev_b32_e32 v6, 24, v13
	v_cmp_ne_u32_e32 vcc, s28, v6
	v_bfrev_b32_e32 v12, 1
	s_and_saveexec_b64 s[24:25], vcc
	s_cbranch_execz .LBB272_1347
; %bb.1344:                             ;   in Loop: Header=BB272_800 Depth=1
	v_and_b32_e32 v13, 0x7f, v6
	v_cmp_ne_u32_e32 vcc, s29, v13
	v_mov_b32_e32 v12, 0x7c010000
	s_and_saveexec_b64 s[26:27], vcc
	s_cbranch_execz .LBB272_1346
; %bb.1345:                             ;   in Loop: Header=BB272_800 Depth=1
	v_and_b32_e32 v18, 7, v6
	v_ffbh_u32_e32 v12, v18
	v_min_u32_e32 v28, 32, v12
	v_subrev_u32_e32 v12, 28, v28
	v_lshrrev_b32_e32 v26, 3, v13
	v_cmp_gt_u32_e32 vcc, 8, v13
	v_lshlrev_b64 v[12:13], v12, v[6:7]
	v_sub_u32_e32 v13, 29, v28
	v_cndmask_b32_e32 v13, v26, v13, vcc
	v_lshlrev_b32_e32 v6, 8, v6
	v_lshl_add_u32 v13, v13, 10, v53
	v_and_b32_e32 v12, 7, v12
	v_and_or_b32 v6, v6, s40, v13
	v_cndmask_b32_e32 v12, v18, v12, vcc
	v_lshlrev_b32_e32 v6, 16, v6
	v_lshl_or_b32 v12, v12, 23, v6
.LBB272_1346:                           ;   in Loop: Header=BB272_800 Depth=1
	s_or_b64 exec, exec, s[26:27]
.LBB272_1347:                           ;   in Loop: Header=BB272_800 Depth=1
	s_or_b64 exec, exec, s[24:25]
.LBB272_1348:                           ;   in Loop: Header=BB272_800 Depth=1
	s_or_b64 exec, exec, s[22:23]
	s_waitcnt vmcnt(0) lgkmcnt(0)
	v_fma_mixlo_f16 v13, v16, v57, 0 op_sel:[0,1,0] op_sel_hi:[0,1,0]
	v_or_b32_e32 v6, v57, v58
	v_lshlrev_b32_e32 v18, 16, v13
	v_or_b32_e32 v13, v22, v23
	v_or_b32_e32 v0, v1, v0
	;; [unrolled: 1-line block ×3, first 2 shown]
	v_fma_mixlo_f16 v6, v16, v6, 0 op_sel_hi:[0,1,0]
	v_fma_mixlo_f16 v22, v16, v22, 0 op_sel:[0,1,0] op_sel_hi:[0,1,0]
	v_fma_mixlo_f16 v13, v16, v13, 0 op_sel_hi:[0,1,0]
	v_fma_mixlo_f16 v1, v16, v1, 0 op_sel:[0,1,0] op_sel_hi:[0,1,0]
	v_fma_mixlo_f16 v0, v16, v0, 0 op_sel_hi:[0,1,0]
	v_fma_mixlo_f16 v17, v16, v17, 0 op_sel_hi:[0,1,0]
	v_fma_mixlo_f16 v12, v16, v12, 0 op_sel:[0,1,0] op_sel_hi:[0,1,0]
	v_and_b32_e32 v26, 0xffff, v6
	v_lshlrev_b32_e32 v22, 16, v22
	v_and_b32_e32 v57, 0xffff, v13
	v_lshlrev_b32_e32 v1, 16, v1
	;; [unrolled: 2-line block ×3, first 2 shown]
	v_and_b32_e32 v16, 0xffff, v17
	v_or_b32_e32 v6, v18, v26
	v_or_b32_e32 v13, v22, v57
	;; [unrolled: 1-line block ×4, first 2 shown]
	s_and_saveexec_b64 s[22:23], s[6:7]
	s_cbranch_execz .LBB272_1350
; %bb.1349:                             ;   in Loop: Header=BB272_800 Depth=1
	v_cmp_lt_i32_e32 vcc, v54, v27
	v_cndmask_b32_e32 v0, 0, v57, vcc
	v_cmp_lt_i32_e32 vcc, v56, v27
	v_cndmask_b32_e32 v6, 0, v22, vcc
	v_cmp_lt_i32_e32 vcc, v47, v27
	v_or_b32_e32 v13, v0, v6
	v_cndmask_b32_e32 v0, 0, v26, vcc
	v_cmp_lt_i32_e32 vcc, v46, v27
	v_cndmask_b32_e32 v6, 0, v18, vcc
	v_cmp_lt_i32_e32 vcc, v45, v27
	v_or_b32_e32 v6, v0, v6
	v_cndmask_b32_e32 v0, 0, v23, vcc
	v_cmp_lt_i32_e32 vcc, v44, v27
	v_cndmask_b32_e32 v1, 0, v1, vcc
	v_cmp_lt_i32_e32 vcc, v43, v27
	v_or_b32_e32 v0, v0, v1
	v_cndmask_b32_e32 v1, 0, v16, vcc
	v_cmp_lt_i32_e32 vcc, v19, v27
	v_cndmask_b32_e32 v12, 0, v12, vcc
	v_or_b32_e32 v17, v1, v12
.LBB272_1350:                           ;   in Loop: Header=BB272_800 Depth=1
	s_or_b64 exec, exec, s[22:23]
	;;#ASMSTART
	v_pk_mul_f16 v1, v55, v13;

	;;#ASMEND
	;;#ASMSTART
	v_pk_mul_f16 v6, v40, v6;

	;;#ASMEND
	;; [unrolled: 4-line block ×4, first 2 shown]
	;;#ASMSTART
	v_pk_add_f16 v1, v1, v6;

	;;#ASMEND
	;;#ASMSTART
	v_pk_add_f16 v0, v1, v0;

	;;#ASMEND
	;; [unrolled: 4-line block ×3, first 2 shown]
	v_lshrrev_b32_e32 v1, 16, v0
	v_and_b32_e32 v0, 0xffff, v0
	;;#ASMSTART
	v_cvt_f32_f16 v16, v0;
	;;#ASMEND
	v_add_co_u32_e32 v0, vcc, 0x1000, v10
	;;#ASMSTART
	v_cvt_f32_f16 v57, v1;
	;;#ASMEND
	v_addc_co_u32_e32 v1, vcc, 0, v11, vcc
	flat_load_dwordx2 v[12:13], v[0:1] offset:1536
	s_nop 0
	buffer_load_dword v0, off, s[0:3], s32 offset:64 ; 4-byte Folded Reload
	buffer_load_dword v1, off, s[0:3], s32 offset:68 ; 4-byte Folded Reload
	v_mov_b32_e32 v23, 0
	v_mov_b32_e32 v58, 0
	s_waitcnt vmcnt(0) lgkmcnt(0)
	v_cmp_ne_u16_sdwa s[24:25], v12, v7 src0_sel:BYTE_0 src1_sel:DWORD
	flat_load_dword v22, v[0:1]
	s_and_saveexec_b64 s[22:23], s[24:25]
	s_cbranch_execz .LBB272_1356
; %bb.1351:                             ;   in Loop: Header=BB272_800 Depth=1
	v_cmp_ne_u16_sdwa s[26:27], v12, s28 src0_sel:BYTE_0 src1_sel:DWORD
	v_mov_b32_e32 v58, 0x8000
	s_and_saveexec_b64 s[24:25], s[26:27]
	s_cbranch_execz .LBB272_1355
; %bb.1352:                             ;   in Loop: Header=BB272_800 Depth=1
	v_and_b32_e32 v0, 0x7f, v12
	v_cmp_ne_u32_e32 vcc, s29, v0
	v_mov_b32_e32 v58, 0x7c01
	s_and_saveexec_b64 s[26:27], vcc
	s_cbranch_execz .LBB272_1354
; %bb.1353:                             ;   in Loop: Header=BB272_800 Depth=1
	v_and_b32_e32 v6, 7, v12
	v_lshrrev_b32_e32 v17, 3, v0
	v_cmp_gt_u32_e32 vcc, 8, v0
	v_ffbh_u32_e32 v0, v6
	v_min_u32_e32 v18, 32, v0
	v_subrev_u32_e32 v0, 28, v18
	v_lshlrev_b64 v[0:1], v0, v[12:13]
	v_sub_u32_e32 v1, 29, v18
	v_cndmask_b32_e32 v1, v17, v1, vcc
	v_lshl_add_u32 v1, v1, 10, v53
	v_lshlrev_b32_e32 v17, 8, v12
	v_and_b32_e32 v0, 7, v0
	v_and_b32_e32 v1, 0xfc00, v1
	v_cndmask_b32_e32 v0, v6, v0, vcc
	v_and_or_b32 v1, v17, s40, v1
	v_lshl_or_b32 v58, v0, 7, v1
.LBB272_1354:                           ;   in Loop: Header=BB272_800 Depth=1
	s_or_b64 exec, exec, s[26:27]
.LBB272_1355:                           ;   in Loop: Header=BB272_800 Depth=1
	s_or_b64 exec, exec, s[24:25]
.LBB272_1356:                           ;   in Loop: Header=BB272_800 Depth=1
	s_or_b64 exec, exec, s[22:23]
	v_lshrrev_b16_e32 v6, 8, v12
	v_cmp_ne_u16_e32 vcc, 0, v6
	s_and_saveexec_b64 s[22:23], vcc
	s_cbranch_execz .LBB272_1362
; %bb.1357:                             ;   in Loop: Header=BB272_800 Depth=1
	v_cmp_ne_u16_e32 vcc, s28, v6
	v_bfrev_b32_e32 v23, 1
	s_and_saveexec_b64 s[24:25], vcc
	s_cbranch_execz .LBB272_1361
; %bb.1358:                             ;   in Loop: Header=BB272_800 Depth=1
	v_and_b32_e32 v0, 0x7f, v6
	v_cmp_ne_u32_e32 vcc, s29, v0
	v_mov_b32_e32 v23, 0x7c010000
	s_and_saveexec_b64 s[26:27], vcc
	s_cbranch_execz .LBB272_1360
; %bb.1359:                             ;   in Loop: Header=BB272_800 Depth=1
	v_and_b32_e32 v17, 7, v6
	v_lshrrev_b32_e32 v18, 3, v0
	v_cmp_gt_u32_e32 vcc, 8, v0
	v_ffbh_u32_e32 v0, v17
	v_min_u32_e32 v23, 32, v0
	v_subrev_u32_e32 v0, 28, v23
	v_lshlrev_b64 v[0:1], v0, v[6:7]
	v_sub_u32_e32 v1, 29, v23
	v_cndmask_b32_e32 v1, v18, v1, vcc
	v_lshlrev_b32_e32 v6, 8, v6
	v_lshl_add_u32 v1, v1, 10, v53
	v_and_b32_e32 v0, 7, v0
	v_and_or_b32 v1, v6, s40, v1
	v_cndmask_b32_e32 v0, v17, v0, vcc
	v_lshlrev_b32_e32 v1, 16, v1
	v_lshl_or_b32 v23, v0, 23, v1
.LBB272_1360:                           ;   in Loop: Header=BB272_800 Depth=1
	s_or_b64 exec, exec, s[26:27]
.LBB272_1361:                           ;   in Loop: Header=BB272_800 Depth=1
	s_or_b64 exec, exec, s[24:25]
.LBB272_1362:                           ;   in Loop: Header=BB272_800 Depth=1
	s_or_b64 exec, exec, s[22:23]
	v_lshrrev_b32_e32 v6, 16, v12
	v_cmp_ne_u16_sdwa s[24:25], v6, v7 src0_sel:BYTE_0 src1_sel:DWORD
	v_mov_b32_e32 v59, 0
	v_mov_b32_e32 v60, 0
	s_and_saveexec_b64 s[22:23], s[24:25]
	s_cbranch_execz .LBB272_1368
; %bb.1363:                             ;   in Loop: Header=BB272_800 Depth=1
	v_cmp_ne_u16_sdwa s[26:27], v6, s28 src0_sel:BYTE_0 src1_sel:DWORD
	v_mov_b32_e32 v60, 0x8000
	s_and_saveexec_b64 s[24:25], s[26:27]
	s_cbranch_execz .LBB272_1367
; %bb.1364:                             ;   in Loop: Header=BB272_800 Depth=1
	v_bfe_u32 v0, v12, 16, 7
	v_cmp_ne_u32_e32 vcc, s29, v0
	v_mov_b32_e32 v60, 0x7c01
	s_and_saveexec_b64 s[26:27], vcc
	s_cbranch_execz .LBB272_1366
; %bb.1365:                             ;   in Loop: Header=BB272_800 Depth=1
	v_and_b32_e32 v17, 7, v6
	v_lshrrev_b32_e32 v18, 3, v0
	v_cmp_gt_u32_e32 vcc, 8, v0
	v_ffbh_u32_e32 v0, v17
	v_min_u32_e32 v26, 32, v0
	v_subrev_u32_e32 v0, 28, v26
	v_lshlrev_b64 v[0:1], v0, v[6:7]
	v_sub_u32_e32 v1, 29, v26
	v_cndmask_b32_e32 v1, v18, v1, vcc
	v_lshl_add_u32 v1, v1, 10, v53
	v_lshlrev_b32_e32 v6, 8, v6
	v_and_b32_e32 v0, 7, v0
	v_and_b32_e32 v1, 0xfc00, v1
	v_cndmask_b32_e32 v0, v17, v0, vcc
	v_and_or_b32 v1, v6, s40, v1
	v_lshl_or_b32 v60, v0, 7, v1
.LBB272_1366:                           ;   in Loop: Header=BB272_800 Depth=1
	s_or_b64 exec, exec, s[26:27]
.LBB272_1367:                           ;   in Loop: Header=BB272_800 Depth=1
	s_or_b64 exec, exec, s[24:25]
.LBB272_1368:                           ;   in Loop: Header=BB272_800 Depth=1
	s_or_b64 exec, exec, s[22:23]
	v_cmp_lt_u32_e32 vcc, s11, v12
	s_and_saveexec_b64 s[22:23], vcc
	s_cbranch_execz .LBB272_1374
; %bb.1369:                             ;   in Loop: Header=BB272_800 Depth=1
	v_lshrrev_b32_e32 v6, 24, v12
	v_cmp_ne_u32_e32 vcc, s28, v6
	v_bfrev_b32_e32 v59, 1
	s_and_saveexec_b64 s[24:25], vcc
	s_cbranch_execz .LBB272_1373
; %bb.1370:                             ;   in Loop: Header=BB272_800 Depth=1
	v_and_b32_e32 v0, 0x7f, v6
	v_cmp_ne_u32_e32 vcc, s29, v0
	v_mov_b32_e32 v59, 0x7c010000
	s_and_saveexec_b64 s[26:27], vcc
	s_cbranch_execz .LBB272_1372
; %bb.1371:                             ;   in Loop: Header=BB272_800 Depth=1
	v_and_b32_e32 v17, 7, v6
	v_lshrrev_b32_e32 v18, 3, v0
	v_cmp_gt_u32_e32 vcc, 8, v0
	v_ffbh_u32_e32 v0, v17
	v_min_u32_e32 v26, 32, v0
	v_subrev_u32_e32 v0, 28, v26
	v_lshlrev_b64 v[0:1], v0, v[6:7]
	v_sub_u32_e32 v1, 29, v26
	v_cndmask_b32_e32 v1, v18, v1, vcc
	v_lshlrev_b32_e32 v6, 8, v6
	v_lshl_add_u32 v1, v1, 10, v53
	v_and_b32_e32 v0, 7, v0
	v_and_or_b32 v1, v6, s40, v1
	v_cndmask_b32_e32 v0, v17, v0, vcc
	v_lshlrev_b32_e32 v1, 16, v1
	v_lshl_or_b32 v59, v0, 23, v1
.LBB272_1372:                           ;   in Loop: Header=BB272_800 Depth=1
	s_or_b64 exec, exec, s[26:27]
.LBB272_1373:                           ;   in Loop: Header=BB272_800 Depth=1
	s_or_b64 exec, exec, s[24:25]
.LBB272_1374:                           ;   in Loop: Header=BB272_800 Depth=1
	s_or_b64 exec, exec, s[22:23]
	v_mov_b32_e32 v6, v13
	v_cmp_ne_u16_sdwa s[24:25], v13, v7 src0_sel:BYTE_0 src1_sel:DWORD
	v_mov_b32_e32 v17, 0
	v_mov_b32_e32 v0, 0
	s_and_saveexec_b64 s[22:23], s[24:25]
	s_cbranch_execz .LBB272_1380
; %bb.1375:                             ;   in Loop: Header=BB272_800 Depth=1
	v_cmp_ne_u16_sdwa s[26:27], v13, s28 src0_sel:BYTE_0 src1_sel:DWORD
	v_mov_b32_e32 v0, 0x8000
	s_and_saveexec_b64 s[24:25], s[26:27]
	s_cbranch_execz .LBB272_1379
; %bb.1376:                             ;   in Loop: Header=BB272_800 Depth=1
	v_and_b32_e32 v1, 0x7f, v13
	v_cmp_ne_u32_e32 vcc, s29, v1
	v_mov_b32_e32 v0, 0x7c01
	s_and_saveexec_b64 s[26:27], vcc
	s_cbranch_execz .LBB272_1378
; %bb.1377:                             ;   in Loop: Header=BB272_800 Depth=1
	v_and_b32_e32 v18, 7, v13
	v_ffbh_u32_e32 v0, v18
	v_min_u32_e32 v28, 32, v0
	v_subrev_u32_e32 v0, 28, v28
	v_lshrrev_b32_e32 v26, 3, v1
	v_cmp_gt_u32_e32 vcc, 8, v1
	v_lshlrev_b64 v[0:1], v0, v[6:7]
	v_sub_u32_e32 v1, 29, v28
	v_cndmask_b32_e32 v1, v26, v1, vcc
	v_lshl_add_u32 v1, v1, 10, v53
	v_lshlrev_b32_e32 v26, 8, v13
	v_and_b32_e32 v0, 7, v0
	v_and_b32_e32 v1, 0xfc00, v1
	v_cndmask_b32_e32 v0, v18, v0, vcc
	v_and_or_b32 v1, v26, s40, v1
	v_lshl_or_b32 v0, v0, 7, v1
.LBB272_1378:                           ;   in Loop: Header=BB272_800 Depth=1
	s_or_b64 exec, exec, s[26:27]
.LBB272_1379:                           ;   in Loop: Header=BB272_800 Depth=1
	s_or_b64 exec, exec, s[24:25]
.LBB272_1380:                           ;   in Loop: Header=BB272_800 Depth=1
	s_or_b64 exec, exec, s[22:23]
	v_lshrrev_b16_e32 v6, 8, v6
	v_cmp_ne_u16_e32 vcc, 0, v6
	v_mov_b32_e32 v1, 0
	s_and_saveexec_b64 s[22:23], vcc
	s_cbranch_execz .LBB272_1386
; %bb.1381:                             ;   in Loop: Header=BB272_800 Depth=1
	v_cmp_ne_u16_e32 vcc, s28, v6
	v_bfrev_b32_e32 v1, 1
	s_and_saveexec_b64 s[24:25], vcc
	s_cbranch_execz .LBB272_1385
; %bb.1382:                             ;   in Loop: Header=BB272_800 Depth=1
	v_and_b32_e32 v18, 0x7f, v6
	v_cmp_ne_u32_e32 vcc, s29, v18
	v_mov_b32_e32 v1, 0x7c010000
	s_and_saveexec_b64 s[26:27], vcc
	s_cbranch_execz .LBB272_1384
; %bb.1383:                             ;   in Loop: Header=BB272_800 Depth=1
	v_and_b32_e32 v1, 7, v6
	v_lshrrev_b32_e32 v26, 3, v18
	v_cmp_gt_u32_e32 vcc, 8, v18
	v_ffbh_u32_e32 v18, v1
	v_min_u32_e32 v18, 32, v18
	v_subrev_u32_e32 v28, 28, v18
	v_sub_u32_e32 v18, 29, v18
	v_lshlrev_b64 v[61:62], v28, v[6:7]
	v_cndmask_b32_e32 v18, v26, v18, vcc
	v_lshlrev_b32_e32 v6, 8, v6
	v_lshl_add_u32 v18, v18, 10, v53
	v_and_b32_e32 v26, 7, v61
	v_and_or_b32 v6, v6, s40, v18
	v_cndmask_b32_e32 v1, v1, v26, vcc
	v_lshlrev_b32_e32 v6, 16, v6
	v_lshl_or_b32 v1, v1, 23, v6
.LBB272_1384:                           ;   in Loop: Header=BB272_800 Depth=1
	s_or_b64 exec, exec, s[26:27]
.LBB272_1385:                           ;   in Loop: Header=BB272_800 Depth=1
	s_or_b64 exec, exec, s[24:25]
.LBB272_1386:                           ;   in Loop: Header=BB272_800 Depth=1
	s_or_b64 exec, exec, s[22:23]
	v_lshrrev_b32_e32 v6, 16, v13
	v_cmp_ne_u16_sdwa s[24:25], v6, v7 src0_sel:BYTE_0 src1_sel:DWORD
	s_and_saveexec_b64 s[22:23], s[24:25]
	s_cbranch_execz .LBB272_1392
; %bb.1387:                             ;   in Loop: Header=BB272_800 Depth=1
	v_cmp_ne_u16_sdwa s[26:27], v6, s28 src0_sel:BYTE_0 src1_sel:DWORD
	v_mov_b32_e32 v17, 0x8000
	s_and_saveexec_b64 s[24:25], s[26:27]
	s_cbranch_execz .LBB272_1391
; %bb.1388:                             ;   in Loop: Header=BB272_800 Depth=1
	v_bfe_u32 v18, v13, 16, 7
	v_cmp_ne_u32_e32 vcc, s29, v18
	v_mov_b32_e32 v17, 0x7c01
	s_and_saveexec_b64 s[26:27], vcc
	s_cbranch_execz .LBB272_1390
; %bb.1389:                             ;   in Loop: Header=BB272_800 Depth=1
	v_and_b32_e32 v26, 7, v6
	v_ffbh_u32_e32 v17, v26
	v_min_u32_e32 v29, 32, v17
	v_subrev_u32_e32 v17, 28, v29
	v_lshrrev_b32_e32 v28, 3, v18
	v_cmp_gt_u32_e32 vcc, 8, v18
	v_lshlrev_b64 v[17:18], v17, v[6:7]
	v_sub_u32_e32 v18, 29, v29
	v_cndmask_b32_e32 v18, v28, v18, vcc
	v_lshl_add_u32 v18, v18, 10, v53
	v_lshlrev_b32_e32 v6, 8, v6
	v_and_b32_e32 v17, 7, v17
	v_and_b32_e32 v18, 0xfc00, v18
	v_cndmask_b32_e32 v17, v26, v17, vcc
	v_and_or_b32 v6, v6, s40, v18
	v_lshl_or_b32 v17, v17, 7, v6
.LBB272_1390:                           ;   in Loop: Header=BB272_800 Depth=1
	s_or_b64 exec, exec, s[26:27]
.LBB272_1391:                           ;   in Loop: Header=BB272_800 Depth=1
	s_or_b64 exec, exec, s[24:25]
.LBB272_1392:                           ;   in Loop: Header=BB272_800 Depth=1
	s_or_b64 exec, exec, s[22:23]
	v_cmp_lt_u64_e32 vcc, s[10:11], v[12:13]
	v_mov_b32_e32 v12, 0
	s_and_saveexec_b64 s[22:23], vcc
	s_cbranch_execz .LBB272_1398
; %bb.1393:                             ;   in Loop: Header=BB272_800 Depth=1
	v_lshrrev_b32_e32 v6, 24, v13
	v_cmp_ne_u32_e32 vcc, s28, v6
	v_bfrev_b32_e32 v12, 1
	s_and_saveexec_b64 s[24:25], vcc
	s_cbranch_execz .LBB272_1397
; %bb.1394:                             ;   in Loop: Header=BB272_800 Depth=1
	v_and_b32_e32 v13, 0x7f, v6
	v_cmp_ne_u32_e32 vcc, s29, v13
	v_mov_b32_e32 v12, 0x7c010000
	s_and_saveexec_b64 s[26:27], vcc
	s_cbranch_execz .LBB272_1396
; %bb.1395:                             ;   in Loop: Header=BB272_800 Depth=1
	v_and_b32_e32 v18, 7, v6
	v_ffbh_u32_e32 v12, v18
	v_min_u32_e32 v28, 32, v12
	v_subrev_u32_e32 v12, 28, v28
	v_lshrrev_b32_e32 v26, 3, v13
	v_cmp_gt_u32_e32 vcc, 8, v13
	v_lshlrev_b64 v[12:13], v12, v[6:7]
	v_sub_u32_e32 v13, 29, v28
	v_cndmask_b32_e32 v13, v26, v13, vcc
	v_lshlrev_b32_e32 v6, 8, v6
	v_lshl_add_u32 v13, v13, 10, v53
	v_and_b32_e32 v12, 7, v12
	v_and_or_b32 v6, v6, s40, v13
	v_cndmask_b32_e32 v12, v18, v12, vcc
	v_lshlrev_b32_e32 v6, 16, v6
	v_lshl_or_b32 v12, v12, 23, v6
.LBB272_1396:                           ;   in Loop: Header=BB272_800 Depth=1
	s_or_b64 exec, exec, s[26:27]
.LBB272_1397:                           ;   in Loop: Header=BB272_800 Depth=1
	s_or_b64 exec, exec, s[24:25]
.LBB272_1398:                           ;   in Loop: Header=BB272_800 Depth=1
	s_or_b64 exec, exec, s[22:23]
	s_waitcnt vmcnt(0) lgkmcnt(0)
	v_fma_mixlo_f16 v13, v22, v59, 0 op_sel:[0,1,0] op_sel_hi:[0,1,0]
	v_or_b32_e32 v6, v59, v60
	v_lshlrev_b32_e32 v18, 16, v13
	v_or_b32_e32 v13, v23, v58
	v_or_b32_e32 v0, v1, v0
	;; [unrolled: 1-line block ×3, first 2 shown]
	v_fma_mixlo_f16 v6, v22, v6, 0 op_sel_hi:[0,1,0]
	v_fma_mixlo_f16 v23, v22, v23, 0 op_sel:[0,1,0] op_sel_hi:[0,1,0]
	v_fma_mixlo_f16 v13, v22, v13, 0 op_sel_hi:[0,1,0]
	v_fma_mixlo_f16 v1, v22, v1, 0 op_sel:[0,1,0] op_sel_hi:[0,1,0]
	v_fma_mixlo_f16 v0, v22, v0, 0 op_sel_hi:[0,1,0]
	v_fma_mixlo_f16 v17, v22, v17, 0 op_sel_hi:[0,1,0]
	v_fma_mixlo_f16 v12, v22, v12, 0 op_sel:[0,1,0] op_sel_hi:[0,1,0]
	v_and_b32_e32 v26, 0xffff, v6
	v_lshlrev_b32_e32 v23, 16, v23
	v_and_b32_e32 v59, 0xffff, v13
	v_lshlrev_b32_e32 v1, 16, v1
	;; [unrolled: 2-line block ×3, first 2 shown]
	v_and_b32_e32 v17, 0xffff, v17
	v_or_b32_e32 v6, v18, v26
	v_or_b32_e32 v13, v23, v59
	;; [unrolled: 1-line block ×4, first 2 shown]
	s_and_saveexec_b64 s[22:23], s[6:7]
	s_cbranch_execz .LBB272_1400
; %bb.1399:                             ;   in Loop: Header=BB272_800 Depth=1
	v_cmp_lt_i32_e32 vcc, v54, v27
	v_cndmask_b32_e32 v0, 0, v59, vcc
	v_cmp_lt_i32_e32 vcc, v56, v27
	v_cndmask_b32_e32 v6, 0, v23, vcc
	v_cmp_lt_i32_e32 vcc, v47, v27
	v_or_b32_e32 v13, v0, v6
	v_cndmask_b32_e32 v0, 0, v26, vcc
	v_cmp_lt_i32_e32 vcc, v46, v27
	v_cndmask_b32_e32 v6, 0, v18, vcc
	v_cmp_lt_i32_e32 vcc, v45, v27
	v_or_b32_e32 v6, v0, v6
	;; [unrolled: 5-line block ×3, first 2 shown]
	v_cndmask_b32_e32 v1, 0, v17, vcc
	v_cmp_lt_i32_e32 vcc, v19, v27
	v_cndmask_b32_e32 v12, 0, v12, vcc
	v_or_b32_e32 v22, v1, v12
.LBB272_1400:                           ;   in Loop: Header=BB272_800 Depth=1
	s_or_b64 exec, exec, s[22:23]
	;;#ASMSTART
	v_pk_mul_f16 v1, v55, v13;

	;;#ASMEND
	;;#ASMSTART
	v_pk_mul_f16 v6, v40, v6;

	;;#ASMEND
	;; [unrolled: 4-line block ×4, first 2 shown]
	;;#ASMSTART
	v_pk_add_f16 v1, v1, v6;

	;;#ASMEND
	;;#ASMSTART
	v_pk_add_f16 v0, v1, v0;

	;;#ASMEND
	;; [unrolled: 4-line block ×3, first 2 shown]
	v_lshrrev_b32_e32 v1, 16, v0
	v_and_b32_e32 v0, 0xffff, v0
	;;#ASMSTART
	v_cvt_f32_f16 v58, v0;
	;;#ASMEND
	v_add_co_u32_e32 v0, vcc, 0x1000, v10
	;;#ASMSTART
	v_cvt_f32_f16 v59, v1;
	;;#ASMEND
	v_addc_co_u32_e32 v1, vcc, 0, v11, vcc
	flat_load_dwordx2 v[12:13], v[0:1] offset:2048
	s_nop 0
	buffer_load_dword v0, off, s[0:3], s32 offset:64 ; 4-byte Folded Reload
	buffer_load_dword v1, off, s[0:3], s32 offset:68 ; 4-byte Folded Reload
	v_mov_b32_e32 v23, 0
	v_mov_b32_e32 v60, 0
	s_waitcnt vmcnt(0) lgkmcnt(0)
	v_cmp_ne_u16_sdwa s[24:25], v12, v7 src0_sel:BYTE_0 src1_sel:DWORD
	flat_load_dword v22, v[0:1]
	s_and_saveexec_b64 s[22:23], s[24:25]
	s_cbranch_execz .LBB272_1406
; %bb.1401:                             ;   in Loop: Header=BB272_800 Depth=1
	v_cmp_ne_u16_sdwa s[26:27], v12, s28 src0_sel:BYTE_0 src1_sel:DWORD
	v_mov_b32_e32 v60, 0x8000
	s_and_saveexec_b64 s[24:25], s[26:27]
	s_cbranch_execz .LBB272_1405
; %bb.1402:                             ;   in Loop: Header=BB272_800 Depth=1
	v_and_b32_e32 v0, 0x7f, v12
	v_cmp_ne_u32_e32 vcc, s29, v0
	v_mov_b32_e32 v60, 0x7c01
	s_and_saveexec_b64 s[26:27], vcc
	s_cbranch_execz .LBB272_1404
; %bb.1403:                             ;   in Loop: Header=BB272_800 Depth=1
	v_and_b32_e32 v6, 7, v12
	v_lshrrev_b32_e32 v17, 3, v0
	v_cmp_gt_u32_e32 vcc, 8, v0
	v_ffbh_u32_e32 v0, v6
	v_min_u32_e32 v18, 32, v0
	v_subrev_u32_e32 v0, 28, v18
	v_lshlrev_b64 v[0:1], v0, v[12:13]
	v_sub_u32_e32 v1, 29, v18
	v_cndmask_b32_e32 v1, v17, v1, vcc
	v_lshl_add_u32 v1, v1, 10, v53
	v_lshlrev_b32_e32 v17, 8, v12
	v_and_b32_e32 v0, 7, v0
	v_and_b32_e32 v1, 0xfc00, v1
	v_cndmask_b32_e32 v0, v6, v0, vcc
	v_and_or_b32 v1, v17, s40, v1
	v_lshl_or_b32 v60, v0, 7, v1
.LBB272_1404:                           ;   in Loop: Header=BB272_800 Depth=1
	s_or_b64 exec, exec, s[26:27]
.LBB272_1405:                           ;   in Loop: Header=BB272_800 Depth=1
	s_or_b64 exec, exec, s[24:25]
.LBB272_1406:                           ;   in Loop: Header=BB272_800 Depth=1
	s_or_b64 exec, exec, s[22:23]
	v_lshrrev_b16_e32 v6, 8, v12
	v_cmp_ne_u16_e32 vcc, 0, v6
	s_and_saveexec_b64 s[22:23], vcc
	s_cbranch_execz .LBB272_1412
; %bb.1407:                             ;   in Loop: Header=BB272_800 Depth=1
	v_cmp_ne_u16_e32 vcc, s28, v6
	v_bfrev_b32_e32 v23, 1
	s_and_saveexec_b64 s[24:25], vcc
	s_cbranch_execz .LBB272_1411
; %bb.1408:                             ;   in Loop: Header=BB272_800 Depth=1
	v_and_b32_e32 v0, 0x7f, v6
	v_cmp_ne_u32_e32 vcc, s29, v0
	v_mov_b32_e32 v23, 0x7c010000
	s_and_saveexec_b64 s[26:27], vcc
	s_cbranch_execz .LBB272_1410
; %bb.1409:                             ;   in Loop: Header=BB272_800 Depth=1
	v_and_b32_e32 v17, 7, v6
	v_lshrrev_b32_e32 v18, 3, v0
	v_cmp_gt_u32_e32 vcc, 8, v0
	v_ffbh_u32_e32 v0, v17
	v_min_u32_e32 v23, 32, v0
	v_subrev_u32_e32 v0, 28, v23
	v_lshlrev_b64 v[0:1], v0, v[6:7]
	v_sub_u32_e32 v1, 29, v23
	v_cndmask_b32_e32 v1, v18, v1, vcc
	v_lshlrev_b32_e32 v6, 8, v6
	v_lshl_add_u32 v1, v1, 10, v53
	v_and_b32_e32 v0, 7, v0
	v_and_or_b32 v1, v6, s40, v1
	v_cndmask_b32_e32 v0, v17, v0, vcc
	v_lshlrev_b32_e32 v1, 16, v1
	v_lshl_or_b32 v23, v0, 23, v1
.LBB272_1410:                           ;   in Loop: Header=BB272_800 Depth=1
	s_or_b64 exec, exec, s[26:27]
.LBB272_1411:                           ;   in Loop: Header=BB272_800 Depth=1
	s_or_b64 exec, exec, s[24:25]
.LBB272_1412:                           ;   in Loop: Header=BB272_800 Depth=1
	s_or_b64 exec, exec, s[22:23]
	v_lshrrev_b32_e32 v6, 16, v12
	v_cmp_ne_u16_sdwa s[24:25], v6, v7 src0_sel:BYTE_0 src1_sel:DWORD
	v_mov_b32_e32 v61, 0
	v_mov_b32_e32 v62, 0
	s_and_saveexec_b64 s[22:23], s[24:25]
	s_cbranch_execz .LBB272_1418
; %bb.1413:                             ;   in Loop: Header=BB272_800 Depth=1
	v_cmp_ne_u16_sdwa s[26:27], v6, s28 src0_sel:BYTE_0 src1_sel:DWORD
	v_mov_b32_e32 v62, 0x8000
	s_and_saveexec_b64 s[24:25], s[26:27]
	s_cbranch_execz .LBB272_1417
; %bb.1414:                             ;   in Loop: Header=BB272_800 Depth=1
	v_bfe_u32 v0, v12, 16, 7
	v_cmp_ne_u32_e32 vcc, s29, v0
	v_mov_b32_e32 v62, 0x7c01
	s_and_saveexec_b64 s[26:27], vcc
	s_cbranch_execz .LBB272_1416
; %bb.1415:                             ;   in Loop: Header=BB272_800 Depth=1
	v_and_b32_e32 v17, 7, v6
	v_lshrrev_b32_e32 v18, 3, v0
	v_cmp_gt_u32_e32 vcc, 8, v0
	v_ffbh_u32_e32 v0, v17
	v_min_u32_e32 v26, 32, v0
	v_subrev_u32_e32 v0, 28, v26
	v_lshlrev_b64 v[0:1], v0, v[6:7]
	v_sub_u32_e32 v1, 29, v26
	v_cndmask_b32_e32 v1, v18, v1, vcc
	v_lshl_add_u32 v1, v1, 10, v53
	v_lshlrev_b32_e32 v6, 8, v6
	v_and_b32_e32 v0, 7, v0
	v_and_b32_e32 v1, 0xfc00, v1
	v_cndmask_b32_e32 v0, v17, v0, vcc
	v_and_or_b32 v1, v6, s40, v1
	v_lshl_or_b32 v62, v0, 7, v1
.LBB272_1416:                           ;   in Loop: Header=BB272_800 Depth=1
	s_or_b64 exec, exec, s[26:27]
.LBB272_1417:                           ;   in Loop: Header=BB272_800 Depth=1
	s_or_b64 exec, exec, s[24:25]
.LBB272_1418:                           ;   in Loop: Header=BB272_800 Depth=1
	s_or_b64 exec, exec, s[22:23]
	v_cmp_lt_u32_e32 vcc, s11, v12
	s_and_saveexec_b64 s[22:23], vcc
	s_cbranch_execz .LBB272_1424
; %bb.1419:                             ;   in Loop: Header=BB272_800 Depth=1
	v_lshrrev_b32_e32 v6, 24, v12
	v_cmp_ne_u32_e32 vcc, s28, v6
	v_bfrev_b32_e32 v61, 1
	s_and_saveexec_b64 s[24:25], vcc
	s_cbranch_execz .LBB272_1423
; %bb.1420:                             ;   in Loop: Header=BB272_800 Depth=1
	v_and_b32_e32 v0, 0x7f, v6
	v_cmp_ne_u32_e32 vcc, s29, v0
	v_mov_b32_e32 v61, 0x7c010000
	s_and_saveexec_b64 s[26:27], vcc
	s_cbranch_execz .LBB272_1422
; %bb.1421:                             ;   in Loop: Header=BB272_800 Depth=1
	v_and_b32_e32 v17, 7, v6
	v_lshrrev_b32_e32 v18, 3, v0
	v_cmp_gt_u32_e32 vcc, 8, v0
	v_ffbh_u32_e32 v0, v17
	v_min_u32_e32 v26, 32, v0
	v_subrev_u32_e32 v0, 28, v26
	v_lshlrev_b64 v[0:1], v0, v[6:7]
	v_sub_u32_e32 v1, 29, v26
	v_cndmask_b32_e32 v1, v18, v1, vcc
	v_lshlrev_b32_e32 v6, 8, v6
	v_lshl_add_u32 v1, v1, 10, v53
	v_and_b32_e32 v0, 7, v0
	v_and_or_b32 v1, v6, s40, v1
	v_cndmask_b32_e32 v0, v17, v0, vcc
	v_lshlrev_b32_e32 v1, 16, v1
	v_lshl_or_b32 v61, v0, 23, v1
.LBB272_1422:                           ;   in Loop: Header=BB272_800 Depth=1
	s_or_b64 exec, exec, s[26:27]
.LBB272_1423:                           ;   in Loop: Header=BB272_800 Depth=1
	s_or_b64 exec, exec, s[24:25]
.LBB272_1424:                           ;   in Loop: Header=BB272_800 Depth=1
	s_or_b64 exec, exec, s[22:23]
	v_mov_b32_e32 v6, v13
	v_cmp_ne_u16_sdwa s[24:25], v13, v7 src0_sel:BYTE_0 src1_sel:DWORD
	v_mov_b32_e32 v17, 0
	v_mov_b32_e32 v0, 0
	s_and_saveexec_b64 s[22:23], s[24:25]
	s_cbranch_execz .LBB272_1430
; %bb.1425:                             ;   in Loop: Header=BB272_800 Depth=1
	v_cmp_ne_u16_sdwa s[26:27], v13, s28 src0_sel:BYTE_0 src1_sel:DWORD
	v_mov_b32_e32 v0, 0x8000
	s_and_saveexec_b64 s[24:25], s[26:27]
	s_cbranch_execz .LBB272_1429
; %bb.1426:                             ;   in Loop: Header=BB272_800 Depth=1
	v_and_b32_e32 v1, 0x7f, v13
	v_cmp_ne_u32_e32 vcc, s29, v1
	v_mov_b32_e32 v0, 0x7c01
	s_and_saveexec_b64 s[26:27], vcc
	s_cbranch_execz .LBB272_1428
; %bb.1427:                             ;   in Loop: Header=BB272_800 Depth=1
	v_and_b32_e32 v18, 7, v13
	v_ffbh_u32_e32 v0, v18
	v_min_u32_e32 v28, 32, v0
	v_subrev_u32_e32 v0, 28, v28
	v_lshrrev_b32_e32 v26, 3, v1
	v_cmp_gt_u32_e32 vcc, 8, v1
	v_lshlrev_b64 v[0:1], v0, v[6:7]
	v_sub_u32_e32 v1, 29, v28
	v_cndmask_b32_e32 v1, v26, v1, vcc
	v_lshl_add_u32 v1, v1, 10, v53
	v_lshlrev_b32_e32 v26, 8, v13
	v_and_b32_e32 v0, 7, v0
	v_and_b32_e32 v1, 0xfc00, v1
	v_cndmask_b32_e32 v0, v18, v0, vcc
	v_and_or_b32 v1, v26, s40, v1
	v_lshl_or_b32 v0, v0, 7, v1
.LBB272_1428:                           ;   in Loop: Header=BB272_800 Depth=1
	s_or_b64 exec, exec, s[26:27]
.LBB272_1429:                           ;   in Loop: Header=BB272_800 Depth=1
	s_or_b64 exec, exec, s[24:25]
.LBB272_1430:                           ;   in Loop: Header=BB272_800 Depth=1
	s_or_b64 exec, exec, s[22:23]
	v_lshrrev_b16_e32 v6, 8, v6
	v_cmp_ne_u16_e32 vcc, 0, v6
	v_mov_b32_e32 v1, 0
	s_and_saveexec_b64 s[22:23], vcc
	s_cbranch_execz .LBB272_1436
; %bb.1431:                             ;   in Loop: Header=BB272_800 Depth=1
	v_cmp_ne_u16_e32 vcc, s28, v6
	v_bfrev_b32_e32 v1, 1
	s_and_saveexec_b64 s[24:25], vcc
	s_cbranch_execz .LBB272_1435
; %bb.1432:                             ;   in Loop: Header=BB272_800 Depth=1
	v_and_b32_e32 v18, 0x7f, v6
	v_cmp_ne_u32_e32 vcc, s29, v18
	v_mov_b32_e32 v1, 0x7c010000
	s_and_saveexec_b64 s[26:27], vcc
	s_cbranch_execz .LBB272_1434
; %bb.1433:                             ;   in Loop: Header=BB272_800 Depth=1
	v_and_b32_e32 v1, 7, v6
	v_lshrrev_b32_e32 v26, 3, v18
	v_cmp_gt_u32_e32 vcc, 8, v18
	v_ffbh_u32_e32 v18, v1
	v_min_u32_e32 v18, 32, v18
	v_subrev_u32_e32 v28, 28, v18
	v_sub_u32_e32 v18, 29, v18
	v_lshlrev_b64 v[28:29], v28, v[6:7]
	v_cndmask_b32_e32 v18, v26, v18, vcc
	v_lshlrev_b32_e32 v6, 8, v6
	v_lshl_add_u32 v18, v18, 10, v53
	v_and_b32_e32 v26, 7, v28
	v_and_or_b32 v6, v6, s40, v18
	v_cndmask_b32_e32 v1, v1, v26, vcc
	v_lshlrev_b32_e32 v6, 16, v6
	v_lshl_or_b32 v1, v1, 23, v6
.LBB272_1434:                           ;   in Loop: Header=BB272_800 Depth=1
	s_or_b64 exec, exec, s[26:27]
.LBB272_1435:                           ;   in Loop: Header=BB272_800 Depth=1
	s_or_b64 exec, exec, s[24:25]
.LBB272_1436:                           ;   in Loop: Header=BB272_800 Depth=1
	s_or_b64 exec, exec, s[22:23]
	v_lshrrev_b32_e32 v6, 16, v13
	v_cmp_ne_u16_sdwa s[24:25], v6, v7 src0_sel:BYTE_0 src1_sel:DWORD
	s_and_saveexec_b64 s[22:23], s[24:25]
	s_cbranch_execz .LBB272_1442
; %bb.1437:                             ;   in Loop: Header=BB272_800 Depth=1
	v_cmp_ne_u16_sdwa s[26:27], v6, s28 src0_sel:BYTE_0 src1_sel:DWORD
	v_mov_b32_e32 v17, 0x8000
	s_and_saveexec_b64 s[24:25], s[26:27]
	s_cbranch_execz .LBB272_1441
; %bb.1438:                             ;   in Loop: Header=BB272_800 Depth=1
	v_bfe_u32 v18, v13, 16, 7
	v_cmp_ne_u32_e32 vcc, s29, v18
	v_mov_b32_e32 v17, 0x7c01
	s_and_saveexec_b64 s[26:27], vcc
	s_cbranch_execz .LBB272_1440
; %bb.1439:                             ;   in Loop: Header=BB272_800 Depth=1
	v_and_b32_e32 v26, 7, v6
	v_ffbh_u32_e32 v17, v26
	v_min_u32_e32 v29, 32, v17
	v_subrev_u32_e32 v17, 28, v29
	v_lshrrev_b32_e32 v28, 3, v18
	v_cmp_gt_u32_e32 vcc, 8, v18
	v_lshlrev_b64 v[17:18], v17, v[6:7]
	v_sub_u32_e32 v18, 29, v29
	v_cndmask_b32_e32 v18, v28, v18, vcc
	v_lshl_add_u32 v18, v18, 10, v53
	v_lshlrev_b32_e32 v6, 8, v6
	v_and_b32_e32 v17, 7, v17
	v_and_b32_e32 v18, 0xfc00, v18
	v_cndmask_b32_e32 v17, v26, v17, vcc
	v_and_or_b32 v6, v6, s40, v18
	v_lshl_or_b32 v17, v17, 7, v6
.LBB272_1440:                           ;   in Loop: Header=BB272_800 Depth=1
	s_or_b64 exec, exec, s[26:27]
.LBB272_1441:                           ;   in Loop: Header=BB272_800 Depth=1
	s_or_b64 exec, exec, s[24:25]
.LBB272_1442:                           ;   in Loop: Header=BB272_800 Depth=1
	s_or_b64 exec, exec, s[22:23]
	v_cmp_lt_u64_e32 vcc, s[10:11], v[12:13]
	v_mov_b32_e32 v12, 0
	s_and_saveexec_b64 s[22:23], vcc
	s_cbranch_execz .LBB272_1448
; %bb.1443:                             ;   in Loop: Header=BB272_800 Depth=1
	v_lshrrev_b32_e32 v6, 24, v13
	v_cmp_ne_u32_e32 vcc, s28, v6
	v_bfrev_b32_e32 v12, 1
	s_and_saveexec_b64 s[24:25], vcc
	s_cbranch_execz .LBB272_1447
; %bb.1444:                             ;   in Loop: Header=BB272_800 Depth=1
	v_and_b32_e32 v13, 0x7f, v6
	v_cmp_ne_u32_e32 vcc, s29, v13
	v_mov_b32_e32 v12, 0x7c010000
	s_and_saveexec_b64 s[26:27], vcc
	s_cbranch_execz .LBB272_1446
; %bb.1445:                             ;   in Loop: Header=BB272_800 Depth=1
	v_and_b32_e32 v18, 7, v6
	v_ffbh_u32_e32 v12, v18
	v_min_u32_e32 v28, 32, v12
	v_subrev_u32_e32 v12, 28, v28
	v_lshrrev_b32_e32 v26, 3, v13
	v_cmp_gt_u32_e32 vcc, 8, v13
	v_lshlrev_b64 v[12:13], v12, v[6:7]
	v_sub_u32_e32 v13, 29, v28
	v_cndmask_b32_e32 v13, v26, v13, vcc
	v_lshlrev_b32_e32 v6, 8, v6
	v_lshl_add_u32 v13, v13, 10, v53
	v_and_b32_e32 v12, 7, v12
	v_and_or_b32 v6, v6, s40, v13
	v_cndmask_b32_e32 v12, v18, v12, vcc
	v_lshlrev_b32_e32 v6, 16, v6
	v_lshl_or_b32 v12, v12, 23, v6
.LBB272_1446:                           ;   in Loop: Header=BB272_800 Depth=1
	s_or_b64 exec, exec, s[26:27]
.LBB272_1447:                           ;   in Loop: Header=BB272_800 Depth=1
	s_or_b64 exec, exec, s[24:25]
.LBB272_1448:                           ;   in Loop: Header=BB272_800 Depth=1
	s_or_b64 exec, exec, s[22:23]
	s_waitcnt vmcnt(0) lgkmcnt(0)
	v_fma_mixlo_f16 v13, v22, v61, 0 op_sel:[0,1,0] op_sel_hi:[0,1,0]
	v_or_b32_e32 v6, v61, v62
	v_lshlrev_b32_e32 v18, 16, v13
	v_or_b32_e32 v13, v23, v60
	v_or_b32_e32 v0, v1, v0
	;; [unrolled: 1-line block ×3, first 2 shown]
	v_fma_mixlo_f16 v6, v22, v6, 0 op_sel_hi:[0,1,0]
	v_fma_mixlo_f16 v23, v22, v23, 0 op_sel:[0,1,0] op_sel_hi:[0,1,0]
	v_fma_mixlo_f16 v13, v22, v13, 0 op_sel_hi:[0,1,0]
	v_fma_mixlo_f16 v1, v22, v1, 0 op_sel:[0,1,0] op_sel_hi:[0,1,0]
	v_fma_mixlo_f16 v0, v22, v0, 0 op_sel_hi:[0,1,0]
	v_fma_mixlo_f16 v17, v22, v17, 0 op_sel_hi:[0,1,0]
	v_fma_mixlo_f16 v12, v22, v12, 0 op_sel:[0,1,0] op_sel_hi:[0,1,0]
	v_and_b32_e32 v26, 0xffff, v6
	v_lshlrev_b32_e32 v23, 16, v23
	v_and_b32_e32 v61, 0xffff, v13
	v_lshlrev_b32_e32 v1, 16, v1
	;; [unrolled: 2-line block ×3, first 2 shown]
	v_and_b32_e32 v17, 0xffff, v17
	v_or_b32_e32 v6, v18, v26
	v_or_b32_e32 v13, v23, v61
	;; [unrolled: 1-line block ×4, first 2 shown]
	s_and_saveexec_b64 s[22:23], s[6:7]
	s_cbranch_execz .LBB272_1450
; %bb.1449:                             ;   in Loop: Header=BB272_800 Depth=1
	v_cmp_lt_i32_e32 vcc, v54, v27
	v_cndmask_b32_e32 v0, 0, v61, vcc
	v_cmp_lt_i32_e32 vcc, v56, v27
	v_cndmask_b32_e32 v6, 0, v23, vcc
	v_cmp_lt_i32_e32 vcc, v47, v27
	v_or_b32_e32 v13, v0, v6
	v_cndmask_b32_e32 v0, 0, v26, vcc
	v_cmp_lt_i32_e32 vcc, v46, v27
	v_cndmask_b32_e32 v6, 0, v18, vcc
	v_cmp_lt_i32_e32 vcc, v45, v27
	v_or_b32_e32 v6, v0, v6
	v_cndmask_b32_e32 v0, 0, v60, vcc
	v_cmp_lt_i32_e32 vcc, v44, v27
	v_cndmask_b32_e32 v1, 0, v1, vcc
	v_cmp_lt_i32_e32 vcc, v43, v27
	v_or_b32_e32 v0, v0, v1
	v_cndmask_b32_e32 v1, 0, v17, vcc
	v_cmp_lt_i32_e32 vcc, v19, v27
	v_cndmask_b32_e32 v12, 0, v12, vcc
	v_or_b32_e32 v22, v1, v12
.LBB272_1450:                           ;   in Loop: Header=BB272_800 Depth=1
	s_or_b64 exec, exec, s[22:23]
	;;#ASMSTART
	v_pk_mul_f16 v1, v55, v13;

	;;#ASMEND
	;;#ASMSTART
	v_pk_mul_f16 v6, v40, v6;

	;;#ASMEND
	;; [unrolled: 4-line block ×4, first 2 shown]
	;;#ASMSTART
	v_pk_add_f16 v1, v1, v6;

	;;#ASMEND
	;;#ASMSTART
	v_pk_add_f16 v0, v1, v0;

	;;#ASMEND
	;; [unrolled: 4-line block ×3, first 2 shown]
	v_lshrrev_b32_e32 v1, 16, v0
	v_and_b32_e32 v0, 0xffff, v0
	;;#ASMSTART
	v_cvt_f32_f16 v22, v0;
	;;#ASMEND
	v_add_co_u32_e32 v0, vcc, 0x1000, v10
	;;#ASMSTART
	v_cvt_f32_f16 v23, v1;
	;;#ASMEND
	v_addc_co_u32_e32 v1, vcc, 0, v11, vcc
	flat_load_dwordx2 v[12:13], v[0:1] offset:2560
	s_nop 0
	buffer_load_dword v0, off, s[0:3], s32 offset:64 ; 4-byte Folded Reload
	buffer_load_dword v1, off, s[0:3], s32 offset:68 ; 4-byte Folded Reload
	v_mov_b32_e32 v61, 0
	v_mov_b32_e32 v62, 0
	s_waitcnt vmcnt(0) lgkmcnt(0)
	v_cmp_ne_u16_sdwa s[24:25], v12, v7 src0_sel:BYTE_0 src1_sel:DWORD
	flat_load_dword v60, v[0:1]
	s_and_saveexec_b64 s[22:23], s[24:25]
	s_cbranch_execz .LBB272_1456
; %bb.1451:                             ;   in Loop: Header=BB272_800 Depth=1
	v_cmp_ne_u16_sdwa s[26:27], v12, s28 src0_sel:BYTE_0 src1_sel:DWORD
	v_mov_b32_e32 v62, 0x8000
	s_and_saveexec_b64 s[24:25], s[26:27]
	s_cbranch_execz .LBB272_1455
; %bb.1452:                             ;   in Loop: Header=BB272_800 Depth=1
	v_and_b32_e32 v0, 0x7f, v12
	v_cmp_ne_u32_e32 vcc, s29, v0
	v_mov_b32_e32 v62, 0x7c01
	s_and_saveexec_b64 s[26:27], vcc
	s_cbranch_execz .LBB272_1454
; %bb.1453:                             ;   in Loop: Header=BB272_800 Depth=1
	v_and_b32_e32 v6, 7, v12
	v_lshrrev_b32_e32 v17, 3, v0
	v_cmp_gt_u32_e32 vcc, 8, v0
	v_ffbh_u32_e32 v0, v6
	v_min_u32_e32 v18, 32, v0
	v_subrev_u32_e32 v0, 28, v18
	v_lshlrev_b64 v[0:1], v0, v[12:13]
	v_sub_u32_e32 v1, 29, v18
	v_cndmask_b32_e32 v1, v17, v1, vcc
	v_lshl_add_u32 v1, v1, 10, v53
	v_lshlrev_b32_e32 v17, 8, v12
	v_and_b32_e32 v0, 7, v0
	v_and_b32_e32 v1, 0xfc00, v1
	v_cndmask_b32_e32 v0, v6, v0, vcc
	v_and_or_b32 v1, v17, s40, v1
	v_lshl_or_b32 v62, v0, 7, v1
.LBB272_1454:                           ;   in Loop: Header=BB272_800 Depth=1
	s_or_b64 exec, exec, s[26:27]
.LBB272_1455:                           ;   in Loop: Header=BB272_800 Depth=1
	s_or_b64 exec, exec, s[24:25]
.LBB272_1456:                           ;   in Loop: Header=BB272_800 Depth=1
	s_or_b64 exec, exec, s[22:23]
	v_lshrrev_b16_e32 v6, 8, v12
	v_cmp_ne_u16_e32 vcc, 0, v6
	s_and_saveexec_b64 s[22:23], vcc
	s_cbranch_execz .LBB272_1462
; %bb.1457:                             ;   in Loop: Header=BB272_800 Depth=1
	v_cmp_ne_u16_e32 vcc, s28, v6
	v_bfrev_b32_e32 v61, 1
	s_and_saveexec_b64 s[24:25], vcc
	s_cbranch_execz .LBB272_1461
; %bb.1458:                             ;   in Loop: Header=BB272_800 Depth=1
	v_and_b32_e32 v0, 0x7f, v6
	v_cmp_ne_u32_e32 vcc, s29, v0
	v_mov_b32_e32 v61, 0x7c010000
	s_and_saveexec_b64 s[26:27], vcc
	s_cbranch_execz .LBB272_1460
; %bb.1459:                             ;   in Loop: Header=BB272_800 Depth=1
	v_and_b32_e32 v17, 7, v6
	v_lshrrev_b32_e32 v18, 3, v0
	v_cmp_gt_u32_e32 vcc, 8, v0
	v_ffbh_u32_e32 v0, v17
	v_min_u32_e32 v26, 32, v0
	v_subrev_u32_e32 v0, 28, v26
	v_lshlrev_b64 v[0:1], v0, v[6:7]
	v_sub_u32_e32 v1, 29, v26
	v_cndmask_b32_e32 v1, v18, v1, vcc
	v_lshlrev_b32_e32 v6, 8, v6
	v_lshl_add_u32 v1, v1, 10, v53
	v_and_b32_e32 v0, 7, v0
	v_and_or_b32 v1, v6, s40, v1
	v_cndmask_b32_e32 v0, v17, v0, vcc
	v_lshlrev_b32_e32 v1, 16, v1
	v_lshl_or_b32 v61, v0, 23, v1
.LBB272_1460:                           ;   in Loop: Header=BB272_800 Depth=1
	s_or_b64 exec, exec, s[26:27]
.LBB272_1461:                           ;   in Loop: Header=BB272_800 Depth=1
	s_or_b64 exec, exec, s[24:25]
.LBB272_1462:                           ;   in Loop: Header=BB272_800 Depth=1
	s_or_b64 exec, exec, s[22:23]
	v_lshrrev_b32_e32 v6, 16, v12
	v_cmp_ne_u16_sdwa s[24:25], v6, v7 src0_sel:BYTE_0 src1_sel:DWORD
	v_mov_b32_e32 v63, 0
	v_mov_b32_e32 v17, 0
	s_and_saveexec_b64 s[22:23], s[24:25]
	s_cbranch_execz .LBB272_1468
; %bb.1463:                             ;   in Loop: Header=BB272_800 Depth=1
	v_cmp_ne_u16_sdwa s[26:27], v6, s28 src0_sel:BYTE_0 src1_sel:DWORD
	v_mov_b32_e32 v17, 0x8000
	s_and_saveexec_b64 s[24:25], s[26:27]
	s_cbranch_execz .LBB272_1467
; %bb.1464:                             ;   in Loop: Header=BB272_800 Depth=1
	v_bfe_u32 v0, v12, 16, 7
	v_cmp_ne_u32_e32 vcc, s29, v0
	v_mov_b32_e32 v17, 0x7c01
	s_and_saveexec_b64 s[26:27], vcc
	s_cbranch_execz .LBB272_1466
; %bb.1465:                             ;   in Loop: Header=BB272_800 Depth=1
	v_and_b32_e32 v17, 7, v6
	v_lshrrev_b32_e32 v18, 3, v0
	v_cmp_gt_u32_e32 vcc, 8, v0
	v_ffbh_u32_e32 v0, v17
	v_min_u32_e32 v26, 32, v0
	v_subrev_u32_e32 v0, 28, v26
	v_lshlrev_b64 v[0:1], v0, v[6:7]
	v_sub_u32_e32 v1, 29, v26
	v_cndmask_b32_e32 v1, v18, v1, vcc
	v_lshl_add_u32 v1, v1, 10, v53
	v_lshlrev_b32_e32 v6, 8, v6
	v_and_b32_e32 v0, 7, v0
	v_and_b32_e32 v1, 0xfc00, v1
	v_cndmask_b32_e32 v0, v17, v0, vcc
	v_and_or_b32 v1, v6, s40, v1
	v_lshl_or_b32 v17, v0, 7, v1
.LBB272_1466:                           ;   in Loop: Header=BB272_800 Depth=1
	s_or_b64 exec, exec, s[26:27]
.LBB272_1467:                           ;   in Loop: Header=BB272_800 Depth=1
	s_or_b64 exec, exec, s[24:25]
.LBB272_1468:                           ;   in Loop: Header=BB272_800 Depth=1
	s_or_b64 exec, exec, s[22:23]
	v_cmp_lt_u32_e32 vcc, s11, v12
	s_and_saveexec_b64 s[22:23], vcc
	s_cbranch_execz .LBB272_1474
; %bb.1469:                             ;   in Loop: Header=BB272_800 Depth=1
	v_lshrrev_b32_e32 v6, 24, v12
	v_cmp_ne_u32_e32 vcc, s28, v6
	v_bfrev_b32_e32 v63, 1
	s_and_saveexec_b64 s[24:25], vcc
	s_cbranch_execz .LBB272_1473
; %bb.1470:                             ;   in Loop: Header=BB272_800 Depth=1
	v_and_b32_e32 v0, 0x7f, v6
	v_cmp_ne_u32_e32 vcc, s29, v0
	v_mov_b32_e32 v63, 0x7c010000
	s_and_saveexec_b64 s[26:27], vcc
	s_cbranch_execz .LBB272_1472
; %bb.1471:                             ;   in Loop: Header=BB272_800 Depth=1
	v_and_b32_e32 v18, 7, v6
	v_lshrrev_b32_e32 v26, 3, v0
	v_cmp_gt_u32_e32 vcc, 8, v0
	v_ffbh_u32_e32 v0, v18
	v_min_u32_e32 v28, 32, v0
	v_subrev_u32_e32 v0, 28, v28
	v_lshlrev_b64 v[0:1], v0, v[6:7]
	v_sub_u32_e32 v1, 29, v28
	v_cndmask_b32_e32 v1, v26, v1, vcc
	v_lshlrev_b32_e32 v6, 8, v6
	v_lshl_add_u32 v1, v1, 10, v53
	v_and_b32_e32 v0, 7, v0
	v_and_or_b32 v1, v6, s40, v1
	v_cndmask_b32_e32 v0, v18, v0, vcc
	v_lshlrev_b32_e32 v1, 16, v1
	v_lshl_or_b32 v63, v0, 23, v1
.LBB272_1472:                           ;   in Loop: Header=BB272_800 Depth=1
	s_or_b64 exec, exec, s[26:27]
.LBB272_1473:                           ;   in Loop: Header=BB272_800 Depth=1
	s_or_b64 exec, exec, s[24:25]
.LBB272_1474:                           ;   in Loop: Header=BB272_800 Depth=1
	s_or_b64 exec, exec, s[22:23]
	v_mov_b32_e32 v6, v13
	v_cmp_ne_u16_sdwa s[24:25], v13, v7 src0_sel:BYTE_0 src1_sel:DWORD
	v_mov_b32_e32 v0, 0
	v_mov_b32_e32 v1, 0
	s_and_saveexec_b64 s[22:23], s[24:25]
	s_cbranch_execz .LBB272_1480
; %bb.1475:                             ;   in Loop: Header=BB272_800 Depth=1
	v_cmp_ne_u16_sdwa s[26:27], v13, s28 src0_sel:BYTE_0 src1_sel:DWORD
	v_mov_b32_e32 v1, 0x8000
	s_and_saveexec_b64 s[24:25], s[26:27]
	s_cbranch_execz .LBB272_1479
; %bb.1476:                             ;   in Loop: Header=BB272_800 Depth=1
	v_and_b32_e32 v18, 0x7f, v13
	v_cmp_ne_u32_e32 vcc, s29, v18
	v_mov_b32_e32 v1, 0x7c01
	s_and_saveexec_b64 s[26:27], vcc
	s_cbranch_execz .LBB272_1478
; %bb.1477:                             ;   in Loop: Header=BB272_800 Depth=1
	v_and_b32_e32 v1, 7, v13
	v_lshrrev_b32_e32 v26, 3, v18
	v_cmp_gt_u32_e32 vcc, 8, v18
	v_ffbh_u32_e32 v18, v1
	v_min_u32_e32 v18, 32, v18
	v_subrev_u32_e32 v28, 28, v18
	v_sub_u32_e32 v18, 29, v18
	v_lshlrev_b64 v[28:29], v28, v[6:7]
	v_cndmask_b32_e32 v18, v26, v18, vcc
	v_lshl_add_u32 v18, v18, 10, v53
	v_lshlrev_b32_e32 v26, 8, v13
	v_and_b32_e32 v28, 7, v28
	v_and_b32_e32 v18, 0xfc00, v18
	v_cndmask_b32_e32 v1, v1, v28, vcc
	v_and_or_b32 v18, v26, s40, v18
	v_lshl_or_b32 v1, v1, 7, v18
.LBB272_1478:                           ;   in Loop: Header=BB272_800 Depth=1
	s_or_b64 exec, exec, s[26:27]
.LBB272_1479:                           ;   in Loop: Header=BB272_800 Depth=1
	s_or_b64 exec, exec, s[24:25]
.LBB272_1480:                           ;   in Loop: Header=BB272_800 Depth=1
	s_or_b64 exec, exec, s[22:23]
	v_lshrrev_b16_e32 v6, 8, v6
	v_cmp_ne_u16_e32 vcc, 0, v6
	v_mov_b32_e32 v18, 0
	s_and_saveexec_b64 s[22:23], vcc
	s_cbranch_execz .LBB272_1486
; %bb.1481:                             ;   in Loop: Header=BB272_800 Depth=1
	v_cmp_ne_u16_e32 vcc, s28, v6
	v_bfrev_b32_e32 v18, 1
	s_and_saveexec_b64 s[24:25], vcc
	s_cbranch_execz .LBB272_1485
; %bb.1482:                             ;   in Loop: Header=BB272_800 Depth=1
	v_and_b32_e32 v26, 0x7f, v6
	v_cmp_ne_u32_e32 vcc, s29, v26
	v_mov_b32_e32 v18, 0x7c010000
	s_and_saveexec_b64 s[26:27], vcc
	s_cbranch_execz .LBB272_1484
; %bb.1483:                             ;   in Loop: Header=BB272_800 Depth=1
	v_and_b32_e32 v18, 7, v6
	v_lshrrev_b32_e32 v14, 3, v26
	v_cmp_gt_u32_e32 vcc, 8, v26
	v_ffbh_u32_e32 v26, v18
	v_min_u32_e32 v26, 32, v26
	v_subrev_u32_e32 v28, 28, v26
	v_sub_u32_e32 v26, 29, v26
	v_lshlrev_b64 v[28:29], v28, v[6:7]
	v_cndmask_b32_e32 v14, v14, v26, vcc
	v_lshlrev_b32_e32 v6, 8, v6
	v_lshl_add_u32 v14, v14, 10, v53
	v_and_b32_e32 v26, 7, v28
	v_and_or_b32 v6, v6, s40, v14
	v_cndmask_b32_e32 v18, v18, v26, vcc
	v_lshlrev_b32_e32 v6, 16, v6
	v_lshl_or_b32 v18, v18, 23, v6
.LBB272_1484:                           ;   in Loop: Header=BB272_800 Depth=1
	s_or_b64 exec, exec, s[26:27]
.LBB272_1485:                           ;   in Loop: Header=BB272_800 Depth=1
	s_or_b64 exec, exec, s[24:25]
.LBB272_1486:                           ;   in Loop: Header=BB272_800 Depth=1
	s_or_b64 exec, exec, s[22:23]
	v_lshrrev_b32_e32 v6, 16, v13
	v_cmp_ne_u16_sdwa s[24:25], v6, v7 src0_sel:BYTE_0 src1_sel:DWORD
	s_and_saveexec_b64 s[22:23], s[24:25]
	s_cbranch_execz .LBB272_1492
; %bb.1487:                             ;   in Loop: Header=BB272_800 Depth=1
	v_cmp_ne_u16_sdwa s[26:27], v6, s28 src0_sel:BYTE_0 src1_sel:DWORD
	v_mov_b32_e32 v0, 0x8000
	s_and_saveexec_b64 s[24:25], s[26:27]
	s_cbranch_execz .LBB272_1491
; %bb.1488:                             ;   in Loop: Header=BB272_800 Depth=1
	v_bfe_u32 v26, v13, 16, 7
	v_cmp_ne_u32_e32 vcc, s29, v26
	v_mov_b32_e32 v0, 0x7c01
	s_and_saveexec_b64 s[26:27], vcc
	s_cbranch_execz .LBB272_1490
; %bb.1489:                             ;   in Loop: Header=BB272_800 Depth=1
	v_and_b32_e32 v0, 7, v6
	v_lshrrev_b32_e32 v14, 3, v26
	v_cmp_gt_u32_e32 vcc, 8, v26
	v_ffbh_u32_e32 v26, v0
	v_min_u32_e32 v26, 32, v26
	v_subrev_u32_e32 v28, 28, v26
	v_sub_u32_e32 v26, 29, v26
	v_lshlrev_b64 v[28:29], v28, v[6:7]
	v_cndmask_b32_e32 v14, v14, v26, vcc
	v_lshl_add_u32 v14, v14, 10, v53
	v_lshlrev_b32_e32 v6, 8, v6
	v_and_b32_e32 v26, 7, v28
	v_and_b32_e32 v14, 0xfc00, v14
	v_cndmask_b32_e32 v0, v0, v26, vcc
	v_and_or_b32 v6, v6, s40, v14
	v_lshl_or_b32 v0, v0, 7, v6
.LBB272_1490:                           ;   in Loop: Header=BB272_800 Depth=1
	s_or_b64 exec, exec, s[26:27]
.LBB272_1491:                           ;   in Loop: Header=BB272_800 Depth=1
	s_or_b64 exec, exec, s[24:25]
.LBB272_1492:                           ;   in Loop: Header=BB272_800 Depth=1
	s_or_b64 exec, exec, s[22:23]
	v_cmp_lt_u64_e32 vcc, s[10:11], v[12:13]
	v_mov_b32_e32 v12, 0
	s_and_saveexec_b64 s[22:23], vcc
	s_cbranch_execz .LBB272_1498
; %bb.1493:                             ;   in Loop: Header=BB272_800 Depth=1
	v_lshrrev_b32_e32 v6, 24, v13
	v_cmp_ne_u32_e32 vcc, s28, v6
	v_bfrev_b32_e32 v12, 1
	s_and_saveexec_b64 s[24:25], vcc
	s_cbranch_execz .LBB272_1497
; %bb.1494:                             ;   in Loop: Header=BB272_800 Depth=1
	v_and_b32_e32 v13, 0x7f, v6
	v_cmp_ne_u32_e32 vcc, s29, v13
	v_mov_b32_e32 v12, 0x7c010000
	s_and_saveexec_b64 s[26:27], vcc
	s_cbranch_execz .LBB272_1496
; %bb.1495:                             ;   in Loop: Header=BB272_800 Depth=1
	v_and_b32_e32 v14, 7, v6
	v_ffbh_u32_e32 v12, v14
	v_min_u32_e32 v28, 32, v12
	v_subrev_u32_e32 v12, 28, v28
	v_lshrrev_b32_e32 v26, 3, v13
	v_cmp_gt_u32_e32 vcc, 8, v13
	v_lshlrev_b64 v[12:13], v12, v[6:7]
	v_sub_u32_e32 v13, 29, v28
	v_cndmask_b32_e32 v13, v26, v13, vcc
	v_lshlrev_b32_e32 v6, 8, v6
	v_lshl_add_u32 v13, v13, 10, v53
	v_and_b32_e32 v12, 7, v12
	v_and_or_b32 v6, v6, s40, v13
	v_cndmask_b32_e32 v12, v14, v12, vcc
	v_lshlrev_b32_e32 v6, 16, v6
	v_lshl_or_b32 v12, v12, 23, v6
.LBB272_1496:                           ;   in Loop: Header=BB272_800 Depth=1
	s_or_b64 exec, exec, s[26:27]
.LBB272_1497:                           ;   in Loop: Header=BB272_800 Depth=1
	s_or_b64 exec, exec, s[24:25]
.LBB272_1498:                           ;   in Loop: Header=BB272_800 Depth=1
	s_or_b64 exec, exec, s[22:23]
	s_waitcnt vmcnt(0) lgkmcnt(0)
	v_fma_mixlo_f16 v13, v60, v63, 0 op_sel:[0,1,0] op_sel_hi:[0,1,0]
	v_fma_mixlo_f16 v14, v60, v61, 0 op_sel:[0,1,0] op_sel_hi:[0,1,0]
	v_or_b32_e32 v6, v63, v17
	v_lshlrev_b32_e32 v17, 16, v13
	v_or_b32_e32 v13, v61, v62
	v_lshlrev_b32_e32 v61, 16, v14
	v_or_b32_e32 v1, v18, v1
	v_fma_mixlo_f16 v14, v60, v18, 0 op_sel:[0,1,0] op_sel_hi:[0,1,0]
	v_or_b32_e32 v0, v12, v0
	v_fma_mixlo_f16 v6, v60, v6, 0 op_sel_hi:[0,1,0]
	v_fma_mixlo_f16 v13, v60, v13, 0 op_sel_hi:[0,1,0]
	v_lshlrev_b32_e32 v18, 16, v14
	v_fma_mixlo_f16 v1, v60, v1, 0 op_sel_hi:[0,1,0]
	v_fma_mixlo_f16 v14, v60, v0, 0 op_sel_hi:[0,1,0]
	v_fma_mixlo_f16 v0, v60, v12, 0 op_sel:[0,1,0] op_sel_hi:[0,1,0]
	v_and_b32_e32 v26, 0xffff, v6
	v_and_b32_e32 v63, 0xffff, v13
	;; [unrolled: 1-line block ×3, first 2 shown]
	v_lshlrev_b32_e32 v0, 16, v0
	v_and_b32_e32 v12, 0xffff, v14
	v_or_b32_e32 v6, v17, v26
	v_or_b32_e32 v13, v61, v63
	;; [unrolled: 1-line block ×4, first 2 shown]
	s_and_saveexec_b64 s[22:23], s[6:7]
	s_cbranch_execz .LBB272_1500
; %bb.1499:                             ;   in Loop: Header=BB272_800 Depth=1
	v_cmp_lt_i32_e32 vcc, v54, v27
	v_cndmask_b32_e32 v1, 0, v63, vcc
	v_cmp_lt_i32_e32 vcc, v56, v27
	v_cndmask_b32_e32 v6, 0, v61, vcc
	v_cmp_lt_i32_e32 vcc, v47, v27
	v_or_b32_e32 v13, v1, v6
	v_cndmask_b32_e32 v1, 0, v26, vcc
	v_cmp_lt_i32_e32 vcc, v46, v27
	v_cndmask_b32_e32 v6, 0, v17, vcc
	v_cmp_lt_i32_e32 vcc, v45, v27
	v_or_b32_e32 v6, v1, v6
	v_cndmask_b32_e32 v1, 0, v62, vcc
	v_cmp_lt_i32_e32 vcc, v44, v27
	v_cndmask_b32_e32 v14, 0, v18, vcc
	v_cmp_lt_i32_e32 vcc, v43, v27
	v_cndmask_b32_e32 v12, 0, v12, vcc
	v_cmp_lt_i32_e32 vcc, v19, v27
	v_cndmask_b32_e32 v0, 0, v0, vcc
	v_or_b32_e32 v1, v1, v14
	v_or_b32_e32 v60, v12, v0
.LBB272_1500:                           ;   in Loop: Header=BB272_800 Depth=1
	s_or_b64 exec, exec, s[22:23]
	;;#ASMSTART
	v_pk_mul_f16 v0, v55, v13;

	;;#ASMEND
	;;#ASMSTART
	v_pk_mul_f16 v6, v40, v6;

	;;#ASMEND
	;; [unrolled: 4-line block ×4, first 2 shown]
	;;#ASMSTART
	v_pk_add_f16 v0, v0, v6;

	;;#ASMEND
	;;#ASMSTART
	v_pk_add_f16 v0, v0, v1;

	;;#ASMEND
	;; [unrolled: 4-line block ×3, first 2 shown]
	v_lshrrev_b32_e32 v1, 16, v0
	v_and_b32_e32 v0, 0xffff, v0
	;;#ASMSTART
	v_cvt_f32_f16 v12, v0;
	;;#ASMEND
	v_add_co_u32_e32 v0, vcc, 0x1000, v10
	;;#ASMSTART
	v_cvt_f32_f16 v13, v1;
	;;#ASMEND
	v_addc_co_u32_e32 v1, vcc, 0, v11, vcc
	flat_load_dwordx2 v[10:11], v[0:1] offset:3072
	s_nop 0
	buffer_load_dword v0, off, s[0:3], s32 offset:64 ; 4-byte Folded Reload
	buffer_load_dword v1, off, s[0:3], s32 offset:68 ; 4-byte Folded Reload
	v_mov_b32_e32 v61, 0
	v_mov_b32_e32 v62, 0
	s_waitcnt vmcnt(0) lgkmcnt(0)
	v_cmp_ne_u16_sdwa s[24:25], v10, v7 src0_sel:BYTE_0 src1_sel:DWORD
	flat_load_dword v60, v[0:1]
	s_and_saveexec_b64 s[22:23], s[24:25]
	s_cbranch_execz .LBB272_1506
; %bb.1501:                             ;   in Loop: Header=BB272_800 Depth=1
	v_cmp_ne_u16_sdwa s[26:27], v10, s28 src0_sel:BYTE_0 src1_sel:DWORD
	v_mov_b32_e32 v62, 0x8000
	s_and_saveexec_b64 s[24:25], s[26:27]
	s_cbranch_execz .LBB272_1505
; %bb.1502:                             ;   in Loop: Header=BB272_800 Depth=1
	v_and_b32_e32 v0, 0x7f, v10
	v_cmp_ne_u32_e32 vcc, s29, v0
	v_mov_b32_e32 v62, 0x7c01
	s_and_saveexec_b64 s[26:27], vcc
	s_cbranch_execz .LBB272_1504
; %bb.1503:                             ;   in Loop: Header=BB272_800 Depth=1
	v_and_b32_e32 v6, 7, v10
	v_lshrrev_b32_e32 v14, 3, v0
	v_cmp_gt_u32_e32 vcc, 8, v0
	v_ffbh_u32_e32 v0, v6
	v_min_u32_e32 v17, 32, v0
	v_subrev_u32_e32 v0, 28, v17
	v_lshlrev_b64 v[0:1], v0, v[10:11]
	v_sub_u32_e32 v1, 29, v17
	v_cndmask_b32_e32 v1, v14, v1, vcc
	v_lshl_add_u32 v1, v1, 10, v53
	v_lshlrev_b32_e32 v14, 8, v10
	v_and_b32_e32 v0, 7, v0
	v_and_b32_e32 v1, 0xfc00, v1
	v_cndmask_b32_e32 v0, v6, v0, vcc
	v_and_or_b32 v1, v14, s40, v1
	v_lshl_or_b32 v62, v0, 7, v1
.LBB272_1504:                           ;   in Loop: Header=BB272_800 Depth=1
	s_or_b64 exec, exec, s[26:27]
.LBB272_1505:                           ;   in Loop: Header=BB272_800 Depth=1
	s_or_b64 exec, exec, s[24:25]
.LBB272_1506:                           ;   in Loop: Header=BB272_800 Depth=1
	s_or_b64 exec, exec, s[22:23]
	v_lshrrev_b16_e32 v6, 8, v10
	v_cmp_ne_u16_e32 vcc, 0, v6
	s_and_saveexec_b64 s[22:23], vcc
	s_cbranch_execz .LBB272_1512
; %bb.1507:                             ;   in Loop: Header=BB272_800 Depth=1
	v_cmp_ne_u16_e32 vcc, s28, v6
	v_bfrev_b32_e32 v61, 1
	s_and_saveexec_b64 s[24:25], vcc
	s_cbranch_execz .LBB272_1511
; %bb.1508:                             ;   in Loop: Header=BB272_800 Depth=1
	v_and_b32_e32 v0, 0x7f, v6
	v_cmp_ne_u32_e32 vcc, s29, v0
	v_mov_b32_e32 v61, 0x7c010000
	s_and_saveexec_b64 s[26:27], vcc
	s_cbranch_execz .LBB272_1510
; %bb.1509:                             ;   in Loop: Header=BB272_800 Depth=1
	v_and_b32_e32 v14, 7, v6
	v_lshrrev_b32_e32 v17, 3, v0
	v_cmp_gt_u32_e32 vcc, 8, v0
	v_ffbh_u32_e32 v0, v14
	v_min_u32_e32 v18, 32, v0
	v_subrev_u32_e32 v0, 28, v18
	v_lshlrev_b64 v[0:1], v0, v[6:7]
	v_sub_u32_e32 v1, 29, v18
	v_cndmask_b32_e32 v1, v17, v1, vcc
	v_lshlrev_b32_e32 v6, 8, v6
	v_lshl_add_u32 v1, v1, 10, v53
	v_and_b32_e32 v0, 7, v0
	v_and_or_b32 v1, v6, s40, v1
	v_cndmask_b32_e32 v0, v14, v0, vcc
	v_lshlrev_b32_e32 v1, 16, v1
	v_lshl_or_b32 v61, v0, 23, v1
.LBB272_1510:                           ;   in Loop: Header=BB272_800 Depth=1
	s_or_b64 exec, exec, s[26:27]
.LBB272_1511:                           ;   in Loop: Header=BB272_800 Depth=1
	s_or_b64 exec, exec, s[24:25]
.LBB272_1512:                           ;   in Loop: Header=BB272_800 Depth=1
	s_or_b64 exec, exec, s[22:23]
	v_lshrrev_b32_e32 v6, 16, v10
	v_cmp_ne_u16_sdwa s[24:25], v6, v7 src0_sel:BYTE_0 src1_sel:DWORD
	v_mov_b32_e32 v63, 0
	v_mov_b32_e32 v17, 0
	s_and_saveexec_b64 s[22:23], s[24:25]
	s_cbranch_execz .LBB272_1518
; %bb.1513:                             ;   in Loop: Header=BB272_800 Depth=1
	v_cmp_ne_u16_sdwa s[26:27], v6, s28 src0_sel:BYTE_0 src1_sel:DWORD
	v_mov_b32_e32 v17, 0x8000
	s_and_saveexec_b64 s[24:25], s[26:27]
	s_cbranch_execz .LBB272_1517
; %bb.1514:                             ;   in Loop: Header=BB272_800 Depth=1
	v_bfe_u32 v0, v10, 16, 7
	v_cmp_ne_u32_e32 vcc, s29, v0
	v_mov_b32_e32 v17, 0x7c01
	s_and_saveexec_b64 s[26:27], vcc
	s_cbranch_execz .LBB272_1516
; %bb.1515:                             ;   in Loop: Header=BB272_800 Depth=1
	v_and_b32_e32 v14, 7, v6
	v_lshrrev_b32_e32 v17, 3, v0
	v_cmp_gt_u32_e32 vcc, 8, v0
	v_ffbh_u32_e32 v0, v14
	v_min_u32_e32 v18, 32, v0
	v_subrev_u32_e32 v0, 28, v18
	v_lshlrev_b64 v[0:1], v0, v[6:7]
	v_sub_u32_e32 v1, 29, v18
	v_cndmask_b32_e32 v1, v17, v1, vcc
	v_lshl_add_u32 v1, v1, 10, v53
	v_lshlrev_b32_e32 v6, 8, v6
	v_and_b32_e32 v0, 7, v0
	v_and_b32_e32 v1, 0xfc00, v1
	v_cndmask_b32_e32 v0, v14, v0, vcc
	v_and_or_b32 v1, v6, s40, v1
	v_lshl_or_b32 v17, v0, 7, v1
.LBB272_1516:                           ;   in Loop: Header=BB272_800 Depth=1
	s_or_b64 exec, exec, s[26:27]
.LBB272_1517:                           ;   in Loop: Header=BB272_800 Depth=1
	s_or_b64 exec, exec, s[24:25]
.LBB272_1518:                           ;   in Loop: Header=BB272_800 Depth=1
	s_or_b64 exec, exec, s[22:23]
	v_cmp_lt_u32_e32 vcc, s11, v10
	s_and_saveexec_b64 s[22:23], vcc
	s_cbranch_execz .LBB272_1524
; %bb.1519:                             ;   in Loop: Header=BB272_800 Depth=1
	v_lshrrev_b32_e32 v6, 24, v10
	v_cmp_ne_u32_e32 vcc, s28, v6
	v_bfrev_b32_e32 v63, 1
	s_and_saveexec_b64 s[24:25], vcc
	s_cbranch_execz .LBB272_1523
; %bb.1520:                             ;   in Loop: Header=BB272_800 Depth=1
	v_and_b32_e32 v0, 0x7f, v6
	v_cmp_ne_u32_e32 vcc, s29, v0
	v_mov_b32_e32 v63, 0x7c010000
	s_and_saveexec_b64 s[26:27], vcc
	s_cbranch_execz .LBB272_1522
; %bb.1521:                             ;   in Loop: Header=BB272_800 Depth=1
	v_and_b32_e32 v14, 7, v6
	v_lshrrev_b32_e32 v18, 3, v0
	v_cmp_gt_u32_e32 vcc, 8, v0
	v_ffbh_u32_e32 v0, v14
	v_min_u32_e32 v26, 32, v0
	v_subrev_u32_e32 v0, 28, v26
	v_lshlrev_b64 v[0:1], v0, v[6:7]
	v_sub_u32_e32 v1, 29, v26
	v_cndmask_b32_e32 v1, v18, v1, vcc
	v_lshlrev_b32_e32 v6, 8, v6
	v_lshl_add_u32 v1, v1, 10, v53
	v_and_b32_e32 v0, 7, v0
	v_and_or_b32 v1, v6, s40, v1
	v_cndmask_b32_e32 v0, v14, v0, vcc
	v_lshlrev_b32_e32 v1, 16, v1
	v_lshl_or_b32 v63, v0, 23, v1
.LBB272_1522:                           ;   in Loop: Header=BB272_800 Depth=1
	s_or_b64 exec, exec, s[26:27]
.LBB272_1523:                           ;   in Loop: Header=BB272_800 Depth=1
	s_or_b64 exec, exec, s[24:25]
.LBB272_1524:                           ;   in Loop: Header=BB272_800 Depth=1
	s_or_b64 exec, exec, s[22:23]
	v_mov_b32_e32 v6, v11
	v_cmp_ne_u16_sdwa s[24:25], v11, v7 src0_sel:BYTE_0 src1_sel:DWORD
	v_mov_b32_e32 v0, 0
	v_mov_b32_e32 v1, 0
	s_and_saveexec_b64 s[22:23], s[24:25]
	s_cbranch_execz .LBB272_1530
; %bb.1525:                             ;   in Loop: Header=BB272_800 Depth=1
	v_cmp_ne_u16_sdwa s[26:27], v11, s28 src0_sel:BYTE_0 src1_sel:DWORD
	v_mov_b32_e32 v1, 0x8000
	s_and_saveexec_b64 s[24:25], s[26:27]
	s_cbranch_execz .LBB272_1529
; %bb.1526:                             ;   in Loop: Header=BB272_800 Depth=1
	v_and_b32_e32 v18, 0x7f, v11
	v_cmp_ne_u32_e32 vcc, s29, v18
	v_mov_b32_e32 v1, 0x7c01
	s_and_saveexec_b64 s[26:27], vcc
	s_cbranch_execz .LBB272_1528
; %bb.1527:                             ;   in Loop: Header=BB272_800 Depth=1
	v_and_b32_e32 v1, 7, v11
	v_lshrrev_b32_e32 v14, 3, v18
	v_cmp_gt_u32_e32 vcc, 8, v18
	v_ffbh_u32_e32 v18, v1
	v_min_u32_e32 v18, 32, v18
	v_subrev_u32_e32 v26, 28, v18
	v_sub_u32_e32 v18, 29, v18
	v_lshlrev_b64 v[28:29], v26, v[6:7]
	v_cndmask_b32_e32 v14, v14, v18, vcc
	v_lshl_add_u32 v14, v14, 10, v53
	v_lshlrev_b32_e32 v18, 8, v11
	v_and_b32_e32 v26, 7, v28
	v_and_b32_e32 v14, 0xfc00, v14
	v_cndmask_b32_e32 v1, v1, v26, vcc
	v_and_or_b32 v14, v18, s40, v14
	v_lshl_or_b32 v1, v1, 7, v14
.LBB272_1528:                           ;   in Loop: Header=BB272_800 Depth=1
	s_or_b64 exec, exec, s[26:27]
.LBB272_1529:                           ;   in Loop: Header=BB272_800 Depth=1
	s_or_b64 exec, exec, s[24:25]
.LBB272_1530:                           ;   in Loop: Header=BB272_800 Depth=1
	s_or_b64 exec, exec, s[22:23]
	v_lshrrev_b16_e32 v6, 8, v6
	v_cmp_ne_u16_e32 vcc, 0, v6
	v_mov_b32_e32 v18, 0
	s_and_saveexec_b64 s[22:23], vcc
	s_cbranch_execz .LBB272_1536
; %bb.1531:                             ;   in Loop: Header=BB272_800 Depth=1
	v_cmp_ne_u16_e32 vcc, s28, v6
	v_bfrev_b32_e32 v18, 1
	s_and_saveexec_b64 s[24:25], vcc
	s_cbranch_execz .LBB272_1535
; %bb.1532:                             ;   in Loop: Header=BB272_800 Depth=1
	v_and_b32_e32 v26, 0x7f, v6
	v_cmp_ne_u32_e32 vcc, s29, v26
	v_mov_b32_e32 v18, 0x7c010000
	s_and_saveexec_b64 s[26:27], vcc
	s_cbranch_execz .LBB272_1534
; %bb.1533:                             ;   in Loop: Header=BB272_800 Depth=1
	v_and_b32_e32 v14, 7, v6
	v_lshrrev_b32_e32 v18, 3, v26
	v_cmp_gt_u32_e32 vcc, 8, v26
	v_ffbh_u32_e32 v26, v14
	v_min_u32_e32 v26, 32, v26
	v_subrev_u32_e32 v28, 28, v26
	v_sub_u32_e32 v26, 29, v26
	v_lshlrev_b64 v[28:29], v28, v[6:7]
	v_cndmask_b32_e32 v18, v18, v26, vcc
	v_lshlrev_b32_e32 v6, 8, v6
	v_lshl_add_u32 v18, v18, 10, v53
	v_and_b32_e32 v26, 7, v28
	v_and_or_b32 v6, v6, s40, v18
	v_cndmask_b32_e32 v14, v14, v26, vcc
	v_lshlrev_b32_e32 v6, 16, v6
	v_lshl_or_b32 v18, v14, 23, v6
.LBB272_1534:                           ;   in Loop: Header=BB272_800 Depth=1
	s_or_b64 exec, exec, s[26:27]
.LBB272_1535:                           ;   in Loop: Header=BB272_800 Depth=1
	s_or_b64 exec, exec, s[24:25]
.LBB272_1536:                           ;   in Loop: Header=BB272_800 Depth=1
	s_or_b64 exec, exec, s[22:23]
	v_lshrrev_b32_e32 v6, 16, v11
	v_cmp_ne_u16_sdwa s[24:25], v6, v7 src0_sel:BYTE_0 src1_sel:DWORD
	s_and_saveexec_b64 s[22:23], s[24:25]
	s_cbranch_execz .LBB272_1542
; %bb.1537:                             ;   in Loop: Header=BB272_800 Depth=1
	v_cmp_ne_u16_sdwa s[26:27], v6, s28 src0_sel:BYTE_0 src1_sel:DWORD
	v_mov_b32_e32 v0, 0x8000
	s_and_saveexec_b64 s[24:25], s[26:27]
	s_cbranch_execz .LBB272_1541
; %bb.1538:                             ;   in Loop: Header=BB272_800 Depth=1
	v_bfe_u32 v26, v11, 16, 7
	v_cmp_ne_u32_e32 vcc, s29, v26
	v_mov_b32_e32 v0, 0x7c01
	s_and_saveexec_b64 s[26:27], vcc
	s_cbranch_execz .LBB272_1540
; %bb.1539:                             ;   in Loop: Header=BB272_800 Depth=1
	v_and_b32_e32 v0, 7, v6
	v_lshrrev_b32_e32 v14, 3, v26
	v_cmp_gt_u32_e32 vcc, 8, v26
	v_ffbh_u32_e32 v26, v0
	v_min_u32_e32 v26, 32, v26
	v_subrev_u32_e32 v28, 28, v26
	v_sub_u32_e32 v26, 29, v26
	v_lshlrev_b64 v[28:29], v28, v[6:7]
	v_cndmask_b32_e32 v14, v14, v26, vcc
	v_lshl_add_u32 v14, v14, 10, v53
	v_lshlrev_b32_e32 v6, 8, v6
	v_and_b32_e32 v26, 7, v28
	v_and_b32_e32 v14, 0xfc00, v14
	v_cndmask_b32_e32 v0, v0, v26, vcc
	v_and_or_b32 v6, v6, s40, v14
	v_lshl_or_b32 v0, v0, 7, v6
.LBB272_1540:                           ;   in Loop: Header=BB272_800 Depth=1
	s_or_b64 exec, exec, s[26:27]
.LBB272_1541:                           ;   in Loop: Header=BB272_800 Depth=1
	s_or_b64 exec, exec, s[24:25]
.LBB272_1542:                           ;   in Loop: Header=BB272_800 Depth=1
	s_or_b64 exec, exec, s[22:23]
	v_cmp_lt_u64_e32 vcc, s[10:11], v[10:11]
	v_mov_b32_e32 v10, 0
	s_and_saveexec_b64 s[22:23], vcc
	s_cbranch_execz .LBB272_1548
; %bb.1543:                             ;   in Loop: Header=BB272_800 Depth=1
	v_lshrrev_b32_e32 v6, 24, v11
	v_cmp_ne_u32_e32 vcc, s28, v6
	v_bfrev_b32_e32 v10, 1
	s_and_saveexec_b64 s[24:25], vcc
	s_cbranch_execz .LBB272_1547
; %bb.1544:                             ;   in Loop: Header=BB272_800 Depth=1
	v_and_b32_e32 v11, 0x7f, v6
	v_cmp_ne_u32_e32 vcc, s29, v11
	v_mov_b32_e32 v10, 0x7c010000
	s_and_saveexec_b64 s[26:27], vcc
	s_cbranch_execz .LBB272_1546
; %bb.1545:                             ;   in Loop: Header=BB272_800 Depth=1
	v_and_b32_e32 v14, 7, v6
	v_ffbh_u32_e32 v10, v14
	v_min_u32_e32 v28, 32, v10
	v_subrev_u32_e32 v10, 28, v28
	v_lshrrev_b32_e32 v26, 3, v11
	v_cmp_gt_u32_e32 vcc, 8, v11
	v_lshlrev_b64 v[10:11], v10, v[6:7]
	v_sub_u32_e32 v11, 29, v28
	v_cndmask_b32_e32 v11, v26, v11, vcc
	v_lshlrev_b32_e32 v6, 8, v6
	v_lshl_add_u32 v11, v11, 10, v53
	v_and_b32_e32 v10, 7, v10
	v_and_or_b32 v6, v6, s40, v11
	v_cndmask_b32_e32 v10, v14, v10, vcc
	v_lshlrev_b32_e32 v6, 16, v6
	v_lshl_or_b32 v10, v10, 23, v6
.LBB272_1546:                           ;   in Loop: Header=BB272_800 Depth=1
	s_or_b64 exec, exec, s[26:27]
.LBB272_1547:                           ;   in Loop: Header=BB272_800 Depth=1
	s_or_b64 exec, exec, s[24:25]
.LBB272_1548:                           ;   in Loop: Header=BB272_800 Depth=1
	s_or_b64 exec, exec, s[22:23]
	s_waitcnt vmcnt(0) lgkmcnt(0)
	v_fma_mixlo_f16 v11, v60, v63, 0 op_sel:[0,1,0] op_sel_hi:[0,1,0]
	v_fma_mixlo_f16 v14, v60, v61, 0 op_sel:[0,1,0] op_sel_hi:[0,1,0]
	v_or_b32_e32 v6, v63, v17
	v_lshlrev_b32_e32 v17, 16, v11
	v_or_b32_e32 v11, v61, v62
	v_lshlrev_b32_e32 v61, 16, v14
	v_or_b32_e32 v1, v18, v1
	v_fma_mixlo_f16 v14, v60, v18, 0 op_sel:[0,1,0] op_sel_hi:[0,1,0]
	v_or_b32_e32 v0, v10, v0
	v_fma_mixlo_f16 v6, v60, v6, 0 op_sel_hi:[0,1,0]
	v_fma_mixlo_f16 v11, v60, v11, 0 op_sel_hi:[0,1,0]
	v_lshlrev_b32_e32 v18, 16, v14
	v_fma_mixlo_f16 v1, v60, v1, 0 op_sel_hi:[0,1,0]
	v_fma_mixlo_f16 v14, v60, v0, 0 op_sel_hi:[0,1,0]
	v_fma_mixlo_f16 v0, v60, v10, 0 op_sel:[0,1,0] op_sel_hi:[0,1,0]
	v_and_b32_e32 v26, 0xffff, v6
	v_and_b32_e32 v63, 0xffff, v11
	;; [unrolled: 1-line block ×3, first 2 shown]
	v_lshlrev_b32_e32 v0, 16, v0
	v_and_b32_e32 v10, 0xffff, v14
	v_or_b32_e32 v6, v17, v26
	v_or_b32_e32 v11, v61, v63
	;; [unrolled: 1-line block ×4, first 2 shown]
	s_and_saveexec_b64 s[22:23], s[6:7]
	s_cbranch_execz .LBB272_1550
; %bb.1549:                             ;   in Loop: Header=BB272_800 Depth=1
	v_cmp_lt_i32_e32 vcc, v54, v27
	v_cndmask_b32_e32 v1, 0, v63, vcc
	v_cmp_lt_i32_e32 vcc, v56, v27
	v_cndmask_b32_e32 v6, 0, v61, vcc
	v_cmp_lt_i32_e32 vcc, v47, v27
	v_or_b32_e32 v11, v1, v6
	v_cndmask_b32_e32 v1, 0, v26, vcc
	v_cmp_lt_i32_e32 vcc, v46, v27
	v_cndmask_b32_e32 v6, 0, v17, vcc
	v_cmp_lt_i32_e32 vcc, v45, v27
	v_or_b32_e32 v6, v1, v6
	v_cndmask_b32_e32 v1, 0, v62, vcc
	v_cmp_lt_i32_e32 vcc, v44, v27
	v_cndmask_b32_e32 v14, 0, v18, vcc
	v_cmp_lt_i32_e32 vcc, v43, v27
	;; [unrolled: 2-line block ×3, first 2 shown]
	v_cndmask_b32_e32 v0, 0, v0, vcc
	v_or_b32_e32 v1, v1, v14
	v_or_b32_e32 v60, v10, v0
.LBB272_1550:                           ;   in Loop: Header=BB272_800 Depth=1
	s_or_b64 exec, exec, s[22:23]
	;;#ASMSTART
	v_pk_mul_f16 v0, v55, v11;

	;;#ASMEND
	;;#ASMSTART
	v_pk_mul_f16 v6, v40, v6;

	;;#ASMEND
	;; [unrolled: 4-line block ×4, first 2 shown]
	;;#ASMSTART
	v_pk_add_f16 v0, v0, v6;

	;;#ASMEND
	;;#ASMSTART
	v_pk_add_f16 v0, v0, v1;

	;;#ASMEND
	;; [unrolled: 4-line block ×3, first 2 shown]
	v_lshrrev_b32_e32 v1, 16, v0
	v_and_b32_e32 v0, 0xffff, v0
	;;#ASMSTART
	v_cvt_f32_f16 v10, v0;
	;;#ASMEND
	;;#ASMSTART
	v_cvt_f32_f16 v11, v1;
	;;#ASMEND
	buffer_load_dword v0, off, s[0:3], s32 offset:152 ; 4-byte Folded Reload
	v_mov_b32_e32 v61, 0
	v_mov_b32_e32 v62, 0
	s_waitcnt vmcnt(0)
	v_add_co_u32_e32 v0, vcc, v8, v0
	v_addc_co_u32_e32 v1, vcc, 0, v9, vcc
	flat_load_dwordx2 v[8:9], v[0:1]
	s_nop 0
	buffer_load_dword v0, off, s[0:3], s32 offset:64 ; 4-byte Folded Reload
	buffer_load_dword v1, off, s[0:3], s32 offset:68 ; 4-byte Folded Reload
	s_waitcnt vmcnt(0) lgkmcnt(0)
	v_cmp_ne_u16_sdwa s[24:25], v8, v7 src0_sel:BYTE_0 src1_sel:DWORD
	flat_load_dword v60, v[0:1]
	s_and_saveexec_b64 s[22:23], s[24:25]
	s_cbranch_execz .LBB272_1556
; %bb.1551:                             ;   in Loop: Header=BB272_800 Depth=1
	v_cmp_ne_u16_sdwa s[26:27], v8, s28 src0_sel:BYTE_0 src1_sel:DWORD
	v_mov_b32_e32 v62, 0x8000
	s_and_saveexec_b64 s[24:25], s[26:27]
	s_cbranch_execz .LBB272_1555
; %bb.1552:                             ;   in Loop: Header=BB272_800 Depth=1
	v_and_b32_e32 v0, 0x7f, v8
	v_cmp_ne_u32_e32 vcc, s29, v0
	v_mov_b32_e32 v62, 0x7c01
	s_and_saveexec_b64 s[26:27], vcc
	s_cbranch_execz .LBB272_1554
; %bb.1553:                             ;   in Loop: Header=BB272_800 Depth=1
	v_and_b32_e32 v6, 7, v8
	v_lshrrev_b32_e32 v14, 3, v0
	v_cmp_gt_u32_e32 vcc, 8, v0
	v_ffbh_u32_e32 v0, v6
	v_min_u32_e32 v17, 32, v0
	v_subrev_u32_e32 v0, 28, v17
	v_lshlrev_b64 v[0:1], v0, v[8:9]
	v_sub_u32_e32 v1, 29, v17
	v_cndmask_b32_e32 v1, v14, v1, vcc
	v_lshl_add_u32 v1, v1, 10, v53
	v_lshlrev_b32_e32 v14, 8, v8
	v_and_b32_e32 v0, 7, v0
	v_and_b32_e32 v1, 0xfc00, v1
	v_cndmask_b32_e32 v0, v6, v0, vcc
	v_and_or_b32 v1, v14, s40, v1
	v_lshl_or_b32 v62, v0, 7, v1
.LBB272_1554:                           ;   in Loop: Header=BB272_800 Depth=1
	s_or_b64 exec, exec, s[26:27]
.LBB272_1555:                           ;   in Loop: Header=BB272_800 Depth=1
	s_or_b64 exec, exec, s[24:25]
.LBB272_1556:                           ;   in Loop: Header=BB272_800 Depth=1
	s_or_b64 exec, exec, s[22:23]
	v_lshrrev_b16_e32 v6, 8, v8
	v_cmp_ne_u16_e32 vcc, 0, v6
	s_and_saveexec_b64 s[22:23], vcc
	s_cbranch_execz .LBB272_1562
; %bb.1557:                             ;   in Loop: Header=BB272_800 Depth=1
	v_cmp_ne_u16_e32 vcc, s28, v6
	v_bfrev_b32_e32 v61, 1
	s_and_saveexec_b64 s[24:25], vcc
	s_cbranch_execz .LBB272_1561
; %bb.1558:                             ;   in Loop: Header=BB272_800 Depth=1
	v_and_b32_e32 v0, 0x7f, v6
	v_cmp_ne_u32_e32 vcc, s29, v0
	v_mov_b32_e32 v61, 0x7c010000
	s_and_saveexec_b64 s[26:27], vcc
	s_cbranch_execz .LBB272_1560
; %bb.1559:                             ;   in Loop: Header=BB272_800 Depth=1
	v_and_b32_e32 v14, 7, v6
	v_lshrrev_b32_e32 v17, 3, v0
	v_cmp_gt_u32_e32 vcc, 8, v0
	v_ffbh_u32_e32 v0, v14
	v_min_u32_e32 v18, 32, v0
	v_subrev_u32_e32 v0, 28, v18
	v_lshlrev_b64 v[0:1], v0, v[6:7]
	v_sub_u32_e32 v1, 29, v18
	v_cndmask_b32_e32 v1, v17, v1, vcc
	v_lshlrev_b32_e32 v6, 8, v6
	v_lshl_add_u32 v1, v1, 10, v53
	v_and_b32_e32 v0, 7, v0
	v_and_or_b32 v1, v6, s40, v1
	v_cndmask_b32_e32 v0, v14, v0, vcc
	v_lshlrev_b32_e32 v1, 16, v1
	v_lshl_or_b32 v61, v0, 23, v1
.LBB272_1560:                           ;   in Loop: Header=BB272_800 Depth=1
	s_or_b64 exec, exec, s[26:27]
.LBB272_1561:                           ;   in Loop: Header=BB272_800 Depth=1
	s_or_b64 exec, exec, s[24:25]
.LBB272_1562:                           ;   in Loop: Header=BB272_800 Depth=1
	s_or_b64 exec, exec, s[22:23]
	v_lshrrev_b32_e32 v6, 16, v8
	v_cmp_ne_u16_sdwa s[24:25], v6, v7 src0_sel:BYTE_0 src1_sel:DWORD
	v_mov_b32_e32 v63, 0
	v_mov_b32_e32 v17, 0
	s_and_saveexec_b64 s[22:23], s[24:25]
	s_cbranch_execz .LBB272_1568
; %bb.1563:                             ;   in Loop: Header=BB272_800 Depth=1
	v_cmp_ne_u16_sdwa s[26:27], v6, s28 src0_sel:BYTE_0 src1_sel:DWORD
	v_mov_b32_e32 v17, 0x8000
	s_and_saveexec_b64 s[24:25], s[26:27]
	s_cbranch_execz .LBB272_1567
; %bb.1564:                             ;   in Loop: Header=BB272_800 Depth=1
	v_bfe_u32 v0, v8, 16, 7
	v_cmp_ne_u32_e32 vcc, s29, v0
	v_mov_b32_e32 v17, 0x7c01
	s_and_saveexec_b64 s[26:27], vcc
	s_cbranch_execz .LBB272_1566
; %bb.1565:                             ;   in Loop: Header=BB272_800 Depth=1
	v_and_b32_e32 v14, 7, v6
	v_lshrrev_b32_e32 v17, 3, v0
	v_cmp_gt_u32_e32 vcc, 8, v0
	v_ffbh_u32_e32 v0, v14
	v_min_u32_e32 v18, 32, v0
	v_subrev_u32_e32 v0, 28, v18
	v_lshlrev_b64 v[0:1], v0, v[6:7]
	v_sub_u32_e32 v1, 29, v18
	v_cndmask_b32_e32 v1, v17, v1, vcc
	v_lshl_add_u32 v1, v1, 10, v53
	v_lshlrev_b32_e32 v6, 8, v6
	v_and_b32_e32 v0, 7, v0
	v_and_b32_e32 v1, 0xfc00, v1
	v_cndmask_b32_e32 v0, v14, v0, vcc
	v_and_or_b32 v1, v6, s40, v1
	v_lshl_or_b32 v17, v0, 7, v1
.LBB272_1566:                           ;   in Loop: Header=BB272_800 Depth=1
	s_or_b64 exec, exec, s[26:27]
.LBB272_1567:                           ;   in Loop: Header=BB272_800 Depth=1
	s_or_b64 exec, exec, s[24:25]
.LBB272_1568:                           ;   in Loop: Header=BB272_800 Depth=1
	s_or_b64 exec, exec, s[22:23]
	v_cmp_lt_u32_e32 vcc, s11, v8
	s_and_saveexec_b64 s[22:23], vcc
	s_cbranch_execz .LBB272_1574
; %bb.1569:                             ;   in Loop: Header=BB272_800 Depth=1
	v_lshrrev_b32_e32 v6, 24, v8
	v_cmp_ne_u32_e32 vcc, s28, v6
	v_bfrev_b32_e32 v63, 1
	s_and_saveexec_b64 s[24:25], vcc
	s_cbranch_execz .LBB272_1573
; %bb.1570:                             ;   in Loop: Header=BB272_800 Depth=1
	v_and_b32_e32 v0, 0x7f, v6
	v_cmp_ne_u32_e32 vcc, s29, v0
	v_mov_b32_e32 v63, 0x7c010000
	s_and_saveexec_b64 s[26:27], vcc
	s_cbranch_execz .LBB272_1572
; %bb.1571:                             ;   in Loop: Header=BB272_800 Depth=1
	v_and_b32_e32 v14, 7, v6
	v_lshrrev_b32_e32 v18, 3, v0
	v_cmp_gt_u32_e32 vcc, 8, v0
	v_ffbh_u32_e32 v0, v14
	v_min_u32_e32 v26, 32, v0
	v_subrev_u32_e32 v0, 28, v26
	v_lshlrev_b64 v[0:1], v0, v[6:7]
	v_sub_u32_e32 v1, 29, v26
	v_cndmask_b32_e32 v1, v18, v1, vcc
	v_lshlrev_b32_e32 v6, 8, v6
	v_lshl_add_u32 v1, v1, 10, v53
	v_and_b32_e32 v0, 7, v0
	v_and_or_b32 v1, v6, s40, v1
	v_cndmask_b32_e32 v0, v14, v0, vcc
	v_lshlrev_b32_e32 v1, 16, v1
	v_lshl_or_b32 v63, v0, 23, v1
.LBB272_1572:                           ;   in Loop: Header=BB272_800 Depth=1
	s_or_b64 exec, exec, s[26:27]
.LBB272_1573:                           ;   in Loop: Header=BB272_800 Depth=1
	s_or_b64 exec, exec, s[24:25]
.LBB272_1574:                           ;   in Loop: Header=BB272_800 Depth=1
	s_or_b64 exec, exec, s[22:23]
	v_mov_b32_e32 v6, v9
	v_cmp_ne_u16_sdwa s[24:25], v9, v7 src0_sel:BYTE_0 src1_sel:DWORD
	v_mov_b32_e32 v0, 0
	v_mov_b32_e32 v1, 0
	s_and_saveexec_b64 s[22:23], s[24:25]
	s_cbranch_execz .LBB272_1580
; %bb.1575:                             ;   in Loop: Header=BB272_800 Depth=1
	v_cmp_ne_u16_sdwa s[26:27], v9, s28 src0_sel:BYTE_0 src1_sel:DWORD
	v_mov_b32_e32 v1, 0x8000
	s_and_saveexec_b64 s[24:25], s[26:27]
	s_cbranch_execz .LBB272_1579
; %bb.1576:                             ;   in Loop: Header=BB272_800 Depth=1
	v_and_b32_e32 v18, 0x7f, v9
	v_cmp_ne_u32_e32 vcc, s29, v18
	v_mov_b32_e32 v1, 0x7c01
	s_and_saveexec_b64 s[26:27], vcc
	s_cbranch_execz .LBB272_1578
; %bb.1577:                             ;   in Loop: Header=BB272_800 Depth=1
	v_and_b32_e32 v1, 7, v9
	v_lshrrev_b32_e32 v14, 3, v18
	v_cmp_gt_u32_e32 vcc, 8, v18
	v_ffbh_u32_e32 v18, v1
	v_min_u32_e32 v18, 32, v18
	v_subrev_u32_e32 v26, 28, v18
	v_sub_u32_e32 v18, 29, v18
	v_lshlrev_b64 v[28:29], v26, v[6:7]
	v_cndmask_b32_e32 v14, v14, v18, vcc
	v_lshl_add_u32 v14, v14, 10, v53
	v_lshlrev_b32_e32 v18, 8, v9
	v_and_b32_e32 v26, 7, v28
	v_and_b32_e32 v14, 0xfc00, v14
	v_cndmask_b32_e32 v1, v1, v26, vcc
	v_and_or_b32 v14, v18, s40, v14
	v_lshl_or_b32 v1, v1, 7, v14
.LBB272_1578:                           ;   in Loop: Header=BB272_800 Depth=1
	s_or_b64 exec, exec, s[26:27]
.LBB272_1579:                           ;   in Loop: Header=BB272_800 Depth=1
	s_or_b64 exec, exec, s[24:25]
.LBB272_1580:                           ;   in Loop: Header=BB272_800 Depth=1
	s_or_b64 exec, exec, s[22:23]
	v_lshrrev_b16_e32 v6, 8, v6
	v_cmp_ne_u16_e32 vcc, 0, v6
	v_mov_b32_e32 v18, 0
	s_and_saveexec_b64 s[22:23], vcc
	s_cbranch_execz .LBB272_1586
; %bb.1581:                             ;   in Loop: Header=BB272_800 Depth=1
	v_cmp_ne_u16_e32 vcc, s28, v6
	v_bfrev_b32_e32 v18, 1
	s_and_saveexec_b64 s[24:25], vcc
	s_cbranch_execz .LBB272_1585
; %bb.1582:                             ;   in Loop: Header=BB272_800 Depth=1
	v_and_b32_e32 v26, 0x7f, v6
	v_cmp_ne_u32_e32 vcc, s29, v26
	v_mov_b32_e32 v18, 0x7c010000
	s_and_saveexec_b64 s[26:27], vcc
	s_cbranch_execz .LBB272_1584
; %bb.1583:                             ;   in Loop: Header=BB272_800 Depth=1
	v_and_b32_e32 v14, 7, v6
	v_lshrrev_b32_e32 v18, 3, v26
	v_cmp_gt_u32_e32 vcc, 8, v26
	v_ffbh_u32_e32 v26, v14
	v_min_u32_e32 v26, 32, v26
	v_subrev_u32_e32 v28, 28, v26
	v_sub_u32_e32 v26, 29, v26
	v_lshlrev_b64 v[28:29], v28, v[6:7]
	v_cndmask_b32_e32 v18, v18, v26, vcc
	v_lshlrev_b32_e32 v6, 8, v6
	v_lshl_add_u32 v18, v18, 10, v53
	v_and_b32_e32 v26, 7, v28
	v_and_or_b32 v6, v6, s40, v18
	v_cndmask_b32_e32 v14, v14, v26, vcc
	v_lshlrev_b32_e32 v6, 16, v6
	v_lshl_or_b32 v18, v14, 23, v6
.LBB272_1584:                           ;   in Loop: Header=BB272_800 Depth=1
	s_or_b64 exec, exec, s[26:27]
.LBB272_1585:                           ;   in Loop: Header=BB272_800 Depth=1
	s_or_b64 exec, exec, s[24:25]
.LBB272_1586:                           ;   in Loop: Header=BB272_800 Depth=1
	s_or_b64 exec, exec, s[22:23]
	v_lshrrev_b32_e32 v6, 16, v9
	v_cmp_ne_u16_sdwa s[24:25], v6, v7 src0_sel:BYTE_0 src1_sel:DWORD
	s_and_saveexec_b64 s[22:23], s[24:25]
	s_cbranch_execz .LBB272_1592
; %bb.1587:                             ;   in Loop: Header=BB272_800 Depth=1
	v_cmp_ne_u16_sdwa s[26:27], v6, s28 src0_sel:BYTE_0 src1_sel:DWORD
	v_mov_b32_e32 v0, 0x8000
	s_and_saveexec_b64 s[24:25], s[26:27]
	s_cbranch_execz .LBB272_1591
; %bb.1588:                             ;   in Loop: Header=BB272_800 Depth=1
	v_bfe_u32 v26, v9, 16, 7
	v_cmp_ne_u32_e32 vcc, s29, v26
	v_mov_b32_e32 v0, 0x7c01
	s_and_saveexec_b64 s[26:27], vcc
	s_cbranch_execz .LBB272_1590
; %bb.1589:                             ;   in Loop: Header=BB272_800 Depth=1
	v_and_b32_e32 v0, 7, v6
	v_lshrrev_b32_e32 v14, 3, v26
	v_cmp_gt_u32_e32 vcc, 8, v26
	v_ffbh_u32_e32 v26, v0
	v_min_u32_e32 v26, 32, v26
	v_subrev_u32_e32 v28, 28, v26
	v_sub_u32_e32 v26, 29, v26
	v_lshlrev_b64 v[28:29], v28, v[6:7]
	v_cndmask_b32_e32 v14, v14, v26, vcc
	v_lshl_add_u32 v14, v14, 10, v53
	v_lshlrev_b32_e32 v6, 8, v6
	v_and_b32_e32 v26, 7, v28
	v_and_b32_e32 v14, 0xfc00, v14
	v_cndmask_b32_e32 v0, v0, v26, vcc
	v_and_or_b32 v6, v6, s40, v14
	v_lshl_or_b32 v0, v0, 7, v6
.LBB272_1590:                           ;   in Loop: Header=BB272_800 Depth=1
	s_or_b64 exec, exec, s[26:27]
.LBB272_1591:                           ;   in Loop: Header=BB272_800 Depth=1
	s_or_b64 exec, exec, s[24:25]
.LBB272_1592:                           ;   in Loop: Header=BB272_800 Depth=1
	s_or_b64 exec, exec, s[22:23]
	v_cmp_lt_u64_e32 vcc, s[10:11], v[8:9]
	v_mov_b32_e32 v26, 0
	s_and_saveexec_b64 s[22:23], vcc
	s_cbranch_execz .LBB272_1598
; %bb.1593:                             ;   in Loop: Header=BB272_800 Depth=1
	v_lshrrev_b32_e32 v6, 24, v9
	v_cmp_ne_u32_e32 vcc, s28, v6
	v_bfrev_b32_e32 v26, 1
	s_and_saveexec_b64 s[24:25], vcc
	s_cbranch_execz .LBB272_1597
; %bb.1594:                             ;   in Loop: Header=BB272_800 Depth=1
	v_and_b32_e32 v8, 0x7f, v6
	v_cmp_ne_u32_e32 vcc, s29, v8
	v_mov_b32_e32 v26, 0x7c010000
	s_and_saveexec_b64 s[26:27], vcc
	s_cbranch_execz .LBB272_1596
; %bb.1595:                             ;   in Loop: Header=BB272_800 Depth=1
	v_and_b32_e32 v14, 7, v6
	v_lshrrev_b32_e32 v26, 3, v8
	v_cmp_gt_u32_e32 vcc, 8, v8
	v_ffbh_u32_e32 v8, v14
	v_min_u32_e32 v28, 32, v8
	v_subrev_u32_e32 v8, 28, v28
	v_lshlrev_b64 v[8:9], v8, v[6:7]
	v_sub_u32_e32 v9, 29, v28
	v_cndmask_b32_e32 v9, v26, v9, vcc
	v_lshlrev_b32_e32 v6, 8, v6
	v_lshl_add_u32 v9, v9, 10, v53
	v_and_b32_e32 v8, 7, v8
	v_and_or_b32 v6, v6, s40, v9
	v_cndmask_b32_e32 v8, v14, v8, vcc
	v_lshlrev_b32_e32 v6, 16, v6
	v_lshl_or_b32 v26, v8, 23, v6
.LBB272_1596:                           ;   in Loop: Header=BB272_800 Depth=1
	s_or_b64 exec, exec, s[26:27]
.LBB272_1597:                           ;   in Loop: Header=BB272_800 Depth=1
	s_or_b64 exec, exec, s[24:25]
.LBB272_1598:                           ;   in Loop: Header=BB272_800 Depth=1
	s_or_b64 exec, exec, s[22:23]
	s_waitcnt vmcnt(0) lgkmcnt(0)
	v_fma_mixlo_f16 v8, v60, v63, 0 op_sel:[0,1,0] op_sel_hi:[0,1,0]
	v_fma_mixlo_f16 v14, v60, v61, 0 op_sel:[0,1,0] op_sel_hi:[0,1,0]
	v_or_b32_e32 v6, v63, v17
	v_lshlrev_b32_e32 v9, 16, v8
	v_or_b32_e32 v8, v61, v62
	v_lshlrev_b32_e32 v61, 16, v14
	v_or_b32_e32 v1, v18, v1
	v_fma_mixlo_f16 v14, v60, v18, 0 op_sel:[0,1,0] op_sel_hi:[0,1,0]
	v_or_b32_e32 v0, v26, v0
	v_fma_mixlo_f16 v6, v60, v6, 0 op_sel_hi:[0,1,0]
	v_fma_mixlo_f16 v8, v60, v8, 0 op_sel_hi:[0,1,0]
	v_lshlrev_b32_e32 v18, 16, v14
	v_fma_mixlo_f16 v1, v60, v1, 0 op_sel_hi:[0,1,0]
	v_fma_mixlo_f16 v0, v60, v0, 0 op_sel_hi:[0,1,0]
	v_fma_mixlo_f16 v14, v60, v26, 0 op_sel:[0,1,0] op_sel_hi:[0,1,0]
	v_and_b32_e32 v17, 0xffff, v6
	v_and_b32_e32 v63, 0xffff, v8
	;; [unrolled: 1-line block ×3, first 2 shown]
	v_lshlrev_b32_e32 v26, 16, v14
	v_and_b32_e32 v60, 0xffff, v0
	v_or_b32_e32 v6, v9, v17
	v_or_b32_e32 v8, v61, v63
	;; [unrolled: 1-line block ×4, first 2 shown]
	s_and_saveexec_b64 s[22:23], s[6:7]
	s_cbranch_execz .LBB272_799
; %bb.1599:                             ;   in Loop: Header=BB272_800 Depth=1
	v_cmp_lt_i32_e32 vcc, v54, v27
	v_cndmask_b32_e32 v0, 0, v63, vcc
	v_cmp_lt_i32_e32 vcc, v56, v27
	v_cndmask_b32_e32 v1, 0, v61, vcc
	v_cmp_lt_i32_e32 vcc, v47, v27
	v_or_b32_e32 v8, v0, v1
	v_cndmask_b32_e32 v0, 0, v17, vcc
	v_cmp_lt_i32_e32 vcc, v46, v27
	v_cndmask_b32_e32 v1, 0, v9, vcc
	v_cmp_lt_i32_e32 vcc, v45, v27
	v_or_b32_e32 v6, v0, v1
	;; [unrolled: 5-line block ×3, first 2 shown]
	v_cndmask_b32_e32 v0, 0, v60, vcc
	v_cmp_lt_i32_e32 vcc, v19, v27
	v_cndmask_b32_e32 v9, 0, v26, vcc
	v_or_b32_e32 v0, v0, v9
	s_branch .LBB272_799
.LBB272_1600:
	s_or_b64 exec, exec, s[12:13]
	buffer_load_dword v26, off, s[0:3], s32 offset:156 ; 4-byte Folded Reload
	buffer_load_dword v17, off, s[0:3], s32 offset:160 ; 4-byte Folded Reload
	buffer_load_dword v28, off, s[0:3], s32 offset:164 ; 4-byte Folded Reload
	buffer_load_dword v29, off, s[0:3], s32 offset:168 ; 4-byte Folded Reload
	v_mov_b32_e32 v4, s20
	v_mov_b32_e32 v5, s21
.LBB272_1601:
	s_or_b64 exec, exec, s[8:9]
	v_lshlrev_b64 v[0:1], 2, v[4:5]
	s_getpc_b64 s[6:7]
	s_add_u32 s6, s6, llvm.amdgcn.dynlds.offset.table@rel32@lo+4
	s_addc_u32 s7, s7, llvm.amdgcn.dynlds.offset.table@rel32@hi+12
	v_mov_b32_e32 v2, s7
	v_add_co_u32_e32 v0, vcc, s6, v0
	v_addc_co_u32_e32 v1, vcc, v2, v1, vcc
	s_waitcnt vmcnt(0)
	s_barrier
	global_load_dword v18, v[0:1], off
	ds_bpermute_b32 v0, v17, v51
	ds_bpermute_b32 v1, v17, v52
	ds_bpermute_b32 v5, v17, v50
	ds_bpermute_b32 v15, v17, v33
	s_waitcnt lgkmcnt(3)
	v_add_f32_e32 v0, v51, v0
	s_waitcnt lgkmcnt(2)
	v_add_f32_e32 v3, v52, v1
	ds_bpermute_b32 v2, v28, v0
	ds_bpermute_b32 v4, v28, v3
	s_waitcnt lgkmcnt(1)
	v_add_f32_e32 v1, v0, v2
	ds_bpermute_b32 v2, v17, v49
	s_waitcnt lgkmcnt(1)
	v_add_f32_e32 v0, v3, v4
	ds_bpermute_b32 v3, v17, v48
	v_add_f32_e32 v4, v50, v5
	ds_bpermute_b32 v5, v28, v4
	s_waitcnt lgkmcnt(2)
	v_add_f32_e32 v2, v49, v2
	ds_bpermute_b32 v6, v28, v2
	s_waitcnt lgkmcnt(2)
	;; [unrolled: 3-line block ×16, first 2 shown]
	v_add_f32_e32 v9, v9, v12
	v_add_f32_e32 v12, v33, v15
	s_waitcnt lgkmcnt(1)
	v_add_f32_e32 v8, v13, v14
	ds_bpermute_b32 v14, v17, v24
	ds_bpermute_b32 v13, v28, v12
	;; [unrolled: 1-line block ×4, first 2 shown]
	s_waitcnt lgkmcnt(4)
	v_add_f32_e32 v11, v25, v11
	s_waitcnt lgkmcnt(3)
	v_add_f32_e32 v19, v24, v14
	ds_bpermute_b32 v22, v28, v19
	s_waitcnt lgkmcnt(2)
	v_add_f32_e32 v20, v20, v15
	v_add_f32_e32 v15, v12, v13
	s_waitcnt lgkmcnt(1)
	v_add_f32_e32 v17, v21, v17
	ds_bpermute_b32 v16, v28, v11
	s_waitcnt lgkmcnt(1)
	v_add_f32_e32 v13, v19, v22
	buffer_load_dword v19, off, s[0:3], s32 offset:632 ; 4-byte Folded Reload
	ds_bpermute_b32 v21, v28, v17
	ds_bpermute_b32 v23, v28, v20
	s_waitcnt lgkmcnt(2)
	v_add_f32_e32 v14, v11, v16
	s_waitcnt lgkmcnt(1)
	v_add_f32_e32 v11, v17, v21
	;; [unrolled: 2-line block ×3, first 2 shown]
	s_waitcnt vmcnt(0)
	v_and_b32_e32 v17, 0x3c3, v19
	v_cmp_eq_u32_e32 vcc, 64, v17
	s_and_saveexec_b64 s[6:7], vcc
	s_cbranch_execz .LBB272_1603
; %bb.1602:
	v_add_u32_e32 v16, v18, v26
	ds_write2_b32 v16, v1, v0 offset1:16
	ds_write2_b32 v16, v4, v3 offset0:32 offset1:48
	ds_write2_b32 v16, v2, v7 offset0:64 offset1:80
	;; [unrolled: 1-line block ×7, first 2 shown]
.LBB272_1603:
	s_or_b64 exec, exec, s[6:7]
	v_lshrrev_b32_e32 v16, 2, v19
	s_waitcnt lgkmcnt(0)
	s_barrier
	s_and_saveexec_b64 s[6:7], s[4:5]
	s_cbranch_execz .LBB272_1622
; %bb.1604:
	v_cmp_eq_u32_e32 vcc, 0, v29
	v_lshl_add_u32 v18, v16, 2, v18
	s_and_saveexec_b64 s[4:5], vcc
	s_cbranch_execnz .LBB272_1625
; %bb.1605:
	s_or_b64 exec, exec, s[4:5]
	s_and_saveexec_b64 s[4:5], vcc
	s_cbranch_execnz .LBB272_1626
.LBB272_1606:
	s_or_b64 exec, exec, s[4:5]
	s_and_saveexec_b64 s[4:5], vcc
	s_cbranch_execnz .LBB272_1627
.LBB272_1607:
	s_or_b64 exec, exec, s[4:5]
	s_and_saveexec_b64 s[4:5], vcc
	s_cbranch_execnz .LBB272_1628
.LBB272_1608:
	s_or_b64 exec, exec, s[4:5]
	s_and_saveexec_b64 s[4:5], vcc
	s_cbranch_execnz .LBB272_1629
.LBB272_1609:
	s_or_b64 exec, exec, s[4:5]
	s_and_saveexec_b64 s[4:5], vcc
	s_cbranch_execnz .LBB272_1630
.LBB272_1610:
	s_or_b64 exec, exec, s[4:5]
	s_and_saveexec_b64 s[4:5], vcc
	s_cbranch_execnz .LBB272_1631
.LBB272_1611:
	s_or_b64 exec, exec, s[4:5]
	s_and_saveexec_b64 s[4:5], vcc
	s_cbranch_execnz .LBB272_1632
.LBB272_1612:
	s_or_b64 exec, exec, s[4:5]
	s_and_saveexec_b64 s[4:5], vcc
	s_cbranch_execnz .LBB272_1633
.LBB272_1613:
	s_or_b64 exec, exec, s[4:5]
	s_and_saveexec_b64 s[4:5], vcc
	s_cbranch_execnz .LBB272_1634
.LBB272_1614:
	s_or_b64 exec, exec, s[4:5]
	s_and_saveexec_b64 s[4:5], vcc
	s_cbranch_execnz .LBB272_1635
.LBB272_1615:
	s_or_b64 exec, exec, s[4:5]
	s_and_saveexec_b64 s[4:5], vcc
	s_cbranch_execnz .LBB272_1636
.LBB272_1616:
	s_or_b64 exec, exec, s[4:5]
	s_and_saveexec_b64 s[4:5], vcc
	s_cbranch_execnz .LBB272_1637
.LBB272_1617:
	s_or_b64 exec, exec, s[4:5]
	s_and_saveexec_b64 s[4:5], vcc
	s_cbranch_execnz .LBB272_1638
.LBB272_1618:
	s_or_b64 exec, exec, s[4:5]
	s_and_saveexec_b64 s[4:5], vcc
	s_cbranch_execnz .LBB272_1639
.LBB272_1619:
	s_or_b64 exec, exec, s[4:5]
	s_and_saveexec_b64 s[4:5], vcc
	s_cbranch_execz .LBB272_1621
.LBB272_1620:
	ds_read_b32 v18, v18 offset:960
	s_waitcnt lgkmcnt(0)
	v_add_f32_e32 v11, v18, v11
.LBB272_1621:
	s_or_b64 exec, exec, s[4:5]
.LBB272_1622:
	s_or_b64 exec, exec, s[6:7]
	v_cmp_eq_u32_e32 vcc, 0, v17
	s_barrier
	s_and_saveexec_b64 s[4:5], vcc
	s_cbranch_execz .LBB272_1624
; %bb.1623:
	buffer_load_dword v18, off, s[0:3], s32 offset:668 ; 4-byte Folded Reload
	buffer_load_dword v19, off, s[0:3], s32 offset:664 ; 4-byte Folded Reload
	s_and_b32 s6, 0xffff, s19
	s_cmp_lg_u32 s6, 0
	s_cselect_b64 s[6:7], -1, 0
	s_cmp_lg_u64 s[6:7], 0
	s_addc_u32 s8, s17, 0
	s_mul_i32 s6, s16, s8
	s_mul_i32 s6, s6, s15
	s_lshl_b32 s6, s6, 8
	s_ashr_i32 s7, s6, 31
	s_lshl_b64 s[6:7], s[6:7], 1
	v_mov_b32_e32 v17, s7
	v_lshlrev_b32_e32 v16, 1, v16
	;;#ASMSTART
	v_cvt_f16_f32 v1, v1;

	;;#ASMEND
	s_waitcnt vmcnt(1)
	v_add_co_u32_e32 v18, vcc, s6, v18
	s_mul_i32 s6, s18, s8
	s_ashr_i32 s7, s6, 31
	s_waitcnt vmcnt(0)
	v_addc_co_u32_e32 v17, vcc, v19, v17, vcc
	s_lshl_b64 s[6:7], s[6:7], 1
	v_add_co_u32_e32 v18, vcc, s6, v18
	s_lshl_b32 s6, s14, 8
	v_mov_b32_e32 v19, s7
	s_ashr_i32 s7, s6, 31
	v_addc_co_u32_e32 v17, vcc, v17, v19, vcc
	s_lshl_b64 s[6:7], s[6:7], 1
	v_mov_b32_e32 v19, s7
	v_add_co_u32_e32 v18, vcc, s6, v18
	v_addc_co_u32_e32 v17, vcc, v17, v19, vcc
	v_add_co_u32_e32 v16, vcc, v18, v16
	v_addc_co_u32_e32 v17, vcc, 0, v17, vcc
	flat_store_short v[16:17], v1
	;;#ASMSTART
	v_cvt_f16_f32 v0, v0;

	;;#ASMEND
	flat_store_short v[16:17], v0 offset:32
	;;#ASMSTART
	v_cvt_f16_f32 v0, v4;

	;;#ASMEND
	flat_store_short v[16:17], v0 offset:64
	;;#ASMSTART
	v_cvt_f16_f32 v0, v3;

	;;#ASMEND
	flat_store_short v[16:17], v0 offset:96
	;;#ASMSTART
	v_cvt_f16_f32 v0, v2;

	;;#ASMEND
	flat_store_short v[16:17], v0 offset:128
	;;#ASMSTART
	v_cvt_f16_f32 v0, v7;

	;;#ASMEND
	flat_store_short v[16:17], v0 offset:160
	;;#ASMSTART
	v_cvt_f16_f32 v0, v6;

	;;#ASMEND
	flat_store_short v[16:17], v0 offset:192
	;;#ASMSTART
	v_cvt_f16_f32 v0, v5;

	;;#ASMEND
	flat_store_short v[16:17], v0 offset:224
	;;#ASMSTART
	v_cvt_f16_f32 v0, v10;

	;;#ASMEND
	flat_store_short v[16:17], v0 offset:256
	;;#ASMSTART
	v_cvt_f16_f32 v0, v9;

	;;#ASMEND
	flat_store_short v[16:17], v0 offset:288
	;;#ASMSTART
	v_cvt_f16_f32 v0, v8;

	;;#ASMEND
	flat_store_short v[16:17], v0 offset:320
	;;#ASMSTART
	v_cvt_f16_f32 v0, v15;

	;;#ASMEND
	flat_store_short v[16:17], v0 offset:352
	;;#ASMSTART
	v_cvt_f16_f32 v0, v14;

	;;#ASMEND
	flat_store_short v[16:17], v0 offset:384
	;;#ASMSTART
	v_cvt_f16_f32 v0, v13;

	;;#ASMEND
	flat_store_short v[16:17], v0 offset:416
	;;#ASMSTART
	v_cvt_f16_f32 v0, v12;

	;;#ASMEND
	flat_store_short v[16:17], v0 offset:448
	;;#ASMSTART
	v_cvt_f16_f32 v0, v11;

	;;#ASMEND
	flat_store_short v[16:17], v0 offset:480
.LBB272_1624:
	s_or_b64 exec, exec, s[4:5]
	buffer_load_dword v63, off, s[0:3], s32 ; 4-byte Folded Reload
	buffer_load_dword v62, off, s[0:3], s32 offset:4 ; 4-byte Folded Reload
	buffer_load_dword v61, off, s[0:3], s32 offset:8 ; 4-byte Folded Reload
	;; [unrolled: 1-line block ×15, first 2 shown]
	s_waitcnt vmcnt(0) lgkmcnt(0)
	s_setpc_b64 s[30:31]
.LBB272_1625:
	ds_read_b32 v19, v18
	s_waitcnt lgkmcnt(0)
	v_add_f32_e32 v1, v19, v1
	s_or_b64 exec, exec, s[4:5]
	s_and_saveexec_b64 s[4:5], vcc
	s_cbranch_execz .LBB272_1606
.LBB272_1626:
	ds_read_b32 v19, v18 offset:64
	s_waitcnt lgkmcnt(0)
	v_add_f32_e32 v0, v19, v0
	s_or_b64 exec, exec, s[4:5]
	s_and_saveexec_b64 s[4:5], vcc
	s_cbranch_execz .LBB272_1607
.LBB272_1627:
	ds_read_b32 v19, v18 offset:128
	s_waitcnt lgkmcnt(0)
	v_add_f32_e32 v4, v19, v4
	s_or_b64 exec, exec, s[4:5]
	s_and_saveexec_b64 s[4:5], vcc
	s_cbranch_execz .LBB272_1608
.LBB272_1628:
	ds_read_b32 v19, v18 offset:192
	s_waitcnt lgkmcnt(0)
	v_add_f32_e32 v3, v19, v3
	s_or_b64 exec, exec, s[4:5]
	s_and_saveexec_b64 s[4:5], vcc
	s_cbranch_execz .LBB272_1609
.LBB272_1629:
	ds_read_b32 v19, v18 offset:256
	s_waitcnt lgkmcnt(0)
	v_add_f32_e32 v2, v19, v2
	s_or_b64 exec, exec, s[4:5]
	s_and_saveexec_b64 s[4:5], vcc
	s_cbranch_execz .LBB272_1610
.LBB272_1630:
	ds_read_b32 v19, v18 offset:320
	s_waitcnt lgkmcnt(0)
	v_add_f32_e32 v7, v19, v7
	s_or_b64 exec, exec, s[4:5]
	s_and_saveexec_b64 s[4:5], vcc
	s_cbranch_execz .LBB272_1611
.LBB272_1631:
	ds_read_b32 v19, v18 offset:384
	s_waitcnt lgkmcnt(0)
	v_add_f32_e32 v6, v19, v6
	s_or_b64 exec, exec, s[4:5]
	s_and_saveexec_b64 s[4:5], vcc
	s_cbranch_execz .LBB272_1612
.LBB272_1632:
	ds_read_b32 v19, v18 offset:448
	s_waitcnt lgkmcnt(0)
	v_add_f32_e32 v5, v19, v5
	s_or_b64 exec, exec, s[4:5]
	s_and_saveexec_b64 s[4:5], vcc
	s_cbranch_execz .LBB272_1613
.LBB272_1633:
	ds_read_b32 v19, v18 offset:512
	s_waitcnt lgkmcnt(0)
	v_add_f32_e32 v10, v19, v10
	s_or_b64 exec, exec, s[4:5]
	s_and_saveexec_b64 s[4:5], vcc
	s_cbranch_execz .LBB272_1614
.LBB272_1634:
	ds_read_b32 v19, v18 offset:576
	s_waitcnt lgkmcnt(0)
	v_add_f32_e32 v9, v19, v9
	s_or_b64 exec, exec, s[4:5]
	s_and_saveexec_b64 s[4:5], vcc
	s_cbranch_execz .LBB272_1615
.LBB272_1635:
	ds_read_b32 v19, v18 offset:640
	s_waitcnt lgkmcnt(0)
	v_add_f32_e32 v8, v19, v8
	s_or_b64 exec, exec, s[4:5]
	s_and_saveexec_b64 s[4:5], vcc
	s_cbranch_execz .LBB272_1616
.LBB272_1636:
	ds_read_b32 v19, v18 offset:704
	s_waitcnt lgkmcnt(0)
	v_add_f32_e32 v15, v19, v15
	s_or_b64 exec, exec, s[4:5]
	s_and_saveexec_b64 s[4:5], vcc
	s_cbranch_execz .LBB272_1617
.LBB272_1637:
	ds_read_b32 v19, v18 offset:768
	s_waitcnt lgkmcnt(0)
	v_add_f32_e32 v14, v19, v14
	s_or_b64 exec, exec, s[4:5]
	s_and_saveexec_b64 s[4:5], vcc
	s_cbranch_execz .LBB272_1618
.LBB272_1638:
	ds_read_b32 v19, v18 offset:832
	s_waitcnt lgkmcnt(0)
	v_add_f32_e32 v13, v19, v13
	s_or_b64 exec, exec, s[4:5]
	s_and_saveexec_b64 s[4:5], vcc
	s_cbranch_execz .LBB272_1619
.LBB272_1639:
	ds_read_b32 v19, v18 offset:896
	s_waitcnt lgkmcnt(0)
	v_add_f32_e32 v12, v19, v12
	s_or_b64 exec, exec, s[4:5]
	s_and_saveexec_b64 s[4:5], vcc
	s_cbranch_execnz .LBB272_1620
	s_branch .LBB272_1621
.Lfunc_end272:
	.size	_ZN4vllm22paged_attention_kernelIthLi256ELi32ELi128ELNS_18Fp8KVCacheDataTypeE1ELb0ELi0EEEvPfS2_PT_PKS3_PKT0_S9_ifPKiSB_iPKfiiiSD_SD_iiiii, .Lfunc_end272-_ZN4vllm22paged_attention_kernelIthLi256ELi32ELi128ELNS_18Fp8KVCacheDataTypeE1ELb0ELi0EEEvPfS2_PT_PKS3_PKT0_S9_ifPKiSB_iPKfiiiSD_SD_iiiii
                                        ; -- End function
	.set .L_ZN4vllm22paged_attention_kernelIthLi256ELi32ELi128ELNS_18Fp8KVCacheDataTypeE1ELb0ELi0EEEvPfS2_PT_PKS3_PKT0_S9_ifPKiSB_iPKfiiiSD_SD_iiiii.num_vgpr, 64
	.set .L_ZN4vllm22paged_attention_kernelIthLi256ELi32ELi128ELNS_18Fp8KVCacheDataTypeE1ELb0ELi0EEEvPfS2_PT_PKS3_PKT0_S9_ifPKiSB_iPKfiiiSD_SD_iiiii.num_agpr, 0
	.set .L_ZN4vllm22paged_attention_kernelIthLi256ELi32ELi128ELNS_18Fp8KVCacheDataTypeE1ELb0ELi0EEEvPfS2_PT_PKS3_PKT0_S9_ifPKiSB_iPKfiiiSD_SD_iiiii.numbered_sgpr, 45
	.set .L_ZN4vllm22paged_attention_kernelIthLi256ELi32ELi128ELNS_18Fp8KVCacheDataTypeE1ELb0ELi0EEEvPfS2_PT_PKS3_PKT0_S9_ifPKiSB_iPKfiiiSD_SD_iiiii.num_named_barrier, 0
	.set .L_ZN4vllm22paged_attention_kernelIthLi256ELi32ELi128ELNS_18Fp8KVCacheDataTypeE1ELb0ELi0EEEvPfS2_PT_PKS3_PKT0_S9_ifPKiSB_iPKfiiiSD_SD_iiiii.private_seg_size, 688
	.set .L_ZN4vllm22paged_attention_kernelIthLi256ELi32ELi128ELNS_18Fp8KVCacheDataTypeE1ELb0ELi0EEEvPfS2_PT_PKS3_PKT0_S9_ifPKiSB_iPKfiiiSD_SD_iiiii.uses_vcc, 1
	.set .L_ZN4vllm22paged_attention_kernelIthLi256ELi32ELi128ELNS_18Fp8KVCacheDataTypeE1ELb0ELi0EEEvPfS2_PT_PKS3_PKT0_S9_ifPKiSB_iPKfiiiSD_SD_iiiii.uses_flat_scratch, 0
	.set .L_ZN4vllm22paged_attention_kernelIthLi256ELi32ELi128ELNS_18Fp8KVCacheDataTypeE1ELb0ELi0EEEvPfS2_PT_PKS3_PKT0_S9_ifPKiSB_iPKfiiiSD_SD_iiiii.has_dyn_sized_stack, 0
	.set .L_ZN4vllm22paged_attention_kernelIthLi256ELi32ELi128ELNS_18Fp8KVCacheDataTypeE1ELb0ELi0EEEvPfS2_PT_PKS3_PKT0_S9_ifPKiSB_iPKfiiiSD_SD_iiiii.has_recursion, 0
	.set .L_ZN4vllm22paged_attention_kernelIthLi256ELi32ELi128ELNS_18Fp8KVCacheDataTypeE1ELb0ELi0EEEvPfS2_PT_PKS3_PKT0_S9_ifPKiSB_iPKfiiiSD_SD_iiiii.has_indirect_call, 0
	.section	.AMDGPU.csdata,"",@progbits
; Function info:
; codeLenInByte = 66324
; TotalNumSgprs: 49
; NumVgprs: 64
; ScratchSize: 688
; MemoryBound: 0
	.section	.text._ZN4vllm25paged_attention_v1_kernelIthLi256ELi32ELi128ELNS_18Fp8KVCacheDataTypeE1ELb0EEEvPT_PKS2_PKT0_S8_ifPKiSA_iPKfiiiSC_SC_iiiii,"axG",@progbits,_ZN4vllm25paged_attention_v1_kernelIthLi256ELi32ELi128ELNS_18Fp8KVCacheDataTypeE1ELb0EEEvPT_PKS2_PKT0_S8_ifPKiSA_iPKfiiiSC_SC_iiiii,comdat
	.protected	_ZN4vllm25paged_attention_v1_kernelIthLi256ELi32ELi128ELNS_18Fp8KVCacheDataTypeE1ELb0EEEvPT_PKS2_PKT0_S8_ifPKiSA_iPKfiiiSC_SC_iiiii ; -- Begin function _ZN4vllm25paged_attention_v1_kernelIthLi256ELi32ELi128ELNS_18Fp8KVCacheDataTypeE1ELb0EEEvPT_PKS2_PKT0_S8_ifPKiSA_iPKfiiiSC_SC_iiiii
	.globl	_ZN4vllm25paged_attention_v1_kernelIthLi256ELi32ELi128ELNS_18Fp8KVCacheDataTypeE1ELb0EEEvPT_PKS2_PKT0_S8_ifPKiSA_iPKfiiiSC_SC_iiiii
	.p2align	8
	.type	_ZN4vllm25paged_attention_v1_kernelIthLi256ELi32ELi128ELNS_18Fp8KVCacheDataTypeE1ELb0EEEvPT_PKS2_PKT0_S8_ifPKiSA_iPKfiiiSC_SC_iiiii,@function
_ZN4vllm25paged_attention_v1_kernelIthLi256ELi32ELi128ELNS_18Fp8KVCacheDataTypeE1ELb0EEEvPT_PKS2_PKT0_S8_ifPKiSA_iPKfiiiSC_SC_iiiii: ; @_ZN4vllm25paged_attention_v1_kernelIthLi256ELi32ELi128ELNS_18Fp8KVCacheDataTypeE1ELb0EEEvPT_PKS2_PKT0_S8_ifPKiSA_iPKfiiiSC_SC_iiiii
; %bb.0:
	s_load_dwordx8 s[16:23], s[4:5], 0x0
	s_load_dwordx4 s[36:39], s[4:5], 0x20
	s_load_dwordx2 s[10:11], s[4:5], 0x30
	s_load_dword s33, s[4:5], 0x38
	s_load_dwordx2 s[34:35], s[4:5], 0x40
	s_load_dwordx8 s[24:31], s[4:5], 0x48
	s_add_u32 s0, s0, s9
	s_addc_u32 s1, s1, 0
	s_mov_b32 s14, s8
	s_add_u32 s8, s4, 0x80
	s_addc_u32 s9, s5, 0
	s_getpc_b64 s[4:5]
	s_add_u32 s4, s4, _ZN4vllm22paged_attention_kernelIthLi256ELi32ELi128ELNS_18Fp8KVCacheDataTypeE1ELb0ELi0EEEvPfS2_PT_PKS3_PKT0_S9_ifPKiSB_iPKfiiiSD_SD_iiiii@rel32@lo+4
	s_addc_u32 s5, s5, _ZN4vllm22paged_attention_kernelIthLi256ELi32ELi128ELNS_18Fp8KVCacheDataTypeE1ELb0ELi0EEEvPfS2_PT_PKS3_PKT0_S9_ifPKiSB_iPKfiiiSD_SD_iiiii@rel32@hi+12
	s_mov_b32 s12, s6
	s_mov_b32 s13, s7
	;; [unrolled: 1-line block ×3, first 2 shown]
	v_mov_b32_e32 v31, v0
	s_waitcnt lgkmcnt(0)
	v_mov_b32_e32 v0, s16
	v_mov_b32_e32 v1, s17
	v_mov_b32_e32 v2, s18
	v_mov_b32_e32 v3, s19
	v_mov_b32_e32 v4, s20
	v_mov_b32_e32 v5, s21
	v_mov_b32_e32 v6, s22
	v_mov_b32_e32 v7, s23
	v_mov_b32_e32 v8, s36
	v_mov_b32_e32 v9, s37
	v_mov_b32_e32 v10, s38
	v_mov_b32_e32 v11, s39
	v_mov_b32_e32 v12, s10
	v_mov_b32_e32 v13, s11
	v_mov_b32_e32 v14, s33
	v_mov_b32_e32 v15, s34
	v_mov_b32_e32 v16, s35
	v_mov_b32_e32 v17, s24
	v_mov_b32_e32 v18, s25
	v_mov_b32_e32 v19, s26
	v_mov_b32_e32 v20, s28
	v_mov_b32_e32 v21, s29
	v_mov_b32_e32 v22, s30
	v_mov_b32_e32 v23, s31
	s_mov_b32 s32, 0
	s_swappc_b64 s[30:31], s[4:5]
	s_endpgm
	.section	.rodata,"a",@progbits
	.p2align	6, 0x0
	.amdhsa_kernel _ZN4vllm25paged_attention_v1_kernelIthLi256ELi32ELi128ELNS_18Fp8KVCacheDataTypeE1ELb0EEEvPT_PKS2_PKT0_S8_ifPKiSA_iPKfiiiSC_SC_iiiii
		.amdhsa_group_segment_fixed_size 528
		.amdhsa_private_segment_fixed_size 688
		.amdhsa_kernarg_size 384
		.amdhsa_user_sgpr_count 6
		.amdhsa_user_sgpr_private_segment_buffer 1
		.amdhsa_user_sgpr_dispatch_ptr 0
		.amdhsa_user_sgpr_queue_ptr 0
		.amdhsa_user_sgpr_kernarg_segment_ptr 1
		.amdhsa_user_sgpr_dispatch_id 0
		.amdhsa_user_sgpr_flat_scratch_init 0
		.amdhsa_user_sgpr_private_segment_size 0
		.amdhsa_uses_dynamic_stack 0
		.amdhsa_system_sgpr_private_segment_wavefront_offset 1
		.amdhsa_system_sgpr_workgroup_id_x 1
		.amdhsa_system_sgpr_workgroup_id_y 1
		.amdhsa_system_sgpr_workgroup_id_z 1
		.amdhsa_system_sgpr_workgroup_info 0
		.amdhsa_system_vgpr_workitem_id 0
		.amdhsa_next_free_vgpr 64
		.amdhsa_next_free_sgpr 45
		.amdhsa_reserve_vcc 1
		.amdhsa_reserve_flat_scratch 0
		.amdhsa_float_round_mode_32 0
		.amdhsa_float_round_mode_16_64 0
		.amdhsa_float_denorm_mode_32 3
		.amdhsa_float_denorm_mode_16_64 3
		.amdhsa_dx10_clamp 1
		.amdhsa_ieee_mode 1
		.amdhsa_fp16_overflow 0
		.amdhsa_exception_fp_ieee_invalid_op 0
		.amdhsa_exception_fp_denorm_src 0
		.amdhsa_exception_fp_ieee_div_zero 0
		.amdhsa_exception_fp_ieee_overflow 0
		.amdhsa_exception_fp_ieee_underflow 0
		.amdhsa_exception_fp_ieee_inexact 0
		.amdhsa_exception_int_div_zero 0
	.end_amdhsa_kernel
	.section	.text._ZN4vllm25paged_attention_v1_kernelIthLi256ELi32ELi128ELNS_18Fp8KVCacheDataTypeE1ELb0EEEvPT_PKS2_PKT0_S8_ifPKiSA_iPKfiiiSC_SC_iiiii,"axG",@progbits,_ZN4vllm25paged_attention_v1_kernelIthLi256ELi32ELi128ELNS_18Fp8KVCacheDataTypeE1ELb0EEEvPT_PKS2_PKT0_S8_ifPKiSA_iPKfiiiSC_SC_iiiii,comdat
.Lfunc_end273:
	.size	_ZN4vllm25paged_attention_v1_kernelIthLi256ELi32ELi128ELNS_18Fp8KVCacheDataTypeE1ELb0EEEvPT_PKS2_PKT0_S8_ifPKiSA_iPKfiiiSC_SC_iiiii, .Lfunc_end273-_ZN4vllm25paged_attention_v1_kernelIthLi256ELi32ELi128ELNS_18Fp8KVCacheDataTypeE1ELb0EEEvPT_PKS2_PKT0_S8_ifPKiSA_iPKfiiiSC_SC_iiiii
                                        ; -- End function
	.set _ZN4vllm25paged_attention_v1_kernelIthLi256ELi32ELi128ELNS_18Fp8KVCacheDataTypeE1ELb0EEEvPT_PKS2_PKT0_S8_ifPKiSA_iPKfiiiSC_SC_iiiii.num_vgpr, max(32, .L_ZN4vllm22paged_attention_kernelIthLi256ELi32ELi128ELNS_18Fp8KVCacheDataTypeE1ELb0ELi0EEEvPfS2_PT_PKS3_PKT0_S9_ifPKiSB_iPKfiiiSD_SD_iiiii.num_vgpr)
	.set _ZN4vllm25paged_attention_v1_kernelIthLi256ELi32ELi128ELNS_18Fp8KVCacheDataTypeE1ELb0EEEvPT_PKS2_PKT0_S8_ifPKiSA_iPKfiiiSC_SC_iiiii.num_agpr, max(0, .L_ZN4vllm22paged_attention_kernelIthLi256ELi32ELi128ELNS_18Fp8KVCacheDataTypeE1ELb0ELi0EEEvPfS2_PT_PKS3_PKT0_S9_ifPKiSB_iPKfiiiSD_SD_iiiii.num_agpr)
	.set _ZN4vllm25paged_attention_v1_kernelIthLi256ELi32ELi128ELNS_18Fp8KVCacheDataTypeE1ELb0EEEvPT_PKS2_PKT0_S8_ifPKiSA_iPKfiiiSC_SC_iiiii.numbered_sgpr, max(40, .L_ZN4vllm22paged_attention_kernelIthLi256ELi32ELi128ELNS_18Fp8KVCacheDataTypeE1ELb0ELi0EEEvPfS2_PT_PKS3_PKT0_S9_ifPKiSB_iPKfiiiSD_SD_iiiii.numbered_sgpr)
	.set _ZN4vllm25paged_attention_v1_kernelIthLi256ELi32ELi128ELNS_18Fp8KVCacheDataTypeE1ELb0EEEvPT_PKS2_PKT0_S8_ifPKiSA_iPKfiiiSC_SC_iiiii.num_named_barrier, max(0, .L_ZN4vllm22paged_attention_kernelIthLi256ELi32ELi128ELNS_18Fp8KVCacheDataTypeE1ELb0ELi0EEEvPfS2_PT_PKS3_PKT0_S9_ifPKiSB_iPKfiiiSD_SD_iiiii.num_named_barrier)
	.set _ZN4vllm25paged_attention_v1_kernelIthLi256ELi32ELi128ELNS_18Fp8KVCacheDataTypeE1ELb0EEEvPT_PKS2_PKT0_S8_ifPKiSA_iPKfiiiSC_SC_iiiii.private_seg_size, 0+max(.L_ZN4vllm22paged_attention_kernelIthLi256ELi32ELi128ELNS_18Fp8KVCacheDataTypeE1ELb0ELi0EEEvPfS2_PT_PKS3_PKT0_S9_ifPKiSB_iPKfiiiSD_SD_iiiii.private_seg_size)
	.set _ZN4vllm25paged_attention_v1_kernelIthLi256ELi32ELi128ELNS_18Fp8KVCacheDataTypeE1ELb0EEEvPT_PKS2_PKT0_S8_ifPKiSA_iPKfiiiSC_SC_iiiii.uses_vcc, or(1, .L_ZN4vllm22paged_attention_kernelIthLi256ELi32ELi128ELNS_18Fp8KVCacheDataTypeE1ELb0ELi0EEEvPfS2_PT_PKS3_PKT0_S9_ifPKiSB_iPKfiiiSD_SD_iiiii.uses_vcc)
	.set _ZN4vllm25paged_attention_v1_kernelIthLi256ELi32ELi128ELNS_18Fp8KVCacheDataTypeE1ELb0EEEvPT_PKS2_PKT0_S8_ifPKiSA_iPKfiiiSC_SC_iiiii.uses_flat_scratch, or(0, .L_ZN4vllm22paged_attention_kernelIthLi256ELi32ELi128ELNS_18Fp8KVCacheDataTypeE1ELb0ELi0EEEvPfS2_PT_PKS3_PKT0_S9_ifPKiSB_iPKfiiiSD_SD_iiiii.uses_flat_scratch)
	.set _ZN4vllm25paged_attention_v1_kernelIthLi256ELi32ELi128ELNS_18Fp8KVCacheDataTypeE1ELb0EEEvPT_PKS2_PKT0_S8_ifPKiSA_iPKfiiiSC_SC_iiiii.has_dyn_sized_stack, or(0, .L_ZN4vllm22paged_attention_kernelIthLi256ELi32ELi128ELNS_18Fp8KVCacheDataTypeE1ELb0ELi0EEEvPfS2_PT_PKS3_PKT0_S9_ifPKiSB_iPKfiiiSD_SD_iiiii.has_dyn_sized_stack)
	.set _ZN4vllm25paged_attention_v1_kernelIthLi256ELi32ELi128ELNS_18Fp8KVCacheDataTypeE1ELb0EEEvPT_PKS2_PKT0_S8_ifPKiSA_iPKfiiiSC_SC_iiiii.has_recursion, or(0, .L_ZN4vllm22paged_attention_kernelIthLi256ELi32ELi128ELNS_18Fp8KVCacheDataTypeE1ELb0ELi0EEEvPfS2_PT_PKS3_PKT0_S9_ifPKiSB_iPKfiiiSD_SD_iiiii.has_recursion)
	.set _ZN4vllm25paged_attention_v1_kernelIthLi256ELi32ELi128ELNS_18Fp8KVCacheDataTypeE1ELb0EEEvPT_PKS2_PKT0_S8_ifPKiSA_iPKfiiiSC_SC_iiiii.has_indirect_call, or(0, .L_ZN4vllm22paged_attention_kernelIthLi256ELi32ELi128ELNS_18Fp8KVCacheDataTypeE1ELb0ELi0EEEvPfS2_PT_PKS3_PKT0_S9_ifPKiSB_iPKfiiiSD_SD_iiiii.has_indirect_call)
	.section	.AMDGPU.csdata,"",@progbits
; Kernel info:
; codeLenInByte = 220
; TotalNumSgprs: 49
; NumVgprs: 64
; ScratchSize: 688
; MemoryBound: 0
; FloatMode: 240
; IeeeMode: 1
; LDSByteSize: 528 bytes/workgroup (compile time only)
; SGPRBlocks: 6
; VGPRBlocks: 15
; NumSGPRsForWavesPerEU: 49
; NumVGPRsForWavesPerEU: 64
; Occupancy: 4
; WaveLimiterHint : 1
; COMPUTE_PGM_RSRC2:SCRATCH_EN: 1
; COMPUTE_PGM_RSRC2:USER_SGPR: 6
; COMPUTE_PGM_RSRC2:TRAP_HANDLER: 0
; COMPUTE_PGM_RSRC2:TGID_X_EN: 1
; COMPUTE_PGM_RSRC2:TGID_Y_EN: 1
; COMPUTE_PGM_RSRC2:TGID_Z_EN: 1
; COMPUTE_PGM_RSRC2:TIDIG_COMP_CNT: 0
	.section	.text._ZN4vllm25paged_attention_v1_kernelI14__hip_bfloat16hLi32ELi8ELi128ELNS_18Fp8KVCacheDataTypeE1ELb1EEEvPT_PKS3_PKT0_S9_ifPKiSB_iPKfiiiSD_SD_iiiii,"axG",@progbits,_ZN4vllm25paged_attention_v1_kernelI14__hip_bfloat16hLi32ELi8ELi128ELNS_18Fp8KVCacheDataTypeE1ELb1EEEvPT_PKS3_PKT0_S9_ifPKiSB_iPKfiiiSD_SD_iiiii,comdat
	.protected	_ZN4vllm25paged_attention_v1_kernelI14__hip_bfloat16hLi32ELi8ELi128ELNS_18Fp8KVCacheDataTypeE1ELb1EEEvPT_PKS3_PKT0_S9_ifPKiSB_iPKfiiiSD_SD_iiiii ; -- Begin function _ZN4vllm25paged_attention_v1_kernelI14__hip_bfloat16hLi32ELi8ELi128ELNS_18Fp8KVCacheDataTypeE1ELb1EEEvPT_PKS3_PKT0_S9_ifPKiSB_iPKfiiiSD_SD_iiiii
	.globl	_ZN4vllm25paged_attention_v1_kernelI14__hip_bfloat16hLi32ELi8ELi128ELNS_18Fp8KVCacheDataTypeE1ELb1EEEvPT_PKS3_PKT0_S9_ifPKiSB_iPKfiiiSD_SD_iiiii
	.p2align	8
	.type	_ZN4vllm25paged_attention_v1_kernelI14__hip_bfloat16hLi32ELi8ELi128ELNS_18Fp8KVCacheDataTypeE1ELb1EEEvPT_PKS3_PKT0_S9_ifPKiSB_iPKfiiiSD_SD_iiiii,@function
_ZN4vllm25paged_attention_v1_kernelI14__hip_bfloat16hLi32ELi8ELi128ELNS_18Fp8KVCacheDataTypeE1ELb1EEEvPT_PKS3_PKT0_S9_ifPKiSB_iPKfiiiSD_SD_iiiii: ; @_ZN4vllm25paged_attention_v1_kernelI14__hip_bfloat16hLi32ELi8ELi128ELNS_18Fp8KVCacheDataTypeE1ELb1EEEvPT_PKS3_PKT0_S9_ifPKiSB_iPKfiiiSD_SD_iiiii
; %bb.0:
	s_load_dword s9, s[4:5], 0x80
	s_load_dwordx2 s[0:1], s[4:5], 0x30
	s_load_dwordx2 s[36:37], s[4:5], 0x20
	s_mov_b32 s10, s7
	s_ashr_i32 s11, s7, 31
	s_lshl_b64 s[2:3], s[10:11], 2
	s_waitcnt lgkmcnt(0)
	s_add_u32 s0, s0, s2
	s_addc_u32 s1, s1, s3
	s_abs_i32 s2, s36
	v_cvt_f32_u32_e32 v1, s2
	s_sub_i32 s11, 0, s2
	s_abs_i32 s7, s9
	s_xor_b32 s3, s9, s36
	v_rcp_iflag_f32_e32 v1, v1
	s_ashr_i32 s3, s3, 31
	s_mov_b32 s49, 0
	v_mul_f32_e32 v1, 0x4f7ffffe, v1
	v_cvt_u32_f32_e32 v1, v1
	v_readfirstlane_b32 s12, v1
	s_mul_i32 s11, s11, s12
	s_mul_hi_u32 s11, s12, s11
	s_add_i32 s12, s12, s11
	s_mul_hi_u32 s11, s7, s12
	s_mul_i32 s12, s11, s2
	s_sub_i32 s7, s7, s12
	s_add_i32 s12, s11, 1
	s_sub_i32 s13, s7, s2
	s_cmp_ge_u32 s7, s2
	s_cselect_b32 s11, s12, s11
	s_cselect_b32 s7, s13, s7
	s_add_i32 s12, s11, 1
	s_cmp_ge_u32 s7, s2
	s_cselect_b32 s2, s12, s11
	s_xor_b32 s2, s2, s3
	s_sub_i32 s15, s2, s3
	s_abs_i32 s12, s15
	v_cvt_f32_u32_e32 v1, s12
	s_load_dwordx2 s[2:3], s[4:5], 0x40
	s_sub_i32 s7, 0, s12
	s_abs_i32 s13, s6
	v_rcp_iflag_f32_e32 v1, v1
	v_mul_f32_e32 v1, 0x4f7ffffe, v1
	v_cvt_u32_f32_e32 v1, v1
	v_readfirstlane_b32 s11, v1
	s_mul_i32 s7, s7, s11
	s_mul_hi_u32 s7, s11, s7
	s_add_i32 s11, s11, s7
	s_waitcnt lgkmcnt(0)
	s_cmp_eq_u64 s[2:3], 0
	s_mul_hi_u32 s14, s13, s11
	s_cbranch_scc1 .LBB274_2
; %bb.1:
	s_ashr_i32 s7, s6, 31
	s_lshl_b64 s[16:17], s[6:7], 2
	s_add_u32 s2, s2, s16
	s_addc_u32 s3, s3, s17
	s_load_dword s49, s[2:3], 0x0
.LBB274_2:
	s_load_dword s11, s[0:1], 0x0
	s_load_dwordx4 s[16:19], s[4:5], 0x48
	s_ashr_i32 s2, s6, 31
	s_ashr_i32 s7, s15, 31
	v_and_b32_e32 v1, 7, v0
	s_lshl_b32 s24, s6, 5
	v_cmp_gt_u32_e32 vcc, 32, v0
	s_and_saveexec_b64 s[0:1], vcc
	s_cbranch_execz .LBB274_4
; %bb.3:
	s_load_dwordx2 s[20:21], s[4:5], 0x8
	s_waitcnt lgkmcnt(0)
	s_mul_i32 s22, s16, s10
	s_ashr_i32 s23, s22, 31
	s_lshl_b64 s[22:23], s[22:23], 1
	v_lshlrev_b32_e32 v2, 1, v0
	s_add_u32 s3, s20, s22
	s_addc_u32 s15, s21, s23
	s_ashr_i32 s25, s24, 31
	s_lshl_b64 s[20:21], s[24:25], 1
	s_add_u32 s20, s3, s20
	s_addc_u32 s21, s15, s21
	global_load_ushort v2, v2, s[20:21]
	v_lshrrev_b32_e32 v3, 2, v0
	v_and_b32_e32 v3, 0xfe, v3
	v_lshl_add_u32 v3, v1, 3, v3
	s_waitcnt vmcnt(0)
	ds_write_b16 v3, v2
.LBB274_4:
	s_or_b64 exec, exec, s[0:1]
	s_mul_i32 s1, s14, s12
	s_sub_i32 s1, s13, s1
	s_xor_b32 s0, s2, s7
	s_add_i32 s2, s14, 1
	s_sub_i32 s7, s1, s12
	s_load_dwordx4 s[20:23], s[4:5], 0x68
	s_load_dword s3, s[4:5], 0x78
	s_cmp_ge_u32 s1, s12
	s_cselect_b32 s2, s2, s14
	s_cselect_b32 s1, s7, s1
	s_add_i32 s7, s2, 1
	s_cmp_ge_u32 s1, s12
	s_cselect_b32 s1, s7, s2
	s_waitcnt lgkmcnt(0)
	s_abs_i32 s33, s23
	v_cvt_f32_u32_e32 v2, s33
	s_xor_b32 s1, s1, s0
	s_sub_i32 s2, s1, s0
	s_sub_i32 s0, 0, s33
	v_rcp_iflag_f32_e32 v2, v2
	s_add_i32 s12, s11, -1
	s_abs_i32 s7, s12
	v_mul_f32_e32 v2, 0x4f7ffffe, v2
	v_cvt_u32_f32_e32 v2, v2
	s_barrier
	v_readfirstlane_b32 s46, v2
	s_mul_i32 s0, s0, s46
	s_mul_hi_u32 s0, s46, s0
	s_add_i32 s46, s46, s0
	s_cmp_lt_i32 s3, 0
	s_mul_hi_u32 s16, s7, s46
	s_cbranch_scc0 .LBB274_6
; %bb.5:
	s_mul_i32 s0, s20, s36
	s_add_i32 s0, s2, s0
	s_mul_i32 s0, s0, s3
	s_sub_i32 s36, 1, s0
	s_mov_b64 s[0:1], 0
	s_branch .LBB274_7
.LBB274_6:
	s_mov_b64 s[0:1], -1
                                        ; implicit-def: $sgpr36
.LBB274_7:
	s_load_dwordx2 s[28:29], s[4:5], 0x28
	s_ashr_i32 s19, s12, 31
	s_andn2_b64 vcc, exec, s[0:1]
	s_ashr_i32 s47, s23, 31
	s_cbranch_vccnz .LBB274_9
; %bb.8:
	s_mul_i32 s0, s9, s20
	s_add_i32 s0, s0, s6
	s_mul_i32 s0, s0, s3
	s_add_i32 s36, s0, 1
.LBB274_9:
	s_load_dword s0, s[4:5], 0x38
	s_load_dwordx2 s[26:27], s[4:5], 0x0
	s_load_dwordx2 s[34:35], s[4:5], 0x18
	s_load_dword s25, s[4:5], 0x88
	s_load_dwordx4 s[12:15], s[4:5], 0x58
	s_mul_i32 s1, s16, s33
	s_waitcnt lgkmcnt(0)
	s_mul_i32 s30, s0, s10
	s_sub_i32 s1, s7, s1
	s_ashr_i32 s31, s30, 31
	s_xor_b32 s0, s19, s47
	s_add_i32 s3, s16, 1
	s_sub_i32 s6, s1, s33
	s_cmp_ge_u32 s1, s33
	s_cselect_b32 s3, s3, s16
	s_cselect_b32 s1, s6, s1
	s_add_i32 s6, s3, 1
	s_cmp_ge_u32 s1, s33
	s_cselect_b32 s1, s6, s3
	s_xor_b32 s1, s1, s0
	s_sub_i32 s16, s1, s0
	s_add_i32 s0, s11, 7
	s_ashr_i32 s1, s0, 31
	s_lshr_b32 s1, s1, 29
	s_add_i32 s0, s0, s1
	s_ashr_i32 s48, s0, 3
	v_lshrrev_b32_e32 v18, 6, v0
	v_cmp_gt_i32_e64 s[0:1], s48, v18
	v_mov_b32_e32 v14, 0xff7fffff
	s_mul_i32 s20, s2, s18
	v_lshrrev_b32_e32 v11, 4, v0
	v_lshlrev_b32_e32 v19, 3, v18
	v_mbcnt_lo_u32_b32 v10, -1, 0
	s_and_saveexec_b64 s[18:19], s[0:1]
	s_cbranch_execz .LBB274_45
; %bb.10:
	s_load_dwordx2 s[2:3], s[4:5], 0x10
	s_sub_i32 s23, s16, s21
	s_ashr_i32 s4, s20, 31
	v_bfe_u32 v12, v0, 3, 3
	v_cmp_eq_u32_e32 vcc, 0, v1
	s_waitcnt lgkmcnt(0)
	s_add_u32 s5, s2, s20
	s_addc_u32 s4, s3, s4
	s_abs_i32 s50, s22
	v_cvt_f32_u32_e32 v2, s50
	v_mov_b32_e32 v4, s4
	s_sub_i32 s4, 0, s50
	v_lshlrev_b32_e32 v13, 3, v1
	v_rcp_iflag_f32_e32 v2, v2
	s_mov_b32 s51, s17
	v_cmp_neq_f32_e64 s[2:3], s49, 0
	v_lshlrev_b32_e32 v16, 3, v18
	v_mul_f32_e32 v2, 0x4f7ffffe, v2
	v_cvt_u32_f32_e32 v3, v2
	v_lshlrev_b32_e32 v2, 4, v12
	v_mov_b32_e32 v21, 0xff7fffff
	s_mov_b64 s[38:39], 0
	v_mul_lo_u32 v5, s4, v3
	v_add_co_u32_e64 v2, s[4:5], s5, v2
	v_addc_co_u32_e64 v4, s[4:5], 0, v4, s[4:5]
	v_mul_hi_u32 v5, v3, v5
	v_add_co_u32_e64 v1, s[4:5], v2, v1
	v_addc_co_u32_e64 v2, s[4:5], 0, v4, s[4:5]
	s_lshl_b64 s[4:5], s[30:31], 2
	v_add_u32_e32 v15, v3, v5
	s_add_u32 s4, s28, s4
	v_subrev_u32_e32 v5, s11, v12
	v_and_b32_e32 v3, 60, v11
	s_addc_u32 s5, s29, s5
	v_add_u32_e32 v17, 1, v5
	v_lshlrev_b32_e32 v5, 2, v12
	v_mov_b32_e32 v4, s5
	v_add_co_u32_e64 v3, s[4:5], s4, v3
	v_lshl_or_b32 v5, v18, 5, v5
	v_addc_co_u32_e64 v4, s[4:5], 0, v4, s[4:5]
	v_add_u32_e32 v20, 0x50, v5
	s_movk_i32 s52, 0x80
	s_movk_i32 s53, 0x7f
	;; [unrolled: 1-line block ×3, first 2 shown]
	v_bfrev_b32_e32 v22, 60
	v_mbcnt_hi_u32_b32 v23, -1, v10
	v_mov_b32_e32 v14, 0xff7fffff
	v_mov_b32_e32 v24, v18
	s_branch .LBB274_13
.LBB274_11:                             ;   in Loop: Header=BB274_13 Depth=1
	s_or_b64 exec, exec, s[40:41]
.LBB274_12:                             ;   in Loop: Header=BB274_13 Depth=1
	s_or_b64 exec, exec, s[6:7]
	v_add_co_u32_e64 v3, s[4:5], 8, v3
	v_add_u32_e32 v24, 2, v24
	v_addc_co_u32_e64 v4, s[4:5], 0, v4, s[4:5]
	v_cmp_le_i32_e64 s[4:5], s48, v24
	v_add_u32_e32 v16, 16, v16
	s_or_b64 s[38:39], s[4:5], s[38:39]
	v_add_u32_e32 v20, 64, v20
	s_andn2_b64 exec, exec, s[38:39]
	s_cbranch_execz .LBB274_44
.LBB274_13:                             ; =>This Inner Loop Header: Depth=1
	v_mul_hi_u32 v5, v16, s46
	s_waitcnt lgkmcnt(0)
	v_mul_lo_u32 v6, v5, s33
	v_add_u32_e32 v7, 1, v5
	v_sub_u32_e32 v6, v16, v6
	v_cmp_le_u32_e64 s[4:5], s33, v6
	v_cndmask_b32_e64 v5, v5, v7, s[4:5]
	v_subrev_u32_e32 v7, s33, v6
	v_cndmask_b32_e64 v6, v6, v7, s[4:5]
	v_add_u32_e32 v7, 1, v5
	v_cmp_le_u32_e64 s[4:5], s33, v6
	v_cndmask_b32_e64 v5, v5, v7, s[4:5]
	v_xor_b32_e32 v5, s47, v5
	v_subrev_u32_e32 v5, s47, v5
	v_add_u32_e32 v6, s36, v5
	v_sub_u32_e32 v7, 0, v6
	v_max_i32_e32 v7, v6, v7
	v_mul_hi_u32 v8, v7, v15
	v_ashrrev_i32_e32 v6, 31, v6
	v_cmp_ge_i32_e64 s[6:7], s23, v5
	v_mul_lo_u32 v8, v8, s50
	v_sub_u32_e32 v7, v7, v8
	v_subrev_u32_e32 v8, s50, v7
	v_cmp_le_u32_e64 s[4:5], s50, v7
	v_cndmask_b32_e64 v7, v7, v8, s[4:5]
	v_subrev_u32_e32 v8, s50, v7
	v_cmp_le_u32_e64 s[4:5], s50, v7
	v_cndmask_b32_e64 v7, v7, v8, s[4:5]
	v_xor_b32_e32 v7, v7, v6
	v_sub_u32_e32 v6, v7, v6
	v_cmp_ne_u32_e64 s[4:5], 0, v6
	s_and_b64 s[4:5], s[4:5], s[6:7]
	s_and_saveexec_b64 s[6:7], s[4:5]
	s_xor_b64 s[4:5], exec, s[6:7]
	s_cbranch_execz .LBB274_17
; %bb.14:                               ;   in Loop: Header=BB274_13 Depth=1
	s_and_saveexec_b64 s[6:7], vcc
; %bb.15:                               ;   in Loop: Header=BB274_13 Depth=1
	ds_write_b32 v20, v21
; %bb.16:                               ;   in Loop: Header=BB274_13 Depth=1
	s_or_b64 exec, exec, s[6:7]
.LBB274_17:                             ;   in Loop: Header=BB274_13 Depth=1
	s_andn2_saveexec_b64 s[6:7], s[4:5]
	s_cbranch_execz .LBB274_12
; %bb.18:                               ;   in Loop: Header=BB274_13 Depth=1
	global_load_dword v5, v[3:4], off
	s_load_dword s55, s[12:13], 0x0
	v_mov_b32_e32 v26, 0
	v_mov_b32_e32 v25, 0
	s_waitcnt vmcnt(0)
	v_mad_i64_i32 v[7:8], s[4:5], v5, s51, v[1:2]
	ds_read_b64 v[5:6], v13
	global_load_ubyte v27, v[7:8], off
	s_waitcnt vmcnt(0)
	v_cmp_ne_u16_e64 s[4:5], 0, v27
	s_and_saveexec_b64 s[40:41], s[4:5]
	s_cbranch_execz .LBB274_24
; %bb.19:                               ;   in Loop: Header=BB274_13 Depth=1
	v_cmp_ne_u16_e64 s[4:5], s52, v27
	v_bfrev_b32_e32 v25, 1
	s_and_saveexec_b64 s[42:43], s[4:5]
	s_cbranch_execz .LBB274_23
; %bb.20:                               ;   in Loop: Header=BB274_13 Depth=1
	v_and_b32_e32 v9, 0xffff, v27
	v_and_b32_e32 v28, 0x7f, v9
	v_cmp_ne_u32_e64 s[4:5], s53, v28
	v_mov_b32_e32 v25, 0x7f800001
	s_and_saveexec_b64 s[44:45], s[4:5]
	s_cbranch_execz .LBB274_22
; %bb.21:                               ;   in Loop: Header=BB274_13 Depth=1
	v_and_b32_e32 v25, 7, v9
	v_ffbh_u32_e32 v29, v25
	v_min_u32_e32 v32, 32, v29
	v_subrev_u32_e32 v29, 28, v32
	v_lshlrev_b64 v[29:30], v29, v[9:10]
	v_lshrrev_b32_e32 v31, 3, v28
	v_sub_u32_e32 v9, 29, v32
	v_and_b32_e32 v29, 7, v29
	v_cmp_gt_u32_e64 s[4:5], 8, v28
	v_cndmask_b32_e64 v9, v31, v9, s[4:5]
	v_cndmask_b32_e64 v25, v25, v29, s[4:5]
	v_lshlrev_b32_e32 v27, 24, v27
	v_lshlrev_b32_e32 v25, 20, v25
	v_and_b32_e32 v27, 0x80000000, v27
	v_lshl_add_u32 v9, v9, 23, v22
	v_or3_b32 v25, v27, v9, v25
.LBB274_22:                             ;   in Loop: Header=BB274_13 Depth=1
	s_or_b64 exec, exec, s[44:45]
.LBB274_23:                             ;   in Loop: Header=BB274_13 Depth=1
	s_or_b64 exec, exec, s[42:43]
.LBB274_24:                             ;   in Loop: Header=BB274_13 Depth=1
	s_or_b64 exec, exec, s[40:41]
	global_load_ubyte v27, v[7:8], off offset:8
	s_waitcnt vmcnt(0)
	v_cmp_ne_u16_e64 s[4:5], 0, v27
	s_and_saveexec_b64 s[40:41], s[4:5]
	s_cbranch_execz .LBB274_30
; %bb.25:                               ;   in Loop: Header=BB274_13 Depth=1
	v_cmp_ne_u16_e64 s[4:5], s52, v27
	v_bfrev_b32_e32 v26, 1
	s_and_saveexec_b64 s[42:43], s[4:5]
	s_cbranch_execz .LBB274_29
; %bb.26:                               ;   in Loop: Header=BB274_13 Depth=1
	v_and_b32_e32 v9, 0xffff, v27
	v_and_b32_e32 v28, 0x7f, v9
	v_cmp_ne_u32_e64 s[4:5], s53, v28
	v_mov_b32_e32 v26, 0x7f800001
	s_and_saveexec_b64 s[44:45], s[4:5]
	s_cbranch_execz .LBB274_28
; %bb.27:                               ;   in Loop: Header=BB274_13 Depth=1
	v_and_b32_e32 v26, 7, v9
	v_ffbh_u32_e32 v29, v26
	v_min_u32_e32 v32, 32, v29
	v_subrev_u32_e32 v29, 28, v32
	v_lshlrev_b64 v[29:30], v29, v[9:10]
	v_lshrrev_b32_e32 v31, 3, v28
	v_sub_u32_e32 v9, 29, v32
	v_and_b32_e32 v29, 7, v29
	v_cmp_gt_u32_e64 s[4:5], 8, v28
	v_cndmask_b32_e64 v9, v31, v9, s[4:5]
	v_cndmask_b32_e64 v26, v26, v29, s[4:5]
	v_lshlrev_b32_e32 v27, 24, v27
	v_lshlrev_b32_e32 v26, 20, v26
	v_and_b32_e32 v27, 0x80000000, v27
	v_lshl_add_u32 v9, v9, 23, v22
	v_or3_b32 v26, v27, v9, v26
.LBB274_28:                             ;   in Loop: Header=BB274_13 Depth=1
	s_or_b64 exec, exec, s[44:45]
.LBB274_29:                             ;   in Loop: Header=BB274_13 Depth=1
	s_or_b64 exec, exec, s[42:43]
.LBB274_30:                             ;   in Loop: Header=BB274_13 Depth=1
	s_or_b64 exec, exec, s[40:41]
	global_load_ubyte v29, v[7:8], off offset:128
	v_mov_b32_e32 v27, 0
	v_mov_b32_e32 v28, 0
	s_waitcnt vmcnt(0)
	v_cmp_ne_u16_e64 s[4:5], 0, v29
	s_and_saveexec_b64 s[40:41], s[4:5]
	s_cbranch_execz .LBB274_36
; %bb.31:                               ;   in Loop: Header=BB274_13 Depth=1
	v_cmp_ne_u16_e64 s[4:5], s52, v29
	v_bfrev_b32_e32 v28, 1
	s_and_saveexec_b64 s[42:43], s[4:5]
	s_cbranch_execz .LBB274_35
; %bb.32:                               ;   in Loop: Header=BB274_13 Depth=1
	v_and_b32_e32 v9, 0xffff, v29
	v_and_b32_e32 v30, 0x7f, v9
	v_cmp_ne_u32_e64 s[4:5], s53, v30
	v_mov_b32_e32 v28, 0x7f800001
	s_and_saveexec_b64 s[44:45], s[4:5]
	s_cbranch_execz .LBB274_34
; %bb.33:                               ;   in Loop: Header=BB274_13 Depth=1
	v_and_b32_e32 v28, 7, v9
	v_ffbh_u32_e32 v31, v28
	v_min_u32_e32 v34, 32, v31
	v_subrev_u32_e32 v31, 28, v34
	v_lshlrev_b64 v[31:32], v31, v[9:10]
	v_lshrrev_b32_e32 v33, 3, v30
	v_sub_u32_e32 v9, 29, v34
	v_and_b32_e32 v31, 7, v31
	v_cmp_gt_u32_e64 s[4:5], 8, v30
	v_cndmask_b32_e64 v9, v33, v9, s[4:5]
	v_cndmask_b32_e64 v28, v28, v31, s[4:5]
	v_lshlrev_b32_e32 v29, 24, v29
	v_lshlrev_b32_e32 v28, 20, v28
	v_and_b32_e32 v29, 0x80000000, v29
	v_lshl_add_u32 v9, v9, 23, v22
	v_or3_b32 v28, v29, v9, v28
.LBB274_34:                             ;   in Loop: Header=BB274_13 Depth=1
	s_or_b64 exec, exec, s[44:45]
.LBB274_35:                             ;   in Loop: Header=BB274_13 Depth=1
	s_or_b64 exec, exec, s[42:43]
.LBB274_36:                             ;   in Loop: Header=BB274_13 Depth=1
	s_or_b64 exec, exec, s[40:41]
	global_load_ubyte v8, v[7:8], off offset:136
	s_waitcnt vmcnt(0)
	v_cmp_ne_u16_e64 s[4:5], 0, v8
	s_and_saveexec_b64 s[40:41], s[4:5]
	s_cbranch_execz .LBB274_42
; %bb.37:                               ;   in Loop: Header=BB274_13 Depth=1
	v_cmp_ne_u16_e64 s[4:5], s52, v8
	v_bfrev_b32_e32 v27, 1
	s_and_saveexec_b64 s[42:43], s[4:5]
	s_cbranch_execz .LBB274_41
; %bb.38:                               ;   in Loop: Header=BB274_13 Depth=1
	v_and_b32_e32 v7, 0xffff, v8
	v_and_b32_e32 v9, 0x7f, v7
	v_cmp_ne_u32_e64 s[4:5], s53, v9
	v_mov_b32_e32 v27, 0x7f800001
	s_and_saveexec_b64 s[44:45], s[4:5]
	s_cbranch_execz .LBB274_40
; %bb.39:                               ;   in Loop: Header=BB274_13 Depth=1
	v_and_b32_e32 v27, 7, v7
	v_ffbh_u32_e32 v29, v27
	v_min_u32_e32 v32, 32, v29
	v_subrev_u32_e32 v29, 28, v32
	v_lshlrev_b64 v[29:30], v29, v[7:8]
	v_lshrrev_b32_e32 v31, 3, v9
	v_sub_u32_e32 v7, 29, v32
	v_and_b32_e32 v29, 7, v29
	v_cmp_gt_u32_e64 s[4:5], 8, v9
	v_cndmask_b32_e64 v7, v31, v7, s[4:5]
	v_cndmask_b32_e64 v9, v27, v29, s[4:5]
	v_lshlrev_b32_e32 v8, 24, v8
	v_lshlrev_b32_e32 v9, 20, v9
	v_and_b32_e32 v8, 0x80000000, v8
	v_lshl_add_u32 v7, v7, 23, v22
	v_or3_b32 v27, v8, v7, v9
.LBB274_40:                             ;   in Loop: Header=BB274_13 Depth=1
	s_or_b64 exec, exec, s[44:45]
.LBB274_41:                             ;   in Loop: Header=BB274_13 Depth=1
	s_or_b64 exec, exec, s[42:43]
.LBB274_42:                             ;   in Loop: Header=BB274_13 Depth=1
	s_or_b64 exec, exec, s[40:41]
	s_waitcnt lgkmcnt(0)
	v_mul_f32_e32 v7, s55, v28
	v_bfe_u32 v8, v7, 16, 1
	v_add3_u32 v8, v8, v7, s54
	v_or_b32_e32 v9, 0x400000, v7
	v_cmp_u_f32_e64 s[4:5], v7, v7
	v_cndmask_b32_e64 v7, v8, v9, s[4:5]
	v_mul_f32_e32 v8, s55, v26
	v_bfe_u32 v9, v8, 16, 1
	v_add3_u32 v9, v9, v8, s54
	v_or_b32_e32 v26, 0x400000, v8
	v_cmp_u_f32_e64 s[4:5], v8, v8
	v_cndmask_b32_e64 v8, v9, v26, s[4:5]
	;; [unrolled: 6-line block ×3, first 2 shown]
	v_and_b32_e32 v25, 64, v23
	v_add_u32_e32 v25, 64, v25
	v_xor_b32_e32 v26, 4, v23
	v_mul_f32_e32 v27, s55, v27
	v_cmp_lt_i32_e64 s[4:5], v26, v25
	v_bfe_u32 v28, v27, 16, 1
	v_cndmask_b32_e64 v26, v23, v26, s[4:5]
	v_add3_u32 v28, v28, v27, s54
	v_or_b32_e32 v29, 0x400000, v27
	v_cmp_u_f32_e64 s[4:5], v27, v27
	v_cndmask_b32_e64 v27, v28, v29, s[4:5]
	v_lshlrev_b32_e32 v28, 16, v5
	v_and_b32_e32 v5, 0xffff0000, v5
	v_and_b32_e32 v8, 0xffff0000, v8
	;; [unrolled: 1-line block ×3, first 2 shown]
	v_mul_f32_e32 v5, v5, v8
	v_lshlrev_b32_e32 v29, 16, v6
	v_fmac_f32_e32 v5, v28, v9
	v_and_b32_e32 v7, 0xffff0000, v7
	v_and_b32_e32 v6, 0xffff0000, v6
	v_fmac_f32_e32 v5, v29, v7
	v_and_b32_e32 v7, 0xffff0000, v27
	v_lshlrev_b32_e32 v26, 2, v26
	v_fmac_f32_e32 v5, v6, v7
	ds_bpermute_b32 v6, v26, v5
	v_xor_b32_e32 v7, 2, v23
	v_cmp_lt_i32_e64 s[4:5], v7, v25
	v_cndmask_b32_e64 v7, v23, v7, s[4:5]
	v_lshlrev_b32_e32 v7, 2, v7
	s_waitcnt lgkmcnt(0)
	v_add_f32_e32 v5, v5, v6
	ds_bpermute_b32 v6, v7, v5
	v_xor_b32_e32 v7, 1, v23
	v_cmp_lt_i32_e64 s[4:5], v7, v25
	v_cndmask_b32_e64 v7, v23, v7, s[4:5]
	v_lshlrev_b32_e32 v7, 2, v7
	s_waitcnt lgkmcnt(0)
	v_add_f32_e32 v5, v5, v6
	ds_bpermute_b32 v6, v7, v5
	s_and_saveexec_b64 s[40:41], vcc
	s_cbranch_execz .LBB274_11
; %bb.43:                               ;   in Loop: Header=BB274_13 Depth=1
	v_add_u32_e32 v7, v17, v16
	v_cvt_f32_i32_e32 v7, v7
	s_waitcnt lgkmcnt(0)
	v_add_f32_e32 v5, v5, v6
	v_add_u32_e32 v8, v12, v16
	v_cmp_gt_i32_e64 s[4:5], s11, v8
	v_mul_f32_e32 v6, s49, v7
	v_cndmask_b32_e64 v6, 0, v6, s[2:3]
	v_fmac_f32_e32 v6, s37, v5
	v_cndmask_b32_e64 v5, 0, v6, s[4:5]
	ds_write_b32 v20, v5
	v_max_f32_e32 v5, v14, v14
	v_max_f32_e32 v5, v5, v6
	v_cndmask_b32_e64 v14, v14, v5, s[4:5]
	s_branch .LBB274_11
.LBB274_44:
	s_or_b64 exec, exec, s[38:39]
.LBB274_45:
	s_or_b64 exec, exec, s[18:19]
	v_mbcnt_hi_u32_b32 v1, -1, v10
	v_and_b32_e32 v9, 64, v1
	v_add_u32_e32 v2, 64, v9
	v_xor_b32_e32 v3, 32, v1
	v_cmp_lt_i32_e32 vcc, v3, v2
	v_cndmask_b32_e32 v3, v1, v3, vcc
	v_lshlrev_b32_e32 v4, 2, v3
	ds_bpermute_b32 v3, v4, v14
	s_waitcnt lgkmcnt(1)
	v_xor_b32_e32 v6, 16, v1
	v_max_f32_e32 v5, v14, v14
	v_cmp_lt_i32_e32 vcc, v6, v2
	v_xor_b32_e32 v7, 8, v1
	s_waitcnt lgkmcnt(0)
	v_max_f32_e32 v3, v3, v3
	v_max_f32_e32 v3, v5, v3
	v_cndmask_b32_e32 v5, v1, v6, vcc
	v_lshlrev_b32_e32 v6, 2, v5
	ds_bpermute_b32 v5, v6, v3
	v_cmp_lt_i32_e32 vcc, v7, v2
	v_and_b32_e32 v20, 63, v0
	s_waitcnt lgkmcnt(0)
	v_max_f32_e32 v5, v5, v5
	v_max_f32_e32 v5, v3, v5
	v_cndmask_b32_e32 v3, v1, v7, vcc
	v_lshlrev_b32_e32 v8, 2, v3
	ds_bpermute_b32 v7, v8, v5
	v_cmp_eq_u32_e32 vcc, 0, v20
	v_lshlrev_b32_e32 v3, 2, v18
	s_and_saveexec_b64 s[2:3], vcc
	s_cbranch_execz .LBB274_47
; %bb.46:
	s_waitcnt lgkmcnt(0)
	v_max_f32_e32 v7, v7, v7
	v_max_f32_e32 v5, v5, v5
	;; [unrolled: 1-line block ×3, first 2 shown]
	ds_write_b32 v3, v5 offset:64
.LBB274_47:
	s_or_b64 exec, exec, s[2:3]
	v_cmp_gt_u32_e64 s[2:3], 2, v20
	v_mov_b32_e32 v10, 0xff7fffff
	v_lshlrev_b32_e32 v5, 2, v20
	s_waitcnt lgkmcnt(0)
	s_barrier
	s_and_saveexec_b64 s[4:5], s[2:3]
; %bb.48:
	ds_read_b32 v10, v5 offset:64
; %bb.49:
	s_or_b64 exec, exec, s[4:5]
	v_xor_b32_e32 v7, 1, v1
	v_cmp_lt_i32_e64 s[4:5], v7, v2
	v_cndmask_b32_e64 v7, v1, v7, s[4:5]
	v_lshlrev_b32_e32 v7, 2, v7
	s_waitcnt lgkmcnt(0)
	ds_bpermute_b32 v12, v7, v10
	v_max_f32_e32 v10, v10, v10
	v_lshlrev_b32_e32 v9, 2, v9
	s_lshl_b32 s4, s48, 3
	s_min_i32 s23, s4, s11
	s_waitcnt lgkmcnt(0)
	v_max_f32_e32 v12, v12, v12
	v_max_f32_e32 v10, v10, v12
	ds_bpermute_b32 v10, v9, v10
	v_cmp_gt_i32_e64 s[4:5], s23, v0
	v_mov_b32_e32 v9, 0
	s_and_saveexec_b64 s[12:13], s[4:5]
	s_cbranch_execz .LBB274_53
; %bb.50:
	v_mov_b32_e32 v9, 0x50
	v_lshl_add_u32 v12, v0, 2, v9
	v_mov_b32_e32 v9, 0
	s_mov_b64 s[18:19], 0
	v_mov_b32_e32 v13, v0
.LBB274_51:                             ; =>This Inner Loop Header: Depth=1
	ds_read_b32 v14, v12
	v_add_u32_e32 v13, 0x80, v13
	v_cmp_le_i32_e64 s[6:7], s23, v13
	s_or_b64 s[18:19], s[6:7], s[18:19]
	s_waitcnt lgkmcnt(0)
	v_sub_f32_e32 v14, v14, v10
	v_mul_f32_e32 v14, 0x3fb8aa3b, v14
	v_exp_f32_e32 v14, v14
	ds_write_b32 v12, v14
	v_add_f32_e32 v9, v9, v14
	v_add_u32_e32 v12, 0x200, v12
	s_andn2_b64 exec, exec, s[18:19]
	s_cbranch_execnz .LBB274_51
; %bb.52:
	s_or_b64 exec, exec, s[18:19]
.LBB274_53:
	s_or_b64 exec, exec, s[12:13]
	ds_bpermute_b32 v4, v4, v9
	s_waitcnt lgkmcnt(0)
	v_add_f32_e32 v4, v9, v4
	ds_bpermute_b32 v6, v6, v4
	s_waitcnt lgkmcnt(0)
	v_add_f32_e32 v4, v4, v6
	ds_bpermute_b32 v6, v8, v4
	v_xor_b32_e32 v8, 4, v1
	v_cmp_lt_i32_e64 s[6:7], v8, v2
	v_cndmask_b32_e64 v8, v1, v8, s[6:7]
	v_lshlrev_b32_e32 v8, 2, v8
	s_waitcnt lgkmcnt(0)
	v_add_f32_e32 v4, v4, v6
	ds_bpermute_b32 v6, v8, v4
	v_xor_b32_e32 v8, 2, v1
	v_cmp_lt_i32_e64 s[6:7], v8, v2
	v_cndmask_b32_e64 v2, v1, v8, s[6:7]
	v_lshlrev_b32_e32 v2, 2, v2
	s_waitcnt lgkmcnt(0)
	v_add_f32_e32 v4, v4, v6
	ds_bpermute_b32 v2, v2, v4
	s_waitcnt lgkmcnt(0)
	v_add_f32_e32 v2, v4, v2
	ds_bpermute_b32 v4, v7, v2
	s_waitcnt lgkmcnt(0)
	v_add_f32_e32 v2, v2, v4
	s_and_saveexec_b64 s[6:7], vcc
; %bb.54:
	ds_write_b32 v3, v2 offset:72
; %bb.55:
	s_or_b64 exec, exec, s[6:7]
	s_waitcnt lgkmcnt(0)
	s_barrier
	s_and_saveexec_b64 s[6:7], s[2:3]
; %bb.56:
	ds_read_b32 v2, v5 offset:72
; %bb.57:
	s_or_b64 exec, exec, s[6:7]
	s_waitcnt lgkmcnt(0)
	ds_bpermute_b32 v3, v7, v2
	v_lshlrev_b32_e32 v1, 2, v1
	v_and_b32_e32 v1, 0x100, v1
	s_waitcnt lgkmcnt(0)
	v_add_f32_e32 v2, v2, v3
	ds_bpermute_b32 v1, v1, v2
	s_and_saveexec_b64 s[2:3], s[4:5]
	s_cbranch_execz .LBB274_60
; %bb.58:
	s_waitcnt lgkmcnt(0)
	v_add_f32_e32 v2, 0x358637bd, v1
	v_div_scale_f32 v1, s[4:5], v2, v2, 1.0
	v_div_scale_f32 v3, vcc, 1.0, v2, 1.0
	s_mov_b64 s[4:5], 0
	v_rcp_f32_e32 v4, v1
	v_fma_f32 v5, -v1, v4, 1.0
	v_fmac_f32_e32 v4, v5, v4
	v_mul_f32_e32 v5, v3, v4
	v_fma_f32 v6, -v1, v5, v3
	v_fmac_f32_e32 v5, v6, v4
	v_fma_f32 v1, -v1, v5, v3
	v_div_fmas_f32 v3, v1, v4, v5
	v_mov_b32_e32 v1, 0x50
	v_lshl_add_u32 v1, v0, 2, v1
	v_div_fixup_f32 v2, v3, v2, 1.0
	v_mov_b32_e32 v3, v0
.LBB274_59:                             ; =>This Inner Loop Header: Depth=1
	ds_read_b32 v4, v1
	v_add_u32_e32 v3, 0x80, v3
	v_cmp_le_i32_e32 vcc, s23, v3
	s_or_b64 s[4:5], vcc, s[4:5]
	s_waitcnt lgkmcnt(0)
	v_mul_f32_e32 v4, v2, v4
	ds_write_b32 v1, v4
	v_add_u32_e32 v1, 0x200, v1
	s_andn2_b64 exec, exec, s[4:5]
	s_cbranch_execnz .LBB274_59
.LBB274_60:
	s_or_b64 exec, exec, s[2:3]
	v_mov_b32_e32 v21, 0
	s_waitcnt lgkmcnt(0)
	s_barrier
	s_and_saveexec_b64 s[4:5], s[0:1]
	s_cbranch_execz .LBB274_118
; %bb.61:
	s_sub_i32 s37, s16, s21
	s_ashr_i32 s0, s20, 31
	s_add_u32 s1, s34, s20
	s_addc_u32 s0, s35, s0
	s_abs_i32 s34, s22
	v_cvt_f32_u32_e32 v1, s34
	s_sub_i32 s2, 0, s34
	v_lshlrev_b32_e32 v2, 3, v20
	v_and_b32_e32 v4, 60, v11
	v_rcp_iflag_f32_e32 v1, v1
	v_mov_b32_e32 v5, s0
	v_add_co_u32_e64 v11, s[0:1], s1, v2
	v_mul_f32_e32 v1, 0x4f7ffffe, v1
	v_cvt_u32_f32_e32 v1, v1
	v_addc_co_u32_e64 v12, s[0:1], 0, v5, s[0:1]
	s_add_i32 s38, s48, -1
	v_mul_lo_u32 v3, s2, v1
	s_lshl_b64 s[0:1], s[30:31], 2
	s_add_u32 s0, s28, s0
	s_addc_u32 s1, s29, s1
	v_mul_hi_u32 v3, v1, v3
	s_mov_b32 s6, -1
	s_mov_b32 s35, s17
	v_cmp_gt_u32_e32 vcc, 32, v20
	v_add_u32_e32 v22, v1, v3
	v_mov_b32_e32 v1, s1
	v_add_co_u32_e64 v13, s[0:1], s0, v4
	v_addc_co_u32_e64 v14, s[0:1], 0, v1, s[0:1]
	v_mov_b32_e32 v1, 0x50
	v_mov_b32_e32 v10, 0
	s_mov_b32 s7, 0xffffff
	v_lshl_add_u32 v23, v18, 5, v1
	s_mov_b64 s[12:13], 0
	s_movk_i32 s28, 0x80
	s_movk_i32 s29, 0x7f
	;; [unrolled: 1-line block ×3, first 2 shown]
	v_bfrev_b32_e32 v24, 60
	v_mov_b32_e32 v21, 0
	s_branch .LBB274_65
.LBB274_62:                             ;   in Loop: Header=BB274_65 Depth=1
	s_or_b64 exec, exec, s[2:3]
	v_bfe_u32 v29, v5, 16, 1
	v_add3_u32 v29, v29, v5, s30
	v_or_b32_e32 v30, 0x400000, v5
	v_cmp_u_f32_e64 s[0:1], v5, v5
	v_cndmask_b32_e64 v5, v29, v30, s[0:1]
	v_bfe_u32 v29, v6, 16, 1
	v_add3_u32 v29, v29, v6, s30
	v_or_b32_e32 v30, 0x400000, v6
	v_cmp_u_f32_e64 s[0:1], v6, v6
	v_cndmask_b32_e64 v6, v29, v30, s[0:1]
	;; [unrolled: 5-line block ×6, first 2 shown]
	v_bfe_u32 v29, v3, 16, 1
	v_add3_u32 v29, v29, v3, s30
	v_or_b32_e32 v30, 0x400000, v3
	v_cmp_u_f32_e64 s[0:1], v3, v3
	v_and_b32_e32 v5, 0xffff0000, v5
	v_lshlrev_b32_e32 v28, 16, v28
	v_cndmask_b32_e64 v3, v29, v30, s[0:1]
	v_bfe_u32 v29, v4, 16, 1
	v_mul_f32_e32 v5, v5, v28
	v_and_b32_e32 v6, 0xffff0000, v6
	v_lshlrev_b32_e32 v26, 16, v26
	v_add3_u32 v29, v29, v4, s30
	v_or_b32_e32 v30, 0x400000, v4
	v_cmp_u_f32_e64 s[0:1], v4, v4
	v_bfe_u32 v28, v5, 16, 1
	v_mul_f32_e32 v6, v6, v26
	v_cndmask_b32_e64 v4, v29, v30, s[0:1]
	v_add3_u32 v28, v28, v5, s30
	v_or_b32_e32 v29, 0x400000, v5
	v_cmp_u_f32_e64 s[0:1], v5, v5
	v_bfe_u32 v26, v6, 16, 1
	v_cndmask_b32_e64 v5, v28, v29, s[0:1]
	v_add3_u32 v26, v26, v6, s30
	v_or_b32_e32 v28, 0x400000, v6
	v_cmp_u_f32_e64 s[0:1], v6, v6
	v_cndmask_b32_e64 v6, v26, v28, s[0:1]
	v_and_b32_e32 v7, 0xffff0000, v7
	v_lshlrev_b32_e32 v26, 16, v27
	v_mul_f32_e32 v7, v7, v26
	v_and_b32_e32 v8, 0xffff0000, v8
	v_lshlrev_b32_e32 v16, 16, v16
	v_bfe_u32 v26, v7, 16, 1
	v_mul_f32_e32 v8, v8, v16
	v_and_b32_e32 v1, 0xffff0000, v1
	v_lshlrev_b32_e32 v15, 16, v15
	v_add3_u32 v26, v26, v7, s30
	v_or_b32_e32 v27, 0x400000, v7
	v_cmp_u_f32_e64 s[0:1], v7, v7
	v_bfe_u32 v16, v8, 16, 1
	v_mul_f32_e32 v1, v1, v15
	v_and_b32_e32 v2, 0xffff0000, v2
	v_lshlrev_b32_e32 v9, 16, v9
	v_cndmask_b32_e64 v7, v26, v27, s[0:1]
	v_add3_u32 v16, v16, v8, s30
	v_or_b32_e32 v26, 0x400000, v8
	v_cmp_u_f32_e64 s[0:1], v8, v8
	v_bfe_u32 v15, v1, 16, 1
	v_mul_f32_e32 v2, v2, v9
	v_cndmask_b32_e64 v8, v16, v26, s[0:1]
	v_add3_u32 v15, v15, v1, s30
	v_or_b32_e32 v16, 0x400000, v1
	v_cmp_u_f32_e64 s[0:1], v1, v1
	v_bfe_u32 v9, v2, 16, 1
	v_cndmask_b32_e64 v1, v15, v16, s[0:1]
	v_add3_u32 v9, v9, v2, s30
	v_or_b32_e32 v15, 0x400000, v2
	v_cmp_u_f32_e64 s[0:1], v2, v2
	v_cndmask_b32_e64 v2, v9, v15, s[0:1]
	v_and_b32_e32 v3, 0xffff0000, v3
	v_lshlrev_b32_e32 v9, 16, v25
	v_mul_f32_e32 v3, v3, v9
	v_bfe_u32 v9, v3, 16, 1
	v_add3_u32 v9, v9, v3, s30
	v_or_b32_e32 v15, 0x400000, v3
	v_cmp_u_f32_e64 s[0:1], v3, v3
	v_cndmask_b32_e64 v3, v9, v15, s[0:1]
	v_and_b32_e32 v4, 0xffff0000, v4
	v_lshlrev_b32_e32 v9, 16, v17
	v_mul_f32_e32 v4, v4, v9
	v_bfe_u32 v9, v4, 16, 1
	v_and_b32_e32 v6, 0xffff0000, v6
	v_and_b32_e32 v5, 0xffff0000, v5
	v_add3_u32 v9, v9, v4, s30
	v_or_b32_e32 v15, 0x400000, v4
	v_cmp_u_f32_e64 s[0:1], v4, v4
	v_add_f32_e32 v5, v5, v6
	v_and_b32_e32 v6, 0xffff0000, v8
	v_and_b32_e32 v7, 0xffff0000, v7
	v_cndmask_b32_e64 v4, v9, v15, s[0:1]
	v_add_f32_e32 v6, v7, v6
	v_and_b32_e32 v2, 0xffff0000, v2
	v_and_b32_e32 v1, 0xffff0000, v1
	v_add_f32_e32 v5, v6, v5
	v_add_f32_e32 v1, v1, v2
	v_and_b32_e32 v2, 0xffff0000, v4
	v_and_b32_e32 v3, 0xffff0000, v3
	v_add_f32_e32 v1, v1, v5
	v_add_f32_e32 v2, v3, v2
	;; [unrolled: 1-line block ×4, first 2 shown]
.LBB274_63:                             ;   in Loop: Header=BB274_65 Depth=1
	s_or_b64 exec, exec, s[18:19]
.LBB274_64:                             ;   in Loop: Header=BB274_65 Depth=1
	s_or_b64 exec, exec, s[16:17]
	v_add_co_u32_e64 v13, s[0:1], 8, v13
	v_add_u32_e32 v18, 2, v18
	v_addc_co_u32_e64 v14, s[0:1], 0, v14, s[0:1]
	v_cmp_le_i32_e64 s[0:1], s48, v18
	v_add_u32_e32 v19, 16, v19
	s_or_b64 s[12:13], s[0:1], s[12:13]
	v_add_u32_e32 v23, 64, v23
	s_andn2_b64 exec, exec, s[12:13]
	s_cbranch_execz .LBB274_117
.LBB274_65:                             ; =>This Inner Loop Header: Depth=1
	v_mul_hi_u32 v1, v19, s46
	v_mul_lo_u32 v2, v1, s33
	v_add_u32_e32 v3, 1, v1
	v_sub_u32_e32 v2, v19, v2
	v_cmp_le_u32_e64 s[0:1], s33, v2
	v_cndmask_b32_e64 v1, v1, v3, s[0:1]
	v_subrev_u32_e32 v3, s33, v2
	v_cndmask_b32_e64 v2, v2, v3, s[0:1]
	v_add_u32_e32 v3, 1, v1
	v_cmp_le_u32_e64 s[0:1], s33, v2
	v_cndmask_b32_e64 v1, v1, v3, s[0:1]
	v_xor_b32_e32 v1, s47, v1
	v_subrev_u32_e32 v1, s47, v1
	v_add_u32_e32 v2, s36, v1
	v_sub_u32_e32 v3, 0, v2
	v_max_i32_e32 v3, v2, v3
	v_mul_hi_u32 v4, v3, v22
	v_ashrrev_i32_e32 v2, 31, v2
	v_cmp_lt_i32_e64 s[2:3], s37, v1
	v_mul_lo_u32 v4, v4, s34
	v_sub_u32_e32 v3, v3, v4
	v_subrev_u32_e32 v4, s34, v3
	v_cmp_le_u32_e64 s[0:1], s34, v3
	v_cndmask_b32_e64 v3, v3, v4, s[0:1]
	v_subrev_u32_e32 v4, s34, v3
	v_cmp_le_u32_e64 s[0:1], s34, v3
	v_cndmask_b32_e64 v3, v3, v4, s[0:1]
	v_xor_b32_e32 v3, v3, v2
	v_sub_u32_e32 v2, v3, v2
	v_cmp_eq_u32_e64 s[0:1], 0, v2
	s_or_b64 s[0:1], s[0:1], s[2:3]
	s_and_saveexec_b64 s[16:17], s[0:1]
	s_cbranch_execz .LBB274_64
; %bb.66:                               ;   in Loop: Header=BB274_65 Depth=1
	s_and_saveexec_b64 s[18:19], vcc
	s_cbranch_execz .LBB274_63
; %bb.67:                               ;   in Loop: Header=BB274_65 Depth=1
	global_load_dword v1, v[13:14], off
	v_mov_b32_e32 v26, 0
	v_mov_b32_e32 v25, 0
	s_waitcnt vmcnt(0)
	v_mad_i64_i32 v[1:2], s[0:1], v1, s35, v[11:12]
	global_load_dwordx2 v[15:16], v[1:2], off
	ds_read2_b64 v[5:8], v23 offset1:1
	ds_read2_b64 v[1:4], v23 offset0:2 offset1:3
	s_load_dword s31, s[14:15], 0x0
	s_waitcnt vmcnt(0)
	v_cmp_ne_u16_sdwa s[0:1], v15, v10 src0_sel:BYTE_0 src1_sel:DWORD
	s_and_saveexec_b64 s[2:3], s[0:1]
	s_cbranch_execz .LBB274_73
; %bb.68:                               ;   in Loop: Header=BB274_65 Depth=1
	v_cmp_ne_u16_sdwa s[0:1], v15, s28 src0_sel:BYTE_0 src1_sel:DWORD
	v_bfrev_b32_e32 v25, 1
	s_and_saveexec_b64 s[20:21], s[0:1]
	s_cbranch_execz .LBB274_72
; %bb.69:                               ;   in Loop: Header=BB274_65 Depth=1
	v_and_b32_e32 v9, 0x7f, v15
	v_cmp_ne_u32_e64 s[0:1], s29, v9
	v_mov_b32_e32 v25, 0x7f800001
	s_and_saveexec_b64 s[22:23], s[0:1]
	s_cbranch_execz .LBB274_71
; %bb.70:                               ;   in Loop: Header=BB274_65 Depth=1
	v_and_b32_e32 v17, 7, v15
	v_ffbh_u32_e32 v17, v17
	v_min_u32_e32 v17, 32, v17
	v_lshrrev_b32_e32 v25, 3, v9
	v_subrev_u32_e32 v27, 28, v17
	v_sub_u32_e32 v17, 29, v17
	v_cmp_gt_u32_e64 s[0:1], 8, v9
	v_cndmask_b32_e64 v9, v25, v17, s[0:1]
	v_cndmask_b32_e64 v17, 0, v27, s[0:1]
	v_lshlrev_b64 v[27:28], v17, v[15:16]
	v_lshlrev_b32_e32 v25, 24, v15
	v_lshlrev_b32_e32 v17, 20, v27
	v_and_b32_e32 v17, 0x700000, v17
	v_and_b32_e32 v25, 0x80000000, v25
	v_lshl_add_u32 v9, v9, 23, v24
	v_or3_b32 v25, v25, v9, v17
.LBB274_71:                             ;   in Loop: Header=BB274_65 Depth=1
	s_or_b64 exec, exec, s[22:23]
.LBB274_72:                             ;   in Loop: Header=BB274_65 Depth=1
	s_or_b64 exec, exec, s[20:21]
.LBB274_73:                             ;   in Loop: Header=BB274_65 Depth=1
	s_or_b64 exec, exec, s[2:3]
	v_lshrrev_b16_e32 v9, 8, v15
	v_cmp_ne_u16_e64 s[0:1], 0, v9
	s_and_saveexec_b64 s[2:3], s[0:1]
	s_cbranch_execz .LBB274_79
; %bb.74:                               ;   in Loop: Header=BB274_65 Depth=1
	v_cmp_ne_u16_e64 s[0:1], s28, v9
	v_bfrev_b32_e32 v26, 1
	s_and_saveexec_b64 s[20:21], s[0:1]
	s_cbranch_execz .LBB274_78
; %bb.75:                               ;   in Loop: Header=BB274_65 Depth=1
	v_and_b32_e32 v17, 0x7f, v9
	v_cmp_ne_u32_e64 s[0:1], s29, v17
	v_mov_b32_e32 v26, 0x7f800001
	s_and_saveexec_b64 s[22:23], s[0:1]
	s_cbranch_execz .LBB274_77
; %bb.76:                               ;   in Loop: Header=BB274_65 Depth=1
	v_and_b32_e32 v28, 7, v9
	v_ffbh_u32_e32 v26, v28
	v_min_u32_e32 v30, 32, v26
	v_subrev_u32_e32 v26, 28, v30
	v_lshlrev_b64 v[26:27], v26, v[9:10]
	v_lshrrev_b32_e32 v29, 3, v17
	v_sub_u32_e32 v9, 29, v30
	v_and_b32_e32 v26, 7, v26
	v_cmp_gt_u32_e64 s[0:1], 8, v17
	v_cndmask_b32_e64 v9, v29, v9, s[0:1]
	v_cndmask_b32_e64 v17, v28, v26, s[0:1]
	v_lshlrev_b32_e32 v26, 16, v15
	v_lshlrev_b32_e32 v17, 20, v17
	v_and_b32_e32 v26, 0x80000000, v26
	v_lshl_add_u32 v9, v9, 23, v24
	v_or3_b32 v26, v26, v9, v17
.LBB274_77:                             ;   in Loop: Header=BB274_65 Depth=1
	s_or_b64 exec, exec, s[22:23]
.LBB274_78:                             ;   in Loop: Header=BB274_65 Depth=1
	s_or_b64 exec, exec, s[20:21]
.LBB274_79:                             ;   in Loop: Header=BB274_65 Depth=1
	s_or_b64 exec, exec, s[2:3]
	v_lshrrev_b32_e32 v9, 16, v15
	v_cmp_ne_u16_sdwa s[0:1], v9, v10 src0_sel:BYTE_0 src1_sel:DWORD
	v_mov_b32_e32 v28, 0
	v_mov_b32_e32 v27, 0
	s_and_saveexec_b64 s[2:3], s[0:1]
	s_cbranch_execz .LBB274_85
; %bb.80:                               ;   in Loop: Header=BB274_65 Depth=1
	v_cmp_ne_u16_sdwa s[0:1], v9, s28 src0_sel:BYTE_0 src1_sel:DWORD
	v_bfrev_b32_e32 v27, 1
	s_and_saveexec_b64 s[20:21], s[0:1]
	s_cbranch_execz .LBB274_84
; %bb.81:                               ;   in Loop: Header=BB274_65 Depth=1
	v_bfe_u32 v17, v15, 16, 7
	v_cmp_ne_u32_e64 s[0:1], s29, v17
	v_mov_b32_e32 v27, 0x7f800001
	s_and_saveexec_b64 s[22:23], s[0:1]
	s_cbranch_execz .LBB274_83
; %bb.82:                               ;   in Loop: Header=BB274_65 Depth=1
	v_and_b32_e32 v27, 7, v9
	v_ffbh_u32_e32 v29, v27
	v_min_u32_e32 v32, 32, v29
	v_subrev_u32_e32 v29, 28, v32
	v_lshlrev_b64 v[29:30], v29, v[9:10]
	v_lshrrev_b32_e32 v31, 3, v17
	v_sub_u32_e32 v30, 29, v32
	v_and_b32_e32 v29, 7, v29
	v_cmp_gt_u32_e64 s[0:1], 8, v17
	v_cndmask_b32_e64 v17, v31, v30, s[0:1]
	v_cndmask_b32_e64 v27, v27, v29, s[0:1]
	v_lshlrev_b32_e32 v9, 24, v9
	v_lshlrev_b32_e32 v27, 20, v27
	v_and_b32_e32 v9, 0x80000000, v9
	v_lshl_add_u32 v17, v17, 23, v24
	v_or3_b32 v27, v9, v17, v27
.LBB274_83:                             ;   in Loop: Header=BB274_65 Depth=1
	s_or_b64 exec, exec, s[22:23]
.LBB274_84:                             ;   in Loop: Header=BB274_65 Depth=1
	s_or_b64 exec, exec, s[20:21]
.LBB274_85:                             ;   in Loop: Header=BB274_65 Depth=1
	s_or_b64 exec, exec, s[2:3]
	v_cmp_lt_u32_e64 s[0:1], s7, v15
	s_and_saveexec_b64 s[2:3], s[0:1]
	s_cbranch_execz .LBB274_91
; %bb.86:                               ;   in Loop: Header=BB274_65 Depth=1
	v_lshrrev_b32_e32 v9, 24, v15
	v_cmp_ne_u32_e64 s[0:1], s28, v9
	v_bfrev_b32_e32 v28, 1
	s_and_saveexec_b64 s[20:21], s[0:1]
	s_cbranch_execz .LBB274_90
; %bb.87:                               ;   in Loop: Header=BB274_65 Depth=1
	v_bfe_u32 v17, v15, 24, 7
	v_cmp_ne_u32_e64 s[0:1], s29, v17
	v_mov_b32_e32 v28, 0x7f800001
	s_and_saveexec_b64 s[22:23], s[0:1]
	s_cbranch_execz .LBB274_89
; %bb.88:                               ;   in Loop: Header=BB274_65 Depth=1
	v_and_b32_e32 v30, 7, v9
	v_ffbh_u32_e32 v28, v30
	v_min_u32_e32 v32, 32, v28
	v_subrev_u32_e32 v28, 28, v32
	v_lshlrev_b64 v[28:29], v28, v[9:10]
	v_lshrrev_b32_e32 v31, 3, v17
	v_sub_u32_e32 v29, 29, v32
	v_and_b32_e32 v28, 7, v28
	v_cmp_gt_u32_e64 s[0:1], 8, v17
	v_cndmask_b32_e64 v17, v31, v29, s[0:1]
	v_cndmask_b32_e64 v28, v30, v28, s[0:1]
	v_lshlrev_b32_e32 v9, 24, v9
	v_lshlrev_b32_e32 v28, 20, v28
	v_and_b32_e32 v9, 0x80000000, v9
	v_lshl_add_u32 v17, v17, 23, v24
	v_or3_b32 v28, v9, v17, v28
.LBB274_89:                             ;   in Loop: Header=BB274_65 Depth=1
	s_or_b64 exec, exec, s[22:23]
.LBB274_90:                             ;   in Loop: Header=BB274_65 Depth=1
	s_or_b64 exec, exec, s[20:21]
.LBB274_91:                             ;   in Loop: Header=BB274_65 Depth=1
	s_or_b64 exec, exec, s[2:3]
	v_mov_b32_e32 v9, v16
	v_cmp_ne_u16_sdwa s[0:1], v16, v10 src0_sel:BYTE_0 src1_sel:DWORD
	v_mov_b32_e32 v30, 0
	v_mov_b32_e32 v29, 0
	s_and_saveexec_b64 s[2:3], s[0:1]
	s_cbranch_execz .LBB274_97
; %bb.92:                               ;   in Loop: Header=BB274_65 Depth=1
	v_cmp_ne_u16_sdwa s[0:1], v16, s28 src0_sel:BYTE_0 src1_sel:DWORD
	v_bfrev_b32_e32 v29, 1
	s_and_saveexec_b64 s[20:21], s[0:1]
	s_cbranch_execz .LBB274_96
; %bb.93:                               ;   in Loop: Header=BB274_65 Depth=1
	v_and_b32_e32 v17, 0x7f, v16
	v_cmp_ne_u32_e64 s[0:1], s29, v17
	v_mov_b32_e32 v29, 0x7f800001
	s_and_saveexec_b64 s[22:23], s[0:1]
	s_cbranch_execz .LBB274_95
; %bb.94:                               ;   in Loop: Header=BB274_65 Depth=1
	v_and_b32_e32 v29, 7, v16
	v_ffbh_u32_e32 v29, v29
	v_min_u32_e32 v29, 32, v29
	v_lshrrev_b32_e32 v31, 3, v17
	v_subrev_u32_e32 v32, 28, v29
	v_sub_u32_e32 v29, 29, v29
	v_cmp_gt_u32_e64 s[0:1], 8, v17
	v_cndmask_b32_e64 v17, v31, v29, s[0:1]
	v_cndmask_b32_e64 v29, 0, v32, s[0:1]
	v_lshlrev_b64 v[31:32], v29, v[9:10]
	v_lshl_add_u32 v17, v17, 23, v24
	v_lshlrev_b32_e32 v29, 20, v31
	v_lshlrev_b32_e32 v31, 24, v9
	v_and_b32_e32 v29, 0x700000, v29
	v_and_b32_e32 v31, 0x80000000, v31
	v_or3_b32 v29, v31, v17, v29
.LBB274_95:                             ;   in Loop: Header=BB274_65 Depth=1
	s_or_b64 exec, exec, s[22:23]
.LBB274_96:                             ;   in Loop: Header=BB274_65 Depth=1
	s_or_b64 exec, exec, s[20:21]
.LBB274_97:                             ;   in Loop: Header=BB274_65 Depth=1
	s_or_b64 exec, exec, s[2:3]
	v_lshrrev_b16_e32 v17, 8, v9
	v_cmp_ne_u16_e64 s[0:1], 0, v17
	s_and_saveexec_b64 s[2:3], s[0:1]
	s_cbranch_execz .LBB274_103
; %bb.98:                               ;   in Loop: Header=BB274_65 Depth=1
	v_cmp_ne_u16_e64 s[0:1], s28, v17
	v_bfrev_b32_e32 v30, 1
	s_and_saveexec_b64 s[20:21], s[0:1]
	s_cbranch_execz .LBB274_102
; %bb.99:                               ;   in Loop: Header=BB274_65 Depth=1
	v_and_b32_e32 v31, 0x7f, v17
	v_cmp_ne_u32_e64 s[0:1], s29, v31
	v_mov_b32_e32 v30, 0x7f800001
	s_and_saveexec_b64 s[22:23], s[0:1]
	s_cbranch_execz .LBB274_101
; %bb.100:                              ;   in Loop: Header=BB274_65 Depth=1
	v_and_b32_e32 v30, 7, v17
	v_ffbh_u32_e32 v32, v30
	v_min_u32_e32 v35, 32, v32
	v_subrev_u32_e32 v32, 28, v35
	v_lshlrev_b64 v[32:33], v32, v[17:18]
	v_lshrrev_b32_e32 v34, 3, v31
	v_sub_u32_e32 v17, 29, v35
	v_and_b32_e32 v32, 7, v32
	v_cmp_gt_u32_e64 s[0:1], 8, v31
	v_cndmask_b32_e64 v17, v34, v17, s[0:1]
	v_cndmask_b32_e64 v30, v30, v32, s[0:1]
	v_lshlrev_b32_e32 v9, 16, v9
	v_lshlrev_b32_e32 v30, 20, v30
	v_and_b32_e32 v9, 0x80000000, v9
	v_lshl_add_u32 v17, v17, 23, v24
	v_or3_b32 v30, v9, v17, v30
.LBB274_101:                            ;   in Loop: Header=BB274_65 Depth=1
	s_or_b64 exec, exec, s[22:23]
.LBB274_102:                            ;   in Loop: Header=BB274_65 Depth=1
	s_or_b64 exec, exec, s[20:21]
.LBB274_103:                            ;   in Loop: Header=BB274_65 Depth=1
	s_or_b64 exec, exec, s[2:3]
	v_lshrrev_b32_e32 v9, 16, v16
	v_cmp_ne_u16_sdwa s[0:1], v9, v10 src0_sel:BYTE_0 src1_sel:DWORD
	v_mov_b32_e32 v17, 0
	v_mov_b32_e32 v31, 0
	s_and_saveexec_b64 s[2:3], s[0:1]
	s_cbranch_execz .LBB274_109
; %bb.104:                              ;   in Loop: Header=BB274_65 Depth=1
	v_cmp_ne_u16_sdwa s[0:1], v9, s28 src0_sel:BYTE_0 src1_sel:DWORD
	v_bfrev_b32_e32 v31, 1
	s_and_saveexec_b64 s[20:21], s[0:1]
	s_cbranch_execz .LBB274_108
; %bb.105:                              ;   in Loop: Header=BB274_65 Depth=1
	v_bfe_u32 v32, v16, 16, 7
	v_cmp_ne_u32_e64 s[0:1], s29, v32
	v_mov_b32_e32 v31, 0x7f800001
	s_and_saveexec_b64 s[22:23], s[0:1]
	s_cbranch_execz .LBB274_107
; %bb.106:                              ;   in Loop: Header=BB274_65 Depth=1
	v_and_b32_e32 v31, 7, v9
	v_ffbh_u32_e32 v33, v31
	v_min_u32_e32 v36, 32, v33
	v_subrev_u32_e32 v33, 28, v36
	v_lshlrev_b64 v[33:34], v33, v[9:10]
	v_lshrrev_b32_e32 v35, 3, v32
	v_sub_u32_e32 v34, 29, v36
	v_and_b32_e32 v33, 7, v33
	v_cmp_gt_u32_e64 s[0:1], 8, v32
	v_cndmask_b32_e64 v32, v35, v34, s[0:1]
	v_cndmask_b32_e64 v31, v31, v33, s[0:1]
	v_lshlrev_b32_e32 v9, 24, v9
	v_lshlrev_b32_e32 v31, 20, v31
	v_and_b32_e32 v9, 0x80000000, v9
	v_lshl_add_u32 v32, v32, 23, v24
	v_or3_b32 v31, v9, v32, v31
.LBB274_107:                            ;   in Loop: Header=BB274_65 Depth=1
	s_or_b64 exec, exec, s[22:23]
.LBB274_108:                            ;   in Loop: Header=BB274_65 Depth=1
	s_or_b64 exec, exec, s[20:21]
.LBB274_109:                            ;   in Loop: Header=BB274_65 Depth=1
	s_or_b64 exec, exec, s[2:3]
	v_cmp_lt_u64_e64 s[0:1], s[6:7], v[15:16]
	s_and_saveexec_b64 s[2:3], s[0:1]
	s_cbranch_execz .LBB274_115
; %bb.110:                              ;   in Loop: Header=BB274_65 Depth=1
	v_lshrrev_b32_e32 v9, 24, v16
	v_cmp_ne_u32_e64 s[0:1], s28, v9
	v_bfrev_b32_e32 v17, 1
	s_and_saveexec_b64 s[20:21], s[0:1]
	s_cbranch_execz .LBB274_114
; %bb.111:                              ;   in Loop: Header=BB274_65 Depth=1
	v_bfe_u32 v15, v16, 24, 7
	v_cmp_ne_u32_e64 s[0:1], s29, v15
	v_mov_b32_e32 v17, 0x7f800001
	s_and_saveexec_b64 s[22:23], s[0:1]
	s_cbranch_execz .LBB274_113
; %bb.112:                              ;   in Loop: Header=BB274_65 Depth=1
	v_and_b32_e32 v32, 7, v9
	v_ffbh_u32_e32 v16, v32
	v_min_u32_e32 v34, 32, v16
	v_subrev_u32_e32 v16, 28, v34
	v_lshlrev_b64 v[16:17], v16, v[9:10]
	v_lshrrev_b32_e32 v33, 3, v15
	v_sub_u32_e32 v17, 29, v34
	v_and_b32_e32 v16, 7, v16
	v_cmp_gt_u32_e64 s[0:1], 8, v15
	v_cndmask_b32_e64 v15, v33, v17, s[0:1]
	v_cndmask_b32_e64 v16, v32, v16, s[0:1]
	v_lshlrev_b32_e32 v9, 24, v9
	v_lshlrev_b32_e32 v16, 20, v16
	v_and_b32_e32 v9, 0x80000000, v9
	v_lshl_add_u32 v15, v15, 23, v24
	v_or3_b32 v17, v9, v15, v16
.LBB274_113:                            ;   in Loop: Header=BB274_65 Depth=1
	s_or_b64 exec, exec, s[22:23]
.LBB274_114:                            ;   in Loop: Header=BB274_65 Depth=1
	s_or_b64 exec, exec, s[20:21]
.LBB274_115:                            ;   in Loop: Header=BB274_65 Depth=1
	s_or_b64 exec, exec, s[2:3]
	s_waitcnt lgkmcnt(0)
	v_mul_f32_e32 v9, s31, v30
	v_bfe_u32 v15, v9, 16, 1
	v_add3_u32 v15, v15, v9, s30
	v_or_b32_e32 v16, 0x400000, v9
	v_cmp_u_f32_e64 s[2:3], v9, v9
	v_cndmask_b32_e64 v9, v15, v16, s[2:3]
	v_mul_f32_e32 v15, s31, v29
	v_bfe_u32 v16, v15, 16, 1
	v_add3_u32 v16, v16, v15, s30
	v_or_b32_e32 v29, 0x400000, v15
	v_cmp_u_f32_e64 s[2:3], v15, v15
	v_cndmask_b32_e64 v15, v16, v29, s[2:3]
	v_mul_f32_e32 v16, s31, v28
	v_bfe_u32 v28, v16, 16, 1
	v_add3_u32 v28, v28, v16, s30
	v_or_b32_e32 v29, 0x400000, v16
	v_cmp_u_f32_e64 s[2:3], v16, v16
	v_mul_f32_e32 v27, s31, v27
	v_cndmask_b32_e64 v16, v28, v29, s[2:3]
	v_bfe_u32 v28, v27, 16, 1
	v_add3_u32 v28, v28, v27, s30
	v_or_b32_e32 v29, 0x400000, v27
	v_cmp_u_f32_e64 s[2:3], v27, v27
	v_mul_f32_e32 v26, s31, v26
	v_cndmask_b32_e64 v27, v28, v29, s[2:3]
	;; [unrolled: 6-line block ×3, first 2 shown]
	v_bfe_u32 v28, v25, 16, 1
	v_add3_u32 v28, v28, v25, s30
	v_or_b32_e32 v29, 0x400000, v25
	v_cmp_u_f32_e64 s[2:3], v25, v25
	v_cndmask_b32_e64 v25, v28, v29, s[2:3]
	v_lshrrev_b32_e32 v28, 16, v25
	v_mul_f32_e32 v25, s31, v31
	v_bfe_u32 v29, v25, 16, 1
	v_add3_u32 v29, v29, v25, s30
	v_or_b32_e32 v30, 0x400000, v25
	v_cmp_u_f32_e64 s[2:3], v25, v25
	v_mul_f32_e32 v17, s31, v17
	v_cndmask_b32_e64 v25, v29, v30, s[2:3]
	v_bfe_u32 v29, v17, 16, 1
	v_add3_u32 v29, v29, v17, s30
	v_or_b32_e32 v30, 0x400000, v17
	v_cmp_u_f32_e64 s[2:3], v17, v17
	v_cndmask_b32_e64 v17, v29, v30, s[2:3]
	v_cmp_eq_u32_e64 s[0:1], s38, v18
	v_lshrrev_b32_e32 v9, 16, v9
	v_lshrrev_b32_e32 v15, 16, v15
	;; [unrolled: 1-line block ×7, first 2 shown]
	s_and_saveexec_b64 s[2:3], s[0:1]
	s_cbranch_execz .LBB274_62
; %bb.116:                              ;   in Loop: Header=BB274_65 Depth=1
	v_cmp_gt_i32_e64 s[0:1], s11, v19
	v_add_u32_e32 v29, 1, v19
	v_cndmask_b32_e64 v28, 0, v28, s[0:1]
	v_cmp_gt_i32_e64 s[0:1], s11, v29
	v_add_u32_e32 v29, 2, v19
	v_cndmask_b32_e64 v26, 0, v26, s[0:1]
	;; [unrolled: 3-line block ×7, first 2 shown]
	v_cmp_gt_i32_e64 s[0:1], s11, v29
	v_cndmask_b32_e64 v17, 0, v17, s[0:1]
	s_branch .LBB274_62
.LBB274_117:
	s_or_b64 exec, exec, s[12:13]
.LBB274_118:
	s_or_b64 exec, exec, s[4:5]
	v_and_b32_e32 v1, 0x3c0, v0
	v_cmp_eq_u32_e64 s[0:1], 64, v1
	v_cmp_gt_u32_e64 s[2:3], 32, v20
	v_mov_b32_e32 v1, 0x50
	v_cmp_lt_u32_e32 vcc, 31, v20
	v_lshl_add_u32 v1, v20, 2, v1
	s_and_b64 s[2:3], s[0:1], s[2:3]
	s_barrier
	s_and_saveexec_b64 s[0:1], s[2:3]
; %bb.119:
	ds_write_b32 v1, v21
; %bb.120:
	s_or_b64 exec, exec, s[0:1]
	v_cmp_gt_u32_e64 s[0:1], 64, v0
	s_xor_b64 s[2:3], vcc, -1
	s_and_b64 s[2:3], s[0:1], s[2:3]
	s_waitcnt lgkmcnt(0)
	s_barrier
	s_and_saveexec_b64 s[0:1], s[2:3]
	s_cbranch_execz .LBB274_122
; %bb.121:
	ds_read_b32 v1, v1
	s_waitcnt lgkmcnt(0)
	v_add_f32_e32 v21, v21, v1
.LBB274_122:
	s_or_b64 exec, exec, s[0:1]
	v_cmp_gt_u32_e32 vcc, 64, v0
	v_cmp_gt_u32_e64 s[0:1], 32, v20
	s_and_b64 s[0:1], vcc, s[0:1]
	s_barrier
	s_and_saveexec_b64 s[2:3], s[0:1]
	s_cbranch_execz .LBB274_124
; %bb.123:
	s_mul_i32 s0, s10, s25
	s_mul_i32 s0, s0, s9
	s_lshl_b32 s0, s0, 5
	s_ashr_i32 s1, s0, 31
	s_lshl_b64 s[0:1], s[0:1], 1
	s_add_u32 s2, s26, s0
	s_mul_i32 s0, s25, s24
	s_addc_u32 s3, s27, s1
	s_ashr_i32 s1, s0, 31
	s_lshl_b64 s[0:1], s[0:1], 1
	s_add_u32 s2, s2, s0
	s_addc_u32 s3, s3, s1
	s_lshl_b32 s0, s8, 5
	s_ashr_i32 s1, s0, 31
	s_lshl_b64 s[0:1], s[0:1], 1
	s_add_u32 s0, s2, s0
	v_bfe_u32 v1, v21, 16, 1
	s_movk_i32 s2, 0x7fff
	v_add3_u32 v1, v1, v21, s2
	v_or_b32_e32 v2, 0x400000, v21
	v_cmp_u_f32_e32 vcc, v21, v21
	s_addc_u32 s1, s3, s1
	v_lshlrev_b32_e32 v0, 1, v20
	v_cndmask_b32_e32 v1, v1, v2, vcc
	global_store_short_d16_hi v0, v1, s[0:1]
.LBB274_124:
	s_endpgm
	.section	.rodata,"a",@progbits
	.p2align	6, 0x0
	.amdhsa_kernel _ZN4vllm25paged_attention_v1_kernelI14__hip_bfloat16hLi32ELi8ELi128ELNS_18Fp8KVCacheDataTypeE1ELb1EEEvPT_PKS3_PKT0_S9_ifPKiSB_iPKfiiiSD_SD_iiiii
		.amdhsa_group_segment_fixed_size 80
		.amdhsa_private_segment_fixed_size 0
		.amdhsa_kernarg_size 384
		.amdhsa_user_sgpr_count 6
		.amdhsa_user_sgpr_private_segment_buffer 1
		.amdhsa_user_sgpr_dispatch_ptr 0
		.amdhsa_user_sgpr_queue_ptr 0
		.amdhsa_user_sgpr_kernarg_segment_ptr 1
		.amdhsa_user_sgpr_dispatch_id 0
		.amdhsa_user_sgpr_flat_scratch_init 0
		.amdhsa_user_sgpr_private_segment_size 0
		.amdhsa_uses_dynamic_stack 0
		.amdhsa_system_sgpr_private_segment_wavefront_offset 0
		.amdhsa_system_sgpr_workgroup_id_x 1
		.amdhsa_system_sgpr_workgroup_id_y 1
		.amdhsa_system_sgpr_workgroup_id_z 1
		.amdhsa_system_sgpr_workgroup_info 0
		.amdhsa_system_vgpr_workitem_id 0
		.amdhsa_next_free_vgpr 37
		.amdhsa_next_free_sgpr 56
		.amdhsa_reserve_vcc 1
		.amdhsa_reserve_flat_scratch 0
		.amdhsa_float_round_mode_32 0
		.amdhsa_float_round_mode_16_64 0
		.amdhsa_float_denorm_mode_32 3
		.amdhsa_float_denorm_mode_16_64 3
		.amdhsa_dx10_clamp 1
		.amdhsa_ieee_mode 1
		.amdhsa_fp16_overflow 0
		.amdhsa_exception_fp_ieee_invalid_op 0
		.amdhsa_exception_fp_denorm_src 0
		.amdhsa_exception_fp_ieee_div_zero 0
		.amdhsa_exception_fp_ieee_overflow 0
		.amdhsa_exception_fp_ieee_underflow 0
		.amdhsa_exception_fp_ieee_inexact 0
		.amdhsa_exception_int_div_zero 0
	.end_amdhsa_kernel
	.section	.text._ZN4vllm25paged_attention_v1_kernelI14__hip_bfloat16hLi32ELi8ELi128ELNS_18Fp8KVCacheDataTypeE1ELb1EEEvPT_PKS3_PKT0_S9_ifPKiSB_iPKfiiiSD_SD_iiiii,"axG",@progbits,_ZN4vllm25paged_attention_v1_kernelI14__hip_bfloat16hLi32ELi8ELi128ELNS_18Fp8KVCacheDataTypeE1ELb1EEEvPT_PKS3_PKT0_S9_ifPKiSB_iPKfiiiSD_SD_iiiii,comdat
.Lfunc_end274:
	.size	_ZN4vllm25paged_attention_v1_kernelI14__hip_bfloat16hLi32ELi8ELi128ELNS_18Fp8KVCacheDataTypeE1ELb1EEEvPT_PKS3_PKT0_S9_ifPKiSB_iPKfiiiSD_SD_iiiii, .Lfunc_end274-_ZN4vllm25paged_attention_v1_kernelI14__hip_bfloat16hLi32ELi8ELi128ELNS_18Fp8KVCacheDataTypeE1ELb1EEEvPT_PKS3_PKT0_S9_ifPKiSB_iPKfiiiSD_SD_iiiii
                                        ; -- End function
	.set _ZN4vllm25paged_attention_v1_kernelI14__hip_bfloat16hLi32ELi8ELi128ELNS_18Fp8KVCacheDataTypeE1ELb1EEEvPT_PKS3_PKT0_S9_ifPKiSB_iPKfiiiSD_SD_iiiii.num_vgpr, 37
	.set _ZN4vllm25paged_attention_v1_kernelI14__hip_bfloat16hLi32ELi8ELi128ELNS_18Fp8KVCacheDataTypeE1ELb1EEEvPT_PKS3_PKT0_S9_ifPKiSB_iPKfiiiSD_SD_iiiii.num_agpr, 0
	.set _ZN4vllm25paged_attention_v1_kernelI14__hip_bfloat16hLi32ELi8ELi128ELNS_18Fp8KVCacheDataTypeE1ELb1EEEvPT_PKS3_PKT0_S9_ifPKiSB_iPKfiiiSD_SD_iiiii.numbered_sgpr, 56
	.set _ZN4vllm25paged_attention_v1_kernelI14__hip_bfloat16hLi32ELi8ELi128ELNS_18Fp8KVCacheDataTypeE1ELb1EEEvPT_PKS3_PKT0_S9_ifPKiSB_iPKfiiiSD_SD_iiiii.num_named_barrier, 0
	.set _ZN4vllm25paged_attention_v1_kernelI14__hip_bfloat16hLi32ELi8ELi128ELNS_18Fp8KVCacheDataTypeE1ELb1EEEvPT_PKS3_PKT0_S9_ifPKiSB_iPKfiiiSD_SD_iiiii.private_seg_size, 0
	.set _ZN4vllm25paged_attention_v1_kernelI14__hip_bfloat16hLi32ELi8ELi128ELNS_18Fp8KVCacheDataTypeE1ELb1EEEvPT_PKS3_PKT0_S9_ifPKiSB_iPKfiiiSD_SD_iiiii.uses_vcc, 1
	.set _ZN4vllm25paged_attention_v1_kernelI14__hip_bfloat16hLi32ELi8ELi128ELNS_18Fp8KVCacheDataTypeE1ELb1EEEvPT_PKS3_PKT0_S9_ifPKiSB_iPKfiiiSD_SD_iiiii.uses_flat_scratch, 0
	.set _ZN4vllm25paged_attention_v1_kernelI14__hip_bfloat16hLi32ELi8ELi128ELNS_18Fp8KVCacheDataTypeE1ELb1EEEvPT_PKS3_PKT0_S9_ifPKiSB_iPKfiiiSD_SD_iiiii.has_dyn_sized_stack, 0
	.set _ZN4vllm25paged_attention_v1_kernelI14__hip_bfloat16hLi32ELi8ELi128ELNS_18Fp8KVCacheDataTypeE1ELb1EEEvPT_PKS3_PKT0_S9_ifPKiSB_iPKfiiiSD_SD_iiiii.has_recursion, 0
	.set _ZN4vllm25paged_attention_v1_kernelI14__hip_bfloat16hLi32ELi8ELi128ELNS_18Fp8KVCacheDataTypeE1ELb1EEEvPT_PKS3_PKT0_S9_ifPKiSB_iPKfiiiSD_SD_iiiii.has_indirect_call, 0
	.section	.AMDGPU.csdata,"",@progbits
; Kernel info:
; codeLenInByte = 7104
; TotalNumSgprs: 60
; NumVgprs: 37
; ScratchSize: 0
; MemoryBound: 0
; FloatMode: 240
; IeeeMode: 1
; LDSByteSize: 80 bytes/workgroup (compile time only)
; SGPRBlocks: 7
; VGPRBlocks: 9
; NumSGPRsForWavesPerEU: 60
; NumVGPRsForWavesPerEU: 37
; Occupancy: 6
; WaveLimiterHint : 1
; COMPUTE_PGM_RSRC2:SCRATCH_EN: 0
; COMPUTE_PGM_RSRC2:USER_SGPR: 6
; COMPUTE_PGM_RSRC2:TRAP_HANDLER: 0
; COMPUTE_PGM_RSRC2:TGID_X_EN: 1
; COMPUTE_PGM_RSRC2:TGID_Y_EN: 1
; COMPUTE_PGM_RSRC2:TGID_Z_EN: 1
; COMPUTE_PGM_RSRC2:TIDIG_COMP_CNT: 0
	.section	.text._ZN4vllm25paged_attention_v1_kernelI14__hip_bfloat16hLi64ELi8ELi128ELNS_18Fp8KVCacheDataTypeE1ELb1EEEvPT_PKS3_PKT0_S9_ifPKiSB_iPKfiiiSD_SD_iiiii,"axG",@progbits,_ZN4vllm25paged_attention_v1_kernelI14__hip_bfloat16hLi64ELi8ELi128ELNS_18Fp8KVCacheDataTypeE1ELb1EEEvPT_PKS3_PKT0_S9_ifPKiSB_iPKfiiiSD_SD_iiiii,comdat
	.protected	_ZN4vllm25paged_attention_v1_kernelI14__hip_bfloat16hLi64ELi8ELi128ELNS_18Fp8KVCacheDataTypeE1ELb1EEEvPT_PKS3_PKT0_S9_ifPKiSB_iPKfiiiSD_SD_iiiii ; -- Begin function _ZN4vllm25paged_attention_v1_kernelI14__hip_bfloat16hLi64ELi8ELi128ELNS_18Fp8KVCacheDataTypeE1ELb1EEEvPT_PKS3_PKT0_S9_ifPKiSB_iPKfiiiSD_SD_iiiii
	.globl	_ZN4vllm25paged_attention_v1_kernelI14__hip_bfloat16hLi64ELi8ELi128ELNS_18Fp8KVCacheDataTypeE1ELb1EEEvPT_PKS3_PKT0_S9_ifPKiSB_iPKfiiiSD_SD_iiiii
	.p2align	8
	.type	_ZN4vllm25paged_attention_v1_kernelI14__hip_bfloat16hLi64ELi8ELi128ELNS_18Fp8KVCacheDataTypeE1ELb1EEEvPT_PKS3_PKT0_S9_ifPKiSB_iPKfiiiSD_SD_iiiii,@function
_ZN4vllm25paged_attention_v1_kernelI14__hip_bfloat16hLi64ELi8ELi128ELNS_18Fp8KVCacheDataTypeE1ELb1EEEvPT_PKS3_PKT0_S9_ifPKiSB_iPKfiiiSD_SD_iiiii: ; @_ZN4vllm25paged_attention_v1_kernelI14__hip_bfloat16hLi64ELi8ELi128ELNS_18Fp8KVCacheDataTypeE1ELb1EEEvPT_PKS3_PKT0_S9_ifPKiSB_iPKfiiiSD_SD_iiiii
; %bb.0:
	s_load_dword s9, s[4:5], 0x80
	s_load_dwordx2 s[0:1], s[4:5], 0x30
	s_load_dwordx2 s[38:39], s[4:5], 0x20
	s_mov_b32 s24, s7
	s_ashr_i32 s25, s7, 31
	s_lshl_b64 s[2:3], s[24:25], 2
	s_waitcnt lgkmcnt(0)
	s_add_u32 s0, s0, s2
	s_addc_u32 s1, s1, s3
	s_abs_i32 s2, s38
	v_cvt_f32_u32_e32 v1, s2
	s_sub_i32 s10, 0, s2
	s_abs_i32 s7, s9
	s_xor_b32 s3, s9, s38
	v_rcp_iflag_f32_e32 v1, v1
	s_ashr_i32 s3, s3, 31
	s_mov_b32 s50, 0
	v_mul_f32_e32 v1, 0x4f7ffffe, v1
	v_cvt_u32_f32_e32 v1, v1
	v_readfirstlane_b32 s11, v1
	s_mul_i32 s10, s10, s11
	s_mul_hi_u32 s10, s11, s10
	s_add_i32 s11, s11, s10
	s_mul_hi_u32 s10, s7, s11
	s_mul_i32 s11, s10, s2
	s_sub_i32 s7, s7, s11
	s_add_i32 s11, s10, 1
	s_sub_i32 s12, s7, s2
	s_cmp_ge_u32 s7, s2
	s_cselect_b32 s10, s11, s10
	s_cselect_b32 s7, s12, s7
	s_add_i32 s11, s10, 1
	s_cmp_ge_u32 s7, s2
	s_cselect_b32 s2, s11, s10
	s_xor_b32 s2, s2, s3
	s_sub_i32 s14, s2, s3
	s_abs_i32 s10, s14
	v_cvt_f32_u32_e32 v1, s10
	s_load_dwordx2 s[2:3], s[4:5], 0x40
	s_sub_i32 s7, 0, s10
	s_abs_i32 s11, s6
	v_rcp_iflag_f32_e32 v1, v1
	v_mul_f32_e32 v1, 0x4f7ffffe, v1
	v_cvt_u32_f32_e32 v1, v1
	v_readfirstlane_b32 s12, v1
	s_mul_i32 s7, s7, s12
	s_mul_hi_u32 s7, s12, s7
	s_add_i32 s12, s12, s7
	s_waitcnt lgkmcnt(0)
	s_cmp_eq_u64 s[2:3], 0
	s_mul_hi_u32 s12, s11, s12
	s_cbranch_scc1 .LBB275_2
; %bb.1:
	s_ashr_i32 s7, s6, 31
	s_lshl_b64 s[16:17], s[6:7], 2
	s_add_u32 s2, s2, s16
	s_addc_u32 s3, s3, s17
	s_load_dword s50, s[2:3], 0x0
.LBB275_2:
	s_load_dword s25, s[0:1], 0x0
	s_load_dwordx4 s[16:19], s[4:5], 0x48
	s_ashr_i32 s13, s6, 31
	s_ashr_i32 s14, s14, 31
	v_and_b32_e32 v1, 7, v0
	s_lshl_b32 s26, s6, 6
	v_cmp_gt_u32_e64 s[0:1], 64, v0
	s_and_saveexec_b64 s[2:3], s[0:1]
	s_cbranch_execz .LBB275_4
; %bb.3:
	s_load_dwordx2 s[20:21], s[4:5], 0x8
	s_waitcnt lgkmcnt(0)
	s_mul_i32 s22, s16, s24
	s_ashr_i32 s23, s22, 31
	s_lshl_b64 s[22:23], s[22:23], 1
	v_lshlrev_b32_e32 v2, 1, v0
	s_add_u32 s7, s20, s22
	s_addc_u32 s15, s21, s23
	s_ashr_i32 s27, s26, 31
	s_lshl_b64 s[20:21], s[26:27], 1
	s_add_u32 s20, s7, s20
	s_addc_u32 s21, s15, s21
	global_load_ushort v2, v2, s[20:21]
	v_lshrrev_b32_e32 v3, 2, v0
	v_and_b32_e32 v3, 0xfe, v3
	v_lshl_add_u32 v3, v1, 4, v3
	s_waitcnt vmcnt(0)
	ds_write_b16 v3, v2
.LBB275_4:
	s_or_b64 exec, exec, s[2:3]
	s_mul_i32 s3, s12, s10
	s_sub_i32 s3, s11, s3
	s_xor_b32 s2, s13, s14
	s_add_i32 s11, s12, 1
	s_sub_i32 s13, s3, s10
	s_load_dwordx4 s[20:23], s[4:5], 0x68
	s_load_dword s7, s[4:5], 0x78
	s_cmp_ge_u32 s3, s10
	s_cselect_b32 s11, s11, s12
	s_cselect_b32 s3, s13, s3
	s_add_i32 s12, s11, 1
	s_cmp_ge_u32 s3, s10
	s_cselect_b32 s3, s12, s11
	s_waitcnt lgkmcnt(0)
	s_abs_i32 s27, s23
	v_cvt_f32_u32_e32 v2, s27
	s_xor_b32 s3, s3, s2
	s_sub_i32 s49, s3, s2
	s_sub_i32 s2, 0, s27
	v_rcp_iflag_f32_e32 v2, v2
	s_add_i32 s12, s25, -1
	s_abs_i32 s10, s12
	v_mul_f32_e32 v2, 0x4f7ffffe, v2
	v_cvt_u32_f32_e32 v2, v2
	s_barrier
	v_readfirstlane_b32 s33, v2
	s_mul_i32 s2, s2, s33
	s_mul_hi_u32 s2, s33, s2
	s_add_i32 s33, s33, s2
	s_cmp_lt_i32 s7, 0
	s_mul_hi_u32 s11, s10, s33
	s_cbranch_scc0 .LBB275_6
; %bb.5:
	s_mul_i32 s2, s20, s38
	s_add_i32 s2, s49, s2
	s_mul_i32 s2, s2, s7
	s_sub_i32 s38, 1, s2
	s_mov_b64 s[2:3], 0
	s_branch .LBB275_7
.LBB275_6:
	s_mov_b64 s[2:3], -1
                                        ; implicit-def: $sgpr38
.LBB275_7:
	s_load_dwordx2 s[30:31], s[4:5], 0x28
	s_ashr_i32 s16, s12, 31
	s_andn2_b64 vcc, exec, s[2:3]
	s_ashr_i32 s23, s23, 31
	s_cbranch_vccnz .LBB275_9
; %bb.8:
	s_mul_i32 s2, s9, s20
	s_add_i32 s2, s2, s6
	s_mul_i32 s2, s2, s7
	s_add_i32 s38, s2, 1
.LBB275_9:
	s_load_dword s2, s[4:5], 0x38
	s_load_dwordx2 s[28:29], s[4:5], 0x0
	s_load_dwordx2 s[36:37], s[4:5], 0x18
	s_load_dword s20, s[4:5], 0x88
	s_load_dwordx4 s[12:15], s[4:5], 0x58
	s_mul_i32 s3, s11, s27
	s_waitcnt lgkmcnt(0)
	s_mul_i32 s34, s2, s24
	s_sub_i32 s3, s10, s3
	s_ashr_i32 s35, s34, 31
	s_xor_b32 s2, s16, s23
	s_add_i32 s6, s11, 1
	s_sub_i32 s7, s3, s27
	s_cmp_ge_u32 s3, s27
	s_cselect_b32 s6, s6, s11
	s_cselect_b32 s3, s7, s3
	s_add_i32 s7, s6, 1
	s_cmp_ge_u32 s3, s27
	s_cselect_b32 s3, s7, s6
	s_xor_b32 s3, s3, s2
	s_sub_i32 s16, s3, s2
	s_add_i32 s2, s25, 7
	s_ashr_i32 s3, s2, 31
	s_lshr_b32 s3, s3, 29
	s_add_i32 s2, s2, s3
	s_ashr_i32 s48, s2, 3
	v_lshrrev_b32_e32 v17, 6, v0
	v_cmp_gt_i32_e64 s[2:3], s48, v17
	v_mov_b32_e32 v16, 0xff7fffff
	s_mul_i32 s49, s49, s18
	v_lshrrev_b32_e32 v12, 4, v0
	v_lshlrev_b32_e32 v18, 3, v17
	v_mbcnt_lo_u32_b32 v13, -1, 0
	s_and_saveexec_b64 s[18:19], s[2:3]
	s_cbranch_execz .LBB275_69
; %bb.10:
	s_load_dwordx2 s[4:5], s[4:5], 0x10
	s_sub_i32 s51, s16, s21
	s_ashr_i32 s6, s49, 31
	v_bfe_u32 v14, v0, 3, 3
	v_lshlrev_b32_e32 v3, 4, v14
	s_waitcnt lgkmcnt(0)
	s_add_u32 s7, s4, s49
	s_addc_u32 s6, s5, s6
	s_abs_i32 s52, s22
	v_cvt_f32_u32_e32 v2, s52
	v_mov_b32_e32 v4, s6
	s_sub_i32 s6, 0, s52
	v_cmp_eq_u32_e32 vcc, 0, v1
	v_rcp_iflag_f32_e32 v2, v2
	v_lshlrev_b32_e32 v15, 4, v1
	s_mov_b32 s53, s17
	v_cmp_neq_f32_e64 s[4:5], s50, 0
	v_mul_f32_e32 v2, 0x4f7ffffe, v2
	v_cvt_u32_f32_e32 v2, v2
	v_lshlrev_b32_e32 v20, 3, v17
	v_mov_b32_e32 v23, 0xff7fffff
	s_mov_b64 s[40:41], 0
	v_mul_lo_u32 v5, s6, v2
	v_add_co_u32_e64 v3, s[6:7], s7, v3
	v_addc_co_u32_e64 v4, s[6:7], 0, v4, s[6:7]
	v_mul_hi_u32 v7, v2, v5
	v_add_co_u32_e64 v5, s[6:7], v3, v1
	v_addc_co_u32_e64 v6, s[6:7], 0, v4, s[6:7]
	s_lshl_b64 s[6:7], s[34:35], 2
	s_add_u32 s6, s30, s6
	v_and_b32_e32 v1, 60, v12
	s_addc_u32 s7, s31, s7
	v_add_u32_e32 v19, v2, v7
	v_mov_b32_e32 v2, s7
	v_add_co_u32_e64 v7, s[6:7], s6, v1
	v_subrev_u32_e32 v1, s25, v14
	v_add_u32_e32 v21, 1, v1
	v_lshlrev_b32_e32 v1, 2, v14
	v_lshl_or_b32 v1, v17, 5, v1
	v_addc_co_u32_e64 v8, s[6:7], 0, v2, s[6:7]
	v_add_u32_e32 v22, 0x90, v1
	s_movk_i32 s54, 0x80
	s_movk_i32 s55, 0x7f
	;; [unrolled: 1-line block ×3, first 2 shown]
	v_bfrev_b32_e32 v24, 60
	v_mbcnt_hi_u32_b32 v25, -1, v13
	v_mov_b32_e32 v16, 0xff7fffff
	v_mov_b32_e32 v26, v17
	s_branch .LBB275_13
.LBB275_11:                             ;   in Loop: Header=BB275_13 Depth=1
	s_or_b64 exec, exec, s[42:43]
.LBB275_12:                             ;   in Loop: Header=BB275_13 Depth=1
	s_or_b64 exec, exec, s[10:11]
	v_add_co_u32_e64 v7, s[6:7], 8, v7
	v_add_u32_e32 v26, 2, v26
	v_addc_co_u32_e64 v8, s[6:7], 0, v8, s[6:7]
	v_cmp_le_i32_e64 s[6:7], s48, v26
	v_add_u32_e32 v20, 16, v20
	s_or_b64 s[40:41], s[6:7], s[40:41]
	v_add_u32_e32 v22, 64, v22
	s_andn2_b64 exec, exec, s[40:41]
	s_cbranch_execz .LBB275_68
.LBB275_13:                             ; =>This Inner Loop Header: Depth=1
	v_mul_hi_u32 v1, v20, s33
	s_waitcnt lgkmcnt(0)
	v_mul_lo_u32 v2, v1, s27
	v_add_u32_e32 v3, 1, v1
	v_sub_u32_e32 v2, v20, v2
	v_cmp_le_u32_e64 s[6:7], s27, v2
	v_cndmask_b32_e64 v1, v1, v3, s[6:7]
	v_subrev_u32_e32 v3, s27, v2
	v_cndmask_b32_e64 v2, v2, v3, s[6:7]
	v_add_u32_e32 v3, 1, v1
	v_cmp_le_u32_e64 s[6:7], s27, v2
	v_cndmask_b32_e64 v1, v1, v3, s[6:7]
	v_xor_b32_e32 v1, s23, v1
	v_subrev_u32_e32 v1, s23, v1
	v_add_u32_e32 v2, s38, v1
	v_sub_u32_e32 v3, 0, v2
	v_max_i32_e32 v3, v2, v3
	v_mul_hi_u32 v4, v3, v19
	v_ashrrev_i32_e32 v2, 31, v2
	v_cmp_ge_i32_e64 s[10:11], s51, v1
	v_mul_lo_u32 v4, v4, s52
	v_sub_u32_e32 v3, v3, v4
	v_subrev_u32_e32 v4, s52, v3
	v_cmp_le_u32_e64 s[6:7], s52, v3
	v_cndmask_b32_e64 v3, v3, v4, s[6:7]
	v_subrev_u32_e32 v4, s52, v3
	v_cmp_le_u32_e64 s[6:7], s52, v3
	v_cndmask_b32_e64 v3, v3, v4, s[6:7]
	v_xor_b32_e32 v3, v3, v2
	v_sub_u32_e32 v2, v3, v2
	v_cmp_ne_u32_e64 s[6:7], 0, v2
	s_and_b64 s[6:7], s[6:7], s[10:11]
	s_and_saveexec_b64 s[10:11], s[6:7]
	s_xor_b64 s[6:7], exec, s[10:11]
	s_cbranch_execz .LBB275_17
; %bb.14:                               ;   in Loop: Header=BB275_13 Depth=1
	s_and_saveexec_b64 s[10:11], vcc
; %bb.15:                               ;   in Loop: Header=BB275_13 Depth=1
	ds_write_b32 v22, v23
; %bb.16:                               ;   in Loop: Header=BB275_13 Depth=1
	s_or_b64 exec, exec, s[10:11]
.LBB275_17:                             ;   in Loop: Header=BB275_13 Depth=1
	s_andn2_saveexec_b64 s[10:11], s[6:7]
	s_cbranch_execz .LBB275_12
; %bb.18:                               ;   in Loop: Header=BB275_13 Depth=1
	global_load_dword v1, v[7:8], off
	s_load_dword s57, s[12:13], 0x0
	v_mov_b32_e32 v28, 0
	v_mov_b32_e32 v27, 0
	s_waitcnt vmcnt(0)
	v_mad_i64_i32 v[9:10], s[6:7], v1, s53, v[5:6]
	ds_read_b128 v[1:4], v15
	global_load_ubyte v29, v[9:10], off
	s_waitcnt vmcnt(0)
	v_cmp_ne_u16_e64 s[6:7], 0, v29
	s_and_saveexec_b64 s[42:43], s[6:7]
	s_cbranch_execz .LBB275_24
; %bb.19:                               ;   in Loop: Header=BB275_13 Depth=1
	v_cmp_ne_u16_e64 s[6:7], s54, v29
	v_bfrev_b32_e32 v27, 1
	s_and_saveexec_b64 s[44:45], s[6:7]
	s_cbranch_execz .LBB275_23
; %bb.20:                               ;   in Loop: Header=BB275_13 Depth=1
	v_and_b32_e32 v11, 0xffff, v29
	v_and_b32_e32 v30, 0x7f, v11
	v_cmp_ne_u32_e64 s[6:7], s55, v30
	v_mov_b32_e32 v27, 0x7f800001
	s_and_saveexec_b64 s[46:47], s[6:7]
	s_cbranch_execz .LBB275_22
; %bb.21:                               ;   in Loop: Header=BB275_13 Depth=1
	v_and_b32_e32 v27, 7, v11
	v_ffbh_u32_e32 v31, v27
	v_min_u32_e32 v34, 32, v31
	v_subrev_u32_e32 v31, 28, v34
	v_lshlrev_b64 v[31:32], v31, v[11:12]
	v_lshrrev_b32_e32 v33, 3, v30
	v_sub_u32_e32 v11, 29, v34
	v_and_b32_e32 v31, 7, v31
	v_cmp_gt_u32_e64 s[6:7], 8, v30
	v_cndmask_b32_e64 v11, v33, v11, s[6:7]
	v_cndmask_b32_e64 v27, v27, v31, s[6:7]
	v_lshlrev_b32_e32 v29, 24, v29
	v_lshlrev_b32_e32 v27, 20, v27
	v_and_b32_e32 v29, 0x80000000, v29
	v_lshl_add_u32 v11, v11, 23, v24
	v_or3_b32 v27, v29, v11, v27
.LBB275_22:                             ;   in Loop: Header=BB275_13 Depth=1
	s_or_b64 exec, exec, s[46:47]
.LBB275_23:                             ;   in Loop: Header=BB275_13 Depth=1
	s_or_b64 exec, exec, s[44:45]
.LBB275_24:                             ;   in Loop: Header=BB275_13 Depth=1
	s_or_b64 exec, exec, s[42:43]
	global_load_ubyte v29, v[9:10], off offset:8
	s_waitcnt vmcnt(0)
	v_cmp_ne_u16_e64 s[6:7], 0, v29
	s_and_saveexec_b64 s[42:43], s[6:7]
	s_cbranch_execz .LBB275_30
; %bb.25:                               ;   in Loop: Header=BB275_13 Depth=1
	v_cmp_ne_u16_e64 s[6:7], s54, v29
	v_bfrev_b32_e32 v28, 1
	s_and_saveexec_b64 s[44:45], s[6:7]
	s_cbranch_execz .LBB275_29
; %bb.26:                               ;   in Loop: Header=BB275_13 Depth=1
	v_and_b32_e32 v11, 0xffff, v29
	v_and_b32_e32 v30, 0x7f, v11
	v_cmp_ne_u32_e64 s[6:7], s55, v30
	v_mov_b32_e32 v28, 0x7f800001
	s_and_saveexec_b64 s[46:47], s[6:7]
	s_cbranch_execz .LBB275_28
; %bb.27:                               ;   in Loop: Header=BB275_13 Depth=1
	v_and_b32_e32 v28, 7, v11
	v_ffbh_u32_e32 v31, v28
	v_min_u32_e32 v34, 32, v31
	v_subrev_u32_e32 v31, 28, v34
	v_lshlrev_b64 v[31:32], v31, v[11:12]
	v_lshrrev_b32_e32 v33, 3, v30
	v_sub_u32_e32 v11, 29, v34
	v_and_b32_e32 v31, 7, v31
	v_cmp_gt_u32_e64 s[6:7], 8, v30
	v_cndmask_b32_e64 v11, v33, v11, s[6:7]
	v_cndmask_b32_e64 v28, v28, v31, s[6:7]
	v_lshlrev_b32_e32 v29, 24, v29
	v_lshlrev_b32_e32 v28, 20, v28
	v_and_b32_e32 v29, 0x80000000, v29
	v_lshl_add_u32 v11, v11, 23, v24
	v_or3_b32 v28, v29, v11, v28
.LBB275_28:                             ;   in Loop: Header=BB275_13 Depth=1
	s_or_b64 exec, exec, s[46:47]
.LBB275_29:                             ;   in Loop: Header=BB275_13 Depth=1
	s_or_b64 exec, exec, s[44:45]
.LBB275_30:                             ;   in Loop: Header=BB275_13 Depth=1
	s_or_b64 exec, exec, s[42:43]
	global_load_ubyte v31, v[9:10], off offset:128
	v_mov_b32_e32 v30, 0
	v_mov_b32_e32 v29, 0
	s_waitcnt vmcnt(0)
	v_cmp_ne_u16_e64 s[6:7], 0, v31
	s_and_saveexec_b64 s[42:43], s[6:7]
	s_cbranch_execz .LBB275_36
; %bb.31:                               ;   in Loop: Header=BB275_13 Depth=1
	v_cmp_ne_u16_e64 s[6:7], s54, v31
	v_bfrev_b32_e32 v29, 1
	s_and_saveexec_b64 s[44:45], s[6:7]
	s_cbranch_execz .LBB275_35
; %bb.32:                               ;   in Loop: Header=BB275_13 Depth=1
	v_and_b32_e32 v11, 0xffff, v31
	v_and_b32_e32 v32, 0x7f, v11
	v_cmp_ne_u32_e64 s[6:7], s55, v32
	v_mov_b32_e32 v29, 0x7f800001
	s_and_saveexec_b64 s[46:47], s[6:7]
	s_cbranch_execz .LBB275_34
; %bb.33:                               ;   in Loop: Header=BB275_13 Depth=1
	v_and_b32_e32 v29, 7, v11
	v_ffbh_u32_e32 v33, v29
	v_min_u32_e32 v36, 32, v33
	v_subrev_u32_e32 v33, 28, v36
	v_lshlrev_b64 v[33:34], v33, v[11:12]
	v_lshrrev_b32_e32 v35, 3, v32
	v_sub_u32_e32 v11, 29, v36
	v_and_b32_e32 v33, 7, v33
	v_cmp_gt_u32_e64 s[6:7], 8, v32
	v_cndmask_b32_e64 v11, v35, v11, s[6:7]
	v_cndmask_b32_e64 v29, v29, v33, s[6:7]
	v_lshlrev_b32_e32 v31, 24, v31
	v_lshlrev_b32_e32 v29, 20, v29
	v_and_b32_e32 v31, 0x80000000, v31
	v_lshl_add_u32 v11, v11, 23, v24
	v_or3_b32 v29, v31, v11, v29
.LBB275_34:                             ;   in Loop: Header=BB275_13 Depth=1
	s_or_b64 exec, exec, s[46:47]
.LBB275_35:                             ;   in Loop: Header=BB275_13 Depth=1
	s_or_b64 exec, exec, s[44:45]
.LBB275_36:                             ;   in Loop: Header=BB275_13 Depth=1
	s_or_b64 exec, exec, s[42:43]
	global_load_ubyte v31, v[9:10], off offset:136
	s_waitcnt vmcnt(0)
	v_cmp_ne_u16_e64 s[6:7], 0, v31
	s_and_saveexec_b64 s[42:43], s[6:7]
	s_cbranch_execz .LBB275_42
; %bb.37:                               ;   in Loop: Header=BB275_13 Depth=1
	v_cmp_ne_u16_e64 s[6:7], s54, v31
	v_bfrev_b32_e32 v30, 1
	s_and_saveexec_b64 s[44:45], s[6:7]
	s_cbranch_execz .LBB275_41
; %bb.38:                               ;   in Loop: Header=BB275_13 Depth=1
	v_and_b32_e32 v11, 0xffff, v31
	v_and_b32_e32 v32, 0x7f, v11
	v_cmp_ne_u32_e64 s[6:7], s55, v32
	v_mov_b32_e32 v30, 0x7f800001
	s_and_saveexec_b64 s[46:47], s[6:7]
	s_cbranch_execz .LBB275_40
; %bb.39:                               ;   in Loop: Header=BB275_13 Depth=1
	v_and_b32_e32 v30, 7, v11
	v_ffbh_u32_e32 v33, v30
	v_min_u32_e32 v36, 32, v33
	v_subrev_u32_e32 v33, 28, v36
	v_lshlrev_b64 v[33:34], v33, v[11:12]
	v_lshrrev_b32_e32 v35, 3, v32
	v_sub_u32_e32 v11, 29, v36
	v_and_b32_e32 v33, 7, v33
	v_cmp_gt_u32_e64 s[6:7], 8, v32
	v_cndmask_b32_e64 v11, v35, v11, s[6:7]
	v_cndmask_b32_e64 v30, v30, v33, s[6:7]
	v_lshlrev_b32_e32 v31, 24, v31
	v_lshlrev_b32_e32 v30, 20, v30
	v_and_b32_e32 v31, 0x80000000, v31
	v_lshl_add_u32 v11, v11, 23, v24
	v_or3_b32 v30, v31, v11, v30
.LBB275_40:                             ;   in Loop: Header=BB275_13 Depth=1
	s_or_b64 exec, exec, s[46:47]
.LBB275_41:                             ;   in Loop: Header=BB275_13 Depth=1
	s_or_b64 exec, exec, s[44:45]
.LBB275_42:                             ;   in Loop: Header=BB275_13 Depth=1
	s_or_b64 exec, exec, s[42:43]
	global_load_ubyte v33, v[9:10], off offset:256
	v_mov_b32_e32 v32, 0
	v_mov_b32_e32 v31, 0
	s_waitcnt vmcnt(0)
	v_cmp_ne_u16_e64 s[6:7], 0, v33
	s_and_saveexec_b64 s[42:43], s[6:7]
	s_cbranch_execz .LBB275_48
; %bb.43:                               ;   in Loop: Header=BB275_13 Depth=1
	v_cmp_ne_u16_e64 s[6:7], s54, v33
	v_bfrev_b32_e32 v31, 1
	s_and_saveexec_b64 s[44:45], s[6:7]
	s_cbranch_execz .LBB275_47
; %bb.44:                               ;   in Loop: Header=BB275_13 Depth=1
	v_and_b32_e32 v11, 0xffff, v33
	v_and_b32_e32 v34, 0x7f, v11
	v_cmp_ne_u32_e64 s[6:7], s55, v34
	v_mov_b32_e32 v31, 0x7f800001
	s_and_saveexec_b64 s[46:47], s[6:7]
	s_cbranch_execz .LBB275_46
; %bb.45:                               ;   in Loop: Header=BB275_13 Depth=1
	v_and_b32_e32 v31, 7, v11
	v_ffbh_u32_e32 v35, v31
	v_min_u32_e32 v38, 32, v35
	v_subrev_u32_e32 v35, 28, v38
	v_lshlrev_b64 v[35:36], v35, v[11:12]
	v_lshrrev_b32_e32 v37, 3, v34
	v_sub_u32_e32 v11, 29, v38
	v_and_b32_e32 v35, 7, v35
	v_cmp_gt_u32_e64 s[6:7], 8, v34
	v_cndmask_b32_e64 v11, v37, v11, s[6:7]
	v_cndmask_b32_e64 v31, v31, v35, s[6:7]
	v_lshlrev_b32_e32 v33, 24, v33
	v_lshlrev_b32_e32 v31, 20, v31
	v_and_b32_e32 v33, 0x80000000, v33
	v_lshl_add_u32 v11, v11, 23, v24
	v_or3_b32 v31, v33, v11, v31
.LBB275_46:                             ;   in Loop: Header=BB275_13 Depth=1
	s_or_b64 exec, exec, s[46:47]
.LBB275_47:                             ;   in Loop: Header=BB275_13 Depth=1
	s_or_b64 exec, exec, s[44:45]
.LBB275_48:                             ;   in Loop: Header=BB275_13 Depth=1
	s_or_b64 exec, exec, s[42:43]
	global_load_ubyte v33, v[9:10], off offset:264
	s_waitcnt vmcnt(0)
	v_cmp_ne_u16_e64 s[6:7], 0, v33
	s_and_saveexec_b64 s[42:43], s[6:7]
	s_cbranch_execz .LBB275_54
; %bb.49:                               ;   in Loop: Header=BB275_13 Depth=1
	v_cmp_ne_u16_e64 s[6:7], s54, v33
	v_bfrev_b32_e32 v32, 1
	s_and_saveexec_b64 s[44:45], s[6:7]
	s_cbranch_execz .LBB275_53
; %bb.50:                               ;   in Loop: Header=BB275_13 Depth=1
	v_and_b32_e32 v11, 0xffff, v33
	v_and_b32_e32 v34, 0x7f, v11
	v_cmp_ne_u32_e64 s[6:7], s55, v34
	v_mov_b32_e32 v32, 0x7f800001
	s_and_saveexec_b64 s[46:47], s[6:7]
	s_cbranch_execz .LBB275_52
; %bb.51:                               ;   in Loop: Header=BB275_13 Depth=1
	v_and_b32_e32 v32, 7, v11
	v_ffbh_u32_e32 v35, v32
	v_min_u32_e32 v38, 32, v35
	v_subrev_u32_e32 v35, 28, v38
	v_lshlrev_b64 v[35:36], v35, v[11:12]
	v_lshrrev_b32_e32 v37, 3, v34
	v_sub_u32_e32 v11, 29, v38
	v_and_b32_e32 v35, 7, v35
	v_cmp_gt_u32_e64 s[6:7], 8, v34
	v_cndmask_b32_e64 v11, v37, v11, s[6:7]
	v_cndmask_b32_e64 v32, v32, v35, s[6:7]
	v_lshlrev_b32_e32 v33, 24, v33
	v_lshlrev_b32_e32 v32, 20, v32
	v_and_b32_e32 v33, 0x80000000, v33
	v_lshl_add_u32 v11, v11, 23, v24
	v_or3_b32 v32, v33, v11, v32
.LBB275_52:                             ;   in Loop: Header=BB275_13 Depth=1
	s_or_b64 exec, exec, s[46:47]
.LBB275_53:                             ;   in Loop: Header=BB275_13 Depth=1
	s_or_b64 exec, exec, s[44:45]
.LBB275_54:                             ;   in Loop: Header=BB275_13 Depth=1
	s_or_b64 exec, exec, s[42:43]
	global_load_ubyte v35, v[9:10], off offset:384
	v_mov_b32_e32 v33, 0
	v_mov_b32_e32 v34, 0
	s_waitcnt vmcnt(0)
	v_cmp_ne_u16_e64 s[6:7], 0, v35
	s_and_saveexec_b64 s[42:43], s[6:7]
	s_cbranch_execz .LBB275_60
; %bb.55:                               ;   in Loop: Header=BB275_13 Depth=1
	v_cmp_ne_u16_e64 s[6:7], s54, v35
	v_bfrev_b32_e32 v34, 1
	s_and_saveexec_b64 s[44:45], s[6:7]
	s_cbranch_execz .LBB275_59
; %bb.56:                               ;   in Loop: Header=BB275_13 Depth=1
	v_and_b32_e32 v11, 0xffff, v35
	v_and_b32_e32 v36, 0x7f, v11
	v_cmp_ne_u32_e64 s[6:7], s55, v36
	v_mov_b32_e32 v34, 0x7f800001
	s_and_saveexec_b64 s[46:47], s[6:7]
	s_cbranch_execz .LBB275_58
; %bb.57:                               ;   in Loop: Header=BB275_13 Depth=1
	v_and_b32_e32 v34, 7, v11
	v_ffbh_u32_e32 v37, v34
	v_min_u32_e32 v40, 32, v37
	v_subrev_u32_e32 v37, 28, v40
	v_lshlrev_b64 v[37:38], v37, v[11:12]
	v_lshrrev_b32_e32 v39, 3, v36
	v_sub_u32_e32 v11, 29, v40
	v_and_b32_e32 v37, 7, v37
	v_cmp_gt_u32_e64 s[6:7], 8, v36
	v_cndmask_b32_e64 v11, v39, v11, s[6:7]
	v_cndmask_b32_e64 v34, v34, v37, s[6:7]
	v_lshlrev_b32_e32 v35, 24, v35
	v_lshlrev_b32_e32 v34, 20, v34
	v_and_b32_e32 v35, 0x80000000, v35
	v_lshl_add_u32 v11, v11, 23, v24
	v_or3_b32 v34, v35, v11, v34
.LBB275_58:                             ;   in Loop: Header=BB275_13 Depth=1
	s_or_b64 exec, exec, s[46:47]
.LBB275_59:                             ;   in Loop: Header=BB275_13 Depth=1
	s_or_b64 exec, exec, s[44:45]
.LBB275_60:                             ;   in Loop: Header=BB275_13 Depth=1
	s_or_b64 exec, exec, s[42:43]
	global_load_ubyte v10, v[9:10], off offset:392
	s_waitcnt vmcnt(0)
	v_cmp_ne_u16_e64 s[6:7], 0, v10
	s_and_saveexec_b64 s[42:43], s[6:7]
	s_cbranch_execz .LBB275_66
; %bb.61:                               ;   in Loop: Header=BB275_13 Depth=1
	v_cmp_ne_u16_e64 s[6:7], s54, v10
	v_bfrev_b32_e32 v33, 1
	s_and_saveexec_b64 s[44:45], s[6:7]
	s_cbranch_execz .LBB275_65
; %bb.62:                               ;   in Loop: Header=BB275_13 Depth=1
	v_and_b32_e32 v9, 0xffff, v10
	v_and_b32_e32 v11, 0x7f, v9
	v_cmp_ne_u32_e64 s[6:7], s55, v11
	v_mov_b32_e32 v33, 0x7f800001
	s_and_saveexec_b64 s[46:47], s[6:7]
	s_cbranch_execz .LBB275_64
; %bb.63:                               ;   in Loop: Header=BB275_13 Depth=1
	v_and_b32_e32 v33, 7, v9
	v_ffbh_u32_e32 v35, v33
	v_min_u32_e32 v38, 32, v35
	v_subrev_u32_e32 v35, 28, v38
	v_lshlrev_b64 v[35:36], v35, v[9:10]
	v_lshrrev_b32_e32 v37, 3, v11
	v_sub_u32_e32 v9, 29, v38
	v_and_b32_e32 v35, 7, v35
	v_cmp_gt_u32_e64 s[6:7], 8, v11
	v_cndmask_b32_e64 v9, v37, v9, s[6:7]
	v_cndmask_b32_e64 v11, v33, v35, s[6:7]
	v_lshlrev_b32_e32 v10, 24, v10
	v_lshlrev_b32_e32 v11, 20, v11
	v_and_b32_e32 v10, 0x80000000, v10
	v_lshl_add_u32 v9, v9, 23, v24
	v_or3_b32 v33, v10, v9, v11
.LBB275_64:                             ;   in Loop: Header=BB275_13 Depth=1
	s_or_b64 exec, exec, s[46:47]
.LBB275_65:                             ;   in Loop: Header=BB275_13 Depth=1
	s_or_b64 exec, exec, s[44:45]
.LBB275_66:                             ;   in Loop: Header=BB275_13 Depth=1
	s_or_b64 exec, exec, s[42:43]
	s_waitcnt lgkmcnt(0)
	v_mul_f32_e32 v9, s57, v34
	v_bfe_u32 v10, v9, 16, 1
	v_add3_u32 v10, v10, v9, s56
	v_or_b32_e32 v11, 0x400000, v9
	v_cmp_u_f32_e64 s[6:7], v9, v9
	v_cndmask_b32_e64 v9, v10, v11, s[6:7]
	v_mul_f32_e32 v10, s57, v32
	v_bfe_u32 v11, v10, 16, 1
	v_add3_u32 v11, v11, v10, s56
	v_or_b32_e32 v32, 0x400000, v10
	v_cmp_u_f32_e64 s[6:7], v10, v10
	v_cndmask_b32_e64 v10, v11, v32, s[6:7]
	v_mul_f32_e32 v11, s57, v31
	v_bfe_u32 v31, v11, 16, 1
	v_add3_u32 v31, v31, v11, s56
	v_or_b32_e32 v32, 0x400000, v11
	v_cmp_u_f32_e64 s[6:7], v11, v11
	v_mul_f32_e32 v30, s57, v30
	v_cndmask_b32_e64 v11, v31, v32, s[6:7]
	v_bfe_u32 v31, v30, 16, 1
	v_add3_u32 v31, v31, v30, s56
	v_or_b32_e32 v32, 0x400000, v30
	v_cmp_u_f32_e64 s[6:7], v30, v30
	v_mul_f32_e32 v29, s57, v29
	v_cndmask_b32_e64 v30, v31, v32, s[6:7]
	v_bfe_u32 v31, v29, 16, 1
	v_add3_u32 v31, v31, v29, s56
	v_or_b32_e32 v32, 0x400000, v29
	v_cmp_u_f32_e64 s[6:7], v29, v29
	v_mul_f32_e32 v28, s57, v28
	v_cndmask_b32_e64 v29, v31, v32, s[6:7]
	v_bfe_u32 v31, v28, 16, 1
	v_add3_u32 v31, v31, v28, s56
	v_or_b32_e32 v32, 0x400000, v28
	v_cmp_u_f32_e64 s[6:7], v28, v28
	v_mul_f32_e32 v27, s57, v27
	v_cndmask_b32_e64 v28, v31, v32, s[6:7]
	v_bfe_u32 v31, v27, 16, 1
	v_add3_u32 v31, v31, v27, s56
	v_or_b32_e32 v32, 0x400000, v27
	v_cmp_u_f32_e64 s[6:7], v27, v27
	v_cndmask_b32_e64 v27, v31, v32, s[6:7]
	v_and_b32_e32 v31, 64, v25
	v_add_u32_e32 v31, 64, v31
	v_xor_b32_e32 v32, 4, v25
	v_mul_f32_e32 v33, s57, v33
	v_cmp_lt_i32_e64 s[6:7], v32, v31
	v_bfe_u32 v34, v33, 16, 1
	v_cndmask_b32_e64 v32, v25, v32, s[6:7]
	v_add3_u32 v34, v34, v33, s56
	v_or_b32_e32 v35, 0x400000, v33
	v_cmp_u_f32_e64 s[6:7], v33, v33
	v_cndmask_b32_e64 v33, v34, v35, s[6:7]
	v_lshlrev_b32_e32 v34, 16, v1
	v_and_b32_e32 v1, 0xffff0000, v1
	v_and_b32_e32 v28, 0xffff0000, v28
	;; [unrolled: 1-line block ×3, first 2 shown]
	v_mul_f32_e32 v1, v1, v28
	v_lshlrev_b32_e32 v35, 16, v2
	v_fmac_f32_e32 v1, v34, v27
	v_and_b32_e32 v27, 0xffff0000, v29
	v_and_b32_e32 v2, 0xffff0000, v2
	v_fmac_f32_e32 v1, v35, v27
	v_and_b32_e32 v27, 0xffff0000, v30
	v_lshlrev_b32_e32 v36, 16, v3
	v_fmac_f32_e32 v1, v2, v27
	v_and_b32_e32 v2, 0xffff0000, v11
	v_and_b32_e32 v3, 0xffff0000, v3
	v_fmac_f32_e32 v1, v36, v2
	v_and_b32_e32 v2, 0xffff0000, v10
	;; [unrolled: 6-line block ×3, first 2 shown]
	v_lshlrev_b32_e32 v32, 2, v32
	v_fmac_f32_e32 v1, v4, v2
	ds_bpermute_b32 v2, v32, v1
	v_xor_b32_e32 v3, 2, v25
	v_cmp_lt_i32_e64 s[6:7], v3, v31
	v_cndmask_b32_e64 v3, v25, v3, s[6:7]
	v_lshlrev_b32_e32 v3, 2, v3
	s_waitcnt lgkmcnt(0)
	v_add_f32_e32 v1, v1, v2
	ds_bpermute_b32 v2, v3, v1
	v_xor_b32_e32 v3, 1, v25
	v_cmp_lt_i32_e64 s[6:7], v3, v31
	v_cndmask_b32_e64 v3, v25, v3, s[6:7]
	v_lshlrev_b32_e32 v3, 2, v3
	s_waitcnt lgkmcnt(0)
	v_add_f32_e32 v1, v1, v2
	ds_bpermute_b32 v2, v3, v1
	s_and_saveexec_b64 s[42:43], vcc
	s_cbranch_execz .LBB275_11
; %bb.67:                               ;   in Loop: Header=BB275_13 Depth=1
	v_add_u32_e32 v3, v21, v20
	v_cvt_f32_i32_e32 v3, v3
	s_waitcnt lgkmcnt(0)
	v_add_f32_e32 v1, v1, v2
	v_add_u32_e32 v4, v14, v20
	v_cmp_gt_i32_e64 s[6:7], s25, v4
	v_mul_f32_e32 v2, s50, v3
	v_cndmask_b32_e64 v2, 0, v2, s[4:5]
	v_fmac_f32_e32 v2, s39, v1
	v_cndmask_b32_e64 v1, 0, v2, s[6:7]
	ds_write_b32 v22, v1
	v_max_f32_e32 v1, v16, v16
	v_max_f32_e32 v1, v1, v2
	v_cndmask_b32_e64 v16, v16, v1, s[6:7]
	s_branch .LBB275_11
.LBB275_68:
	s_or_b64 exec, exec, s[40:41]
.LBB275_69:
	s_or_b64 exec, exec, s[18:19]
	v_mbcnt_hi_u32_b32 v1, -1, v13
	v_and_b32_e32 v9, 64, v1
	s_waitcnt lgkmcnt(0)
	v_add_u32_e32 v2, 64, v9
	v_xor_b32_e32 v3, 32, v1
	v_cmp_lt_i32_e32 vcc, v3, v2
	v_cndmask_b32_e32 v3, v1, v3, vcc
	v_lshlrev_b32_e32 v4, 2, v3
	ds_bpermute_b32 v3, v4, v16
	v_xor_b32_e32 v6, 16, v1
	v_max_f32_e32 v5, v16, v16
	v_cmp_lt_i32_e32 vcc, v6, v2
	v_xor_b32_e32 v7, 8, v1
	s_waitcnt lgkmcnt(0)
	v_max_f32_e32 v3, v3, v3
	v_max_f32_e32 v3, v5, v3
	v_cndmask_b32_e32 v5, v1, v6, vcc
	v_lshlrev_b32_e32 v6, 2, v5
	ds_bpermute_b32 v5, v6, v3
	v_cmp_lt_i32_e32 vcc, v7, v2
	v_and_b32_e32 v19, 63, v0
	s_waitcnt lgkmcnt(0)
	v_max_f32_e32 v5, v5, v5
	v_max_f32_e32 v5, v3, v5
	v_cndmask_b32_e32 v3, v1, v7, vcc
	v_lshlrev_b32_e32 v8, 2, v3
	ds_bpermute_b32 v7, v8, v5
	v_cmp_eq_u32_e32 vcc, 0, v19
	v_lshlrev_b32_e32 v3, 2, v17
	s_and_saveexec_b64 s[4:5], vcc
	s_cbranch_execz .LBB275_71
; %bb.70:
	s_waitcnt lgkmcnt(0)
	v_max_f32_e32 v7, v7, v7
	v_max_f32_e32 v5, v5, v5
	;; [unrolled: 1-line block ×3, first 2 shown]
	ds_write_b32 v3, v5 offset:128
.LBB275_71:
	s_or_b64 exec, exec, s[4:5]
	v_cmp_gt_u32_e64 s[4:5], 2, v19
	v_mov_b32_e32 v10, 0xff7fffff
	v_lshlrev_b32_e32 v5, 2, v19
	s_waitcnt lgkmcnt(0)
	s_barrier
	s_and_saveexec_b64 s[6:7], s[4:5]
; %bb.72:
	ds_read_b32 v10, v5 offset:128
; %bb.73:
	s_or_b64 exec, exec, s[6:7]
	v_xor_b32_e32 v7, 1, v1
	v_cmp_lt_i32_e64 s[6:7], v7, v2
	v_cndmask_b32_e64 v7, v1, v7, s[6:7]
	v_lshlrev_b32_e32 v7, 2, v7
	s_waitcnt lgkmcnt(0)
	ds_bpermute_b32 v11, v7, v10
	v_max_f32_e32 v10, v10, v10
	v_lshlrev_b32_e32 v9, 2, v9
	s_lshl_b32 s6, s48, 3
	s_min_i32 s39, s6, s25
	s_waitcnt lgkmcnt(0)
	v_max_f32_e32 v11, v11, v11
	v_max_f32_e32 v10, v10, v11
	ds_bpermute_b32 v10, v9, v10
	v_cmp_gt_i32_e64 s[6:7], s39, v0
	v_mov_b32_e32 v9, 0
	s_and_saveexec_b64 s[12:13], s[6:7]
	s_cbranch_execz .LBB275_77
; %bb.74:
	v_mov_b32_e32 v9, 0x90
	v_lshl_add_u32 v11, v0, 2, v9
	v_mov_b32_e32 v9, 0
	s_mov_b64 s[18:19], 0
	v_mov_b32_e32 v13, v0
.LBB275_75:                             ; =>This Inner Loop Header: Depth=1
	ds_read_b32 v14, v11
	v_add_u32_e32 v13, 0x80, v13
	v_cmp_le_i32_e64 s[10:11], s39, v13
	s_or_b64 s[18:19], s[10:11], s[18:19]
	s_waitcnt lgkmcnt(0)
	v_sub_f32_e32 v14, v14, v10
	v_mul_f32_e32 v14, 0x3fb8aa3b, v14
	v_exp_f32_e32 v14, v14
	ds_write_b32 v11, v14
	v_add_f32_e32 v9, v9, v14
	v_add_u32_e32 v11, 0x200, v11
	s_andn2_b64 exec, exec, s[18:19]
	s_cbranch_execnz .LBB275_75
; %bb.76:
	s_or_b64 exec, exec, s[18:19]
.LBB275_77:
	s_or_b64 exec, exec, s[12:13]
	ds_bpermute_b32 v4, v4, v9
	s_waitcnt lgkmcnt(0)
	v_add_f32_e32 v4, v9, v4
	ds_bpermute_b32 v6, v6, v4
	s_waitcnt lgkmcnt(0)
	v_add_f32_e32 v4, v4, v6
	ds_bpermute_b32 v6, v8, v4
	v_xor_b32_e32 v8, 4, v1
	v_cmp_lt_i32_e64 s[10:11], v8, v2
	v_cndmask_b32_e64 v8, v1, v8, s[10:11]
	v_lshlrev_b32_e32 v8, 2, v8
	s_waitcnt lgkmcnt(0)
	v_add_f32_e32 v4, v4, v6
	ds_bpermute_b32 v6, v8, v4
	v_xor_b32_e32 v8, 2, v1
	v_cmp_lt_i32_e64 s[10:11], v8, v2
	v_cndmask_b32_e64 v2, v1, v8, s[10:11]
	v_lshlrev_b32_e32 v2, 2, v2
	s_waitcnt lgkmcnt(0)
	v_add_f32_e32 v4, v4, v6
	ds_bpermute_b32 v2, v2, v4
	s_waitcnt lgkmcnt(0)
	v_add_f32_e32 v2, v4, v2
	ds_bpermute_b32 v4, v7, v2
	s_waitcnt lgkmcnt(0)
	v_add_f32_e32 v2, v2, v4
	s_and_saveexec_b64 s[10:11], vcc
; %bb.78:
	ds_write_b32 v3, v2 offset:136
; %bb.79:
	s_or_b64 exec, exec, s[10:11]
	s_waitcnt lgkmcnt(0)
	s_barrier
	s_and_saveexec_b64 s[10:11], s[4:5]
; %bb.80:
	ds_read_b32 v2, v5 offset:136
; %bb.81:
	s_or_b64 exec, exec, s[10:11]
	s_waitcnt lgkmcnt(0)
	ds_bpermute_b32 v3, v7, v2
	v_lshlrev_b32_e32 v1, 2, v1
	v_and_b32_e32 v1, 0x100, v1
	s_waitcnt lgkmcnt(0)
	v_add_f32_e32 v2, v2, v3
	ds_bpermute_b32 v1, v1, v2
	s_and_saveexec_b64 s[4:5], s[6:7]
	s_cbranch_execz .LBB275_84
; %bb.82:
	s_waitcnt lgkmcnt(0)
	v_add_f32_e32 v2, 0x358637bd, v1
	v_div_scale_f32 v1, s[6:7], v2, v2, 1.0
	v_div_scale_f32 v3, vcc, 1.0, v2, 1.0
	s_mov_b64 s[6:7], 0
	v_rcp_f32_e32 v4, v1
	v_fma_f32 v5, -v1, v4, 1.0
	v_fmac_f32_e32 v4, v5, v4
	v_mul_f32_e32 v5, v3, v4
	v_fma_f32 v6, -v1, v5, v3
	v_fmac_f32_e32 v5, v6, v4
	v_fma_f32 v1, -v1, v5, v3
	v_div_fmas_f32 v3, v1, v4, v5
	v_mov_b32_e32 v1, 0x90
	v_lshl_add_u32 v1, v0, 2, v1
	v_div_fixup_f32 v2, v3, v2, 1.0
	v_mov_b32_e32 v3, v0
.LBB275_83:                             ; =>This Inner Loop Header: Depth=1
	ds_read_b32 v4, v1
	v_add_u32_e32 v3, 0x80, v3
	v_cmp_le_i32_e32 vcc, s39, v3
	s_or_b64 s[6:7], vcc, s[6:7]
	s_waitcnt lgkmcnt(0)
	v_mul_f32_e32 v4, v2, v4
	ds_write_b32 v1, v4
	v_add_u32_e32 v1, 0x200, v1
	s_andn2_b64 exec, exec, s[6:7]
	s_cbranch_execnz .LBB275_83
.LBB275_84:
	s_or_b64 exec, exec, s[4:5]
	v_mov_b32_e32 v20, 0
	s_waitcnt lgkmcnt(0)
	s_barrier
	s_and_saveexec_b64 s[4:5], s[2:3]
	s_cbranch_execz .LBB275_140
; %bb.85:
	s_sub_i32 s21, s16, s21
	s_ashr_i32 s2, s49, 31
	s_add_u32 s10, s36, s49
	s_addc_u32 s11, s37, s2
	s_abs_i32 s22, s22
	v_cvt_f32_u32_e32 v1, s22
	s_sub_i32 s2, 0, s22
	v_lshlrev_b32_e32 v2, 3, v19
	s_add_i32 s37, s48, -1
	v_rcp_iflag_f32_e32 v1, v1
	v_mov_b32_e32 v5, s11
	v_add_co_u32_e32 v11, vcc, s10, v2
	v_mul_f32_e32 v1, 0x4f7ffffe, v1
	v_cvt_u32_f32_e32 v1, v1
	v_and_b32_e32 v3, 60, v12
	v_addc_co_u32_e32 v12, vcc, 0, v5, vcc
	v_mul_lo_u32 v4, s2, v1
	s_lshl_b64 s[2:3], s[34:35], 2
	s_add_u32 s2, s30, s2
	s_addc_u32 s3, s31, s3
	v_mul_hi_u32 v4, v1, v4
	v_add_co_u32_e32 v13, vcc, s2, v3
	s_mov_b32 s6, -1
	v_add_u32_e32 v21, v1, v4
	v_mov_b32_e32 v1, s3
	v_addc_co_u32_e32 v14, vcc, 0, v1, vcc
	v_mov_b32_e32 v1, 0x90
	s_mov_b32 s36, s17
	v_mov_b32_e32 v10, 0
	s_mov_b32 s7, 0xffffff
	v_lshl_add_u32 v22, v17, 5, v1
	s_mov_b64 s[10:11], 0
	s_movk_i32 s30, 0x7f
	s_movk_i32 s31, 0x80
	s_movk_i32 s34, 0x7fff
	v_bfrev_b32_e32 v23, 60
	v_mov_b32_e32 v24, 0x7f800001
	v_bfrev_b32_e32 v25, 1
	v_mov_b32_e32 v20, 0
	s_branch .LBB275_88
.LBB275_86:                             ;   in Loop: Header=BB275_88 Depth=1
	s_or_b64 exec, exec, s[2:3]
	v_bfe_u32 v31, v5, 16, 1
	v_add3_u32 v31, v31, v5, s34
	v_or_b32_e32 v32, 0x400000, v5
	v_cmp_u_f32_e32 vcc, v5, v5
	v_cndmask_b32_e32 v5, v31, v32, vcc
	v_bfe_u32 v31, v6, 16, 1
	v_add3_u32 v31, v31, v6, s34
	v_or_b32_e32 v32, 0x400000, v6
	v_cmp_u_f32_e32 vcc, v6, v6
	v_cndmask_b32_e32 v6, v31, v32, vcc
	;; [unrolled: 5-line block ×6, first 2 shown]
	v_bfe_u32 v31, v3, 16, 1
	v_add3_u32 v31, v31, v3, s34
	v_or_b32_e32 v32, 0x400000, v3
	v_cmp_u_f32_e32 vcc, v3, v3
	v_and_b32_e32 v5, 0xffff0000, v5
	v_lshlrev_b32_e32 v30, 16, v30
	v_cndmask_b32_e32 v3, v31, v32, vcc
	v_bfe_u32 v31, v4, 16, 1
	v_mul_f32_e32 v5, v5, v30
	v_and_b32_e32 v6, 0xffff0000, v6
	v_lshlrev_b32_e32 v29, 16, v29
	v_add3_u32 v31, v31, v4, s34
	v_or_b32_e32 v32, 0x400000, v4
	v_cmp_u_f32_e32 vcc, v4, v4
	v_bfe_u32 v30, v5, 16, 1
	v_mul_f32_e32 v6, v6, v29
	v_and_b32_e32 v7, 0xffff0000, v7
	v_lshlrev_b32_e32 v28, 16, v28
	v_cndmask_b32_e32 v4, v31, v32, vcc
	v_add3_u32 v30, v30, v5, s34
	v_or_b32_e32 v31, 0x400000, v5
	v_cmp_u_f32_e32 vcc, v5, v5
	v_bfe_u32 v29, v6, 16, 1
	v_mul_f32_e32 v7, v7, v28
	v_and_b32_e32 v8, 0xffff0000, v8
	v_lshlrev_b32_e32 v16, 16, v16
	v_cndmask_b32_e32 v5, v30, v31, vcc
	v_add3_u32 v29, v29, v6, s34
	v_or_b32_e32 v30, 0x400000, v6
	v_cmp_u_f32_e32 vcc, v6, v6
	v_bfe_u32 v28, v7, 16, 1
	v_mul_f32_e32 v8, v8, v16
	v_and_b32_e32 v1, 0xffff0000, v1
	v_lshlrev_b32_e32 v15, 16, v15
	v_cndmask_b32_e32 v6, v29, v30, vcc
	v_add3_u32 v28, v28, v7, s34
	v_or_b32_e32 v29, 0x400000, v7
	v_cmp_u_f32_e32 vcc, v7, v7
	v_bfe_u32 v16, v8, 16, 1
	v_mul_f32_e32 v1, v1, v15
	v_and_b32_e32 v2, 0xffff0000, v2
	v_lshlrev_b32_e32 v9, 16, v9
	v_cndmask_b32_e32 v7, v28, v29, vcc
	v_add3_u32 v16, v16, v8, s34
	v_or_b32_e32 v28, 0x400000, v8
	v_cmp_u_f32_e32 vcc, v8, v8
	v_bfe_u32 v15, v1, 16, 1
	v_mul_f32_e32 v2, v2, v9
	v_cndmask_b32_e32 v8, v16, v28, vcc
	v_add3_u32 v15, v15, v1, s34
	v_or_b32_e32 v16, 0x400000, v1
	v_cmp_u_f32_e32 vcc, v1, v1
	v_bfe_u32 v9, v2, 16, 1
	v_cndmask_b32_e32 v1, v15, v16, vcc
	v_add3_u32 v9, v9, v2, s34
	v_or_b32_e32 v15, 0x400000, v2
	v_cmp_u_f32_e32 vcc, v2, v2
	v_cndmask_b32_e32 v2, v9, v15, vcc
	v_and_b32_e32 v3, 0xffff0000, v3
	v_lshlrev_b32_e32 v9, 16, v27
	v_mul_f32_e32 v3, v3, v9
	v_bfe_u32 v9, v3, 16, 1
	v_add3_u32 v9, v9, v3, s34
	v_or_b32_e32 v15, 0x400000, v3
	v_cmp_u_f32_e32 vcc, v3, v3
	v_cndmask_b32_e32 v3, v9, v15, vcc
	v_and_b32_e32 v4, 0xffff0000, v4
	v_lshlrev_b32_e32 v9, 16, v26
	v_mul_f32_e32 v4, v4, v9
	v_bfe_u32 v9, v4, 16, 1
	v_and_b32_e32 v6, 0xffff0000, v6
	v_and_b32_e32 v5, 0xffff0000, v5
	v_add3_u32 v9, v9, v4, s34
	v_or_b32_e32 v15, 0x400000, v4
	v_cmp_u_f32_e32 vcc, v4, v4
	v_add_f32_e32 v5, v5, v6
	v_and_b32_e32 v6, 0xffff0000, v8
	v_and_b32_e32 v7, 0xffff0000, v7
	v_cndmask_b32_e32 v4, v9, v15, vcc
	v_add_f32_e32 v6, v7, v6
	v_and_b32_e32 v2, 0xffff0000, v2
	v_and_b32_e32 v1, 0xffff0000, v1
	v_add_f32_e32 v5, v6, v5
	v_add_f32_e32 v1, v1, v2
	v_and_b32_e32 v2, 0xffff0000, v4
	v_and_b32_e32 v3, 0xffff0000, v3
	v_add_f32_e32 v1, v1, v5
	v_add_f32_e32 v2, v3, v2
	;; [unrolled: 1-line block ×4, first 2 shown]
.LBB275_87:                             ;   in Loop: Header=BB275_88 Depth=1
	s_or_b64 exec, exec, s[12:13]
	v_add_co_u32_e32 v13, vcc, 8, v13
	v_add_u32_e32 v17, 2, v17
	v_addc_co_u32_e32 v14, vcc, 0, v14, vcc
	v_cmp_le_i32_e32 vcc, s48, v17
	v_add_u32_e32 v18, 16, v18
	s_or_b64 s[10:11], vcc, s[10:11]
	v_add_u32_e32 v22, 64, v22
	s_andn2_b64 exec, exec, s[10:11]
	s_cbranch_execz .LBB275_139
.LBB275_88:                             ; =>This Inner Loop Header: Depth=1
	v_mul_hi_u32 v1, v18, s33
	v_mul_lo_u32 v2, v1, s27
	v_add_u32_e32 v3, 1, v1
	v_sub_u32_e32 v2, v18, v2
	v_cmp_le_u32_e32 vcc, s27, v2
	v_cndmask_b32_e32 v1, v1, v3, vcc
	v_subrev_u32_e32 v3, s27, v2
	v_cndmask_b32_e32 v2, v2, v3, vcc
	v_add_u32_e32 v3, 1, v1
	v_cmp_le_u32_e32 vcc, s27, v2
	v_cndmask_b32_e32 v1, v1, v3, vcc
	v_xor_b32_e32 v1, s23, v1
	v_subrev_u32_e32 v1, s23, v1
	v_add_u32_e32 v2, s38, v1
	v_sub_u32_e32 v3, 0, v2
	v_max_i32_e32 v3, v2, v3
	v_mul_hi_u32 v4, v3, v21
	v_ashrrev_i32_e32 v2, 31, v2
	v_cmp_lt_i32_e64 s[2:3], s21, v1
	v_mul_lo_u32 v4, v4, s22
	v_sub_u32_e32 v3, v3, v4
	v_subrev_u32_e32 v4, s22, v3
	v_cmp_le_u32_e32 vcc, s22, v3
	v_cndmask_b32_e32 v3, v3, v4, vcc
	v_subrev_u32_e32 v4, s22, v3
	v_cmp_le_u32_e32 vcc, s22, v3
	v_cndmask_b32_e32 v3, v3, v4, vcc
	v_xor_b32_e32 v3, v3, v2
	v_sub_u32_e32 v2, v3, v2
	v_cmp_eq_u32_e32 vcc, 0, v2
	s_or_b64 s[2:3], vcc, s[2:3]
	s_and_saveexec_b64 s[12:13], s[2:3]
	s_cbranch_execz .LBB275_87
; %bb.89:                               ;   in Loop: Header=BB275_88 Depth=1
	global_load_dword v1, v[13:14], off
	s_waitcnt vmcnt(0)
	v_mad_i64_i32 v[1:2], s[2:3], v1, s36, v[11:12]
	s_mov_b64 s[2:3], 0
	global_load_dwordx2 v[15:16], v[1:2], off
	ds_read2_b64 v[5:8], v22 offset1:1
	ds_read2_b64 v[1:4], v22 offset0:2 offset1:3
	s_load_dword s35, s[14:15], 0x0
	s_waitcnt vmcnt(0)
	v_cmp_gt_i16_sdwa s[16:17], v15, s30 src0_sel:BYTE_0 src1_sel:DWORD
	s_and_saveexec_b64 s[18:19], s[16:17]
	s_xor_b64 s[16:17], exec, s[18:19]
	s_cbranch_execnz .LBB275_115
; %bb.90:                               ;   in Loop: Header=BB275_88 Depth=1
	s_or_saveexec_b64 s[16:17], s[16:17]
	v_bfrev_b32_e32 v26, 1
	s_xor_b64 exec, exec, s[16:17]
	s_cbranch_execnz .LBB275_118
.LBB275_91:                             ;   in Loop: Header=BB275_88 Depth=1
	s_or_b64 exec, exec, s[16:17]
	s_and_saveexec_b64 s[16:17], s[2:3]
	s_cbranch_execz .LBB275_93
.LBB275_92:                             ;   in Loop: Header=BB275_88 Depth=1
	v_and_b32_e32 v26, 7, v15
	v_ffbh_u32_e32 v26, v26
	v_and_b32_e32 v28, 0x7f, v15
	v_min_u32_e32 v26, 32, v26
	v_sub_u32_e32 v27, 29, v26
	v_cmp_gt_u32_e32 vcc, 8, v28
	v_subrev_u32_e32 v26, 28, v26
	v_bfe_u32 v29, v15, 3, 4
	v_cndmask_b32_e32 v26, 0, v26, vcc
	v_cndmask_b32_e32 v29, v29, v27, vcc
	v_lshlrev_b64 v[26:27], v26, v[15:16]
	v_lshlrev_b32_e32 v9, 24, v15
	v_lshlrev_b32_e32 v26, 20, v26
	v_and_b32_e32 v9, 0x80000000, v9
	v_lshl_add_u32 v27, v29, 23, v23
	v_and_b32_e32 v26, 0x700000, v26
	v_or3_b32 v9, v9, v27, v26
	v_cmp_ne_u32_e32 vcc, s30, v28
	v_cndmask_b32_e32 v26, v24, v9, vcc
.LBB275_93:                             ;   in Loop: Header=BB275_88 Depth=1
	s_or_b64 exec, exec, s[16:17]
	v_lshrrev_b16_e32 v9, 8, v15
	v_cmp_lt_i16_e32 vcc, s30, v9
	s_mov_b64 s[2:3], 0
	s_and_saveexec_b64 s[16:17], vcc
	s_xor_b64 s[16:17], exec, s[16:17]
	s_cbranch_execnz .LBB275_119
; %bb.94:                               ;   in Loop: Header=BB275_88 Depth=1
	s_or_saveexec_b64 s[16:17], s[16:17]
	v_bfrev_b32_e32 v27, 1
	s_xor_b64 exec, exec, s[16:17]
	s_cbranch_execnz .LBB275_122
.LBB275_95:                             ;   in Loop: Header=BB275_88 Depth=1
	s_or_b64 exec, exec, s[16:17]
	s_and_saveexec_b64 s[16:17], s[2:3]
	s_cbranch_execz .LBB275_97
.LBB275_96:                             ;   in Loop: Header=BB275_88 Depth=1
	v_and_b32_e32 v29, 7, v9
	v_ffbh_u32_e32 v27, v29
	v_min_u32_e32 v32, 32, v27
	v_subrev_u32_e32 v27, 28, v32
	v_lshlrev_b64 v[27:28], v27, v[9:10]
	v_and_b32_e32 v30, 0x7f, v9
	v_bfe_u32 v31, v9, 3, 4
	v_sub_u32_e32 v28, 29, v32
	v_and_b32_e32 v27, 7, v27
	v_cmp_gt_u32_e32 vcc, 8, v30
	v_cndmask_b32_e32 v28, v31, v28, vcc
	v_cndmask_b32_e32 v27, v29, v27, vcc
	v_lshlrev_b32_e32 v9, 24, v9
	v_lshlrev_b32_e32 v27, 20, v27
	v_and_b32_e32 v9, 0x80000000, v9
	v_lshl_add_u32 v28, v28, 23, v23
	v_or3_b32 v9, v9, v28, v27
	v_cmp_ne_u32_e32 vcc, s30, v30
	v_cndmask_b32_e32 v27, v24, v9, vcc
.LBB275_97:                             ;   in Loop: Header=BB275_88 Depth=1
	s_or_b64 exec, exec, s[16:17]
	v_lshrrev_b32_e32 v9, 16, v15
	v_cmp_gt_i16_sdwa s[16:17], v9, s30 src0_sel:BYTE_0 src1_sel:DWORD
	s_mov_b64 s[2:3], 0
	s_and_saveexec_b64 s[18:19], s[16:17]
	s_xor_b64 s[16:17], exec, s[18:19]
	s_cbranch_execnz .LBB275_123
; %bb.98:                               ;   in Loop: Header=BB275_88 Depth=1
	s_or_saveexec_b64 s[16:17], s[16:17]
	v_bfrev_b32_e32 v28, 1
	s_xor_b64 exec, exec, s[16:17]
	s_cbranch_execnz .LBB275_126
.LBB275_99:                             ;   in Loop: Header=BB275_88 Depth=1
	s_or_b64 exec, exec, s[16:17]
	s_and_saveexec_b64 s[16:17], s[2:3]
	s_cbranch_execz .LBB275_101
.LBB275_100:                            ;   in Loop: Header=BB275_88 Depth=1
	v_and_b32_e32 v30, 7, v9
	v_ffbh_u32_e32 v28, v30
	v_min_u32_e32 v33, 32, v28
	v_subrev_u32_e32 v28, 28, v33
	v_lshlrev_b64 v[28:29], v28, v[9:10]
	v_and_b32_e32 v31, 0x7f, v9
	v_bfe_u32 v32, v9, 3, 4
	v_sub_u32_e32 v29, 29, v33
	v_and_b32_e32 v28, 7, v28
	v_cmp_gt_u32_e32 vcc, 8, v31
	v_cndmask_b32_e32 v29, v32, v29, vcc
	v_cndmask_b32_e32 v28, v30, v28, vcc
	v_lshlrev_b32_e32 v9, 24, v9
	v_lshlrev_b32_e32 v28, 20, v28
	v_and_b32_e32 v9, 0x80000000, v9
	v_lshl_add_u32 v29, v29, 23, v23
	v_or3_b32 v9, v9, v29, v28
	v_cmp_ne_u32_e32 vcc, s30, v31
	v_cndmask_b32_e32 v28, v24, v9, vcc
.LBB275_101:                            ;   in Loop: Header=BB275_88 Depth=1
	s_or_b64 exec, exec, s[16:17]
	v_cmp_gt_i16_sdwa s[16:17], v16, s30 src0_sel:BYTE_0 src1_sel:DWORD
	s_mov_b64 s[2:3], 0
	s_and_saveexec_b64 s[18:19], s[16:17]
	s_xor_b64 s[16:17], exec, s[18:19]
	s_cbranch_execnz .LBB275_127
; %bb.102:                              ;   in Loop: Header=BB275_88 Depth=1
	s_or_saveexec_b64 s[16:17], s[16:17]
	v_bfrev_b32_e32 v29, 1
	s_xor_b64 exec, exec, s[16:17]
	s_cbranch_execnz .LBB275_130
.LBB275_103:                            ;   in Loop: Header=BB275_88 Depth=1
	s_or_b64 exec, exec, s[16:17]
	v_mov_b32_e32 v9, v16
	s_and_saveexec_b64 s[16:17], s[2:3]
	s_cbranch_execz .LBB275_105
.LBB275_104:                            ;   in Loop: Header=BB275_88 Depth=1
	v_and_b32_e32 v29, 7, v16
	v_ffbh_u32_e32 v29, v29
	v_and_b32_e32 v31, 0x7f, v16
	v_min_u32_e32 v29, 32, v29
	v_bfe_u32 v30, v16, 3, 4
	v_subrev_u32_e32 v32, 28, v29
	v_sub_u32_e32 v29, 29, v29
	v_cmp_gt_u32_e32 vcc, 8, v31
	v_cndmask_b32_e32 v33, v30, v29, vcc
	v_cndmask_b32_e32 v29, 0, v32, vcc
	v_lshlrev_b64 v[29:30], v29, v[9:10]
	v_lshlrev_b32_e32 v30, 24, v9
	v_lshlrev_b32_e32 v29, 20, v29
	v_and_b32_e32 v29, 0x700000, v29
	v_and_b32_e32 v30, 0x80000000, v30
	v_lshl_add_u32 v32, v33, 23, v23
	v_or3_b32 v29, v30, v32, v29
	v_cmp_ne_u32_e32 vcc, s30, v31
	v_cndmask_b32_e32 v29, v24, v29, vcc
.LBB275_105:                            ;   in Loop: Header=BB275_88 Depth=1
	s_or_b64 exec, exec, s[16:17]
	v_lshrrev_b16_e32 v9, 8, v9
	v_cmp_lt_i16_e32 vcc, s30, v9
	s_mov_b64 s[2:3], 0
	s_and_saveexec_b64 s[16:17], vcc
	s_xor_b64 s[16:17], exec, s[16:17]
	s_cbranch_execnz .LBB275_131
; %bb.106:                              ;   in Loop: Header=BB275_88 Depth=1
	s_or_saveexec_b64 s[16:17], s[16:17]
	v_bfrev_b32_e32 v30, 1
	s_xor_b64 exec, exec, s[16:17]
	s_cbranch_execnz .LBB275_134
.LBB275_107:                            ;   in Loop: Header=BB275_88 Depth=1
	s_or_b64 exec, exec, s[16:17]
	s_and_saveexec_b64 s[16:17], s[2:3]
	s_cbranch_execz .LBB275_109
.LBB275_108:                            ;   in Loop: Header=BB275_88 Depth=1
	v_and_b32_e32 v32, 7, v9
	v_ffbh_u32_e32 v30, v32
	v_min_u32_e32 v35, 32, v30
	v_subrev_u32_e32 v30, 28, v35
	v_lshlrev_b64 v[30:31], v30, v[9:10]
	v_and_b32_e32 v33, 0x7f, v9
	v_bfe_u32 v34, v9, 3, 4
	v_sub_u32_e32 v31, 29, v35
	v_and_b32_e32 v30, 7, v30
	v_cmp_gt_u32_e32 vcc, 8, v33
	v_cndmask_b32_e32 v31, v34, v31, vcc
	v_cndmask_b32_e32 v30, v32, v30, vcc
	v_lshlrev_b32_e32 v9, 24, v9
	v_lshlrev_b32_e32 v30, 20, v30
	v_and_b32_e32 v9, 0x80000000, v9
	v_lshl_add_u32 v31, v31, 23, v23
	v_or3_b32 v9, v9, v31, v30
	v_cmp_ne_u32_e32 vcc, s30, v33
	v_cndmask_b32_e32 v30, v24, v9, vcc
.LBB275_109:                            ;   in Loop: Header=BB275_88 Depth=1
	s_or_b64 exec, exec, s[16:17]
	v_lshrrev_b32_e32 v9, 16, v16
	v_cmp_gt_i16_sdwa s[16:17], v9, s30 src0_sel:BYTE_0 src1_sel:DWORD
	s_mov_b64 s[2:3], 0
	s_and_saveexec_b64 s[18:19], s[16:17]
	s_xor_b64 s[16:17], exec, s[18:19]
	s_cbranch_execnz .LBB275_135
; %bb.110:                              ;   in Loop: Header=BB275_88 Depth=1
	s_or_saveexec_b64 s[16:17], s[16:17]
	v_bfrev_b32_e32 v31, 1
	s_xor_b64 exec, exec, s[16:17]
	s_cbranch_execnz .LBB275_138
.LBB275_111:                            ;   in Loop: Header=BB275_88 Depth=1
	s_or_b64 exec, exec, s[16:17]
	s_and_saveexec_b64 s[16:17], s[2:3]
	s_cbranch_execz .LBB275_113
.LBB275_112:                            ;   in Loop: Header=BB275_88 Depth=1
	v_and_b32_e32 v33, 7, v9
	v_ffbh_u32_e32 v31, v33
	v_min_u32_e32 v36, 32, v31
	v_subrev_u32_e32 v31, 28, v36
	v_lshlrev_b64 v[31:32], v31, v[9:10]
	v_and_b32_e32 v34, 0x7f, v9
	v_bfe_u32 v35, v9, 3, 4
	v_sub_u32_e32 v32, 29, v36
	v_and_b32_e32 v31, 7, v31
	v_cmp_gt_u32_e32 vcc, 8, v34
	v_cndmask_b32_e32 v32, v35, v32, vcc
	v_cndmask_b32_e32 v31, v33, v31, vcc
	v_lshlrev_b32_e32 v9, 24, v9
	v_lshlrev_b32_e32 v31, 20, v31
	v_and_b32_e32 v9, 0x80000000, v9
	v_lshl_add_u32 v32, v32, 23, v23
	v_or3_b32 v9, v9, v32, v31
	v_cmp_ne_u32_e32 vcc, s30, v34
	v_cndmask_b32_e32 v31, v24, v9, vcc
.LBB275_113:                            ;   in Loop: Header=BB275_88 Depth=1
	s_or_b64 exec, exec, s[16:17]
	v_bfe_u32 v34, v15, 24, 3
	v_ffbh_u32_e32 v32, v34
	v_min_u32_e32 v37, 32, v32
	v_lshrrev_b32_e32 v9, 24, v15
	v_subrev_u32_e32 v32, 28, v37
	v_lshlrev_b64 v[32:33], v32, v[9:10]
	v_bfe_u32 v35, v15, 24, 7
	v_bfe_u32 v36, v9, 3, 4
	v_sub_u32_e32 v33, 29, v37
	v_and_b32_e32 v32, 7, v32
	v_cmp_gt_u32_e32 vcc, 8, v35
	v_cndmask_b32_e32 v33, v36, v33, vcc
	v_cndmask_b32_e32 v32, v34, v32, vcc
	v_lshlrev_b32_e32 v32, 20, v32
	v_and_b32_e32 v34, 0x80000000, v15
	v_lshl_add_u32 v33, v33, 23, v23
	v_or3_b32 v32, v34, v33, v32
	v_cmp_ne_u32_e32 vcc, s30, v35
	v_cndmask_b32_e32 v32, v24, v32, vcc
	v_cmp_ne_u32_e32 vcc, s31, v9
	v_bfe_u32 v35, v16, 24, 3
	v_cndmask_b32_e32 v9, v25, v32, vcc
	v_ffbh_u32_e32 v32, v35
	v_cmp_lt_u32_e32 vcc, s7, v15
	v_min_u32_e32 v38, 32, v32
	v_cndmask_b32_e32 v34, 0, v9, vcc
	v_lshrrev_b32_e32 v9, 24, v16
	v_subrev_u32_e32 v32, 28, v38
	v_lshlrev_b64 v[32:33], v32, v[9:10]
	v_bfe_u32 v36, v16, 24, 7
	v_bfe_u32 v37, v9, 3, 4
	v_sub_u32_e32 v33, 29, v38
	v_and_b32_e32 v32, 7, v32
	v_cmp_gt_u32_e32 vcc, 8, v36
	v_cndmask_b32_e32 v33, v37, v33, vcc
	v_cndmask_b32_e32 v32, v35, v32, vcc
	v_lshlrev_b32_e32 v32, 20, v32
	v_and_b32_e32 v35, 0x80000000, v16
	v_lshl_add_u32 v33, v33, 23, v23
	v_or3_b32 v32, v35, v33, v32
	v_cmp_ne_u32_e64 s[2:3], s30, v36
	v_cndmask_b32_e64 v32, v24, v32, s[2:3]
	v_cmp_ne_u32_e64 s[2:3], s31, v9
	v_cndmask_b32_e64 v9, v25, v32, s[2:3]
	v_cmp_lt_u64_e64 s[2:3], s[6:7], v[15:16]
	s_waitcnt lgkmcnt(0)
	v_mul_f32_e32 v28, s35, v28
	v_cndmask_b32_e64 v32, 0, v9, s[2:3]
	v_mul_f32_e32 v9, s35, v30
	v_bfe_u32 v15, v9, 16, 1
	v_add3_u32 v15, v15, v9, s34
	v_or_b32_e32 v16, 0x400000, v9
	v_cmp_u_f32_e64 s[2:3], v9, v9
	v_cndmask_b32_e64 v9, v15, v16, s[2:3]
	v_mul_f32_e32 v15, s35, v29
	v_bfe_u32 v16, v15, 16, 1
	v_add3_u32 v16, v16, v15, s34
	v_or_b32_e32 v29, 0x400000, v15
	v_cmp_u_f32_e64 s[2:3], v15, v15
	;; [unrolled: 6-line block ×3, first 2 shown]
	v_cndmask_b32_e64 v16, v29, v30, s[2:3]
	v_bfe_u32 v29, v28, 16, 1
	v_add3_u32 v29, v29, v28, s34
	v_or_b32_e32 v30, 0x400000, v28
	v_cmp_u_f32_e64 s[2:3], v28, v28
	v_mul_f32_e32 v27, s35, v27
	v_cndmask_b32_e64 v28, v29, v30, s[2:3]
	v_bfe_u32 v29, v27, 16, 1
	v_add3_u32 v29, v29, v27, s34
	v_or_b32_e32 v30, 0x400000, v27
	v_cmp_u_f32_e64 s[2:3], v27, v27
	v_cndmask_b32_e64 v27, v29, v30, s[2:3]
	v_mul_f32_e32 v26, s35, v26
	v_lshrrev_b32_e32 v29, 16, v27
	v_bfe_u32 v27, v26, 16, 1
	v_add3_u32 v27, v27, v26, s34
	v_or_b32_e32 v30, 0x400000, v26
	v_cmp_u_f32_e64 s[2:3], v26, v26
	v_cndmask_b32_e64 v26, v27, v30, s[2:3]
	v_lshrrev_b32_e32 v30, 16, v26
	v_mul_f32_e32 v26, s35, v31
	v_bfe_u32 v27, v26, 16, 1
	v_add3_u32 v27, v27, v26, s34
	v_or_b32_e32 v31, 0x400000, v26
	v_cmp_u_f32_e64 s[2:3], v26, v26
	v_cndmask_b32_e64 v26, v27, v31, s[2:3]
	v_lshrrev_b32_e32 v27, 16, v26
	v_mul_f32_e32 v26, s35, v32
	v_bfe_u32 v31, v26, 16, 1
	v_add3_u32 v31, v31, v26, s34
	v_or_b32_e32 v32, 0x400000, v26
	v_cmp_u_f32_e64 s[2:3], v26, v26
	v_cndmask_b32_e64 v26, v31, v32, s[2:3]
	v_cmp_eq_u32_e32 vcc, s37, v17
	v_lshrrev_b32_e32 v9, 16, v9
	v_lshrrev_b32_e32 v15, 16, v15
	;; [unrolled: 1-line block ×5, first 2 shown]
	s_and_saveexec_b64 s[2:3], vcc
	s_cbranch_execz .LBB275_86
; %bb.114:                              ;   in Loop: Header=BB275_88 Depth=1
	v_cmp_gt_i32_e32 vcc, s25, v18
	v_add_u32_e32 v31, 1, v18
	v_cndmask_b32_e32 v30, 0, v30, vcc
	v_cmp_gt_i32_e32 vcc, s25, v31
	v_add_u32_e32 v31, 2, v18
	v_cndmask_b32_e32 v29, 0, v29, vcc
	;; [unrolled: 3-line block ×7, first 2 shown]
	v_cmp_gt_i32_e32 vcc, s25, v31
	v_cndmask_b32_e32 v26, 0, v26, vcc
	s_branch .LBB275_86
.LBB275_115:                            ;   in Loop: Header=BB275_88 Depth=1
	v_cmp_eq_u16_sdwa s[40:41], v15, s31 src0_sel:BYTE_0 src1_sel:DWORD
	s_mov_b64 s[2:3], -1
	s_and_saveexec_b64 s[18:19], s[40:41]
; %bb.116:                              ;   in Loop: Header=BB275_88 Depth=1
	s_xor_b64 s[2:3], exec, -1
; %bb.117:                              ;   in Loop: Header=BB275_88 Depth=1
	s_or_b64 exec, exec, s[18:19]
	s_and_b64 s[2:3], s[2:3], exec
	s_or_saveexec_b64 s[16:17], s[16:17]
	v_bfrev_b32_e32 v26, 1
	s_xor_b64 exec, exec, s[16:17]
	s_cbranch_execz .LBB275_91
.LBB275_118:                            ;   in Loop: Header=BB275_88 Depth=1
	v_cmp_ne_u16_sdwa s[18:19], v15, v10 src0_sel:BYTE_0 src1_sel:DWORD
	s_andn2_b64 s[2:3], s[2:3], exec
	s_and_b64 s[18:19], s[18:19], exec
	v_mov_b32_e32 v26, 0
	s_or_b64 s[2:3], s[2:3], s[18:19]
	s_or_b64 exec, exec, s[16:17]
	s_and_saveexec_b64 s[16:17], s[2:3]
	s_cbranch_execnz .LBB275_92
	s_branch .LBB275_93
.LBB275_119:                            ;   in Loop: Header=BB275_88 Depth=1
	v_cmp_eq_u16_e32 vcc, s31, v9
	s_mov_b64 s[2:3], -1
	s_and_saveexec_b64 s[18:19], vcc
; %bb.120:                              ;   in Loop: Header=BB275_88 Depth=1
	s_xor_b64 s[2:3], exec, -1
; %bb.121:                              ;   in Loop: Header=BB275_88 Depth=1
	s_or_b64 exec, exec, s[18:19]
	s_and_b64 s[2:3], s[2:3], exec
	s_or_saveexec_b64 s[16:17], s[16:17]
	v_bfrev_b32_e32 v27, 1
	s_xor_b64 exec, exec, s[16:17]
	s_cbranch_execz .LBB275_95
.LBB275_122:                            ;   in Loop: Header=BB275_88 Depth=1
	v_cmp_ne_u16_e32 vcc, 0, v9
	s_andn2_b64 s[2:3], s[2:3], exec
	s_and_b64 s[18:19], vcc, exec
	v_mov_b32_e32 v27, 0
	s_or_b64 s[2:3], s[2:3], s[18:19]
	s_or_b64 exec, exec, s[16:17]
	s_and_saveexec_b64 s[16:17], s[2:3]
	s_cbranch_execnz .LBB275_96
	s_branch .LBB275_97
.LBB275_123:                            ;   in Loop: Header=BB275_88 Depth=1
	v_cmp_eq_u16_sdwa s[40:41], v9, s31 src0_sel:BYTE_0 src1_sel:DWORD
	s_mov_b64 s[2:3], -1
	s_and_saveexec_b64 s[18:19], s[40:41]
; %bb.124:                              ;   in Loop: Header=BB275_88 Depth=1
	s_xor_b64 s[2:3], exec, -1
; %bb.125:                              ;   in Loop: Header=BB275_88 Depth=1
	s_or_b64 exec, exec, s[18:19]
	s_and_b64 s[2:3], s[2:3], exec
	s_or_saveexec_b64 s[16:17], s[16:17]
	v_bfrev_b32_e32 v28, 1
	s_xor_b64 exec, exec, s[16:17]
	s_cbranch_execz .LBB275_99
.LBB275_126:                            ;   in Loop: Header=BB275_88 Depth=1
	v_cmp_ne_u16_sdwa s[18:19], v9, v10 src0_sel:BYTE_0 src1_sel:DWORD
	s_andn2_b64 s[2:3], s[2:3], exec
	s_and_b64 s[18:19], s[18:19], exec
	v_mov_b32_e32 v28, 0
	s_or_b64 s[2:3], s[2:3], s[18:19]
	s_or_b64 exec, exec, s[16:17]
	s_and_saveexec_b64 s[16:17], s[2:3]
	s_cbranch_execnz .LBB275_100
	s_branch .LBB275_101
.LBB275_127:                            ;   in Loop: Header=BB275_88 Depth=1
	v_cmp_eq_u16_sdwa s[40:41], v16, s31 src0_sel:BYTE_0 src1_sel:DWORD
	s_mov_b64 s[2:3], -1
	s_and_saveexec_b64 s[18:19], s[40:41]
; %bb.128:                              ;   in Loop: Header=BB275_88 Depth=1
	s_xor_b64 s[2:3], exec, -1
; %bb.129:                              ;   in Loop: Header=BB275_88 Depth=1
	s_or_b64 exec, exec, s[18:19]
	s_and_b64 s[2:3], s[2:3], exec
	s_or_saveexec_b64 s[16:17], s[16:17]
	v_bfrev_b32_e32 v29, 1
	s_xor_b64 exec, exec, s[16:17]
	s_cbranch_execz .LBB275_103
.LBB275_130:                            ;   in Loop: Header=BB275_88 Depth=1
	v_cmp_ne_u16_sdwa s[18:19], v16, v10 src0_sel:BYTE_0 src1_sel:DWORD
	s_andn2_b64 s[2:3], s[2:3], exec
	s_and_b64 s[18:19], s[18:19], exec
	v_mov_b32_e32 v29, 0
	s_or_b64 s[2:3], s[2:3], s[18:19]
	s_or_b64 exec, exec, s[16:17]
	v_mov_b32_e32 v9, v16
	s_and_saveexec_b64 s[16:17], s[2:3]
	s_cbranch_execnz .LBB275_104
	s_branch .LBB275_105
.LBB275_131:                            ;   in Loop: Header=BB275_88 Depth=1
	v_cmp_eq_u16_e32 vcc, s31, v9
	s_mov_b64 s[2:3], -1
	s_and_saveexec_b64 s[18:19], vcc
; %bb.132:                              ;   in Loop: Header=BB275_88 Depth=1
	s_xor_b64 s[2:3], exec, -1
; %bb.133:                              ;   in Loop: Header=BB275_88 Depth=1
	s_or_b64 exec, exec, s[18:19]
	s_and_b64 s[2:3], s[2:3], exec
	s_or_saveexec_b64 s[16:17], s[16:17]
	v_bfrev_b32_e32 v30, 1
	s_xor_b64 exec, exec, s[16:17]
	s_cbranch_execz .LBB275_107
.LBB275_134:                            ;   in Loop: Header=BB275_88 Depth=1
	v_cmp_ne_u16_e32 vcc, 0, v9
	s_andn2_b64 s[2:3], s[2:3], exec
	s_and_b64 s[18:19], vcc, exec
	v_mov_b32_e32 v30, 0
	s_or_b64 s[2:3], s[2:3], s[18:19]
	s_or_b64 exec, exec, s[16:17]
	s_and_saveexec_b64 s[16:17], s[2:3]
	s_cbranch_execnz .LBB275_108
	s_branch .LBB275_109
.LBB275_135:                            ;   in Loop: Header=BB275_88 Depth=1
	v_cmp_eq_u16_sdwa s[40:41], v9, s31 src0_sel:BYTE_0 src1_sel:DWORD
	s_mov_b64 s[2:3], -1
	s_and_saveexec_b64 s[18:19], s[40:41]
; %bb.136:                              ;   in Loop: Header=BB275_88 Depth=1
	s_xor_b64 s[2:3], exec, -1
; %bb.137:                              ;   in Loop: Header=BB275_88 Depth=1
	s_or_b64 exec, exec, s[18:19]
	s_and_b64 s[2:3], s[2:3], exec
	s_or_saveexec_b64 s[16:17], s[16:17]
	v_bfrev_b32_e32 v31, 1
	s_xor_b64 exec, exec, s[16:17]
	s_cbranch_execz .LBB275_111
.LBB275_138:                            ;   in Loop: Header=BB275_88 Depth=1
	v_cmp_ne_u16_sdwa s[18:19], v9, v10 src0_sel:BYTE_0 src1_sel:DWORD
	s_andn2_b64 s[2:3], s[2:3], exec
	s_and_b64 s[18:19], s[18:19], exec
	v_mov_b32_e32 v31, 0
	s_or_b64 s[2:3], s[2:3], s[18:19]
	s_or_b64 exec, exec, s[16:17]
	s_and_saveexec_b64 s[16:17], s[2:3]
	s_cbranch_execnz .LBB275_112
	s_branch .LBB275_113
.LBB275_139:
	s_or_b64 exec, exec, s[10:11]
.LBB275_140:
	s_or_b64 exec, exec, s[4:5]
	v_and_b32_e32 v0, 0x3c0, v0
	v_cmp_eq_u32_e32 vcc, 64, v0
	v_mov_b32_e32 v0, 0x90
	v_lshl_add_u32 v0, v19, 2, v0
	s_barrier
	s_and_saveexec_b64 s[2:3], vcc
; %bb.141:
	ds_write_b32 v0, v20
; %bb.142:
	s_or_b64 exec, exec, s[2:3]
	s_waitcnt lgkmcnt(0)
	s_barrier
	s_and_saveexec_b64 s[2:3], s[0:1]
	s_cbranch_execz .LBB275_144
; %bb.143:
	ds_read_b32 v0, v0
	s_waitcnt lgkmcnt(0)
	v_add_f32_e32 v20, v20, v0
.LBB275_144:
	s_or_b64 exec, exec, s[2:3]
	s_barrier
	s_and_saveexec_b64 s[2:3], s[0:1]
	s_cbranch_execz .LBB275_146
; %bb.145:
	s_mul_i32 s0, s24, s20
	s_mul_i32 s0, s0, s9
	s_lshl_b32 s0, s0, 6
	s_ashr_i32 s1, s0, 31
	s_lshl_b64 s[0:1], s[0:1], 1
	s_add_u32 s2, s28, s0
	s_mul_i32 s0, s20, s26
	s_addc_u32 s3, s29, s1
	s_ashr_i32 s1, s0, 31
	s_lshl_b64 s[0:1], s[0:1], 1
	s_add_u32 s2, s2, s0
	s_addc_u32 s3, s3, s1
	s_lshl_b32 s0, s8, 6
	s_ashr_i32 s1, s0, 31
	s_lshl_b64 s[0:1], s[0:1], 1
	s_add_u32 s0, s2, s0
	v_bfe_u32 v1, v20, 16, 1
	s_movk_i32 s2, 0x7fff
	v_add3_u32 v1, v1, v20, s2
	v_or_b32_e32 v2, 0x400000, v20
	v_cmp_u_f32_e32 vcc, v20, v20
	s_addc_u32 s1, s3, s1
	v_lshlrev_b32_e32 v0, 1, v19
	v_cndmask_b32_e32 v1, v1, v2, vcc
	global_store_short_d16_hi v0, v1, s[0:1]
.LBB275_146:
	s_endpgm
	.section	.rodata,"a",@progbits
	.p2align	6, 0x0
	.amdhsa_kernel _ZN4vllm25paged_attention_v1_kernelI14__hip_bfloat16hLi64ELi8ELi128ELNS_18Fp8KVCacheDataTypeE1ELb1EEEvPT_PKS3_PKT0_S9_ifPKiSB_iPKfiiiSD_SD_iiiii
		.amdhsa_group_segment_fixed_size 144
		.amdhsa_private_segment_fixed_size 0
		.amdhsa_kernarg_size 384
		.amdhsa_user_sgpr_count 6
		.amdhsa_user_sgpr_private_segment_buffer 1
		.amdhsa_user_sgpr_dispatch_ptr 0
		.amdhsa_user_sgpr_queue_ptr 0
		.amdhsa_user_sgpr_kernarg_segment_ptr 1
		.amdhsa_user_sgpr_dispatch_id 0
		.amdhsa_user_sgpr_flat_scratch_init 0
		.amdhsa_user_sgpr_private_segment_size 0
		.amdhsa_uses_dynamic_stack 0
		.amdhsa_system_sgpr_private_segment_wavefront_offset 0
		.amdhsa_system_sgpr_workgroup_id_x 1
		.amdhsa_system_sgpr_workgroup_id_y 1
		.amdhsa_system_sgpr_workgroup_id_z 1
		.amdhsa_system_sgpr_workgroup_info 0
		.amdhsa_system_vgpr_workitem_id 0
		.amdhsa_next_free_vgpr 41
		.amdhsa_next_free_sgpr 58
		.amdhsa_reserve_vcc 1
		.amdhsa_reserve_flat_scratch 0
		.amdhsa_float_round_mode_32 0
		.amdhsa_float_round_mode_16_64 0
		.amdhsa_float_denorm_mode_32 3
		.amdhsa_float_denorm_mode_16_64 3
		.amdhsa_dx10_clamp 1
		.amdhsa_ieee_mode 1
		.amdhsa_fp16_overflow 0
		.amdhsa_exception_fp_ieee_invalid_op 0
		.amdhsa_exception_fp_denorm_src 0
		.amdhsa_exception_fp_ieee_div_zero 0
		.amdhsa_exception_fp_ieee_overflow 0
		.amdhsa_exception_fp_ieee_underflow 0
		.amdhsa_exception_fp_ieee_inexact 0
		.amdhsa_exception_int_div_zero 0
	.end_amdhsa_kernel
	.section	.text._ZN4vllm25paged_attention_v1_kernelI14__hip_bfloat16hLi64ELi8ELi128ELNS_18Fp8KVCacheDataTypeE1ELb1EEEvPT_PKS3_PKT0_S9_ifPKiSB_iPKfiiiSD_SD_iiiii,"axG",@progbits,_ZN4vllm25paged_attention_v1_kernelI14__hip_bfloat16hLi64ELi8ELi128ELNS_18Fp8KVCacheDataTypeE1ELb1EEEvPT_PKS3_PKT0_S9_ifPKiSB_iPKfiiiSD_SD_iiiii,comdat
.Lfunc_end275:
	.size	_ZN4vllm25paged_attention_v1_kernelI14__hip_bfloat16hLi64ELi8ELi128ELNS_18Fp8KVCacheDataTypeE1ELb1EEEvPT_PKS3_PKT0_S9_ifPKiSB_iPKfiiiSD_SD_iiiii, .Lfunc_end275-_ZN4vllm25paged_attention_v1_kernelI14__hip_bfloat16hLi64ELi8ELi128ELNS_18Fp8KVCacheDataTypeE1ELb1EEEvPT_PKS3_PKT0_S9_ifPKiSB_iPKfiiiSD_SD_iiiii
                                        ; -- End function
	.set _ZN4vllm25paged_attention_v1_kernelI14__hip_bfloat16hLi64ELi8ELi128ELNS_18Fp8KVCacheDataTypeE1ELb1EEEvPT_PKS3_PKT0_S9_ifPKiSB_iPKfiiiSD_SD_iiiii.num_vgpr, 41
	.set _ZN4vllm25paged_attention_v1_kernelI14__hip_bfloat16hLi64ELi8ELi128ELNS_18Fp8KVCacheDataTypeE1ELb1EEEvPT_PKS3_PKT0_S9_ifPKiSB_iPKfiiiSD_SD_iiiii.num_agpr, 0
	.set _ZN4vllm25paged_attention_v1_kernelI14__hip_bfloat16hLi64ELi8ELi128ELNS_18Fp8KVCacheDataTypeE1ELb1EEEvPT_PKS3_PKT0_S9_ifPKiSB_iPKfiiiSD_SD_iiiii.numbered_sgpr, 58
	.set _ZN4vllm25paged_attention_v1_kernelI14__hip_bfloat16hLi64ELi8ELi128ELNS_18Fp8KVCacheDataTypeE1ELb1EEEvPT_PKS3_PKT0_S9_ifPKiSB_iPKfiiiSD_SD_iiiii.num_named_barrier, 0
	.set _ZN4vllm25paged_attention_v1_kernelI14__hip_bfloat16hLi64ELi8ELi128ELNS_18Fp8KVCacheDataTypeE1ELb1EEEvPT_PKS3_PKT0_S9_ifPKiSB_iPKfiiiSD_SD_iiiii.private_seg_size, 0
	.set _ZN4vllm25paged_attention_v1_kernelI14__hip_bfloat16hLi64ELi8ELi128ELNS_18Fp8KVCacheDataTypeE1ELb1EEEvPT_PKS3_PKT0_S9_ifPKiSB_iPKfiiiSD_SD_iiiii.uses_vcc, 1
	.set _ZN4vllm25paged_attention_v1_kernelI14__hip_bfloat16hLi64ELi8ELi128ELNS_18Fp8KVCacheDataTypeE1ELb1EEEvPT_PKS3_PKT0_S9_ifPKiSB_iPKfiiiSD_SD_iiiii.uses_flat_scratch, 0
	.set _ZN4vllm25paged_attention_v1_kernelI14__hip_bfloat16hLi64ELi8ELi128ELNS_18Fp8KVCacheDataTypeE1ELb1EEEvPT_PKS3_PKT0_S9_ifPKiSB_iPKfiiiSD_SD_iiiii.has_dyn_sized_stack, 0
	.set _ZN4vllm25paged_attention_v1_kernelI14__hip_bfloat16hLi64ELi8ELi128ELNS_18Fp8KVCacheDataTypeE1ELb1EEEvPT_PKS3_PKT0_S9_ifPKiSB_iPKfiiiSD_SD_iiiii.has_recursion, 0
	.set _ZN4vllm25paged_attention_v1_kernelI14__hip_bfloat16hLi64ELi8ELi128ELNS_18Fp8KVCacheDataTypeE1ELb1EEEvPT_PKS3_PKT0_S9_ifPKiSB_iPKfiiiSD_SD_iiiii.has_indirect_call, 0
	.section	.AMDGPU.csdata,"",@progbits
; Kernel info:
; codeLenInByte = 8088
; TotalNumSgprs: 62
; NumVgprs: 41
; ScratchSize: 0
; MemoryBound: 0
; FloatMode: 240
; IeeeMode: 1
; LDSByteSize: 144 bytes/workgroup (compile time only)
; SGPRBlocks: 7
; VGPRBlocks: 10
; NumSGPRsForWavesPerEU: 62
; NumVGPRsForWavesPerEU: 41
; Occupancy: 5
; WaveLimiterHint : 1
; COMPUTE_PGM_RSRC2:SCRATCH_EN: 0
; COMPUTE_PGM_RSRC2:USER_SGPR: 6
; COMPUTE_PGM_RSRC2:TRAP_HANDLER: 0
; COMPUTE_PGM_RSRC2:TGID_X_EN: 1
; COMPUTE_PGM_RSRC2:TGID_Y_EN: 1
; COMPUTE_PGM_RSRC2:TGID_Z_EN: 1
; COMPUTE_PGM_RSRC2:TIDIG_COMP_CNT: 0
	.section	.text._ZN4vllm25paged_attention_v1_kernelI14__hip_bfloat16hLi80ELi8ELi128ELNS_18Fp8KVCacheDataTypeE1ELb1EEEvPT_PKS3_PKT0_S9_ifPKiSB_iPKfiiiSD_SD_iiiii,"axG",@progbits,_ZN4vllm25paged_attention_v1_kernelI14__hip_bfloat16hLi80ELi8ELi128ELNS_18Fp8KVCacheDataTypeE1ELb1EEEvPT_PKS3_PKT0_S9_ifPKiSB_iPKfiiiSD_SD_iiiii,comdat
	.protected	_ZN4vllm25paged_attention_v1_kernelI14__hip_bfloat16hLi80ELi8ELi128ELNS_18Fp8KVCacheDataTypeE1ELb1EEEvPT_PKS3_PKT0_S9_ifPKiSB_iPKfiiiSD_SD_iiiii ; -- Begin function _ZN4vllm25paged_attention_v1_kernelI14__hip_bfloat16hLi80ELi8ELi128ELNS_18Fp8KVCacheDataTypeE1ELb1EEEvPT_PKS3_PKT0_S9_ifPKiSB_iPKfiiiSD_SD_iiiii
	.globl	_ZN4vllm25paged_attention_v1_kernelI14__hip_bfloat16hLi80ELi8ELi128ELNS_18Fp8KVCacheDataTypeE1ELb1EEEvPT_PKS3_PKT0_S9_ifPKiSB_iPKfiiiSD_SD_iiiii
	.p2align	8
	.type	_ZN4vllm25paged_attention_v1_kernelI14__hip_bfloat16hLi80ELi8ELi128ELNS_18Fp8KVCacheDataTypeE1ELb1EEEvPT_PKS3_PKT0_S9_ifPKiSB_iPKfiiiSD_SD_iiiii,@function
_ZN4vllm25paged_attention_v1_kernelI14__hip_bfloat16hLi80ELi8ELi128ELNS_18Fp8KVCacheDataTypeE1ELb1EEEvPT_PKS3_PKT0_S9_ifPKiSB_iPKfiiiSD_SD_iiiii: ; @_ZN4vllm25paged_attention_v1_kernelI14__hip_bfloat16hLi80ELi8ELi128ELNS_18Fp8KVCacheDataTypeE1ELb1EEEvPT_PKS3_PKT0_S9_ifPKiSB_iPKfiiiSD_SD_iiiii
; %bb.0:
	s_load_dword s9, s[4:5], 0x80
	s_load_dwordx2 s[0:1], s[4:5], 0x30
	s_load_dwordx2 s[38:39], s[4:5], 0x20
	s_mov_b32 s24, s7
	s_ashr_i32 s25, s7, 31
	s_lshl_b64 s[2:3], s[24:25], 2
	s_waitcnt lgkmcnt(0)
	s_add_u32 s0, s0, s2
	s_addc_u32 s1, s1, s3
	s_abs_i32 s2, s38
	v_cvt_f32_u32_e32 v1, s2
	s_sub_i32 s10, 0, s2
	s_abs_i32 s7, s9
	s_xor_b32 s3, s9, s38
	v_rcp_iflag_f32_e32 v1, v1
	s_ashr_i32 s3, s3, 31
	s_mov_b32 s51, 0
	v_mul_f32_e32 v1, 0x4f7ffffe, v1
	v_cvt_u32_f32_e32 v1, v1
	v_readfirstlane_b32 s11, v1
	s_mul_i32 s10, s10, s11
	s_mul_hi_u32 s10, s11, s10
	s_add_i32 s11, s11, s10
	s_mul_hi_u32 s10, s7, s11
	s_mul_i32 s11, s10, s2
	s_sub_i32 s7, s7, s11
	s_add_i32 s11, s10, 1
	s_sub_i32 s12, s7, s2
	s_cmp_ge_u32 s7, s2
	s_cselect_b32 s10, s11, s10
	s_cselect_b32 s7, s12, s7
	s_add_i32 s11, s10, 1
	s_cmp_ge_u32 s7, s2
	s_cselect_b32 s2, s11, s10
	s_xor_b32 s2, s2, s3
	s_sub_i32 s12, s2, s3
	s_abs_i32 s10, s12
	v_cvt_f32_u32_e32 v1, s10
	s_load_dwordx2 s[2:3], s[4:5], 0x40
	s_sub_i32 s7, 0, s10
	s_abs_i32 s11, s6
	v_rcp_iflag_f32_e32 v1, v1
	v_mul_f32_e32 v1, 0x4f7ffffe, v1
	v_cvt_u32_f32_e32 v1, v1
	v_readfirstlane_b32 s13, v1
	s_mul_i32 s7, s7, s13
	s_mul_hi_u32 s7, s13, s7
	s_add_i32 s13, s13, s7
	s_waitcnt lgkmcnt(0)
	s_cmp_eq_u64 s[2:3], 0
	s_mul_hi_u32 s13, s11, s13
	s_cbranch_scc1 .LBB276_2
; %bb.1:
	s_ashr_i32 s7, s6, 31
	s_lshl_b64 s[14:15], s[6:7], 2
	s_add_u32 s2, s2, s14
	s_addc_u32 s3, s3, s15
	s_load_dword s51, s[2:3], 0x0
.LBB276_2:
	s_load_dword s25, s[0:1], 0x0
	s_load_dwordx4 s[16:19], s[4:5], 0x48
	s_movk_i32 s0, 0x50
	s_ashr_i32 s7, s6, 31
	s_ashr_i32 s14, s12, 31
	v_and_b32_e32 v1, 7, v0
	s_mul_i32 s26, s6, 0x50
	v_cmp_gt_u32_e64 s[0:1], s0, v0
	v_lshlrev_b32_e32 v20, 1, v0
	s_and_saveexec_b64 s[2:3], s[0:1]
	s_cbranch_execz .LBB276_4
; %bb.3:
	s_load_dwordx2 s[20:21], s[4:5], 0x8
	s_waitcnt lgkmcnt(0)
	s_mul_i32 s22, s16, s24
	s_ashr_i32 s23, s22, 31
	s_lshl_b64 s[22:23], s[22:23], 1
	v_lshrrev_b32_e32 v3, 2, v0
	s_add_u32 s12, s20, s22
	s_addc_u32 s15, s21, s23
	s_ashr_i32 s27, s26, 31
	s_lshl_b64 s[20:21], s[26:27], 1
	s_add_u32 s20, s12, s20
	s_addc_u32 s21, s15, s21
	global_load_ushort v2, v20, s[20:21]
	v_and_b32_e32 v3, 0xfe, v3
	v_mad_u32_u24 v3, v1, 20, v3
	s_waitcnt vmcnt(0)
	ds_write_b16 v3, v2
.LBB276_4:
	s_or_b64 exec, exec, s[2:3]
	s_mul_i32 s3, s13, s10
	s_sub_i32 s3, s11, s3
	s_xor_b32 s2, s7, s14
	s_add_i32 s7, s13, 1
	s_sub_i32 s11, s3, s10
	s_load_dwordx4 s[20:23], s[4:5], 0x68
	s_load_dword s12, s[4:5], 0x78
	s_cmp_ge_u32 s3, s10
	s_cselect_b32 s7, s7, s13
	s_cselect_b32 s3, s11, s3
	s_add_i32 s11, s7, 1
	s_cmp_ge_u32 s3, s10
	s_cselect_b32 s3, s11, s7
	s_waitcnt lgkmcnt(0)
	s_abs_i32 s33, s23
	v_cvt_f32_u32_e32 v2, s33
	s_xor_b32 s3, s3, s2
	s_sub_i32 s7, s3, s2
	s_sub_i32 s2, 0, s33
	v_rcp_iflag_f32_e32 v2, v2
	s_add_i32 s13, s25, -1
	s_abs_i32 s10, s13
	v_mul_f32_e32 v2, 0x4f7ffffe, v2
	v_cvt_u32_f32_e32 v2, v2
	s_barrier
	v_readfirstlane_b32 s48, v2
	s_mul_i32 s2, s2, s48
	s_mul_hi_u32 s2, s48, s2
	s_add_i32 s48, s48, s2
	s_cmp_lt_i32 s12, 0
	s_mul_hi_u32 s11, s10, s48
	s_cbranch_scc0 .LBB276_6
; %bb.5:
	s_mul_i32 s2, s20, s38
	s_add_i32 s2, s7, s2
	s_mul_i32 s2, s2, s12
	s_sub_i32 s38, 1, s2
	s_mov_b64 s[2:3], 0
	s_branch .LBB276_7
.LBB276_6:
	s_mov_b64 s[2:3], -1
                                        ; implicit-def: $sgpr38
.LBB276_7:
	s_load_dwordx2 s[30:31], s[4:5], 0x28
	s_ashr_i32 s16, s13, 31
	s_andn2_b64 vcc, exec, s[2:3]
	s_ashr_i32 s49, s23, 31
	s_cbranch_vccnz .LBB276_9
; %bb.8:
	s_mul_i32 s2, s9, s20
	s_add_i32 s2, s2, s6
	s_mul_i32 s2, s2, s12
	s_add_i32 s38, s2, 1
.LBB276_9:
	s_load_dword s2, s[4:5], 0x38
	s_load_dwordx2 s[28:29], s[4:5], 0x0
	s_load_dwordx2 s[36:37], s[4:5], 0x18
	s_load_dword s27, s[4:5], 0x88
	s_load_dwordx4 s[12:15], s[4:5], 0x58
	s_mul_i32 s3, s11, s33
	s_waitcnt lgkmcnt(0)
	s_mul_i32 s34, s2, s24
	s_sub_i32 s3, s10, s3
	s_ashr_i32 s35, s34, 31
	s_xor_b32 s2, s16, s49
	s_add_i32 s6, s11, 1
	s_sub_i32 s10, s3, s33
	s_cmp_ge_u32 s3, s33
	s_cselect_b32 s6, s6, s11
	s_cselect_b32 s3, s10, s3
	s_add_i32 s10, s6, 1
	s_cmp_ge_u32 s3, s33
	s_cselect_b32 s3, s10, s6
	s_xor_b32 s3, s3, s2
	s_sub_i32 s16, s3, s2
	s_add_i32 s2, s25, 7
	s_ashr_i32 s3, s2, 31
	s_lshr_b32 s3, s3, 29
	s_add_i32 s2, s2, s3
	s_ashr_i32 s50, s2, 3
	v_lshrrev_b32_e32 v21, 6, v0
	v_cmp_gt_i32_e64 s[2:3], s50, v21
	v_mov_b32_e32 v16, 0xff7fffff
	s_mul_i32 s20, s7, s18
	v_lshrrev_b32_e32 v13, 4, v0
	v_lshlrev_b32_e32 v22, 3, v21
	v_mbcnt_lo_u32_b32 v12, -1, 0
	s_and_saveexec_b64 s[18:19], s[2:3]
	s_cbranch_execz .LBB276_81
; %bb.10:
	s_load_dwordx2 s[4:5], s[4:5], 0x10
	s_sub_i32 s23, s16, s21
	s_ashr_i32 s6, s20, 31
	v_bfe_u32 v14, v0, 3, 3
	v_cmp_eq_u32_e32 vcc, 0, v1
	s_waitcnt lgkmcnt(0)
	s_add_u32 s7, s4, s20
	s_addc_u32 s6, s5, s6
	s_abs_i32 s52, s22
	v_cvt_f32_u32_e32 v2, s52
	v_mov_b32_e32 v4, s6
	s_sub_i32 s6, 0, s52
	v_mul_u32_u24_e32 v15, 20, v1
	v_rcp_iflag_f32_e32 v2, v2
	s_mov_b32 s53, s17
	v_cmp_neq_f32_e64 s[4:5], s51, 0
	v_lshlrev_b32_e32 v18, 3, v21
	v_mul_f32_e32 v2, 0x4f7ffffe, v2
	v_cvt_u32_f32_e32 v3, v2
	v_lshlrev_b32_e32 v2, 4, v14
	v_mov_b32_e32 v24, 0xff7fffff
	s_mov_b64 s[40:41], 0
	v_mul_lo_u32 v5, s6, v3
	v_add_co_u32_e64 v2, s[6:7], s7, v2
	v_addc_co_u32_e64 v4, s[6:7], 0, v4, s[6:7]
	v_mul_hi_u32 v5, v3, v5
	v_add_co_u32_e64 v1, s[6:7], v2, v1
	v_addc_co_u32_e64 v2, s[6:7], 0, v4, s[6:7]
	s_lshl_b64 s[6:7], s[34:35], 2
	v_add_u32_e32 v17, v3, v5
	s_add_u32 s6, s30, s6
	v_subrev_u32_e32 v5, s25, v14
	v_and_b32_e32 v3, 60, v13
	s_addc_u32 s7, s31, s7
	v_add_u32_e32 v19, 1, v5
	v_lshlrev_b32_e32 v5, 2, v14
	v_mov_b32_e32 v4, s7
	v_add_co_u32_e64 v3, s[6:7], s6, v3
	v_lshl_or_b32 v5, v21, 5, v5
	v_addc_co_u32_e64 v4, s[6:7], 0, v4, s[6:7]
	v_add_u32_e32 v23, 0xb0, v5
	s_movk_i32 s54, 0x80
	s_movk_i32 s55, 0x7f
	;; [unrolled: 1-line block ×3, first 2 shown]
	v_bfrev_b32_e32 v25, 60
	v_mbcnt_hi_u32_b32 v26, -1, v12
	v_mov_b32_e32 v16, 0xff7fffff
	v_mov_b32_e32 v27, v21
	s_branch .LBB276_13
.LBB276_11:                             ;   in Loop: Header=BB276_13 Depth=1
	s_or_b64 exec, exec, s[42:43]
.LBB276_12:                             ;   in Loop: Header=BB276_13 Depth=1
	s_or_b64 exec, exec, s[10:11]
	v_add_co_u32_e64 v3, s[6:7], 8, v3
	v_add_u32_e32 v27, 2, v27
	v_addc_co_u32_e64 v4, s[6:7], 0, v4, s[6:7]
	v_cmp_le_i32_e64 s[6:7], s50, v27
	v_add_u32_e32 v18, 16, v18
	s_or_b64 s[40:41], s[6:7], s[40:41]
	v_add_u32_e32 v23, 64, v23
	s_andn2_b64 exec, exec, s[40:41]
	s_cbranch_execz .LBB276_80
.LBB276_13:                             ; =>This Inner Loop Header: Depth=1
	v_mul_hi_u32 v5, v18, s48
	s_waitcnt lgkmcnt(0)
	v_mul_lo_u32 v6, v5, s33
	v_add_u32_e32 v7, 1, v5
	v_sub_u32_e32 v6, v18, v6
	v_cmp_le_u32_e64 s[6:7], s33, v6
	v_cndmask_b32_e64 v5, v5, v7, s[6:7]
	v_subrev_u32_e32 v7, s33, v6
	v_cndmask_b32_e64 v6, v6, v7, s[6:7]
	v_add_u32_e32 v7, 1, v5
	v_cmp_le_u32_e64 s[6:7], s33, v6
	v_cndmask_b32_e64 v5, v5, v7, s[6:7]
	v_xor_b32_e32 v5, s49, v5
	v_subrev_u32_e32 v5, s49, v5
	v_add_u32_e32 v6, s38, v5
	v_sub_u32_e32 v7, 0, v6
	v_max_i32_e32 v7, v6, v7
	v_mul_hi_u32 v8, v7, v17
	v_ashrrev_i32_e32 v6, 31, v6
	v_cmp_ge_i32_e64 s[10:11], s23, v5
	v_mul_lo_u32 v8, v8, s52
	v_sub_u32_e32 v7, v7, v8
	v_subrev_u32_e32 v8, s52, v7
	v_cmp_le_u32_e64 s[6:7], s52, v7
	v_cndmask_b32_e64 v7, v7, v8, s[6:7]
	v_subrev_u32_e32 v8, s52, v7
	v_cmp_le_u32_e64 s[6:7], s52, v7
	v_cndmask_b32_e64 v7, v7, v8, s[6:7]
	v_xor_b32_e32 v7, v7, v6
	v_sub_u32_e32 v6, v7, v6
	v_cmp_ne_u32_e64 s[6:7], 0, v6
	s_and_b64 s[6:7], s[6:7], s[10:11]
	s_and_saveexec_b64 s[10:11], s[6:7]
	s_xor_b64 s[6:7], exec, s[10:11]
	s_cbranch_execz .LBB276_17
; %bb.14:                               ;   in Loop: Header=BB276_13 Depth=1
	s_and_saveexec_b64 s[10:11], vcc
; %bb.15:                               ;   in Loop: Header=BB276_13 Depth=1
	ds_write_b32 v23, v24
; %bb.16:                               ;   in Loop: Header=BB276_13 Depth=1
	s_or_b64 exec, exec, s[10:11]
.LBB276_17:                             ;   in Loop: Header=BB276_13 Depth=1
	s_andn2_saveexec_b64 s[10:11], s[6:7]
	s_cbranch_execz .LBB276_12
; %bb.18:                               ;   in Loop: Header=BB276_13 Depth=1
	global_load_dword v5, v[3:4], off
	v_mov_b32_e32 v30, 0
	v_mov_b32_e32 v29, 0
	s_waitcnt vmcnt(0)
	v_mad_i64_i32 v[9:10], s[6:7], v5, s53, v[1:2]
	global_load_ubyte v31, v[9:10], off
	ds_read2_b32 v[7:8], v15 offset1:1
	ds_read2_b32 v[5:6], v15 offset0:2 offset1:3
	ds_read_b32 v28, v15 offset:16
	s_load_dword s57, s[12:13], 0x0
	s_waitcnt vmcnt(0)
	v_cmp_ne_u16_e64 s[6:7], 0, v31
	s_and_saveexec_b64 s[42:43], s[6:7]
	s_cbranch_execz .LBB276_24
; %bb.19:                               ;   in Loop: Header=BB276_13 Depth=1
	v_cmp_ne_u16_e64 s[6:7], s54, v31
	v_bfrev_b32_e32 v29, 1
	s_and_saveexec_b64 s[44:45], s[6:7]
	s_cbranch_execz .LBB276_23
; %bb.20:                               ;   in Loop: Header=BB276_13 Depth=1
	v_and_b32_e32 v11, 0xffff, v31
	v_and_b32_e32 v32, 0x7f, v11
	v_cmp_ne_u32_e64 s[6:7], s55, v32
	v_mov_b32_e32 v29, 0x7f800001
	s_and_saveexec_b64 s[46:47], s[6:7]
	s_cbranch_execz .LBB276_22
; %bb.21:                               ;   in Loop: Header=BB276_13 Depth=1
	v_and_b32_e32 v29, 7, v11
	v_ffbh_u32_e32 v33, v29
	v_min_u32_e32 v36, 32, v33
	v_subrev_u32_e32 v33, 28, v36
	v_lshlrev_b64 v[33:34], v33, v[11:12]
	v_lshrrev_b32_e32 v35, 3, v32
	v_sub_u32_e32 v11, 29, v36
	v_and_b32_e32 v33, 7, v33
	v_cmp_gt_u32_e64 s[6:7], 8, v32
	v_cndmask_b32_e64 v11, v35, v11, s[6:7]
	v_cndmask_b32_e64 v29, v29, v33, s[6:7]
	v_lshlrev_b32_e32 v31, 24, v31
	v_lshlrev_b32_e32 v29, 20, v29
	v_and_b32_e32 v31, 0x80000000, v31
	v_lshl_add_u32 v11, v11, 23, v25
	v_or3_b32 v29, v31, v11, v29
.LBB276_22:                             ;   in Loop: Header=BB276_13 Depth=1
	s_or_b64 exec, exec, s[46:47]
.LBB276_23:                             ;   in Loop: Header=BB276_13 Depth=1
	s_or_b64 exec, exec, s[44:45]
.LBB276_24:                             ;   in Loop: Header=BB276_13 Depth=1
	s_or_b64 exec, exec, s[42:43]
	global_load_ubyte v31, v[9:10], off offset:8
	s_waitcnt vmcnt(0)
	v_cmp_ne_u16_e64 s[6:7], 0, v31
	s_and_saveexec_b64 s[42:43], s[6:7]
	s_cbranch_execz .LBB276_30
; %bb.25:                               ;   in Loop: Header=BB276_13 Depth=1
	v_cmp_ne_u16_e64 s[6:7], s54, v31
	v_bfrev_b32_e32 v30, 1
	s_and_saveexec_b64 s[44:45], s[6:7]
	s_cbranch_execz .LBB276_29
; %bb.26:                               ;   in Loop: Header=BB276_13 Depth=1
	v_and_b32_e32 v11, 0xffff, v31
	v_and_b32_e32 v32, 0x7f, v11
	v_cmp_ne_u32_e64 s[6:7], s55, v32
	v_mov_b32_e32 v30, 0x7f800001
	s_and_saveexec_b64 s[46:47], s[6:7]
	s_cbranch_execz .LBB276_28
; %bb.27:                               ;   in Loop: Header=BB276_13 Depth=1
	v_and_b32_e32 v30, 7, v11
	v_ffbh_u32_e32 v33, v30
	v_min_u32_e32 v36, 32, v33
	v_subrev_u32_e32 v33, 28, v36
	v_lshlrev_b64 v[33:34], v33, v[11:12]
	v_lshrrev_b32_e32 v35, 3, v32
	v_sub_u32_e32 v11, 29, v36
	v_and_b32_e32 v33, 7, v33
	v_cmp_gt_u32_e64 s[6:7], 8, v32
	v_cndmask_b32_e64 v11, v35, v11, s[6:7]
	v_cndmask_b32_e64 v30, v30, v33, s[6:7]
	v_lshlrev_b32_e32 v31, 24, v31
	v_lshlrev_b32_e32 v30, 20, v30
	v_and_b32_e32 v31, 0x80000000, v31
	v_lshl_add_u32 v11, v11, 23, v25
	v_or3_b32 v30, v31, v11, v30
.LBB276_28:                             ;   in Loop: Header=BB276_13 Depth=1
	s_or_b64 exec, exec, s[46:47]
.LBB276_29:                             ;   in Loop: Header=BB276_13 Depth=1
	s_or_b64 exec, exec, s[44:45]
.LBB276_30:                             ;   in Loop: Header=BB276_13 Depth=1
	s_or_b64 exec, exec, s[42:43]
	global_load_ubyte v33, v[9:10], off offset:128
	v_mov_b32_e32 v32, 0
	v_mov_b32_e32 v31, 0
	s_waitcnt vmcnt(0)
	v_cmp_ne_u16_e64 s[6:7], 0, v33
	s_and_saveexec_b64 s[42:43], s[6:7]
	s_cbranch_execz .LBB276_36
; %bb.31:                               ;   in Loop: Header=BB276_13 Depth=1
	v_cmp_ne_u16_e64 s[6:7], s54, v33
	v_bfrev_b32_e32 v31, 1
	s_and_saveexec_b64 s[44:45], s[6:7]
	s_cbranch_execz .LBB276_35
; %bb.32:                               ;   in Loop: Header=BB276_13 Depth=1
	v_and_b32_e32 v11, 0xffff, v33
	v_and_b32_e32 v34, 0x7f, v11
	v_cmp_ne_u32_e64 s[6:7], s55, v34
	v_mov_b32_e32 v31, 0x7f800001
	s_and_saveexec_b64 s[46:47], s[6:7]
	s_cbranch_execz .LBB276_34
; %bb.33:                               ;   in Loop: Header=BB276_13 Depth=1
	v_and_b32_e32 v31, 7, v11
	v_ffbh_u32_e32 v35, v31
	v_min_u32_e32 v38, 32, v35
	v_subrev_u32_e32 v35, 28, v38
	v_lshlrev_b64 v[35:36], v35, v[11:12]
	v_lshrrev_b32_e32 v37, 3, v34
	v_sub_u32_e32 v11, 29, v38
	v_and_b32_e32 v35, 7, v35
	v_cmp_gt_u32_e64 s[6:7], 8, v34
	v_cndmask_b32_e64 v11, v37, v11, s[6:7]
	v_cndmask_b32_e64 v31, v31, v35, s[6:7]
	v_lshlrev_b32_e32 v33, 24, v33
	v_lshlrev_b32_e32 v31, 20, v31
	v_and_b32_e32 v33, 0x80000000, v33
	v_lshl_add_u32 v11, v11, 23, v25
	v_or3_b32 v31, v33, v11, v31
.LBB276_34:                             ;   in Loop: Header=BB276_13 Depth=1
	s_or_b64 exec, exec, s[46:47]
.LBB276_35:                             ;   in Loop: Header=BB276_13 Depth=1
	s_or_b64 exec, exec, s[44:45]
.LBB276_36:                             ;   in Loop: Header=BB276_13 Depth=1
	s_or_b64 exec, exec, s[42:43]
	global_load_ubyte v33, v[9:10], off offset:136
	s_waitcnt vmcnt(0)
	v_cmp_ne_u16_e64 s[6:7], 0, v33
	s_and_saveexec_b64 s[42:43], s[6:7]
	s_cbranch_execz .LBB276_42
; %bb.37:                               ;   in Loop: Header=BB276_13 Depth=1
	v_cmp_ne_u16_e64 s[6:7], s54, v33
	v_bfrev_b32_e32 v32, 1
	s_and_saveexec_b64 s[44:45], s[6:7]
	s_cbranch_execz .LBB276_41
; %bb.38:                               ;   in Loop: Header=BB276_13 Depth=1
	v_and_b32_e32 v11, 0xffff, v33
	v_and_b32_e32 v34, 0x7f, v11
	v_cmp_ne_u32_e64 s[6:7], s55, v34
	v_mov_b32_e32 v32, 0x7f800001
	s_and_saveexec_b64 s[46:47], s[6:7]
	s_cbranch_execz .LBB276_40
; %bb.39:                               ;   in Loop: Header=BB276_13 Depth=1
	v_and_b32_e32 v32, 7, v11
	v_ffbh_u32_e32 v35, v32
	v_min_u32_e32 v38, 32, v35
	v_subrev_u32_e32 v35, 28, v38
	v_lshlrev_b64 v[35:36], v35, v[11:12]
	v_lshrrev_b32_e32 v37, 3, v34
	v_sub_u32_e32 v11, 29, v38
	v_and_b32_e32 v35, 7, v35
	v_cmp_gt_u32_e64 s[6:7], 8, v34
	v_cndmask_b32_e64 v11, v37, v11, s[6:7]
	v_cndmask_b32_e64 v32, v32, v35, s[6:7]
	v_lshlrev_b32_e32 v33, 24, v33
	v_lshlrev_b32_e32 v32, 20, v32
	v_and_b32_e32 v33, 0x80000000, v33
	v_lshl_add_u32 v11, v11, 23, v25
	v_or3_b32 v32, v33, v11, v32
.LBB276_40:                             ;   in Loop: Header=BB276_13 Depth=1
	s_or_b64 exec, exec, s[46:47]
.LBB276_41:                             ;   in Loop: Header=BB276_13 Depth=1
	s_or_b64 exec, exec, s[44:45]
.LBB276_42:                             ;   in Loop: Header=BB276_13 Depth=1
	s_or_b64 exec, exec, s[42:43]
	global_load_ubyte v35, v[9:10], off offset:256
	v_mov_b32_e32 v34, 0
	v_mov_b32_e32 v33, 0
	s_waitcnt vmcnt(0)
	v_cmp_ne_u16_e64 s[6:7], 0, v35
	s_and_saveexec_b64 s[42:43], s[6:7]
	s_cbranch_execz .LBB276_48
; %bb.43:                               ;   in Loop: Header=BB276_13 Depth=1
	v_cmp_ne_u16_e64 s[6:7], s54, v35
	v_bfrev_b32_e32 v33, 1
	s_and_saveexec_b64 s[44:45], s[6:7]
	s_cbranch_execz .LBB276_47
; %bb.44:                               ;   in Loop: Header=BB276_13 Depth=1
	v_and_b32_e32 v11, 0xffff, v35
	v_and_b32_e32 v36, 0x7f, v11
	v_cmp_ne_u32_e64 s[6:7], s55, v36
	v_mov_b32_e32 v33, 0x7f800001
	s_and_saveexec_b64 s[46:47], s[6:7]
	s_cbranch_execz .LBB276_46
; %bb.45:                               ;   in Loop: Header=BB276_13 Depth=1
	v_and_b32_e32 v33, 7, v11
	v_ffbh_u32_e32 v37, v33
	v_min_u32_e32 v40, 32, v37
	v_subrev_u32_e32 v37, 28, v40
	v_lshlrev_b64 v[37:38], v37, v[11:12]
	v_lshrrev_b32_e32 v39, 3, v36
	v_sub_u32_e32 v11, 29, v40
	v_and_b32_e32 v37, 7, v37
	v_cmp_gt_u32_e64 s[6:7], 8, v36
	v_cndmask_b32_e64 v11, v39, v11, s[6:7]
	v_cndmask_b32_e64 v33, v33, v37, s[6:7]
	v_lshlrev_b32_e32 v35, 24, v35
	v_lshlrev_b32_e32 v33, 20, v33
	v_and_b32_e32 v35, 0x80000000, v35
	v_lshl_add_u32 v11, v11, 23, v25
	v_or3_b32 v33, v35, v11, v33
.LBB276_46:                             ;   in Loop: Header=BB276_13 Depth=1
	s_or_b64 exec, exec, s[46:47]
.LBB276_47:                             ;   in Loop: Header=BB276_13 Depth=1
	s_or_b64 exec, exec, s[44:45]
.LBB276_48:                             ;   in Loop: Header=BB276_13 Depth=1
	s_or_b64 exec, exec, s[42:43]
	global_load_ubyte v35, v[9:10], off offset:264
	s_waitcnt vmcnt(0)
	v_cmp_ne_u16_e64 s[6:7], 0, v35
	s_and_saveexec_b64 s[42:43], s[6:7]
	s_cbranch_execz .LBB276_54
; %bb.49:                               ;   in Loop: Header=BB276_13 Depth=1
	v_cmp_ne_u16_e64 s[6:7], s54, v35
	v_bfrev_b32_e32 v34, 1
	s_and_saveexec_b64 s[44:45], s[6:7]
	s_cbranch_execz .LBB276_53
; %bb.50:                               ;   in Loop: Header=BB276_13 Depth=1
	v_and_b32_e32 v11, 0xffff, v35
	v_and_b32_e32 v36, 0x7f, v11
	v_cmp_ne_u32_e64 s[6:7], s55, v36
	v_mov_b32_e32 v34, 0x7f800001
	s_and_saveexec_b64 s[46:47], s[6:7]
	s_cbranch_execz .LBB276_52
; %bb.51:                               ;   in Loop: Header=BB276_13 Depth=1
	v_and_b32_e32 v34, 7, v11
	v_ffbh_u32_e32 v37, v34
	v_min_u32_e32 v40, 32, v37
	v_subrev_u32_e32 v37, 28, v40
	v_lshlrev_b64 v[37:38], v37, v[11:12]
	v_lshrrev_b32_e32 v39, 3, v36
	v_sub_u32_e32 v11, 29, v40
	v_and_b32_e32 v37, 7, v37
	v_cmp_gt_u32_e64 s[6:7], 8, v36
	v_cndmask_b32_e64 v11, v39, v11, s[6:7]
	v_cndmask_b32_e64 v34, v34, v37, s[6:7]
	v_lshlrev_b32_e32 v35, 24, v35
	v_lshlrev_b32_e32 v34, 20, v34
	v_and_b32_e32 v35, 0x80000000, v35
	v_lshl_add_u32 v11, v11, 23, v25
	v_or3_b32 v34, v35, v11, v34
.LBB276_52:                             ;   in Loop: Header=BB276_13 Depth=1
	s_or_b64 exec, exec, s[46:47]
.LBB276_53:                             ;   in Loop: Header=BB276_13 Depth=1
	s_or_b64 exec, exec, s[44:45]
.LBB276_54:                             ;   in Loop: Header=BB276_13 Depth=1
	s_or_b64 exec, exec, s[42:43]
	global_load_ubyte v37, v[9:10], off offset:384
	v_mov_b32_e32 v36, 0
	v_mov_b32_e32 v35, 0
	s_waitcnt vmcnt(0)
	v_cmp_ne_u16_e64 s[6:7], 0, v37
	s_and_saveexec_b64 s[42:43], s[6:7]
	s_cbranch_execz .LBB276_60
; %bb.55:                               ;   in Loop: Header=BB276_13 Depth=1
	v_cmp_ne_u16_e64 s[6:7], s54, v37
	v_bfrev_b32_e32 v35, 1
	s_and_saveexec_b64 s[44:45], s[6:7]
	s_cbranch_execz .LBB276_59
; %bb.56:                               ;   in Loop: Header=BB276_13 Depth=1
	v_and_b32_e32 v11, 0xffff, v37
	v_and_b32_e32 v38, 0x7f, v11
	v_cmp_ne_u32_e64 s[6:7], s55, v38
	v_mov_b32_e32 v35, 0x7f800001
	s_and_saveexec_b64 s[46:47], s[6:7]
	s_cbranch_execz .LBB276_58
; %bb.57:                               ;   in Loop: Header=BB276_13 Depth=1
	v_and_b32_e32 v35, 7, v11
	v_ffbh_u32_e32 v39, v35
	v_min_u32_e32 v42, 32, v39
	v_subrev_u32_e32 v39, 28, v42
	v_lshlrev_b64 v[39:40], v39, v[11:12]
	v_lshrrev_b32_e32 v41, 3, v38
	v_sub_u32_e32 v11, 29, v42
	v_and_b32_e32 v39, 7, v39
	v_cmp_gt_u32_e64 s[6:7], 8, v38
	v_cndmask_b32_e64 v11, v41, v11, s[6:7]
	v_cndmask_b32_e64 v35, v35, v39, s[6:7]
	v_lshlrev_b32_e32 v37, 24, v37
	v_lshlrev_b32_e32 v35, 20, v35
	v_and_b32_e32 v37, 0x80000000, v37
	v_lshl_add_u32 v11, v11, 23, v25
	v_or3_b32 v35, v37, v11, v35
.LBB276_58:                             ;   in Loop: Header=BB276_13 Depth=1
	s_or_b64 exec, exec, s[46:47]
.LBB276_59:                             ;   in Loop: Header=BB276_13 Depth=1
	s_or_b64 exec, exec, s[44:45]
.LBB276_60:                             ;   in Loop: Header=BB276_13 Depth=1
	s_or_b64 exec, exec, s[42:43]
	global_load_ubyte v37, v[9:10], off offset:392
	s_waitcnt vmcnt(0)
	v_cmp_ne_u16_e64 s[6:7], 0, v37
	s_and_saveexec_b64 s[42:43], s[6:7]
	s_cbranch_execz .LBB276_66
; %bb.61:                               ;   in Loop: Header=BB276_13 Depth=1
	v_cmp_ne_u16_e64 s[6:7], s54, v37
	v_bfrev_b32_e32 v36, 1
	s_and_saveexec_b64 s[44:45], s[6:7]
	s_cbranch_execz .LBB276_65
; %bb.62:                               ;   in Loop: Header=BB276_13 Depth=1
	v_and_b32_e32 v11, 0xffff, v37
	v_and_b32_e32 v38, 0x7f, v11
	v_cmp_ne_u32_e64 s[6:7], s55, v38
	v_mov_b32_e32 v36, 0x7f800001
	s_and_saveexec_b64 s[46:47], s[6:7]
	s_cbranch_execz .LBB276_64
; %bb.63:                               ;   in Loop: Header=BB276_13 Depth=1
	v_and_b32_e32 v36, 7, v11
	v_ffbh_u32_e32 v39, v36
	v_min_u32_e32 v42, 32, v39
	v_subrev_u32_e32 v39, 28, v42
	v_lshlrev_b64 v[39:40], v39, v[11:12]
	v_lshrrev_b32_e32 v41, 3, v38
	v_sub_u32_e32 v11, 29, v42
	v_and_b32_e32 v39, 7, v39
	v_cmp_gt_u32_e64 s[6:7], 8, v38
	v_cndmask_b32_e64 v11, v41, v11, s[6:7]
	v_cndmask_b32_e64 v36, v36, v39, s[6:7]
	v_lshlrev_b32_e32 v37, 24, v37
	v_lshlrev_b32_e32 v36, 20, v36
	v_and_b32_e32 v37, 0x80000000, v37
	v_lshl_add_u32 v11, v11, 23, v25
	v_or3_b32 v36, v37, v11, v36
.LBB276_64:                             ;   in Loop: Header=BB276_13 Depth=1
	s_or_b64 exec, exec, s[46:47]
.LBB276_65:                             ;   in Loop: Header=BB276_13 Depth=1
	s_or_b64 exec, exec, s[44:45]
.LBB276_66:                             ;   in Loop: Header=BB276_13 Depth=1
	s_or_b64 exec, exec, s[42:43]
	global_load_ubyte v39, v[9:10], off offset:512
	v_mov_b32_e32 v37, 0
	v_mov_b32_e32 v38, 0
	s_waitcnt vmcnt(0)
	v_cmp_ne_u16_e64 s[6:7], 0, v39
	s_and_saveexec_b64 s[42:43], s[6:7]
	s_cbranch_execz .LBB276_72
; %bb.67:                               ;   in Loop: Header=BB276_13 Depth=1
	v_cmp_ne_u16_e64 s[6:7], s54, v39
	v_bfrev_b32_e32 v38, 1
	s_and_saveexec_b64 s[44:45], s[6:7]
	s_cbranch_execz .LBB276_71
; %bb.68:                               ;   in Loop: Header=BB276_13 Depth=1
	v_and_b32_e32 v11, 0xffff, v39
	v_and_b32_e32 v40, 0x7f, v11
	v_cmp_ne_u32_e64 s[6:7], s55, v40
	v_mov_b32_e32 v38, 0x7f800001
	s_and_saveexec_b64 s[46:47], s[6:7]
	s_cbranch_execz .LBB276_70
; %bb.69:                               ;   in Loop: Header=BB276_13 Depth=1
	v_and_b32_e32 v38, 7, v11
	v_ffbh_u32_e32 v41, v38
	v_min_u32_e32 v44, 32, v41
	v_subrev_u32_e32 v41, 28, v44
	v_lshlrev_b64 v[41:42], v41, v[11:12]
	v_lshrrev_b32_e32 v43, 3, v40
	v_sub_u32_e32 v11, 29, v44
	v_and_b32_e32 v41, 7, v41
	v_cmp_gt_u32_e64 s[6:7], 8, v40
	v_cndmask_b32_e64 v11, v43, v11, s[6:7]
	v_cndmask_b32_e64 v38, v38, v41, s[6:7]
	v_lshlrev_b32_e32 v39, 24, v39
	v_lshlrev_b32_e32 v38, 20, v38
	v_and_b32_e32 v39, 0x80000000, v39
	v_lshl_add_u32 v11, v11, 23, v25
	v_or3_b32 v38, v39, v11, v38
.LBB276_70:                             ;   in Loop: Header=BB276_13 Depth=1
	s_or_b64 exec, exec, s[46:47]
.LBB276_71:                             ;   in Loop: Header=BB276_13 Depth=1
	s_or_b64 exec, exec, s[44:45]
.LBB276_72:                             ;   in Loop: Header=BB276_13 Depth=1
	s_or_b64 exec, exec, s[42:43]
	global_load_ubyte v10, v[9:10], off offset:520
	s_waitcnt vmcnt(0)
	v_cmp_ne_u16_e64 s[6:7], 0, v10
	s_and_saveexec_b64 s[42:43], s[6:7]
	s_cbranch_execz .LBB276_78
; %bb.73:                               ;   in Loop: Header=BB276_13 Depth=1
	v_cmp_ne_u16_e64 s[6:7], s54, v10
	v_bfrev_b32_e32 v37, 1
	s_and_saveexec_b64 s[44:45], s[6:7]
	s_cbranch_execz .LBB276_77
; %bb.74:                               ;   in Loop: Header=BB276_13 Depth=1
	v_and_b32_e32 v9, 0xffff, v10
	v_and_b32_e32 v11, 0x7f, v9
	v_cmp_ne_u32_e64 s[6:7], s55, v11
	v_mov_b32_e32 v37, 0x7f800001
	s_and_saveexec_b64 s[46:47], s[6:7]
	s_cbranch_execz .LBB276_76
; %bb.75:                               ;   in Loop: Header=BB276_13 Depth=1
	v_and_b32_e32 v37, 7, v9
	v_ffbh_u32_e32 v39, v37
	v_min_u32_e32 v42, 32, v39
	v_subrev_u32_e32 v39, 28, v42
	v_lshlrev_b64 v[39:40], v39, v[9:10]
	v_lshrrev_b32_e32 v41, 3, v11
	v_sub_u32_e32 v9, 29, v42
	v_and_b32_e32 v39, 7, v39
	v_cmp_gt_u32_e64 s[6:7], 8, v11
	v_cndmask_b32_e64 v9, v41, v9, s[6:7]
	v_cndmask_b32_e64 v11, v37, v39, s[6:7]
	v_lshlrev_b32_e32 v10, 24, v10
	v_lshlrev_b32_e32 v11, 20, v11
	v_and_b32_e32 v10, 0x80000000, v10
	v_lshl_add_u32 v9, v9, 23, v25
	v_or3_b32 v37, v10, v9, v11
.LBB276_76:                             ;   in Loop: Header=BB276_13 Depth=1
	s_or_b64 exec, exec, s[46:47]
.LBB276_77:                             ;   in Loop: Header=BB276_13 Depth=1
	s_or_b64 exec, exec, s[44:45]
.LBB276_78:                             ;   in Loop: Header=BB276_13 Depth=1
	s_or_b64 exec, exec, s[42:43]
	s_waitcnt lgkmcnt(0)
	v_mul_f32_e32 v9, s57, v38
	v_bfe_u32 v10, v9, 16, 1
	v_add3_u32 v10, v10, v9, s56
	v_or_b32_e32 v11, 0x400000, v9
	v_cmp_u_f32_e64 s[6:7], v9, v9
	v_cndmask_b32_e64 v9, v10, v11, s[6:7]
	v_mul_f32_e32 v10, s57, v36
	v_bfe_u32 v11, v10, 16, 1
	v_add3_u32 v11, v11, v10, s56
	v_or_b32_e32 v36, 0x400000, v10
	v_cmp_u_f32_e64 s[6:7], v10, v10
	v_cndmask_b32_e64 v10, v11, v36, s[6:7]
	v_mul_f32_e32 v11, s57, v35
	v_bfe_u32 v35, v11, 16, 1
	v_add3_u32 v35, v35, v11, s56
	v_or_b32_e32 v36, 0x400000, v11
	v_cmp_u_f32_e64 s[6:7], v11, v11
	v_mul_f32_e32 v34, s57, v34
	v_cndmask_b32_e64 v11, v35, v36, s[6:7]
	v_bfe_u32 v35, v34, 16, 1
	v_add3_u32 v35, v35, v34, s56
	v_or_b32_e32 v36, 0x400000, v34
	v_cmp_u_f32_e64 s[6:7], v34, v34
	v_mul_f32_e32 v33, s57, v33
	v_cndmask_b32_e64 v34, v35, v36, s[6:7]
	;; [unrolled: 6-line block ×6, first 2 shown]
	v_bfe_u32 v35, v29, 16, 1
	v_add3_u32 v35, v35, v29, s56
	v_or_b32_e32 v36, 0x400000, v29
	v_cmp_u_f32_e64 s[6:7], v29, v29
	v_cndmask_b32_e64 v29, v35, v36, s[6:7]
	v_and_b32_e32 v35, 64, v26
	v_add_u32_e32 v35, 64, v35
	v_xor_b32_e32 v36, 4, v26
	v_mul_f32_e32 v37, s57, v37
	v_cmp_lt_i32_e64 s[6:7], v36, v35
	v_bfe_u32 v38, v37, 16, 1
	v_cndmask_b32_e64 v36, v26, v36, s[6:7]
	v_add3_u32 v38, v38, v37, s56
	v_or_b32_e32 v39, 0x400000, v37
	v_cmp_u_f32_e64 s[6:7], v37, v37
	v_cndmask_b32_e64 v37, v38, v39, s[6:7]
	v_lshlrev_b32_e32 v38, 16, v7
	v_and_b32_e32 v7, 0xffff0000, v7
	v_and_b32_e32 v30, 0xffff0000, v30
	;; [unrolled: 1-line block ×3, first 2 shown]
	v_mul_f32_e32 v7, v7, v30
	v_lshlrev_b32_e32 v39, 16, v8
	v_fmac_f32_e32 v7, v38, v29
	v_and_b32_e32 v29, 0xffff0000, v31
	v_and_b32_e32 v8, 0xffff0000, v8
	v_fmac_f32_e32 v7, v39, v29
	v_and_b32_e32 v29, 0xffff0000, v32
	v_lshlrev_b32_e32 v40, 16, v5
	v_fmac_f32_e32 v7, v8, v29
	v_and_b32_e32 v8, 0xffff0000, v33
	v_and_b32_e32 v5, 0xffff0000, v5
	v_fmac_f32_e32 v7, v40, v8
	v_and_b32_e32 v8, 0xffff0000, v34
	;; [unrolled: 6-line block ×4, first 2 shown]
	v_lshlrev_b32_e32 v36, 2, v36
	v_fmac_f32_e32 v7, v28, v5
	ds_bpermute_b32 v5, v36, v7
	v_xor_b32_e32 v6, 2, v26
	v_cmp_lt_i32_e64 s[6:7], v6, v35
	v_cndmask_b32_e64 v6, v26, v6, s[6:7]
	v_lshlrev_b32_e32 v6, 2, v6
	s_waitcnt lgkmcnt(0)
	v_add_f32_e32 v5, v7, v5
	ds_bpermute_b32 v6, v6, v5
	v_xor_b32_e32 v7, 1, v26
	v_cmp_lt_i32_e64 s[6:7], v7, v35
	v_cndmask_b32_e64 v7, v26, v7, s[6:7]
	v_lshlrev_b32_e32 v7, 2, v7
	s_waitcnt lgkmcnt(0)
	v_add_f32_e32 v5, v5, v6
	ds_bpermute_b32 v6, v7, v5
	s_and_saveexec_b64 s[42:43], vcc
	s_cbranch_execz .LBB276_11
; %bb.79:                               ;   in Loop: Header=BB276_13 Depth=1
	v_add_u32_e32 v7, v19, v18
	v_cvt_f32_i32_e32 v7, v7
	s_waitcnt lgkmcnt(0)
	v_add_f32_e32 v5, v5, v6
	v_add_u32_e32 v8, v14, v18
	v_cmp_gt_i32_e64 s[6:7], s25, v8
	v_mul_f32_e32 v6, s51, v7
	v_cndmask_b32_e64 v6, 0, v6, s[4:5]
	v_fmac_f32_e32 v6, s39, v5
	v_cndmask_b32_e64 v5, 0, v6, s[6:7]
	ds_write_b32 v23, v5
	v_max_f32_e32 v5, v16, v16
	v_max_f32_e32 v5, v5, v6
	v_cndmask_b32_e64 v16, v16, v5, s[6:7]
	s_branch .LBB276_11
.LBB276_80:
	s_or_b64 exec, exec, s[40:41]
.LBB276_81:
	s_or_b64 exec, exec, s[18:19]
	v_mbcnt_hi_u32_b32 v1, -1, v12
	v_and_b32_e32 v9, 64, v1
	v_add_u32_e32 v2, 64, v9
	v_xor_b32_e32 v3, 32, v1
	v_cmp_lt_i32_e32 vcc, v3, v2
	v_cndmask_b32_e32 v3, v1, v3, vcc
	v_lshlrev_b32_e32 v4, 2, v3
	ds_bpermute_b32 v3, v4, v16
	s_waitcnt lgkmcnt(1)
	v_xor_b32_e32 v6, 16, v1
	v_max_f32_e32 v5, v16, v16
	v_cmp_lt_i32_e32 vcc, v6, v2
	v_xor_b32_e32 v7, 8, v1
	s_waitcnt lgkmcnt(0)
	v_max_f32_e32 v3, v3, v3
	v_max_f32_e32 v3, v5, v3
	v_cndmask_b32_e32 v5, v1, v6, vcc
	v_lshlrev_b32_e32 v6, 2, v5
	ds_bpermute_b32 v5, v6, v3
	v_cmp_lt_i32_e32 vcc, v7, v2
	v_and_b32_e32 v23, 63, v0
	s_waitcnt lgkmcnt(0)
	v_max_f32_e32 v5, v5, v5
	v_max_f32_e32 v5, v3, v5
	v_cndmask_b32_e32 v3, v1, v7, vcc
	v_lshlrev_b32_e32 v8, 2, v3
	ds_bpermute_b32 v7, v8, v5
	v_cmp_eq_u32_e32 vcc, 0, v23
	v_lshlrev_b32_e32 v3, 2, v21
	s_and_saveexec_b64 s[4:5], vcc
	s_cbranch_execz .LBB276_83
; %bb.82:
	s_waitcnt lgkmcnt(0)
	v_max_f32_e32 v7, v7, v7
	v_max_f32_e32 v5, v5, v5
	;; [unrolled: 1-line block ×3, first 2 shown]
	ds_write_b32 v3, v5 offset:160
.LBB276_83:
	s_or_b64 exec, exec, s[4:5]
	v_cmp_gt_u32_e64 s[4:5], 2, v23
	v_mov_b32_e32 v10, 0xff7fffff
	v_lshlrev_b32_e32 v5, 2, v23
	s_waitcnt lgkmcnt(0)
	s_barrier
	s_and_saveexec_b64 s[6:7], s[4:5]
; %bb.84:
	ds_read_b32 v10, v5 offset:160
; %bb.85:
	s_or_b64 exec, exec, s[6:7]
	v_xor_b32_e32 v7, 1, v1
	v_cmp_lt_i32_e64 s[6:7], v7, v2
	v_cndmask_b32_e64 v7, v1, v7, s[6:7]
	v_lshlrev_b32_e32 v7, 2, v7
	s_waitcnt lgkmcnt(0)
	ds_bpermute_b32 v11, v7, v10
	v_max_f32_e32 v10, v10, v10
	v_lshlrev_b32_e32 v9, 2, v9
	s_lshl_b32 s6, s50, 3
	s_min_i32 s23, s6, s25
	s_waitcnt lgkmcnt(0)
	v_max_f32_e32 v11, v11, v11
	v_max_f32_e32 v10, v10, v11
	ds_bpermute_b32 v10, v9, v10
	v_cmp_gt_i32_e64 s[6:7], s23, v0
	v_mov_b32_e32 v9, 0
	s_and_saveexec_b64 s[12:13], s[6:7]
	s_cbranch_execz .LBB276_89
; %bb.86:
	v_mov_b32_e32 v9, 0xb0
	v_lshl_add_u32 v11, v0, 2, v9
	v_mov_b32_e32 v9, 0
	s_mov_b64 s[18:19], 0
	v_mov_b32_e32 v12, v0
.LBB276_87:                             ; =>This Inner Loop Header: Depth=1
	ds_read_b32 v14, v11
	v_add_u32_e32 v12, 0x80, v12
	v_cmp_le_i32_e64 s[10:11], s23, v12
	s_or_b64 s[18:19], s[10:11], s[18:19]
	s_waitcnt lgkmcnt(0)
	v_sub_f32_e32 v14, v14, v10
	v_mul_f32_e32 v14, 0x3fb8aa3b, v14
	v_exp_f32_e32 v14, v14
	ds_write_b32 v11, v14
	v_add_f32_e32 v9, v9, v14
	v_add_u32_e32 v11, 0x200, v11
	s_andn2_b64 exec, exec, s[18:19]
	s_cbranch_execnz .LBB276_87
; %bb.88:
	s_or_b64 exec, exec, s[18:19]
.LBB276_89:
	s_or_b64 exec, exec, s[12:13]
	ds_bpermute_b32 v4, v4, v9
	s_waitcnt lgkmcnt(0)
	v_add_f32_e32 v4, v9, v4
	ds_bpermute_b32 v6, v6, v4
	s_waitcnt lgkmcnt(0)
	v_add_f32_e32 v4, v4, v6
	ds_bpermute_b32 v6, v8, v4
	v_xor_b32_e32 v8, 4, v1
	v_cmp_lt_i32_e64 s[10:11], v8, v2
	v_cndmask_b32_e64 v8, v1, v8, s[10:11]
	v_lshlrev_b32_e32 v8, 2, v8
	s_waitcnt lgkmcnt(0)
	v_add_f32_e32 v4, v4, v6
	ds_bpermute_b32 v6, v8, v4
	v_xor_b32_e32 v8, 2, v1
	v_cmp_lt_i32_e64 s[10:11], v8, v2
	v_cndmask_b32_e64 v2, v1, v8, s[10:11]
	v_lshlrev_b32_e32 v2, 2, v2
	s_waitcnt lgkmcnt(0)
	v_add_f32_e32 v4, v4, v6
	ds_bpermute_b32 v2, v2, v4
	s_waitcnt lgkmcnt(0)
	v_add_f32_e32 v2, v4, v2
	ds_bpermute_b32 v4, v7, v2
	s_waitcnt lgkmcnt(0)
	v_add_f32_e32 v2, v2, v4
	s_and_saveexec_b64 s[10:11], vcc
; %bb.90:
	ds_write_b32 v3, v2 offset:168
; %bb.91:
	s_or_b64 exec, exec, s[10:11]
	s_waitcnt lgkmcnt(0)
	s_barrier
	s_and_saveexec_b64 s[10:11], s[4:5]
; %bb.92:
	ds_read_b32 v2, v5 offset:168
; %bb.93:
	s_or_b64 exec, exec, s[10:11]
	s_waitcnt lgkmcnt(0)
	ds_bpermute_b32 v3, v7, v2
	v_lshlrev_b32_e32 v1, 2, v1
	v_and_b32_e32 v1, 0x100, v1
	s_waitcnt lgkmcnt(0)
	v_add_f32_e32 v2, v2, v3
	ds_bpermute_b32 v1, v1, v2
	s_and_saveexec_b64 s[4:5], s[6:7]
	s_cbranch_execz .LBB276_96
; %bb.94:
	s_waitcnt lgkmcnt(0)
	v_add_f32_e32 v2, 0x358637bd, v1
	v_div_scale_f32 v1, s[6:7], v2, v2, 1.0
	v_div_scale_f32 v3, vcc, 1.0, v2, 1.0
	s_mov_b64 s[6:7], 0
	v_rcp_f32_e32 v4, v1
	v_fma_f32 v5, -v1, v4, 1.0
	v_fmac_f32_e32 v4, v5, v4
	v_mul_f32_e32 v5, v3, v4
	v_fma_f32 v6, -v1, v5, v3
	v_fmac_f32_e32 v5, v6, v4
	v_fma_f32 v1, -v1, v5, v3
	v_div_fmas_f32 v3, v1, v4, v5
	v_mov_b32_e32 v1, 0xb0
	v_lshl_add_u32 v1, v0, 2, v1
	v_div_fixup_f32 v2, v3, v2, 1.0
	v_mov_b32_e32 v3, v0
.LBB276_95:                             ; =>This Inner Loop Header: Depth=1
	ds_read_b32 v4, v1
	v_add_u32_e32 v3, 0x80, v3
	v_cmp_le_i32_e32 vcc, s23, v3
	s_or_b64 s[6:7], vcc, s[6:7]
	s_waitcnt lgkmcnt(0)
	v_mul_f32_e32 v4, v2, v4
	ds_write_b32 v1, v4
	v_add_u32_e32 v1, 0x200, v1
	s_andn2_b64 exec, exec, s[6:7]
	s_cbranch_execnz .LBB276_95
.LBB276_96:
	s_or_b64 exec, exec, s[4:5]
	v_mov_b32_e32 v12, 0
	v_mov_b32_e32 v11, v12
	v_mov_b32_e32 v9, v11
	v_mov_b32_e32 v10, v12
	s_waitcnt lgkmcnt(0)
	s_barrier
	s_and_saveexec_b64 s[6:7], s[2:3]
	s_cbranch_execz .LBB276_204
; %bb.97:
	s_sub_i32 s39, s16, s21
	s_ashr_i32 s2, s20, 31
	s_add_u32 s10, s36, s20
	s_addc_u32 s11, s37, s2
	s_abs_i32 s36, s22
	v_cvt_f32_u32_e32 v1, s36
	s_sub_i32 s3, 0, s36
	v_or_b32_e32 v2, 64, v23
	s_movk_i32 s2, 0x50
	v_rcp_iflag_f32_e32 v1, v1
	v_cmp_gt_u32_e32 vcc, s2, v2
	v_lshlrev_b32_e32 v25, 3, v2
	s_add_i32 s40, s50, -1
	v_mul_f32_e32 v1, 0x4f7ffffe, v1
	v_cvt_u32_f32_e32 v1, v1
	v_and_b32_e32 v3, 60, v13
	v_mov_b32_e32 v11, v12
	s_mov_b32 s12, -1
	v_mul_lo_u32 v4, s3, v1
	s_lshl_b64 s[2:3], s[34:35], 2
	s_add_u32 s2, s30, s2
	s_addc_u32 s3, s31, s3
	v_mul_hi_u32 v2, v1, v4
	v_mov_b32_e32 v9, v11
	s_mov_b32 s37, s17
	s_mov_b32 s13, 0xffffff
	v_add_u32_e32 v26, v1, v2
	v_mov_b32_e32 v1, s3
	v_add_co_u32_e64 v13, s[2:3], s2, v3
	v_addc_co_u32_e64 v14, s[2:3], 0, v1, s[2:3]
	v_mov_b32_e32 v1, 0xb0
	v_lshlrev_b32_e32 v24, 3, v23
	v_lshl_add_u32 v27, v21, 5, v1
	s_mov_b64 s[16:17], 0
	s_movk_i32 s41, 0x80
	s_movk_i32 s42, 0x7f
	s_movk_i32 s43, 0x7fff
	s_mov_b32 s44, 0x7060302
	v_bfrev_b32_e32 v28, 60
	v_mov_b32_e32 v10, v12
	s_branch .LBB276_101
.LBB276_98:                             ;   in Loop: Header=BB276_101 Depth=1
	s_or_b64 exec, exec, s[4:5]
	v_perm_b32 v5, v6, v5, s44
	v_perm_b32 v6, v8, v7, s44
	v_perm_b32 v7, v18, v17, s44
	v_lshlrev_b32_e32 v8, 16, v5
	v_lshlrev_b32_e32 v17, 16, v30
	v_mul_f32_e32 v8, v8, v17
	v_and_b32_e32 v5, 0xffff0000, v5
	v_lshlrev_b32_e32 v16, 16, v16
	v_bfe_u32 v17, v8, 16, 1
	v_mul_f32_e32 v5, v5, v16
	v_add3_u32 v17, v17, v8, s43
	v_or_b32_e32 v18, 0x400000, v8
	v_cmp_u_f32_e64 s[2:3], v8, v8
	v_bfe_u32 v16, v5, 16, 1
	v_cndmask_b32_e64 v8, v17, v18, s[2:3]
	v_add3_u32 v16, v16, v5, s43
	v_or_b32_e32 v17, 0x400000, v5
	v_cmp_u_f32_e64 s[2:3], v5, v5
	v_cndmask_b32_e64 v5, v16, v17, s[2:3]
	v_lshlrev_b32_e32 v16, 16, v6
	v_lshlrev_b32_e32 v17, 16, v29
	v_mul_f32_e32 v16, v16, v17
	v_and_b32_e32 v6, 0xffff0000, v6
	v_lshlrev_b32_e32 v3, 16, v3
	v_bfe_u32 v17, v16, 16, 1
	v_mul_f32_e32 v3, v6, v3
	v_add3_u32 v17, v17, v16, s43
	v_or_b32_e32 v18, 0x400000, v16
	v_cmp_u_f32_e64 s[2:3], v16, v16
	v_bfe_u32 v6, v3, 16, 1
	v_cndmask_b32_e64 v16, v17, v18, s[2:3]
	v_add3_u32 v6, v6, v3, s43
	v_or_b32_e32 v17, 0x400000, v3
	v_cmp_u_f32_e64 s[2:3], v3, v3
	v_cndmask_b32_e64 v3, v6, v17, s[2:3]
	v_lshlrev_b32_e32 v6, 16, v7
	v_lshlrev_b32_e32 v2, 16, v2
	v_mul_f32_e32 v2, v6, v2
	v_bfe_u32 v6, v2, 16, 1
	v_add3_u32 v6, v6, v2, s43
	v_or_b32_e32 v17, 0x400000, v2
	v_cmp_u_f32_e64 s[2:3], v2, v2
	v_cndmask_b32_e64 v2, v6, v17, s[2:3]
	v_and_b32_e32 v6, 0xffff0000, v7
	v_lshlrev_b32_e32 v1, 16, v1
	v_mul_f32_e32 v1, v6, v1
	v_bfe_u32 v6, v1, 16, 1
	v_perm_b32 v4, v4, v19, s44
	v_add3_u32 v6, v6, v1, s43
	v_or_b32_e32 v7, 0x400000, v1
	v_cmp_u_f32_e64 s[2:3], v1, v1
	v_cndmask_b32_e64 v1, v6, v7, s[2:3]
	v_lshlrev_b32_e32 v6, 16, v4
	v_lshlrev_b32_e32 v7, 16, v15
	v_mul_f32_e32 v6, v6, v7
	v_bfe_u32 v7, v6, 16, 1
	v_add3_u32 v7, v7, v6, s43
	v_or_b32_e32 v15, 0x400000, v6
	v_cmp_u_f32_e64 s[2:3], v6, v6
	v_cndmask_b32_e64 v6, v7, v15, s[2:3]
	v_and_b32_e32 v4, 0xffff0000, v4
	v_lshlrev_b32_e32 v7, 16, v11
	v_mul_f32_e32 v4, v4, v7
	v_bfe_u32 v7, v4, 16, 1
	v_add3_u32 v7, v7, v4, s43
	v_or_b32_e32 v11, 0x400000, v4
	v_cmp_u_f32_e64 s[2:3], v4, v4
	v_cndmask_b32_e64 v4, v7, v11, s[2:3]
	v_and_b32_e32 v5, 0xffff0000, v5
	v_and_b32_e32 v7, 0xffff0000, v8
	v_add_f32_e32 v5, v7, v5
	v_and_b32_e32 v3, 0xffff0000, v3
	v_and_b32_e32 v7, 0xffff0000, v16
	v_add_f32_e32 v3, v7, v3
	;; [unrolled: 3-line block ×3, first 2 shown]
	v_add_f32_e32 v1, v2, v1
	v_add_f32_e32 v1, v1, v3
	v_and_b32_e32 v2, 0xffff0000, v4
	v_and_b32_e32 v3, 0xffff0000, v6
	v_add_f32_e32 v2, v3, v2
	v_add_f32_e32 v1, v2, v1
	;; [unrolled: 1-line block ×3, first 2 shown]
.LBB276_99:                             ;   in Loop: Header=BB276_101 Depth=1
	s_or_b64 exec, exec, s[20:21]
.LBB276_100:                            ;   in Loop: Header=BB276_101 Depth=1
	s_or_b64 exec, exec, s[18:19]
	v_add_co_u32_e64 v13, s[2:3], 8, v13
	v_add_u32_e32 v21, 2, v21
	v_addc_co_u32_e64 v14, s[2:3], 0, v14, s[2:3]
	v_cmp_le_i32_e64 s[2:3], s50, v21
	v_add_u32_e32 v22, 16, v22
	s_or_b64 s[16:17], s[2:3], s[16:17]
	v_add_u32_e32 v27, 64, v27
	s_andn2_b64 exec, exec, s[16:17]
	s_cbranch_execz .LBB276_203
.LBB276_101:                            ; =>This Inner Loop Header: Depth=1
	v_mul_hi_u32 v1, v22, s48
	v_mul_lo_u32 v2, v1, s33
	v_add_u32_e32 v3, 1, v1
	v_sub_u32_e32 v2, v22, v2
	v_cmp_le_u32_e64 s[2:3], s33, v2
	v_cndmask_b32_e64 v1, v1, v3, s[2:3]
	v_subrev_u32_e32 v3, s33, v2
	v_cndmask_b32_e64 v2, v2, v3, s[2:3]
	v_add_u32_e32 v3, 1, v1
	v_cmp_le_u32_e64 s[2:3], s33, v2
	v_cndmask_b32_e64 v1, v1, v3, s[2:3]
	v_xor_b32_e32 v1, s49, v1
	v_subrev_u32_e32 v1, s49, v1
	v_add_u32_e32 v2, s38, v1
	v_sub_u32_e32 v3, 0, v2
	v_max_i32_e32 v3, v2, v3
	v_mul_hi_u32 v4, v3, v26
	v_ashrrev_i32_e32 v2, 31, v2
	v_cmp_lt_i32_e64 s[4:5], s39, v1
	v_mul_lo_u32 v4, v4, s36
	v_sub_u32_e32 v3, v3, v4
	v_subrev_u32_e32 v4, s36, v3
	v_cmp_le_u32_e64 s[2:3], s36, v3
	v_cndmask_b32_e64 v3, v3, v4, s[2:3]
	v_subrev_u32_e32 v4, s36, v3
	v_cmp_le_u32_e64 s[2:3], s36, v3
	v_cndmask_b32_e64 v3, v3, v4, s[2:3]
	v_xor_b32_e32 v3, v3, v2
	v_sub_u32_e32 v2, v3, v2
	v_cmp_eq_u32_e64 s[2:3], 0, v2
	s_or_b64 s[2:3], s[2:3], s[4:5]
	s_and_saveexec_b64 s[18:19], s[2:3]
	s_cbranch_execz .LBB276_100
; %bb.102:                              ;   in Loop: Header=BB276_101 Depth=1
	global_load_dword v3, v[13:14], off
	v_mov_b32_e32 v1, s10
	v_mov_b32_e32 v2, s11
	;; [unrolled: 1-line block ×4, first 2 shown]
	s_waitcnt vmcnt(0)
	v_mad_i64_i32 v[15:16], s[2:3], v3, s37, v[1:2]
	v_add_co_u32_e64 v1, s[2:3], v15, v24
	v_addc_co_u32_e64 v2, s[2:3], 0, v16, s[2:3]
	global_load_dwordx2 v[17:18], v[1:2], off
	ds_read2_b64 v[5:8], v27 offset1:1
	ds_read2_b64 v[1:4], v27 offset0:2 offset1:3
	s_load_dword s45, s[14:15], 0x0
	s_waitcnt vmcnt(0)
	v_cmp_ne_u16_sdwa s[2:3], v17, v12 src0_sel:BYTE_0 src1_sel:DWORD
	s_and_saveexec_b64 s[4:5], s[2:3]
	s_cbranch_execz .LBB276_108
; %bb.103:                              ;   in Loop: Header=BB276_101 Depth=1
	v_cmp_ne_u16_sdwa s[2:3], v17, s41 src0_sel:BYTE_0 src1_sel:DWORD
	v_bfrev_b32_e32 v29, 1
	s_and_saveexec_b64 s[20:21], s[2:3]
	s_cbranch_execz .LBB276_107
; %bb.104:                              ;   in Loop: Header=BB276_101 Depth=1
	v_and_b32_e32 v11, 0x7f, v17
	v_cmp_ne_u32_e64 s[2:3], s42, v11
	v_mov_b32_e32 v29, 0x7f800001
	s_and_saveexec_b64 s[22:23], s[2:3]
	s_cbranch_execz .LBB276_106
; %bb.105:                              ;   in Loop: Header=BB276_101 Depth=1
	v_and_b32_e32 v19, 7, v17
	v_ffbh_u32_e32 v19, v19
	v_min_u32_e32 v19, 32, v19
	v_lshrrev_b32_e32 v29, 3, v11
	v_subrev_u32_e32 v31, 28, v19
	v_sub_u32_e32 v19, 29, v19
	v_cmp_gt_u32_e64 s[2:3], 8, v11
	v_cndmask_b32_e64 v11, v29, v19, s[2:3]
	v_cndmask_b32_e64 v19, 0, v31, s[2:3]
	v_lshlrev_b64 v[31:32], v19, v[17:18]
	v_lshlrev_b32_e32 v29, 24, v17
	v_lshlrev_b32_e32 v19, 20, v31
	v_and_b32_e32 v19, 0x700000, v19
	v_and_b32_e32 v29, 0x80000000, v29
	v_lshl_add_u32 v11, v11, 23, v28
	v_or3_b32 v29, v29, v11, v19
.LBB276_106:                            ;   in Loop: Header=BB276_101 Depth=1
	s_or_b64 exec, exec, s[22:23]
.LBB276_107:                            ;   in Loop: Header=BB276_101 Depth=1
	s_or_b64 exec, exec, s[20:21]
.LBB276_108:                            ;   in Loop: Header=BB276_101 Depth=1
	s_or_b64 exec, exec, s[4:5]
	v_lshrrev_b16_e32 v11, 8, v17
	v_cmp_ne_u16_e64 s[2:3], 0, v11
	s_and_saveexec_b64 s[4:5], s[2:3]
	s_cbranch_execz .LBB276_114
; %bb.109:                              ;   in Loop: Header=BB276_101 Depth=1
	v_cmp_ne_u16_e64 s[2:3], s41, v11
	v_bfrev_b32_e32 v30, 1
	s_and_saveexec_b64 s[20:21], s[2:3]
	s_cbranch_execz .LBB276_113
; %bb.110:                              ;   in Loop: Header=BB276_101 Depth=1
	v_and_b32_e32 v19, 0x7f, v11
	v_cmp_ne_u32_e64 s[2:3], s42, v19
	v_mov_b32_e32 v30, 0x7f800001
	s_and_saveexec_b64 s[22:23], s[2:3]
	s_cbranch_execz .LBB276_112
; %bb.111:                              ;   in Loop: Header=BB276_101 Depth=1
	v_and_b32_e32 v32, 7, v11
	v_ffbh_u32_e32 v30, v32
	v_min_u32_e32 v34, 32, v30
	v_subrev_u32_e32 v30, 28, v34
	v_lshlrev_b64 v[30:31], v30, v[11:12]
	v_lshrrev_b32_e32 v33, 3, v19
	v_sub_u32_e32 v11, 29, v34
	v_and_b32_e32 v30, 7, v30
	v_cmp_gt_u32_e64 s[2:3], 8, v19
	v_cndmask_b32_e64 v11, v33, v11, s[2:3]
	v_cndmask_b32_e64 v19, v32, v30, s[2:3]
	v_lshlrev_b32_e32 v30, 16, v17
	v_lshlrev_b32_e32 v19, 20, v19
	v_and_b32_e32 v30, 0x80000000, v30
	v_lshl_add_u32 v11, v11, 23, v28
	v_or3_b32 v30, v30, v11, v19
.LBB276_112:                            ;   in Loop: Header=BB276_101 Depth=1
	s_or_b64 exec, exec, s[22:23]
.LBB276_113:                            ;   in Loop: Header=BB276_101 Depth=1
	s_or_b64 exec, exec, s[20:21]
.LBB276_114:                            ;   in Loop: Header=BB276_101 Depth=1
	s_or_b64 exec, exec, s[4:5]
	v_lshrrev_b32_e32 v11, 16, v17
	v_cmp_ne_u16_sdwa s[2:3], v11, v12 src0_sel:BYTE_0 src1_sel:DWORD
	v_mov_b32_e32 v32, 0
	v_mov_b32_e32 v31, 0
	s_and_saveexec_b64 s[4:5], s[2:3]
	s_cbranch_execz .LBB276_120
; %bb.115:                              ;   in Loop: Header=BB276_101 Depth=1
	v_cmp_ne_u16_sdwa s[2:3], v11, s41 src0_sel:BYTE_0 src1_sel:DWORD
	v_bfrev_b32_e32 v31, 1
	s_and_saveexec_b64 s[20:21], s[2:3]
	s_cbranch_execz .LBB276_119
; %bb.116:                              ;   in Loop: Header=BB276_101 Depth=1
	v_bfe_u32 v19, v17, 16, 7
	v_cmp_ne_u32_e64 s[2:3], s42, v19
	v_mov_b32_e32 v31, 0x7f800001
	s_and_saveexec_b64 s[22:23], s[2:3]
	s_cbranch_execz .LBB276_118
; %bb.117:                              ;   in Loop: Header=BB276_101 Depth=1
	v_and_b32_e32 v31, 7, v11
	v_ffbh_u32_e32 v33, v31
	v_min_u32_e32 v36, 32, v33
	v_subrev_u32_e32 v33, 28, v36
	v_lshlrev_b64 v[33:34], v33, v[11:12]
	v_lshrrev_b32_e32 v35, 3, v19
	v_sub_u32_e32 v34, 29, v36
	v_and_b32_e32 v33, 7, v33
	v_cmp_gt_u32_e64 s[2:3], 8, v19
	v_cndmask_b32_e64 v19, v35, v34, s[2:3]
	v_cndmask_b32_e64 v31, v31, v33, s[2:3]
	v_lshlrev_b32_e32 v11, 24, v11
	v_lshlrev_b32_e32 v31, 20, v31
	v_and_b32_e32 v11, 0x80000000, v11
	v_lshl_add_u32 v19, v19, 23, v28
	v_or3_b32 v31, v11, v19, v31
.LBB276_118:                            ;   in Loop: Header=BB276_101 Depth=1
	s_or_b64 exec, exec, s[22:23]
.LBB276_119:                            ;   in Loop: Header=BB276_101 Depth=1
	s_or_b64 exec, exec, s[20:21]
.LBB276_120:                            ;   in Loop: Header=BB276_101 Depth=1
	s_or_b64 exec, exec, s[4:5]
	v_cmp_lt_u32_e64 s[2:3], s13, v17
	s_and_saveexec_b64 s[4:5], s[2:3]
	s_cbranch_execz .LBB276_126
; %bb.121:                              ;   in Loop: Header=BB276_101 Depth=1
	v_lshrrev_b32_e32 v11, 24, v17
	v_cmp_ne_u32_e64 s[2:3], s41, v11
	v_bfrev_b32_e32 v32, 1
	s_and_saveexec_b64 s[20:21], s[2:3]
	s_cbranch_execz .LBB276_125
; %bb.122:                              ;   in Loop: Header=BB276_101 Depth=1
	v_bfe_u32 v19, v17, 24, 7
	v_cmp_ne_u32_e64 s[2:3], s42, v19
	v_mov_b32_e32 v32, 0x7f800001
	s_and_saveexec_b64 s[22:23], s[2:3]
	s_cbranch_execz .LBB276_124
; %bb.123:                              ;   in Loop: Header=BB276_101 Depth=1
	v_and_b32_e32 v34, 7, v11
	v_ffbh_u32_e32 v32, v34
	v_min_u32_e32 v36, 32, v32
	v_subrev_u32_e32 v32, 28, v36
	v_lshlrev_b64 v[32:33], v32, v[11:12]
	v_lshrrev_b32_e32 v35, 3, v19
	v_sub_u32_e32 v33, 29, v36
	v_and_b32_e32 v32, 7, v32
	v_cmp_gt_u32_e64 s[2:3], 8, v19
	v_cndmask_b32_e64 v19, v35, v33, s[2:3]
	v_cndmask_b32_e64 v32, v34, v32, s[2:3]
	v_lshlrev_b32_e32 v11, 24, v11
	v_lshlrev_b32_e32 v32, 20, v32
	v_and_b32_e32 v11, 0x80000000, v11
	v_lshl_add_u32 v19, v19, 23, v28
	v_or3_b32 v32, v11, v19, v32
.LBB276_124:                            ;   in Loop: Header=BB276_101 Depth=1
	s_or_b64 exec, exec, s[22:23]
.LBB276_125:                            ;   in Loop: Header=BB276_101 Depth=1
	s_or_b64 exec, exec, s[20:21]
.LBB276_126:                            ;   in Loop: Header=BB276_101 Depth=1
	s_or_b64 exec, exec, s[4:5]
	v_mov_b32_e32 v11, v18
	v_cmp_ne_u16_sdwa s[2:3], v18, v12 src0_sel:BYTE_0 src1_sel:DWORD
	v_mov_b32_e32 v34, 0
	v_mov_b32_e32 v33, 0
	s_and_saveexec_b64 s[4:5], s[2:3]
	s_cbranch_execz .LBB276_132
; %bb.127:                              ;   in Loop: Header=BB276_101 Depth=1
	v_cmp_ne_u16_sdwa s[2:3], v18, s41 src0_sel:BYTE_0 src1_sel:DWORD
	v_bfrev_b32_e32 v33, 1
	s_and_saveexec_b64 s[20:21], s[2:3]
	s_cbranch_execz .LBB276_131
; %bb.128:                              ;   in Loop: Header=BB276_101 Depth=1
	v_and_b32_e32 v19, 0x7f, v18
	v_cmp_ne_u32_e64 s[2:3], s42, v19
	v_mov_b32_e32 v33, 0x7f800001
	s_and_saveexec_b64 s[22:23], s[2:3]
	s_cbranch_execz .LBB276_130
; %bb.129:                              ;   in Loop: Header=BB276_101 Depth=1
	v_and_b32_e32 v33, 7, v18
	v_ffbh_u32_e32 v33, v33
	v_min_u32_e32 v33, 32, v33
	v_lshrrev_b32_e32 v35, 3, v19
	v_subrev_u32_e32 v36, 28, v33
	v_sub_u32_e32 v33, 29, v33
	v_cmp_gt_u32_e64 s[2:3], 8, v19
	v_cndmask_b32_e64 v19, v35, v33, s[2:3]
	v_cndmask_b32_e64 v33, 0, v36, s[2:3]
	v_lshlrev_b64 v[35:36], v33, v[11:12]
	v_lshl_add_u32 v19, v19, 23, v28
	v_lshlrev_b32_e32 v33, 20, v35
	v_lshlrev_b32_e32 v35, 24, v11
	v_and_b32_e32 v33, 0x700000, v33
	v_and_b32_e32 v35, 0x80000000, v35
	v_or3_b32 v33, v35, v19, v33
.LBB276_130:                            ;   in Loop: Header=BB276_101 Depth=1
	s_or_b64 exec, exec, s[22:23]
.LBB276_131:                            ;   in Loop: Header=BB276_101 Depth=1
	s_or_b64 exec, exec, s[20:21]
.LBB276_132:                            ;   in Loop: Header=BB276_101 Depth=1
	s_or_b64 exec, exec, s[4:5]
	v_lshrrev_b16_e32 v19, 8, v11
	v_cmp_ne_u16_e64 s[2:3], 0, v19
	s_and_saveexec_b64 s[4:5], s[2:3]
	s_cbranch_execz .LBB276_138
; %bb.133:                              ;   in Loop: Header=BB276_101 Depth=1
	v_cmp_ne_u16_e64 s[2:3], s41, v19
	v_bfrev_b32_e32 v34, 1
	s_and_saveexec_b64 s[20:21], s[2:3]
	s_cbranch_execz .LBB276_137
; %bb.134:                              ;   in Loop: Header=BB276_101 Depth=1
	v_and_b32_e32 v35, 0x7f, v19
	v_cmp_ne_u32_e64 s[2:3], s42, v35
	v_mov_b32_e32 v34, 0x7f800001
	s_and_saveexec_b64 s[22:23], s[2:3]
	s_cbranch_execz .LBB276_136
; %bb.135:                              ;   in Loop: Header=BB276_101 Depth=1
	v_and_b32_e32 v34, 7, v19
	v_ffbh_u32_e32 v36, v34
	v_min_u32_e32 v39, 32, v36
	v_subrev_u32_e32 v36, 28, v39
	v_lshlrev_b64 v[36:37], v36, v[19:20]
	v_lshrrev_b32_e32 v38, 3, v35
	v_sub_u32_e32 v19, 29, v39
	v_and_b32_e32 v36, 7, v36
	v_cmp_gt_u32_e64 s[2:3], 8, v35
	v_cndmask_b32_e64 v19, v38, v19, s[2:3]
	v_cndmask_b32_e64 v34, v34, v36, s[2:3]
	v_lshlrev_b32_e32 v11, 16, v11
	v_lshlrev_b32_e32 v34, 20, v34
	v_and_b32_e32 v11, 0x80000000, v11
	v_lshl_add_u32 v19, v19, 23, v28
	v_or3_b32 v34, v11, v19, v34
.LBB276_136:                            ;   in Loop: Header=BB276_101 Depth=1
	s_or_b64 exec, exec, s[22:23]
.LBB276_137:                            ;   in Loop: Header=BB276_101 Depth=1
	s_or_b64 exec, exec, s[20:21]
.LBB276_138:                            ;   in Loop: Header=BB276_101 Depth=1
	s_or_b64 exec, exec, s[4:5]
	v_lshrrev_b32_e32 v11, 16, v18
	v_cmp_ne_u16_sdwa s[2:3], v11, v12 src0_sel:BYTE_0 src1_sel:DWORD
	v_mov_b32_e32 v19, 0
	v_mov_b32_e32 v35, 0
	s_and_saveexec_b64 s[4:5], s[2:3]
	s_cbranch_execz .LBB276_144
; %bb.139:                              ;   in Loop: Header=BB276_101 Depth=1
	v_cmp_ne_u16_sdwa s[2:3], v11, s41 src0_sel:BYTE_0 src1_sel:DWORD
	v_bfrev_b32_e32 v35, 1
	s_and_saveexec_b64 s[20:21], s[2:3]
	s_cbranch_execz .LBB276_143
; %bb.140:                              ;   in Loop: Header=BB276_101 Depth=1
	v_bfe_u32 v36, v18, 16, 7
	v_cmp_ne_u32_e64 s[2:3], s42, v36
	v_mov_b32_e32 v35, 0x7f800001
	s_and_saveexec_b64 s[22:23], s[2:3]
	s_cbranch_execz .LBB276_142
; %bb.141:                              ;   in Loop: Header=BB276_101 Depth=1
	v_and_b32_e32 v35, 7, v11
	v_ffbh_u32_e32 v37, v35
	v_min_u32_e32 v40, 32, v37
	v_subrev_u32_e32 v37, 28, v40
	v_lshlrev_b64 v[37:38], v37, v[11:12]
	v_lshrrev_b32_e32 v39, 3, v36
	v_sub_u32_e32 v38, 29, v40
	v_and_b32_e32 v37, 7, v37
	v_cmp_gt_u32_e64 s[2:3], 8, v36
	v_cndmask_b32_e64 v36, v39, v38, s[2:3]
	v_cndmask_b32_e64 v35, v35, v37, s[2:3]
	v_lshlrev_b32_e32 v11, 24, v11
	v_lshlrev_b32_e32 v35, 20, v35
	v_and_b32_e32 v11, 0x80000000, v11
	v_lshl_add_u32 v36, v36, 23, v28
	v_or3_b32 v35, v11, v36, v35
.LBB276_142:                            ;   in Loop: Header=BB276_101 Depth=1
	s_or_b64 exec, exec, s[22:23]
.LBB276_143:                            ;   in Loop: Header=BB276_101 Depth=1
	s_or_b64 exec, exec, s[20:21]
.LBB276_144:                            ;   in Loop: Header=BB276_101 Depth=1
	s_or_b64 exec, exec, s[4:5]
	v_cmp_lt_u64_e64 s[2:3], s[12:13], v[17:18]
	s_and_saveexec_b64 s[4:5], s[2:3]
	s_cbranch_execz .LBB276_150
; %bb.145:                              ;   in Loop: Header=BB276_101 Depth=1
	v_lshrrev_b32_e32 v11, 24, v18
	v_cmp_ne_u32_e64 s[2:3], s41, v11
	v_bfrev_b32_e32 v19, 1
	s_and_saveexec_b64 s[20:21], s[2:3]
	s_cbranch_execz .LBB276_149
; %bb.146:                              ;   in Loop: Header=BB276_101 Depth=1
	v_bfe_u32 v17, v18, 24, 7
	v_cmp_ne_u32_e64 s[2:3], s42, v17
	v_mov_b32_e32 v19, 0x7f800001
	s_and_saveexec_b64 s[22:23], s[2:3]
	s_cbranch_execz .LBB276_148
; %bb.147:                              ;   in Loop: Header=BB276_101 Depth=1
	v_and_b32_e32 v36, 7, v11
	v_ffbh_u32_e32 v18, v36
	v_min_u32_e32 v38, 32, v18
	v_subrev_u32_e32 v18, 28, v38
	v_lshlrev_b64 v[18:19], v18, v[11:12]
	v_lshrrev_b32_e32 v37, 3, v17
	v_sub_u32_e32 v19, 29, v38
	v_and_b32_e32 v18, 7, v18
	v_cmp_gt_u32_e64 s[2:3], 8, v17
	v_cndmask_b32_e64 v17, v37, v19, s[2:3]
	v_cndmask_b32_e64 v18, v36, v18, s[2:3]
	v_lshlrev_b32_e32 v11, 24, v11
	v_lshlrev_b32_e32 v18, 20, v18
	v_and_b32_e32 v11, 0x80000000, v11
	v_lshl_add_u32 v17, v17, 23, v28
	v_or3_b32 v19, v11, v17, v18
.LBB276_148:                            ;   in Loop: Header=BB276_101 Depth=1
	s_or_b64 exec, exec, s[22:23]
.LBB276_149:                            ;   in Loop: Header=BB276_101 Depth=1
	s_or_b64 exec, exec, s[20:21]
.LBB276_150:                            ;   in Loop: Header=BB276_101 Depth=1
	s_or_b64 exec, exec, s[4:5]
	s_waitcnt lgkmcnt(0)
	v_mul_f32_e32 v11, s45, v34
	v_bfe_u32 v17, v11, 16, 1
	v_add3_u32 v17, v17, v11, s43
	v_or_b32_e32 v18, 0x400000, v11
	v_cmp_u_f32_e64 s[4:5], v11, v11
	v_cndmask_b32_e64 v11, v17, v18, s[4:5]
	v_mul_f32_e32 v17, s45, v33
	v_bfe_u32 v18, v17, 16, 1
	v_add3_u32 v18, v18, v17, s43
	v_or_b32_e32 v33, 0x400000, v17
	v_cmp_u_f32_e64 s[4:5], v17, v17
	v_cndmask_b32_e64 v17, v18, v33, s[4:5]
	v_lshrrev_b32_e32 v33, 16, v17
	v_mul_f32_e32 v17, s45, v32
	v_bfe_u32 v18, v17, 16, 1
	v_add3_u32 v18, v18, v17, s43
	v_or_b32_e32 v32, 0x400000, v17
	v_cmp_u_f32_e64 s[4:5], v17, v17
	v_cndmask_b32_e64 v17, v18, v32, s[4:5]
	v_lshrrev_b32_e32 v32, 16, v17
	;; [unrolled: 7-line block ×6, first 2 shown]
	v_mul_f32_e32 v17, s45, v19
	v_bfe_u32 v18, v17, 16, 1
	v_add3_u32 v18, v18, v17, s43
	v_or_b32_e32 v19, 0x400000, v17
	v_cmp_u_f32_e64 s[4:5], v17, v17
	v_cndmask_b32_e64 v17, v18, v19, s[4:5]
	v_cmp_eq_u32_e64 s[2:3], s40, v21
	v_lshrrev_b32_e32 v11, 16, v11
	v_lshrrev_b32_e32 v29, 16, v17
	s_and_saveexec_b64 s[20:21], s[2:3]
	s_cbranch_execz .LBB276_152
; %bb.151:                              ;   in Loop: Header=BB276_101 Depth=1
	v_cmp_gt_i32_e64 s[4:5], s25, v22
	v_add_u32_e32 v17, 1, v22
	v_cndmask_b32_e64 v36, 0, v36, s[4:5]
	v_cmp_gt_i32_e64 s[4:5], s25, v17
	v_add_u32_e32 v17, 2, v22
	v_cndmask_b32_e64 v34, 0, v34, s[4:5]
	;; [unrolled: 3-line block ×7, first 2 shown]
	v_cmp_gt_i32_e64 s[4:5], s25, v17
	v_cndmask_b32_e64 v29, 0, v29, s[4:5]
.LBB276_152:                            ;   in Loop: Header=BB276_101 Depth=1
	s_or_b64 exec, exec, s[20:21]
	v_bfe_u32 v17, v5, 16, 1
	v_add3_u32 v17, v17, v5, s43
	v_or_b32_e32 v18, 0x400000, v5
	v_cmp_u_f32_e64 s[4:5], v5, v5
	v_cndmask_b32_e64 v5, v17, v18, s[4:5]
	v_bfe_u32 v17, v6, 16, 1
	v_add3_u32 v17, v17, v6, s43
	v_or_b32_e32 v18, 0x400000, v6
	v_cmp_u_f32_e64 s[4:5], v6, v6
	v_cndmask_b32_e64 v6, v17, v18, s[4:5]
	;; [unrolled: 5-line block ×4, first 2 shown]
	v_bfe_u32 v17, v1, 16, 1
	v_add3_u32 v17, v17, v1, s43
	v_or_b32_e32 v18, 0x400000, v1
	v_cmp_u_f32_e64 s[4:5], v1, v1
	v_bfe_u32 v1, v2, 16, 1
	v_cndmask_b32_e64 v17, v17, v18, s[4:5]
	v_add3_u32 v1, v1, v2, s43
	v_or_b32_e32 v18, 0x400000, v2
	v_cmp_u_f32_e64 s[4:5], v2, v2
	v_cndmask_b32_e64 v18, v1, v18, s[4:5]
	v_bfe_u32 v1, v3, 16, 1
	v_add3_u32 v1, v1, v3, s43
	v_or_b32_e32 v2, 0x400000, v3
	v_cmp_u_f32_e64 s[4:5], v3, v3
	v_cndmask_b32_e64 v19, v1, v2, s[4:5]
	v_bfe_u32 v1, v4, 16, 1
	v_add3_u32 v1, v1, v4, s43
	v_or_b32_e32 v2, 0x400000, v4
	v_cmp_u_f32_e64 s[4:5], v4, v4
	v_cndmask_b32_e64 v4, v1, v2, s[4:5]
	v_and_b32_e32 v1, 0xffff0000, v5
	v_lshlrev_b32_e32 v2, 16, v36
	v_mul_f32_e32 v1, v1, v2
	v_bfe_u32 v2, v1, 16, 1
	v_add3_u32 v2, v2, v1, s43
	v_or_b32_e32 v3, 0x400000, v1
	v_cmp_u_f32_e64 s[4:5], v1, v1
	v_cndmask_b32_e64 v1, v2, v3, s[4:5]
	v_and_b32_e32 v2, 0xffff0000, v6
	v_lshlrev_b32_e32 v3, 16, v34
	v_mul_f32_e32 v2, v2, v3
	;; [unrolled: 8-line block ×7, first 2 shown]
	v_bfe_u32 v33, v30, 16, 1
	v_add3_u32 v33, v33, v30, s43
	v_or_b32_e32 v34, 0x400000, v30
	v_cmp_u_f32_e64 s[4:5], v30, v30
	v_cndmask_b32_e64 v30, v33, v34, s[4:5]
	v_and_b32_e32 v33, 0xffff0000, v4
	v_lshlrev_b32_e32 v29, 16, v29
	v_and_b32_e32 v2, 0xffff0000, v2
	v_and_b32_e32 v1, 0xffff0000, v1
	v_mul_f32_e32 v29, v33, v29
	v_add_f32_e32 v1, v1, v2
	v_and_b32_e32 v2, 0xffff0000, v31
	v_and_b32_e32 v3, 0xffff0000, v3
	v_bfe_u32 v33, v29, 16, 1
	v_add_f32_e32 v2, v3, v2
	v_add3_u32 v33, v33, v29, s43
	v_or_b32_e32 v34, 0x400000, v29
	v_cmp_u_f32_e64 s[4:5], v29, v29
	v_add_f32_e32 v1, v2, v1
	v_and_b32_e32 v2, 0xffff0000, v11
	v_and_b32_e32 v3, 0xffff0000, v32
	v_cndmask_b32_e64 v29, v33, v34, s[4:5]
	v_add_f32_e32 v2, v3, v2
	v_add_f32_e32 v1, v2, v1
	v_and_b32_e32 v2, 0xffff0000, v29
	v_and_b32_e32 v3, 0xffff0000, v30
	v_add_f32_e32 v2, v3, v2
	v_add_f32_e32 v1, v2, v1
	;; [unrolled: 1-line block ×3, first 2 shown]
	s_and_saveexec_b64 s[20:21], vcc
	s_cbranch_execz .LBB276_99
; %bb.153:                              ;   in Loop: Header=BB276_101 Depth=1
	v_add_co_u32_e64 v1, s[4:5], v15, v25
	v_addc_co_u32_e64 v2, s[4:5], 0, v16, s[4:5]
	global_load_dwordx2 v[1:2], v[1:2], off
	v_mov_b32_e32 v16, 0
	v_mov_b32_e32 v15, 0
	s_waitcnt vmcnt(0)
	v_cmp_ne_u16_sdwa s[4:5], v1, v12 src0_sel:BYTE_0 src1_sel:DWORD
	s_and_saveexec_b64 s[22:23], s[4:5]
	s_cbranch_execz .LBB276_159
; %bb.154:                              ;   in Loop: Header=BB276_101 Depth=1
	v_cmp_ne_u16_sdwa s[4:5], v1, s41 src0_sel:BYTE_0 src1_sel:DWORD
	v_bfrev_b32_e32 v15, 1
	s_and_saveexec_b64 s[30:31], s[4:5]
	s_cbranch_execz .LBB276_158
; %bb.155:                              ;   in Loop: Header=BB276_101 Depth=1
	v_and_b32_e32 v3, 0x7f, v1
	v_cmp_ne_u32_e64 s[4:5], s42, v3
	v_mov_b32_e32 v15, 0x7f800001
	s_and_saveexec_b64 s[34:35], s[4:5]
	s_cbranch_execz .LBB276_157
; %bb.156:                              ;   in Loop: Header=BB276_101 Depth=1
	v_and_b32_e32 v11, 7, v1
	v_ffbh_u32_e32 v11, v11
	v_min_u32_e32 v11, 32, v11
	v_lshrrev_b32_e32 v15, 3, v3
	v_subrev_u32_e32 v29, 28, v11
	v_sub_u32_e32 v11, 29, v11
	v_cmp_gt_u32_e64 s[4:5], 8, v3
	v_cndmask_b32_e64 v3, v15, v11, s[4:5]
	v_cndmask_b32_e64 v11, 0, v29, s[4:5]
	v_lshlrev_b64 v[29:30], v11, v[1:2]
	v_lshlrev_b32_e32 v15, 24, v1
	v_lshlrev_b32_e32 v11, 20, v29
	v_and_b32_e32 v11, 0x700000, v11
	v_and_b32_e32 v15, 0x80000000, v15
	v_lshl_add_u32 v3, v3, 23, v28
	v_or3_b32 v15, v15, v3, v11
.LBB276_157:                            ;   in Loop: Header=BB276_101 Depth=1
	s_or_b64 exec, exec, s[34:35]
.LBB276_158:                            ;   in Loop: Header=BB276_101 Depth=1
	s_or_b64 exec, exec, s[30:31]
.LBB276_159:                            ;   in Loop: Header=BB276_101 Depth=1
	s_or_b64 exec, exec, s[22:23]
	v_lshrrev_b16_e32 v3, 8, v1
	v_cmp_ne_u16_e64 s[4:5], 0, v3
	s_and_saveexec_b64 s[22:23], s[4:5]
	s_cbranch_execz .LBB276_165
; %bb.160:                              ;   in Loop: Header=BB276_101 Depth=1
	v_cmp_ne_u16_e64 s[4:5], s41, v3
	v_bfrev_b32_e32 v16, 1
	s_and_saveexec_b64 s[30:31], s[4:5]
	s_cbranch_execz .LBB276_164
; %bb.161:                              ;   in Loop: Header=BB276_101 Depth=1
	v_and_b32_e32 v11, 0x7f, v3
	v_cmp_ne_u32_e64 s[4:5], s42, v11
	v_mov_b32_e32 v16, 0x7f800001
	s_and_saveexec_b64 s[34:35], s[4:5]
	s_cbranch_execz .LBB276_163
; %bb.162:                              ;   in Loop: Header=BB276_101 Depth=1
	v_and_b32_e32 v16, 7, v3
	v_ffbh_u32_e32 v29, v16
	v_min_u32_e32 v32, 32, v29
	v_subrev_u32_e32 v29, 28, v32
	v_lshlrev_b64 v[29:30], v29, v[3:4]
	v_lshrrev_b32_e32 v31, 3, v11
	v_sub_u32_e32 v3, 29, v32
	v_and_b32_e32 v29, 7, v29
	v_cmp_gt_u32_e64 s[4:5], 8, v11
	v_cndmask_b32_e64 v3, v31, v3, s[4:5]
	v_cndmask_b32_e64 v11, v16, v29, s[4:5]
	v_lshlrev_b32_e32 v16, 16, v1
	v_lshlrev_b32_e32 v11, 20, v11
	v_and_b32_e32 v16, 0x80000000, v16
	v_lshl_add_u32 v3, v3, 23, v28
	v_or3_b32 v16, v16, v3, v11
.LBB276_163:                            ;   in Loop: Header=BB276_101 Depth=1
	s_or_b64 exec, exec, s[34:35]
.LBB276_164:                            ;   in Loop: Header=BB276_101 Depth=1
	s_or_b64 exec, exec, s[30:31]
.LBB276_165:                            ;   in Loop: Header=BB276_101 Depth=1
	s_or_b64 exec, exec, s[22:23]
	v_lshrrev_b32_e32 v3, 16, v1
	v_cmp_ne_u16_sdwa s[4:5], v3, v12 src0_sel:BYTE_0 src1_sel:DWORD
	v_mov_b32_e32 v30, 0
	v_mov_b32_e32 v29, 0
	s_and_saveexec_b64 s[22:23], s[4:5]
	s_cbranch_execz .LBB276_171
; %bb.166:                              ;   in Loop: Header=BB276_101 Depth=1
	v_cmp_ne_u16_sdwa s[4:5], v3, s41 src0_sel:BYTE_0 src1_sel:DWORD
	v_bfrev_b32_e32 v29, 1
	s_and_saveexec_b64 s[30:31], s[4:5]
	s_cbranch_execz .LBB276_170
; %bb.167:                              ;   in Loop: Header=BB276_101 Depth=1
	v_bfe_u32 v11, v1, 16, 7
	v_cmp_ne_u32_e64 s[4:5], s42, v11
	v_mov_b32_e32 v29, 0x7f800001
	s_and_saveexec_b64 s[34:35], s[4:5]
	s_cbranch_execz .LBB276_169
; %bb.168:                              ;   in Loop: Header=BB276_101 Depth=1
	v_and_b32_e32 v29, 7, v3
	v_ffbh_u32_e32 v31, v29
	v_min_u32_e32 v34, 32, v31
	v_subrev_u32_e32 v31, 28, v34
	v_lshlrev_b64 v[31:32], v31, v[3:4]
	v_lshrrev_b32_e32 v33, 3, v11
	v_sub_u32_e32 v32, 29, v34
	v_and_b32_e32 v31, 7, v31
	v_cmp_gt_u32_e64 s[4:5], 8, v11
	v_cndmask_b32_e64 v11, v33, v32, s[4:5]
	v_cndmask_b32_e64 v29, v29, v31, s[4:5]
	v_lshlrev_b32_e32 v3, 24, v3
	v_lshlrev_b32_e32 v29, 20, v29
	v_and_b32_e32 v3, 0x80000000, v3
	v_lshl_add_u32 v11, v11, 23, v28
	v_or3_b32 v29, v3, v11, v29
.LBB276_169:                            ;   in Loop: Header=BB276_101 Depth=1
	s_or_b64 exec, exec, s[34:35]
.LBB276_170:                            ;   in Loop: Header=BB276_101 Depth=1
	s_or_b64 exec, exec, s[30:31]
.LBB276_171:                            ;   in Loop: Header=BB276_101 Depth=1
	s_or_b64 exec, exec, s[22:23]
	v_cmp_lt_u32_e64 s[4:5], s13, v1
	s_and_saveexec_b64 s[22:23], s[4:5]
	s_cbranch_execz .LBB276_177
; %bb.172:                              ;   in Loop: Header=BB276_101 Depth=1
	v_lshrrev_b32_e32 v3, 24, v1
	v_cmp_ne_u32_e64 s[4:5], s41, v3
	v_bfrev_b32_e32 v30, 1
	s_and_saveexec_b64 s[30:31], s[4:5]
	s_cbranch_execz .LBB276_176
; %bb.173:                              ;   in Loop: Header=BB276_101 Depth=1
	v_bfe_u32 v11, v1, 24, 7
	v_cmp_ne_u32_e64 s[4:5], s42, v11
	v_mov_b32_e32 v30, 0x7f800001
	s_and_saveexec_b64 s[34:35], s[4:5]
	s_cbranch_execz .LBB276_175
; %bb.174:                              ;   in Loop: Header=BB276_101 Depth=1
	v_and_b32_e32 v32, 7, v3
	v_ffbh_u32_e32 v30, v32
	v_min_u32_e32 v34, 32, v30
	v_subrev_u32_e32 v30, 28, v34
	v_lshlrev_b64 v[30:31], v30, v[3:4]
	v_lshrrev_b32_e32 v33, 3, v11
	v_sub_u32_e32 v31, 29, v34
	v_and_b32_e32 v30, 7, v30
	v_cmp_gt_u32_e64 s[4:5], 8, v11
	v_cndmask_b32_e64 v11, v33, v31, s[4:5]
	v_cndmask_b32_e64 v30, v32, v30, s[4:5]
	v_lshlrev_b32_e32 v3, 24, v3
	v_lshlrev_b32_e32 v30, 20, v30
	v_and_b32_e32 v3, 0x80000000, v3
	v_lshl_add_u32 v11, v11, 23, v28
	v_or3_b32 v30, v3, v11, v30
.LBB276_175:                            ;   in Loop: Header=BB276_101 Depth=1
	s_or_b64 exec, exec, s[34:35]
.LBB276_176:                            ;   in Loop: Header=BB276_101 Depth=1
	s_or_b64 exec, exec, s[30:31]
.LBB276_177:                            ;   in Loop: Header=BB276_101 Depth=1
	s_or_b64 exec, exec, s[22:23]
	v_mov_b32_e32 v11, v2
	v_cmp_ne_u16_sdwa s[4:5], v2, v12 src0_sel:BYTE_0 src1_sel:DWORD
	v_mov_b32_e32 v32, 0
	v_mov_b32_e32 v31, 0
	s_and_saveexec_b64 s[22:23], s[4:5]
	s_cbranch_execz .LBB276_183
; %bb.178:                              ;   in Loop: Header=BB276_101 Depth=1
	v_cmp_ne_u16_sdwa s[4:5], v2, s41 src0_sel:BYTE_0 src1_sel:DWORD
	v_bfrev_b32_e32 v31, 1
	s_and_saveexec_b64 s[30:31], s[4:5]
	s_cbranch_execz .LBB276_182
; %bb.179:                              ;   in Loop: Header=BB276_101 Depth=1
	v_and_b32_e32 v3, 0x7f, v2
	v_cmp_ne_u32_e64 s[4:5], s42, v3
	v_mov_b32_e32 v31, 0x7f800001
	s_and_saveexec_b64 s[34:35], s[4:5]
	s_cbranch_execz .LBB276_181
; %bb.180:                              ;   in Loop: Header=BB276_101 Depth=1
	v_and_b32_e32 v31, 7, v2
	v_ffbh_u32_e32 v31, v31
	v_min_u32_e32 v31, 32, v31
	v_lshrrev_b32_e32 v33, 3, v3
	v_subrev_u32_e32 v34, 28, v31
	v_sub_u32_e32 v31, 29, v31
	v_cmp_gt_u32_e64 s[4:5], 8, v3
	v_cndmask_b32_e64 v3, v33, v31, s[4:5]
	v_cndmask_b32_e64 v31, 0, v34, s[4:5]
	v_lshlrev_b64 v[33:34], v31, v[11:12]
	v_lshl_add_u32 v3, v3, 23, v28
	v_lshlrev_b32_e32 v31, 20, v33
	v_lshlrev_b32_e32 v33, 24, v11
	v_and_b32_e32 v31, 0x700000, v31
	v_and_b32_e32 v33, 0x80000000, v33
	v_or3_b32 v31, v33, v3, v31
.LBB276_181:                            ;   in Loop: Header=BB276_101 Depth=1
	s_or_b64 exec, exec, s[34:35]
.LBB276_182:                            ;   in Loop: Header=BB276_101 Depth=1
	s_or_b64 exec, exec, s[30:31]
.LBB276_183:                            ;   in Loop: Header=BB276_101 Depth=1
	s_or_b64 exec, exec, s[22:23]
	v_lshrrev_b16_e32 v3, 8, v11
	v_cmp_ne_u16_e64 s[4:5], 0, v3
	s_and_saveexec_b64 s[22:23], s[4:5]
	s_cbranch_execz .LBB276_189
; %bb.184:                              ;   in Loop: Header=BB276_101 Depth=1
	v_cmp_ne_u16_e64 s[4:5], s41, v3
	v_bfrev_b32_e32 v32, 1
	s_and_saveexec_b64 s[30:31], s[4:5]
	s_cbranch_execz .LBB276_188
; %bb.185:                              ;   in Loop: Header=BB276_101 Depth=1
	v_and_b32_e32 v33, 0x7f, v3
	v_cmp_ne_u32_e64 s[4:5], s42, v33
	v_mov_b32_e32 v32, 0x7f800001
	s_and_saveexec_b64 s[34:35], s[4:5]
	s_cbranch_execz .LBB276_187
; %bb.186:                              ;   in Loop: Header=BB276_101 Depth=1
	v_and_b32_e32 v32, 7, v3
	v_ffbh_u32_e32 v34, v32
	v_min_u32_e32 v37, 32, v34
	v_subrev_u32_e32 v34, 28, v37
	v_lshlrev_b64 v[34:35], v34, v[3:4]
	v_lshrrev_b32_e32 v36, 3, v33
	v_sub_u32_e32 v3, 29, v37
	v_and_b32_e32 v34, 7, v34
	v_cmp_gt_u32_e64 s[4:5], 8, v33
	v_cndmask_b32_e64 v3, v36, v3, s[4:5]
	v_cndmask_b32_e64 v32, v32, v34, s[4:5]
	v_lshlrev_b32_e32 v11, 16, v11
	v_lshlrev_b32_e32 v32, 20, v32
	v_and_b32_e32 v11, 0x80000000, v11
	v_lshl_add_u32 v3, v3, 23, v28
	v_or3_b32 v32, v11, v3, v32
.LBB276_187:                            ;   in Loop: Header=BB276_101 Depth=1
	s_or_b64 exec, exec, s[34:35]
.LBB276_188:                            ;   in Loop: Header=BB276_101 Depth=1
	s_or_b64 exec, exec, s[30:31]
.LBB276_189:                            ;   in Loop: Header=BB276_101 Depth=1
	s_or_b64 exec, exec, s[22:23]
	v_lshrrev_b32_e32 v3, 16, v2
	v_cmp_ne_u16_sdwa s[4:5], v3, v12 src0_sel:BYTE_0 src1_sel:DWORD
	v_mov_b32_e32 v11, 0
	v_mov_b32_e32 v33, 0
	s_and_saveexec_b64 s[22:23], s[4:5]
	s_cbranch_execz .LBB276_195
; %bb.190:                              ;   in Loop: Header=BB276_101 Depth=1
	v_cmp_ne_u16_sdwa s[4:5], v3, s41 src0_sel:BYTE_0 src1_sel:DWORD
	v_bfrev_b32_e32 v33, 1
	s_and_saveexec_b64 s[30:31], s[4:5]
	s_cbranch_execz .LBB276_194
; %bb.191:                              ;   in Loop: Header=BB276_101 Depth=1
	v_bfe_u32 v34, v2, 16, 7
	v_cmp_ne_u32_e64 s[4:5], s42, v34
	v_mov_b32_e32 v33, 0x7f800001
	s_and_saveexec_b64 s[34:35], s[4:5]
	s_cbranch_execz .LBB276_193
; %bb.192:                              ;   in Loop: Header=BB276_101 Depth=1
	v_and_b32_e32 v33, 7, v3
	v_ffbh_u32_e32 v35, v33
	v_min_u32_e32 v38, 32, v35
	v_subrev_u32_e32 v35, 28, v38
	v_lshlrev_b64 v[35:36], v35, v[3:4]
	v_lshrrev_b32_e32 v37, 3, v34
	v_sub_u32_e32 v36, 29, v38
	v_and_b32_e32 v35, 7, v35
	v_cmp_gt_u32_e64 s[4:5], 8, v34
	v_cndmask_b32_e64 v34, v37, v36, s[4:5]
	v_cndmask_b32_e64 v33, v33, v35, s[4:5]
	v_lshlrev_b32_e32 v3, 24, v3
	v_lshlrev_b32_e32 v33, 20, v33
	v_and_b32_e32 v3, 0x80000000, v3
	v_lshl_add_u32 v34, v34, 23, v28
	v_or3_b32 v33, v3, v34, v33
.LBB276_193:                            ;   in Loop: Header=BB276_101 Depth=1
	s_or_b64 exec, exec, s[34:35]
.LBB276_194:                            ;   in Loop: Header=BB276_101 Depth=1
	s_or_b64 exec, exec, s[30:31]
.LBB276_195:                            ;   in Loop: Header=BB276_101 Depth=1
	s_or_b64 exec, exec, s[22:23]
	v_cmp_lt_u64_e64 s[4:5], s[12:13], v[1:2]
	s_and_saveexec_b64 s[22:23], s[4:5]
	s_cbranch_execz .LBB276_201
; %bb.196:                              ;   in Loop: Header=BB276_101 Depth=1
	v_lshrrev_b32_e32 v1, 24, v2
	v_cmp_ne_u32_e64 s[4:5], s41, v1
	v_bfrev_b32_e32 v11, 1
	s_and_saveexec_b64 s[30:31], s[4:5]
	s_cbranch_execz .LBB276_200
; %bb.197:                              ;   in Loop: Header=BB276_101 Depth=1
	v_bfe_u32 v2, v2, 24, 7
	v_cmp_ne_u32_e64 s[4:5], s42, v2
	v_mov_b32_e32 v11, 0x7f800001
	s_and_saveexec_b64 s[34:35], s[4:5]
	s_cbranch_execz .LBB276_199
; %bb.198:                              ;   in Loop: Header=BB276_101 Depth=1
	v_and_b32_e32 v3, 7, v1
	v_ffbh_u32_e32 v34, v3
	v_min_u32_e32 v36, 32, v34
	v_subrev_u32_e32 v34, 28, v36
	v_lshlrev_b64 v[34:35], v34, v[1:2]
	v_lshrrev_b32_e32 v11, 3, v2
	v_sub_u32_e32 v35, 29, v36
	v_and_b32_e32 v34, 7, v34
	v_cmp_gt_u32_e64 s[4:5], 8, v2
	v_cndmask_b32_e64 v2, v11, v35, s[4:5]
	v_cndmask_b32_e64 v3, v3, v34, s[4:5]
	v_lshlrev_b32_e32 v1, 24, v1
	v_lshlrev_b32_e32 v3, 20, v3
	v_and_b32_e32 v1, 0x80000000, v1
	v_lshl_add_u32 v2, v2, 23, v28
	v_or3_b32 v11, v1, v2, v3
.LBB276_199:                            ;   in Loop: Header=BB276_101 Depth=1
	s_or_b64 exec, exec, s[34:35]
.LBB276_200:                            ;   in Loop: Header=BB276_101 Depth=1
	s_or_b64 exec, exec, s[30:31]
.LBB276_201:                            ;   in Loop: Header=BB276_101 Depth=1
	s_or_b64 exec, exec, s[22:23]
	v_mul_f32_e32 v1, s45, v32
	v_bfe_u32 v2, v1, 16, 1
	v_add3_u32 v2, v2, v1, s43
	v_or_b32_e32 v3, 0x400000, v1
	v_cmp_u_f32_e64 s[4:5], v1, v1
	v_cndmask_b32_e64 v1, v2, v3, s[4:5]
	v_mul_f32_e32 v2, s45, v31
	v_bfe_u32 v3, v2, 16, 1
	v_add3_u32 v3, v3, v2, s43
	v_or_b32_e32 v31, 0x400000, v2
	v_cmp_u_f32_e64 s[4:5], v2, v2
	v_cndmask_b32_e64 v2, v3, v31, s[4:5]
	v_mul_f32_e32 v3, s45, v30
	v_bfe_u32 v30, v3, 16, 1
	v_add3_u32 v30, v30, v3, s43
	v_or_b32_e32 v31, 0x400000, v3
	v_cmp_u_f32_e64 s[4:5], v3, v3
	v_mul_f32_e32 v29, s45, v29
	v_cndmask_b32_e64 v3, v30, v31, s[4:5]
	v_bfe_u32 v30, v29, 16, 1
	v_add3_u32 v30, v30, v29, s43
	v_or_b32_e32 v31, 0x400000, v29
	v_cmp_u_f32_e64 s[4:5], v29, v29
	v_mul_f32_e32 v16, s45, v16
	v_cndmask_b32_e64 v29, v30, v31, s[4:5]
	;; [unrolled: 6-line block ×3, first 2 shown]
	v_bfe_u32 v30, v15, 16, 1
	v_add3_u32 v30, v30, v15, s43
	v_or_b32_e32 v31, 0x400000, v15
	v_cmp_u_f32_e64 s[4:5], v15, v15
	v_cndmask_b32_e64 v15, v30, v31, s[4:5]
	v_lshrrev_b32_e32 v30, 16, v15
	v_mul_f32_e32 v15, s45, v33
	v_bfe_u32 v31, v15, 16, 1
	v_add3_u32 v31, v31, v15, s43
	v_or_b32_e32 v32, 0x400000, v15
	v_cmp_u_f32_e64 s[4:5], v15, v15
	v_mul_f32_e32 v11, s45, v11
	v_cndmask_b32_e64 v15, v31, v32, s[4:5]
	v_bfe_u32 v31, v11, 16, 1
	v_add3_u32 v31, v31, v11, s43
	v_or_b32_e32 v32, 0x400000, v11
	v_cmp_u_f32_e64 s[4:5], v11, v11
	v_cndmask_b32_e64 v11, v31, v32, s[4:5]
	v_lshrrev_b32_e32 v1, 16, v1
	v_lshrrev_b32_e32 v2, 16, v2
	;; [unrolled: 1-line block ×7, first 2 shown]
	s_and_saveexec_b64 s[4:5], s[2:3]
	s_cbranch_execz .LBB276_98
; %bb.202:                              ;   in Loop: Header=BB276_101 Depth=1
	v_cmp_gt_i32_e64 s[2:3], s25, v22
	v_add_u32_e32 v31, 1, v22
	v_cndmask_b32_e64 v30, 0, v30, s[2:3]
	v_cmp_gt_i32_e64 s[2:3], s25, v31
	v_add_u32_e32 v31, 2, v22
	v_cndmask_b32_e64 v16, 0, v16, s[2:3]
	;; [unrolled: 3-line block ×7, first 2 shown]
	v_cmp_gt_i32_e64 s[2:3], s25, v31
	v_cndmask_b32_e64 v11, 0, v11, s[2:3]
	s_branch .LBB276_98
.LBB276_203:
	s_or_b64 exec, exec, s[16:17]
.LBB276_204:
	s_or_b64 exec, exec, s[6:7]
	v_and_b32_e32 v1, 0x3c0, v0
	v_cmp_eq_u32_e32 vcc, 64, v1
	s_barrier
	s_and_saveexec_b64 s[2:3], vcc
	s_cbranch_execz .LBB276_207
; %bb.205:
	v_mov_b32_e32 v1, 0xb0
	v_lshl_add_u32 v2, v23, 2, v1
	ds_write_b32 v2, v9
	s_and_b64 exec, exec, s[0:1]
; %bb.206:
	v_lshl_add_u32 v1, v0, 2, v1
	ds_write_b32 v1, v10
.LBB276_207:
	s_or_b64 exec, exec, s[2:3]
	v_cmp_gt_u32_e32 vcc, 64, v0
	v_or_b32_e32 v1, 64, v0
	s_waitcnt lgkmcnt(0)
	s_barrier
	s_and_saveexec_b64 s[2:3], vcc
	s_cbranch_execz .LBB276_211
; %bb.208:
	v_mov_b32_e32 v2, 0xb0
	v_lshl_add_u32 v0, v0, 2, v2
	ds_read_b32 v2, v0
	s_movk_i32 s0, 0x50
	v_cmp_gt_u32_e64 s[0:1], s0, v1
	s_waitcnt lgkmcnt(0)
	v_add_f32_e32 v9, v9, v2
	s_and_saveexec_b64 s[4:5], s[0:1]
	s_cbranch_execz .LBB276_210
; %bb.209:
	ds_read_b32 v0, v0 offset:256
	s_waitcnt lgkmcnt(0)
	v_add_f32_e32 v10, v10, v0
.LBB276_210:
	s_or_b64 exec, exec, s[4:5]
.LBB276_211:
	s_or_b64 exec, exec, s[2:3]
	s_barrier
	s_and_saveexec_b64 s[0:1], vcc
	s_cbranch_execz .LBB276_214
; %bb.212:
	s_mul_i32 s0, s24, s27
	s_mul_i32 s0, s0, s9
	s_mulk_i32 s0, 0x50
	s_ashr_i32 s1, s0, 31
	s_lshl_b64 s[0:1], s[0:1], 1
	s_add_u32 s2, s28, s0
	s_mul_i32 s0, s27, s26
	s_addc_u32 s4, s29, s1
	s_ashr_i32 s1, s0, 31
	s_lshl_b64 s[0:1], s[0:1], 1
	s_add_u32 s2, s2, s0
	s_mul_i32 s0, s8, 0x50
	s_addc_u32 s4, s4, s1
	s_ashr_i32 s1, s0, 31
	s_lshl_b64 s[0:1], s[0:1], 1
	s_add_u32 s0, s2, s0
	v_bfe_u32 v0, v9, 16, 1
	s_movk_i32 s2, 0x7fff
	s_movk_i32 s3, 0x50
	v_add3_u32 v0, v0, v9, s2
	v_or_b32_e32 v2, 0x400000, v9
	v_cmp_u_f32_e32 vcc, v9, v9
	s_addc_u32 s1, s4, s1
	v_cndmask_b32_e32 v0, v0, v2, vcc
	v_cmp_gt_u32_e32 vcc, s3, v1
	global_store_short_d16_hi v20, v0, s[0:1]
	s_and_b64 exec, exec, vcc
	s_cbranch_execz .LBB276_214
; %bb.213:
	v_mov_b32_e32 v1, s1
	v_add_co_u32_e32 v0, vcc, s0, v20
	v_addc_co_u32_e32 v1, vcc, 0, v1, vcc
	v_bfe_u32 v2, v10, 16, 1
	v_add3_u32 v2, v2, v10, s2
	v_or_b32_e32 v3, 0x400000, v10
	v_cmp_u_f32_e32 vcc, v10, v10
	v_cndmask_b32_e32 v2, v2, v3, vcc
	global_store_short_d16_hi v[0:1], v2, off offset:128
.LBB276_214:
	s_endpgm
	.section	.rodata,"a",@progbits
	.p2align	6, 0x0
	.amdhsa_kernel _ZN4vllm25paged_attention_v1_kernelI14__hip_bfloat16hLi80ELi8ELi128ELNS_18Fp8KVCacheDataTypeE1ELb1EEEvPT_PKS3_PKT0_S9_ifPKiSB_iPKfiiiSD_SD_iiiii
		.amdhsa_group_segment_fixed_size 176
		.amdhsa_private_segment_fixed_size 0
		.amdhsa_kernarg_size 384
		.amdhsa_user_sgpr_count 6
		.amdhsa_user_sgpr_private_segment_buffer 1
		.amdhsa_user_sgpr_dispatch_ptr 0
		.amdhsa_user_sgpr_queue_ptr 0
		.amdhsa_user_sgpr_kernarg_segment_ptr 1
		.amdhsa_user_sgpr_dispatch_id 0
		.amdhsa_user_sgpr_flat_scratch_init 0
		.amdhsa_user_sgpr_private_segment_size 0
		.amdhsa_uses_dynamic_stack 0
		.amdhsa_system_sgpr_private_segment_wavefront_offset 0
		.amdhsa_system_sgpr_workgroup_id_x 1
		.amdhsa_system_sgpr_workgroup_id_y 1
		.amdhsa_system_sgpr_workgroup_id_z 1
		.amdhsa_system_sgpr_workgroup_info 0
		.amdhsa_system_vgpr_workitem_id 0
		.amdhsa_next_free_vgpr 45
		.amdhsa_next_free_sgpr 58
		.amdhsa_reserve_vcc 1
		.amdhsa_reserve_flat_scratch 0
		.amdhsa_float_round_mode_32 0
		.amdhsa_float_round_mode_16_64 0
		.amdhsa_float_denorm_mode_32 3
		.amdhsa_float_denorm_mode_16_64 3
		.amdhsa_dx10_clamp 1
		.amdhsa_ieee_mode 1
		.amdhsa_fp16_overflow 0
		.amdhsa_exception_fp_ieee_invalid_op 0
		.amdhsa_exception_fp_denorm_src 0
		.amdhsa_exception_fp_ieee_div_zero 0
		.amdhsa_exception_fp_ieee_overflow 0
		.amdhsa_exception_fp_ieee_underflow 0
		.amdhsa_exception_fp_ieee_inexact 0
		.amdhsa_exception_int_div_zero 0
	.end_amdhsa_kernel
	.section	.text._ZN4vllm25paged_attention_v1_kernelI14__hip_bfloat16hLi80ELi8ELi128ELNS_18Fp8KVCacheDataTypeE1ELb1EEEvPT_PKS3_PKT0_S9_ifPKiSB_iPKfiiiSD_SD_iiiii,"axG",@progbits,_ZN4vllm25paged_attention_v1_kernelI14__hip_bfloat16hLi80ELi8ELi128ELNS_18Fp8KVCacheDataTypeE1ELb1EEEvPT_PKS3_PKT0_S9_ifPKiSB_iPKfiiiSD_SD_iiiii,comdat
.Lfunc_end276:
	.size	_ZN4vllm25paged_attention_v1_kernelI14__hip_bfloat16hLi80ELi8ELi128ELNS_18Fp8KVCacheDataTypeE1ELb1EEEvPT_PKS3_PKT0_S9_ifPKiSB_iPKfiiiSD_SD_iiiii, .Lfunc_end276-_ZN4vllm25paged_attention_v1_kernelI14__hip_bfloat16hLi80ELi8ELi128ELNS_18Fp8KVCacheDataTypeE1ELb1EEEvPT_PKS3_PKT0_S9_ifPKiSB_iPKfiiiSD_SD_iiiii
                                        ; -- End function
	.set _ZN4vllm25paged_attention_v1_kernelI14__hip_bfloat16hLi80ELi8ELi128ELNS_18Fp8KVCacheDataTypeE1ELb1EEEvPT_PKS3_PKT0_S9_ifPKiSB_iPKfiiiSD_SD_iiiii.num_vgpr, 45
	.set _ZN4vllm25paged_attention_v1_kernelI14__hip_bfloat16hLi80ELi8ELi128ELNS_18Fp8KVCacheDataTypeE1ELb1EEEvPT_PKS3_PKT0_S9_ifPKiSB_iPKfiiiSD_SD_iiiii.num_agpr, 0
	.set _ZN4vllm25paged_attention_v1_kernelI14__hip_bfloat16hLi80ELi8ELi128ELNS_18Fp8KVCacheDataTypeE1ELb1EEEvPT_PKS3_PKT0_S9_ifPKiSB_iPKfiiiSD_SD_iiiii.numbered_sgpr, 58
	.set _ZN4vllm25paged_attention_v1_kernelI14__hip_bfloat16hLi80ELi8ELi128ELNS_18Fp8KVCacheDataTypeE1ELb1EEEvPT_PKS3_PKT0_S9_ifPKiSB_iPKfiiiSD_SD_iiiii.num_named_barrier, 0
	.set _ZN4vllm25paged_attention_v1_kernelI14__hip_bfloat16hLi80ELi8ELi128ELNS_18Fp8KVCacheDataTypeE1ELb1EEEvPT_PKS3_PKT0_S9_ifPKiSB_iPKfiiiSD_SD_iiiii.private_seg_size, 0
	.set _ZN4vllm25paged_attention_v1_kernelI14__hip_bfloat16hLi80ELi8ELi128ELNS_18Fp8KVCacheDataTypeE1ELb1EEEvPT_PKS3_PKT0_S9_ifPKiSB_iPKfiiiSD_SD_iiiii.uses_vcc, 1
	.set _ZN4vllm25paged_attention_v1_kernelI14__hip_bfloat16hLi80ELi8ELi128ELNS_18Fp8KVCacheDataTypeE1ELb1EEEvPT_PKS3_PKT0_S9_ifPKiSB_iPKfiiiSD_SD_iiiii.uses_flat_scratch, 0
	.set _ZN4vllm25paged_attention_v1_kernelI14__hip_bfloat16hLi80ELi8ELi128ELNS_18Fp8KVCacheDataTypeE1ELb1EEEvPT_PKS3_PKT0_S9_ifPKiSB_iPKfiiiSD_SD_iiiii.has_dyn_sized_stack, 0
	.set _ZN4vllm25paged_attention_v1_kernelI14__hip_bfloat16hLi80ELi8ELi128ELNS_18Fp8KVCacheDataTypeE1ELb1EEEvPT_PKS3_PKT0_S9_ifPKiSB_iPKfiiiSD_SD_iiiii.has_recursion, 0
	.set _ZN4vllm25paged_attention_v1_kernelI14__hip_bfloat16hLi80ELi8ELi128ELNS_18Fp8KVCacheDataTypeE1ELb1EEEvPT_PKS3_PKT0_S9_ifPKiSB_iPKfiiiSD_SD_iiiii.has_indirect_call, 0
	.section	.AMDGPU.csdata,"",@progbits
; Kernel info:
; codeLenInByte = 11408
; TotalNumSgprs: 62
; NumVgprs: 45
; ScratchSize: 0
; MemoryBound: 0
; FloatMode: 240
; IeeeMode: 1
; LDSByteSize: 176 bytes/workgroup (compile time only)
; SGPRBlocks: 7
; VGPRBlocks: 11
; NumSGPRsForWavesPerEU: 62
; NumVGPRsForWavesPerEU: 45
; Occupancy: 5
; WaveLimiterHint : 1
; COMPUTE_PGM_RSRC2:SCRATCH_EN: 0
; COMPUTE_PGM_RSRC2:USER_SGPR: 6
; COMPUTE_PGM_RSRC2:TRAP_HANDLER: 0
; COMPUTE_PGM_RSRC2:TGID_X_EN: 1
; COMPUTE_PGM_RSRC2:TGID_Y_EN: 1
; COMPUTE_PGM_RSRC2:TGID_Z_EN: 1
; COMPUTE_PGM_RSRC2:TIDIG_COMP_CNT: 0
	.section	.text._ZN4vllm25paged_attention_v1_kernelI14__hip_bfloat16hLi96ELi8ELi128ELNS_18Fp8KVCacheDataTypeE1ELb1EEEvPT_PKS3_PKT0_S9_ifPKiSB_iPKfiiiSD_SD_iiiii,"axG",@progbits,_ZN4vllm25paged_attention_v1_kernelI14__hip_bfloat16hLi96ELi8ELi128ELNS_18Fp8KVCacheDataTypeE1ELb1EEEvPT_PKS3_PKT0_S9_ifPKiSB_iPKfiiiSD_SD_iiiii,comdat
	.protected	_ZN4vllm25paged_attention_v1_kernelI14__hip_bfloat16hLi96ELi8ELi128ELNS_18Fp8KVCacheDataTypeE1ELb1EEEvPT_PKS3_PKT0_S9_ifPKiSB_iPKfiiiSD_SD_iiiii ; -- Begin function _ZN4vllm25paged_attention_v1_kernelI14__hip_bfloat16hLi96ELi8ELi128ELNS_18Fp8KVCacheDataTypeE1ELb1EEEvPT_PKS3_PKT0_S9_ifPKiSB_iPKfiiiSD_SD_iiiii
	.globl	_ZN4vllm25paged_attention_v1_kernelI14__hip_bfloat16hLi96ELi8ELi128ELNS_18Fp8KVCacheDataTypeE1ELb1EEEvPT_PKS3_PKT0_S9_ifPKiSB_iPKfiiiSD_SD_iiiii
	.p2align	8
	.type	_ZN4vllm25paged_attention_v1_kernelI14__hip_bfloat16hLi96ELi8ELi128ELNS_18Fp8KVCacheDataTypeE1ELb1EEEvPT_PKS3_PKT0_S9_ifPKiSB_iPKfiiiSD_SD_iiiii,@function
_ZN4vllm25paged_attention_v1_kernelI14__hip_bfloat16hLi96ELi8ELi128ELNS_18Fp8KVCacheDataTypeE1ELb1EEEvPT_PKS3_PKT0_S9_ifPKiSB_iPKfiiiSD_SD_iiiii: ; @_ZN4vllm25paged_attention_v1_kernelI14__hip_bfloat16hLi96ELi8ELi128ELNS_18Fp8KVCacheDataTypeE1ELb1EEEvPT_PKS3_PKT0_S9_ifPKiSB_iPKfiiiSD_SD_iiiii
; %bb.0:
	s_load_dword s9, s[4:5], 0x80
	s_load_dwordx2 s[0:1], s[4:5], 0x30
	s_load_dwordx2 s[38:39], s[4:5], 0x20
	s_mov_b32 s24, s7
	s_ashr_i32 s25, s7, 31
	s_lshl_b64 s[2:3], s[24:25], 2
	s_waitcnt lgkmcnt(0)
	s_add_u32 s0, s0, s2
	s_addc_u32 s1, s1, s3
	s_abs_i32 s2, s38
	v_cvt_f32_u32_e32 v1, s2
	s_sub_i32 s10, 0, s2
	s_abs_i32 s7, s9
	s_xor_b32 s3, s9, s38
	v_rcp_iflag_f32_e32 v1, v1
	s_ashr_i32 s3, s3, 31
	s_mov_b32 s51, 0
	v_mul_f32_e32 v1, 0x4f7ffffe, v1
	v_cvt_u32_f32_e32 v1, v1
	v_readfirstlane_b32 s11, v1
	s_mul_i32 s10, s10, s11
	s_mul_hi_u32 s10, s11, s10
	s_add_i32 s11, s11, s10
	s_mul_hi_u32 s10, s7, s11
	s_mul_i32 s11, s10, s2
	s_sub_i32 s7, s7, s11
	s_add_i32 s11, s10, 1
	s_sub_i32 s12, s7, s2
	s_cmp_ge_u32 s7, s2
	s_cselect_b32 s10, s11, s10
	s_cselect_b32 s7, s12, s7
	s_add_i32 s11, s10, 1
	s_cmp_ge_u32 s7, s2
	s_cselect_b32 s2, s11, s10
	s_xor_b32 s2, s2, s3
	s_sub_i32 s12, s2, s3
	s_abs_i32 s10, s12
	v_cvt_f32_u32_e32 v1, s10
	s_load_dwordx2 s[2:3], s[4:5], 0x40
	s_sub_i32 s7, 0, s10
	s_abs_i32 s11, s6
	v_rcp_iflag_f32_e32 v1, v1
	v_mul_f32_e32 v1, 0x4f7ffffe, v1
	v_cvt_u32_f32_e32 v1, v1
	v_readfirstlane_b32 s13, v1
	s_mul_i32 s7, s7, s13
	s_mul_hi_u32 s7, s13, s7
	s_add_i32 s13, s13, s7
	s_waitcnt lgkmcnt(0)
	s_cmp_eq_u64 s[2:3], 0
	s_mul_hi_u32 s13, s11, s13
	s_cbranch_scc1 .LBB277_2
; %bb.1:
	s_ashr_i32 s7, s6, 31
	s_lshl_b64 s[14:15], s[6:7], 2
	s_add_u32 s2, s2, s14
	s_addc_u32 s3, s3, s15
	s_load_dword s51, s[2:3], 0x0
.LBB277_2:
	s_load_dword s25, s[0:1], 0x0
	s_load_dwordx4 s[16:19], s[4:5], 0x48
	s_movk_i32 s0, 0x60
	s_ashr_i32 s7, s6, 31
	s_ashr_i32 s14, s12, 31
	v_and_b32_e32 v1, 7, v0
	s_mul_i32 s26, s6, 0x60
	v_cmp_gt_u32_e64 s[0:1], s0, v0
	v_lshlrev_b32_e32 v20, 1, v0
	s_and_saveexec_b64 s[2:3], s[0:1]
	s_cbranch_execz .LBB277_4
; %bb.3:
	s_load_dwordx2 s[20:21], s[4:5], 0x8
	s_waitcnt lgkmcnt(0)
	s_mul_i32 s22, s16, s24
	s_ashr_i32 s23, s22, 31
	s_lshl_b64 s[22:23], s[22:23], 1
	v_lshrrev_b32_e32 v3, 2, v0
	s_add_u32 s12, s20, s22
	s_addc_u32 s15, s21, s23
	s_ashr_i32 s27, s26, 31
	s_lshl_b64 s[20:21], s[26:27], 1
	s_add_u32 s20, s12, s20
	s_addc_u32 s21, s15, s21
	global_load_ushort v2, v20, s[20:21]
	v_and_b32_e32 v3, 0xfe, v3
	v_mad_u32_u24 v3, v1, 24, v3
	s_waitcnt vmcnt(0)
	ds_write_b16 v3, v2
.LBB277_4:
	s_or_b64 exec, exec, s[2:3]
	s_mul_i32 s3, s13, s10
	s_sub_i32 s3, s11, s3
	s_xor_b32 s2, s7, s14
	s_add_i32 s7, s13, 1
	s_sub_i32 s11, s3, s10
	s_load_dwordx4 s[20:23], s[4:5], 0x68
	s_load_dword s12, s[4:5], 0x78
	s_cmp_ge_u32 s3, s10
	s_cselect_b32 s7, s7, s13
	s_cselect_b32 s3, s11, s3
	s_add_i32 s11, s7, 1
	s_cmp_ge_u32 s3, s10
	s_cselect_b32 s3, s11, s7
	s_waitcnt lgkmcnt(0)
	s_abs_i32 s33, s23
	v_cvt_f32_u32_e32 v2, s33
	s_xor_b32 s3, s3, s2
	s_sub_i32 s7, s3, s2
	s_sub_i32 s2, 0, s33
	v_rcp_iflag_f32_e32 v2, v2
	s_add_i32 s13, s25, -1
	s_abs_i32 s10, s13
	v_mul_f32_e32 v2, 0x4f7ffffe, v2
	v_cvt_u32_f32_e32 v2, v2
	s_barrier
	v_readfirstlane_b32 s48, v2
	s_mul_i32 s2, s2, s48
	s_mul_hi_u32 s2, s48, s2
	s_add_i32 s48, s48, s2
	s_cmp_lt_i32 s12, 0
	s_mul_hi_u32 s11, s10, s48
	s_cbranch_scc0 .LBB277_6
; %bb.5:
	s_mul_i32 s2, s20, s38
	s_add_i32 s2, s7, s2
	s_mul_i32 s2, s2, s12
	s_sub_i32 s38, 1, s2
	s_mov_b64 s[2:3], 0
	s_branch .LBB277_7
.LBB277_6:
	s_mov_b64 s[2:3], -1
                                        ; implicit-def: $sgpr38
.LBB277_7:
	s_load_dwordx2 s[30:31], s[4:5], 0x28
	s_ashr_i32 s16, s13, 31
	s_andn2_b64 vcc, exec, s[2:3]
	s_ashr_i32 s49, s23, 31
	s_cbranch_vccnz .LBB277_9
; %bb.8:
	s_mul_i32 s2, s9, s20
	s_add_i32 s2, s2, s6
	s_mul_i32 s2, s2, s12
	s_add_i32 s38, s2, 1
.LBB277_9:
	s_load_dword s2, s[4:5], 0x38
	s_load_dwordx2 s[28:29], s[4:5], 0x0
	s_load_dwordx2 s[36:37], s[4:5], 0x18
	s_load_dword s27, s[4:5], 0x88
	s_load_dwordx4 s[12:15], s[4:5], 0x58
	s_mul_i32 s3, s11, s33
	s_waitcnt lgkmcnt(0)
	s_mul_i32 s34, s2, s24
	s_sub_i32 s3, s10, s3
	s_ashr_i32 s35, s34, 31
	s_xor_b32 s2, s16, s49
	s_add_i32 s6, s11, 1
	s_sub_i32 s10, s3, s33
	s_cmp_ge_u32 s3, s33
	s_cselect_b32 s6, s6, s11
	s_cselect_b32 s3, s10, s3
	s_add_i32 s10, s6, 1
	s_cmp_ge_u32 s3, s33
	s_cselect_b32 s3, s10, s6
	s_xor_b32 s3, s3, s2
	s_sub_i32 s16, s3, s2
	s_add_i32 s2, s25, 7
	s_ashr_i32 s3, s2, 31
	s_lshr_b32 s3, s3, 29
	s_add_i32 s2, s2, s3
	s_ashr_i32 s50, s2, 3
	v_lshrrev_b32_e32 v21, 6, v0
	v_cmp_gt_i32_e64 s[2:3], s50, v21
	v_mov_b32_e32 v18, 0xff7fffff
	s_mul_i32 s20, s7, s18
	v_lshrrev_b32_e32 v14, 4, v0
	v_lshlrev_b32_e32 v22, 3, v21
	v_mbcnt_lo_u32_b32 v15, -1, 0
	s_and_saveexec_b64 s[18:19], s[2:3]
	s_cbranch_execz .LBB277_93
; %bb.10:
	s_load_dwordx2 s[4:5], s[4:5], 0x10
	s_sub_i32 s23, s16, s21
	s_ashr_i32 s6, s20, 31
	v_bfe_u32 v16, v0, 3, 3
	v_lshlrev_b32_e32 v3, 4, v16
	s_waitcnt lgkmcnt(0)
	s_add_u32 s7, s4, s20
	s_addc_u32 s6, s5, s6
	s_abs_i32 s52, s22
	v_cvt_f32_u32_e32 v2, s52
	v_mov_b32_e32 v4, s6
	s_sub_i32 s6, 0, s52
	v_cmp_eq_u32_e32 vcc, 0, v1
	v_rcp_iflag_f32_e32 v2, v2
	v_mul_u32_u24_e32 v17, 24, v1
	s_mov_b32 s53, s17
	v_cmp_neq_f32_e64 s[4:5], s51, 0
	v_mul_f32_e32 v2, 0x4f7ffffe, v2
	v_cvt_u32_f32_e32 v2, v2
	v_lshlrev_b32_e32 v23, 3, v21
	s_mov_b64 s[40:41], 0
	s_movk_i32 s54, 0x80
	v_mul_lo_u32 v5, s6, v2
	v_add_co_u32_e64 v3, s[6:7], s7, v3
	v_addc_co_u32_e64 v4, s[6:7], 0, v4, s[6:7]
	v_mul_hi_u32 v7, v2, v5
	v_add_co_u32_e64 v5, s[6:7], v3, v1
	v_addc_co_u32_e64 v6, s[6:7], 0, v4, s[6:7]
	s_lshl_b64 s[6:7], s[34:35], 2
	s_add_u32 s6, s30, s6
	v_and_b32_e32 v1, 60, v14
	s_addc_u32 s7, s31, s7
	v_add_u32_e32 v19, v2, v7
	v_mov_b32_e32 v2, s7
	v_add_co_u32_e64 v7, s[6:7], s6, v1
	v_subrev_u32_e32 v1, s25, v16
	v_add_u32_e32 v24, 1, v1
	v_lshlrev_b32_e32 v1, 2, v16
	v_lshl_or_b32 v1, v21, 5, v1
	v_addc_co_u32_e64 v8, s[6:7], 0, v2, s[6:7]
	v_add_u32_e32 v25, 0xd0, v1
	s_movk_i32 s55, 0x7f
	s_movk_i32 s56, 0x7fff
	v_bfrev_b32_e32 v26, 60
	v_mbcnt_hi_u32_b32 v27, -1, v15
	v_mov_b32_e32 v18, 0xff7fffff
	v_mov_b32_e32 v28, v21
	s_branch .LBB277_13
.LBB277_11:                             ;   in Loop: Header=BB277_13 Depth=1
	s_or_b64 exec, exec, s[42:43]
.LBB277_12:                             ;   in Loop: Header=BB277_13 Depth=1
	s_or_b64 exec, exec, s[10:11]
	v_add_co_u32_e64 v7, s[6:7], 8, v7
	v_add_u32_e32 v28, 2, v28
	v_addc_co_u32_e64 v8, s[6:7], 0, v8, s[6:7]
	v_cmp_le_i32_e64 s[6:7], s50, v28
	v_add_u32_e32 v23, 16, v23
	s_or_b64 s[40:41], s[6:7], s[40:41]
	v_add_u32_e32 v25, 64, v25
	s_andn2_b64 exec, exec, s[40:41]
	s_cbranch_execz .LBB277_92
.LBB277_13:                             ; =>This Inner Loop Header: Depth=1
	v_mul_hi_u32 v1, v23, s48
	s_waitcnt lgkmcnt(0)
	v_mul_lo_u32 v2, v1, s33
	v_add_u32_e32 v3, 1, v1
	v_sub_u32_e32 v2, v23, v2
	v_cmp_le_u32_e64 s[6:7], s33, v2
	v_cndmask_b32_e64 v1, v1, v3, s[6:7]
	v_subrev_u32_e32 v3, s33, v2
	v_cndmask_b32_e64 v2, v2, v3, s[6:7]
	v_add_u32_e32 v3, 1, v1
	v_cmp_le_u32_e64 s[6:7], s33, v2
	v_cndmask_b32_e64 v1, v1, v3, s[6:7]
	v_xor_b32_e32 v1, s49, v1
	v_subrev_u32_e32 v1, s49, v1
	v_add_u32_e32 v2, s38, v1
	v_sub_u32_e32 v3, 0, v2
	v_max_i32_e32 v3, v2, v3
	v_mul_hi_u32 v4, v3, v19
	v_ashrrev_i32_e32 v2, 31, v2
	v_cmp_ge_i32_e64 s[10:11], s23, v1
	v_mul_lo_u32 v4, v4, s52
	v_sub_u32_e32 v3, v3, v4
	v_subrev_u32_e32 v4, s52, v3
	v_cmp_le_u32_e64 s[6:7], s52, v3
	v_cndmask_b32_e64 v3, v3, v4, s[6:7]
	v_subrev_u32_e32 v4, s52, v3
	v_cmp_le_u32_e64 s[6:7], s52, v3
	v_cndmask_b32_e64 v3, v3, v4, s[6:7]
	v_xor_b32_e32 v3, v3, v2
	v_sub_u32_e32 v2, v3, v2
	v_cmp_ne_u32_e64 s[6:7], 0, v2
	s_and_b64 s[6:7], s[6:7], s[10:11]
	s_and_saveexec_b64 s[10:11], s[6:7]
	s_xor_b64 s[6:7], exec, s[10:11]
	s_cbranch_execz .LBB277_17
; %bb.14:                               ;   in Loop: Header=BB277_13 Depth=1
	s_and_saveexec_b64 s[10:11], vcc
; %bb.15:                               ;   in Loop: Header=BB277_13 Depth=1
	v_mov_b32_e32 v1, 0xff7fffff
	ds_write_b32 v25, v1
; %bb.16:                               ;   in Loop: Header=BB277_13 Depth=1
	s_or_b64 exec, exec, s[10:11]
.LBB277_17:                             ;   in Loop: Header=BB277_13 Depth=1
	s_andn2_saveexec_b64 s[10:11], s[6:7]
	s_cbranch_execz .LBB277_12
; %bb.18:                               ;   in Loop: Header=BB277_13 Depth=1
	global_load_dword v1, v[7:8], off
	v_mov_b32_e32 v30, 0
	v_mov_b32_e32 v29, 0
	s_waitcnt vmcnt(0)
	v_mad_i64_i32 v[11:12], s[6:7], v1, s53, v[5:6]
	global_load_ubyte v31, v[11:12], off
	ds_read2_b64 v[1:4], v17 offset1:1
	ds_read_b64 v[9:10], v17 offset:16
	s_load_dword s57, s[12:13], 0x0
	s_waitcnt vmcnt(0)
	v_cmp_ne_u16_e64 s[6:7], 0, v31
	s_and_saveexec_b64 s[42:43], s[6:7]
	s_cbranch_execz .LBB277_24
; %bb.19:                               ;   in Loop: Header=BB277_13 Depth=1
	v_cmp_ne_u16_e64 s[6:7], s54, v31
	v_bfrev_b32_e32 v29, 1
	s_and_saveexec_b64 s[44:45], s[6:7]
	s_cbranch_execz .LBB277_23
; %bb.20:                               ;   in Loop: Header=BB277_13 Depth=1
	v_and_b32_e32 v13, 0xffff, v31
	v_and_b32_e32 v32, 0x7f, v13
	v_cmp_ne_u32_e64 s[6:7], s55, v32
	v_mov_b32_e32 v29, 0x7f800001
	s_and_saveexec_b64 s[46:47], s[6:7]
	s_cbranch_execz .LBB277_22
; %bb.21:                               ;   in Loop: Header=BB277_13 Depth=1
	v_and_b32_e32 v29, 7, v13
	v_ffbh_u32_e32 v33, v29
	v_min_u32_e32 v36, 32, v33
	v_subrev_u32_e32 v33, 28, v36
	v_lshlrev_b64 v[33:34], v33, v[13:14]
	v_lshrrev_b32_e32 v35, 3, v32
	v_sub_u32_e32 v13, 29, v36
	v_and_b32_e32 v33, 7, v33
	v_cmp_gt_u32_e64 s[6:7], 8, v32
	v_cndmask_b32_e64 v13, v35, v13, s[6:7]
	v_cndmask_b32_e64 v29, v29, v33, s[6:7]
	v_lshlrev_b32_e32 v31, 24, v31
	v_lshlrev_b32_e32 v29, 20, v29
	v_and_b32_e32 v31, 0x80000000, v31
	v_lshl_add_u32 v13, v13, 23, v26
	v_or3_b32 v29, v31, v13, v29
.LBB277_22:                             ;   in Loop: Header=BB277_13 Depth=1
	s_or_b64 exec, exec, s[46:47]
.LBB277_23:                             ;   in Loop: Header=BB277_13 Depth=1
	s_or_b64 exec, exec, s[44:45]
.LBB277_24:                             ;   in Loop: Header=BB277_13 Depth=1
	s_or_b64 exec, exec, s[42:43]
	global_load_ubyte v31, v[11:12], off offset:8
	s_waitcnt vmcnt(0)
	v_cmp_ne_u16_e64 s[6:7], 0, v31
	s_and_saveexec_b64 s[42:43], s[6:7]
	s_cbranch_execz .LBB277_30
; %bb.25:                               ;   in Loop: Header=BB277_13 Depth=1
	v_cmp_ne_u16_e64 s[6:7], s54, v31
	v_bfrev_b32_e32 v30, 1
	s_and_saveexec_b64 s[44:45], s[6:7]
	s_cbranch_execz .LBB277_29
; %bb.26:                               ;   in Loop: Header=BB277_13 Depth=1
	v_and_b32_e32 v13, 0xffff, v31
	v_and_b32_e32 v32, 0x7f, v13
	v_cmp_ne_u32_e64 s[6:7], s55, v32
	v_mov_b32_e32 v30, 0x7f800001
	s_and_saveexec_b64 s[46:47], s[6:7]
	s_cbranch_execz .LBB277_28
; %bb.27:                               ;   in Loop: Header=BB277_13 Depth=1
	v_and_b32_e32 v30, 7, v13
	v_ffbh_u32_e32 v33, v30
	v_min_u32_e32 v36, 32, v33
	v_subrev_u32_e32 v33, 28, v36
	v_lshlrev_b64 v[33:34], v33, v[13:14]
	v_lshrrev_b32_e32 v35, 3, v32
	v_sub_u32_e32 v13, 29, v36
	v_and_b32_e32 v33, 7, v33
	v_cmp_gt_u32_e64 s[6:7], 8, v32
	v_cndmask_b32_e64 v13, v35, v13, s[6:7]
	v_cndmask_b32_e64 v30, v30, v33, s[6:7]
	v_lshlrev_b32_e32 v31, 24, v31
	v_lshlrev_b32_e32 v30, 20, v30
	v_and_b32_e32 v31, 0x80000000, v31
	v_lshl_add_u32 v13, v13, 23, v26
	v_or3_b32 v30, v31, v13, v30
.LBB277_28:                             ;   in Loop: Header=BB277_13 Depth=1
	s_or_b64 exec, exec, s[46:47]
.LBB277_29:                             ;   in Loop: Header=BB277_13 Depth=1
	s_or_b64 exec, exec, s[44:45]
.LBB277_30:                             ;   in Loop: Header=BB277_13 Depth=1
	s_or_b64 exec, exec, s[42:43]
	global_load_ubyte v33, v[11:12], off offset:128
	v_mov_b32_e32 v32, 0
	v_mov_b32_e32 v31, 0
	s_waitcnt vmcnt(0)
	v_cmp_ne_u16_e64 s[6:7], 0, v33
	s_and_saveexec_b64 s[42:43], s[6:7]
	s_cbranch_execz .LBB277_36
; %bb.31:                               ;   in Loop: Header=BB277_13 Depth=1
	v_cmp_ne_u16_e64 s[6:7], s54, v33
	v_bfrev_b32_e32 v31, 1
	s_and_saveexec_b64 s[44:45], s[6:7]
	s_cbranch_execz .LBB277_35
; %bb.32:                               ;   in Loop: Header=BB277_13 Depth=1
	v_and_b32_e32 v13, 0xffff, v33
	v_and_b32_e32 v34, 0x7f, v13
	v_cmp_ne_u32_e64 s[6:7], s55, v34
	v_mov_b32_e32 v31, 0x7f800001
	s_and_saveexec_b64 s[46:47], s[6:7]
	s_cbranch_execz .LBB277_34
; %bb.33:                               ;   in Loop: Header=BB277_13 Depth=1
	v_and_b32_e32 v31, 7, v13
	v_ffbh_u32_e32 v35, v31
	v_min_u32_e32 v38, 32, v35
	v_subrev_u32_e32 v35, 28, v38
	v_lshlrev_b64 v[35:36], v35, v[13:14]
	v_lshrrev_b32_e32 v37, 3, v34
	v_sub_u32_e32 v13, 29, v38
	v_and_b32_e32 v35, 7, v35
	v_cmp_gt_u32_e64 s[6:7], 8, v34
	v_cndmask_b32_e64 v13, v37, v13, s[6:7]
	v_cndmask_b32_e64 v31, v31, v35, s[6:7]
	v_lshlrev_b32_e32 v33, 24, v33
	v_lshlrev_b32_e32 v31, 20, v31
	v_and_b32_e32 v33, 0x80000000, v33
	v_lshl_add_u32 v13, v13, 23, v26
	v_or3_b32 v31, v33, v13, v31
.LBB277_34:                             ;   in Loop: Header=BB277_13 Depth=1
	s_or_b64 exec, exec, s[46:47]
.LBB277_35:                             ;   in Loop: Header=BB277_13 Depth=1
	s_or_b64 exec, exec, s[44:45]
.LBB277_36:                             ;   in Loop: Header=BB277_13 Depth=1
	s_or_b64 exec, exec, s[42:43]
	global_load_ubyte v33, v[11:12], off offset:136
	s_waitcnt vmcnt(0)
	v_cmp_ne_u16_e64 s[6:7], 0, v33
	s_and_saveexec_b64 s[42:43], s[6:7]
	s_cbranch_execz .LBB277_42
; %bb.37:                               ;   in Loop: Header=BB277_13 Depth=1
	v_cmp_ne_u16_e64 s[6:7], s54, v33
	v_bfrev_b32_e32 v32, 1
	s_and_saveexec_b64 s[44:45], s[6:7]
	s_cbranch_execz .LBB277_41
; %bb.38:                               ;   in Loop: Header=BB277_13 Depth=1
	v_and_b32_e32 v13, 0xffff, v33
	v_and_b32_e32 v34, 0x7f, v13
	v_cmp_ne_u32_e64 s[6:7], s55, v34
	v_mov_b32_e32 v32, 0x7f800001
	s_and_saveexec_b64 s[46:47], s[6:7]
	s_cbranch_execz .LBB277_40
; %bb.39:                               ;   in Loop: Header=BB277_13 Depth=1
	v_and_b32_e32 v32, 7, v13
	v_ffbh_u32_e32 v35, v32
	v_min_u32_e32 v38, 32, v35
	v_subrev_u32_e32 v35, 28, v38
	v_lshlrev_b64 v[35:36], v35, v[13:14]
	v_lshrrev_b32_e32 v37, 3, v34
	v_sub_u32_e32 v13, 29, v38
	v_and_b32_e32 v35, 7, v35
	v_cmp_gt_u32_e64 s[6:7], 8, v34
	v_cndmask_b32_e64 v13, v37, v13, s[6:7]
	v_cndmask_b32_e64 v32, v32, v35, s[6:7]
	v_lshlrev_b32_e32 v33, 24, v33
	v_lshlrev_b32_e32 v32, 20, v32
	v_and_b32_e32 v33, 0x80000000, v33
	v_lshl_add_u32 v13, v13, 23, v26
	v_or3_b32 v32, v33, v13, v32
.LBB277_40:                             ;   in Loop: Header=BB277_13 Depth=1
	s_or_b64 exec, exec, s[46:47]
.LBB277_41:                             ;   in Loop: Header=BB277_13 Depth=1
	s_or_b64 exec, exec, s[44:45]
.LBB277_42:                             ;   in Loop: Header=BB277_13 Depth=1
	s_or_b64 exec, exec, s[42:43]
	global_load_ubyte v35, v[11:12], off offset:256
	v_mov_b32_e32 v34, 0
	v_mov_b32_e32 v33, 0
	s_waitcnt vmcnt(0)
	v_cmp_ne_u16_e64 s[6:7], 0, v35
	s_and_saveexec_b64 s[42:43], s[6:7]
	s_cbranch_execz .LBB277_48
; %bb.43:                               ;   in Loop: Header=BB277_13 Depth=1
	v_cmp_ne_u16_e64 s[6:7], s54, v35
	v_bfrev_b32_e32 v33, 1
	s_and_saveexec_b64 s[44:45], s[6:7]
	s_cbranch_execz .LBB277_47
; %bb.44:                               ;   in Loop: Header=BB277_13 Depth=1
	v_and_b32_e32 v13, 0xffff, v35
	v_and_b32_e32 v36, 0x7f, v13
	v_cmp_ne_u32_e64 s[6:7], s55, v36
	v_mov_b32_e32 v33, 0x7f800001
	s_and_saveexec_b64 s[46:47], s[6:7]
	s_cbranch_execz .LBB277_46
; %bb.45:                               ;   in Loop: Header=BB277_13 Depth=1
	v_and_b32_e32 v33, 7, v13
	v_ffbh_u32_e32 v37, v33
	v_min_u32_e32 v40, 32, v37
	v_subrev_u32_e32 v37, 28, v40
	v_lshlrev_b64 v[37:38], v37, v[13:14]
	v_lshrrev_b32_e32 v39, 3, v36
	v_sub_u32_e32 v13, 29, v40
	v_and_b32_e32 v37, 7, v37
	v_cmp_gt_u32_e64 s[6:7], 8, v36
	v_cndmask_b32_e64 v13, v39, v13, s[6:7]
	v_cndmask_b32_e64 v33, v33, v37, s[6:7]
	v_lshlrev_b32_e32 v35, 24, v35
	v_lshlrev_b32_e32 v33, 20, v33
	v_and_b32_e32 v35, 0x80000000, v35
	v_lshl_add_u32 v13, v13, 23, v26
	v_or3_b32 v33, v35, v13, v33
.LBB277_46:                             ;   in Loop: Header=BB277_13 Depth=1
	s_or_b64 exec, exec, s[46:47]
.LBB277_47:                             ;   in Loop: Header=BB277_13 Depth=1
	s_or_b64 exec, exec, s[44:45]
.LBB277_48:                             ;   in Loop: Header=BB277_13 Depth=1
	s_or_b64 exec, exec, s[42:43]
	global_load_ubyte v35, v[11:12], off offset:264
	s_waitcnt vmcnt(0)
	v_cmp_ne_u16_e64 s[6:7], 0, v35
	s_and_saveexec_b64 s[42:43], s[6:7]
	s_cbranch_execz .LBB277_54
; %bb.49:                               ;   in Loop: Header=BB277_13 Depth=1
	v_cmp_ne_u16_e64 s[6:7], s54, v35
	v_bfrev_b32_e32 v34, 1
	s_and_saveexec_b64 s[44:45], s[6:7]
	s_cbranch_execz .LBB277_53
; %bb.50:                               ;   in Loop: Header=BB277_13 Depth=1
	v_and_b32_e32 v13, 0xffff, v35
	v_and_b32_e32 v36, 0x7f, v13
	v_cmp_ne_u32_e64 s[6:7], s55, v36
	v_mov_b32_e32 v34, 0x7f800001
	s_and_saveexec_b64 s[46:47], s[6:7]
	s_cbranch_execz .LBB277_52
; %bb.51:                               ;   in Loop: Header=BB277_13 Depth=1
	v_and_b32_e32 v34, 7, v13
	v_ffbh_u32_e32 v37, v34
	v_min_u32_e32 v40, 32, v37
	v_subrev_u32_e32 v37, 28, v40
	v_lshlrev_b64 v[37:38], v37, v[13:14]
	v_lshrrev_b32_e32 v39, 3, v36
	v_sub_u32_e32 v13, 29, v40
	v_and_b32_e32 v37, 7, v37
	v_cmp_gt_u32_e64 s[6:7], 8, v36
	v_cndmask_b32_e64 v13, v39, v13, s[6:7]
	v_cndmask_b32_e64 v34, v34, v37, s[6:7]
	v_lshlrev_b32_e32 v35, 24, v35
	v_lshlrev_b32_e32 v34, 20, v34
	v_and_b32_e32 v35, 0x80000000, v35
	v_lshl_add_u32 v13, v13, 23, v26
	v_or3_b32 v34, v35, v13, v34
.LBB277_52:                             ;   in Loop: Header=BB277_13 Depth=1
	s_or_b64 exec, exec, s[46:47]
.LBB277_53:                             ;   in Loop: Header=BB277_13 Depth=1
	s_or_b64 exec, exec, s[44:45]
.LBB277_54:                             ;   in Loop: Header=BB277_13 Depth=1
	s_or_b64 exec, exec, s[42:43]
	global_load_ubyte v37, v[11:12], off offset:384
	v_mov_b32_e32 v36, 0
	v_mov_b32_e32 v35, 0
	s_waitcnt vmcnt(0)
	v_cmp_ne_u16_e64 s[6:7], 0, v37
	s_and_saveexec_b64 s[42:43], s[6:7]
	s_cbranch_execz .LBB277_60
; %bb.55:                               ;   in Loop: Header=BB277_13 Depth=1
	v_cmp_ne_u16_e64 s[6:7], s54, v37
	v_bfrev_b32_e32 v35, 1
	s_and_saveexec_b64 s[44:45], s[6:7]
	s_cbranch_execz .LBB277_59
; %bb.56:                               ;   in Loop: Header=BB277_13 Depth=1
	v_and_b32_e32 v13, 0xffff, v37
	v_and_b32_e32 v38, 0x7f, v13
	v_cmp_ne_u32_e64 s[6:7], s55, v38
	v_mov_b32_e32 v35, 0x7f800001
	s_and_saveexec_b64 s[46:47], s[6:7]
	s_cbranch_execz .LBB277_58
; %bb.57:                               ;   in Loop: Header=BB277_13 Depth=1
	v_and_b32_e32 v35, 7, v13
	v_ffbh_u32_e32 v39, v35
	v_min_u32_e32 v42, 32, v39
	v_subrev_u32_e32 v39, 28, v42
	v_lshlrev_b64 v[39:40], v39, v[13:14]
	v_lshrrev_b32_e32 v41, 3, v38
	v_sub_u32_e32 v13, 29, v42
	v_and_b32_e32 v39, 7, v39
	v_cmp_gt_u32_e64 s[6:7], 8, v38
	v_cndmask_b32_e64 v13, v41, v13, s[6:7]
	v_cndmask_b32_e64 v35, v35, v39, s[6:7]
	v_lshlrev_b32_e32 v37, 24, v37
	v_lshlrev_b32_e32 v35, 20, v35
	v_and_b32_e32 v37, 0x80000000, v37
	v_lshl_add_u32 v13, v13, 23, v26
	v_or3_b32 v35, v37, v13, v35
.LBB277_58:                             ;   in Loop: Header=BB277_13 Depth=1
	s_or_b64 exec, exec, s[46:47]
.LBB277_59:                             ;   in Loop: Header=BB277_13 Depth=1
	s_or_b64 exec, exec, s[44:45]
.LBB277_60:                             ;   in Loop: Header=BB277_13 Depth=1
	s_or_b64 exec, exec, s[42:43]
	global_load_ubyte v37, v[11:12], off offset:392
	s_waitcnt vmcnt(0)
	v_cmp_ne_u16_e64 s[6:7], 0, v37
	s_and_saveexec_b64 s[42:43], s[6:7]
	s_cbranch_execz .LBB277_66
; %bb.61:                               ;   in Loop: Header=BB277_13 Depth=1
	v_cmp_ne_u16_e64 s[6:7], s54, v37
	v_bfrev_b32_e32 v36, 1
	s_and_saveexec_b64 s[44:45], s[6:7]
	s_cbranch_execz .LBB277_65
; %bb.62:                               ;   in Loop: Header=BB277_13 Depth=1
	v_and_b32_e32 v13, 0xffff, v37
	v_and_b32_e32 v38, 0x7f, v13
	v_cmp_ne_u32_e64 s[6:7], s55, v38
	v_mov_b32_e32 v36, 0x7f800001
	s_and_saveexec_b64 s[46:47], s[6:7]
	s_cbranch_execz .LBB277_64
; %bb.63:                               ;   in Loop: Header=BB277_13 Depth=1
	v_and_b32_e32 v36, 7, v13
	v_ffbh_u32_e32 v39, v36
	v_min_u32_e32 v42, 32, v39
	v_subrev_u32_e32 v39, 28, v42
	v_lshlrev_b64 v[39:40], v39, v[13:14]
	v_lshrrev_b32_e32 v41, 3, v38
	v_sub_u32_e32 v13, 29, v42
	v_and_b32_e32 v39, 7, v39
	v_cmp_gt_u32_e64 s[6:7], 8, v38
	v_cndmask_b32_e64 v13, v41, v13, s[6:7]
	v_cndmask_b32_e64 v36, v36, v39, s[6:7]
	v_lshlrev_b32_e32 v37, 24, v37
	v_lshlrev_b32_e32 v36, 20, v36
	v_and_b32_e32 v37, 0x80000000, v37
	v_lshl_add_u32 v13, v13, 23, v26
	v_or3_b32 v36, v37, v13, v36
.LBB277_64:                             ;   in Loop: Header=BB277_13 Depth=1
	s_or_b64 exec, exec, s[46:47]
.LBB277_65:                             ;   in Loop: Header=BB277_13 Depth=1
	s_or_b64 exec, exec, s[44:45]
.LBB277_66:                             ;   in Loop: Header=BB277_13 Depth=1
	s_or_b64 exec, exec, s[42:43]
	global_load_ubyte v39, v[11:12], off offset:512
	v_mov_b32_e32 v38, 0
	v_mov_b32_e32 v37, 0
	s_waitcnt vmcnt(0)
	v_cmp_ne_u16_e64 s[6:7], 0, v39
	s_and_saveexec_b64 s[42:43], s[6:7]
	s_cbranch_execz .LBB277_72
; %bb.67:                               ;   in Loop: Header=BB277_13 Depth=1
	v_cmp_ne_u16_e64 s[6:7], s54, v39
	v_bfrev_b32_e32 v37, 1
	s_and_saveexec_b64 s[44:45], s[6:7]
	s_cbranch_execz .LBB277_71
; %bb.68:                               ;   in Loop: Header=BB277_13 Depth=1
	v_and_b32_e32 v13, 0xffff, v39
	v_and_b32_e32 v40, 0x7f, v13
	v_cmp_ne_u32_e64 s[6:7], s55, v40
	v_mov_b32_e32 v37, 0x7f800001
	s_and_saveexec_b64 s[46:47], s[6:7]
	s_cbranch_execz .LBB277_70
; %bb.69:                               ;   in Loop: Header=BB277_13 Depth=1
	v_and_b32_e32 v37, 7, v13
	v_ffbh_u32_e32 v41, v37
	v_min_u32_e32 v44, 32, v41
	v_subrev_u32_e32 v41, 28, v44
	v_lshlrev_b64 v[41:42], v41, v[13:14]
	v_lshrrev_b32_e32 v43, 3, v40
	v_sub_u32_e32 v13, 29, v44
	v_and_b32_e32 v41, 7, v41
	v_cmp_gt_u32_e64 s[6:7], 8, v40
	v_cndmask_b32_e64 v13, v43, v13, s[6:7]
	v_cndmask_b32_e64 v37, v37, v41, s[6:7]
	v_lshlrev_b32_e32 v39, 24, v39
	v_lshlrev_b32_e32 v37, 20, v37
	v_and_b32_e32 v39, 0x80000000, v39
	v_lshl_add_u32 v13, v13, 23, v26
	v_or3_b32 v37, v39, v13, v37
.LBB277_70:                             ;   in Loop: Header=BB277_13 Depth=1
	s_or_b64 exec, exec, s[46:47]
.LBB277_71:                             ;   in Loop: Header=BB277_13 Depth=1
	s_or_b64 exec, exec, s[44:45]
.LBB277_72:                             ;   in Loop: Header=BB277_13 Depth=1
	s_or_b64 exec, exec, s[42:43]
	global_load_ubyte v39, v[11:12], off offset:520
	s_waitcnt vmcnt(0)
	v_cmp_ne_u16_e64 s[6:7], 0, v39
	s_and_saveexec_b64 s[42:43], s[6:7]
	s_cbranch_execz .LBB277_78
; %bb.73:                               ;   in Loop: Header=BB277_13 Depth=1
	v_cmp_ne_u16_e64 s[6:7], s54, v39
	v_bfrev_b32_e32 v38, 1
	s_and_saveexec_b64 s[44:45], s[6:7]
	s_cbranch_execz .LBB277_77
; %bb.74:                               ;   in Loop: Header=BB277_13 Depth=1
	v_and_b32_e32 v13, 0xffff, v39
	v_and_b32_e32 v40, 0x7f, v13
	v_cmp_ne_u32_e64 s[6:7], s55, v40
	v_mov_b32_e32 v38, 0x7f800001
	s_and_saveexec_b64 s[46:47], s[6:7]
	s_cbranch_execz .LBB277_76
; %bb.75:                               ;   in Loop: Header=BB277_13 Depth=1
	v_and_b32_e32 v38, 7, v13
	v_ffbh_u32_e32 v41, v38
	v_min_u32_e32 v44, 32, v41
	v_subrev_u32_e32 v41, 28, v44
	v_lshlrev_b64 v[41:42], v41, v[13:14]
	v_lshrrev_b32_e32 v43, 3, v40
	v_sub_u32_e32 v13, 29, v44
	v_and_b32_e32 v41, 7, v41
	v_cmp_gt_u32_e64 s[6:7], 8, v40
	v_cndmask_b32_e64 v13, v43, v13, s[6:7]
	v_cndmask_b32_e64 v38, v38, v41, s[6:7]
	v_lshlrev_b32_e32 v39, 24, v39
	v_lshlrev_b32_e32 v38, 20, v38
	v_and_b32_e32 v39, 0x80000000, v39
	v_lshl_add_u32 v13, v13, 23, v26
	v_or3_b32 v38, v39, v13, v38
.LBB277_76:                             ;   in Loop: Header=BB277_13 Depth=1
	s_or_b64 exec, exec, s[46:47]
.LBB277_77:                             ;   in Loop: Header=BB277_13 Depth=1
	s_or_b64 exec, exec, s[44:45]
.LBB277_78:                             ;   in Loop: Header=BB277_13 Depth=1
	s_or_b64 exec, exec, s[42:43]
	global_load_ubyte v41, v[11:12], off offset:640
	v_mov_b32_e32 v39, 0
	v_mov_b32_e32 v40, 0
	s_waitcnt vmcnt(0)
	v_cmp_ne_u16_e64 s[6:7], 0, v41
	s_and_saveexec_b64 s[42:43], s[6:7]
	s_cbranch_execz .LBB277_84
; %bb.79:                               ;   in Loop: Header=BB277_13 Depth=1
	v_cmp_ne_u16_e64 s[6:7], s54, v41
	v_bfrev_b32_e32 v40, 1
	s_and_saveexec_b64 s[44:45], s[6:7]
	s_cbranch_execz .LBB277_83
; %bb.80:                               ;   in Loop: Header=BB277_13 Depth=1
	v_and_b32_e32 v13, 0xffff, v41
	v_and_b32_e32 v42, 0x7f, v13
	v_cmp_ne_u32_e64 s[6:7], s55, v42
	v_mov_b32_e32 v40, 0x7f800001
	s_and_saveexec_b64 s[46:47], s[6:7]
	s_cbranch_execz .LBB277_82
; %bb.81:                               ;   in Loop: Header=BB277_13 Depth=1
	v_and_b32_e32 v40, 7, v13
	v_ffbh_u32_e32 v43, v40
	v_min_u32_e32 v46, 32, v43
	v_subrev_u32_e32 v43, 28, v46
	v_lshlrev_b64 v[43:44], v43, v[13:14]
	v_lshrrev_b32_e32 v45, 3, v42
	v_sub_u32_e32 v13, 29, v46
	v_and_b32_e32 v43, 7, v43
	v_cmp_gt_u32_e64 s[6:7], 8, v42
	v_cndmask_b32_e64 v13, v45, v13, s[6:7]
	v_cndmask_b32_e64 v40, v40, v43, s[6:7]
	v_lshlrev_b32_e32 v41, 24, v41
	v_lshlrev_b32_e32 v40, 20, v40
	v_and_b32_e32 v41, 0x80000000, v41
	v_lshl_add_u32 v13, v13, 23, v26
	v_or3_b32 v40, v41, v13, v40
.LBB277_82:                             ;   in Loop: Header=BB277_13 Depth=1
	s_or_b64 exec, exec, s[46:47]
.LBB277_83:                             ;   in Loop: Header=BB277_13 Depth=1
	s_or_b64 exec, exec, s[44:45]
.LBB277_84:                             ;   in Loop: Header=BB277_13 Depth=1
	s_or_b64 exec, exec, s[42:43]
	global_load_ubyte v12, v[11:12], off offset:648
	s_waitcnt vmcnt(0)
	v_cmp_ne_u16_e64 s[6:7], 0, v12
	s_and_saveexec_b64 s[42:43], s[6:7]
	s_cbranch_execz .LBB277_90
; %bb.85:                               ;   in Loop: Header=BB277_13 Depth=1
	v_cmp_ne_u16_e64 s[6:7], s54, v12
	v_bfrev_b32_e32 v39, 1
	s_and_saveexec_b64 s[44:45], s[6:7]
	s_cbranch_execz .LBB277_89
; %bb.86:                               ;   in Loop: Header=BB277_13 Depth=1
	v_and_b32_e32 v11, 0xffff, v12
	v_and_b32_e32 v13, 0x7f, v11
	v_cmp_ne_u32_e64 s[6:7], s55, v13
	v_mov_b32_e32 v39, 0x7f800001
	s_and_saveexec_b64 s[46:47], s[6:7]
	s_cbranch_execz .LBB277_88
; %bb.87:                               ;   in Loop: Header=BB277_13 Depth=1
	v_and_b32_e32 v39, 7, v11
	v_ffbh_u32_e32 v41, v39
	v_min_u32_e32 v44, 32, v41
	v_subrev_u32_e32 v41, 28, v44
	v_lshlrev_b64 v[41:42], v41, v[11:12]
	v_lshrrev_b32_e32 v43, 3, v13
	v_sub_u32_e32 v11, 29, v44
	v_and_b32_e32 v41, 7, v41
	v_cmp_gt_u32_e64 s[6:7], 8, v13
	v_cndmask_b32_e64 v11, v43, v11, s[6:7]
	v_cndmask_b32_e64 v13, v39, v41, s[6:7]
	v_lshlrev_b32_e32 v12, 24, v12
	v_lshlrev_b32_e32 v13, 20, v13
	v_and_b32_e32 v12, 0x80000000, v12
	v_lshl_add_u32 v11, v11, 23, v26
	v_or3_b32 v39, v12, v11, v13
.LBB277_88:                             ;   in Loop: Header=BB277_13 Depth=1
	s_or_b64 exec, exec, s[46:47]
.LBB277_89:                             ;   in Loop: Header=BB277_13 Depth=1
	s_or_b64 exec, exec, s[44:45]
.LBB277_90:                             ;   in Loop: Header=BB277_13 Depth=1
	s_or_b64 exec, exec, s[42:43]
	s_waitcnt lgkmcnt(0)
	v_mul_f32_e32 v11, s57, v40
	v_bfe_u32 v12, v11, 16, 1
	v_add3_u32 v12, v12, v11, s56
	v_or_b32_e32 v13, 0x400000, v11
	v_cmp_u_f32_e64 s[6:7], v11, v11
	v_cndmask_b32_e64 v11, v12, v13, s[6:7]
	v_mul_f32_e32 v12, s57, v38
	v_bfe_u32 v13, v12, 16, 1
	v_add3_u32 v13, v13, v12, s56
	v_or_b32_e32 v38, 0x400000, v12
	v_cmp_u_f32_e64 s[6:7], v12, v12
	v_cndmask_b32_e64 v12, v13, v38, s[6:7]
	v_mul_f32_e32 v13, s57, v37
	v_bfe_u32 v37, v13, 16, 1
	v_add3_u32 v37, v37, v13, s56
	v_or_b32_e32 v38, 0x400000, v13
	v_cmp_u_f32_e64 s[6:7], v13, v13
	v_mul_f32_e32 v36, s57, v36
	v_cndmask_b32_e64 v13, v37, v38, s[6:7]
	v_bfe_u32 v37, v36, 16, 1
	v_add3_u32 v37, v37, v36, s56
	v_or_b32_e32 v38, 0x400000, v36
	v_cmp_u_f32_e64 s[6:7], v36, v36
	v_mul_f32_e32 v35, s57, v35
	v_cndmask_b32_e64 v36, v37, v38, s[6:7]
	;; [unrolled: 6-line block ×8, first 2 shown]
	v_bfe_u32 v37, v29, 16, 1
	v_add3_u32 v37, v37, v29, s56
	v_or_b32_e32 v38, 0x400000, v29
	v_cmp_u_f32_e64 s[6:7], v29, v29
	v_cndmask_b32_e64 v29, v37, v38, s[6:7]
	v_and_b32_e32 v37, 64, v27
	v_add_u32_e32 v37, 64, v37
	v_xor_b32_e32 v38, 4, v27
	v_mul_f32_e32 v39, s57, v39
	v_cmp_lt_i32_e64 s[6:7], v38, v37
	v_bfe_u32 v40, v39, 16, 1
	v_cndmask_b32_e64 v38, v27, v38, s[6:7]
	v_add3_u32 v40, v40, v39, s56
	v_or_b32_e32 v41, 0x400000, v39
	v_cmp_u_f32_e64 s[6:7], v39, v39
	v_cndmask_b32_e64 v39, v40, v41, s[6:7]
	v_lshlrev_b32_e32 v40, 16, v1
	v_and_b32_e32 v1, 0xffff0000, v1
	v_and_b32_e32 v30, 0xffff0000, v30
	;; [unrolled: 1-line block ×3, first 2 shown]
	v_mul_f32_e32 v1, v1, v30
	v_lshlrev_b32_e32 v41, 16, v2
	v_fmac_f32_e32 v1, v40, v29
	v_and_b32_e32 v29, 0xffff0000, v31
	v_and_b32_e32 v2, 0xffff0000, v2
	v_fmac_f32_e32 v1, v41, v29
	v_and_b32_e32 v29, 0xffff0000, v32
	v_lshlrev_b32_e32 v42, 16, v3
	v_fmac_f32_e32 v1, v2, v29
	v_and_b32_e32 v2, 0xffff0000, v33
	v_and_b32_e32 v3, 0xffff0000, v3
	v_fmac_f32_e32 v1, v42, v2
	v_and_b32_e32 v2, 0xffff0000, v34
	;; [unrolled: 6-line block ×5, first 2 shown]
	v_lshlrev_b32_e32 v38, 2, v38
	v_fmac_f32_e32 v1, v10, v2
	ds_bpermute_b32 v2, v38, v1
	v_xor_b32_e32 v3, 2, v27
	v_cmp_lt_i32_e64 s[6:7], v3, v37
	v_cndmask_b32_e64 v3, v27, v3, s[6:7]
	v_lshlrev_b32_e32 v3, 2, v3
	s_waitcnt lgkmcnt(0)
	v_add_f32_e32 v1, v1, v2
	ds_bpermute_b32 v2, v3, v1
	v_xor_b32_e32 v3, 1, v27
	v_cmp_lt_i32_e64 s[6:7], v3, v37
	v_cndmask_b32_e64 v3, v27, v3, s[6:7]
	v_lshlrev_b32_e32 v3, 2, v3
	s_waitcnt lgkmcnt(0)
	v_add_f32_e32 v1, v1, v2
	ds_bpermute_b32 v2, v3, v1
	s_and_saveexec_b64 s[42:43], vcc
	s_cbranch_execz .LBB277_11
; %bb.91:                               ;   in Loop: Header=BB277_13 Depth=1
	v_add_u32_e32 v3, v24, v23
	v_cvt_f32_i32_e32 v3, v3
	s_waitcnt lgkmcnt(0)
	v_add_f32_e32 v1, v1, v2
	v_add_u32_e32 v4, v16, v23
	v_cmp_gt_i32_e64 s[6:7], s25, v4
	v_mul_f32_e32 v2, s51, v3
	v_cndmask_b32_e64 v2, 0, v2, s[4:5]
	v_fmac_f32_e32 v2, s39, v1
	v_cndmask_b32_e64 v1, 0, v2, s[6:7]
	ds_write_b32 v25, v1
	v_max_f32_e32 v1, v18, v18
	v_max_f32_e32 v1, v1, v2
	v_cndmask_b32_e64 v18, v18, v1, s[6:7]
	s_branch .LBB277_11
.LBB277_92:
	s_or_b64 exec, exec, s[40:41]
.LBB277_93:
	s_or_b64 exec, exec, s[18:19]
	v_mbcnt_hi_u32_b32 v1, -1, v15
	v_and_b32_e32 v9, 64, v1
	s_waitcnt lgkmcnt(0)
	v_add_u32_e32 v2, 64, v9
	v_xor_b32_e32 v3, 32, v1
	v_cmp_lt_i32_e32 vcc, v3, v2
	v_cndmask_b32_e32 v3, v1, v3, vcc
	v_lshlrev_b32_e32 v4, 2, v3
	ds_bpermute_b32 v3, v4, v18
	v_xor_b32_e32 v6, 16, v1
	v_max_f32_e32 v5, v18, v18
	v_cmp_lt_i32_e32 vcc, v6, v2
	v_xor_b32_e32 v7, 8, v1
	s_waitcnt lgkmcnt(0)
	v_max_f32_e32 v3, v3, v3
	v_max_f32_e32 v3, v5, v3
	v_cndmask_b32_e32 v5, v1, v6, vcc
	v_lshlrev_b32_e32 v6, 2, v5
	ds_bpermute_b32 v5, v6, v3
	v_cmp_lt_i32_e32 vcc, v7, v2
	v_and_b32_e32 v23, 63, v0
	s_waitcnt lgkmcnt(0)
	v_max_f32_e32 v5, v5, v5
	v_max_f32_e32 v5, v3, v5
	v_cndmask_b32_e32 v3, v1, v7, vcc
	v_lshlrev_b32_e32 v8, 2, v3
	ds_bpermute_b32 v7, v8, v5
	v_cmp_eq_u32_e32 vcc, 0, v23
	v_lshlrev_b32_e32 v3, 2, v21
	s_and_saveexec_b64 s[4:5], vcc
	s_cbranch_execz .LBB277_95
; %bb.94:
	s_waitcnt lgkmcnt(0)
	v_max_f32_e32 v7, v7, v7
	v_max_f32_e32 v5, v5, v5
	;; [unrolled: 1-line block ×3, first 2 shown]
	ds_write_b32 v3, v5 offset:192
.LBB277_95:
	s_or_b64 exec, exec, s[4:5]
	v_cmp_gt_u32_e64 s[4:5], 2, v23
	v_mov_b32_e32 v10, 0xff7fffff
	v_lshlrev_b32_e32 v5, 2, v23
	s_waitcnt lgkmcnt(0)
	s_barrier
	s_and_saveexec_b64 s[6:7], s[4:5]
; %bb.96:
	ds_read_b32 v10, v5 offset:192
; %bb.97:
	s_or_b64 exec, exec, s[6:7]
	v_xor_b32_e32 v7, 1, v1
	v_cmp_lt_i32_e64 s[6:7], v7, v2
	v_cndmask_b32_e64 v7, v1, v7, s[6:7]
	v_lshlrev_b32_e32 v7, 2, v7
	s_waitcnt lgkmcnt(0)
	ds_bpermute_b32 v11, v7, v10
	v_max_f32_e32 v10, v10, v10
	v_lshlrev_b32_e32 v9, 2, v9
	s_lshl_b32 s6, s50, 3
	s_min_i32 s23, s6, s25
	s_waitcnt lgkmcnt(0)
	v_max_f32_e32 v11, v11, v11
	v_max_f32_e32 v10, v10, v11
	ds_bpermute_b32 v10, v9, v10
	v_cmp_gt_i32_e64 s[6:7], s23, v0
	v_mov_b32_e32 v9, 0
	s_and_saveexec_b64 s[12:13], s[6:7]
	s_cbranch_execz .LBB277_101
; %bb.98:
	v_mov_b32_e32 v9, 0xd0
	v_lshl_add_u32 v11, v0, 2, v9
	v_mov_b32_e32 v9, 0
	s_mov_b64 s[18:19], 0
	v_mov_b32_e32 v12, v0
.LBB277_99:                             ; =>This Inner Loop Header: Depth=1
	ds_read_b32 v13, v11
	v_add_u32_e32 v12, 0x80, v12
	v_cmp_le_i32_e64 s[10:11], s23, v12
	s_or_b64 s[18:19], s[10:11], s[18:19]
	s_waitcnt lgkmcnt(0)
	v_sub_f32_e32 v13, v13, v10
	v_mul_f32_e32 v13, 0x3fb8aa3b, v13
	v_exp_f32_e32 v13, v13
	ds_write_b32 v11, v13
	v_add_f32_e32 v9, v9, v13
	v_add_u32_e32 v11, 0x200, v11
	s_andn2_b64 exec, exec, s[18:19]
	s_cbranch_execnz .LBB277_99
; %bb.100:
	s_or_b64 exec, exec, s[18:19]
.LBB277_101:
	s_or_b64 exec, exec, s[12:13]
	ds_bpermute_b32 v4, v4, v9
	s_waitcnt lgkmcnt(0)
	v_add_f32_e32 v4, v9, v4
	ds_bpermute_b32 v6, v6, v4
	s_waitcnt lgkmcnt(0)
	v_add_f32_e32 v4, v4, v6
	ds_bpermute_b32 v6, v8, v4
	v_xor_b32_e32 v8, 4, v1
	v_cmp_lt_i32_e64 s[10:11], v8, v2
	v_cndmask_b32_e64 v8, v1, v8, s[10:11]
	v_lshlrev_b32_e32 v8, 2, v8
	s_waitcnt lgkmcnt(0)
	v_add_f32_e32 v4, v4, v6
	ds_bpermute_b32 v6, v8, v4
	v_xor_b32_e32 v8, 2, v1
	v_cmp_lt_i32_e64 s[10:11], v8, v2
	v_cndmask_b32_e64 v2, v1, v8, s[10:11]
	v_lshlrev_b32_e32 v2, 2, v2
	s_waitcnt lgkmcnt(0)
	v_add_f32_e32 v4, v4, v6
	ds_bpermute_b32 v2, v2, v4
	s_waitcnt lgkmcnt(0)
	v_add_f32_e32 v2, v4, v2
	ds_bpermute_b32 v4, v7, v2
	s_waitcnt lgkmcnt(0)
	v_add_f32_e32 v2, v2, v4
	s_and_saveexec_b64 s[10:11], vcc
; %bb.102:
	ds_write_b32 v3, v2 offset:200
; %bb.103:
	s_or_b64 exec, exec, s[10:11]
	s_waitcnt lgkmcnt(0)
	s_barrier
	s_and_saveexec_b64 s[10:11], s[4:5]
; %bb.104:
	ds_read_b32 v2, v5 offset:200
; %bb.105:
	s_or_b64 exec, exec, s[10:11]
	s_waitcnt lgkmcnt(0)
	ds_bpermute_b32 v3, v7, v2
	v_lshlrev_b32_e32 v1, 2, v1
	v_and_b32_e32 v1, 0x100, v1
	s_waitcnt lgkmcnt(0)
	v_add_f32_e32 v2, v2, v3
	ds_bpermute_b32 v1, v1, v2
	s_and_saveexec_b64 s[4:5], s[6:7]
	s_cbranch_execz .LBB277_108
; %bb.106:
	s_waitcnt lgkmcnt(0)
	v_add_f32_e32 v2, 0x358637bd, v1
	v_div_scale_f32 v1, s[6:7], v2, v2, 1.0
	v_div_scale_f32 v3, vcc, 1.0, v2, 1.0
	s_mov_b64 s[6:7], 0
	v_rcp_f32_e32 v4, v1
	v_fma_f32 v5, -v1, v4, 1.0
	v_fmac_f32_e32 v4, v5, v4
	v_mul_f32_e32 v5, v3, v4
	v_fma_f32 v6, -v1, v5, v3
	v_fmac_f32_e32 v5, v6, v4
	v_fma_f32 v1, -v1, v5, v3
	v_div_fmas_f32 v3, v1, v4, v5
	v_mov_b32_e32 v1, 0xd0
	v_lshl_add_u32 v1, v0, 2, v1
	v_div_fixup_f32 v2, v3, v2, 1.0
	v_mov_b32_e32 v3, v0
.LBB277_107:                            ; =>This Inner Loop Header: Depth=1
	ds_read_b32 v4, v1
	v_add_u32_e32 v3, 0x80, v3
	v_cmp_le_i32_e32 vcc, s23, v3
	s_or_b64 s[6:7], vcc, s[6:7]
	s_waitcnt lgkmcnt(0)
	v_mul_f32_e32 v4, v2, v4
	ds_write_b32 v1, v4
	v_add_u32_e32 v1, 0x200, v1
	s_andn2_b64 exec, exec, s[6:7]
	s_cbranch_execnz .LBB277_107
.LBB277_108:
	s_or_b64 exec, exec, s[4:5]
	v_mov_b32_e32 v12, 0
	v_mov_b32_e32 v11, v12
	;; [unrolled: 1-line block ×4, first 2 shown]
	s_waitcnt lgkmcnt(0)
	s_barrier
	s_and_saveexec_b64 s[6:7], s[2:3]
	s_cbranch_execz .LBB277_216
; %bb.109:
	s_sub_i32 s39, s16, s21
	s_ashr_i32 s2, s20, 31
	s_add_u32 s10, s36, s20
	s_addc_u32 s11, s37, s2
	s_abs_i32 s36, s22
	v_cvt_f32_u32_e32 v1, s36
	s_sub_i32 s3, 0, s36
	v_or_b32_e32 v2, 64, v23
	s_movk_i32 s2, 0x60
	v_rcp_iflag_f32_e32 v1, v1
	v_cmp_gt_u32_e32 vcc, s2, v2
	v_lshlrev_b32_e32 v25, 3, v2
	s_add_i32 s40, s50, -1
	v_mul_f32_e32 v1, 0x4f7ffffe, v1
	v_cvt_u32_f32_e32 v1, v1
	v_and_b32_e32 v3, 60, v14
	v_mov_b32_e32 v11, v12
	s_mov_b32 s12, -1
	v_mul_lo_u32 v4, s3, v1
	s_lshl_b64 s[2:3], s[34:35], 2
	s_add_u32 s2, s30, s2
	s_addc_u32 s3, s31, s3
	v_mul_hi_u32 v2, v1, v4
	v_mov_b32_e32 v9, v11
	s_mov_b32 s37, s17
	s_mov_b32 s13, 0xffffff
	v_add_u32_e32 v26, v1, v2
	v_mov_b32_e32 v1, s3
	v_add_co_u32_e64 v13, s[2:3], s2, v3
	v_addc_co_u32_e64 v14, s[2:3], 0, v1, s[2:3]
	v_mov_b32_e32 v1, 0xd0
	v_lshlrev_b32_e32 v24, 3, v23
	v_lshl_add_u32 v27, v21, 5, v1
	s_mov_b64 s[16:17], 0
	s_movk_i32 s41, 0x80
	s_movk_i32 s42, 0x7f
	;; [unrolled: 1-line block ×3, first 2 shown]
	s_mov_b32 s44, 0x7060302
	v_bfrev_b32_e32 v28, 60
	v_mov_b32_e32 v10, v12
	s_branch .LBB277_113
.LBB277_110:                            ;   in Loop: Header=BB277_113 Depth=1
	s_or_b64 exec, exec, s[4:5]
	v_perm_b32 v5, v6, v5, s44
	v_perm_b32 v6, v8, v7, s44
	;; [unrolled: 1-line block ×3, first 2 shown]
	v_lshlrev_b32_e32 v8, 16, v5
	v_lshlrev_b32_e32 v17, 16, v30
	v_mul_f32_e32 v8, v8, v17
	v_and_b32_e32 v5, 0xffff0000, v5
	v_lshlrev_b32_e32 v16, 16, v16
	v_bfe_u32 v17, v8, 16, 1
	v_mul_f32_e32 v5, v5, v16
	v_add3_u32 v17, v17, v8, s43
	v_or_b32_e32 v18, 0x400000, v8
	v_cmp_u_f32_e64 s[2:3], v8, v8
	v_bfe_u32 v16, v5, 16, 1
	v_cndmask_b32_e64 v8, v17, v18, s[2:3]
	v_add3_u32 v16, v16, v5, s43
	v_or_b32_e32 v17, 0x400000, v5
	v_cmp_u_f32_e64 s[2:3], v5, v5
	v_cndmask_b32_e64 v5, v16, v17, s[2:3]
	v_lshlrev_b32_e32 v16, 16, v6
	v_lshlrev_b32_e32 v17, 16, v29
	v_mul_f32_e32 v16, v16, v17
	v_and_b32_e32 v6, 0xffff0000, v6
	v_lshlrev_b32_e32 v3, 16, v3
	v_bfe_u32 v17, v16, 16, 1
	v_mul_f32_e32 v3, v6, v3
	v_add3_u32 v17, v17, v16, s43
	v_or_b32_e32 v18, 0x400000, v16
	v_cmp_u_f32_e64 s[2:3], v16, v16
	v_bfe_u32 v6, v3, 16, 1
	v_cndmask_b32_e64 v16, v17, v18, s[2:3]
	v_add3_u32 v6, v6, v3, s43
	v_or_b32_e32 v17, 0x400000, v3
	v_cmp_u_f32_e64 s[2:3], v3, v3
	v_cndmask_b32_e64 v3, v6, v17, s[2:3]
	v_lshlrev_b32_e32 v6, 16, v7
	v_lshlrev_b32_e32 v2, 16, v2
	v_mul_f32_e32 v2, v6, v2
	v_bfe_u32 v6, v2, 16, 1
	v_add3_u32 v6, v6, v2, s43
	v_or_b32_e32 v17, 0x400000, v2
	v_cmp_u_f32_e64 s[2:3], v2, v2
	v_cndmask_b32_e64 v2, v6, v17, s[2:3]
	v_and_b32_e32 v6, 0xffff0000, v7
	v_lshlrev_b32_e32 v1, 16, v1
	v_mul_f32_e32 v1, v6, v1
	v_bfe_u32 v6, v1, 16, 1
	v_perm_b32 v4, v4, v19, s44
	v_add3_u32 v6, v6, v1, s43
	v_or_b32_e32 v7, 0x400000, v1
	v_cmp_u_f32_e64 s[2:3], v1, v1
	v_cndmask_b32_e64 v1, v6, v7, s[2:3]
	v_lshlrev_b32_e32 v6, 16, v4
	v_lshlrev_b32_e32 v7, 16, v15
	v_mul_f32_e32 v6, v6, v7
	v_bfe_u32 v7, v6, 16, 1
	v_add3_u32 v7, v7, v6, s43
	v_or_b32_e32 v15, 0x400000, v6
	v_cmp_u_f32_e64 s[2:3], v6, v6
	v_cndmask_b32_e64 v6, v7, v15, s[2:3]
	v_and_b32_e32 v4, 0xffff0000, v4
	v_lshlrev_b32_e32 v7, 16, v11
	v_mul_f32_e32 v4, v4, v7
	v_bfe_u32 v7, v4, 16, 1
	v_add3_u32 v7, v7, v4, s43
	v_or_b32_e32 v11, 0x400000, v4
	v_cmp_u_f32_e64 s[2:3], v4, v4
	v_cndmask_b32_e64 v4, v7, v11, s[2:3]
	v_and_b32_e32 v5, 0xffff0000, v5
	v_and_b32_e32 v7, 0xffff0000, v8
	v_add_f32_e32 v5, v7, v5
	v_and_b32_e32 v3, 0xffff0000, v3
	v_and_b32_e32 v7, 0xffff0000, v16
	v_add_f32_e32 v3, v7, v3
	;; [unrolled: 3-line block ×3, first 2 shown]
	v_add_f32_e32 v1, v2, v1
	v_add_f32_e32 v1, v1, v3
	v_and_b32_e32 v2, 0xffff0000, v4
	v_and_b32_e32 v3, 0xffff0000, v6
	v_add_f32_e32 v2, v3, v2
	v_add_f32_e32 v1, v2, v1
	;; [unrolled: 1-line block ×3, first 2 shown]
.LBB277_111:                            ;   in Loop: Header=BB277_113 Depth=1
	s_or_b64 exec, exec, s[20:21]
.LBB277_112:                            ;   in Loop: Header=BB277_113 Depth=1
	s_or_b64 exec, exec, s[18:19]
	v_add_co_u32_e64 v13, s[2:3], 8, v13
	v_add_u32_e32 v21, 2, v21
	v_addc_co_u32_e64 v14, s[2:3], 0, v14, s[2:3]
	v_cmp_le_i32_e64 s[2:3], s50, v21
	v_add_u32_e32 v22, 16, v22
	s_or_b64 s[16:17], s[2:3], s[16:17]
	v_add_u32_e32 v27, 64, v27
	s_andn2_b64 exec, exec, s[16:17]
	s_cbranch_execz .LBB277_215
.LBB277_113:                            ; =>This Inner Loop Header: Depth=1
	v_mul_hi_u32 v1, v22, s48
	v_mul_lo_u32 v2, v1, s33
	v_add_u32_e32 v3, 1, v1
	v_sub_u32_e32 v2, v22, v2
	v_cmp_le_u32_e64 s[2:3], s33, v2
	v_cndmask_b32_e64 v1, v1, v3, s[2:3]
	v_subrev_u32_e32 v3, s33, v2
	v_cndmask_b32_e64 v2, v2, v3, s[2:3]
	v_add_u32_e32 v3, 1, v1
	v_cmp_le_u32_e64 s[2:3], s33, v2
	v_cndmask_b32_e64 v1, v1, v3, s[2:3]
	v_xor_b32_e32 v1, s49, v1
	v_subrev_u32_e32 v1, s49, v1
	v_add_u32_e32 v2, s38, v1
	v_sub_u32_e32 v3, 0, v2
	v_max_i32_e32 v3, v2, v3
	v_mul_hi_u32 v4, v3, v26
	v_ashrrev_i32_e32 v2, 31, v2
	v_cmp_lt_i32_e64 s[4:5], s39, v1
	v_mul_lo_u32 v4, v4, s36
	v_sub_u32_e32 v3, v3, v4
	v_subrev_u32_e32 v4, s36, v3
	v_cmp_le_u32_e64 s[2:3], s36, v3
	v_cndmask_b32_e64 v3, v3, v4, s[2:3]
	v_subrev_u32_e32 v4, s36, v3
	v_cmp_le_u32_e64 s[2:3], s36, v3
	v_cndmask_b32_e64 v3, v3, v4, s[2:3]
	v_xor_b32_e32 v3, v3, v2
	v_sub_u32_e32 v2, v3, v2
	v_cmp_eq_u32_e64 s[2:3], 0, v2
	s_or_b64 s[2:3], s[2:3], s[4:5]
	s_and_saveexec_b64 s[18:19], s[2:3]
	s_cbranch_execz .LBB277_112
; %bb.114:                              ;   in Loop: Header=BB277_113 Depth=1
	global_load_dword v3, v[13:14], off
	v_mov_b32_e32 v1, s10
	v_mov_b32_e32 v2, s11
	;; [unrolled: 1-line block ×4, first 2 shown]
	s_waitcnt vmcnt(0)
	v_mad_i64_i32 v[15:16], s[2:3], v3, s37, v[1:2]
	v_add_co_u32_e64 v1, s[2:3], v15, v24
	v_addc_co_u32_e64 v2, s[2:3], 0, v16, s[2:3]
	global_load_dwordx2 v[17:18], v[1:2], off
	ds_read2_b64 v[5:8], v27 offset1:1
	ds_read2_b64 v[1:4], v27 offset0:2 offset1:3
	s_load_dword s45, s[14:15], 0x0
	s_waitcnt vmcnt(0)
	v_cmp_ne_u16_sdwa s[2:3], v17, v12 src0_sel:BYTE_0 src1_sel:DWORD
	s_and_saveexec_b64 s[4:5], s[2:3]
	s_cbranch_execz .LBB277_120
; %bb.115:                              ;   in Loop: Header=BB277_113 Depth=1
	v_cmp_ne_u16_sdwa s[2:3], v17, s41 src0_sel:BYTE_0 src1_sel:DWORD
	v_bfrev_b32_e32 v29, 1
	s_and_saveexec_b64 s[20:21], s[2:3]
	s_cbranch_execz .LBB277_119
; %bb.116:                              ;   in Loop: Header=BB277_113 Depth=1
	v_and_b32_e32 v11, 0x7f, v17
	v_cmp_ne_u32_e64 s[2:3], s42, v11
	v_mov_b32_e32 v29, 0x7f800001
	s_and_saveexec_b64 s[22:23], s[2:3]
	s_cbranch_execz .LBB277_118
; %bb.117:                              ;   in Loop: Header=BB277_113 Depth=1
	v_and_b32_e32 v19, 7, v17
	v_ffbh_u32_e32 v19, v19
	v_min_u32_e32 v19, 32, v19
	v_lshrrev_b32_e32 v29, 3, v11
	v_subrev_u32_e32 v31, 28, v19
	v_sub_u32_e32 v19, 29, v19
	v_cmp_gt_u32_e64 s[2:3], 8, v11
	v_cndmask_b32_e64 v11, v29, v19, s[2:3]
	v_cndmask_b32_e64 v19, 0, v31, s[2:3]
	v_lshlrev_b64 v[31:32], v19, v[17:18]
	v_lshlrev_b32_e32 v29, 24, v17
	v_lshlrev_b32_e32 v19, 20, v31
	v_and_b32_e32 v19, 0x700000, v19
	v_and_b32_e32 v29, 0x80000000, v29
	v_lshl_add_u32 v11, v11, 23, v28
	v_or3_b32 v29, v29, v11, v19
.LBB277_118:                            ;   in Loop: Header=BB277_113 Depth=1
	s_or_b64 exec, exec, s[22:23]
.LBB277_119:                            ;   in Loop: Header=BB277_113 Depth=1
	s_or_b64 exec, exec, s[20:21]
.LBB277_120:                            ;   in Loop: Header=BB277_113 Depth=1
	s_or_b64 exec, exec, s[4:5]
	v_lshrrev_b16_e32 v11, 8, v17
	v_cmp_ne_u16_e64 s[2:3], 0, v11
	s_and_saveexec_b64 s[4:5], s[2:3]
	s_cbranch_execz .LBB277_126
; %bb.121:                              ;   in Loop: Header=BB277_113 Depth=1
	v_cmp_ne_u16_e64 s[2:3], s41, v11
	v_bfrev_b32_e32 v30, 1
	s_and_saveexec_b64 s[20:21], s[2:3]
	s_cbranch_execz .LBB277_125
; %bb.122:                              ;   in Loop: Header=BB277_113 Depth=1
	v_and_b32_e32 v19, 0x7f, v11
	v_cmp_ne_u32_e64 s[2:3], s42, v19
	v_mov_b32_e32 v30, 0x7f800001
	s_and_saveexec_b64 s[22:23], s[2:3]
	s_cbranch_execz .LBB277_124
; %bb.123:                              ;   in Loop: Header=BB277_113 Depth=1
	v_and_b32_e32 v32, 7, v11
	v_ffbh_u32_e32 v30, v32
	v_min_u32_e32 v34, 32, v30
	v_subrev_u32_e32 v30, 28, v34
	v_lshlrev_b64 v[30:31], v30, v[11:12]
	v_lshrrev_b32_e32 v33, 3, v19
	v_sub_u32_e32 v11, 29, v34
	v_and_b32_e32 v30, 7, v30
	v_cmp_gt_u32_e64 s[2:3], 8, v19
	v_cndmask_b32_e64 v11, v33, v11, s[2:3]
	v_cndmask_b32_e64 v19, v32, v30, s[2:3]
	v_lshlrev_b32_e32 v30, 16, v17
	v_lshlrev_b32_e32 v19, 20, v19
	v_and_b32_e32 v30, 0x80000000, v30
	v_lshl_add_u32 v11, v11, 23, v28
	v_or3_b32 v30, v30, v11, v19
.LBB277_124:                            ;   in Loop: Header=BB277_113 Depth=1
	s_or_b64 exec, exec, s[22:23]
.LBB277_125:                            ;   in Loop: Header=BB277_113 Depth=1
	s_or_b64 exec, exec, s[20:21]
.LBB277_126:                            ;   in Loop: Header=BB277_113 Depth=1
	s_or_b64 exec, exec, s[4:5]
	v_lshrrev_b32_e32 v11, 16, v17
	v_cmp_ne_u16_sdwa s[2:3], v11, v12 src0_sel:BYTE_0 src1_sel:DWORD
	v_mov_b32_e32 v32, 0
	v_mov_b32_e32 v31, 0
	s_and_saveexec_b64 s[4:5], s[2:3]
	s_cbranch_execz .LBB277_132
; %bb.127:                              ;   in Loop: Header=BB277_113 Depth=1
	v_cmp_ne_u16_sdwa s[2:3], v11, s41 src0_sel:BYTE_0 src1_sel:DWORD
	v_bfrev_b32_e32 v31, 1
	s_and_saveexec_b64 s[20:21], s[2:3]
	s_cbranch_execz .LBB277_131
; %bb.128:                              ;   in Loop: Header=BB277_113 Depth=1
	v_bfe_u32 v19, v17, 16, 7
	v_cmp_ne_u32_e64 s[2:3], s42, v19
	v_mov_b32_e32 v31, 0x7f800001
	s_and_saveexec_b64 s[22:23], s[2:3]
	s_cbranch_execz .LBB277_130
; %bb.129:                              ;   in Loop: Header=BB277_113 Depth=1
	v_and_b32_e32 v31, 7, v11
	v_ffbh_u32_e32 v33, v31
	v_min_u32_e32 v36, 32, v33
	v_subrev_u32_e32 v33, 28, v36
	v_lshlrev_b64 v[33:34], v33, v[11:12]
	v_lshrrev_b32_e32 v35, 3, v19
	v_sub_u32_e32 v34, 29, v36
	v_and_b32_e32 v33, 7, v33
	v_cmp_gt_u32_e64 s[2:3], 8, v19
	v_cndmask_b32_e64 v19, v35, v34, s[2:3]
	v_cndmask_b32_e64 v31, v31, v33, s[2:3]
	v_lshlrev_b32_e32 v11, 24, v11
	v_lshlrev_b32_e32 v31, 20, v31
	v_and_b32_e32 v11, 0x80000000, v11
	v_lshl_add_u32 v19, v19, 23, v28
	v_or3_b32 v31, v11, v19, v31
.LBB277_130:                            ;   in Loop: Header=BB277_113 Depth=1
	s_or_b64 exec, exec, s[22:23]
.LBB277_131:                            ;   in Loop: Header=BB277_113 Depth=1
	s_or_b64 exec, exec, s[20:21]
.LBB277_132:                            ;   in Loop: Header=BB277_113 Depth=1
	s_or_b64 exec, exec, s[4:5]
	v_cmp_lt_u32_e64 s[2:3], s13, v17
	s_and_saveexec_b64 s[4:5], s[2:3]
	s_cbranch_execz .LBB277_138
; %bb.133:                              ;   in Loop: Header=BB277_113 Depth=1
	v_lshrrev_b32_e32 v11, 24, v17
	v_cmp_ne_u32_e64 s[2:3], s41, v11
	v_bfrev_b32_e32 v32, 1
	s_and_saveexec_b64 s[20:21], s[2:3]
	s_cbranch_execz .LBB277_137
; %bb.134:                              ;   in Loop: Header=BB277_113 Depth=1
	v_bfe_u32 v19, v17, 24, 7
	v_cmp_ne_u32_e64 s[2:3], s42, v19
	v_mov_b32_e32 v32, 0x7f800001
	s_and_saveexec_b64 s[22:23], s[2:3]
	s_cbranch_execz .LBB277_136
; %bb.135:                              ;   in Loop: Header=BB277_113 Depth=1
	v_and_b32_e32 v34, 7, v11
	v_ffbh_u32_e32 v32, v34
	v_min_u32_e32 v36, 32, v32
	v_subrev_u32_e32 v32, 28, v36
	v_lshlrev_b64 v[32:33], v32, v[11:12]
	v_lshrrev_b32_e32 v35, 3, v19
	v_sub_u32_e32 v33, 29, v36
	v_and_b32_e32 v32, 7, v32
	v_cmp_gt_u32_e64 s[2:3], 8, v19
	v_cndmask_b32_e64 v19, v35, v33, s[2:3]
	v_cndmask_b32_e64 v32, v34, v32, s[2:3]
	v_lshlrev_b32_e32 v11, 24, v11
	v_lshlrev_b32_e32 v32, 20, v32
	v_and_b32_e32 v11, 0x80000000, v11
	v_lshl_add_u32 v19, v19, 23, v28
	v_or3_b32 v32, v11, v19, v32
.LBB277_136:                            ;   in Loop: Header=BB277_113 Depth=1
	s_or_b64 exec, exec, s[22:23]
.LBB277_137:                            ;   in Loop: Header=BB277_113 Depth=1
	s_or_b64 exec, exec, s[20:21]
.LBB277_138:                            ;   in Loop: Header=BB277_113 Depth=1
	s_or_b64 exec, exec, s[4:5]
	v_mov_b32_e32 v11, v18
	v_cmp_ne_u16_sdwa s[2:3], v18, v12 src0_sel:BYTE_0 src1_sel:DWORD
	v_mov_b32_e32 v34, 0
	v_mov_b32_e32 v33, 0
	s_and_saveexec_b64 s[4:5], s[2:3]
	s_cbranch_execz .LBB277_144
; %bb.139:                              ;   in Loop: Header=BB277_113 Depth=1
	v_cmp_ne_u16_sdwa s[2:3], v18, s41 src0_sel:BYTE_0 src1_sel:DWORD
	v_bfrev_b32_e32 v33, 1
	s_and_saveexec_b64 s[20:21], s[2:3]
	s_cbranch_execz .LBB277_143
; %bb.140:                              ;   in Loop: Header=BB277_113 Depth=1
	v_and_b32_e32 v19, 0x7f, v18
	v_cmp_ne_u32_e64 s[2:3], s42, v19
	v_mov_b32_e32 v33, 0x7f800001
	s_and_saveexec_b64 s[22:23], s[2:3]
	s_cbranch_execz .LBB277_142
; %bb.141:                              ;   in Loop: Header=BB277_113 Depth=1
	v_and_b32_e32 v33, 7, v18
	v_ffbh_u32_e32 v33, v33
	v_min_u32_e32 v33, 32, v33
	v_lshrrev_b32_e32 v35, 3, v19
	v_subrev_u32_e32 v36, 28, v33
	v_sub_u32_e32 v33, 29, v33
	v_cmp_gt_u32_e64 s[2:3], 8, v19
	v_cndmask_b32_e64 v19, v35, v33, s[2:3]
	v_cndmask_b32_e64 v33, 0, v36, s[2:3]
	v_lshlrev_b64 v[35:36], v33, v[11:12]
	v_lshl_add_u32 v19, v19, 23, v28
	v_lshlrev_b32_e32 v33, 20, v35
	v_lshlrev_b32_e32 v35, 24, v11
	v_and_b32_e32 v33, 0x700000, v33
	v_and_b32_e32 v35, 0x80000000, v35
	v_or3_b32 v33, v35, v19, v33
.LBB277_142:                            ;   in Loop: Header=BB277_113 Depth=1
	s_or_b64 exec, exec, s[22:23]
.LBB277_143:                            ;   in Loop: Header=BB277_113 Depth=1
	s_or_b64 exec, exec, s[20:21]
.LBB277_144:                            ;   in Loop: Header=BB277_113 Depth=1
	s_or_b64 exec, exec, s[4:5]
	v_lshrrev_b16_e32 v19, 8, v11
	v_cmp_ne_u16_e64 s[2:3], 0, v19
	s_and_saveexec_b64 s[4:5], s[2:3]
	s_cbranch_execz .LBB277_150
; %bb.145:                              ;   in Loop: Header=BB277_113 Depth=1
	v_cmp_ne_u16_e64 s[2:3], s41, v19
	v_bfrev_b32_e32 v34, 1
	s_and_saveexec_b64 s[20:21], s[2:3]
	s_cbranch_execz .LBB277_149
; %bb.146:                              ;   in Loop: Header=BB277_113 Depth=1
	v_and_b32_e32 v35, 0x7f, v19
	v_cmp_ne_u32_e64 s[2:3], s42, v35
	v_mov_b32_e32 v34, 0x7f800001
	s_and_saveexec_b64 s[22:23], s[2:3]
	s_cbranch_execz .LBB277_148
; %bb.147:                              ;   in Loop: Header=BB277_113 Depth=1
	v_and_b32_e32 v34, 7, v19
	v_ffbh_u32_e32 v36, v34
	v_min_u32_e32 v39, 32, v36
	v_subrev_u32_e32 v36, 28, v39
	v_lshlrev_b64 v[36:37], v36, v[19:20]
	v_lshrrev_b32_e32 v38, 3, v35
	v_sub_u32_e32 v19, 29, v39
	v_and_b32_e32 v36, 7, v36
	v_cmp_gt_u32_e64 s[2:3], 8, v35
	v_cndmask_b32_e64 v19, v38, v19, s[2:3]
	v_cndmask_b32_e64 v34, v34, v36, s[2:3]
	v_lshlrev_b32_e32 v11, 16, v11
	v_lshlrev_b32_e32 v34, 20, v34
	v_and_b32_e32 v11, 0x80000000, v11
	v_lshl_add_u32 v19, v19, 23, v28
	v_or3_b32 v34, v11, v19, v34
.LBB277_148:                            ;   in Loop: Header=BB277_113 Depth=1
	s_or_b64 exec, exec, s[22:23]
.LBB277_149:                            ;   in Loop: Header=BB277_113 Depth=1
	s_or_b64 exec, exec, s[20:21]
.LBB277_150:                            ;   in Loop: Header=BB277_113 Depth=1
	s_or_b64 exec, exec, s[4:5]
	v_lshrrev_b32_e32 v11, 16, v18
	v_cmp_ne_u16_sdwa s[2:3], v11, v12 src0_sel:BYTE_0 src1_sel:DWORD
	v_mov_b32_e32 v19, 0
	v_mov_b32_e32 v35, 0
	s_and_saveexec_b64 s[4:5], s[2:3]
	s_cbranch_execz .LBB277_156
; %bb.151:                              ;   in Loop: Header=BB277_113 Depth=1
	v_cmp_ne_u16_sdwa s[2:3], v11, s41 src0_sel:BYTE_0 src1_sel:DWORD
	v_bfrev_b32_e32 v35, 1
	s_and_saveexec_b64 s[20:21], s[2:3]
	s_cbranch_execz .LBB277_155
; %bb.152:                              ;   in Loop: Header=BB277_113 Depth=1
	v_bfe_u32 v36, v18, 16, 7
	v_cmp_ne_u32_e64 s[2:3], s42, v36
	v_mov_b32_e32 v35, 0x7f800001
	s_and_saveexec_b64 s[22:23], s[2:3]
	s_cbranch_execz .LBB277_154
; %bb.153:                              ;   in Loop: Header=BB277_113 Depth=1
	v_and_b32_e32 v35, 7, v11
	v_ffbh_u32_e32 v37, v35
	v_min_u32_e32 v40, 32, v37
	v_subrev_u32_e32 v37, 28, v40
	v_lshlrev_b64 v[37:38], v37, v[11:12]
	v_lshrrev_b32_e32 v39, 3, v36
	v_sub_u32_e32 v38, 29, v40
	v_and_b32_e32 v37, 7, v37
	v_cmp_gt_u32_e64 s[2:3], 8, v36
	v_cndmask_b32_e64 v36, v39, v38, s[2:3]
	v_cndmask_b32_e64 v35, v35, v37, s[2:3]
	v_lshlrev_b32_e32 v11, 24, v11
	v_lshlrev_b32_e32 v35, 20, v35
	v_and_b32_e32 v11, 0x80000000, v11
	v_lshl_add_u32 v36, v36, 23, v28
	v_or3_b32 v35, v11, v36, v35
.LBB277_154:                            ;   in Loop: Header=BB277_113 Depth=1
	s_or_b64 exec, exec, s[22:23]
.LBB277_155:                            ;   in Loop: Header=BB277_113 Depth=1
	s_or_b64 exec, exec, s[20:21]
.LBB277_156:                            ;   in Loop: Header=BB277_113 Depth=1
	s_or_b64 exec, exec, s[4:5]
	v_cmp_lt_u64_e64 s[2:3], s[12:13], v[17:18]
	s_and_saveexec_b64 s[4:5], s[2:3]
	s_cbranch_execz .LBB277_162
; %bb.157:                              ;   in Loop: Header=BB277_113 Depth=1
	v_lshrrev_b32_e32 v11, 24, v18
	v_cmp_ne_u32_e64 s[2:3], s41, v11
	v_bfrev_b32_e32 v19, 1
	s_and_saveexec_b64 s[20:21], s[2:3]
	s_cbranch_execz .LBB277_161
; %bb.158:                              ;   in Loop: Header=BB277_113 Depth=1
	v_bfe_u32 v17, v18, 24, 7
	v_cmp_ne_u32_e64 s[2:3], s42, v17
	v_mov_b32_e32 v19, 0x7f800001
	s_and_saveexec_b64 s[22:23], s[2:3]
	s_cbranch_execz .LBB277_160
; %bb.159:                              ;   in Loop: Header=BB277_113 Depth=1
	v_and_b32_e32 v36, 7, v11
	v_ffbh_u32_e32 v18, v36
	v_min_u32_e32 v38, 32, v18
	v_subrev_u32_e32 v18, 28, v38
	v_lshlrev_b64 v[18:19], v18, v[11:12]
	v_lshrrev_b32_e32 v37, 3, v17
	v_sub_u32_e32 v19, 29, v38
	v_and_b32_e32 v18, 7, v18
	v_cmp_gt_u32_e64 s[2:3], 8, v17
	v_cndmask_b32_e64 v17, v37, v19, s[2:3]
	v_cndmask_b32_e64 v18, v36, v18, s[2:3]
	v_lshlrev_b32_e32 v11, 24, v11
	v_lshlrev_b32_e32 v18, 20, v18
	v_and_b32_e32 v11, 0x80000000, v11
	v_lshl_add_u32 v17, v17, 23, v28
	v_or3_b32 v19, v11, v17, v18
.LBB277_160:                            ;   in Loop: Header=BB277_113 Depth=1
	s_or_b64 exec, exec, s[22:23]
.LBB277_161:                            ;   in Loop: Header=BB277_113 Depth=1
	s_or_b64 exec, exec, s[20:21]
.LBB277_162:                            ;   in Loop: Header=BB277_113 Depth=1
	s_or_b64 exec, exec, s[4:5]
	s_waitcnt lgkmcnt(0)
	v_mul_f32_e32 v11, s45, v34
	v_bfe_u32 v17, v11, 16, 1
	v_add3_u32 v17, v17, v11, s43
	v_or_b32_e32 v18, 0x400000, v11
	v_cmp_u_f32_e64 s[4:5], v11, v11
	v_cndmask_b32_e64 v11, v17, v18, s[4:5]
	v_mul_f32_e32 v17, s45, v33
	v_bfe_u32 v18, v17, 16, 1
	v_add3_u32 v18, v18, v17, s43
	v_or_b32_e32 v33, 0x400000, v17
	v_cmp_u_f32_e64 s[4:5], v17, v17
	v_cndmask_b32_e64 v17, v18, v33, s[4:5]
	v_lshrrev_b32_e32 v33, 16, v17
	v_mul_f32_e32 v17, s45, v32
	v_bfe_u32 v18, v17, 16, 1
	v_add3_u32 v18, v18, v17, s43
	v_or_b32_e32 v32, 0x400000, v17
	v_cmp_u_f32_e64 s[4:5], v17, v17
	v_cndmask_b32_e64 v17, v18, v32, s[4:5]
	v_lshrrev_b32_e32 v32, 16, v17
	;; [unrolled: 7-line block ×6, first 2 shown]
	v_mul_f32_e32 v17, s45, v19
	v_bfe_u32 v18, v17, 16, 1
	v_add3_u32 v18, v18, v17, s43
	v_or_b32_e32 v19, 0x400000, v17
	v_cmp_u_f32_e64 s[4:5], v17, v17
	v_cndmask_b32_e64 v17, v18, v19, s[4:5]
	v_cmp_eq_u32_e64 s[2:3], s40, v21
	v_lshrrev_b32_e32 v11, 16, v11
	v_lshrrev_b32_e32 v29, 16, v17
	s_and_saveexec_b64 s[20:21], s[2:3]
	s_cbranch_execz .LBB277_164
; %bb.163:                              ;   in Loop: Header=BB277_113 Depth=1
	v_cmp_gt_i32_e64 s[4:5], s25, v22
	v_add_u32_e32 v17, 1, v22
	v_cndmask_b32_e64 v36, 0, v36, s[4:5]
	v_cmp_gt_i32_e64 s[4:5], s25, v17
	v_add_u32_e32 v17, 2, v22
	v_cndmask_b32_e64 v34, 0, v34, s[4:5]
	;; [unrolled: 3-line block ×7, first 2 shown]
	v_cmp_gt_i32_e64 s[4:5], s25, v17
	v_cndmask_b32_e64 v29, 0, v29, s[4:5]
.LBB277_164:                            ;   in Loop: Header=BB277_113 Depth=1
	s_or_b64 exec, exec, s[20:21]
	v_bfe_u32 v17, v5, 16, 1
	v_add3_u32 v17, v17, v5, s43
	v_or_b32_e32 v18, 0x400000, v5
	v_cmp_u_f32_e64 s[4:5], v5, v5
	v_cndmask_b32_e64 v5, v17, v18, s[4:5]
	v_bfe_u32 v17, v6, 16, 1
	v_add3_u32 v17, v17, v6, s43
	v_or_b32_e32 v18, 0x400000, v6
	v_cmp_u_f32_e64 s[4:5], v6, v6
	v_cndmask_b32_e64 v6, v17, v18, s[4:5]
	;; [unrolled: 5-line block ×4, first 2 shown]
	v_bfe_u32 v17, v1, 16, 1
	v_add3_u32 v17, v17, v1, s43
	v_or_b32_e32 v18, 0x400000, v1
	v_cmp_u_f32_e64 s[4:5], v1, v1
	v_bfe_u32 v1, v2, 16, 1
	v_cndmask_b32_e64 v17, v17, v18, s[4:5]
	v_add3_u32 v1, v1, v2, s43
	v_or_b32_e32 v18, 0x400000, v2
	v_cmp_u_f32_e64 s[4:5], v2, v2
	v_cndmask_b32_e64 v18, v1, v18, s[4:5]
	v_bfe_u32 v1, v3, 16, 1
	v_add3_u32 v1, v1, v3, s43
	v_or_b32_e32 v2, 0x400000, v3
	v_cmp_u_f32_e64 s[4:5], v3, v3
	v_cndmask_b32_e64 v19, v1, v2, s[4:5]
	v_bfe_u32 v1, v4, 16, 1
	v_add3_u32 v1, v1, v4, s43
	v_or_b32_e32 v2, 0x400000, v4
	v_cmp_u_f32_e64 s[4:5], v4, v4
	v_cndmask_b32_e64 v4, v1, v2, s[4:5]
	v_and_b32_e32 v1, 0xffff0000, v5
	v_lshlrev_b32_e32 v2, 16, v36
	v_mul_f32_e32 v1, v1, v2
	v_bfe_u32 v2, v1, 16, 1
	v_add3_u32 v2, v2, v1, s43
	v_or_b32_e32 v3, 0x400000, v1
	v_cmp_u_f32_e64 s[4:5], v1, v1
	v_cndmask_b32_e64 v1, v2, v3, s[4:5]
	v_and_b32_e32 v2, 0xffff0000, v6
	v_lshlrev_b32_e32 v3, 16, v34
	v_mul_f32_e32 v2, v2, v3
	;; [unrolled: 8-line block ×7, first 2 shown]
	v_bfe_u32 v33, v30, 16, 1
	v_add3_u32 v33, v33, v30, s43
	v_or_b32_e32 v34, 0x400000, v30
	v_cmp_u_f32_e64 s[4:5], v30, v30
	v_cndmask_b32_e64 v30, v33, v34, s[4:5]
	v_and_b32_e32 v33, 0xffff0000, v4
	v_lshlrev_b32_e32 v29, 16, v29
	v_and_b32_e32 v2, 0xffff0000, v2
	v_and_b32_e32 v1, 0xffff0000, v1
	v_mul_f32_e32 v29, v33, v29
	v_add_f32_e32 v1, v1, v2
	v_and_b32_e32 v2, 0xffff0000, v31
	v_and_b32_e32 v3, 0xffff0000, v3
	v_bfe_u32 v33, v29, 16, 1
	v_add_f32_e32 v2, v3, v2
	v_add3_u32 v33, v33, v29, s43
	v_or_b32_e32 v34, 0x400000, v29
	v_cmp_u_f32_e64 s[4:5], v29, v29
	v_add_f32_e32 v1, v2, v1
	v_and_b32_e32 v2, 0xffff0000, v11
	v_and_b32_e32 v3, 0xffff0000, v32
	v_cndmask_b32_e64 v29, v33, v34, s[4:5]
	v_add_f32_e32 v2, v3, v2
	v_add_f32_e32 v1, v2, v1
	v_and_b32_e32 v2, 0xffff0000, v29
	v_and_b32_e32 v3, 0xffff0000, v30
	v_add_f32_e32 v2, v3, v2
	v_add_f32_e32 v1, v2, v1
	;; [unrolled: 1-line block ×3, first 2 shown]
	s_and_saveexec_b64 s[20:21], vcc
	s_cbranch_execz .LBB277_111
; %bb.165:                              ;   in Loop: Header=BB277_113 Depth=1
	v_add_co_u32_e64 v1, s[4:5], v15, v25
	v_addc_co_u32_e64 v2, s[4:5], 0, v16, s[4:5]
	global_load_dwordx2 v[1:2], v[1:2], off
	v_mov_b32_e32 v16, 0
	v_mov_b32_e32 v15, 0
	s_waitcnt vmcnt(0)
	v_cmp_ne_u16_sdwa s[4:5], v1, v12 src0_sel:BYTE_0 src1_sel:DWORD
	s_and_saveexec_b64 s[22:23], s[4:5]
	s_cbranch_execz .LBB277_171
; %bb.166:                              ;   in Loop: Header=BB277_113 Depth=1
	v_cmp_ne_u16_sdwa s[4:5], v1, s41 src0_sel:BYTE_0 src1_sel:DWORD
	v_bfrev_b32_e32 v15, 1
	s_and_saveexec_b64 s[30:31], s[4:5]
	s_cbranch_execz .LBB277_170
; %bb.167:                              ;   in Loop: Header=BB277_113 Depth=1
	v_and_b32_e32 v3, 0x7f, v1
	v_cmp_ne_u32_e64 s[4:5], s42, v3
	v_mov_b32_e32 v15, 0x7f800001
	s_and_saveexec_b64 s[34:35], s[4:5]
	s_cbranch_execz .LBB277_169
; %bb.168:                              ;   in Loop: Header=BB277_113 Depth=1
	v_and_b32_e32 v11, 7, v1
	v_ffbh_u32_e32 v11, v11
	v_min_u32_e32 v11, 32, v11
	v_lshrrev_b32_e32 v15, 3, v3
	v_subrev_u32_e32 v29, 28, v11
	v_sub_u32_e32 v11, 29, v11
	v_cmp_gt_u32_e64 s[4:5], 8, v3
	v_cndmask_b32_e64 v3, v15, v11, s[4:5]
	v_cndmask_b32_e64 v11, 0, v29, s[4:5]
	v_lshlrev_b64 v[29:30], v11, v[1:2]
	v_lshlrev_b32_e32 v15, 24, v1
	v_lshlrev_b32_e32 v11, 20, v29
	v_and_b32_e32 v11, 0x700000, v11
	v_and_b32_e32 v15, 0x80000000, v15
	v_lshl_add_u32 v3, v3, 23, v28
	v_or3_b32 v15, v15, v3, v11
.LBB277_169:                            ;   in Loop: Header=BB277_113 Depth=1
	s_or_b64 exec, exec, s[34:35]
.LBB277_170:                            ;   in Loop: Header=BB277_113 Depth=1
	s_or_b64 exec, exec, s[30:31]
.LBB277_171:                            ;   in Loop: Header=BB277_113 Depth=1
	s_or_b64 exec, exec, s[22:23]
	v_lshrrev_b16_e32 v3, 8, v1
	v_cmp_ne_u16_e64 s[4:5], 0, v3
	s_and_saveexec_b64 s[22:23], s[4:5]
	s_cbranch_execz .LBB277_177
; %bb.172:                              ;   in Loop: Header=BB277_113 Depth=1
	v_cmp_ne_u16_e64 s[4:5], s41, v3
	v_bfrev_b32_e32 v16, 1
	s_and_saveexec_b64 s[30:31], s[4:5]
	s_cbranch_execz .LBB277_176
; %bb.173:                              ;   in Loop: Header=BB277_113 Depth=1
	v_and_b32_e32 v11, 0x7f, v3
	v_cmp_ne_u32_e64 s[4:5], s42, v11
	v_mov_b32_e32 v16, 0x7f800001
	s_and_saveexec_b64 s[34:35], s[4:5]
	s_cbranch_execz .LBB277_175
; %bb.174:                              ;   in Loop: Header=BB277_113 Depth=1
	v_and_b32_e32 v16, 7, v3
	v_ffbh_u32_e32 v29, v16
	v_min_u32_e32 v32, 32, v29
	v_subrev_u32_e32 v29, 28, v32
	v_lshlrev_b64 v[29:30], v29, v[3:4]
	v_lshrrev_b32_e32 v31, 3, v11
	v_sub_u32_e32 v3, 29, v32
	v_and_b32_e32 v29, 7, v29
	v_cmp_gt_u32_e64 s[4:5], 8, v11
	v_cndmask_b32_e64 v3, v31, v3, s[4:5]
	v_cndmask_b32_e64 v11, v16, v29, s[4:5]
	v_lshlrev_b32_e32 v16, 16, v1
	v_lshlrev_b32_e32 v11, 20, v11
	v_and_b32_e32 v16, 0x80000000, v16
	v_lshl_add_u32 v3, v3, 23, v28
	v_or3_b32 v16, v16, v3, v11
.LBB277_175:                            ;   in Loop: Header=BB277_113 Depth=1
	s_or_b64 exec, exec, s[34:35]
.LBB277_176:                            ;   in Loop: Header=BB277_113 Depth=1
	s_or_b64 exec, exec, s[30:31]
.LBB277_177:                            ;   in Loop: Header=BB277_113 Depth=1
	s_or_b64 exec, exec, s[22:23]
	v_lshrrev_b32_e32 v3, 16, v1
	v_cmp_ne_u16_sdwa s[4:5], v3, v12 src0_sel:BYTE_0 src1_sel:DWORD
	v_mov_b32_e32 v30, 0
	v_mov_b32_e32 v29, 0
	s_and_saveexec_b64 s[22:23], s[4:5]
	s_cbranch_execz .LBB277_183
; %bb.178:                              ;   in Loop: Header=BB277_113 Depth=1
	v_cmp_ne_u16_sdwa s[4:5], v3, s41 src0_sel:BYTE_0 src1_sel:DWORD
	v_bfrev_b32_e32 v29, 1
	s_and_saveexec_b64 s[30:31], s[4:5]
	s_cbranch_execz .LBB277_182
; %bb.179:                              ;   in Loop: Header=BB277_113 Depth=1
	v_bfe_u32 v11, v1, 16, 7
	v_cmp_ne_u32_e64 s[4:5], s42, v11
	v_mov_b32_e32 v29, 0x7f800001
	s_and_saveexec_b64 s[34:35], s[4:5]
	s_cbranch_execz .LBB277_181
; %bb.180:                              ;   in Loop: Header=BB277_113 Depth=1
	v_and_b32_e32 v29, 7, v3
	v_ffbh_u32_e32 v31, v29
	v_min_u32_e32 v34, 32, v31
	v_subrev_u32_e32 v31, 28, v34
	v_lshlrev_b64 v[31:32], v31, v[3:4]
	v_lshrrev_b32_e32 v33, 3, v11
	v_sub_u32_e32 v32, 29, v34
	v_and_b32_e32 v31, 7, v31
	v_cmp_gt_u32_e64 s[4:5], 8, v11
	v_cndmask_b32_e64 v11, v33, v32, s[4:5]
	v_cndmask_b32_e64 v29, v29, v31, s[4:5]
	v_lshlrev_b32_e32 v3, 24, v3
	v_lshlrev_b32_e32 v29, 20, v29
	v_and_b32_e32 v3, 0x80000000, v3
	v_lshl_add_u32 v11, v11, 23, v28
	v_or3_b32 v29, v3, v11, v29
.LBB277_181:                            ;   in Loop: Header=BB277_113 Depth=1
	s_or_b64 exec, exec, s[34:35]
.LBB277_182:                            ;   in Loop: Header=BB277_113 Depth=1
	s_or_b64 exec, exec, s[30:31]
.LBB277_183:                            ;   in Loop: Header=BB277_113 Depth=1
	s_or_b64 exec, exec, s[22:23]
	v_cmp_lt_u32_e64 s[4:5], s13, v1
	s_and_saveexec_b64 s[22:23], s[4:5]
	s_cbranch_execz .LBB277_189
; %bb.184:                              ;   in Loop: Header=BB277_113 Depth=1
	v_lshrrev_b32_e32 v3, 24, v1
	v_cmp_ne_u32_e64 s[4:5], s41, v3
	v_bfrev_b32_e32 v30, 1
	s_and_saveexec_b64 s[30:31], s[4:5]
	s_cbranch_execz .LBB277_188
; %bb.185:                              ;   in Loop: Header=BB277_113 Depth=1
	v_bfe_u32 v11, v1, 24, 7
	v_cmp_ne_u32_e64 s[4:5], s42, v11
	v_mov_b32_e32 v30, 0x7f800001
	s_and_saveexec_b64 s[34:35], s[4:5]
	s_cbranch_execz .LBB277_187
; %bb.186:                              ;   in Loop: Header=BB277_113 Depth=1
	v_and_b32_e32 v32, 7, v3
	v_ffbh_u32_e32 v30, v32
	v_min_u32_e32 v34, 32, v30
	v_subrev_u32_e32 v30, 28, v34
	v_lshlrev_b64 v[30:31], v30, v[3:4]
	v_lshrrev_b32_e32 v33, 3, v11
	v_sub_u32_e32 v31, 29, v34
	v_and_b32_e32 v30, 7, v30
	v_cmp_gt_u32_e64 s[4:5], 8, v11
	v_cndmask_b32_e64 v11, v33, v31, s[4:5]
	v_cndmask_b32_e64 v30, v32, v30, s[4:5]
	v_lshlrev_b32_e32 v3, 24, v3
	v_lshlrev_b32_e32 v30, 20, v30
	v_and_b32_e32 v3, 0x80000000, v3
	v_lshl_add_u32 v11, v11, 23, v28
	v_or3_b32 v30, v3, v11, v30
.LBB277_187:                            ;   in Loop: Header=BB277_113 Depth=1
	s_or_b64 exec, exec, s[34:35]
.LBB277_188:                            ;   in Loop: Header=BB277_113 Depth=1
	s_or_b64 exec, exec, s[30:31]
.LBB277_189:                            ;   in Loop: Header=BB277_113 Depth=1
	s_or_b64 exec, exec, s[22:23]
	v_mov_b32_e32 v11, v2
	v_cmp_ne_u16_sdwa s[4:5], v2, v12 src0_sel:BYTE_0 src1_sel:DWORD
	v_mov_b32_e32 v32, 0
	v_mov_b32_e32 v31, 0
	s_and_saveexec_b64 s[22:23], s[4:5]
	s_cbranch_execz .LBB277_195
; %bb.190:                              ;   in Loop: Header=BB277_113 Depth=1
	v_cmp_ne_u16_sdwa s[4:5], v2, s41 src0_sel:BYTE_0 src1_sel:DWORD
	v_bfrev_b32_e32 v31, 1
	s_and_saveexec_b64 s[30:31], s[4:5]
	s_cbranch_execz .LBB277_194
; %bb.191:                              ;   in Loop: Header=BB277_113 Depth=1
	v_and_b32_e32 v3, 0x7f, v2
	v_cmp_ne_u32_e64 s[4:5], s42, v3
	v_mov_b32_e32 v31, 0x7f800001
	s_and_saveexec_b64 s[34:35], s[4:5]
	s_cbranch_execz .LBB277_193
; %bb.192:                              ;   in Loop: Header=BB277_113 Depth=1
	v_and_b32_e32 v31, 7, v2
	v_ffbh_u32_e32 v31, v31
	v_min_u32_e32 v31, 32, v31
	v_lshrrev_b32_e32 v33, 3, v3
	v_subrev_u32_e32 v34, 28, v31
	v_sub_u32_e32 v31, 29, v31
	v_cmp_gt_u32_e64 s[4:5], 8, v3
	v_cndmask_b32_e64 v3, v33, v31, s[4:5]
	v_cndmask_b32_e64 v31, 0, v34, s[4:5]
	v_lshlrev_b64 v[33:34], v31, v[11:12]
	v_lshl_add_u32 v3, v3, 23, v28
	v_lshlrev_b32_e32 v31, 20, v33
	v_lshlrev_b32_e32 v33, 24, v11
	v_and_b32_e32 v31, 0x700000, v31
	v_and_b32_e32 v33, 0x80000000, v33
	v_or3_b32 v31, v33, v3, v31
.LBB277_193:                            ;   in Loop: Header=BB277_113 Depth=1
	s_or_b64 exec, exec, s[34:35]
.LBB277_194:                            ;   in Loop: Header=BB277_113 Depth=1
	s_or_b64 exec, exec, s[30:31]
.LBB277_195:                            ;   in Loop: Header=BB277_113 Depth=1
	s_or_b64 exec, exec, s[22:23]
	v_lshrrev_b16_e32 v3, 8, v11
	v_cmp_ne_u16_e64 s[4:5], 0, v3
	s_and_saveexec_b64 s[22:23], s[4:5]
	s_cbranch_execz .LBB277_201
; %bb.196:                              ;   in Loop: Header=BB277_113 Depth=1
	v_cmp_ne_u16_e64 s[4:5], s41, v3
	v_bfrev_b32_e32 v32, 1
	s_and_saveexec_b64 s[30:31], s[4:5]
	s_cbranch_execz .LBB277_200
; %bb.197:                              ;   in Loop: Header=BB277_113 Depth=1
	v_and_b32_e32 v33, 0x7f, v3
	v_cmp_ne_u32_e64 s[4:5], s42, v33
	v_mov_b32_e32 v32, 0x7f800001
	s_and_saveexec_b64 s[34:35], s[4:5]
	s_cbranch_execz .LBB277_199
; %bb.198:                              ;   in Loop: Header=BB277_113 Depth=1
	v_and_b32_e32 v32, 7, v3
	v_ffbh_u32_e32 v34, v32
	v_min_u32_e32 v37, 32, v34
	v_subrev_u32_e32 v34, 28, v37
	v_lshlrev_b64 v[34:35], v34, v[3:4]
	v_lshrrev_b32_e32 v36, 3, v33
	v_sub_u32_e32 v3, 29, v37
	v_and_b32_e32 v34, 7, v34
	v_cmp_gt_u32_e64 s[4:5], 8, v33
	v_cndmask_b32_e64 v3, v36, v3, s[4:5]
	v_cndmask_b32_e64 v32, v32, v34, s[4:5]
	v_lshlrev_b32_e32 v11, 16, v11
	v_lshlrev_b32_e32 v32, 20, v32
	v_and_b32_e32 v11, 0x80000000, v11
	v_lshl_add_u32 v3, v3, 23, v28
	v_or3_b32 v32, v11, v3, v32
.LBB277_199:                            ;   in Loop: Header=BB277_113 Depth=1
	s_or_b64 exec, exec, s[34:35]
.LBB277_200:                            ;   in Loop: Header=BB277_113 Depth=1
	s_or_b64 exec, exec, s[30:31]
.LBB277_201:                            ;   in Loop: Header=BB277_113 Depth=1
	s_or_b64 exec, exec, s[22:23]
	v_lshrrev_b32_e32 v3, 16, v2
	v_cmp_ne_u16_sdwa s[4:5], v3, v12 src0_sel:BYTE_0 src1_sel:DWORD
	v_mov_b32_e32 v11, 0
	v_mov_b32_e32 v33, 0
	s_and_saveexec_b64 s[22:23], s[4:5]
	s_cbranch_execz .LBB277_207
; %bb.202:                              ;   in Loop: Header=BB277_113 Depth=1
	v_cmp_ne_u16_sdwa s[4:5], v3, s41 src0_sel:BYTE_0 src1_sel:DWORD
	v_bfrev_b32_e32 v33, 1
	s_and_saveexec_b64 s[30:31], s[4:5]
	s_cbranch_execz .LBB277_206
; %bb.203:                              ;   in Loop: Header=BB277_113 Depth=1
	v_bfe_u32 v34, v2, 16, 7
	v_cmp_ne_u32_e64 s[4:5], s42, v34
	v_mov_b32_e32 v33, 0x7f800001
	s_and_saveexec_b64 s[34:35], s[4:5]
	s_cbranch_execz .LBB277_205
; %bb.204:                              ;   in Loop: Header=BB277_113 Depth=1
	v_and_b32_e32 v33, 7, v3
	v_ffbh_u32_e32 v35, v33
	v_min_u32_e32 v38, 32, v35
	v_subrev_u32_e32 v35, 28, v38
	v_lshlrev_b64 v[35:36], v35, v[3:4]
	v_lshrrev_b32_e32 v37, 3, v34
	v_sub_u32_e32 v36, 29, v38
	v_and_b32_e32 v35, 7, v35
	v_cmp_gt_u32_e64 s[4:5], 8, v34
	v_cndmask_b32_e64 v34, v37, v36, s[4:5]
	v_cndmask_b32_e64 v33, v33, v35, s[4:5]
	v_lshlrev_b32_e32 v3, 24, v3
	v_lshlrev_b32_e32 v33, 20, v33
	v_and_b32_e32 v3, 0x80000000, v3
	v_lshl_add_u32 v34, v34, 23, v28
	v_or3_b32 v33, v3, v34, v33
.LBB277_205:                            ;   in Loop: Header=BB277_113 Depth=1
	s_or_b64 exec, exec, s[34:35]
.LBB277_206:                            ;   in Loop: Header=BB277_113 Depth=1
	s_or_b64 exec, exec, s[30:31]
.LBB277_207:                            ;   in Loop: Header=BB277_113 Depth=1
	s_or_b64 exec, exec, s[22:23]
	v_cmp_lt_u64_e64 s[4:5], s[12:13], v[1:2]
	s_and_saveexec_b64 s[22:23], s[4:5]
	s_cbranch_execz .LBB277_213
; %bb.208:                              ;   in Loop: Header=BB277_113 Depth=1
	v_lshrrev_b32_e32 v1, 24, v2
	v_cmp_ne_u32_e64 s[4:5], s41, v1
	v_bfrev_b32_e32 v11, 1
	s_and_saveexec_b64 s[30:31], s[4:5]
	s_cbranch_execz .LBB277_212
; %bb.209:                              ;   in Loop: Header=BB277_113 Depth=1
	v_bfe_u32 v2, v2, 24, 7
	v_cmp_ne_u32_e64 s[4:5], s42, v2
	v_mov_b32_e32 v11, 0x7f800001
	s_and_saveexec_b64 s[34:35], s[4:5]
	s_cbranch_execz .LBB277_211
; %bb.210:                              ;   in Loop: Header=BB277_113 Depth=1
	v_and_b32_e32 v3, 7, v1
	v_ffbh_u32_e32 v34, v3
	v_min_u32_e32 v36, 32, v34
	v_subrev_u32_e32 v34, 28, v36
	v_lshlrev_b64 v[34:35], v34, v[1:2]
	v_lshrrev_b32_e32 v11, 3, v2
	v_sub_u32_e32 v35, 29, v36
	v_and_b32_e32 v34, 7, v34
	v_cmp_gt_u32_e64 s[4:5], 8, v2
	v_cndmask_b32_e64 v2, v11, v35, s[4:5]
	v_cndmask_b32_e64 v3, v3, v34, s[4:5]
	v_lshlrev_b32_e32 v1, 24, v1
	v_lshlrev_b32_e32 v3, 20, v3
	v_and_b32_e32 v1, 0x80000000, v1
	v_lshl_add_u32 v2, v2, 23, v28
	v_or3_b32 v11, v1, v2, v3
.LBB277_211:                            ;   in Loop: Header=BB277_113 Depth=1
	s_or_b64 exec, exec, s[34:35]
.LBB277_212:                            ;   in Loop: Header=BB277_113 Depth=1
	s_or_b64 exec, exec, s[30:31]
.LBB277_213:                            ;   in Loop: Header=BB277_113 Depth=1
	s_or_b64 exec, exec, s[22:23]
	v_mul_f32_e32 v1, s45, v32
	v_bfe_u32 v2, v1, 16, 1
	v_add3_u32 v2, v2, v1, s43
	v_or_b32_e32 v3, 0x400000, v1
	v_cmp_u_f32_e64 s[4:5], v1, v1
	v_cndmask_b32_e64 v1, v2, v3, s[4:5]
	v_mul_f32_e32 v2, s45, v31
	v_bfe_u32 v3, v2, 16, 1
	v_add3_u32 v3, v3, v2, s43
	v_or_b32_e32 v31, 0x400000, v2
	v_cmp_u_f32_e64 s[4:5], v2, v2
	v_cndmask_b32_e64 v2, v3, v31, s[4:5]
	v_mul_f32_e32 v3, s45, v30
	v_bfe_u32 v30, v3, 16, 1
	v_add3_u32 v30, v30, v3, s43
	v_or_b32_e32 v31, 0x400000, v3
	v_cmp_u_f32_e64 s[4:5], v3, v3
	v_mul_f32_e32 v29, s45, v29
	v_cndmask_b32_e64 v3, v30, v31, s[4:5]
	v_bfe_u32 v30, v29, 16, 1
	v_add3_u32 v30, v30, v29, s43
	v_or_b32_e32 v31, 0x400000, v29
	v_cmp_u_f32_e64 s[4:5], v29, v29
	v_mul_f32_e32 v16, s45, v16
	v_cndmask_b32_e64 v29, v30, v31, s[4:5]
	;; [unrolled: 6-line block ×3, first 2 shown]
	v_bfe_u32 v30, v15, 16, 1
	v_add3_u32 v30, v30, v15, s43
	v_or_b32_e32 v31, 0x400000, v15
	v_cmp_u_f32_e64 s[4:5], v15, v15
	v_cndmask_b32_e64 v15, v30, v31, s[4:5]
	v_lshrrev_b32_e32 v30, 16, v15
	v_mul_f32_e32 v15, s45, v33
	v_bfe_u32 v31, v15, 16, 1
	v_add3_u32 v31, v31, v15, s43
	v_or_b32_e32 v32, 0x400000, v15
	v_cmp_u_f32_e64 s[4:5], v15, v15
	v_mul_f32_e32 v11, s45, v11
	v_cndmask_b32_e64 v15, v31, v32, s[4:5]
	v_bfe_u32 v31, v11, 16, 1
	v_add3_u32 v31, v31, v11, s43
	v_or_b32_e32 v32, 0x400000, v11
	v_cmp_u_f32_e64 s[4:5], v11, v11
	v_cndmask_b32_e64 v11, v31, v32, s[4:5]
	v_lshrrev_b32_e32 v1, 16, v1
	v_lshrrev_b32_e32 v2, 16, v2
	;; [unrolled: 1-line block ×7, first 2 shown]
	s_and_saveexec_b64 s[4:5], s[2:3]
	s_cbranch_execz .LBB277_110
; %bb.214:                              ;   in Loop: Header=BB277_113 Depth=1
	v_cmp_gt_i32_e64 s[2:3], s25, v22
	v_add_u32_e32 v31, 1, v22
	v_cndmask_b32_e64 v30, 0, v30, s[2:3]
	v_cmp_gt_i32_e64 s[2:3], s25, v31
	v_add_u32_e32 v31, 2, v22
	v_cndmask_b32_e64 v16, 0, v16, s[2:3]
	;; [unrolled: 3-line block ×7, first 2 shown]
	v_cmp_gt_i32_e64 s[2:3], s25, v31
	v_cndmask_b32_e64 v11, 0, v11, s[2:3]
	s_branch .LBB277_110
.LBB277_215:
	s_or_b64 exec, exec, s[16:17]
.LBB277_216:
	s_or_b64 exec, exec, s[6:7]
	v_and_b32_e32 v1, 0x3c0, v0
	v_cmp_eq_u32_e32 vcc, 64, v1
	s_barrier
	s_and_saveexec_b64 s[2:3], vcc
	s_cbranch_execz .LBB277_219
; %bb.217:
	v_mov_b32_e32 v1, 0xd0
	v_lshl_add_u32 v2, v23, 2, v1
	ds_write_b32 v2, v9
	s_and_b64 exec, exec, s[0:1]
; %bb.218:
	v_lshl_add_u32 v1, v0, 2, v1
	ds_write_b32 v1, v10
.LBB277_219:
	s_or_b64 exec, exec, s[2:3]
	v_cmp_gt_u32_e32 vcc, 64, v0
	v_or_b32_e32 v1, 64, v0
	s_waitcnt lgkmcnt(0)
	s_barrier
	s_and_saveexec_b64 s[2:3], vcc
	s_cbranch_execz .LBB277_223
; %bb.220:
	v_mov_b32_e32 v2, 0xd0
	v_lshl_add_u32 v0, v0, 2, v2
	ds_read_b32 v2, v0
	s_movk_i32 s0, 0x60
	v_cmp_gt_u32_e64 s[0:1], s0, v1
	s_waitcnt lgkmcnt(0)
	v_add_f32_e32 v9, v9, v2
	s_and_saveexec_b64 s[4:5], s[0:1]
	s_cbranch_execz .LBB277_222
; %bb.221:
	ds_read_b32 v0, v0 offset:256
	s_waitcnt lgkmcnt(0)
	v_add_f32_e32 v10, v10, v0
.LBB277_222:
	s_or_b64 exec, exec, s[4:5]
.LBB277_223:
	s_or_b64 exec, exec, s[2:3]
	s_barrier
	s_and_saveexec_b64 s[0:1], vcc
	s_cbranch_execz .LBB277_226
; %bb.224:
	s_mul_i32 s0, s24, s27
	s_mul_i32 s0, s0, s9
	s_mulk_i32 s0, 0x60
	s_ashr_i32 s1, s0, 31
	s_lshl_b64 s[0:1], s[0:1], 1
	s_add_u32 s2, s28, s0
	s_mul_i32 s0, s27, s26
	s_addc_u32 s4, s29, s1
	s_ashr_i32 s1, s0, 31
	s_lshl_b64 s[0:1], s[0:1], 1
	s_add_u32 s2, s2, s0
	s_mul_i32 s0, s8, 0x60
	s_addc_u32 s4, s4, s1
	s_ashr_i32 s1, s0, 31
	s_lshl_b64 s[0:1], s[0:1], 1
	s_add_u32 s0, s2, s0
	v_bfe_u32 v0, v9, 16, 1
	s_movk_i32 s2, 0x7fff
	s_movk_i32 s3, 0x60
	v_add3_u32 v0, v0, v9, s2
	v_or_b32_e32 v2, 0x400000, v9
	v_cmp_u_f32_e32 vcc, v9, v9
	s_addc_u32 s1, s4, s1
	v_cndmask_b32_e32 v0, v0, v2, vcc
	v_cmp_gt_u32_e32 vcc, s3, v1
	global_store_short_d16_hi v20, v0, s[0:1]
	s_and_b64 exec, exec, vcc
	s_cbranch_execz .LBB277_226
; %bb.225:
	v_mov_b32_e32 v1, s1
	v_add_co_u32_e32 v0, vcc, s0, v20
	v_addc_co_u32_e32 v1, vcc, 0, v1, vcc
	v_bfe_u32 v2, v10, 16, 1
	v_add3_u32 v2, v2, v10, s2
	v_or_b32_e32 v3, 0x400000, v10
	v_cmp_u_f32_e32 vcc, v10, v10
	v_cndmask_b32_e32 v2, v2, v3, vcc
	global_store_short_d16_hi v[0:1], v2, off offset:128
.LBB277_226:
	s_endpgm
	.section	.rodata,"a",@progbits
	.p2align	6, 0x0
	.amdhsa_kernel _ZN4vllm25paged_attention_v1_kernelI14__hip_bfloat16hLi96ELi8ELi128ELNS_18Fp8KVCacheDataTypeE1ELb1EEEvPT_PKS3_PKT0_S9_ifPKiSB_iPKfiiiSD_SD_iiiii
		.amdhsa_group_segment_fixed_size 208
		.amdhsa_private_segment_fixed_size 0
		.amdhsa_kernarg_size 384
		.amdhsa_user_sgpr_count 6
		.amdhsa_user_sgpr_private_segment_buffer 1
		.amdhsa_user_sgpr_dispatch_ptr 0
		.amdhsa_user_sgpr_queue_ptr 0
		.amdhsa_user_sgpr_kernarg_segment_ptr 1
		.amdhsa_user_sgpr_dispatch_id 0
		.amdhsa_user_sgpr_flat_scratch_init 0
		.amdhsa_user_sgpr_private_segment_size 0
		.amdhsa_uses_dynamic_stack 0
		.amdhsa_system_sgpr_private_segment_wavefront_offset 0
		.amdhsa_system_sgpr_workgroup_id_x 1
		.amdhsa_system_sgpr_workgroup_id_y 1
		.amdhsa_system_sgpr_workgroup_id_z 1
		.amdhsa_system_sgpr_workgroup_info 0
		.amdhsa_system_vgpr_workitem_id 0
		.amdhsa_next_free_vgpr 47
		.amdhsa_next_free_sgpr 58
		.amdhsa_reserve_vcc 1
		.amdhsa_reserve_flat_scratch 0
		.amdhsa_float_round_mode_32 0
		.amdhsa_float_round_mode_16_64 0
		.amdhsa_float_denorm_mode_32 3
		.amdhsa_float_denorm_mode_16_64 3
		.amdhsa_dx10_clamp 1
		.amdhsa_ieee_mode 1
		.amdhsa_fp16_overflow 0
		.amdhsa_exception_fp_ieee_invalid_op 0
		.amdhsa_exception_fp_denorm_src 0
		.amdhsa_exception_fp_ieee_div_zero 0
		.amdhsa_exception_fp_ieee_overflow 0
		.amdhsa_exception_fp_ieee_underflow 0
		.amdhsa_exception_fp_ieee_inexact 0
		.amdhsa_exception_int_div_zero 0
	.end_amdhsa_kernel
	.section	.text._ZN4vllm25paged_attention_v1_kernelI14__hip_bfloat16hLi96ELi8ELi128ELNS_18Fp8KVCacheDataTypeE1ELb1EEEvPT_PKS3_PKT0_S9_ifPKiSB_iPKfiiiSD_SD_iiiii,"axG",@progbits,_ZN4vllm25paged_attention_v1_kernelI14__hip_bfloat16hLi96ELi8ELi128ELNS_18Fp8KVCacheDataTypeE1ELb1EEEvPT_PKS3_PKT0_S9_ifPKiSB_iPKfiiiSD_SD_iiiii,comdat
.Lfunc_end277:
	.size	_ZN4vllm25paged_attention_v1_kernelI14__hip_bfloat16hLi96ELi8ELi128ELNS_18Fp8KVCacheDataTypeE1ELb1EEEvPT_PKS3_PKT0_S9_ifPKiSB_iPKfiiiSD_SD_iiiii, .Lfunc_end277-_ZN4vllm25paged_attention_v1_kernelI14__hip_bfloat16hLi96ELi8ELi128ELNS_18Fp8KVCacheDataTypeE1ELb1EEEvPT_PKS3_PKT0_S9_ifPKiSB_iPKfiiiSD_SD_iiiii
                                        ; -- End function
	.set _ZN4vllm25paged_attention_v1_kernelI14__hip_bfloat16hLi96ELi8ELi128ELNS_18Fp8KVCacheDataTypeE1ELb1EEEvPT_PKS3_PKT0_S9_ifPKiSB_iPKfiiiSD_SD_iiiii.num_vgpr, 47
	.set _ZN4vllm25paged_attention_v1_kernelI14__hip_bfloat16hLi96ELi8ELi128ELNS_18Fp8KVCacheDataTypeE1ELb1EEEvPT_PKS3_PKT0_S9_ifPKiSB_iPKfiiiSD_SD_iiiii.num_agpr, 0
	.set _ZN4vllm25paged_attention_v1_kernelI14__hip_bfloat16hLi96ELi8ELi128ELNS_18Fp8KVCacheDataTypeE1ELb1EEEvPT_PKS3_PKT0_S9_ifPKiSB_iPKfiiiSD_SD_iiiii.numbered_sgpr, 58
	.set _ZN4vllm25paged_attention_v1_kernelI14__hip_bfloat16hLi96ELi8ELi128ELNS_18Fp8KVCacheDataTypeE1ELb1EEEvPT_PKS3_PKT0_S9_ifPKiSB_iPKfiiiSD_SD_iiiii.num_named_barrier, 0
	.set _ZN4vllm25paged_attention_v1_kernelI14__hip_bfloat16hLi96ELi8ELi128ELNS_18Fp8KVCacheDataTypeE1ELb1EEEvPT_PKS3_PKT0_S9_ifPKiSB_iPKfiiiSD_SD_iiiii.private_seg_size, 0
	.set _ZN4vllm25paged_attention_v1_kernelI14__hip_bfloat16hLi96ELi8ELi128ELNS_18Fp8KVCacheDataTypeE1ELb1EEEvPT_PKS3_PKT0_S9_ifPKiSB_iPKfiiiSD_SD_iiiii.uses_vcc, 1
	.set _ZN4vllm25paged_attention_v1_kernelI14__hip_bfloat16hLi96ELi8ELi128ELNS_18Fp8KVCacheDataTypeE1ELb1EEEvPT_PKS3_PKT0_S9_ifPKiSB_iPKfiiiSD_SD_iiiii.uses_flat_scratch, 0
	.set _ZN4vllm25paged_attention_v1_kernelI14__hip_bfloat16hLi96ELi8ELi128ELNS_18Fp8KVCacheDataTypeE1ELb1EEEvPT_PKS3_PKT0_S9_ifPKiSB_iPKfiiiSD_SD_iiiii.has_dyn_sized_stack, 0
	.set _ZN4vllm25paged_attention_v1_kernelI14__hip_bfloat16hLi96ELi8ELi128ELNS_18Fp8KVCacheDataTypeE1ELb1EEEvPT_PKS3_PKT0_S9_ifPKiSB_iPKfiiiSD_SD_iiiii.has_recursion, 0
	.set _ZN4vllm25paged_attention_v1_kernelI14__hip_bfloat16hLi96ELi8ELi128ELNS_18Fp8KVCacheDataTypeE1ELb1EEEvPT_PKS3_PKT0_S9_ifPKiSB_iPKfiiiSD_SD_iiiii.has_indirect_call, 0
	.section	.AMDGPU.csdata,"",@progbits
; Kernel info:
; codeLenInByte = 11916
; TotalNumSgprs: 62
; NumVgprs: 47
; ScratchSize: 0
; MemoryBound: 0
; FloatMode: 240
; IeeeMode: 1
; LDSByteSize: 208 bytes/workgroup (compile time only)
; SGPRBlocks: 7
; VGPRBlocks: 11
; NumSGPRsForWavesPerEU: 62
; NumVGPRsForWavesPerEU: 47
; Occupancy: 5
; WaveLimiterHint : 1
; COMPUTE_PGM_RSRC2:SCRATCH_EN: 0
; COMPUTE_PGM_RSRC2:USER_SGPR: 6
; COMPUTE_PGM_RSRC2:TRAP_HANDLER: 0
; COMPUTE_PGM_RSRC2:TGID_X_EN: 1
; COMPUTE_PGM_RSRC2:TGID_Y_EN: 1
; COMPUTE_PGM_RSRC2:TGID_Z_EN: 1
; COMPUTE_PGM_RSRC2:TIDIG_COMP_CNT: 0
	.section	.text._ZN4vllm25paged_attention_v1_kernelI14__hip_bfloat16hLi112ELi8ELi128ELNS_18Fp8KVCacheDataTypeE1ELb1EEEvPT_PKS3_PKT0_S9_ifPKiSB_iPKfiiiSD_SD_iiiii,"axG",@progbits,_ZN4vllm25paged_attention_v1_kernelI14__hip_bfloat16hLi112ELi8ELi128ELNS_18Fp8KVCacheDataTypeE1ELb1EEEvPT_PKS3_PKT0_S9_ifPKiSB_iPKfiiiSD_SD_iiiii,comdat
	.protected	_ZN4vllm25paged_attention_v1_kernelI14__hip_bfloat16hLi112ELi8ELi128ELNS_18Fp8KVCacheDataTypeE1ELb1EEEvPT_PKS3_PKT0_S9_ifPKiSB_iPKfiiiSD_SD_iiiii ; -- Begin function _ZN4vllm25paged_attention_v1_kernelI14__hip_bfloat16hLi112ELi8ELi128ELNS_18Fp8KVCacheDataTypeE1ELb1EEEvPT_PKS3_PKT0_S9_ifPKiSB_iPKfiiiSD_SD_iiiii
	.globl	_ZN4vllm25paged_attention_v1_kernelI14__hip_bfloat16hLi112ELi8ELi128ELNS_18Fp8KVCacheDataTypeE1ELb1EEEvPT_PKS3_PKT0_S9_ifPKiSB_iPKfiiiSD_SD_iiiii
	.p2align	8
	.type	_ZN4vllm25paged_attention_v1_kernelI14__hip_bfloat16hLi112ELi8ELi128ELNS_18Fp8KVCacheDataTypeE1ELb1EEEvPT_PKS3_PKT0_S9_ifPKiSB_iPKfiiiSD_SD_iiiii,@function
_ZN4vllm25paged_attention_v1_kernelI14__hip_bfloat16hLi112ELi8ELi128ELNS_18Fp8KVCacheDataTypeE1ELb1EEEvPT_PKS3_PKT0_S9_ifPKiSB_iPKfiiiSD_SD_iiiii: ; @_ZN4vllm25paged_attention_v1_kernelI14__hip_bfloat16hLi112ELi8ELi128ELNS_18Fp8KVCacheDataTypeE1ELb1EEEvPT_PKS3_PKT0_S9_ifPKiSB_iPKfiiiSD_SD_iiiii
; %bb.0:
	s_load_dword s9, s[4:5], 0x80
	s_load_dwordx2 s[0:1], s[4:5], 0x30
	s_load_dwordx2 s[38:39], s[4:5], 0x20
	s_mov_b32 s24, s7
	s_ashr_i32 s25, s7, 31
	s_lshl_b64 s[2:3], s[24:25], 2
	s_waitcnt lgkmcnt(0)
	s_add_u32 s0, s0, s2
	s_addc_u32 s1, s1, s3
	s_abs_i32 s2, s38
	v_cvt_f32_u32_e32 v1, s2
	s_sub_i32 s10, 0, s2
	s_abs_i32 s7, s9
	s_xor_b32 s3, s9, s38
	v_rcp_iflag_f32_e32 v1, v1
	s_ashr_i32 s3, s3, 31
	s_mov_b32 s51, 0
	v_mul_f32_e32 v1, 0x4f7ffffe, v1
	v_cvt_u32_f32_e32 v1, v1
	v_readfirstlane_b32 s11, v1
	s_mul_i32 s10, s10, s11
	s_mul_hi_u32 s10, s11, s10
	s_add_i32 s11, s11, s10
	s_mul_hi_u32 s10, s7, s11
	s_mul_i32 s11, s10, s2
	s_sub_i32 s7, s7, s11
	s_add_i32 s11, s10, 1
	s_sub_i32 s12, s7, s2
	s_cmp_ge_u32 s7, s2
	s_cselect_b32 s10, s11, s10
	s_cselect_b32 s7, s12, s7
	s_add_i32 s11, s10, 1
	s_cmp_ge_u32 s7, s2
	s_cselect_b32 s2, s11, s10
	s_xor_b32 s2, s2, s3
	s_sub_i32 s12, s2, s3
	s_abs_i32 s10, s12
	v_cvt_f32_u32_e32 v1, s10
	s_load_dwordx2 s[2:3], s[4:5], 0x40
	s_sub_i32 s7, 0, s10
	s_abs_i32 s11, s6
	v_rcp_iflag_f32_e32 v1, v1
	v_mul_f32_e32 v1, 0x4f7ffffe, v1
	v_cvt_u32_f32_e32 v1, v1
	v_readfirstlane_b32 s13, v1
	s_mul_i32 s7, s7, s13
	s_mul_hi_u32 s7, s13, s7
	s_add_i32 s13, s13, s7
	s_waitcnt lgkmcnt(0)
	s_cmp_eq_u64 s[2:3], 0
	s_mul_hi_u32 s13, s11, s13
	s_cbranch_scc1 .LBB278_2
; %bb.1:
	s_ashr_i32 s7, s6, 31
	s_lshl_b64 s[14:15], s[6:7], 2
	s_add_u32 s2, s2, s14
	s_addc_u32 s3, s3, s15
	s_load_dword s51, s[2:3], 0x0
.LBB278_2:
	s_load_dword s25, s[0:1], 0x0
	s_load_dwordx4 s[16:19], s[4:5], 0x48
	s_movk_i32 s0, 0x70
	s_ashr_i32 s7, s6, 31
	s_ashr_i32 s14, s12, 31
	v_and_b32_e32 v1, 7, v0
	s_mul_i32 s26, s6, 0x70
	v_cmp_gt_u32_e64 s[0:1], s0, v0
	v_lshlrev_b32_e32 v20, 1, v0
	s_and_saveexec_b64 s[2:3], s[0:1]
	s_cbranch_execz .LBB278_4
; %bb.3:
	s_load_dwordx2 s[20:21], s[4:5], 0x8
	s_waitcnt lgkmcnt(0)
	s_mul_i32 s22, s16, s24
	s_ashr_i32 s23, s22, 31
	s_lshl_b64 s[22:23], s[22:23], 1
	v_lshrrev_b32_e32 v3, 2, v0
	s_add_u32 s12, s20, s22
	s_addc_u32 s15, s21, s23
	s_ashr_i32 s27, s26, 31
	s_lshl_b64 s[20:21], s[26:27], 1
	s_add_u32 s20, s12, s20
	s_addc_u32 s21, s15, s21
	global_load_ushort v2, v20, s[20:21]
	v_and_b32_e32 v3, 0xfe, v3
	v_mad_u32_u24 v3, v1, 28, v3
	s_waitcnt vmcnt(0)
	ds_write_b16 v3, v2
.LBB278_4:
	s_or_b64 exec, exec, s[2:3]
	s_mul_i32 s3, s13, s10
	s_sub_i32 s3, s11, s3
	s_xor_b32 s2, s7, s14
	s_add_i32 s7, s13, 1
	s_sub_i32 s11, s3, s10
	s_load_dwordx4 s[20:23], s[4:5], 0x68
	s_load_dword s12, s[4:5], 0x78
	s_cmp_ge_u32 s3, s10
	s_cselect_b32 s7, s7, s13
	s_cselect_b32 s3, s11, s3
	s_add_i32 s11, s7, 1
	s_cmp_ge_u32 s3, s10
	s_cselect_b32 s3, s11, s7
	s_waitcnt lgkmcnt(0)
	s_abs_i32 s33, s23
	v_cvt_f32_u32_e32 v2, s33
	s_xor_b32 s3, s3, s2
	s_sub_i32 s7, s3, s2
	s_sub_i32 s2, 0, s33
	v_rcp_iflag_f32_e32 v2, v2
	s_add_i32 s13, s25, -1
	s_abs_i32 s10, s13
	v_mul_f32_e32 v2, 0x4f7ffffe, v2
	v_cvt_u32_f32_e32 v2, v2
	s_barrier
	v_readfirstlane_b32 s48, v2
	s_mul_i32 s2, s2, s48
	s_mul_hi_u32 s2, s48, s2
	s_add_i32 s48, s48, s2
	s_cmp_lt_i32 s12, 0
	s_mul_hi_u32 s11, s10, s48
	s_cbranch_scc0 .LBB278_6
; %bb.5:
	s_mul_i32 s2, s20, s38
	s_add_i32 s2, s7, s2
	s_mul_i32 s2, s2, s12
	s_sub_i32 s38, 1, s2
	s_mov_b64 s[2:3], 0
	s_branch .LBB278_7
.LBB278_6:
	s_mov_b64 s[2:3], -1
                                        ; implicit-def: $sgpr38
.LBB278_7:
	s_load_dwordx2 s[30:31], s[4:5], 0x28
	s_ashr_i32 s16, s13, 31
	s_andn2_b64 vcc, exec, s[2:3]
	s_ashr_i32 s49, s23, 31
	s_cbranch_vccnz .LBB278_9
; %bb.8:
	s_mul_i32 s2, s9, s20
	s_add_i32 s2, s2, s6
	s_mul_i32 s2, s2, s12
	s_add_i32 s38, s2, 1
.LBB278_9:
	s_load_dword s2, s[4:5], 0x38
	s_load_dwordx2 s[28:29], s[4:5], 0x0
	s_load_dwordx2 s[36:37], s[4:5], 0x18
	s_load_dword s27, s[4:5], 0x88
	s_load_dwordx4 s[12:15], s[4:5], 0x58
	s_mul_i32 s3, s11, s33
	s_waitcnt lgkmcnt(0)
	s_mul_i32 s34, s2, s24
	s_sub_i32 s3, s10, s3
	s_ashr_i32 s35, s34, 31
	s_xor_b32 s2, s16, s49
	s_add_i32 s6, s11, 1
	s_sub_i32 s10, s3, s33
	s_cmp_ge_u32 s3, s33
	s_cselect_b32 s6, s6, s11
	s_cselect_b32 s3, s10, s3
	s_add_i32 s10, s6, 1
	s_cmp_ge_u32 s3, s33
	s_cselect_b32 s3, s10, s6
	s_xor_b32 s3, s3, s2
	s_sub_i32 s16, s3, s2
	s_add_i32 s2, s25, 7
	s_ashr_i32 s3, s2, 31
	s_lshr_b32 s3, s3, 29
	s_add_i32 s2, s2, s3
	s_ashr_i32 s50, s2, 3
	v_lshrrev_b32_e32 v21, 6, v0
	v_cmp_gt_i32_e64 s[2:3], s50, v21
	v_mov_b32_e32 v18, 0xff7fffff
	s_mul_i32 s20, s7, s18
	v_lshrrev_b32_e32 v14, 4, v0
	v_lshlrev_b32_e32 v22, 3, v21
	v_mbcnt_lo_u32_b32 v15, -1, 0
	s_and_saveexec_b64 s[18:19], s[2:3]
	s_cbranch_execz .LBB278_105
; %bb.10:
	s_load_dwordx2 s[4:5], s[4:5], 0x10
	s_sub_i32 s23, s16, s21
	s_ashr_i32 s6, s20, 31
	v_bfe_u32 v16, v0, 3, 3
	v_cmp_eq_u32_e32 vcc, 0, v1
	s_waitcnt lgkmcnt(0)
	s_add_u32 s7, s4, s20
	s_addc_u32 s6, s5, s6
	s_abs_i32 s52, s22
	v_cvt_f32_u32_e32 v2, s52
	v_mov_b32_e32 v4, s6
	s_sub_i32 s6, 0, s52
	v_mul_u32_u24_e32 v17, 28, v1
	v_rcp_iflag_f32_e32 v2, v2
	s_mov_b32 s53, s17
	v_cmp_neq_f32_e64 s[4:5], s51, 0
	v_lshlrev_b32_e32 v23, 3, v21
	v_mul_f32_e32 v2, 0x4f7ffffe, v2
	v_cvt_u32_f32_e32 v3, v2
	v_lshlrev_b32_e32 v2, 4, v16
	v_mov_b32_e32 v26, 0xff7fffff
	s_mov_b64 s[40:41], 0
	v_mul_lo_u32 v5, s6, v3
	v_add_co_u32_e64 v2, s[6:7], s7, v2
	v_addc_co_u32_e64 v4, s[6:7], 0, v4, s[6:7]
	v_mul_hi_u32 v5, v3, v5
	v_add_co_u32_e64 v1, s[6:7], v2, v1
	v_addc_co_u32_e64 v2, s[6:7], 0, v4, s[6:7]
	s_lshl_b64 s[6:7], s[34:35], 2
	v_add_u32_e32 v19, v3, v5
	s_add_u32 s6, s30, s6
	v_subrev_u32_e32 v5, s25, v16
	v_and_b32_e32 v3, 60, v14
	s_addc_u32 s7, s31, s7
	v_add_u32_e32 v24, 1, v5
	v_lshlrev_b32_e32 v5, 2, v16
	v_mov_b32_e32 v4, s7
	v_add_co_u32_e64 v3, s[6:7], s6, v3
	v_lshl_or_b32 v5, v21, 5, v5
	v_addc_co_u32_e64 v4, s[6:7], 0, v4, s[6:7]
	v_add_u32_e32 v25, 0xf0, v5
	s_movk_i32 s54, 0x80
	s_movk_i32 s55, 0x7f
	;; [unrolled: 1-line block ×3, first 2 shown]
	v_bfrev_b32_e32 v27, 60
	v_mbcnt_hi_u32_b32 v28, -1, v15
	v_mov_b32_e32 v18, 0xff7fffff
	v_mov_b32_e32 v29, v21
	s_branch .LBB278_13
.LBB278_11:                             ;   in Loop: Header=BB278_13 Depth=1
	s_or_b64 exec, exec, s[42:43]
.LBB278_12:                             ;   in Loop: Header=BB278_13 Depth=1
	s_or_b64 exec, exec, s[10:11]
	v_add_co_u32_e64 v3, s[6:7], 8, v3
	v_add_u32_e32 v29, 2, v29
	v_addc_co_u32_e64 v4, s[6:7], 0, v4, s[6:7]
	v_cmp_le_i32_e64 s[6:7], s50, v29
	v_add_u32_e32 v23, 16, v23
	s_or_b64 s[40:41], s[6:7], s[40:41]
	v_add_u32_e32 v25, 64, v25
	s_andn2_b64 exec, exec, s[40:41]
	s_cbranch_execz .LBB278_104
.LBB278_13:                             ; =>This Inner Loop Header: Depth=1
	v_mul_hi_u32 v5, v23, s48
	s_waitcnt lgkmcnt(0)
	v_mul_lo_u32 v6, v5, s33
	v_add_u32_e32 v7, 1, v5
	v_sub_u32_e32 v6, v23, v6
	v_cmp_le_u32_e64 s[6:7], s33, v6
	v_cndmask_b32_e64 v5, v5, v7, s[6:7]
	v_subrev_u32_e32 v7, s33, v6
	v_cndmask_b32_e64 v6, v6, v7, s[6:7]
	v_add_u32_e32 v7, 1, v5
	v_cmp_le_u32_e64 s[6:7], s33, v6
	v_cndmask_b32_e64 v5, v5, v7, s[6:7]
	v_xor_b32_e32 v5, s49, v5
	v_subrev_u32_e32 v5, s49, v5
	v_add_u32_e32 v6, s38, v5
	v_sub_u32_e32 v7, 0, v6
	v_max_i32_e32 v7, v6, v7
	v_mul_hi_u32 v8, v7, v19
	v_ashrrev_i32_e32 v6, 31, v6
	v_cmp_ge_i32_e64 s[10:11], s23, v5
	v_mul_lo_u32 v8, v8, s52
	v_sub_u32_e32 v7, v7, v8
	v_subrev_u32_e32 v8, s52, v7
	v_cmp_le_u32_e64 s[6:7], s52, v7
	v_cndmask_b32_e64 v7, v7, v8, s[6:7]
	v_subrev_u32_e32 v8, s52, v7
	v_cmp_le_u32_e64 s[6:7], s52, v7
	v_cndmask_b32_e64 v7, v7, v8, s[6:7]
	v_xor_b32_e32 v7, v7, v6
	v_sub_u32_e32 v6, v7, v6
	v_cmp_ne_u32_e64 s[6:7], 0, v6
	s_and_b64 s[6:7], s[6:7], s[10:11]
	s_and_saveexec_b64 s[10:11], s[6:7]
	s_xor_b64 s[6:7], exec, s[10:11]
	s_cbranch_execz .LBB278_17
; %bb.14:                               ;   in Loop: Header=BB278_13 Depth=1
	s_and_saveexec_b64 s[10:11], vcc
; %bb.15:                               ;   in Loop: Header=BB278_13 Depth=1
	ds_write_b32 v25, v26
; %bb.16:                               ;   in Loop: Header=BB278_13 Depth=1
	s_or_b64 exec, exec, s[10:11]
.LBB278_17:                             ;   in Loop: Header=BB278_13 Depth=1
	s_andn2_saveexec_b64 s[10:11], s[6:7]
	s_cbranch_execz .LBB278_12
; %bb.18:                               ;   in Loop: Header=BB278_13 Depth=1
	global_load_dword v5, v[3:4], off
	v_mov_b32_e32 v32, 0
	v_mov_b32_e32 v31, 0
	s_waitcnt vmcnt(0)
	v_mad_i64_i32 v[11:12], s[6:7], v5, s53, v[1:2]
	global_load_ubyte v33, v[11:12], off
	ds_read2_b32 v[9:10], v17 offset1:1
	ds_read2_b32 v[7:8], v17 offset0:2 offset1:3
	ds_read2_b32 v[5:6], v17 offset0:4 offset1:5
	ds_read_b32 v30, v17 offset:24
	s_load_dword s57, s[12:13], 0x0
	s_waitcnt vmcnt(0)
	v_cmp_ne_u16_e64 s[6:7], 0, v33
	s_and_saveexec_b64 s[42:43], s[6:7]
	s_cbranch_execz .LBB278_24
; %bb.19:                               ;   in Loop: Header=BB278_13 Depth=1
	v_cmp_ne_u16_e64 s[6:7], s54, v33
	v_bfrev_b32_e32 v31, 1
	s_and_saveexec_b64 s[44:45], s[6:7]
	s_cbranch_execz .LBB278_23
; %bb.20:                               ;   in Loop: Header=BB278_13 Depth=1
	v_and_b32_e32 v13, 0xffff, v33
	v_and_b32_e32 v34, 0x7f, v13
	v_cmp_ne_u32_e64 s[6:7], s55, v34
	v_mov_b32_e32 v31, 0x7f800001
	s_and_saveexec_b64 s[46:47], s[6:7]
	s_cbranch_execz .LBB278_22
; %bb.21:                               ;   in Loop: Header=BB278_13 Depth=1
	v_and_b32_e32 v31, 7, v13
	v_ffbh_u32_e32 v35, v31
	v_min_u32_e32 v38, 32, v35
	v_subrev_u32_e32 v35, 28, v38
	v_lshlrev_b64 v[35:36], v35, v[13:14]
	v_lshrrev_b32_e32 v37, 3, v34
	v_sub_u32_e32 v13, 29, v38
	v_and_b32_e32 v35, 7, v35
	v_cmp_gt_u32_e64 s[6:7], 8, v34
	v_cndmask_b32_e64 v13, v37, v13, s[6:7]
	v_cndmask_b32_e64 v31, v31, v35, s[6:7]
	v_lshlrev_b32_e32 v33, 24, v33
	v_lshlrev_b32_e32 v31, 20, v31
	v_and_b32_e32 v33, 0x80000000, v33
	v_lshl_add_u32 v13, v13, 23, v27
	v_or3_b32 v31, v33, v13, v31
.LBB278_22:                             ;   in Loop: Header=BB278_13 Depth=1
	s_or_b64 exec, exec, s[46:47]
.LBB278_23:                             ;   in Loop: Header=BB278_13 Depth=1
	s_or_b64 exec, exec, s[44:45]
.LBB278_24:                             ;   in Loop: Header=BB278_13 Depth=1
	s_or_b64 exec, exec, s[42:43]
	global_load_ubyte v33, v[11:12], off offset:8
	s_waitcnt vmcnt(0)
	v_cmp_ne_u16_e64 s[6:7], 0, v33
	s_and_saveexec_b64 s[42:43], s[6:7]
	s_cbranch_execz .LBB278_30
; %bb.25:                               ;   in Loop: Header=BB278_13 Depth=1
	v_cmp_ne_u16_e64 s[6:7], s54, v33
	v_bfrev_b32_e32 v32, 1
	s_and_saveexec_b64 s[44:45], s[6:7]
	s_cbranch_execz .LBB278_29
; %bb.26:                               ;   in Loop: Header=BB278_13 Depth=1
	v_and_b32_e32 v13, 0xffff, v33
	v_and_b32_e32 v34, 0x7f, v13
	v_cmp_ne_u32_e64 s[6:7], s55, v34
	v_mov_b32_e32 v32, 0x7f800001
	s_and_saveexec_b64 s[46:47], s[6:7]
	s_cbranch_execz .LBB278_28
; %bb.27:                               ;   in Loop: Header=BB278_13 Depth=1
	v_and_b32_e32 v32, 7, v13
	v_ffbh_u32_e32 v35, v32
	v_min_u32_e32 v38, 32, v35
	v_subrev_u32_e32 v35, 28, v38
	v_lshlrev_b64 v[35:36], v35, v[13:14]
	v_lshrrev_b32_e32 v37, 3, v34
	v_sub_u32_e32 v13, 29, v38
	v_and_b32_e32 v35, 7, v35
	v_cmp_gt_u32_e64 s[6:7], 8, v34
	v_cndmask_b32_e64 v13, v37, v13, s[6:7]
	v_cndmask_b32_e64 v32, v32, v35, s[6:7]
	v_lshlrev_b32_e32 v33, 24, v33
	v_lshlrev_b32_e32 v32, 20, v32
	v_and_b32_e32 v33, 0x80000000, v33
	v_lshl_add_u32 v13, v13, 23, v27
	v_or3_b32 v32, v33, v13, v32
.LBB278_28:                             ;   in Loop: Header=BB278_13 Depth=1
	s_or_b64 exec, exec, s[46:47]
.LBB278_29:                             ;   in Loop: Header=BB278_13 Depth=1
	s_or_b64 exec, exec, s[44:45]
.LBB278_30:                             ;   in Loop: Header=BB278_13 Depth=1
	s_or_b64 exec, exec, s[42:43]
	global_load_ubyte v35, v[11:12], off offset:128
	v_mov_b32_e32 v34, 0
	v_mov_b32_e32 v33, 0
	s_waitcnt vmcnt(0)
	v_cmp_ne_u16_e64 s[6:7], 0, v35
	s_and_saveexec_b64 s[42:43], s[6:7]
	s_cbranch_execz .LBB278_36
; %bb.31:                               ;   in Loop: Header=BB278_13 Depth=1
	v_cmp_ne_u16_e64 s[6:7], s54, v35
	v_bfrev_b32_e32 v33, 1
	s_and_saveexec_b64 s[44:45], s[6:7]
	s_cbranch_execz .LBB278_35
; %bb.32:                               ;   in Loop: Header=BB278_13 Depth=1
	v_and_b32_e32 v13, 0xffff, v35
	v_and_b32_e32 v36, 0x7f, v13
	v_cmp_ne_u32_e64 s[6:7], s55, v36
	v_mov_b32_e32 v33, 0x7f800001
	s_and_saveexec_b64 s[46:47], s[6:7]
	s_cbranch_execz .LBB278_34
; %bb.33:                               ;   in Loop: Header=BB278_13 Depth=1
	v_and_b32_e32 v33, 7, v13
	v_ffbh_u32_e32 v37, v33
	v_min_u32_e32 v40, 32, v37
	v_subrev_u32_e32 v37, 28, v40
	v_lshlrev_b64 v[37:38], v37, v[13:14]
	v_lshrrev_b32_e32 v39, 3, v36
	v_sub_u32_e32 v13, 29, v40
	v_and_b32_e32 v37, 7, v37
	v_cmp_gt_u32_e64 s[6:7], 8, v36
	v_cndmask_b32_e64 v13, v39, v13, s[6:7]
	v_cndmask_b32_e64 v33, v33, v37, s[6:7]
	v_lshlrev_b32_e32 v35, 24, v35
	v_lshlrev_b32_e32 v33, 20, v33
	v_and_b32_e32 v35, 0x80000000, v35
	v_lshl_add_u32 v13, v13, 23, v27
	v_or3_b32 v33, v35, v13, v33
.LBB278_34:                             ;   in Loop: Header=BB278_13 Depth=1
	s_or_b64 exec, exec, s[46:47]
.LBB278_35:                             ;   in Loop: Header=BB278_13 Depth=1
	s_or_b64 exec, exec, s[44:45]
.LBB278_36:                             ;   in Loop: Header=BB278_13 Depth=1
	s_or_b64 exec, exec, s[42:43]
	global_load_ubyte v35, v[11:12], off offset:136
	s_waitcnt vmcnt(0)
	v_cmp_ne_u16_e64 s[6:7], 0, v35
	s_and_saveexec_b64 s[42:43], s[6:7]
	s_cbranch_execz .LBB278_42
; %bb.37:                               ;   in Loop: Header=BB278_13 Depth=1
	v_cmp_ne_u16_e64 s[6:7], s54, v35
	v_bfrev_b32_e32 v34, 1
	s_and_saveexec_b64 s[44:45], s[6:7]
	s_cbranch_execz .LBB278_41
; %bb.38:                               ;   in Loop: Header=BB278_13 Depth=1
	v_and_b32_e32 v13, 0xffff, v35
	v_and_b32_e32 v36, 0x7f, v13
	v_cmp_ne_u32_e64 s[6:7], s55, v36
	v_mov_b32_e32 v34, 0x7f800001
	s_and_saveexec_b64 s[46:47], s[6:7]
	s_cbranch_execz .LBB278_40
; %bb.39:                               ;   in Loop: Header=BB278_13 Depth=1
	v_and_b32_e32 v34, 7, v13
	v_ffbh_u32_e32 v37, v34
	v_min_u32_e32 v40, 32, v37
	v_subrev_u32_e32 v37, 28, v40
	v_lshlrev_b64 v[37:38], v37, v[13:14]
	v_lshrrev_b32_e32 v39, 3, v36
	v_sub_u32_e32 v13, 29, v40
	v_and_b32_e32 v37, 7, v37
	v_cmp_gt_u32_e64 s[6:7], 8, v36
	v_cndmask_b32_e64 v13, v39, v13, s[6:7]
	v_cndmask_b32_e64 v34, v34, v37, s[6:7]
	v_lshlrev_b32_e32 v35, 24, v35
	v_lshlrev_b32_e32 v34, 20, v34
	v_and_b32_e32 v35, 0x80000000, v35
	v_lshl_add_u32 v13, v13, 23, v27
	v_or3_b32 v34, v35, v13, v34
.LBB278_40:                             ;   in Loop: Header=BB278_13 Depth=1
	s_or_b64 exec, exec, s[46:47]
.LBB278_41:                             ;   in Loop: Header=BB278_13 Depth=1
	s_or_b64 exec, exec, s[44:45]
.LBB278_42:                             ;   in Loop: Header=BB278_13 Depth=1
	s_or_b64 exec, exec, s[42:43]
	global_load_ubyte v37, v[11:12], off offset:256
	v_mov_b32_e32 v36, 0
	v_mov_b32_e32 v35, 0
	s_waitcnt vmcnt(0)
	v_cmp_ne_u16_e64 s[6:7], 0, v37
	s_and_saveexec_b64 s[42:43], s[6:7]
	s_cbranch_execz .LBB278_48
; %bb.43:                               ;   in Loop: Header=BB278_13 Depth=1
	v_cmp_ne_u16_e64 s[6:7], s54, v37
	v_bfrev_b32_e32 v35, 1
	s_and_saveexec_b64 s[44:45], s[6:7]
	s_cbranch_execz .LBB278_47
; %bb.44:                               ;   in Loop: Header=BB278_13 Depth=1
	v_and_b32_e32 v13, 0xffff, v37
	v_and_b32_e32 v38, 0x7f, v13
	v_cmp_ne_u32_e64 s[6:7], s55, v38
	v_mov_b32_e32 v35, 0x7f800001
	s_and_saveexec_b64 s[46:47], s[6:7]
	s_cbranch_execz .LBB278_46
; %bb.45:                               ;   in Loop: Header=BB278_13 Depth=1
	v_and_b32_e32 v35, 7, v13
	v_ffbh_u32_e32 v39, v35
	v_min_u32_e32 v42, 32, v39
	v_subrev_u32_e32 v39, 28, v42
	v_lshlrev_b64 v[39:40], v39, v[13:14]
	v_lshrrev_b32_e32 v41, 3, v38
	v_sub_u32_e32 v13, 29, v42
	v_and_b32_e32 v39, 7, v39
	v_cmp_gt_u32_e64 s[6:7], 8, v38
	v_cndmask_b32_e64 v13, v41, v13, s[6:7]
	v_cndmask_b32_e64 v35, v35, v39, s[6:7]
	v_lshlrev_b32_e32 v37, 24, v37
	v_lshlrev_b32_e32 v35, 20, v35
	v_and_b32_e32 v37, 0x80000000, v37
	v_lshl_add_u32 v13, v13, 23, v27
	v_or3_b32 v35, v37, v13, v35
.LBB278_46:                             ;   in Loop: Header=BB278_13 Depth=1
	s_or_b64 exec, exec, s[46:47]
.LBB278_47:                             ;   in Loop: Header=BB278_13 Depth=1
	s_or_b64 exec, exec, s[44:45]
.LBB278_48:                             ;   in Loop: Header=BB278_13 Depth=1
	s_or_b64 exec, exec, s[42:43]
	global_load_ubyte v37, v[11:12], off offset:264
	s_waitcnt vmcnt(0)
	v_cmp_ne_u16_e64 s[6:7], 0, v37
	s_and_saveexec_b64 s[42:43], s[6:7]
	s_cbranch_execz .LBB278_54
; %bb.49:                               ;   in Loop: Header=BB278_13 Depth=1
	v_cmp_ne_u16_e64 s[6:7], s54, v37
	v_bfrev_b32_e32 v36, 1
	s_and_saveexec_b64 s[44:45], s[6:7]
	s_cbranch_execz .LBB278_53
; %bb.50:                               ;   in Loop: Header=BB278_13 Depth=1
	v_and_b32_e32 v13, 0xffff, v37
	v_and_b32_e32 v38, 0x7f, v13
	v_cmp_ne_u32_e64 s[6:7], s55, v38
	v_mov_b32_e32 v36, 0x7f800001
	s_and_saveexec_b64 s[46:47], s[6:7]
	s_cbranch_execz .LBB278_52
; %bb.51:                               ;   in Loop: Header=BB278_13 Depth=1
	v_and_b32_e32 v36, 7, v13
	v_ffbh_u32_e32 v39, v36
	v_min_u32_e32 v42, 32, v39
	v_subrev_u32_e32 v39, 28, v42
	v_lshlrev_b64 v[39:40], v39, v[13:14]
	v_lshrrev_b32_e32 v41, 3, v38
	v_sub_u32_e32 v13, 29, v42
	v_and_b32_e32 v39, 7, v39
	v_cmp_gt_u32_e64 s[6:7], 8, v38
	v_cndmask_b32_e64 v13, v41, v13, s[6:7]
	v_cndmask_b32_e64 v36, v36, v39, s[6:7]
	v_lshlrev_b32_e32 v37, 24, v37
	v_lshlrev_b32_e32 v36, 20, v36
	v_and_b32_e32 v37, 0x80000000, v37
	v_lshl_add_u32 v13, v13, 23, v27
	v_or3_b32 v36, v37, v13, v36
.LBB278_52:                             ;   in Loop: Header=BB278_13 Depth=1
	s_or_b64 exec, exec, s[46:47]
.LBB278_53:                             ;   in Loop: Header=BB278_13 Depth=1
	s_or_b64 exec, exec, s[44:45]
.LBB278_54:                             ;   in Loop: Header=BB278_13 Depth=1
	s_or_b64 exec, exec, s[42:43]
	global_load_ubyte v39, v[11:12], off offset:384
	v_mov_b32_e32 v38, 0
	v_mov_b32_e32 v37, 0
	s_waitcnt vmcnt(0)
	v_cmp_ne_u16_e64 s[6:7], 0, v39
	s_and_saveexec_b64 s[42:43], s[6:7]
	s_cbranch_execz .LBB278_60
; %bb.55:                               ;   in Loop: Header=BB278_13 Depth=1
	v_cmp_ne_u16_e64 s[6:7], s54, v39
	v_bfrev_b32_e32 v37, 1
	s_and_saveexec_b64 s[44:45], s[6:7]
	s_cbranch_execz .LBB278_59
; %bb.56:                               ;   in Loop: Header=BB278_13 Depth=1
	v_and_b32_e32 v13, 0xffff, v39
	v_and_b32_e32 v40, 0x7f, v13
	v_cmp_ne_u32_e64 s[6:7], s55, v40
	v_mov_b32_e32 v37, 0x7f800001
	s_and_saveexec_b64 s[46:47], s[6:7]
	s_cbranch_execz .LBB278_58
; %bb.57:                               ;   in Loop: Header=BB278_13 Depth=1
	v_and_b32_e32 v37, 7, v13
	v_ffbh_u32_e32 v41, v37
	v_min_u32_e32 v44, 32, v41
	v_subrev_u32_e32 v41, 28, v44
	v_lshlrev_b64 v[41:42], v41, v[13:14]
	v_lshrrev_b32_e32 v43, 3, v40
	v_sub_u32_e32 v13, 29, v44
	v_and_b32_e32 v41, 7, v41
	v_cmp_gt_u32_e64 s[6:7], 8, v40
	v_cndmask_b32_e64 v13, v43, v13, s[6:7]
	v_cndmask_b32_e64 v37, v37, v41, s[6:7]
	v_lshlrev_b32_e32 v39, 24, v39
	v_lshlrev_b32_e32 v37, 20, v37
	v_and_b32_e32 v39, 0x80000000, v39
	v_lshl_add_u32 v13, v13, 23, v27
	v_or3_b32 v37, v39, v13, v37
.LBB278_58:                             ;   in Loop: Header=BB278_13 Depth=1
	s_or_b64 exec, exec, s[46:47]
.LBB278_59:                             ;   in Loop: Header=BB278_13 Depth=1
	s_or_b64 exec, exec, s[44:45]
.LBB278_60:                             ;   in Loop: Header=BB278_13 Depth=1
	s_or_b64 exec, exec, s[42:43]
	global_load_ubyte v39, v[11:12], off offset:392
	s_waitcnt vmcnt(0)
	v_cmp_ne_u16_e64 s[6:7], 0, v39
	s_and_saveexec_b64 s[42:43], s[6:7]
	s_cbranch_execz .LBB278_66
; %bb.61:                               ;   in Loop: Header=BB278_13 Depth=1
	v_cmp_ne_u16_e64 s[6:7], s54, v39
	v_bfrev_b32_e32 v38, 1
	s_and_saveexec_b64 s[44:45], s[6:7]
	s_cbranch_execz .LBB278_65
; %bb.62:                               ;   in Loop: Header=BB278_13 Depth=1
	v_and_b32_e32 v13, 0xffff, v39
	v_and_b32_e32 v40, 0x7f, v13
	v_cmp_ne_u32_e64 s[6:7], s55, v40
	v_mov_b32_e32 v38, 0x7f800001
	s_and_saveexec_b64 s[46:47], s[6:7]
	s_cbranch_execz .LBB278_64
; %bb.63:                               ;   in Loop: Header=BB278_13 Depth=1
	v_and_b32_e32 v38, 7, v13
	v_ffbh_u32_e32 v41, v38
	v_min_u32_e32 v44, 32, v41
	v_subrev_u32_e32 v41, 28, v44
	v_lshlrev_b64 v[41:42], v41, v[13:14]
	v_lshrrev_b32_e32 v43, 3, v40
	v_sub_u32_e32 v13, 29, v44
	v_and_b32_e32 v41, 7, v41
	v_cmp_gt_u32_e64 s[6:7], 8, v40
	v_cndmask_b32_e64 v13, v43, v13, s[6:7]
	v_cndmask_b32_e64 v38, v38, v41, s[6:7]
	v_lshlrev_b32_e32 v39, 24, v39
	v_lshlrev_b32_e32 v38, 20, v38
	v_and_b32_e32 v39, 0x80000000, v39
	v_lshl_add_u32 v13, v13, 23, v27
	v_or3_b32 v38, v39, v13, v38
.LBB278_64:                             ;   in Loop: Header=BB278_13 Depth=1
	s_or_b64 exec, exec, s[46:47]
.LBB278_65:                             ;   in Loop: Header=BB278_13 Depth=1
	s_or_b64 exec, exec, s[44:45]
.LBB278_66:                             ;   in Loop: Header=BB278_13 Depth=1
	s_or_b64 exec, exec, s[42:43]
	global_load_ubyte v41, v[11:12], off offset:512
	v_mov_b32_e32 v40, 0
	v_mov_b32_e32 v39, 0
	s_waitcnt vmcnt(0)
	v_cmp_ne_u16_e64 s[6:7], 0, v41
	s_and_saveexec_b64 s[42:43], s[6:7]
	s_cbranch_execz .LBB278_72
; %bb.67:                               ;   in Loop: Header=BB278_13 Depth=1
	v_cmp_ne_u16_e64 s[6:7], s54, v41
	v_bfrev_b32_e32 v39, 1
	s_and_saveexec_b64 s[44:45], s[6:7]
	s_cbranch_execz .LBB278_71
; %bb.68:                               ;   in Loop: Header=BB278_13 Depth=1
	v_and_b32_e32 v13, 0xffff, v41
	v_and_b32_e32 v42, 0x7f, v13
	v_cmp_ne_u32_e64 s[6:7], s55, v42
	v_mov_b32_e32 v39, 0x7f800001
	s_and_saveexec_b64 s[46:47], s[6:7]
	s_cbranch_execz .LBB278_70
; %bb.69:                               ;   in Loop: Header=BB278_13 Depth=1
	v_and_b32_e32 v39, 7, v13
	v_ffbh_u32_e32 v43, v39
	v_min_u32_e32 v46, 32, v43
	v_subrev_u32_e32 v43, 28, v46
	v_lshlrev_b64 v[43:44], v43, v[13:14]
	v_lshrrev_b32_e32 v45, 3, v42
	v_sub_u32_e32 v13, 29, v46
	v_and_b32_e32 v43, 7, v43
	v_cmp_gt_u32_e64 s[6:7], 8, v42
	v_cndmask_b32_e64 v13, v45, v13, s[6:7]
	v_cndmask_b32_e64 v39, v39, v43, s[6:7]
	v_lshlrev_b32_e32 v41, 24, v41
	v_lshlrev_b32_e32 v39, 20, v39
	v_and_b32_e32 v41, 0x80000000, v41
	v_lshl_add_u32 v13, v13, 23, v27
	v_or3_b32 v39, v41, v13, v39
.LBB278_70:                             ;   in Loop: Header=BB278_13 Depth=1
	s_or_b64 exec, exec, s[46:47]
.LBB278_71:                             ;   in Loop: Header=BB278_13 Depth=1
	s_or_b64 exec, exec, s[44:45]
.LBB278_72:                             ;   in Loop: Header=BB278_13 Depth=1
	s_or_b64 exec, exec, s[42:43]
	global_load_ubyte v41, v[11:12], off offset:520
	s_waitcnt vmcnt(0)
	v_cmp_ne_u16_e64 s[6:7], 0, v41
	s_and_saveexec_b64 s[42:43], s[6:7]
	s_cbranch_execz .LBB278_78
; %bb.73:                               ;   in Loop: Header=BB278_13 Depth=1
	v_cmp_ne_u16_e64 s[6:7], s54, v41
	v_bfrev_b32_e32 v40, 1
	s_and_saveexec_b64 s[44:45], s[6:7]
	s_cbranch_execz .LBB278_77
; %bb.74:                               ;   in Loop: Header=BB278_13 Depth=1
	v_and_b32_e32 v13, 0xffff, v41
	v_and_b32_e32 v42, 0x7f, v13
	v_cmp_ne_u32_e64 s[6:7], s55, v42
	v_mov_b32_e32 v40, 0x7f800001
	s_and_saveexec_b64 s[46:47], s[6:7]
	s_cbranch_execz .LBB278_76
; %bb.75:                               ;   in Loop: Header=BB278_13 Depth=1
	v_and_b32_e32 v40, 7, v13
	v_ffbh_u32_e32 v43, v40
	v_min_u32_e32 v46, 32, v43
	v_subrev_u32_e32 v43, 28, v46
	v_lshlrev_b64 v[43:44], v43, v[13:14]
	v_lshrrev_b32_e32 v45, 3, v42
	v_sub_u32_e32 v13, 29, v46
	v_and_b32_e32 v43, 7, v43
	v_cmp_gt_u32_e64 s[6:7], 8, v42
	v_cndmask_b32_e64 v13, v45, v13, s[6:7]
	v_cndmask_b32_e64 v40, v40, v43, s[6:7]
	v_lshlrev_b32_e32 v41, 24, v41
	v_lshlrev_b32_e32 v40, 20, v40
	v_and_b32_e32 v41, 0x80000000, v41
	v_lshl_add_u32 v13, v13, 23, v27
	v_or3_b32 v40, v41, v13, v40
.LBB278_76:                             ;   in Loop: Header=BB278_13 Depth=1
	s_or_b64 exec, exec, s[46:47]
.LBB278_77:                             ;   in Loop: Header=BB278_13 Depth=1
	s_or_b64 exec, exec, s[44:45]
.LBB278_78:                             ;   in Loop: Header=BB278_13 Depth=1
	s_or_b64 exec, exec, s[42:43]
	global_load_ubyte v43, v[11:12], off offset:640
	v_mov_b32_e32 v42, 0
	v_mov_b32_e32 v41, 0
	s_waitcnt vmcnt(0)
	v_cmp_ne_u16_e64 s[6:7], 0, v43
	s_and_saveexec_b64 s[42:43], s[6:7]
	s_cbranch_execz .LBB278_84
; %bb.79:                               ;   in Loop: Header=BB278_13 Depth=1
	v_cmp_ne_u16_e64 s[6:7], s54, v43
	v_bfrev_b32_e32 v41, 1
	s_and_saveexec_b64 s[44:45], s[6:7]
	s_cbranch_execz .LBB278_83
; %bb.80:                               ;   in Loop: Header=BB278_13 Depth=1
	v_and_b32_e32 v13, 0xffff, v43
	v_and_b32_e32 v44, 0x7f, v13
	v_cmp_ne_u32_e64 s[6:7], s55, v44
	v_mov_b32_e32 v41, 0x7f800001
	s_and_saveexec_b64 s[46:47], s[6:7]
	s_cbranch_execz .LBB278_82
; %bb.81:                               ;   in Loop: Header=BB278_13 Depth=1
	v_and_b32_e32 v41, 7, v13
	v_ffbh_u32_e32 v45, v41
	v_min_u32_e32 v48, 32, v45
	v_subrev_u32_e32 v45, 28, v48
	v_lshlrev_b64 v[45:46], v45, v[13:14]
	v_lshrrev_b32_e32 v47, 3, v44
	v_sub_u32_e32 v13, 29, v48
	v_and_b32_e32 v45, 7, v45
	v_cmp_gt_u32_e64 s[6:7], 8, v44
	v_cndmask_b32_e64 v13, v47, v13, s[6:7]
	v_cndmask_b32_e64 v41, v41, v45, s[6:7]
	v_lshlrev_b32_e32 v43, 24, v43
	v_lshlrev_b32_e32 v41, 20, v41
	v_and_b32_e32 v43, 0x80000000, v43
	v_lshl_add_u32 v13, v13, 23, v27
	v_or3_b32 v41, v43, v13, v41
.LBB278_82:                             ;   in Loop: Header=BB278_13 Depth=1
	s_or_b64 exec, exec, s[46:47]
.LBB278_83:                             ;   in Loop: Header=BB278_13 Depth=1
	s_or_b64 exec, exec, s[44:45]
.LBB278_84:                             ;   in Loop: Header=BB278_13 Depth=1
	s_or_b64 exec, exec, s[42:43]
	global_load_ubyte v43, v[11:12], off offset:648
	s_waitcnt vmcnt(0)
	v_cmp_ne_u16_e64 s[6:7], 0, v43
	s_and_saveexec_b64 s[42:43], s[6:7]
	s_cbranch_execz .LBB278_90
; %bb.85:                               ;   in Loop: Header=BB278_13 Depth=1
	v_cmp_ne_u16_e64 s[6:7], s54, v43
	v_bfrev_b32_e32 v42, 1
	s_and_saveexec_b64 s[44:45], s[6:7]
	s_cbranch_execz .LBB278_89
; %bb.86:                               ;   in Loop: Header=BB278_13 Depth=1
	v_and_b32_e32 v13, 0xffff, v43
	v_and_b32_e32 v44, 0x7f, v13
	v_cmp_ne_u32_e64 s[6:7], s55, v44
	v_mov_b32_e32 v42, 0x7f800001
	s_and_saveexec_b64 s[46:47], s[6:7]
	s_cbranch_execz .LBB278_88
; %bb.87:                               ;   in Loop: Header=BB278_13 Depth=1
	v_and_b32_e32 v42, 7, v13
	v_ffbh_u32_e32 v45, v42
	v_min_u32_e32 v48, 32, v45
	v_subrev_u32_e32 v45, 28, v48
	v_lshlrev_b64 v[45:46], v45, v[13:14]
	v_lshrrev_b32_e32 v47, 3, v44
	v_sub_u32_e32 v13, 29, v48
	v_and_b32_e32 v45, 7, v45
	v_cmp_gt_u32_e64 s[6:7], 8, v44
	v_cndmask_b32_e64 v13, v47, v13, s[6:7]
	v_cndmask_b32_e64 v42, v42, v45, s[6:7]
	v_lshlrev_b32_e32 v43, 24, v43
	v_lshlrev_b32_e32 v42, 20, v42
	v_and_b32_e32 v43, 0x80000000, v43
	v_lshl_add_u32 v13, v13, 23, v27
	v_or3_b32 v42, v43, v13, v42
.LBB278_88:                             ;   in Loop: Header=BB278_13 Depth=1
	s_or_b64 exec, exec, s[46:47]
.LBB278_89:                             ;   in Loop: Header=BB278_13 Depth=1
	s_or_b64 exec, exec, s[44:45]
.LBB278_90:                             ;   in Loop: Header=BB278_13 Depth=1
	s_or_b64 exec, exec, s[42:43]
	global_load_ubyte v45, v[11:12], off offset:768
	v_mov_b32_e32 v43, 0
	v_mov_b32_e32 v44, 0
	s_waitcnt vmcnt(0)
	v_cmp_ne_u16_e64 s[6:7], 0, v45
	s_and_saveexec_b64 s[42:43], s[6:7]
	s_cbranch_execz .LBB278_96
; %bb.91:                               ;   in Loop: Header=BB278_13 Depth=1
	v_cmp_ne_u16_e64 s[6:7], s54, v45
	v_bfrev_b32_e32 v44, 1
	s_and_saveexec_b64 s[44:45], s[6:7]
	s_cbranch_execz .LBB278_95
; %bb.92:                               ;   in Loop: Header=BB278_13 Depth=1
	v_and_b32_e32 v13, 0xffff, v45
	v_and_b32_e32 v46, 0x7f, v13
	v_cmp_ne_u32_e64 s[6:7], s55, v46
	v_mov_b32_e32 v44, 0x7f800001
	s_and_saveexec_b64 s[46:47], s[6:7]
	s_cbranch_execz .LBB278_94
; %bb.93:                               ;   in Loop: Header=BB278_13 Depth=1
	v_and_b32_e32 v44, 7, v13
	v_ffbh_u32_e32 v47, v44
	v_min_u32_e32 v50, 32, v47
	v_subrev_u32_e32 v47, 28, v50
	v_lshlrev_b64 v[47:48], v47, v[13:14]
	v_lshrrev_b32_e32 v49, 3, v46
	v_sub_u32_e32 v13, 29, v50
	v_and_b32_e32 v47, 7, v47
	v_cmp_gt_u32_e64 s[6:7], 8, v46
	v_cndmask_b32_e64 v13, v49, v13, s[6:7]
	v_cndmask_b32_e64 v44, v44, v47, s[6:7]
	v_lshlrev_b32_e32 v45, 24, v45
	v_lshlrev_b32_e32 v44, 20, v44
	v_and_b32_e32 v45, 0x80000000, v45
	v_lshl_add_u32 v13, v13, 23, v27
	v_or3_b32 v44, v45, v13, v44
.LBB278_94:                             ;   in Loop: Header=BB278_13 Depth=1
	s_or_b64 exec, exec, s[46:47]
.LBB278_95:                             ;   in Loop: Header=BB278_13 Depth=1
	s_or_b64 exec, exec, s[44:45]
.LBB278_96:                             ;   in Loop: Header=BB278_13 Depth=1
	s_or_b64 exec, exec, s[42:43]
	global_load_ubyte v12, v[11:12], off offset:776
	s_waitcnt vmcnt(0)
	v_cmp_ne_u16_e64 s[6:7], 0, v12
	s_and_saveexec_b64 s[42:43], s[6:7]
	s_cbranch_execz .LBB278_102
; %bb.97:                               ;   in Loop: Header=BB278_13 Depth=1
	v_cmp_ne_u16_e64 s[6:7], s54, v12
	v_bfrev_b32_e32 v43, 1
	s_and_saveexec_b64 s[44:45], s[6:7]
	s_cbranch_execz .LBB278_101
; %bb.98:                               ;   in Loop: Header=BB278_13 Depth=1
	v_and_b32_e32 v11, 0xffff, v12
	v_and_b32_e32 v13, 0x7f, v11
	v_cmp_ne_u32_e64 s[6:7], s55, v13
	v_mov_b32_e32 v43, 0x7f800001
	s_and_saveexec_b64 s[46:47], s[6:7]
	s_cbranch_execz .LBB278_100
; %bb.99:                               ;   in Loop: Header=BB278_13 Depth=1
	v_and_b32_e32 v43, 7, v11
	v_ffbh_u32_e32 v45, v43
	v_min_u32_e32 v48, 32, v45
	v_subrev_u32_e32 v45, 28, v48
	v_lshlrev_b64 v[45:46], v45, v[11:12]
	v_lshrrev_b32_e32 v47, 3, v13
	v_sub_u32_e32 v11, 29, v48
	v_and_b32_e32 v45, 7, v45
	v_cmp_gt_u32_e64 s[6:7], 8, v13
	v_cndmask_b32_e64 v11, v47, v11, s[6:7]
	v_cndmask_b32_e64 v13, v43, v45, s[6:7]
	v_lshlrev_b32_e32 v12, 24, v12
	v_lshlrev_b32_e32 v13, 20, v13
	v_and_b32_e32 v12, 0x80000000, v12
	v_lshl_add_u32 v11, v11, 23, v27
	v_or3_b32 v43, v12, v11, v13
.LBB278_100:                            ;   in Loop: Header=BB278_13 Depth=1
	s_or_b64 exec, exec, s[46:47]
.LBB278_101:                            ;   in Loop: Header=BB278_13 Depth=1
	s_or_b64 exec, exec, s[44:45]
.LBB278_102:                            ;   in Loop: Header=BB278_13 Depth=1
	s_or_b64 exec, exec, s[42:43]
	s_waitcnt lgkmcnt(0)
	v_mul_f32_e32 v11, s57, v44
	v_bfe_u32 v12, v11, 16, 1
	v_add3_u32 v12, v12, v11, s56
	v_or_b32_e32 v13, 0x400000, v11
	v_cmp_u_f32_e64 s[6:7], v11, v11
	v_cndmask_b32_e64 v11, v12, v13, s[6:7]
	v_mul_f32_e32 v12, s57, v42
	v_bfe_u32 v13, v12, 16, 1
	v_add3_u32 v13, v13, v12, s56
	v_or_b32_e32 v42, 0x400000, v12
	v_cmp_u_f32_e64 s[6:7], v12, v12
	v_cndmask_b32_e64 v12, v13, v42, s[6:7]
	v_mul_f32_e32 v13, s57, v41
	v_bfe_u32 v41, v13, 16, 1
	v_add3_u32 v41, v41, v13, s56
	v_or_b32_e32 v42, 0x400000, v13
	v_cmp_u_f32_e64 s[6:7], v13, v13
	v_mul_f32_e32 v40, s57, v40
	v_cndmask_b32_e64 v13, v41, v42, s[6:7]
	v_bfe_u32 v41, v40, 16, 1
	v_add3_u32 v41, v41, v40, s56
	v_or_b32_e32 v42, 0x400000, v40
	v_cmp_u_f32_e64 s[6:7], v40, v40
	v_mul_f32_e32 v39, s57, v39
	v_cndmask_b32_e64 v40, v41, v42, s[6:7]
	;; [unrolled: 6-line block ×10, first 2 shown]
	v_bfe_u32 v41, v31, 16, 1
	v_add3_u32 v41, v41, v31, s56
	v_or_b32_e32 v42, 0x400000, v31
	v_cmp_u_f32_e64 s[6:7], v31, v31
	v_cndmask_b32_e64 v31, v41, v42, s[6:7]
	v_and_b32_e32 v41, 64, v28
	v_add_u32_e32 v41, 64, v41
	v_xor_b32_e32 v42, 4, v28
	v_mul_f32_e32 v43, s57, v43
	v_cmp_lt_i32_e64 s[6:7], v42, v41
	v_bfe_u32 v44, v43, 16, 1
	v_cndmask_b32_e64 v42, v28, v42, s[6:7]
	v_add3_u32 v44, v44, v43, s56
	v_or_b32_e32 v45, 0x400000, v43
	v_cmp_u_f32_e64 s[6:7], v43, v43
	v_cndmask_b32_e64 v43, v44, v45, s[6:7]
	v_lshlrev_b32_e32 v44, 16, v9
	v_and_b32_e32 v9, 0xffff0000, v9
	v_and_b32_e32 v32, 0xffff0000, v32
	v_and_b32_e32 v31, 0xffff0000, v31
	v_mul_f32_e32 v9, v9, v32
	v_lshlrev_b32_e32 v45, 16, v10
	v_fmac_f32_e32 v9, v44, v31
	v_and_b32_e32 v31, 0xffff0000, v33
	v_and_b32_e32 v10, 0xffff0000, v10
	v_fmac_f32_e32 v9, v45, v31
	v_and_b32_e32 v31, 0xffff0000, v34
	v_lshlrev_b32_e32 v46, 16, v7
	v_fmac_f32_e32 v9, v10, v31
	v_and_b32_e32 v10, 0xffff0000, v35
	v_and_b32_e32 v7, 0xffff0000, v7
	v_fmac_f32_e32 v9, v46, v10
	v_and_b32_e32 v10, 0xffff0000, v36
	;; [unrolled: 6-line block ×6, first 2 shown]
	v_lshlrev_b32_e32 v42, 2, v42
	v_fmac_f32_e32 v9, v30, v5
	ds_bpermute_b32 v5, v42, v9
	v_xor_b32_e32 v6, 2, v28
	v_cmp_lt_i32_e64 s[6:7], v6, v41
	v_cndmask_b32_e64 v6, v28, v6, s[6:7]
	v_lshlrev_b32_e32 v6, 2, v6
	s_waitcnt lgkmcnt(0)
	v_add_f32_e32 v5, v9, v5
	ds_bpermute_b32 v6, v6, v5
	v_xor_b32_e32 v7, 1, v28
	v_cmp_lt_i32_e64 s[6:7], v7, v41
	v_cndmask_b32_e64 v7, v28, v7, s[6:7]
	v_lshlrev_b32_e32 v7, 2, v7
	s_waitcnt lgkmcnt(0)
	v_add_f32_e32 v5, v5, v6
	ds_bpermute_b32 v6, v7, v5
	s_and_saveexec_b64 s[42:43], vcc
	s_cbranch_execz .LBB278_11
; %bb.103:                              ;   in Loop: Header=BB278_13 Depth=1
	v_add_u32_e32 v7, v24, v23
	v_cvt_f32_i32_e32 v7, v7
	s_waitcnt lgkmcnt(0)
	v_add_f32_e32 v5, v5, v6
	v_add_u32_e32 v8, v16, v23
	v_cmp_gt_i32_e64 s[6:7], s25, v8
	v_mul_f32_e32 v6, s51, v7
	v_cndmask_b32_e64 v6, 0, v6, s[4:5]
	v_fmac_f32_e32 v6, s39, v5
	v_cndmask_b32_e64 v5, 0, v6, s[6:7]
	ds_write_b32 v25, v5
	v_max_f32_e32 v5, v18, v18
	v_max_f32_e32 v5, v5, v6
	v_cndmask_b32_e64 v18, v18, v5, s[6:7]
	s_branch .LBB278_11
.LBB278_104:
	s_or_b64 exec, exec, s[40:41]
.LBB278_105:
	s_or_b64 exec, exec, s[18:19]
	v_mbcnt_hi_u32_b32 v1, -1, v15
	v_and_b32_e32 v9, 64, v1
	v_add_u32_e32 v2, 64, v9
	v_xor_b32_e32 v3, 32, v1
	v_cmp_lt_i32_e32 vcc, v3, v2
	v_cndmask_b32_e32 v3, v1, v3, vcc
	v_lshlrev_b32_e32 v4, 2, v3
	ds_bpermute_b32 v3, v4, v18
	s_waitcnt lgkmcnt(1)
	v_xor_b32_e32 v6, 16, v1
	v_max_f32_e32 v5, v18, v18
	v_cmp_lt_i32_e32 vcc, v6, v2
	v_xor_b32_e32 v7, 8, v1
	s_waitcnt lgkmcnt(0)
	v_max_f32_e32 v3, v3, v3
	v_max_f32_e32 v3, v5, v3
	v_cndmask_b32_e32 v5, v1, v6, vcc
	v_lshlrev_b32_e32 v6, 2, v5
	ds_bpermute_b32 v5, v6, v3
	v_cmp_lt_i32_e32 vcc, v7, v2
	v_and_b32_e32 v23, 63, v0
	s_waitcnt lgkmcnt(0)
	v_max_f32_e32 v5, v5, v5
	v_max_f32_e32 v5, v3, v5
	v_cndmask_b32_e32 v3, v1, v7, vcc
	v_lshlrev_b32_e32 v8, 2, v3
	ds_bpermute_b32 v7, v8, v5
	v_cmp_eq_u32_e32 vcc, 0, v23
	v_lshlrev_b32_e32 v3, 2, v21
	s_and_saveexec_b64 s[4:5], vcc
	s_cbranch_execz .LBB278_107
; %bb.106:
	s_waitcnt lgkmcnt(0)
	v_max_f32_e32 v7, v7, v7
	v_max_f32_e32 v5, v5, v5
	;; [unrolled: 1-line block ×3, first 2 shown]
	ds_write_b32 v3, v5 offset:224
.LBB278_107:
	s_or_b64 exec, exec, s[4:5]
	v_cmp_gt_u32_e64 s[4:5], 2, v23
	v_mov_b32_e32 v10, 0xff7fffff
	v_lshlrev_b32_e32 v5, 2, v23
	s_waitcnt lgkmcnt(0)
	s_barrier
	s_and_saveexec_b64 s[6:7], s[4:5]
; %bb.108:
	ds_read_b32 v10, v5 offset:224
; %bb.109:
	s_or_b64 exec, exec, s[6:7]
	v_xor_b32_e32 v7, 1, v1
	v_cmp_lt_i32_e64 s[6:7], v7, v2
	v_cndmask_b32_e64 v7, v1, v7, s[6:7]
	v_lshlrev_b32_e32 v7, 2, v7
	s_waitcnt lgkmcnt(0)
	ds_bpermute_b32 v11, v7, v10
	v_max_f32_e32 v10, v10, v10
	v_lshlrev_b32_e32 v9, 2, v9
	s_lshl_b32 s6, s50, 3
	s_min_i32 s23, s6, s25
	s_waitcnt lgkmcnt(0)
	v_max_f32_e32 v11, v11, v11
	v_max_f32_e32 v10, v10, v11
	ds_bpermute_b32 v10, v9, v10
	v_cmp_gt_i32_e64 s[6:7], s23, v0
	v_mov_b32_e32 v9, 0
	s_and_saveexec_b64 s[12:13], s[6:7]
	s_cbranch_execz .LBB278_113
; %bb.110:
	v_mov_b32_e32 v9, 0xf0
	v_lshl_add_u32 v11, v0, 2, v9
	v_mov_b32_e32 v9, 0
	s_mov_b64 s[18:19], 0
	v_mov_b32_e32 v12, v0
.LBB278_111:                            ; =>This Inner Loop Header: Depth=1
	ds_read_b32 v13, v11
	v_add_u32_e32 v12, 0x80, v12
	v_cmp_le_i32_e64 s[10:11], s23, v12
	s_or_b64 s[18:19], s[10:11], s[18:19]
	s_waitcnt lgkmcnt(0)
	v_sub_f32_e32 v13, v13, v10
	v_mul_f32_e32 v13, 0x3fb8aa3b, v13
	v_exp_f32_e32 v13, v13
	ds_write_b32 v11, v13
	v_add_f32_e32 v9, v9, v13
	v_add_u32_e32 v11, 0x200, v11
	s_andn2_b64 exec, exec, s[18:19]
	s_cbranch_execnz .LBB278_111
; %bb.112:
	s_or_b64 exec, exec, s[18:19]
.LBB278_113:
	s_or_b64 exec, exec, s[12:13]
	ds_bpermute_b32 v4, v4, v9
	s_waitcnt lgkmcnt(0)
	v_add_f32_e32 v4, v9, v4
	ds_bpermute_b32 v6, v6, v4
	s_waitcnt lgkmcnt(0)
	v_add_f32_e32 v4, v4, v6
	ds_bpermute_b32 v6, v8, v4
	v_xor_b32_e32 v8, 4, v1
	v_cmp_lt_i32_e64 s[10:11], v8, v2
	v_cndmask_b32_e64 v8, v1, v8, s[10:11]
	v_lshlrev_b32_e32 v8, 2, v8
	s_waitcnt lgkmcnt(0)
	v_add_f32_e32 v4, v4, v6
	ds_bpermute_b32 v6, v8, v4
	v_xor_b32_e32 v8, 2, v1
	v_cmp_lt_i32_e64 s[10:11], v8, v2
	v_cndmask_b32_e64 v2, v1, v8, s[10:11]
	v_lshlrev_b32_e32 v2, 2, v2
	s_waitcnt lgkmcnt(0)
	v_add_f32_e32 v4, v4, v6
	ds_bpermute_b32 v2, v2, v4
	s_waitcnt lgkmcnt(0)
	v_add_f32_e32 v2, v4, v2
	ds_bpermute_b32 v4, v7, v2
	s_waitcnt lgkmcnt(0)
	v_add_f32_e32 v2, v2, v4
	s_and_saveexec_b64 s[10:11], vcc
; %bb.114:
	ds_write_b32 v3, v2 offset:232
; %bb.115:
	s_or_b64 exec, exec, s[10:11]
	s_waitcnt lgkmcnt(0)
	s_barrier
	s_and_saveexec_b64 s[10:11], s[4:5]
; %bb.116:
	ds_read_b32 v2, v5 offset:232
; %bb.117:
	s_or_b64 exec, exec, s[10:11]
	s_waitcnt lgkmcnt(0)
	ds_bpermute_b32 v3, v7, v2
	v_lshlrev_b32_e32 v1, 2, v1
	v_and_b32_e32 v1, 0x100, v1
	s_waitcnt lgkmcnt(0)
	v_add_f32_e32 v2, v2, v3
	ds_bpermute_b32 v1, v1, v2
	s_and_saveexec_b64 s[4:5], s[6:7]
	s_cbranch_execz .LBB278_120
; %bb.118:
	s_waitcnt lgkmcnt(0)
	v_add_f32_e32 v2, 0x358637bd, v1
	v_div_scale_f32 v1, s[6:7], v2, v2, 1.0
	v_div_scale_f32 v3, vcc, 1.0, v2, 1.0
	s_mov_b64 s[6:7], 0
	v_rcp_f32_e32 v4, v1
	v_fma_f32 v5, -v1, v4, 1.0
	v_fmac_f32_e32 v4, v5, v4
	v_mul_f32_e32 v5, v3, v4
	v_fma_f32 v6, -v1, v5, v3
	v_fmac_f32_e32 v5, v6, v4
	v_fma_f32 v1, -v1, v5, v3
	v_div_fmas_f32 v3, v1, v4, v5
	v_mov_b32_e32 v1, 0xf0
	v_lshl_add_u32 v1, v0, 2, v1
	v_div_fixup_f32 v2, v3, v2, 1.0
	v_mov_b32_e32 v3, v0
.LBB278_119:                            ; =>This Inner Loop Header: Depth=1
	ds_read_b32 v4, v1
	v_add_u32_e32 v3, 0x80, v3
	v_cmp_le_i32_e32 vcc, s23, v3
	s_or_b64 s[6:7], vcc, s[6:7]
	s_waitcnt lgkmcnt(0)
	v_mul_f32_e32 v4, v2, v4
	ds_write_b32 v1, v4
	v_add_u32_e32 v1, 0x200, v1
	s_andn2_b64 exec, exec, s[6:7]
	s_cbranch_execnz .LBB278_119
.LBB278_120:
	s_or_b64 exec, exec, s[4:5]
	v_mov_b32_e32 v12, 0
	v_mov_b32_e32 v11, v12
	v_mov_b32_e32 v9, v11
	v_mov_b32_e32 v10, v12
	s_waitcnt lgkmcnt(0)
	s_barrier
	s_and_saveexec_b64 s[6:7], s[2:3]
	s_cbranch_execz .LBB278_228
; %bb.121:
	s_sub_i32 s39, s16, s21
	s_ashr_i32 s2, s20, 31
	s_add_u32 s10, s36, s20
	s_addc_u32 s11, s37, s2
	s_abs_i32 s36, s22
	v_cvt_f32_u32_e32 v1, s36
	s_sub_i32 s3, 0, s36
	v_or_b32_e32 v2, 64, v23
	s_movk_i32 s2, 0x70
	v_rcp_iflag_f32_e32 v1, v1
	v_cmp_gt_u32_e32 vcc, s2, v2
	v_lshlrev_b32_e32 v25, 3, v2
	s_add_i32 s40, s50, -1
	v_mul_f32_e32 v1, 0x4f7ffffe, v1
	v_cvt_u32_f32_e32 v1, v1
	v_and_b32_e32 v3, 60, v14
	v_mov_b32_e32 v11, v12
	s_mov_b32 s12, -1
	v_mul_lo_u32 v4, s3, v1
	s_lshl_b64 s[2:3], s[34:35], 2
	s_add_u32 s2, s30, s2
	s_addc_u32 s3, s31, s3
	v_mul_hi_u32 v2, v1, v4
	v_mov_b32_e32 v9, v11
	s_mov_b32 s37, s17
	s_mov_b32 s13, 0xffffff
	v_add_u32_e32 v26, v1, v2
	v_mov_b32_e32 v1, s3
	v_add_co_u32_e64 v13, s[2:3], s2, v3
	v_addc_co_u32_e64 v14, s[2:3], 0, v1, s[2:3]
	v_mov_b32_e32 v1, 0xf0
	v_lshlrev_b32_e32 v24, 3, v23
	v_lshl_add_u32 v27, v21, 5, v1
	s_mov_b64 s[16:17], 0
	s_movk_i32 s41, 0x80
	s_movk_i32 s42, 0x7f
	;; [unrolled: 1-line block ×3, first 2 shown]
	s_mov_b32 s44, 0x7060302
	v_bfrev_b32_e32 v28, 60
	v_mov_b32_e32 v10, v12
	s_branch .LBB278_125
.LBB278_122:                            ;   in Loop: Header=BB278_125 Depth=1
	s_or_b64 exec, exec, s[4:5]
	v_perm_b32 v5, v6, v5, s44
	v_perm_b32 v6, v8, v7, s44
	;; [unrolled: 1-line block ×3, first 2 shown]
	v_lshlrev_b32_e32 v8, 16, v5
	v_lshlrev_b32_e32 v17, 16, v30
	v_mul_f32_e32 v8, v8, v17
	v_and_b32_e32 v5, 0xffff0000, v5
	v_lshlrev_b32_e32 v16, 16, v16
	v_bfe_u32 v17, v8, 16, 1
	v_mul_f32_e32 v5, v5, v16
	v_add3_u32 v17, v17, v8, s43
	v_or_b32_e32 v18, 0x400000, v8
	v_cmp_u_f32_e64 s[2:3], v8, v8
	v_bfe_u32 v16, v5, 16, 1
	v_cndmask_b32_e64 v8, v17, v18, s[2:3]
	v_add3_u32 v16, v16, v5, s43
	v_or_b32_e32 v17, 0x400000, v5
	v_cmp_u_f32_e64 s[2:3], v5, v5
	v_cndmask_b32_e64 v5, v16, v17, s[2:3]
	v_lshlrev_b32_e32 v16, 16, v6
	v_lshlrev_b32_e32 v17, 16, v29
	v_mul_f32_e32 v16, v16, v17
	v_and_b32_e32 v6, 0xffff0000, v6
	v_lshlrev_b32_e32 v3, 16, v3
	v_bfe_u32 v17, v16, 16, 1
	v_mul_f32_e32 v3, v6, v3
	v_add3_u32 v17, v17, v16, s43
	v_or_b32_e32 v18, 0x400000, v16
	v_cmp_u_f32_e64 s[2:3], v16, v16
	v_bfe_u32 v6, v3, 16, 1
	v_cndmask_b32_e64 v16, v17, v18, s[2:3]
	v_add3_u32 v6, v6, v3, s43
	v_or_b32_e32 v17, 0x400000, v3
	v_cmp_u_f32_e64 s[2:3], v3, v3
	v_cndmask_b32_e64 v3, v6, v17, s[2:3]
	v_lshlrev_b32_e32 v6, 16, v7
	v_lshlrev_b32_e32 v2, 16, v2
	v_mul_f32_e32 v2, v6, v2
	v_bfe_u32 v6, v2, 16, 1
	v_add3_u32 v6, v6, v2, s43
	v_or_b32_e32 v17, 0x400000, v2
	v_cmp_u_f32_e64 s[2:3], v2, v2
	v_cndmask_b32_e64 v2, v6, v17, s[2:3]
	v_and_b32_e32 v6, 0xffff0000, v7
	v_lshlrev_b32_e32 v1, 16, v1
	v_mul_f32_e32 v1, v6, v1
	v_bfe_u32 v6, v1, 16, 1
	v_perm_b32 v4, v4, v19, s44
	v_add3_u32 v6, v6, v1, s43
	v_or_b32_e32 v7, 0x400000, v1
	v_cmp_u_f32_e64 s[2:3], v1, v1
	v_cndmask_b32_e64 v1, v6, v7, s[2:3]
	v_lshlrev_b32_e32 v6, 16, v4
	v_lshlrev_b32_e32 v7, 16, v15
	v_mul_f32_e32 v6, v6, v7
	v_bfe_u32 v7, v6, 16, 1
	v_add3_u32 v7, v7, v6, s43
	v_or_b32_e32 v15, 0x400000, v6
	v_cmp_u_f32_e64 s[2:3], v6, v6
	v_cndmask_b32_e64 v6, v7, v15, s[2:3]
	v_and_b32_e32 v4, 0xffff0000, v4
	v_lshlrev_b32_e32 v7, 16, v11
	v_mul_f32_e32 v4, v4, v7
	v_bfe_u32 v7, v4, 16, 1
	v_add3_u32 v7, v7, v4, s43
	v_or_b32_e32 v11, 0x400000, v4
	v_cmp_u_f32_e64 s[2:3], v4, v4
	v_cndmask_b32_e64 v4, v7, v11, s[2:3]
	v_and_b32_e32 v5, 0xffff0000, v5
	v_and_b32_e32 v7, 0xffff0000, v8
	v_add_f32_e32 v5, v7, v5
	v_and_b32_e32 v3, 0xffff0000, v3
	v_and_b32_e32 v7, 0xffff0000, v16
	v_add_f32_e32 v3, v7, v3
	v_and_b32_e32 v1, 0xffff0000, v1
	v_and_b32_e32 v2, 0xffff0000, v2
	v_add_f32_e32 v3, v3, v5
	v_add_f32_e32 v1, v2, v1
	v_add_f32_e32 v1, v1, v3
	v_and_b32_e32 v2, 0xffff0000, v4
	v_and_b32_e32 v3, 0xffff0000, v6
	v_add_f32_e32 v2, v3, v2
	v_add_f32_e32 v1, v2, v1
	;; [unrolled: 1-line block ×3, first 2 shown]
.LBB278_123:                            ;   in Loop: Header=BB278_125 Depth=1
	s_or_b64 exec, exec, s[20:21]
.LBB278_124:                            ;   in Loop: Header=BB278_125 Depth=1
	s_or_b64 exec, exec, s[18:19]
	v_add_co_u32_e64 v13, s[2:3], 8, v13
	v_add_u32_e32 v21, 2, v21
	v_addc_co_u32_e64 v14, s[2:3], 0, v14, s[2:3]
	v_cmp_le_i32_e64 s[2:3], s50, v21
	v_add_u32_e32 v22, 16, v22
	s_or_b64 s[16:17], s[2:3], s[16:17]
	v_add_u32_e32 v27, 64, v27
	s_andn2_b64 exec, exec, s[16:17]
	s_cbranch_execz .LBB278_227
.LBB278_125:                            ; =>This Inner Loop Header: Depth=1
	v_mul_hi_u32 v1, v22, s48
	v_mul_lo_u32 v2, v1, s33
	v_add_u32_e32 v3, 1, v1
	v_sub_u32_e32 v2, v22, v2
	v_cmp_le_u32_e64 s[2:3], s33, v2
	v_cndmask_b32_e64 v1, v1, v3, s[2:3]
	v_subrev_u32_e32 v3, s33, v2
	v_cndmask_b32_e64 v2, v2, v3, s[2:3]
	v_add_u32_e32 v3, 1, v1
	v_cmp_le_u32_e64 s[2:3], s33, v2
	v_cndmask_b32_e64 v1, v1, v3, s[2:3]
	v_xor_b32_e32 v1, s49, v1
	v_subrev_u32_e32 v1, s49, v1
	v_add_u32_e32 v2, s38, v1
	v_sub_u32_e32 v3, 0, v2
	v_max_i32_e32 v3, v2, v3
	v_mul_hi_u32 v4, v3, v26
	v_ashrrev_i32_e32 v2, 31, v2
	v_cmp_lt_i32_e64 s[4:5], s39, v1
	v_mul_lo_u32 v4, v4, s36
	v_sub_u32_e32 v3, v3, v4
	v_subrev_u32_e32 v4, s36, v3
	v_cmp_le_u32_e64 s[2:3], s36, v3
	v_cndmask_b32_e64 v3, v3, v4, s[2:3]
	v_subrev_u32_e32 v4, s36, v3
	v_cmp_le_u32_e64 s[2:3], s36, v3
	v_cndmask_b32_e64 v3, v3, v4, s[2:3]
	v_xor_b32_e32 v3, v3, v2
	v_sub_u32_e32 v2, v3, v2
	v_cmp_eq_u32_e64 s[2:3], 0, v2
	s_or_b64 s[2:3], s[2:3], s[4:5]
	s_and_saveexec_b64 s[18:19], s[2:3]
	s_cbranch_execz .LBB278_124
; %bb.126:                              ;   in Loop: Header=BB278_125 Depth=1
	global_load_dword v3, v[13:14], off
	v_mov_b32_e32 v1, s10
	v_mov_b32_e32 v2, s11
	v_mov_b32_e32 v30, 0
	v_mov_b32_e32 v29, 0
	s_waitcnt vmcnt(0)
	v_mad_i64_i32 v[15:16], s[2:3], v3, s37, v[1:2]
	v_add_co_u32_e64 v1, s[2:3], v15, v24
	v_addc_co_u32_e64 v2, s[2:3], 0, v16, s[2:3]
	global_load_dwordx2 v[17:18], v[1:2], off
	ds_read2_b64 v[5:8], v27 offset1:1
	ds_read2_b64 v[1:4], v27 offset0:2 offset1:3
	s_load_dword s45, s[14:15], 0x0
	s_waitcnt vmcnt(0)
	v_cmp_ne_u16_sdwa s[2:3], v17, v12 src0_sel:BYTE_0 src1_sel:DWORD
	s_and_saveexec_b64 s[4:5], s[2:3]
	s_cbranch_execz .LBB278_132
; %bb.127:                              ;   in Loop: Header=BB278_125 Depth=1
	v_cmp_ne_u16_sdwa s[2:3], v17, s41 src0_sel:BYTE_0 src1_sel:DWORD
	v_bfrev_b32_e32 v29, 1
	s_and_saveexec_b64 s[20:21], s[2:3]
	s_cbranch_execz .LBB278_131
; %bb.128:                              ;   in Loop: Header=BB278_125 Depth=1
	v_and_b32_e32 v11, 0x7f, v17
	v_cmp_ne_u32_e64 s[2:3], s42, v11
	v_mov_b32_e32 v29, 0x7f800001
	s_and_saveexec_b64 s[22:23], s[2:3]
	s_cbranch_execz .LBB278_130
; %bb.129:                              ;   in Loop: Header=BB278_125 Depth=1
	v_and_b32_e32 v19, 7, v17
	v_ffbh_u32_e32 v19, v19
	v_min_u32_e32 v19, 32, v19
	v_lshrrev_b32_e32 v29, 3, v11
	v_subrev_u32_e32 v31, 28, v19
	v_sub_u32_e32 v19, 29, v19
	v_cmp_gt_u32_e64 s[2:3], 8, v11
	v_cndmask_b32_e64 v11, v29, v19, s[2:3]
	v_cndmask_b32_e64 v19, 0, v31, s[2:3]
	v_lshlrev_b64 v[31:32], v19, v[17:18]
	v_lshlrev_b32_e32 v29, 24, v17
	v_lshlrev_b32_e32 v19, 20, v31
	v_and_b32_e32 v19, 0x700000, v19
	v_and_b32_e32 v29, 0x80000000, v29
	v_lshl_add_u32 v11, v11, 23, v28
	v_or3_b32 v29, v29, v11, v19
.LBB278_130:                            ;   in Loop: Header=BB278_125 Depth=1
	s_or_b64 exec, exec, s[22:23]
.LBB278_131:                            ;   in Loop: Header=BB278_125 Depth=1
	s_or_b64 exec, exec, s[20:21]
.LBB278_132:                            ;   in Loop: Header=BB278_125 Depth=1
	s_or_b64 exec, exec, s[4:5]
	v_lshrrev_b16_e32 v11, 8, v17
	v_cmp_ne_u16_e64 s[2:3], 0, v11
	s_and_saveexec_b64 s[4:5], s[2:3]
	s_cbranch_execz .LBB278_138
; %bb.133:                              ;   in Loop: Header=BB278_125 Depth=1
	v_cmp_ne_u16_e64 s[2:3], s41, v11
	v_bfrev_b32_e32 v30, 1
	s_and_saveexec_b64 s[20:21], s[2:3]
	s_cbranch_execz .LBB278_137
; %bb.134:                              ;   in Loop: Header=BB278_125 Depth=1
	v_and_b32_e32 v19, 0x7f, v11
	v_cmp_ne_u32_e64 s[2:3], s42, v19
	v_mov_b32_e32 v30, 0x7f800001
	s_and_saveexec_b64 s[22:23], s[2:3]
	s_cbranch_execz .LBB278_136
; %bb.135:                              ;   in Loop: Header=BB278_125 Depth=1
	v_and_b32_e32 v32, 7, v11
	v_ffbh_u32_e32 v30, v32
	v_min_u32_e32 v34, 32, v30
	v_subrev_u32_e32 v30, 28, v34
	v_lshlrev_b64 v[30:31], v30, v[11:12]
	v_lshrrev_b32_e32 v33, 3, v19
	v_sub_u32_e32 v11, 29, v34
	v_and_b32_e32 v30, 7, v30
	v_cmp_gt_u32_e64 s[2:3], 8, v19
	v_cndmask_b32_e64 v11, v33, v11, s[2:3]
	v_cndmask_b32_e64 v19, v32, v30, s[2:3]
	v_lshlrev_b32_e32 v30, 16, v17
	v_lshlrev_b32_e32 v19, 20, v19
	v_and_b32_e32 v30, 0x80000000, v30
	v_lshl_add_u32 v11, v11, 23, v28
	v_or3_b32 v30, v30, v11, v19
.LBB278_136:                            ;   in Loop: Header=BB278_125 Depth=1
	s_or_b64 exec, exec, s[22:23]
.LBB278_137:                            ;   in Loop: Header=BB278_125 Depth=1
	s_or_b64 exec, exec, s[20:21]
.LBB278_138:                            ;   in Loop: Header=BB278_125 Depth=1
	s_or_b64 exec, exec, s[4:5]
	v_lshrrev_b32_e32 v11, 16, v17
	v_cmp_ne_u16_sdwa s[2:3], v11, v12 src0_sel:BYTE_0 src1_sel:DWORD
	v_mov_b32_e32 v32, 0
	v_mov_b32_e32 v31, 0
	s_and_saveexec_b64 s[4:5], s[2:3]
	s_cbranch_execz .LBB278_144
; %bb.139:                              ;   in Loop: Header=BB278_125 Depth=1
	v_cmp_ne_u16_sdwa s[2:3], v11, s41 src0_sel:BYTE_0 src1_sel:DWORD
	v_bfrev_b32_e32 v31, 1
	s_and_saveexec_b64 s[20:21], s[2:3]
	s_cbranch_execz .LBB278_143
; %bb.140:                              ;   in Loop: Header=BB278_125 Depth=1
	v_bfe_u32 v19, v17, 16, 7
	v_cmp_ne_u32_e64 s[2:3], s42, v19
	v_mov_b32_e32 v31, 0x7f800001
	s_and_saveexec_b64 s[22:23], s[2:3]
	s_cbranch_execz .LBB278_142
; %bb.141:                              ;   in Loop: Header=BB278_125 Depth=1
	v_and_b32_e32 v31, 7, v11
	v_ffbh_u32_e32 v33, v31
	v_min_u32_e32 v36, 32, v33
	v_subrev_u32_e32 v33, 28, v36
	v_lshlrev_b64 v[33:34], v33, v[11:12]
	v_lshrrev_b32_e32 v35, 3, v19
	v_sub_u32_e32 v34, 29, v36
	v_and_b32_e32 v33, 7, v33
	v_cmp_gt_u32_e64 s[2:3], 8, v19
	v_cndmask_b32_e64 v19, v35, v34, s[2:3]
	v_cndmask_b32_e64 v31, v31, v33, s[2:3]
	v_lshlrev_b32_e32 v11, 24, v11
	v_lshlrev_b32_e32 v31, 20, v31
	v_and_b32_e32 v11, 0x80000000, v11
	v_lshl_add_u32 v19, v19, 23, v28
	v_or3_b32 v31, v11, v19, v31
.LBB278_142:                            ;   in Loop: Header=BB278_125 Depth=1
	s_or_b64 exec, exec, s[22:23]
.LBB278_143:                            ;   in Loop: Header=BB278_125 Depth=1
	s_or_b64 exec, exec, s[20:21]
.LBB278_144:                            ;   in Loop: Header=BB278_125 Depth=1
	s_or_b64 exec, exec, s[4:5]
	v_cmp_lt_u32_e64 s[2:3], s13, v17
	s_and_saveexec_b64 s[4:5], s[2:3]
	s_cbranch_execz .LBB278_150
; %bb.145:                              ;   in Loop: Header=BB278_125 Depth=1
	v_lshrrev_b32_e32 v11, 24, v17
	v_cmp_ne_u32_e64 s[2:3], s41, v11
	v_bfrev_b32_e32 v32, 1
	s_and_saveexec_b64 s[20:21], s[2:3]
	s_cbranch_execz .LBB278_149
; %bb.146:                              ;   in Loop: Header=BB278_125 Depth=1
	v_bfe_u32 v19, v17, 24, 7
	v_cmp_ne_u32_e64 s[2:3], s42, v19
	v_mov_b32_e32 v32, 0x7f800001
	s_and_saveexec_b64 s[22:23], s[2:3]
	s_cbranch_execz .LBB278_148
; %bb.147:                              ;   in Loop: Header=BB278_125 Depth=1
	v_and_b32_e32 v34, 7, v11
	v_ffbh_u32_e32 v32, v34
	v_min_u32_e32 v36, 32, v32
	v_subrev_u32_e32 v32, 28, v36
	v_lshlrev_b64 v[32:33], v32, v[11:12]
	v_lshrrev_b32_e32 v35, 3, v19
	v_sub_u32_e32 v33, 29, v36
	v_and_b32_e32 v32, 7, v32
	v_cmp_gt_u32_e64 s[2:3], 8, v19
	v_cndmask_b32_e64 v19, v35, v33, s[2:3]
	v_cndmask_b32_e64 v32, v34, v32, s[2:3]
	v_lshlrev_b32_e32 v11, 24, v11
	v_lshlrev_b32_e32 v32, 20, v32
	v_and_b32_e32 v11, 0x80000000, v11
	v_lshl_add_u32 v19, v19, 23, v28
	v_or3_b32 v32, v11, v19, v32
.LBB278_148:                            ;   in Loop: Header=BB278_125 Depth=1
	s_or_b64 exec, exec, s[22:23]
.LBB278_149:                            ;   in Loop: Header=BB278_125 Depth=1
	s_or_b64 exec, exec, s[20:21]
.LBB278_150:                            ;   in Loop: Header=BB278_125 Depth=1
	s_or_b64 exec, exec, s[4:5]
	v_mov_b32_e32 v11, v18
	v_cmp_ne_u16_sdwa s[2:3], v18, v12 src0_sel:BYTE_0 src1_sel:DWORD
	v_mov_b32_e32 v34, 0
	v_mov_b32_e32 v33, 0
	s_and_saveexec_b64 s[4:5], s[2:3]
	s_cbranch_execz .LBB278_156
; %bb.151:                              ;   in Loop: Header=BB278_125 Depth=1
	v_cmp_ne_u16_sdwa s[2:3], v18, s41 src0_sel:BYTE_0 src1_sel:DWORD
	v_bfrev_b32_e32 v33, 1
	s_and_saveexec_b64 s[20:21], s[2:3]
	s_cbranch_execz .LBB278_155
; %bb.152:                              ;   in Loop: Header=BB278_125 Depth=1
	v_and_b32_e32 v19, 0x7f, v18
	v_cmp_ne_u32_e64 s[2:3], s42, v19
	v_mov_b32_e32 v33, 0x7f800001
	s_and_saveexec_b64 s[22:23], s[2:3]
	s_cbranch_execz .LBB278_154
; %bb.153:                              ;   in Loop: Header=BB278_125 Depth=1
	v_and_b32_e32 v33, 7, v18
	v_ffbh_u32_e32 v33, v33
	v_min_u32_e32 v33, 32, v33
	v_lshrrev_b32_e32 v35, 3, v19
	v_subrev_u32_e32 v36, 28, v33
	v_sub_u32_e32 v33, 29, v33
	v_cmp_gt_u32_e64 s[2:3], 8, v19
	v_cndmask_b32_e64 v19, v35, v33, s[2:3]
	v_cndmask_b32_e64 v33, 0, v36, s[2:3]
	v_lshlrev_b64 v[35:36], v33, v[11:12]
	v_lshl_add_u32 v19, v19, 23, v28
	v_lshlrev_b32_e32 v33, 20, v35
	v_lshlrev_b32_e32 v35, 24, v11
	v_and_b32_e32 v33, 0x700000, v33
	v_and_b32_e32 v35, 0x80000000, v35
	v_or3_b32 v33, v35, v19, v33
.LBB278_154:                            ;   in Loop: Header=BB278_125 Depth=1
	s_or_b64 exec, exec, s[22:23]
.LBB278_155:                            ;   in Loop: Header=BB278_125 Depth=1
	s_or_b64 exec, exec, s[20:21]
.LBB278_156:                            ;   in Loop: Header=BB278_125 Depth=1
	s_or_b64 exec, exec, s[4:5]
	v_lshrrev_b16_e32 v19, 8, v11
	v_cmp_ne_u16_e64 s[2:3], 0, v19
	s_and_saveexec_b64 s[4:5], s[2:3]
	s_cbranch_execz .LBB278_162
; %bb.157:                              ;   in Loop: Header=BB278_125 Depth=1
	v_cmp_ne_u16_e64 s[2:3], s41, v19
	v_bfrev_b32_e32 v34, 1
	s_and_saveexec_b64 s[20:21], s[2:3]
	s_cbranch_execz .LBB278_161
; %bb.158:                              ;   in Loop: Header=BB278_125 Depth=1
	v_and_b32_e32 v35, 0x7f, v19
	v_cmp_ne_u32_e64 s[2:3], s42, v35
	v_mov_b32_e32 v34, 0x7f800001
	s_and_saveexec_b64 s[22:23], s[2:3]
	s_cbranch_execz .LBB278_160
; %bb.159:                              ;   in Loop: Header=BB278_125 Depth=1
	v_and_b32_e32 v34, 7, v19
	v_ffbh_u32_e32 v36, v34
	v_min_u32_e32 v39, 32, v36
	v_subrev_u32_e32 v36, 28, v39
	v_lshlrev_b64 v[36:37], v36, v[19:20]
	v_lshrrev_b32_e32 v38, 3, v35
	v_sub_u32_e32 v19, 29, v39
	v_and_b32_e32 v36, 7, v36
	v_cmp_gt_u32_e64 s[2:3], 8, v35
	v_cndmask_b32_e64 v19, v38, v19, s[2:3]
	v_cndmask_b32_e64 v34, v34, v36, s[2:3]
	v_lshlrev_b32_e32 v11, 16, v11
	v_lshlrev_b32_e32 v34, 20, v34
	v_and_b32_e32 v11, 0x80000000, v11
	v_lshl_add_u32 v19, v19, 23, v28
	v_or3_b32 v34, v11, v19, v34
.LBB278_160:                            ;   in Loop: Header=BB278_125 Depth=1
	s_or_b64 exec, exec, s[22:23]
.LBB278_161:                            ;   in Loop: Header=BB278_125 Depth=1
	s_or_b64 exec, exec, s[20:21]
.LBB278_162:                            ;   in Loop: Header=BB278_125 Depth=1
	s_or_b64 exec, exec, s[4:5]
	v_lshrrev_b32_e32 v11, 16, v18
	v_cmp_ne_u16_sdwa s[2:3], v11, v12 src0_sel:BYTE_0 src1_sel:DWORD
	v_mov_b32_e32 v19, 0
	v_mov_b32_e32 v35, 0
	s_and_saveexec_b64 s[4:5], s[2:3]
	s_cbranch_execz .LBB278_168
; %bb.163:                              ;   in Loop: Header=BB278_125 Depth=1
	v_cmp_ne_u16_sdwa s[2:3], v11, s41 src0_sel:BYTE_0 src1_sel:DWORD
	v_bfrev_b32_e32 v35, 1
	s_and_saveexec_b64 s[20:21], s[2:3]
	s_cbranch_execz .LBB278_167
; %bb.164:                              ;   in Loop: Header=BB278_125 Depth=1
	v_bfe_u32 v36, v18, 16, 7
	v_cmp_ne_u32_e64 s[2:3], s42, v36
	v_mov_b32_e32 v35, 0x7f800001
	s_and_saveexec_b64 s[22:23], s[2:3]
	s_cbranch_execz .LBB278_166
; %bb.165:                              ;   in Loop: Header=BB278_125 Depth=1
	v_and_b32_e32 v35, 7, v11
	v_ffbh_u32_e32 v37, v35
	v_min_u32_e32 v40, 32, v37
	v_subrev_u32_e32 v37, 28, v40
	v_lshlrev_b64 v[37:38], v37, v[11:12]
	v_lshrrev_b32_e32 v39, 3, v36
	v_sub_u32_e32 v38, 29, v40
	v_and_b32_e32 v37, 7, v37
	v_cmp_gt_u32_e64 s[2:3], 8, v36
	v_cndmask_b32_e64 v36, v39, v38, s[2:3]
	v_cndmask_b32_e64 v35, v35, v37, s[2:3]
	v_lshlrev_b32_e32 v11, 24, v11
	v_lshlrev_b32_e32 v35, 20, v35
	v_and_b32_e32 v11, 0x80000000, v11
	v_lshl_add_u32 v36, v36, 23, v28
	v_or3_b32 v35, v11, v36, v35
.LBB278_166:                            ;   in Loop: Header=BB278_125 Depth=1
	s_or_b64 exec, exec, s[22:23]
.LBB278_167:                            ;   in Loop: Header=BB278_125 Depth=1
	s_or_b64 exec, exec, s[20:21]
.LBB278_168:                            ;   in Loop: Header=BB278_125 Depth=1
	s_or_b64 exec, exec, s[4:5]
	v_cmp_lt_u64_e64 s[2:3], s[12:13], v[17:18]
	s_and_saveexec_b64 s[4:5], s[2:3]
	s_cbranch_execz .LBB278_174
; %bb.169:                              ;   in Loop: Header=BB278_125 Depth=1
	v_lshrrev_b32_e32 v11, 24, v18
	v_cmp_ne_u32_e64 s[2:3], s41, v11
	v_bfrev_b32_e32 v19, 1
	s_and_saveexec_b64 s[20:21], s[2:3]
	s_cbranch_execz .LBB278_173
; %bb.170:                              ;   in Loop: Header=BB278_125 Depth=1
	v_bfe_u32 v17, v18, 24, 7
	v_cmp_ne_u32_e64 s[2:3], s42, v17
	v_mov_b32_e32 v19, 0x7f800001
	s_and_saveexec_b64 s[22:23], s[2:3]
	s_cbranch_execz .LBB278_172
; %bb.171:                              ;   in Loop: Header=BB278_125 Depth=1
	v_and_b32_e32 v36, 7, v11
	v_ffbh_u32_e32 v18, v36
	v_min_u32_e32 v38, 32, v18
	v_subrev_u32_e32 v18, 28, v38
	v_lshlrev_b64 v[18:19], v18, v[11:12]
	v_lshrrev_b32_e32 v37, 3, v17
	v_sub_u32_e32 v19, 29, v38
	v_and_b32_e32 v18, 7, v18
	v_cmp_gt_u32_e64 s[2:3], 8, v17
	v_cndmask_b32_e64 v17, v37, v19, s[2:3]
	v_cndmask_b32_e64 v18, v36, v18, s[2:3]
	v_lshlrev_b32_e32 v11, 24, v11
	v_lshlrev_b32_e32 v18, 20, v18
	v_and_b32_e32 v11, 0x80000000, v11
	v_lshl_add_u32 v17, v17, 23, v28
	v_or3_b32 v19, v11, v17, v18
.LBB278_172:                            ;   in Loop: Header=BB278_125 Depth=1
	s_or_b64 exec, exec, s[22:23]
.LBB278_173:                            ;   in Loop: Header=BB278_125 Depth=1
	s_or_b64 exec, exec, s[20:21]
.LBB278_174:                            ;   in Loop: Header=BB278_125 Depth=1
	s_or_b64 exec, exec, s[4:5]
	s_waitcnt lgkmcnt(0)
	v_mul_f32_e32 v11, s45, v34
	v_bfe_u32 v17, v11, 16, 1
	v_add3_u32 v17, v17, v11, s43
	v_or_b32_e32 v18, 0x400000, v11
	v_cmp_u_f32_e64 s[4:5], v11, v11
	v_cndmask_b32_e64 v11, v17, v18, s[4:5]
	v_mul_f32_e32 v17, s45, v33
	v_bfe_u32 v18, v17, 16, 1
	v_add3_u32 v18, v18, v17, s43
	v_or_b32_e32 v33, 0x400000, v17
	v_cmp_u_f32_e64 s[4:5], v17, v17
	v_cndmask_b32_e64 v17, v18, v33, s[4:5]
	v_lshrrev_b32_e32 v33, 16, v17
	v_mul_f32_e32 v17, s45, v32
	v_bfe_u32 v18, v17, 16, 1
	v_add3_u32 v18, v18, v17, s43
	v_or_b32_e32 v32, 0x400000, v17
	v_cmp_u_f32_e64 s[4:5], v17, v17
	v_cndmask_b32_e64 v17, v18, v32, s[4:5]
	v_lshrrev_b32_e32 v32, 16, v17
	;; [unrolled: 7-line block ×6, first 2 shown]
	v_mul_f32_e32 v17, s45, v19
	v_bfe_u32 v18, v17, 16, 1
	v_add3_u32 v18, v18, v17, s43
	v_or_b32_e32 v19, 0x400000, v17
	v_cmp_u_f32_e64 s[4:5], v17, v17
	v_cndmask_b32_e64 v17, v18, v19, s[4:5]
	v_cmp_eq_u32_e64 s[2:3], s40, v21
	v_lshrrev_b32_e32 v11, 16, v11
	v_lshrrev_b32_e32 v29, 16, v17
	s_and_saveexec_b64 s[20:21], s[2:3]
	s_cbranch_execz .LBB278_176
; %bb.175:                              ;   in Loop: Header=BB278_125 Depth=1
	v_cmp_gt_i32_e64 s[4:5], s25, v22
	v_add_u32_e32 v17, 1, v22
	v_cndmask_b32_e64 v36, 0, v36, s[4:5]
	v_cmp_gt_i32_e64 s[4:5], s25, v17
	v_add_u32_e32 v17, 2, v22
	v_cndmask_b32_e64 v34, 0, v34, s[4:5]
	;; [unrolled: 3-line block ×7, first 2 shown]
	v_cmp_gt_i32_e64 s[4:5], s25, v17
	v_cndmask_b32_e64 v29, 0, v29, s[4:5]
.LBB278_176:                            ;   in Loop: Header=BB278_125 Depth=1
	s_or_b64 exec, exec, s[20:21]
	v_bfe_u32 v17, v5, 16, 1
	v_add3_u32 v17, v17, v5, s43
	v_or_b32_e32 v18, 0x400000, v5
	v_cmp_u_f32_e64 s[4:5], v5, v5
	v_cndmask_b32_e64 v5, v17, v18, s[4:5]
	v_bfe_u32 v17, v6, 16, 1
	v_add3_u32 v17, v17, v6, s43
	v_or_b32_e32 v18, 0x400000, v6
	v_cmp_u_f32_e64 s[4:5], v6, v6
	v_cndmask_b32_e64 v6, v17, v18, s[4:5]
	v_bfe_u32 v17, v7, 16, 1
	v_add3_u32 v17, v17, v7, s43
	v_or_b32_e32 v18, 0x400000, v7
	v_cmp_u_f32_e64 s[4:5], v7, v7
	v_cndmask_b32_e64 v7, v17, v18, s[4:5]
	v_bfe_u32 v17, v8, 16, 1
	v_add3_u32 v17, v17, v8, s43
	v_or_b32_e32 v18, 0x400000, v8
	v_cmp_u_f32_e64 s[4:5], v8, v8
	v_cndmask_b32_e64 v8, v17, v18, s[4:5]
	v_bfe_u32 v17, v1, 16, 1
	v_add3_u32 v17, v17, v1, s43
	v_or_b32_e32 v18, 0x400000, v1
	v_cmp_u_f32_e64 s[4:5], v1, v1
	v_bfe_u32 v1, v2, 16, 1
	v_cndmask_b32_e64 v17, v17, v18, s[4:5]
	v_add3_u32 v1, v1, v2, s43
	v_or_b32_e32 v18, 0x400000, v2
	v_cmp_u_f32_e64 s[4:5], v2, v2
	v_cndmask_b32_e64 v18, v1, v18, s[4:5]
	v_bfe_u32 v1, v3, 16, 1
	v_add3_u32 v1, v1, v3, s43
	v_or_b32_e32 v2, 0x400000, v3
	v_cmp_u_f32_e64 s[4:5], v3, v3
	v_cndmask_b32_e64 v19, v1, v2, s[4:5]
	v_bfe_u32 v1, v4, 16, 1
	v_add3_u32 v1, v1, v4, s43
	v_or_b32_e32 v2, 0x400000, v4
	v_cmp_u_f32_e64 s[4:5], v4, v4
	v_cndmask_b32_e64 v4, v1, v2, s[4:5]
	v_and_b32_e32 v1, 0xffff0000, v5
	v_lshlrev_b32_e32 v2, 16, v36
	v_mul_f32_e32 v1, v1, v2
	v_bfe_u32 v2, v1, 16, 1
	v_add3_u32 v2, v2, v1, s43
	v_or_b32_e32 v3, 0x400000, v1
	v_cmp_u_f32_e64 s[4:5], v1, v1
	v_cndmask_b32_e64 v1, v2, v3, s[4:5]
	v_and_b32_e32 v2, 0xffff0000, v6
	v_lshlrev_b32_e32 v3, 16, v34
	v_mul_f32_e32 v2, v2, v3
	;; [unrolled: 8-line block ×7, first 2 shown]
	v_bfe_u32 v33, v30, 16, 1
	v_add3_u32 v33, v33, v30, s43
	v_or_b32_e32 v34, 0x400000, v30
	v_cmp_u_f32_e64 s[4:5], v30, v30
	v_cndmask_b32_e64 v30, v33, v34, s[4:5]
	v_and_b32_e32 v33, 0xffff0000, v4
	v_lshlrev_b32_e32 v29, 16, v29
	v_and_b32_e32 v2, 0xffff0000, v2
	v_and_b32_e32 v1, 0xffff0000, v1
	v_mul_f32_e32 v29, v33, v29
	v_add_f32_e32 v1, v1, v2
	v_and_b32_e32 v2, 0xffff0000, v31
	v_and_b32_e32 v3, 0xffff0000, v3
	v_bfe_u32 v33, v29, 16, 1
	v_add_f32_e32 v2, v3, v2
	v_add3_u32 v33, v33, v29, s43
	v_or_b32_e32 v34, 0x400000, v29
	v_cmp_u_f32_e64 s[4:5], v29, v29
	v_add_f32_e32 v1, v2, v1
	v_and_b32_e32 v2, 0xffff0000, v11
	v_and_b32_e32 v3, 0xffff0000, v32
	v_cndmask_b32_e64 v29, v33, v34, s[4:5]
	v_add_f32_e32 v2, v3, v2
	v_add_f32_e32 v1, v2, v1
	v_and_b32_e32 v2, 0xffff0000, v29
	v_and_b32_e32 v3, 0xffff0000, v30
	v_add_f32_e32 v2, v3, v2
	v_add_f32_e32 v1, v2, v1
	;; [unrolled: 1-line block ×3, first 2 shown]
	s_and_saveexec_b64 s[20:21], vcc
	s_cbranch_execz .LBB278_123
; %bb.177:                              ;   in Loop: Header=BB278_125 Depth=1
	v_add_co_u32_e64 v1, s[4:5], v15, v25
	v_addc_co_u32_e64 v2, s[4:5], 0, v16, s[4:5]
	global_load_dwordx2 v[1:2], v[1:2], off
	v_mov_b32_e32 v16, 0
	v_mov_b32_e32 v15, 0
	s_waitcnt vmcnt(0)
	v_cmp_ne_u16_sdwa s[4:5], v1, v12 src0_sel:BYTE_0 src1_sel:DWORD
	s_and_saveexec_b64 s[22:23], s[4:5]
	s_cbranch_execz .LBB278_183
; %bb.178:                              ;   in Loop: Header=BB278_125 Depth=1
	v_cmp_ne_u16_sdwa s[4:5], v1, s41 src0_sel:BYTE_0 src1_sel:DWORD
	v_bfrev_b32_e32 v15, 1
	s_and_saveexec_b64 s[30:31], s[4:5]
	s_cbranch_execz .LBB278_182
; %bb.179:                              ;   in Loop: Header=BB278_125 Depth=1
	v_and_b32_e32 v3, 0x7f, v1
	v_cmp_ne_u32_e64 s[4:5], s42, v3
	v_mov_b32_e32 v15, 0x7f800001
	s_and_saveexec_b64 s[34:35], s[4:5]
	s_cbranch_execz .LBB278_181
; %bb.180:                              ;   in Loop: Header=BB278_125 Depth=1
	v_and_b32_e32 v11, 7, v1
	v_ffbh_u32_e32 v11, v11
	v_min_u32_e32 v11, 32, v11
	v_lshrrev_b32_e32 v15, 3, v3
	v_subrev_u32_e32 v29, 28, v11
	v_sub_u32_e32 v11, 29, v11
	v_cmp_gt_u32_e64 s[4:5], 8, v3
	v_cndmask_b32_e64 v3, v15, v11, s[4:5]
	v_cndmask_b32_e64 v11, 0, v29, s[4:5]
	v_lshlrev_b64 v[29:30], v11, v[1:2]
	v_lshlrev_b32_e32 v15, 24, v1
	v_lshlrev_b32_e32 v11, 20, v29
	v_and_b32_e32 v11, 0x700000, v11
	v_and_b32_e32 v15, 0x80000000, v15
	v_lshl_add_u32 v3, v3, 23, v28
	v_or3_b32 v15, v15, v3, v11
.LBB278_181:                            ;   in Loop: Header=BB278_125 Depth=1
	s_or_b64 exec, exec, s[34:35]
.LBB278_182:                            ;   in Loop: Header=BB278_125 Depth=1
	s_or_b64 exec, exec, s[30:31]
.LBB278_183:                            ;   in Loop: Header=BB278_125 Depth=1
	s_or_b64 exec, exec, s[22:23]
	v_lshrrev_b16_e32 v3, 8, v1
	v_cmp_ne_u16_e64 s[4:5], 0, v3
	s_and_saveexec_b64 s[22:23], s[4:5]
	s_cbranch_execz .LBB278_189
; %bb.184:                              ;   in Loop: Header=BB278_125 Depth=1
	v_cmp_ne_u16_e64 s[4:5], s41, v3
	v_bfrev_b32_e32 v16, 1
	s_and_saveexec_b64 s[30:31], s[4:5]
	s_cbranch_execz .LBB278_188
; %bb.185:                              ;   in Loop: Header=BB278_125 Depth=1
	v_and_b32_e32 v11, 0x7f, v3
	v_cmp_ne_u32_e64 s[4:5], s42, v11
	v_mov_b32_e32 v16, 0x7f800001
	s_and_saveexec_b64 s[34:35], s[4:5]
	s_cbranch_execz .LBB278_187
; %bb.186:                              ;   in Loop: Header=BB278_125 Depth=1
	v_and_b32_e32 v16, 7, v3
	v_ffbh_u32_e32 v29, v16
	v_min_u32_e32 v32, 32, v29
	v_subrev_u32_e32 v29, 28, v32
	v_lshlrev_b64 v[29:30], v29, v[3:4]
	v_lshrrev_b32_e32 v31, 3, v11
	v_sub_u32_e32 v3, 29, v32
	v_and_b32_e32 v29, 7, v29
	v_cmp_gt_u32_e64 s[4:5], 8, v11
	v_cndmask_b32_e64 v3, v31, v3, s[4:5]
	v_cndmask_b32_e64 v11, v16, v29, s[4:5]
	v_lshlrev_b32_e32 v16, 16, v1
	v_lshlrev_b32_e32 v11, 20, v11
	v_and_b32_e32 v16, 0x80000000, v16
	v_lshl_add_u32 v3, v3, 23, v28
	v_or3_b32 v16, v16, v3, v11
.LBB278_187:                            ;   in Loop: Header=BB278_125 Depth=1
	s_or_b64 exec, exec, s[34:35]
.LBB278_188:                            ;   in Loop: Header=BB278_125 Depth=1
	s_or_b64 exec, exec, s[30:31]
.LBB278_189:                            ;   in Loop: Header=BB278_125 Depth=1
	s_or_b64 exec, exec, s[22:23]
	v_lshrrev_b32_e32 v3, 16, v1
	v_cmp_ne_u16_sdwa s[4:5], v3, v12 src0_sel:BYTE_0 src1_sel:DWORD
	v_mov_b32_e32 v30, 0
	v_mov_b32_e32 v29, 0
	s_and_saveexec_b64 s[22:23], s[4:5]
	s_cbranch_execz .LBB278_195
; %bb.190:                              ;   in Loop: Header=BB278_125 Depth=1
	v_cmp_ne_u16_sdwa s[4:5], v3, s41 src0_sel:BYTE_0 src1_sel:DWORD
	v_bfrev_b32_e32 v29, 1
	s_and_saveexec_b64 s[30:31], s[4:5]
	s_cbranch_execz .LBB278_194
; %bb.191:                              ;   in Loop: Header=BB278_125 Depth=1
	v_bfe_u32 v11, v1, 16, 7
	v_cmp_ne_u32_e64 s[4:5], s42, v11
	v_mov_b32_e32 v29, 0x7f800001
	s_and_saveexec_b64 s[34:35], s[4:5]
	s_cbranch_execz .LBB278_193
; %bb.192:                              ;   in Loop: Header=BB278_125 Depth=1
	v_and_b32_e32 v29, 7, v3
	v_ffbh_u32_e32 v31, v29
	v_min_u32_e32 v34, 32, v31
	v_subrev_u32_e32 v31, 28, v34
	v_lshlrev_b64 v[31:32], v31, v[3:4]
	v_lshrrev_b32_e32 v33, 3, v11
	v_sub_u32_e32 v32, 29, v34
	v_and_b32_e32 v31, 7, v31
	v_cmp_gt_u32_e64 s[4:5], 8, v11
	v_cndmask_b32_e64 v11, v33, v32, s[4:5]
	v_cndmask_b32_e64 v29, v29, v31, s[4:5]
	v_lshlrev_b32_e32 v3, 24, v3
	v_lshlrev_b32_e32 v29, 20, v29
	v_and_b32_e32 v3, 0x80000000, v3
	v_lshl_add_u32 v11, v11, 23, v28
	v_or3_b32 v29, v3, v11, v29
.LBB278_193:                            ;   in Loop: Header=BB278_125 Depth=1
	s_or_b64 exec, exec, s[34:35]
.LBB278_194:                            ;   in Loop: Header=BB278_125 Depth=1
	s_or_b64 exec, exec, s[30:31]
.LBB278_195:                            ;   in Loop: Header=BB278_125 Depth=1
	s_or_b64 exec, exec, s[22:23]
	v_cmp_lt_u32_e64 s[4:5], s13, v1
	s_and_saveexec_b64 s[22:23], s[4:5]
	s_cbranch_execz .LBB278_201
; %bb.196:                              ;   in Loop: Header=BB278_125 Depth=1
	v_lshrrev_b32_e32 v3, 24, v1
	v_cmp_ne_u32_e64 s[4:5], s41, v3
	v_bfrev_b32_e32 v30, 1
	s_and_saveexec_b64 s[30:31], s[4:5]
	s_cbranch_execz .LBB278_200
; %bb.197:                              ;   in Loop: Header=BB278_125 Depth=1
	v_bfe_u32 v11, v1, 24, 7
	v_cmp_ne_u32_e64 s[4:5], s42, v11
	v_mov_b32_e32 v30, 0x7f800001
	s_and_saveexec_b64 s[34:35], s[4:5]
	s_cbranch_execz .LBB278_199
; %bb.198:                              ;   in Loop: Header=BB278_125 Depth=1
	v_and_b32_e32 v32, 7, v3
	v_ffbh_u32_e32 v30, v32
	v_min_u32_e32 v34, 32, v30
	v_subrev_u32_e32 v30, 28, v34
	v_lshlrev_b64 v[30:31], v30, v[3:4]
	v_lshrrev_b32_e32 v33, 3, v11
	v_sub_u32_e32 v31, 29, v34
	v_and_b32_e32 v30, 7, v30
	v_cmp_gt_u32_e64 s[4:5], 8, v11
	v_cndmask_b32_e64 v11, v33, v31, s[4:5]
	v_cndmask_b32_e64 v30, v32, v30, s[4:5]
	v_lshlrev_b32_e32 v3, 24, v3
	v_lshlrev_b32_e32 v30, 20, v30
	v_and_b32_e32 v3, 0x80000000, v3
	v_lshl_add_u32 v11, v11, 23, v28
	v_or3_b32 v30, v3, v11, v30
.LBB278_199:                            ;   in Loop: Header=BB278_125 Depth=1
	s_or_b64 exec, exec, s[34:35]
.LBB278_200:                            ;   in Loop: Header=BB278_125 Depth=1
	s_or_b64 exec, exec, s[30:31]
.LBB278_201:                            ;   in Loop: Header=BB278_125 Depth=1
	s_or_b64 exec, exec, s[22:23]
	v_mov_b32_e32 v11, v2
	v_cmp_ne_u16_sdwa s[4:5], v2, v12 src0_sel:BYTE_0 src1_sel:DWORD
	v_mov_b32_e32 v32, 0
	v_mov_b32_e32 v31, 0
	s_and_saveexec_b64 s[22:23], s[4:5]
	s_cbranch_execz .LBB278_207
; %bb.202:                              ;   in Loop: Header=BB278_125 Depth=1
	v_cmp_ne_u16_sdwa s[4:5], v2, s41 src0_sel:BYTE_0 src1_sel:DWORD
	v_bfrev_b32_e32 v31, 1
	s_and_saveexec_b64 s[30:31], s[4:5]
	s_cbranch_execz .LBB278_206
; %bb.203:                              ;   in Loop: Header=BB278_125 Depth=1
	v_and_b32_e32 v3, 0x7f, v2
	v_cmp_ne_u32_e64 s[4:5], s42, v3
	v_mov_b32_e32 v31, 0x7f800001
	s_and_saveexec_b64 s[34:35], s[4:5]
	s_cbranch_execz .LBB278_205
; %bb.204:                              ;   in Loop: Header=BB278_125 Depth=1
	v_and_b32_e32 v31, 7, v2
	v_ffbh_u32_e32 v31, v31
	v_min_u32_e32 v31, 32, v31
	v_lshrrev_b32_e32 v33, 3, v3
	v_subrev_u32_e32 v34, 28, v31
	v_sub_u32_e32 v31, 29, v31
	v_cmp_gt_u32_e64 s[4:5], 8, v3
	v_cndmask_b32_e64 v3, v33, v31, s[4:5]
	v_cndmask_b32_e64 v31, 0, v34, s[4:5]
	v_lshlrev_b64 v[33:34], v31, v[11:12]
	v_lshl_add_u32 v3, v3, 23, v28
	v_lshlrev_b32_e32 v31, 20, v33
	v_lshlrev_b32_e32 v33, 24, v11
	v_and_b32_e32 v31, 0x700000, v31
	v_and_b32_e32 v33, 0x80000000, v33
	v_or3_b32 v31, v33, v3, v31
.LBB278_205:                            ;   in Loop: Header=BB278_125 Depth=1
	s_or_b64 exec, exec, s[34:35]
.LBB278_206:                            ;   in Loop: Header=BB278_125 Depth=1
	s_or_b64 exec, exec, s[30:31]
.LBB278_207:                            ;   in Loop: Header=BB278_125 Depth=1
	s_or_b64 exec, exec, s[22:23]
	v_lshrrev_b16_e32 v3, 8, v11
	v_cmp_ne_u16_e64 s[4:5], 0, v3
	s_and_saveexec_b64 s[22:23], s[4:5]
	s_cbranch_execz .LBB278_213
; %bb.208:                              ;   in Loop: Header=BB278_125 Depth=1
	v_cmp_ne_u16_e64 s[4:5], s41, v3
	v_bfrev_b32_e32 v32, 1
	s_and_saveexec_b64 s[30:31], s[4:5]
	s_cbranch_execz .LBB278_212
; %bb.209:                              ;   in Loop: Header=BB278_125 Depth=1
	v_and_b32_e32 v33, 0x7f, v3
	v_cmp_ne_u32_e64 s[4:5], s42, v33
	v_mov_b32_e32 v32, 0x7f800001
	s_and_saveexec_b64 s[34:35], s[4:5]
	s_cbranch_execz .LBB278_211
; %bb.210:                              ;   in Loop: Header=BB278_125 Depth=1
	v_and_b32_e32 v32, 7, v3
	v_ffbh_u32_e32 v34, v32
	v_min_u32_e32 v37, 32, v34
	v_subrev_u32_e32 v34, 28, v37
	v_lshlrev_b64 v[34:35], v34, v[3:4]
	v_lshrrev_b32_e32 v36, 3, v33
	v_sub_u32_e32 v3, 29, v37
	v_and_b32_e32 v34, 7, v34
	v_cmp_gt_u32_e64 s[4:5], 8, v33
	v_cndmask_b32_e64 v3, v36, v3, s[4:5]
	v_cndmask_b32_e64 v32, v32, v34, s[4:5]
	v_lshlrev_b32_e32 v11, 16, v11
	v_lshlrev_b32_e32 v32, 20, v32
	v_and_b32_e32 v11, 0x80000000, v11
	v_lshl_add_u32 v3, v3, 23, v28
	v_or3_b32 v32, v11, v3, v32
.LBB278_211:                            ;   in Loop: Header=BB278_125 Depth=1
	s_or_b64 exec, exec, s[34:35]
.LBB278_212:                            ;   in Loop: Header=BB278_125 Depth=1
	s_or_b64 exec, exec, s[30:31]
.LBB278_213:                            ;   in Loop: Header=BB278_125 Depth=1
	s_or_b64 exec, exec, s[22:23]
	v_lshrrev_b32_e32 v3, 16, v2
	v_cmp_ne_u16_sdwa s[4:5], v3, v12 src0_sel:BYTE_0 src1_sel:DWORD
	v_mov_b32_e32 v11, 0
	v_mov_b32_e32 v33, 0
	s_and_saveexec_b64 s[22:23], s[4:5]
	s_cbranch_execz .LBB278_219
; %bb.214:                              ;   in Loop: Header=BB278_125 Depth=1
	v_cmp_ne_u16_sdwa s[4:5], v3, s41 src0_sel:BYTE_0 src1_sel:DWORD
	v_bfrev_b32_e32 v33, 1
	s_and_saveexec_b64 s[30:31], s[4:5]
	s_cbranch_execz .LBB278_218
; %bb.215:                              ;   in Loop: Header=BB278_125 Depth=1
	v_bfe_u32 v34, v2, 16, 7
	v_cmp_ne_u32_e64 s[4:5], s42, v34
	v_mov_b32_e32 v33, 0x7f800001
	s_and_saveexec_b64 s[34:35], s[4:5]
	s_cbranch_execz .LBB278_217
; %bb.216:                              ;   in Loop: Header=BB278_125 Depth=1
	v_and_b32_e32 v33, 7, v3
	v_ffbh_u32_e32 v35, v33
	v_min_u32_e32 v38, 32, v35
	v_subrev_u32_e32 v35, 28, v38
	v_lshlrev_b64 v[35:36], v35, v[3:4]
	v_lshrrev_b32_e32 v37, 3, v34
	v_sub_u32_e32 v36, 29, v38
	v_and_b32_e32 v35, 7, v35
	v_cmp_gt_u32_e64 s[4:5], 8, v34
	v_cndmask_b32_e64 v34, v37, v36, s[4:5]
	v_cndmask_b32_e64 v33, v33, v35, s[4:5]
	v_lshlrev_b32_e32 v3, 24, v3
	v_lshlrev_b32_e32 v33, 20, v33
	v_and_b32_e32 v3, 0x80000000, v3
	v_lshl_add_u32 v34, v34, 23, v28
	v_or3_b32 v33, v3, v34, v33
.LBB278_217:                            ;   in Loop: Header=BB278_125 Depth=1
	s_or_b64 exec, exec, s[34:35]
.LBB278_218:                            ;   in Loop: Header=BB278_125 Depth=1
	s_or_b64 exec, exec, s[30:31]
.LBB278_219:                            ;   in Loop: Header=BB278_125 Depth=1
	s_or_b64 exec, exec, s[22:23]
	v_cmp_lt_u64_e64 s[4:5], s[12:13], v[1:2]
	s_and_saveexec_b64 s[22:23], s[4:5]
	s_cbranch_execz .LBB278_225
; %bb.220:                              ;   in Loop: Header=BB278_125 Depth=1
	v_lshrrev_b32_e32 v1, 24, v2
	v_cmp_ne_u32_e64 s[4:5], s41, v1
	v_bfrev_b32_e32 v11, 1
	s_and_saveexec_b64 s[30:31], s[4:5]
	s_cbranch_execz .LBB278_224
; %bb.221:                              ;   in Loop: Header=BB278_125 Depth=1
	v_bfe_u32 v2, v2, 24, 7
	v_cmp_ne_u32_e64 s[4:5], s42, v2
	v_mov_b32_e32 v11, 0x7f800001
	s_and_saveexec_b64 s[34:35], s[4:5]
	s_cbranch_execz .LBB278_223
; %bb.222:                              ;   in Loop: Header=BB278_125 Depth=1
	v_and_b32_e32 v3, 7, v1
	v_ffbh_u32_e32 v34, v3
	v_min_u32_e32 v36, 32, v34
	v_subrev_u32_e32 v34, 28, v36
	v_lshlrev_b64 v[34:35], v34, v[1:2]
	v_lshrrev_b32_e32 v11, 3, v2
	v_sub_u32_e32 v35, 29, v36
	v_and_b32_e32 v34, 7, v34
	v_cmp_gt_u32_e64 s[4:5], 8, v2
	v_cndmask_b32_e64 v2, v11, v35, s[4:5]
	v_cndmask_b32_e64 v3, v3, v34, s[4:5]
	v_lshlrev_b32_e32 v1, 24, v1
	v_lshlrev_b32_e32 v3, 20, v3
	v_and_b32_e32 v1, 0x80000000, v1
	v_lshl_add_u32 v2, v2, 23, v28
	v_or3_b32 v11, v1, v2, v3
.LBB278_223:                            ;   in Loop: Header=BB278_125 Depth=1
	s_or_b64 exec, exec, s[34:35]
.LBB278_224:                            ;   in Loop: Header=BB278_125 Depth=1
	s_or_b64 exec, exec, s[30:31]
.LBB278_225:                            ;   in Loop: Header=BB278_125 Depth=1
	s_or_b64 exec, exec, s[22:23]
	v_mul_f32_e32 v1, s45, v32
	v_bfe_u32 v2, v1, 16, 1
	v_add3_u32 v2, v2, v1, s43
	v_or_b32_e32 v3, 0x400000, v1
	v_cmp_u_f32_e64 s[4:5], v1, v1
	v_cndmask_b32_e64 v1, v2, v3, s[4:5]
	v_mul_f32_e32 v2, s45, v31
	v_bfe_u32 v3, v2, 16, 1
	v_add3_u32 v3, v3, v2, s43
	v_or_b32_e32 v31, 0x400000, v2
	v_cmp_u_f32_e64 s[4:5], v2, v2
	v_cndmask_b32_e64 v2, v3, v31, s[4:5]
	v_mul_f32_e32 v3, s45, v30
	v_bfe_u32 v30, v3, 16, 1
	v_add3_u32 v30, v30, v3, s43
	v_or_b32_e32 v31, 0x400000, v3
	v_cmp_u_f32_e64 s[4:5], v3, v3
	v_mul_f32_e32 v29, s45, v29
	v_cndmask_b32_e64 v3, v30, v31, s[4:5]
	v_bfe_u32 v30, v29, 16, 1
	v_add3_u32 v30, v30, v29, s43
	v_or_b32_e32 v31, 0x400000, v29
	v_cmp_u_f32_e64 s[4:5], v29, v29
	v_mul_f32_e32 v16, s45, v16
	v_cndmask_b32_e64 v29, v30, v31, s[4:5]
	;; [unrolled: 6-line block ×3, first 2 shown]
	v_bfe_u32 v30, v15, 16, 1
	v_add3_u32 v30, v30, v15, s43
	v_or_b32_e32 v31, 0x400000, v15
	v_cmp_u_f32_e64 s[4:5], v15, v15
	v_cndmask_b32_e64 v15, v30, v31, s[4:5]
	v_lshrrev_b32_e32 v30, 16, v15
	v_mul_f32_e32 v15, s45, v33
	v_bfe_u32 v31, v15, 16, 1
	v_add3_u32 v31, v31, v15, s43
	v_or_b32_e32 v32, 0x400000, v15
	v_cmp_u_f32_e64 s[4:5], v15, v15
	v_mul_f32_e32 v11, s45, v11
	v_cndmask_b32_e64 v15, v31, v32, s[4:5]
	v_bfe_u32 v31, v11, 16, 1
	v_add3_u32 v31, v31, v11, s43
	v_or_b32_e32 v32, 0x400000, v11
	v_cmp_u_f32_e64 s[4:5], v11, v11
	v_cndmask_b32_e64 v11, v31, v32, s[4:5]
	v_lshrrev_b32_e32 v1, 16, v1
	v_lshrrev_b32_e32 v2, 16, v2
	;; [unrolled: 1-line block ×7, first 2 shown]
	s_and_saveexec_b64 s[4:5], s[2:3]
	s_cbranch_execz .LBB278_122
; %bb.226:                              ;   in Loop: Header=BB278_125 Depth=1
	v_cmp_gt_i32_e64 s[2:3], s25, v22
	v_add_u32_e32 v31, 1, v22
	v_cndmask_b32_e64 v30, 0, v30, s[2:3]
	v_cmp_gt_i32_e64 s[2:3], s25, v31
	v_add_u32_e32 v31, 2, v22
	v_cndmask_b32_e64 v16, 0, v16, s[2:3]
	v_cmp_gt_i32_e64 s[2:3], s25, v31
	v_add_u32_e32 v31, 3, v22
	v_cndmask_b32_e64 v29, 0, v29, s[2:3]
	v_cmp_gt_i32_e64 s[2:3], s25, v31
	v_add_u32_e32 v31, 4, v22
	v_cndmask_b32_e64 v3, 0, v3, s[2:3]
	v_cmp_gt_i32_e64 s[2:3], s25, v31
	v_add_u32_e32 v31, 5, v22
	v_cndmask_b32_e64 v2, 0, v2, s[2:3]
	v_cmp_gt_i32_e64 s[2:3], s25, v31
	v_add_u32_e32 v31, 6, v22
	v_cndmask_b32_e64 v1, 0, v1, s[2:3]
	v_cmp_gt_i32_e64 s[2:3], s25, v31
	v_add_u32_e32 v31, 7, v22
	v_cndmask_b32_e64 v15, 0, v15, s[2:3]
	v_cmp_gt_i32_e64 s[2:3], s25, v31
	v_cndmask_b32_e64 v11, 0, v11, s[2:3]
	s_branch .LBB278_122
.LBB278_227:
	s_or_b64 exec, exec, s[16:17]
.LBB278_228:
	s_or_b64 exec, exec, s[6:7]
	v_and_b32_e32 v1, 0x3c0, v0
	v_cmp_eq_u32_e32 vcc, 64, v1
	s_barrier
	s_and_saveexec_b64 s[2:3], vcc
	s_cbranch_execz .LBB278_231
; %bb.229:
	v_mov_b32_e32 v1, 0xf0
	v_lshl_add_u32 v2, v23, 2, v1
	ds_write_b32 v2, v9
	s_and_b64 exec, exec, s[0:1]
; %bb.230:
	v_lshl_add_u32 v1, v0, 2, v1
	ds_write_b32 v1, v10
.LBB278_231:
	s_or_b64 exec, exec, s[2:3]
	v_cmp_gt_u32_e32 vcc, 64, v0
	v_or_b32_e32 v1, 64, v0
	s_waitcnt lgkmcnt(0)
	s_barrier
	s_and_saveexec_b64 s[2:3], vcc
	s_cbranch_execz .LBB278_235
; %bb.232:
	v_mov_b32_e32 v2, 0xf0
	v_lshl_add_u32 v0, v0, 2, v2
	ds_read_b32 v2, v0
	s_movk_i32 s0, 0x70
	v_cmp_gt_u32_e64 s[0:1], s0, v1
	s_waitcnt lgkmcnt(0)
	v_add_f32_e32 v9, v9, v2
	s_and_saveexec_b64 s[4:5], s[0:1]
	s_cbranch_execz .LBB278_234
; %bb.233:
	ds_read_b32 v0, v0 offset:256
	s_waitcnt lgkmcnt(0)
	v_add_f32_e32 v10, v10, v0
.LBB278_234:
	s_or_b64 exec, exec, s[4:5]
.LBB278_235:
	s_or_b64 exec, exec, s[2:3]
	s_barrier
	s_and_saveexec_b64 s[0:1], vcc
	s_cbranch_execz .LBB278_238
; %bb.236:
	s_mul_i32 s0, s24, s27
	s_mul_i32 s0, s0, s9
	s_mulk_i32 s0, 0x70
	s_ashr_i32 s1, s0, 31
	s_lshl_b64 s[0:1], s[0:1], 1
	s_add_u32 s2, s28, s0
	s_mul_i32 s0, s27, s26
	s_addc_u32 s4, s29, s1
	s_ashr_i32 s1, s0, 31
	s_lshl_b64 s[0:1], s[0:1], 1
	s_add_u32 s2, s2, s0
	s_mul_i32 s0, s8, 0x70
	s_addc_u32 s4, s4, s1
	s_ashr_i32 s1, s0, 31
	s_lshl_b64 s[0:1], s[0:1], 1
	s_add_u32 s0, s2, s0
	v_bfe_u32 v0, v9, 16, 1
	s_movk_i32 s2, 0x7fff
	s_movk_i32 s3, 0x70
	v_add3_u32 v0, v0, v9, s2
	v_or_b32_e32 v2, 0x400000, v9
	v_cmp_u_f32_e32 vcc, v9, v9
	s_addc_u32 s1, s4, s1
	v_cndmask_b32_e32 v0, v0, v2, vcc
	v_cmp_gt_u32_e32 vcc, s3, v1
	global_store_short_d16_hi v20, v0, s[0:1]
	s_and_b64 exec, exec, vcc
	s_cbranch_execz .LBB278_238
; %bb.237:
	v_mov_b32_e32 v1, s1
	v_add_co_u32_e32 v0, vcc, s0, v20
	v_addc_co_u32_e32 v1, vcc, 0, v1, vcc
	v_bfe_u32 v2, v10, 16, 1
	v_add3_u32 v2, v2, v10, s2
	v_or_b32_e32 v3, 0x400000, v10
	v_cmp_u_f32_e32 vcc, v10, v10
	v_cndmask_b32_e32 v2, v2, v3, vcc
	global_store_short_d16_hi v[0:1], v2, off offset:128
.LBB278_238:
	s_endpgm
	.section	.rodata,"a",@progbits
	.p2align	6, 0x0
	.amdhsa_kernel _ZN4vllm25paged_attention_v1_kernelI14__hip_bfloat16hLi112ELi8ELi128ELNS_18Fp8KVCacheDataTypeE1ELb1EEEvPT_PKS3_PKT0_S9_ifPKiSB_iPKfiiiSD_SD_iiiii
		.amdhsa_group_segment_fixed_size 240
		.amdhsa_private_segment_fixed_size 0
		.amdhsa_kernarg_size 384
		.amdhsa_user_sgpr_count 6
		.amdhsa_user_sgpr_private_segment_buffer 1
		.amdhsa_user_sgpr_dispatch_ptr 0
		.amdhsa_user_sgpr_queue_ptr 0
		.amdhsa_user_sgpr_kernarg_segment_ptr 1
		.amdhsa_user_sgpr_dispatch_id 0
		.amdhsa_user_sgpr_flat_scratch_init 0
		.amdhsa_user_sgpr_private_segment_size 0
		.amdhsa_uses_dynamic_stack 0
		.amdhsa_system_sgpr_private_segment_wavefront_offset 0
		.amdhsa_system_sgpr_workgroup_id_x 1
		.amdhsa_system_sgpr_workgroup_id_y 1
		.amdhsa_system_sgpr_workgroup_id_z 1
		.amdhsa_system_sgpr_workgroup_info 0
		.amdhsa_system_vgpr_workitem_id 0
		.amdhsa_next_free_vgpr 51
		.amdhsa_next_free_sgpr 58
		.amdhsa_reserve_vcc 1
		.amdhsa_reserve_flat_scratch 0
		.amdhsa_float_round_mode_32 0
		.amdhsa_float_round_mode_16_64 0
		.amdhsa_float_denorm_mode_32 3
		.amdhsa_float_denorm_mode_16_64 3
		.amdhsa_dx10_clamp 1
		.amdhsa_ieee_mode 1
		.amdhsa_fp16_overflow 0
		.amdhsa_exception_fp_ieee_invalid_op 0
		.amdhsa_exception_fp_denorm_src 0
		.amdhsa_exception_fp_ieee_div_zero 0
		.amdhsa_exception_fp_ieee_overflow 0
		.amdhsa_exception_fp_ieee_underflow 0
		.amdhsa_exception_fp_ieee_inexact 0
		.amdhsa_exception_int_div_zero 0
	.end_amdhsa_kernel
	.section	.text._ZN4vllm25paged_attention_v1_kernelI14__hip_bfloat16hLi112ELi8ELi128ELNS_18Fp8KVCacheDataTypeE1ELb1EEEvPT_PKS3_PKT0_S9_ifPKiSB_iPKfiiiSD_SD_iiiii,"axG",@progbits,_ZN4vllm25paged_attention_v1_kernelI14__hip_bfloat16hLi112ELi8ELi128ELNS_18Fp8KVCacheDataTypeE1ELb1EEEvPT_PKS3_PKT0_S9_ifPKiSB_iPKfiiiSD_SD_iiiii,comdat
.Lfunc_end278:
	.size	_ZN4vllm25paged_attention_v1_kernelI14__hip_bfloat16hLi112ELi8ELi128ELNS_18Fp8KVCacheDataTypeE1ELb1EEEvPT_PKS3_PKT0_S9_ifPKiSB_iPKfiiiSD_SD_iiiii, .Lfunc_end278-_ZN4vllm25paged_attention_v1_kernelI14__hip_bfloat16hLi112ELi8ELi128ELNS_18Fp8KVCacheDataTypeE1ELb1EEEvPT_PKS3_PKT0_S9_ifPKiSB_iPKfiiiSD_SD_iiiii
                                        ; -- End function
	.set _ZN4vllm25paged_attention_v1_kernelI14__hip_bfloat16hLi112ELi8ELi128ELNS_18Fp8KVCacheDataTypeE1ELb1EEEvPT_PKS3_PKT0_S9_ifPKiSB_iPKfiiiSD_SD_iiiii.num_vgpr, 51
	.set _ZN4vllm25paged_attention_v1_kernelI14__hip_bfloat16hLi112ELi8ELi128ELNS_18Fp8KVCacheDataTypeE1ELb1EEEvPT_PKS3_PKT0_S9_ifPKiSB_iPKfiiiSD_SD_iiiii.num_agpr, 0
	.set _ZN4vllm25paged_attention_v1_kernelI14__hip_bfloat16hLi112ELi8ELi128ELNS_18Fp8KVCacheDataTypeE1ELb1EEEvPT_PKS3_PKT0_S9_ifPKiSB_iPKfiiiSD_SD_iiiii.numbered_sgpr, 58
	.set _ZN4vllm25paged_attention_v1_kernelI14__hip_bfloat16hLi112ELi8ELi128ELNS_18Fp8KVCacheDataTypeE1ELb1EEEvPT_PKS3_PKT0_S9_ifPKiSB_iPKfiiiSD_SD_iiiii.num_named_barrier, 0
	.set _ZN4vllm25paged_attention_v1_kernelI14__hip_bfloat16hLi112ELi8ELi128ELNS_18Fp8KVCacheDataTypeE1ELb1EEEvPT_PKS3_PKT0_S9_ifPKiSB_iPKfiiiSD_SD_iiiii.private_seg_size, 0
	.set _ZN4vllm25paged_attention_v1_kernelI14__hip_bfloat16hLi112ELi8ELi128ELNS_18Fp8KVCacheDataTypeE1ELb1EEEvPT_PKS3_PKT0_S9_ifPKiSB_iPKfiiiSD_SD_iiiii.uses_vcc, 1
	.set _ZN4vllm25paged_attention_v1_kernelI14__hip_bfloat16hLi112ELi8ELi128ELNS_18Fp8KVCacheDataTypeE1ELb1EEEvPT_PKS3_PKT0_S9_ifPKiSB_iPKfiiiSD_SD_iiiii.uses_flat_scratch, 0
	.set _ZN4vllm25paged_attention_v1_kernelI14__hip_bfloat16hLi112ELi8ELi128ELNS_18Fp8KVCacheDataTypeE1ELb1EEEvPT_PKS3_PKT0_S9_ifPKiSB_iPKfiiiSD_SD_iiiii.has_dyn_sized_stack, 0
	.set _ZN4vllm25paged_attention_v1_kernelI14__hip_bfloat16hLi112ELi8ELi128ELNS_18Fp8KVCacheDataTypeE1ELb1EEEvPT_PKS3_PKT0_S9_ifPKiSB_iPKfiiiSD_SD_iiiii.has_recursion, 0
	.set _ZN4vllm25paged_attention_v1_kernelI14__hip_bfloat16hLi112ELi8ELi128ELNS_18Fp8KVCacheDataTypeE1ELb1EEEvPT_PKS3_PKT0_S9_ifPKiSB_iPKfiiiSD_SD_iiiii.has_indirect_call, 0
	.section	.AMDGPU.csdata,"",@progbits
; Kernel info:
; codeLenInByte = 12448
; TotalNumSgprs: 62
; NumVgprs: 51
; ScratchSize: 0
; MemoryBound: 0
; FloatMode: 240
; IeeeMode: 1
; LDSByteSize: 240 bytes/workgroup (compile time only)
; SGPRBlocks: 7
; VGPRBlocks: 12
; NumSGPRsForWavesPerEU: 62
; NumVGPRsForWavesPerEU: 51
; Occupancy: 4
; WaveLimiterHint : 1
; COMPUTE_PGM_RSRC2:SCRATCH_EN: 0
; COMPUTE_PGM_RSRC2:USER_SGPR: 6
; COMPUTE_PGM_RSRC2:TRAP_HANDLER: 0
; COMPUTE_PGM_RSRC2:TGID_X_EN: 1
; COMPUTE_PGM_RSRC2:TGID_Y_EN: 1
; COMPUTE_PGM_RSRC2:TGID_Z_EN: 1
; COMPUTE_PGM_RSRC2:TIDIG_COMP_CNT: 0
	.section	.text._ZN4vllm25paged_attention_v1_kernelI14__hip_bfloat16hLi120ELi8ELi128ELNS_18Fp8KVCacheDataTypeE1ELb1EEEvPT_PKS3_PKT0_S9_ifPKiSB_iPKfiiiSD_SD_iiiii,"axG",@progbits,_ZN4vllm25paged_attention_v1_kernelI14__hip_bfloat16hLi120ELi8ELi128ELNS_18Fp8KVCacheDataTypeE1ELb1EEEvPT_PKS3_PKT0_S9_ifPKiSB_iPKfiiiSD_SD_iiiii,comdat
	.protected	_ZN4vllm25paged_attention_v1_kernelI14__hip_bfloat16hLi120ELi8ELi128ELNS_18Fp8KVCacheDataTypeE1ELb1EEEvPT_PKS3_PKT0_S9_ifPKiSB_iPKfiiiSD_SD_iiiii ; -- Begin function _ZN4vllm25paged_attention_v1_kernelI14__hip_bfloat16hLi120ELi8ELi128ELNS_18Fp8KVCacheDataTypeE1ELb1EEEvPT_PKS3_PKT0_S9_ifPKiSB_iPKfiiiSD_SD_iiiii
	.globl	_ZN4vllm25paged_attention_v1_kernelI14__hip_bfloat16hLi120ELi8ELi128ELNS_18Fp8KVCacheDataTypeE1ELb1EEEvPT_PKS3_PKT0_S9_ifPKiSB_iPKfiiiSD_SD_iiiii
	.p2align	8
	.type	_ZN4vllm25paged_attention_v1_kernelI14__hip_bfloat16hLi120ELi8ELi128ELNS_18Fp8KVCacheDataTypeE1ELb1EEEvPT_PKS3_PKT0_S9_ifPKiSB_iPKfiiiSD_SD_iiiii,@function
_ZN4vllm25paged_attention_v1_kernelI14__hip_bfloat16hLi120ELi8ELi128ELNS_18Fp8KVCacheDataTypeE1ELb1EEEvPT_PKS3_PKT0_S9_ifPKiSB_iPKfiiiSD_SD_iiiii: ; @_ZN4vllm25paged_attention_v1_kernelI14__hip_bfloat16hLi120ELi8ELi128ELNS_18Fp8KVCacheDataTypeE1ELb1EEEvPT_PKS3_PKT0_S9_ifPKiSB_iPKfiiiSD_SD_iiiii
; %bb.0:
	s_load_dword s9, s[4:5], 0x80
	s_load_dwordx2 s[0:1], s[4:5], 0x30
	s_load_dwordx2 s[38:39], s[4:5], 0x20
	s_mov_b32 s24, s7
	s_ashr_i32 s25, s7, 31
	s_lshl_b64 s[2:3], s[24:25], 2
	s_waitcnt lgkmcnt(0)
	s_add_u32 s0, s0, s2
	s_addc_u32 s1, s1, s3
	s_abs_i32 s2, s38
	v_cvt_f32_u32_e32 v1, s2
	s_sub_i32 s10, 0, s2
	s_abs_i32 s7, s9
	s_xor_b32 s3, s9, s38
	v_rcp_iflag_f32_e32 v1, v1
	s_ashr_i32 s3, s3, 31
	s_mov_b32 s51, 0
	v_mul_f32_e32 v1, 0x4f7ffffe, v1
	v_cvt_u32_f32_e32 v1, v1
	v_readfirstlane_b32 s11, v1
	s_mul_i32 s10, s10, s11
	s_mul_hi_u32 s10, s11, s10
	s_add_i32 s11, s11, s10
	s_mul_hi_u32 s10, s7, s11
	s_mul_i32 s11, s10, s2
	s_sub_i32 s7, s7, s11
	s_add_i32 s11, s10, 1
	s_sub_i32 s12, s7, s2
	s_cmp_ge_u32 s7, s2
	s_cselect_b32 s10, s11, s10
	s_cselect_b32 s7, s12, s7
	s_add_i32 s11, s10, 1
	s_cmp_ge_u32 s7, s2
	s_cselect_b32 s2, s11, s10
	s_xor_b32 s2, s2, s3
	s_sub_i32 s12, s2, s3
	s_abs_i32 s10, s12
	v_cvt_f32_u32_e32 v1, s10
	s_load_dwordx2 s[2:3], s[4:5], 0x40
	s_sub_i32 s7, 0, s10
	s_abs_i32 s11, s6
	v_rcp_iflag_f32_e32 v1, v1
	v_mul_f32_e32 v1, 0x4f7ffffe, v1
	v_cvt_u32_f32_e32 v1, v1
	v_readfirstlane_b32 s13, v1
	s_mul_i32 s7, s7, s13
	s_mul_hi_u32 s7, s13, s7
	s_add_i32 s13, s13, s7
	s_waitcnt lgkmcnt(0)
	s_cmp_eq_u64 s[2:3], 0
	s_mul_hi_u32 s13, s11, s13
	s_cbranch_scc1 .LBB279_2
; %bb.1:
	s_ashr_i32 s7, s6, 31
	s_lshl_b64 s[14:15], s[6:7], 2
	s_add_u32 s2, s2, s14
	s_addc_u32 s3, s3, s15
	s_load_dword s51, s[2:3], 0x0
.LBB279_2:
	s_load_dword s25, s[0:1], 0x0
	s_load_dwordx4 s[16:19], s[4:5], 0x48
	s_movk_i32 s0, 0x78
	s_ashr_i32 s7, s6, 31
	s_ashr_i32 s14, s12, 31
	v_and_b32_e32 v1, 7, v0
	s_mul_i32 s26, s6, 0x78
	v_cmp_gt_u32_e64 s[0:1], s0, v0
	v_lshlrev_b32_e32 v20, 1, v0
	s_and_saveexec_b64 s[2:3], s[0:1]
	s_cbranch_execz .LBB279_4
; %bb.3:
	s_load_dwordx2 s[20:21], s[4:5], 0x8
	s_waitcnt lgkmcnt(0)
	s_mul_i32 s22, s16, s24
	s_ashr_i32 s23, s22, 31
	s_lshl_b64 s[22:23], s[22:23], 1
	v_lshrrev_b32_e32 v3, 2, v0
	s_add_u32 s12, s20, s22
	s_addc_u32 s15, s21, s23
	s_ashr_i32 s27, s26, 31
	s_lshl_b64 s[20:21], s[26:27], 1
	s_add_u32 s20, s12, s20
	s_addc_u32 s21, s15, s21
	global_load_ushort v2, v20, s[20:21]
	v_and_b32_e32 v3, 0xfe, v3
	v_mad_u32_u24 v3, v1, 30, v3
	s_waitcnt vmcnt(0)
	ds_write_b16 v3, v2
.LBB279_4:
	s_or_b64 exec, exec, s[2:3]
	s_mul_i32 s3, s13, s10
	s_sub_i32 s3, s11, s3
	s_xor_b32 s2, s7, s14
	s_add_i32 s7, s13, 1
	s_sub_i32 s11, s3, s10
	s_load_dwordx4 s[20:23], s[4:5], 0x68
	s_load_dword s12, s[4:5], 0x78
	s_cmp_ge_u32 s3, s10
	s_cselect_b32 s7, s7, s13
	s_cselect_b32 s3, s11, s3
	s_add_i32 s11, s7, 1
	s_cmp_ge_u32 s3, s10
	s_cselect_b32 s3, s11, s7
	s_waitcnt lgkmcnt(0)
	s_abs_i32 s33, s23
	v_cvt_f32_u32_e32 v2, s33
	s_xor_b32 s3, s3, s2
	s_sub_i32 s7, s3, s2
	s_sub_i32 s2, 0, s33
	v_rcp_iflag_f32_e32 v2, v2
	s_add_i32 s13, s25, -1
	s_abs_i32 s10, s13
	v_mul_f32_e32 v2, 0x4f7ffffe, v2
	v_cvt_u32_f32_e32 v2, v2
	s_barrier
	v_readfirstlane_b32 s48, v2
	s_mul_i32 s2, s2, s48
	s_mul_hi_u32 s2, s48, s2
	s_add_i32 s48, s48, s2
	s_cmp_lt_i32 s12, 0
	s_mul_hi_u32 s11, s10, s48
	s_cbranch_scc0 .LBB279_6
; %bb.5:
	s_mul_i32 s2, s20, s38
	s_add_i32 s2, s7, s2
	s_mul_i32 s2, s2, s12
	s_sub_i32 s38, 1, s2
	s_mov_b64 s[2:3], 0
	s_branch .LBB279_7
.LBB279_6:
	s_mov_b64 s[2:3], -1
                                        ; implicit-def: $sgpr38
.LBB279_7:
	s_load_dwordx2 s[30:31], s[4:5], 0x28
	s_ashr_i32 s16, s13, 31
	s_andn2_b64 vcc, exec, s[2:3]
	s_ashr_i32 s49, s23, 31
	s_cbranch_vccnz .LBB279_9
; %bb.8:
	s_mul_i32 s2, s9, s20
	s_add_i32 s2, s2, s6
	s_mul_i32 s2, s2, s12
	s_add_i32 s38, s2, 1
.LBB279_9:
	s_load_dword s2, s[4:5], 0x38
	s_load_dwordx2 s[28:29], s[4:5], 0x0
	s_load_dwordx2 s[36:37], s[4:5], 0x18
	s_load_dword s27, s[4:5], 0x88
	s_load_dwordx4 s[12:15], s[4:5], 0x58
	s_mul_i32 s3, s11, s33
	s_waitcnt lgkmcnt(0)
	s_mul_i32 s34, s2, s24
	s_sub_i32 s3, s10, s3
	s_ashr_i32 s35, s34, 31
	s_xor_b32 s2, s16, s49
	s_add_i32 s6, s11, 1
	s_sub_i32 s10, s3, s33
	s_cmp_ge_u32 s3, s33
	s_cselect_b32 s6, s6, s11
	s_cselect_b32 s3, s10, s3
	s_add_i32 s10, s6, 1
	s_cmp_ge_u32 s3, s33
	s_cselect_b32 s3, s10, s6
	s_xor_b32 s3, s3, s2
	s_sub_i32 s16, s3, s2
	s_add_i32 s2, s25, 7
	s_ashr_i32 s3, s2, 31
	s_lshr_b32 s3, s3, 29
	s_add_i32 s2, s2, s3
	s_ashr_i32 s50, s2, 3
	v_lshrrev_b32_e32 v21, 6, v0
	v_cmp_gt_i32_e64 s[2:3], s50, v21
	v_mov_b32_e32 v19, 0xff7fffff
	s_mul_i32 s20, s7, s18
	v_lshrrev_b32_e32 v15, 4, v0
	v_lshlrev_b32_e32 v22, 3, v21
	v_mbcnt_lo_u32_b32 v16, -1, 0
	s_and_saveexec_b64 s[18:19], s[2:3]
	s_cbranch_execz .LBB279_111
; %bb.10:
	s_load_dwordx2 s[4:5], s[4:5], 0x10
	s_sub_i32 s23, s16, s21
	s_ashr_i32 s6, s20, 31
	v_bfe_u32 v17, v0, 3, 3
	v_lshlrev_b32_e32 v3, 4, v17
	s_waitcnt lgkmcnt(0)
	s_add_u32 s7, s4, s20
	s_addc_u32 s6, s5, s6
	s_abs_i32 s52, s22
	v_cvt_f32_u32_e32 v2, s52
	v_mov_b32_e32 v4, s6
	s_sub_i32 s6, 0, s52
	v_cmp_eq_u32_e32 vcc, 0, v1
	v_rcp_iflag_f32_e32 v2, v2
	v_mul_u32_u24_e32 v18, 30, v1
	s_mov_b32 s53, s17
	v_cmp_neq_f32_e64 s[4:5], s51, 0
	v_mul_f32_e32 v2, 0x4f7ffffe, v2
	v_cvt_u32_f32_e32 v2, v2
	v_lshlrev_b32_e32 v24, 3, v21
	v_mov_b32_e32 v27, 0xff7fffff
	s_mov_b64 s[40:41], 0
	v_mul_lo_u32 v5, s6, v2
	v_add_co_u32_e64 v3, s[6:7], s7, v3
	v_addc_co_u32_e64 v4, s[6:7], 0, v4, s[6:7]
	v_add_co_u32_e64 v8, s[6:7], v3, v1
	v_mul_hi_u32 v5, v2, v5
	v_addc_co_u32_e64 v9, s[6:7], 0, v4, s[6:7]
	s_lshl_b64 s[6:7], s[34:35], 2
	s_add_u32 s6, s30, s6
	v_and_b32_e32 v1, 60, v15
	s_addc_u32 s7, s31, s7
	v_add_u32_e32 v23, v2, v5
	v_mov_b32_e32 v2, s7
	v_add_co_u32_e64 v10, s[6:7], s6, v1
	v_subrev_u32_e32 v1, s25, v17
	v_add_u32_e32 v25, 1, v1
	v_lshlrev_b32_e32 v1, 2, v17
	v_lshl_or_b32 v1, v21, 5, v1
	v_addc_co_u32_e64 v11, s[6:7], 0, v2, s[6:7]
	v_add_u32_e32 v26, 0x100, v1
	s_movk_i32 s54, 0x80
	s_movk_i32 s55, 0x7f
	;; [unrolled: 1-line block ×3, first 2 shown]
	v_bfrev_b32_e32 v28, 60
	v_mbcnt_hi_u32_b32 v29, -1, v16
	v_mov_b32_e32 v19, 0xff7fffff
	v_mov_b32_e32 v30, v21
	s_branch .LBB279_13
.LBB279_11:                             ;   in Loop: Header=BB279_13 Depth=1
	s_or_b64 exec, exec, s[42:43]
.LBB279_12:                             ;   in Loop: Header=BB279_13 Depth=1
	s_or_b64 exec, exec, s[10:11]
	v_add_co_u32_e64 v10, s[6:7], 8, v10
	v_add_u32_e32 v30, 2, v30
	v_addc_co_u32_e64 v11, s[6:7], 0, v11, s[6:7]
	v_cmp_le_i32_e64 s[6:7], s50, v30
	v_add_u32_e32 v24, 16, v24
	s_or_b64 s[40:41], s[6:7], s[40:41]
	v_add_u32_e32 v26, 64, v26
	s_andn2_b64 exec, exec, s[40:41]
	s_cbranch_execz .LBB279_110
.LBB279_13:                             ; =>This Inner Loop Header: Depth=1
	v_mul_hi_u32 v1, v24, s48
	s_waitcnt lgkmcnt(0)
	v_mul_lo_u32 v2, v1, s33
	v_add_u32_e32 v3, 1, v1
	v_sub_u32_e32 v2, v24, v2
	v_cmp_le_u32_e64 s[6:7], s33, v2
	v_cndmask_b32_e64 v1, v1, v3, s[6:7]
	v_subrev_u32_e32 v3, s33, v2
	v_cndmask_b32_e64 v2, v2, v3, s[6:7]
	v_add_u32_e32 v3, 1, v1
	v_cmp_le_u32_e64 s[6:7], s33, v2
	v_cndmask_b32_e64 v1, v1, v3, s[6:7]
	v_xor_b32_e32 v1, s49, v1
	v_subrev_u32_e32 v1, s49, v1
	v_add_u32_e32 v2, s38, v1
	v_sub_u32_e32 v3, 0, v2
	v_max_i32_e32 v3, v2, v3
	v_mul_hi_u32 v4, v3, v23
	v_ashrrev_i32_e32 v2, 31, v2
	v_cmp_ge_i32_e64 s[10:11], s23, v1
	v_mul_lo_u32 v4, v4, s52
	v_sub_u32_e32 v3, v3, v4
	v_subrev_u32_e32 v4, s52, v3
	v_cmp_le_u32_e64 s[6:7], s52, v3
	v_cndmask_b32_e64 v3, v3, v4, s[6:7]
	v_subrev_u32_e32 v4, s52, v3
	v_cmp_le_u32_e64 s[6:7], s52, v3
	v_cndmask_b32_e64 v3, v3, v4, s[6:7]
	v_xor_b32_e32 v3, v3, v2
	v_sub_u32_e32 v2, v3, v2
	v_cmp_ne_u32_e64 s[6:7], 0, v2
	s_and_b64 s[6:7], s[6:7], s[10:11]
	s_and_saveexec_b64 s[10:11], s[6:7]
	s_xor_b64 s[6:7], exec, s[10:11]
	s_cbranch_execz .LBB279_17
; %bb.14:                               ;   in Loop: Header=BB279_13 Depth=1
	s_and_saveexec_b64 s[10:11], vcc
; %bb.15:                               ;   in Loop: Header=BB279_13 Depth=1
	ds_write_b32 v26, v27
; %bb.16:                               ;   in Loop: Header=BB279_13 Depth=1
	s_or_b64 exec, exec, s[10:11]
.LBB279_17:                             ;   in Loop: Header=BB279_13 Depth=1
	s_andn2_saveexec_b64 s[10:11], s[6:7]
	s_cbranch_execz .LBB279_12
; %bb.18:                               ;   in Loop: Header=BB279_13 Depth=1
	global_load_dword v1, v[10:11], off
	v_mov_b32_e32 v33, 0
	v_mov_b32_e32 v32, 0
	s_waitcnt vmcnt(0)
	v_mad_i64_i32 v[12:13], s[6:7], v1, s53, v[8:9]
	global_load_ubyte v34, v[12:13], off
	ds_read_b128 v[1:4], v18
	ds_read_b96 v[5:7], v18 offset:16
	ds_read_u16 v31, v18 offset:28
	s_load_dword s57, s[12:13], 0x0
	s_waitcnt vmcnt(0)
	v_cmp_ne_u16_e64 s[6:7], 0, v34
	s_and_saveexec_b64 s[42:43], s[6:7]
	s_cbranch_execz .LBB279_24
; %bb.19:                               ;   in Loop: Header=BB279_13 Depth=1
	v_cmp_ne_u16_e64 s[6:7], s54, v34
	v_bfrev_b32_e32 v32, 1
	s_and_saveexec_b64 s[44:45], s[6:7]
	s_cbranch_execz .LBB279_23
; %bb.20:                               ;   in Loop: Header=BB279_13 Depth=1
	v_and_b32_e32 v14, 0xffff, v34
	v_and_b32_e32 v35, 0x7f, v14
	v_cmp_ne_u32_e64 s[6:7], s55, v35
	v_mov_b32_e32 v32, 0x7f800001
	s_and_saveexec_b64 s[46:47], s[6:7]
	s_cbranch_execz .LBB279_22
; %bb.21:                               ;   in Loop: Header=BB279_13 Depth=1
	v_and_b32_e32 v32, 7, v14
	v_ffbh_u32_e32 v36, v32
	v_min_u32_e32 v39, 32, v36
	v_subrev_u32_e32 v36, 28, v39
	v_lshlrev_b64 v[36:37], v36, v[14:15]
	v_lshrrev_b32_e32 v38, 3, v35
	v_sub_u32_e32 v14, 29, v39
	v_and_b32_e32 v36, 7, v36
	v_cmp_gt_u32_e64 s[6:7], 8, v35
	v_cndmask_b32_e64 v14, v38, v14, s[6:7]
	v_cndmask_b32_e64 v32, v32, v36, s[6:7]
	v_lshlrev_b32_e32 v34, 24, v34
	v_lshlrev_b32_e32 v32, 20, v32
	v_and_b32_e32 v34, 0x80000000, v34
	v_lshl_add_u32 v14, v14, 23, v28
	v_or3_b32 v32, v34, v14, v32
.LBB279_22:                             ;   in Loop: Header=BB279_13 Depth=1
	s_or_b64 exec, exec, s[46:47]
.LBB279_23:                             ;   in Loop: Header=BB279_13 Depth=1
	s_or_b64 exec, exec, s[44:45]
.LBB279_24:                             ;   in Loop: Header=BB279_13 Depth=1
	s_or_b64 exec, exec, s[42:43]
	global_load_ubyte v34, v[12:13], off offset:8
	s_waitcnt vmcnt(0)
	v_cmp_ne_u16_e64 s[6:7], 0, v34
	s_and_saveexec_b64 s[42:43], s[6:7]
	s_cbranch_execz .LBB279_30
; %bb.25:                               ;   in Loop: Header=BB279_13 Depth=1
	v_cmp_ne_u16_e64 s[6:7], s54, v34
	v_bfrev_b32_e32 v33, 1
	s_and_saveexec_b64 s[44:45], s[6:7]
	s_cbranch_execz .LBB279_29
; %bb.26:                               ;   in Loop: Header=BB279_13 Depth=1
	v_and_b32_e32 v14, 0xffff, v34
	v_and_b32_e32 v35, 0x7f, v14
	v_cmp_ne_u32_e64 s[6:7], s55, v35
	v_mov_b32_e32 v33, 0x7f800001
	s_and_saveexec_b64 s[46:47], s[6:7]
	s_cbranch_execz .LBB279_28
; %bb.27:                               ;   in Loop: Header=BB279_13 Depth=1
	v_and_b32_e32 v33, 7, v14
	v_ffbh_u32_e32 v36, v33
	v_min_u32_e32 v39, 32, v36
	v_subrev_u32_e32 v36, 28, v39
	v_lshlrev_b64 v[36:37], v36, v[14:15]
	v_lshrrev_b32_e32 v38, 3, v35
	v_sub_u32_e32 v14, 29, v39
	v_and_b32_e32 v36, 7, v36
	v_cmp_gt_u32_e64 s[6:7], 8, v35
	v_cndmask_b32_e64 v14, v38, v14, s[6:7]
	v_cndmask_b32_e64 v33, v33, v36, s[6:7]
	v_lshlrev_b32_e32 v34, 24, v34
	v_lshlrev_b32_e32 v33, 20, v33
	v_and_b32_e32 v34, 0x80000000, v34
	v_lshl_add_u32 v14, v14, 23, v28
	v_or3_b32 v33, v34, v14, v33
.LBB279_28:                             ;   in Loop: Header=BB279_13 Depth=1
	s_or_b64 exec, exec, s[46:47]
.LBB279_29:                             ;   in Loop: Header=BB279_13 Depth=1
	s_or_b64 exec, exec, s[44:45]
.LBB279_30:                             ;   in Loop: Header=BB279_13 Depth=1
	s_or_b64 exec, exec, s[42:43]
	global_load_ubyte v36, v[12:13], off offset:128
	v_mov_b32_e32 v35, 0
	v_mov_b32_e32 v34, 0
	s_waitcnt vmcnt(0)
	v_cmp_ne_u16_e64 s[6:7], 0, v36
	s_and_saveexec_b64 s[42:43], s[6:7]
	s_cbranch_execz .LBB279_36
; %bb.31:                               ;   in Loop: Header=BB279_13 Depth=1
	v_cmp_ne_u16_e64 s[6:7], s54, v36
	v_bfrev_b32_e32 v34, 1
	s_and_saveexec_b64 s[44:45], s[6:7]
	s_cbranch_execz .LBB279_35
; %bb.32:                               ;   in Loop: Header=BB279_13 Depth=1
	v_and_b32_e32 v14, 0xffff, v36
	v_and_b32_e32 v37, 0x7f, v14
	v_cmp_ne_u32_e64 s[6:7], s55, v37
	v_mov_b32_e32 v34, 0x7f800001
	s_and_saveexec_b64 s[46:47], s[6:7]
	s_cbranch_execz .LBB279_34
; %bb.33:                               ;   in Loop: Header=BB279_13 Depth=1
	v_and_b32_e32 v34, 7, v14
	v_ffbh_u32_e32 v38, v34
	v_min_u32_e32 v41, 32, v38
	v_subrev_u32_e32 v38, 28, v41
	v_lshlrev_b64 v[38:39], v38, v[14:15]
	v_lshrrev_b32_e32 v40, 3, v37
	v_sub_u32_e32 v14, 29, v41
	v_and_b32_e32 v38, 7, v38
	v_cmp_gt_u32_e64 s[6:7], 8, v37
	v_cndmask_b32_e64 v14, v40, v14, s[6:7]
	v_cndmask_b32_e64 v34, v34, v38, s[6:7]
	v_lshlrev_b32_e32 v36, 24, v36
	v_lshlrev_b32_e32 v34, 20, v34
	v_and_b32_e32 v36, 0x80000000, v36
	v_lshl_add_u32 v14, v14, 23, v28
	v_or3_b32 v34, v36, v14, v34
.LBB279_34:                             ;   in Loop: Header=BB279_13 Depth=1
	s_or_b64 exec, exec, s[46:47]
.LBB279_35:                             ;   in Loop: Header=BB279_13 Depth=1
	s_or_b64 exec, exec, s[44:45]
.LBB279_36:                             ;   in Loop: Header=BB279_13 Depth=1
	s_or_b64 exec, exec, s[42:43]
	global_load_ubyte v36, v[12:13], off offset:136
	s_waitcnt vmcnt(0)
	v_cmp_ne_u16_e64 s[6:7], 0, v36
	s_and_saveexec_b64 s[42:43], s[6:7]
	s_cbranch_execz .LBB279_42
; %bb.37:                               ;   in Loop: Header=BB279_13 Depth=1
	v_cmp_ne_u16_e64 s[6:7], s54, v36
	v_bfrev_b32_e32 v35, 1
	s_and_saveexec_b64 s[44:45], s[6:7]
	s_cbranch_execz .LBB279_41
; %bb.38:                               ;   in Loop: Header=BB279_13 Depth=1
	v_and_b32_e32 v14, 0xffff, v36
	v_and_b32_e32 v37, 0x7f, v14
	v_cmp_ne_u32_e64 s[6:7], s55, v37
	v_mov_b32_e32 v35, 0x7f800001
	s_and_saveexec_b64 s[46:47], s[6:7]
	s_cbranch_execz .LBB279_40
; %bb.39:                               ;   in Loop: Header=BB279_13 Depth=1
	v_and_b32_e32 v35, 7, v14
	v_ffbh_u32_e32 v38, v35
	v_min_u32_e32 v41, 32, v38
	v_subrev_u32_e32 v38, 28, v41
	v_lshlrev_b64 v[38:39], v38, v[14:15]
	v_lshrrev_b32_e32 v40, 3, v37
	v_sub_u32_e32 v14, 29, v41
	v_and_b32_e32 v38, 7, v38
	v_cmp_gt_u32_e64 s[6:7], 8, v37
	v_cndmask_b32_e64 v14, v40, v14, s[6:7]
	v_cndmask_b32_e64 v35, v35, v38, s[6:7]
	v_lshlrev_b32_e32 v36, 24, v36
	v_lshlrev_b32_e32 v35, 20, v35
	v_and_b32_e32 v36, 0x80000000, v36
	v_lshl_add_u32 v14, v14, 23, v28
	v_or3_b32 v35, v36, v14, v35
.LBB279_40:                             ;   in Loop: Header=BB279_13 Depth=1
	s_or_b64 exec, exec, s[46:47]
.LBB279_41:                             ;   in Loop: Header=BB279_13 Depth=1
	s_or_b64 exec, exec, s[44:45]
.LBB279_42:                             ;   in Loop: Header=BB279_13 Depth=1
	s_or_b64 exec, exec, s[42:43]
	global_load_ubyte v38, v[12:13], off offset:256
	v_mov_b32_e32 v37, 0
	v_mov_b32_e32 v36, 0
	s_waitcnt vmcnt(0)
	v_cmp_ne_u16_e64 s[6:7], 0, v38
	s_and_saveexec_b64 s[42:43], s[6:7]
	s_cbranch_execz .LBB279_48
; %bb.43:                               ;   in Loop: Header=BB279_13 Depth=1
	v_cmp_ne_u16_e64 s[6:7], s54, v38
	v_bfrev_b32_e32 v36, 1
	s_and_saveexec_b64 s[44:45], s[6:7]
	s_cbranch_execz .LBB279_47
; %bb.44:                               ;   in Loop: Header=BB279_13 Depth=1
	v_and_b32_e32 v14, 0xffff, v38
	v_and_b32_e32 v39, 0x7f, v14
	v_cmp_ne_u32_e64 s[6:7], s55, v39
	v_mov_b32_e32 v36, 0x7f800001
	s_and_saveexec_b64 s[46:47], s[6:7]
	s_cbranch_execz .LBB279_46
; %bb.45:                               ;   in Loop: Header=BB279_13 Depth=1
	v_and_b32_e32 v36, 7, v14
	v_ffbh_u32_e32 v40, v36
	v_min_u32_e32 v43, 32, v40
	v_subrev_u32_e32 v40, 28, v43
	v_lshlrev_b64 v[40:41], v40, v[14:15]
	v_lshrrev_b32_e32 v42, 3, v39
	v_sub_u32_e32 v14, 29, v43
	v_and_b32_e32 v40, 7, v40
	v_cmp_gt_u32_e64 s[6:7], 8, v39
	v_cndmask_b32_e64 v14, v42, v14, s[6:7]
	v_cndmask_b32_e64 v36, v36, v40, s[6:7]
	v_lshlrev_b32_e32 v38, 24, v38
	v_lshlrev_b32_e32 v36, 20, v36
	v_and_b32_e32 v38, 0x80000000, v38
	v_lshl_add_u32 v14, v14, 23, v28
	v_or3_b32 v36, v38, v14, v36
.LBB279_46:                             ;   in Loop: Header=BB279_13 Depth=1
	s_or_b64 exec, exec, s[46:47]
.LBB279_47:                             ;   in Loop: Header=BB279_13 Depth=1
	s_or_b64 exec, exec, s[44:45]
.LBB279_48:                             ;   in Loop: Header=BB279_13 Depth=1
	s_or_b64 exec, exec, s[42:43]
	global_load_ubyte v38, v[12:13], off offset:264
	s_waitcnt vmcnt(0)
	v_cmp_ne_u16_e64 s[6:7], 0, v38
	s_and_saveexec_b64 s[42:43], s[6:7]
	s_cbranch_execz .LBB279_54
; %bb.49:                               ;   in Loop: Header=BB279_13 Depth=1
	v_cmp_ne_u16_e64 s[6:7], s54, v38
	v_bfrev_b32_e32 v37, 1
	s_and_saveexec_b64 s[44:45], s[6:7]
	s_cbranch_execz .LBB279_53
; %bb.50:                               ;   in Loop: Header=BB279_13 Depth=1
	v_and_b32_e32 v14, 0xffff, v38
	v_and_b32_e32 v39, 0x7f, v14
	v_cmp_ne_u32_e64 s[6:7], s55, v39
	v_mov_b32_e32 v37, 0x7f800001
	s_and_saveexec_b64 s[46:47], s[6:7]
	s_cbranch_execz .LBB279_52
; %bb.51:                               ;   in Loop: Header=BB279_13 Depth=1
	v_and_b32_e32 v37, 7, v14
	v_ffbh_u32_e32 v40, v37
	v_min_u32_e32 v43, 32, v40
	v_subrev_u32_e32 v40, 28, v43
	v_lshlrev_b64 v[40:41], v40, v[14:15]
	v_lshrrev_b32_e32 v42, 3, v39
	v_sub_u32_e32 v14, 29, v43
	v_and_b32_e32 v40, 7, v40
	v_cmp_gt_u32_e64 s[6:7], 8, v39
	v_cndmask_b32_e64 v14, v42, v14, s[6:7]
	v_cndmask_b32_e64 v37, v37, v40, s[6:7]
	v_lshlrev_b32_e32 v38, 24, v38
	v_lshlrev_b32_e32 v37, 20, v37
	v_and_b32_e32 v38, 0x80000000, v38
	v_lshl_add_u32 v14, v14, 23, v28
	v_or3_b32 v37, v38, v14, v37
.LBB279_52:                             ;   in Loop: Header=BB279_13 Depth=1
	s_or_b64 exec, exec, s[46:47]
.LBB279_53:                             ;   in Loop: Header=BB279_13 Depth=1
	s_or_b64 exec, exec, s[44:45]
.LBB279_54:                             ;   in Loop: Header=BB279_13 Depth=1
	s_or_b64 exec, exec, s[42:43]
	global_load_ubyte v40, v[12:13], off offset:384
	v_mov_b32_e32 v39, 0
	v_mov_b32_e32 v38, 0
	s_waitcnt vmcnt(0)
	v_cmp_ne_u16_e64 s[6:7], 0, v40
	s_and_saveexec_b64 s[42:43], s[6:7]
	s_cbranch_execz .LBB279_60
; %bb.55:                               ;   in Loop: Header=BB279_13 Depth=1
	v_cmp_ne_u16_e64 s[6:7], s54, v40
	v_bfrev_b32_e32 v38, 1
	s_and_saveexec_b64 s[44:45], s[6:7]
	s_cbranch_execz .LBB279_59
; %bb.56:                               ;   in Loop: Header=BB279_13 Depth=1
	v_and_b32_e32 v14, 0xffff, v40
	v_and_b32_e32 v41, 0x7f, v14
	v_cmp_ne_u32_e64 s[6:7], s55, v41
	v_mov_b32_e32 v38, 0x7f800001
	s_and_saveexec_b64 s[46:47], s[6:7]
	s_cbranch_execz .LBB279_58
; %bb.57:                               ;   in Loop: Header=BB279_13 Depth=1
	v_and_b32_e32 v38, 7, v14
	v_ffbh_u32_e32 v42, v38
	v_min_u32_e32 v45, 32, v42
	v_subrev_u32_e32 v42, 28, v45
	v_lshlrev_b64 v[42:43], v42, v[14:15]
	v_lshrrev_b32_e32 v44, 3, v41
	v_sub_u32_e32 v14, 29, v45
	v_and_b32_e32 v42, 7, v42
	v_cmp_gt_u32_e64 s[6:7], 8, v41
	v_cndmask_b32_e64 v14, v44, v14, s[6:7]
	v_cndmask_b32_e64 v38, v38, v42, s[6:7]
	v_lshlrev_b32_e32 v40, 24, v40
	v_lshlrev_b32_e32 v38, 20, v38
	v_and_b32_e32 v40, 0x80000000, v40
	v_lshl_add_u32 v14, v14, 23, v28
	v_or3_b32 v38, v40, v14, v38
.LBB279_58:                             ;   in Loop: Header=BB279_13 Depth=1
	s_or_b64 exec, exec, s[46:47]
.LBB279_59:                             ;   in Loop: Header=BB279_13 Depth=1
	s_or_b64 exec, exec, s[44:45]
.LBB279_60:                             ;   in Loop: Header=BB279_13 Depth=1
	s_or_b64 exec, exec, s[42:43]
	global_load_ubyte v40, v[12:13], off offset:392
	s_waitcnt vmcnt(0)
	v_cmp_ne_u16_e64 s[6:7], 0, v40
	s_and_saveexec_b64 s[42:43], s[6:7]
	s_cbranch_execz .LBB279_66
; %bb.61:                               ;   in Loop: Header=BB279_13 Depth=1
	v_cmp_ne_u16_e64 s[6:7], s54, v40
	v_bfrev_b32_e32 v39, 1
	s_and_saveexec_b64 s[44:45], s[6:7]
	s_cbranch_execz .LBB279_65
; %bb.62:                               ;   in Loop: Header=BB279_13 Depth=1
	v_and_b32_e32 v14, 0xffff, v40
	v_and_b32_e32 v41, 0x7f, v14
	v_cmp_ne_u32_e64 s[6:7], s55, v41
	v_mov_b32_e32 v39, 0x7f800001
	s_and_saveexec_b64 s[46:47], s[6:7]
	s_cbranch_execz .LBB279_64
; %bb.63:                               ;   in Loop: Header=BB279_13 Depth=1
	v_and_b32_e32 v39, 7, v14
	v_ffbh_u32_e32 v42, v39
	v_min_u32_e32 v45, 32, v42
	v_subrev_u32_e32 v42, 28, v45
	v_lshlrev_b64 v[42:43], v42, v[14:15]
	v_lshrrev_b32_e32 v44, 3, v41
	v_sub_u32_e32 v14, 29, v45
	v_and_b32_e32 v42, 7, v42
	v_cmp_gt_u32_e64 s[6:7], 8, v41
	v_cndmask_b32_e64 v14, v44, v14, s[6:7]
	v_cndmask_b32_e64 v39, v39, v42, s[6:7]
	v_lshlrev_b32_e32 v40, 24, v40
	v_lshlrev_b32_e32 v39, 20, v39
	v_and_b32_e32 v40, 0x80000000, v40
	v_lshl_add_u32 v14, v14, 23, v28
	v_or3_b32 v39, v40, v14, v39
.LBB279_64:                             ;   in Loop: Header=BB279_13 Depth=1
	s_or_b64 exec, exec, s[46:47]
.LBB279_65:                             ;   in Loop: Header=BB279_13 Depth=1
	s_or_b64 exec, exec, s[44:45]
.LBB279_66:                             ;   in Loop: Header=BB279_13 Depth=1
	s_or_b64 exec, exec, s[42:43]
	global_load_ubyte v42, v[12:13], off offset:512
	v_mov_b32_e32 v41, 0
	v_mov_b32_e32 v40, 0
	s_waitcnt vmcnt(0)
	v_cmp_ne_u16_e64 s[6:7], 0, v42
	s_and_saveexec_b64 s[42:43], s[6:7]
	s_cbranch_execz .LBB279_72
; %bb.67:                               ;   in Loop: Header=BB279_13 Depth=1
	v_cmp_ne_u16_e64 s[6:7], s54, v42
	v_bfrev_b32_e32 v40, 1
	s_and_saveexec_b64 s[44:45], s[6:7]
	s_cbranch_execz .LBB279_71
; %bb.68:                               ;   in Loop: Header=BB279_13 Depth=1
	v_and_b32_e32 v14, 0xffff, v42
	v_and_b32_e32 v43, 0x7f, v14
	v_cmp_ne_u32_e64 s[6:7], s55, v43
	v_mov_b32_e32 v40, 0x7f800001
	s_and_saveexec_b64 s[46:47], s[6:7]
	s_cbranch_execz .LBB279_70
; %bb.69:                               ;   in Loop: Header=BB279_13 Depth=1
	v_and_b32_e32 v40, 7, v14
	v_ffbh_u32_e32 v44, v40
	v_min_u32_e32 v47, 32, v44
	v_subrev_u32_e32 v44, 28, v47
	v_lshlrev_b64 v[44:45], v44, v[14:15]
	v_lshrrev_b32_e32 v46, 3, v43
	v_sub_u32_e32 v14, 29, v47
	v_and_b32_e32 v44, 7, v44
	v_cmp_gt_u32_e64 s[6:7], 8, v43
	v_cndmask_b32_e64 v14, v46, v14, s[6:7]
	v_cndmask_b32_e64 v40, v40, v44, s[6:7]
	v_lshlrev_b32_e32 v42, 24, v42
	v_lshlrev_b32_e32 v40, 20, v40
	v_and_b32_e32 v42, 0x80000000, v42
	v_lshl_add_u32 v14, v14, 23, v28
	v_or3_b32 v40, v42, v14, v40
.LBB279_70:                             ;   in Loop: Header=BB279_13 Depth=1
	s_or_b64 exec, exec, s[46:47]
.LBB279_71:                             ;   in Loop: Header=BB279_13 Depth=1
	s_or_b64 exec, exec, s[44:45]
.LBB279_72:                             ;   in Loop: Header=BB279_13 Depth=1
	s_or_b64 exec, exec, s[42:43]
	global_load_ubyte v42, v[12:13], off offset:520
	s_waitcnt vmcnt(0)
	v_cmp_ne_u16_e64 s[6:7], 0, v42
	s_and_saveexec_b64 s[42:43], s[6:7]
	s_cbranch_execz .LBB279_78
; %bb.73:                               ;   in Loop: Header=BB279_13 Depth=1
	v_cmp_ne_u16_e64 s[6:7], s54, v42
	v_bfrev_b32_e32 v41, 1
	s_and_saveexec_b64 s[44:45], s[6:7]
	s_cbranch_execz .LBB279_77
; %bb.74:                               ;   in Loop: Header=BB279_13 Depth=1
	v_and_b32_e32 v14, 0xffff, v42
	v_and_b32_e32 v43, 0x7f, v14
	v_cmp_ne_u32_e64 s[6:7], s55, v43
	v_mov_b32_e32 v41, 0x7f800001
	s_and_saveexec_b64 s[46:47], s[6:7]
	s_cbranch_execz .LBB279_76
; %bb.75:                               ;   in Loop: Header=BB279_13 Depth=1
	v_and_b32_e32 v41, 7, v14
	v_ffbh_u32_e32 v44, v41
	v_min_u32_e32 v47, 32, v44
	v_subrev_u32_e32 v44, 28, v47
	v_lshlrev_b64 v[44:45], v44, v[14:15]
	v_lshrrev_b32_e32 v46, 3, v43
	v_sub_u32_e32 v14, 29, v47
	v_and_b32_e32 v44, 7, v44
	v_cmp_gt_u32_e64 s[6:7], 8, v43
	v_cndmask_b32_e64 v14, v46, v14, s[6:7]
	v_cndmask_b32_e64 v41, v41, v44, s[6:7]
	v_lshlrev_b32_e32 v42, 24, v42
	v_lshlrev_b32_e32 v41, 20, v41
	v_and_b32_e32 v42, 0x80000000, v42
	v_lshl_add_u32 v14, v14, 23, v28
	v_or3_b32 v41, v42, v14, v41
.LBB279_76:                             ;   in Loop: Header=BB279_13 Depth=1
	s_or_b64 exec, exec, s[46:47]
.LBB279_77:                             ;   in Loop: Header=BB279_13 Depth=1
	s_or_b64 exec, exec, s[44:45]
.LBB279_78:                             ;   in Loop: Header=BB279_13 Depth=1
	s_or_b64 exec, exec, s[42:43]
	global_load_ubyte v44, v[12:13], off offset:640
	v_mov_b32_e32 v43, 0
	v_mov_b32_e32 v42, 0
	s_waitcnt vmcnt(0)
	v_cmp_ne_u16_e64 s[6:7], 0, v44
	s_and_saveexec_b64 s[42:43], s[6:7]
	s_cbranch_execz .LBB279_84
; %bb.79:                               ;   in Loop: Header=BB279_13 Depth=1
	v_cmp_ne_u16_e64 s[6:7], s54, v44
	v_bfrev_b32_e32 v42, 1
	s_and_saveexec_b64 s[44:45], s[6:7]
	s_cbranch_execz .LBB279_83
; %bb.80:                               ;   in Loop: Header=BB279_13 Depth=1
	v_and_b32_e32 v14, 0xffff, v44
	v_and_b32_e32 v45, 0x7f, v14
	v_cmp_ne_u32_e64 s[6:7], s55, v45
	v_mov_b32_e32 v42, 0x7f800001
	s_and_saveexec_b64 s[46:47], s[6:7]
	s_cbranch_execz .LBB279_82
; %bb.81:                               ;   in Loop: Header=BB279_13 Depth=1
	v_and_b32_e32 v42, 7, v14
	v_ffbh_u32_e32 v46, v42
	v_min_u32_e32 v49, 32, v46
	v_subrev_u32_e32 v46, 28, v49
	v_lshlrev_b64 v[46:47], v46, v[14:15]
	v_lshrrev_b32_e32 v48, 3, v45
	v_sub_u32_e32 v14, 29, v49
	v_and_b32_e32 v46, 7, v46
	v_cmp_gt_u32_e64 s[6:7], 8, v45
	v_cndmask_b32_e64 v14, v48, v14, s[6:7]
	v_cndmask_b32_e64 v42, v42, v46, s[6:7]
	v_lshlrev_b32_e32 v44, 24, v44
	v_lshlrev_b32_e32 v42, 20, v42
	v_and_b32_e32 v44, 0x80000000, v44
	v_lshl_add_u32 v14, v14, 23, v28
	v_or3_b32 v42, v44, v14, v42
.LBB279_82:                             ;   in Loop: Header=BB279_13 Depth=1
	s_or_b64 exec, exec, s[46:47]
.LBB279_83:                             ;   in Loop: Header=BB279_13 Depth=1
	s_or_b64 exec, exec, s[44:45]
.LBB279_84:                             ;   in Loop: Header=BB279_13 Depth=1
	s_or_b64 exec, exec, s[42:43]
	global_load_ubyte v44, v[12:13], off offset:648
	s_waitcnt vmcnt(0)
	v_cmp_ne_u16_e64 s[6:7], 0, v44
	s_and_saveexec_b64 s[42:43], s[6:7]
	s_cbranch_execz .LBB279_90
; %bb.85:                               ;   in Loop: Header=BB279_13 Depth=1
	v_cmp_ne_u16_e64 s[6:7], s54, v44
	v_bfrev_b32_e32 v43, 1
	s_and_saveexec_b64 s[44:45], s[6:7]
	s_cbranch_execz .LBB279_89
; %bb.86:                               ;   in Loop: Header=BB279_13 Depth=1
	v_and_b32_e32 v14, 0xffff, v44
	v_and_b32_e32 v45, 0x7f, v14
	v_cmp_ne_u32_e64 s[6:7], s55, v45
	v_mov_b32_e32 v43, 0x7f800001
	s_and_saveexec_b64 s[46:47], s[6:7]
	s_cbranch_execz .LBB279_88
; %bb.87:                               ;   in Loop: Header=BB279_13 Depth=1
	v_and_b32_e32 v43, 7, v14
	v_ffbh_u32_e32 v46, v43
	v_min_u32_e32 v49, 32, v46
	v_subrev_u32_e32 v46, 28, v49
	v_lshlrev_b64 v[46:47], v46, v[14:15]
	v_lshrrev_b32_e32 v48, 3, v45
	v_sub_u32_e32 v14, 29, v49
	v_and_b32_e32 v46, 7, v46
	v_cmp_gt_u32_e64 s[6:7], 8, v45
	v_cndmask_b32_e64 v14, v48, v14, s[6:7]
	v_cndmask_b32_e64 v43, v43, v46, s[6:7]
	v_lshlrev_b32_e32 v44, 24, v44
	v_lshlrev_b32_e32 v43, 20, v43
	v_and_b32_e32 v44, 0x80000000, v44
	v_lshl_add_u32 v14, v14, 23, v28
	v_or3_b32 v43, v44, v14, v43
.LBB279_88:                             ;   in Loop: Header=BB279_13 Depth=1
	s_or_b64 exec, exec, s[46:47]
.LBB279_89:                             ;   in Loop: Header=BB279_13 Depth=1
	s_or_b64 exec, exec, s[44:45]
.LBB279_90:                             ;   in Loop: Header=BB279_13 Depth=1
	s_or_b64 exec, exec, s[42:43]
	global_load_ubyte v46, v[12:13], off offset:768
	v_mov_b32_e32 v45, 0
	v_mov_b32_e32 v44, 0
	s_waitcnt vmcnt(0)
	v_cmp_ne_u16_e64 s[6:7], 0, v46
	s_and_saveexec_b64 s[42:43], s[6:7]
	s_cbranch_execz .LBB279_96
; %bb.91:                               ;   in Loop: Header=BB279_13 Depth=1
	v_cmp_ne_u16_e64 s[6:7], s54, v46
	v_bfrev_b32_e32 v44, 1
	s_and_saveexec_b64 s[44:45], s[6:7]
	s_cbranch_execz .LBB279_95
; %bb.92:                               ;   in Loop: Header=BB279_13 Depth=1
	v_and_b32_e32 v14, 0xffff, v46
	v_and_b32_e32 v47, 0x7f, v14
	v_cmp_ne_u32_e64 s[6:7], s55, v47
	v_mov_b32_e32 v44, 0x7f800001
	s_and_saveexec_b64 s[46:47], s[6:7]
	s_cbranch_execz .LBB279_94
; %bb.93:                               ;   in Loop: Header=BB279_13 Depth=1
	v_and_b32_e32 v44, 7, v14
	v_ffbh_u32_e32 v48, v44
	v_min_u32_e32 v51, 32, v48
	v_subrev_u32_e32 v48, 28, v51
	v_lshlrev_b64 v[48:49], v48, v[14:15]
	v_lshrrev_b32_e32 v50, 3, v47
	v_sub_u32_e32 v14, 29, v51
	v_and_b32_e32 v48, 7, v48
	v_cmp_gt_u32_e64 s[6:7], 8, v47
	v_cndmask_b32_e64 v14, v50, v14, s[6:7]
	v_cndmask_b32_e64 v44, v44, v48, s[6:7]
	v_lshlrev_b32_e32 v46, 24, v46
	v_lshlrev_b32_e32 v44, 20, v44
	v_and_b32_e32 v46, 0x80000000, v46
	v_lshl_add_u32 v14, v14, 23, v28
	v_or3_b32 v44, v46, v14, v44
.LBB279_94:                             ;   in Loop: Header=BB279_13 Depth=1
	s_or_b64 exec, exec, s[46:47]
.LBB279_95:                             ;   in Loop: Header=BB279_13 Depth=1
	s_or_b64 exec, exec, s[44:45]
.LBB279_96:                             ;   in Loop: Header=BB279_13 Depth=1
	s_or_b64 exec, exec, s[42:43]
	global_load_ubyte v46, v[12:13], off offset:776
	s_waitcnt vmcnt(0)
	v_cmp_ne_u16_e64 s[6:7], 0, v46
	s_and_saveexec_b64 s[42:43], s[6:7]
	s_cbranch_execz .LBB279_102
; %bb.97:                               ;   in Loop: Header=BB279_13 Depth=1
	v_cmp_ne_u16_e64 s[6:7], s54, v46
	v_bfrev_b32_e32 v45, 1
	s_and_saveexec_b64 s[44:45], s[6:7]
	s_cbranch_execz .LBB279_101
; %bb.98:                               ;   in Loop: Header=BB279_13 Depth=1
	v_and_b32_e32 v14, 0xffff, v46
	v_and_b32_e32 v47, 0x7f, v14
	v_cmp_ne_u32_e64 s[6:7], s55, v47
	v_mov_b32_e32 v45, 0x7f800001
	s_and_saveexec_b64 s[46:47], s[6:7]
	s_cbranch_execz .LBB279_100
; %bb.99:                               ;   in Loop: Header=BB279_13 Depth=1
	v_and_b32_e32 v45, 7, v14
	v_ffbh_u32_e32 v48, v45
	v_min_u32_e32 v51, 32, v48
	v_subrev_u32_e32 v48, 28, v51
	v_lshlrev_b64 v[48:49], v48, v[14:15]
	v_lshrrev_b32_e32 v50, 3, v47
	v_sub_u32_e32 v14, 29, v51
	v_and_b32_e32 v48, 7, v48
	v_cmp_gt_u32_e64 s[6:7], 8, v47
	v_cndmask_b32_e64 v14, v50, v14, s[6:7]
	v_cndmask_b32_e64 v45, v45, v48, s[6:7]
	v_lshlrev_b32_e32 v46, 24, v46
	v_lshlrev_b32_e32 v45, 20, v45
	v_and_b32_e32 v46, 0x80000000, v46
	v_lshl_add_u32 v14, v14, 23, v28
	v_or3_b32 v45, v46, v14, v45
.LBB279_100:                            ;   in Loop: Header=BB279_13 Depth=1
	s_or_b64 exec, exec, s[46:47]
.LBB279_101:                            ;   in Loop: Header=BB279_13 Depth=1
	s_or_b64 exec, exec, s[44:45]
.LBB279_102:                            ;   in Loop: Header=BB279_13 Depth=1
	s_or_b64 exec, exec, s[42:43]
	global_load_ubyte v13, v[12:13], off offset:896
	v_mov_b32_e32 v46, 0
	s_waitcnt vmcnt(0)
	v_cmp_ne_u16_e64 s[6:7], 0, v13
	s_and_saveexec_b64 s[42:43], s[6:7]
	s_cbranch_execz .LBB279_108
; %bb.103:                              ;   in Loop: Header=BB279_13 Depth=1
	v_cmp_ne_u16_e64 s[6:7], s54, v13
	v_bfrev_b32_e32 v46, 1
	s_and_saveexec_b64 s[44:45], s[6:7]
	s_cbranch_execz .LBB279_107
; %bb.104:                              ;   in Loop: Header=BB279_13 Depth=1
	v_and_b32_e32 v12, 0xffff, v13
	v_and_b32_e32 v14, 0x7f, v12
	v_cmp_ne_u32_e64 s[6:7], s55, v14
	v_mov_b32_e32 v46, 0x7f800001
	s_and_saveexec_b64 s[46:47], s[6:7]
	s_cbranch_execz .LBB279_106
; %bb.105:                              ;   in Loop: Header=BB279_13 Depth=1
	v_and_b32_e32 v48, 7, v12
	v_ffbh_u32_e32 v46, v48
	v_min_u32_e32 v50, 32, v46
	v_subrev_u32_e32 v46, 28, v50
	v_lshlrev_b64 v[46:47], v46, v[12:13]
	v_lshrrev_b32_e32 v49, 3, v14
	v_sub_u32_e32 v12, 29, v50
	v_and_b32_e32 v46, 7, v46
	v_cmp_gt_u32_e64 s[6:7], 8, v14
	v_cndmask_b32_e64 v12, v49, v12, s[6:7]
	v_cndmask_b32_e64 v14, v48, v46, s[6:7]
	v_lshlrev_b32_e32 v13, 24, v13
	v_lshlrev_b32_e32 v14, 20, v14
	v_and_b32_e32 v13, 0x80000000, v13
	v_lshl_add_u32 v12, v12, 23, v28
	v_or3_b32 v46, v13, v12, v14
.LBB279_106:                            ;   in Loop: Header=BB279_13 Depth=1
	s_or_b64 exec, exec, s[46:47]
.LBB279_107:                            ;   in Loop: Header=BB279_13 Depth=1
	s_or_b64 exec, exec, s[44:45]
.LBB279_108:                            ;   in Loop: Header=BB279_13 Depth=1
	s_or_b64 exec, exec, s[42:43]
	s_waitcnt lgkmcnt(0)
	v_mul_f32_e32 v12, s57, v45
	v_bfe_u32 v13, v12, 16, 1
	v_add3_u32 v13, v13, v12, s56
	v_or_b32_e32 v14, 0x400000, v12
	v_cmp_u_f32_e64 s[6:7], v12, v12
	v_cndmask_b32_e64 v12, v13, v14, s[6:7]
	v_mul_f32_e32 v13, s57, v44
	v_bfe_u32 v14, v13, 16, 1
	v_add3_u32 v14, v14, v13, s56
	v_or_b32_e32 v44, 0x400000, v13
	v_cmp_u_f32_e64 s[6:7], v13, v13
	v_cndmask_b32_e64 v13, v14, v44, s[6:7]
	v_mul_f32_e32 v14, s57, v43
	v_bfe_u32 v43, v14, 16, 1
	v_add3_u32 v43, v43, v14, s56
	v_or_b32_e32 v44, 0x400000, v14
	v_cmp_u_f32_e64 s[6:7], v14, v14
	v_mul_f32_e32 v42, s57, v42
	v_cndmask_b32_e64 v14, v43, v44, s[6:7]
	v_bfe_u32 v43, v42, 16, 1
	v_add3_u32 v43, v43, v42, s56
	v_or_b32_e32 v44, 0x400000, v42
	v_cmp_u_f32_e64 s[6:7], v42, v42
	v_mul_f32_e32 v41, s57, v41
	v_cndmask_b32_e64 v42, v43, v44, s[6:7]
	;; [unrolled: 6-line block ×11, first 2 shown]
	v_bfe_u32 v43, v32, 16, 1
	v_add3_u32 v43, v43, v32, s56
	v_or_b32_e32 v44, 0x400000, v32
	v_cmp_u_f32_e64 s[6:7], v32, v32
	v_cndmask_b32_e64 v32, v43, v44, s[6:7]
	v_and_b32_e32 v43, 64, v29
	v_add_u32_e32 v43, 64, v43
	v_xor_b32_e32 v44, 4, v29
	v_mul_f32_e32 v45, s57, v46
	v_cmp_lt_i32_e64 s[6:7], v44, v43
	v_bfe_u32 v46, v45, 16, 1
	v_cndmask_b32_e64 v44, v29, v44, s[6:7]
	v_add3_u32 v46, v46, v45, s56
	v_or_b32_e32 v47, 0x400000, v45
	v_cmp_u_f32_e64 s[6:7], v45, v45
	v_cndmask_b32_e64 v45, v46, v47, s[6:7]
	v_lshlrev_b32_e32 v46, 16, v1
	v_and_b32_e32 v1, 0xffff0000, v1
	v_and_b32_e32 v33, 0xffff0000, v33
	;; [unrolled: 1-line block ×3, first 2 shown]
	v_mul_f32_e32 v1, v1, v33
	v_lshlrev_b32_e32 v47, 16, v2
	v_fmac_f32_e32 v1, v46, v32
	v_and_b32_e32 v32, 0xffff0000, v34
	v_and_b32_e32 v2, 0xffff0000, v2
	v_fmac_f32_e32 v1, v47, v32
	v_and_b32_e32 v32, 0xffff0000, v35
	v_lshlrev_b32_e32 v48, 16, v3
	v_fmac_f32_e32 v1, v2, v32
	v_and_b32_e32 v2, 0xffff0000, v36
	v_and_b32_e32 v3, 0xffff0000, v3
	v_fmac_f32_e32 v1, v48, v2
	v_and_b32_e32 v2, 0xffff0000, v37
	;; [unrolled: 6-line block ×6, first 2 shown]
	v_lshlrev_b32_e32 v31, 16, v31
	v_fmac_f32_e32 v1, v7, v2
	v_and_b32_e32 v2, 0xffff0000, v45
	v_lshlrev_b32_e32 v44, 2, v44
	v_fmac_f32_e32 v1, v31, v2
	ds_bpermute_b32 v2, v44, v1
	v_xor_b32_e32 v3, 2, v29
	v_cmp_lt_i32_e64 s[6:7], v3, v43
	v_cndmask_b32_e64 v3, v29, v3, s[6:7]
	v_lshlrev_b32_e32 v3, 2, v3
	s_waitcnt lgkmcnt(0)
	v_add_f32_e32 v1, v1, v2
	ds_bpermute_b32 v2, v3, v1
	v_xor_b32_e32 v3, 1, v29
	v_cmp_lt_i32_e64 s[6:7], v3, v43
	v_cndmask_b32_e64 v3, v29, v3, s[6:7]
	v_lshlrev_b32_e32 v3, 2, v3
	s_waitcnt lgkmcnt(0)
	v_add_f32_e32 v1, v1, v2
	ds_bpermute_b32 v2, v3, v1
	s_and_saveexec_b64 s[42:43], vcc
	s_cbranch_execz .LBB279_11
; %bb.109:                              ;   in Loop: Header=BB279_13 Depth=1
	v_add_u32_e32 v3, v25, v24
	v_cvt_f32_i32_e32 v3, v3
	s_waitcnt lgkmcnt(0)
	v_add_f32_e32 v1, v1, v2
	v_add_u32_e32 v4, v17, v24
	v_cmp_gt_i32_e64 s[6:7], s25, v4
	v_mul_f32_e32 v2, s51, v3
	v_cndmask_b32_e64 v2, 0, v2, s[4:5]
	v_fmac_f32_e32 v2, s39, v1
	v_cndmask_b32_e64 v1, 0, v2, s[6:7]
	ds_write_b32 v26, v1
	v_max_f32_e32 v1, v19, v19
	v_max_f32_e32 v1, v1, v2
	v_cndmask_b32_e64 v19, v19, v1, s[6:7]
	s_branch .LBB279_11
.LBB279_110:
	s_or_b64 exec, exec, s[40:41]
.LBB279_111:
	s_or_b64 exec, exec, s[18:19]
	v_mbcnt_hi_u32_b32 v1, -1, v16
	v_and_b32_e32 v9, 64, v1
	s_waitcnt lgkmcnt(0)
	v_add_u32_e32 v2, 64, v9
	v_xor_b32_e32 v3, 32, v1
	v_cmp_lt_i32_e32 vcc, v3, v2
	v_cndmask_b32_e32 v3, v1, v3, vcc
	v_lshlrev_b32_e32 v4, 2, v3
	ds_bpermute_b32 v3, v4, v19
	v_xor_b32_e32 v6, 16, v1
	v_max_f32_e32 v5, v19, v19
	v_cmp_lt_i32_e32 vcc, v6, v2
	v_xor_b32_e32 v7, 8, v1
	s_waitcnt lgkmcnt(0)
	v_max_f32_e32 v3, v3, v3
	v_max_f32_e32 v3, v5, v3
	v_cndmask_b32_e32 v5, v1, v6, vcc
	v_lshlrev_b32_e32 v6, 2, v5
	ds_bpermute_b32 v5, v6, v3
	v_cmp_lt_i32_e32 vcc, v7, v2
	v_and_b32_e32 v23, 63, v0
	s_waitcnt lgkmcnt(0)
	v_max_f32_e32 v5, v5, v5
	v_max_f32_e32 v5, v3, v5
	v_cndmask_b32_e32 v3, v1, v7, vcc
	v_lshlrev_b32_e32 v8, 2, v3
	ds_bpermute_b32 v7, v8, v5
	v_cmp_eq_u32_e32 vcc, 0, v23
	v_lshlrev_b32_e32 v3, 2, v21
	s_and_saveexec_b64 s[4:5], vcc
	s_cbranch_execz .LBB279_113
; %bb.112:
	s_waitcnt lgkmcnt(0)
	v_max_f32_e32 v7, v7, v7
	v_max_f32_e32 v5, v5, v5
	;; [unrolled: 1-line block ×3, first 2 shown]
	ds_write_b32 v3, v5 offset:240
.LBB279_113:
	s_or_b64 exec, exec, s[4:5]
	v_cmp_gt_u32_e64 s[4:5], 2, v23
	v_mov_b32_e32 v10, 0xff7fffff
	v_lshlrev_b32_e32 v5, 2, v23
	s_waitcnt lgkmcnt(0)
	s_barrier
	s_and_saveexec_b64 s[6:7], s[4:5]
; %bb.114:
	ds_read_b32 v10, v5 offset:240
; %bb.115:
	s_or_b64 exec, exec, s[6:7]
	v_xor_b32_e32 v7, 1, v1
	v_cmp_lt_i32_e64 s[6:7], v7, v2
	v_cndmask_b32_e64 v7, v1, v7, s[6:7]
	v_lshlrev_b32_e32 v7, 2, v7
	s_waitcnt lgkmcnt(0)
	ds_bpermute_b32 v11, v7, v10
	v_max_f32_e32 v10, v10, v10
	v_lshlrev_b32_e32 v9, 2, v9
	s_lshl_b32 s6, s50, 3
	s_min_i32 s23, s6, s25
	s_waitcnt lgkmcnt(0)
	v_max_f32_e32 v11, v11, v11
	v_max_f32_e32 v10, v10, v11
	ds_bpermute_b32 v10, v9, v10
	v_cmp_gt_i32_e64 s[6:7], s23, v0
	v_mov_b32_e32 v9, 0
	s_and_saveexec_b64 s[12:13], s[6:7]
	s_cbranch_execz .LBB279_119
; %bb.116:
	v_mov_b32_e32 v9, 0x100
	v_lshl_add_u32 v11, v0, 2, v9
	v_mov_b32_e32 v9, 0
	s_mov_b64 s[18:19], 0
	v_mov_b32_e32 v12, v0
.LBB279_117:                            ; =>This Inner Loop Header: Depth=1
	ds_read_b32 v13, v11
	v_add_u32_e32 v12, 0x80, v12
	v_cmp_le_i32_e64 s[10:11], s23, v12
	s_or_b64 s[18:19], s[10:11], s[18:19]
	s_waitcnt lgkmcnt(0)
	v_sub_f32_e32 v13, v13, v10
	v_mul_f32_e32 v13, 0x3fb8aa3b, v13
	v_exp_f32_e32 v13, v13
	ds_write_b32 v11, v13
	v_add_f32_e32 v9, v9, v13
	v_add_u32_e32 v11, 0x200, v11
	s_andn2_b64 exec, exec, s[18:19]
	s_cbranch_execnz .LBB279_117
; %bb.118:
	s_or_b64 exec, exec, s[18:19]
.LBB279_119:
	s_or_b64 exec, exec, s[12:13]
	ds_bpermute_b32 v4, v4, v9
	s_waitcnt lgkmcnt(0)
	v_add_f32_e32 v4, v9, v4
	ds_bpermute_b32 v6, v6, v4
	s_waitcnt lgkmcnt(0)
	v_add_f32_e32 v4, v4, v6
	ds_bpermute_b32 v6, v8, v4
	v_xor_b32_e32 v8, 4, v1
	v_cmp_lt_i32_e64 s[10:11], v8, v2
	v_cndmask_b32_e64 v8, v1, v8, s[10:11]
	v_lshlrev_b32_e32 v8, 2, v8
	s_waitcnt lgkmcnt(0)
	v_add_f32_e32 v4, v4, v6
	ds_bpermute_b32 v6, v8, v4
	v_xor_b32_e32 v8, 2, v1
	v_cmp_lt_i32_e64 s[10:11], v8, v2
	v_cndmask_b32_e64 v2, v1, v8, s[10:11]
	v_lshlrev_b32_e32 v2, 2, v2
	s_waitcnt lgkmcnt(0)
	v_add_f32_e32 v4, v4, v6
	ds_bpermute_b32 v2, v2, v4
	s_waitcnt lgkmcnt(0)
	v_add_f32_e32 v2, v4, v2
	ds_bpermute_b32 v4, v7, v2
	s_waitcnt lgkmcnt(0)
	v_add_f32_e32 v2, v2, v4
	s_and_saveexec_b64 s[10:11], vcc
; %bb.120:
	ds_write_b32 v3, v2 offset:248
; %bb.121:
	s_or_b64 exec, exec, s[10:11]
	s_waitcnt lgkmcnt(0)
	s_barrier
	s_and_saveexec_b64 s[10:11], s[4:5]
; %bb.122:
	ds_read_b32 v2, v5 offset:248
; %bb.123:
	s_or_b64 exec, exec, s[10:11]
	s_waitcnt lgkmcnt(0)
	ds_bpermute_b32 v3, v7, v2
	v_lshlrev_b32_e32 v1, 2, v1
	v_and_b32_e32 v1, 0x100, v1
	s_waitcnt lgkmcnt(0)
	v_add_f32_e32 v2, v2, v3
	ds_bpermute_b32 v1, v1, v2
	s_and_saveexec_b64 s[4:5], s[6:7]
	s_cbranch_execz .LBB279_126
; %bb.124:
	s_waitcnt lgkmcnt(0)
	v_add_f32_e32 v2, 0x358637bd, v1
	v_div_scale_f32 v1, s[6:7], v2, v2, 1.0
	v_div_scale_f32 v3, vcc, 1.0, v2, 1.0
	s_mov_b64 s[6:7], 0
	v_rcp_f32_e32 v4, v1
	v_fma_f32 v5, -v1, v4, 1.0
	v_fmac_f32_e32 v4, v5, v4
	v_mul_f32_e32 v5, v3, v4
	v_fma_f32 v6, -v1, v5, v3
	v_fmac_f32_e32 v5, v6, v4
	v_fma_f32 v1, -v1, v5, v3
	v_div_fmas_f32 v3, v1, v4, v5
	v_mov_b32_e32 v1, 0x100
	v_lshl_add_u32 v1, v0, 2, v1
	v_div_fixup_f32 v2, v3, v2, 1.0
	v_mov_b32_e32 v3, v0
.LBB279_125:                            ; =>This Inner Loop Header: Depth=1
	ds_read_b32 v4, v1
	v_add_u32_e32 v3, 0x80, v3
	v_cmp_le_i32_e32 vcc, s23, v3
	s_or_b64 s[6:7], vcc, s[6:7]
	s_waitcnt lgkmcnt(0)
	v_mul_f32_e32 v4, v2, v4
	ds_write_b32 v1, v4
	v_add_u32_e32 v1, 0x200, v1
	s_andn2_b64 exec, exec, s[6:7]
	s_cbranch_execnz .LBB279_125
.LBB279_126:
	s_or_b64 exec, exec, s[4:5]
	v_mov_b32_e32 v12, 0
	v_mov_b32_e32 v11, v12
	v_mov_b32_e32 v9, v11
	v_mov_b32_e32 v10, v12
	s_waitcnt lgkmcnt(0)
	s_barrier
	s_and_saveexec_b64 s[6:7], s[2:3]
	s_cbranch_execz .LBB279_234
; %bb.127:
	s_sub_i32 s39, s16, s21
	s_ashr_i32 s2, s20, 31
	s_add_u32 s10, s36, s20
	s_addc_u32 s11, s37, s2
	s_abs_i32 s36, s22
	v_cvt_f32_u32_e32 v1, s36
	s_sub_i32 s3, 0, s36
	v_or_b32_e32 v2, 64, v23
	s_movk_i32 s2, 0x78
	v_rcp_iflag_f32_e32 v1, v1
	v_cmp_gt_u32_e32 vcc, s2, v2
	v_lshlrev_b32_e32 v25, 3, v2
	s_add_i32 s40, s50, -1
	v_mul_f32_e32 v1, 0x4f7ffffe, v1
	v_cvt_u32_f32_e32 v1, v1
	v_and_b32_e32 v3, 60, v15
	v_mov_b32_e32 v11, v12
	s_mov_b32 s12, -1
	v_mul_lo_u32 v4, s3, v1
	s_lshl_b64 s[2:3], s[34:35], 2
	s_add_u32 s2, s30, s2
	s_addc_u32 s3, s31, s3
	v_mul_hi_u32 v2, v1, v4
	v_mov_b32_e32 v9, v11
	s_mov_b32 s37, s17
	s_mov_b32 s13, 0xffffff
	v_add_u32_e32 v26, v1, v2
	v_mov_b32_e32 v1, s3
	v_add_co_u32_e64 v13, s[2:3], s2, v3
	v_addc_co_u32_e64 v14, s[2:3], 0, v1, s[2:3]
	v_mov_b32_e32 v1, 0x100
	v_lshlrev_b32_e32 v24, 3, v23
	v_lshl_add_u32 v27, v21, 5, v1
	s_mov_b64 s[16:17], 0
	s_movk_i32 s41, 0x80
	s_movk_i32 s42, 0x7f
	;; [unrolled: 1-line block ×3, first 2 shown]
	s_mov_b32 s44, 0x7060302
	v_bfrev_b32_e32 v28, 60
	v_mov_b32_e32 v10, v12
	s_branch .LBB279_131
.LBB279_128:                            ;   in Loop: Header=BB279_131 Depth=1
	s_or_b64 exec, exec, s[4:5]
	v_perm_b32 v5, v6, v5, s44
	v_perm_b32 v6, v8, v7, s44
	;; [unrolled: 1-line block ×3, first 2 shown]
	v_lshlrev_b32_e32 v8, 16, v5
	v_lshlrev_b32_e32 v17, 16, v30
	v_mul_f32_e32 v8, v8, v17
	v_and_b32_e32 v5, 0xffff0000, v5
	v_lshlrev_b32_e32 v16, 16, v16
	v_bfe_u32 v17, v8, 16, 1
	v_mul_f32_e32 v5, v5, v16
	v_add3_u32 v17, v17, v8, s43
	v_or_b32_e32 v18, 0x400000, v8
	v_cmp_u_f32_e64 s[2:3], v8, v8
	v_bfe_u32 v16, v5, 16, 1
	v_cndmask_b32_e64 v8, v17, v18, s[2:3]
	v_add3_u32 v16, v16, v5, s43
	v_or_b32_e32 v17, 0x400000, v5
	v_cmp_u_f32_e64 s[2:3], v5, v5
	v_cndmask_b32_e64 v5, v16, v17, s[2:3]
	v_lshlrev_b32_e32 v16, 16, v6
	v_lshlrev_b32_e32 v17, 16, v29
	v_mul_f32_e32 v16, v16, v17
	v_and_b32_e32 v6, 0xffff0000, v6
	v_lshlrev_b32_e32 v3, 16, v3
	v_bfe_u32 v17, v16, 16, 1
	v_mul_f32_e32 v3, v6, v3
	v_add3_u32 v17, v17, v16, s43
	v_or_b32_e32 v18, 0x400000, v16
	v_cmp_u_f32_e64 s[2:3], v16, v16
	v_bfe_u32 v6, v3, 16, 1
	v_cndmask_b32_e64 v16, v17, v18, s[2:3]
	v_add3_u32 v6, v6, v3, s43
	v_or_b32_e32 v17, 0x400000, v3
	v_cmp_u_f32_e64 s[2:3], v3, v3
	v_cndmask_b32_e64 v3, v6, v17, s[2:3]
	v_lshlrev_b32_e32 v6, 16, v7
	v_lshlrev_b32_e32 v2, 16, v2
	v_mul_f32_e32 v2, v6, v2
	v_bfe_u32 v6, v2, 16, 1
	v_add3_u32 v6, v6, v2, s43
	v_or_b32_e32 v17, 0x400000, v2
	v_cmp_u_f32_e64 s[2:3], v2, v2
	v_cndmask_b32_e64 v2, v6, v17, s[2:3]
	v_and_b32_e32 v6, 0xffff0000, v7
	v_lshlrev_b32_e32 v1, 16, v1
	v_mul_f32_e32 v1, v6, v1
	v_bfe_u32 v6, v1, 16, 1
	v_perm_b32 v4, v4, v19, s44
	v_add3_u32 v6, v6, v1, s43
	v_or_b32_e32 v7, 0x400000, v1
	v_cmp_u_f32_e64 s[2:3], v1, v1
	v_cndmask_b32_e64 v1, v6, v7, s[2:3]
	v_lshlrev_b32_e32 v6, 16, v4
	v_lshlrev_b32_e32 v7, 16, v15
	v_mul_f32_e32 v6, v6, v7
	v_bfe_u32 v7, v6, 16, 1
	v_add3_u32 v7, v7, v6, s43
	v_or_b32_e32 v15, 0x400000, v6
	v_cmp_u_f32_e64 s[2:3], v6, v6
	v_cndmask_b32_e64 v6, v7, v15, s[2:3]
	v_and_b32_e32 v4, 0xffff0000, v4
	v_lshlrev_b32_e32 v7, 16, v11
	v_mul_f32_e32 v4, v4, v7
	v_bfe_u32 v7, v4, 16, 1
	v_add3_u32 v7, v7, v4, s43
	v_or_b32_e32 v11, 0x400000, v4
	v_cmp_u_f32_e64 s[2:3], v4, v4
	v_cndmask_b32_e64 v4, v7, v11, s[2:3]
	v_and_b32_e32 v5, 0xffff0000, v5
	v_and_b32_e32 v7, 0xffff0000, v8
	v_add_f32_e32 v5, v7, v5
	v_and_b32_e32 v3, 0xffff0000, v3
	v_and_b32_e32 v7, 0xffff0000, v16
	v_add_f32_e32 v3, v7, v3
	;; [unrolled: 3-line block ×3, first 2 shown]
	v_add_f32_e32 v1, v2, v1
	v_add_f32_e32 v1, v1, v3
	v_and_b32_e32 v2, 0xffff0000, v4
	v_and_b32_e32 v3, 0xffff0000, v6
	v_add_f32_e32 v2, v3, v2
	v_add_f32_e32 v1, v2, v1
	;; [unrolled: 1-line block ×3, first 2 shown]
.LBB279_129:                            ;   in Loop: Header=BB279_131 Depth=1
	s_or_b64 exec, exec, s[20:21]
.LBB279_130:                            ;   in Loop: Header=BB279_131 Depth=1
	s_or_b64 exec, exec, s[18:19]
	v_add_co_u32_e64 v13, s[2:3], 8, v13
	v_add_u32_e32 v21, 2, v21
	v_addc_co_u32_e64 v14, s[2:3], 0, v14, s[2:3]
	v_cmp_le_i32_e64 s[2:3], s50, v21
	v_add_u32_e32 v22, 16, v22
	s_or_b64 s[16:17], s[2:3], s[16:17]
	v_add_u32_e32 v27, 64, v27
	s_andn2_b64 exec, exec, s[16:17]
	s_cbranch_execz .LBB279_233
.LBB279_131:                            ; =>This Inner Loop Header: Depth=1
	v_mul_hi_u32 v1, v22, s48
	v_mul_lo_u32 v2, v1, s33
	v_add_u32_e32 v3, 1, v1
	v_sub_u32_e32 v2, v22, v2
	v_cmp_le_u32_e64 s[2:3], s33, v2
	v_cndmask_b32_e64 v1, v1, v3, s[2:3]
	v_subrev_u32_e32 v3, s33, v2
	v_cndmask_b32_e64 v2, v2, v3, s[2:3]
	v_add_u32_e32 v3, 1, v1
	v_cmp_le_u32_e64 s[2:3], s33, v2
	v_cndmask_b32_e64 v1, v1, v3, s[2:3]
	v_xor_b32_e32 v1, s49, v1
	v_subrev_u32_e32 v1, s49, v1
	v_add_u32_e32 v2, s38, v1
	v_sub_u32_e32 v3, 0, v2
	v_max_i32_e32 v3, v2, v3
	v_mul_hi_u32 v4, v3, v26
	v_ashrrev_i32_e32 v2, 31, v2
	v_cmp_lt_i32_e64 s[4:5], s39, v1
	v_mul_lo_u32 v4, v4, s36
	v_sub_u32_e32 v3, v3, v4
	v_subrev_u32_e32 v4, s36, v3
	v_cmp_le_u32_e64 s[2:3], s36, v3
	v_cndmask_b32_e64 v3, v3, v4, s[2:3]
	v_subrev_u32_e32 v4, s36, v3
	v_cmp_le_u32_e64 s[2:3], s36, v3
	v_cndmask_b32_e64 v3, v3, v4, s[2:3]
	v_xor_b32_e32 v3, v3, v2
	v_sub_u32_e32 v2, v3, v2
	v_cmp_eq_u32_e64 s[2:3], 0, v2
	s_or_b64 s[2:3], s[2:3], s[4:5]
	s_and_saveexec_b64 s[18:19], s[2:3]
	s_cbranch_execz .LBB279_130
; %bb.132:                              ;   in Loop: Header=BB279_131 Depth=1
	global_load_dword v3, v[13:14], off
	v_mov_b32_e32 v1, s10
	v_mov_b32_e32 v2, s11
	;; [unrolled: 1-line block ×4, first 2 shown]
	s_waitcnt vmcnt(0)
	v_mad_i64_i32 v[15:16], s[2:3], v3, s37, v[1:2]
	v_add_co_u32_e64 v1, s[2:3], v15, v24
	v_addc_co_u32_e64 v2, s[2:3], 0, v16, s[2:3]
	global_load_dwordx2 v[17:18], v[1:2], off
	ds_read2_b64 v[5:8], v27 offset1:1
	ds_read2_b64 v[1:4], v27 offset0:2 offset1:3
	s_load_dword s45, s[14:15], 0x0
	s_waitcnt vmcnt(0)
	v_cmp_ne_u16_sdwa s[2:3], v17, v12 src0_sel:BYTE_0 src1_sel:DWORD
	s_and_saveexec_b64 s[4:5], s[2:3]
	s_cbranch_execz .LBB279_138
; %bb.133:                              ;   in Loop: Header=BB279_131 Depth=1
	v_cmp_ne_u16_sdwa s[2:3], v17, s41 src0_sel:BYTE_0 src1_sel:DWORD
	v_bfrev_b32_e32 v29, 1
	s_and_saveexec_b64 s[20:21], s[2:3]
	s_cbranch_execz .LBB279_137
; %bb.134:                              ;   in Loop: Header=BB279_131 Depth=1
	v_and_b32_e32 v11, 0x7f, v17
	v_cmp_ne_u32_e64 s[2:3], s42, v11
	v_mov_b32_e32 v29, 0x7f800001
	s_and_saveexec_b64 s[22:23], s[2:3]
	s_cbranch_execz .LBB279_136
; %bb.135:                              ;   in Loop: Header=BB279_131 Depth=1
	v_and_b32_e32 v19, 7, v17
	v_ffbh_u32_e32 v19, v19
	v_min_u32_e32 v19, 32, v19
	v_lshrrev_b32_e32 v29, 3, v11
	v_subrev_u32_e32 v31, 28, v19
	v_sub_u32_e32 v19, 29, v19
	v_cmp_gt_u32_e64 s[2:3], 8, v11
	v_cndmask_b32_e64 v11, v29, v19, s[2:3]
	v_cndmask_b32_e64 v19, 0, v31, s[2:3]
	v_lshlrev_b64 v[31:32], v19, v[17:18]
	v_lshlrev_b32_e32 v29, 24, v17
	v_lshlrev_b32_e32 v19, 20, v31
	v_and_b32_e32 v19, 0x700000, v19
	v_and_b32_e32 v29, 0x80000000, v29
	v_lshl_add_u32 v11, v11, 23, v28
	v_or3_b32 v29, v29, v11, v19
.LBB279_136:                            ;   in Loop: Header=BB279_131 Depth=1
	s_or_b64 exec, exec, s[22:23]
.LBB279_137:                            ;   in Loop: Header=BB279_131 Depth=1
	s_or_b64 exec, exec, s[20:21]
.LBB279_138:                            ;   in Loop: Header=BB279_131 Depth=1
	s_or_b64 exec, exec, s[4:5]
	v_lshrrev_b16_e32 v11, 8, v17
	v_cmp_ne_u16_e64 s[2:3], 0, v11
	s_and_saveexec_b64 s[4:5], s[2:3]
	s_cbranch_execz .LBB279_144
; %bb.139:                              ;   in Loop: Header=BB279_131 Depth=1
	v_cmp_ne_u16_e64 s[2:3], s41, v11
	v_bfrev_b32_e32 v30, 1
	s_and_saveexec_b64 s[20:21], s[2:3]
	s_cbranch_execz .LBB279_143
; %bb.140:                              ;   in Loop: Header=BB279_131 Depth=1
	v_and_b32_e32 v19, 0x7f, v11
	v_cmp_ne_u32_e64 s[2:3], s42, v19
	v_mov_b32_e32 v30, 0x7f800001
	s_and_saveexec_b64 s[22:23], s[2:3]
	s_cbranch_execz .LBB279_142
; %bb.141:                              ;   in Loop: Header=BB279_131 Depth=1
	v_and_b32_e32 v32, 7, v11
	v_ffbh_u32_e32 v30, v32
	v_min_u32_e32 v34, 32, v30
	v_subrev_u32_e32 v30, 28, v34
	v_lshlrev_b64 v[30:31], v30, v[11:12]
	v_lshrrev_b32_e32 v33, 3, v19
	v_sub_u32_e32 v11, 29, v34
	v_and_b32_e32 v30, 7, v30
	v_cmp_gt_u32_e64 s[2:3], 8, v19
	v_cndmask_b32_e64 v11, v33, v11, s[2:3]
	v_cndmask_b32_e64 v19, v32, v30, s[2:3]
	v_lshlrev_b32_e32 v30, 16, v17
	v_lshlrev_b32_e32 v19, 20, v19
	v_and_b32_e32 v30, 0x80000000, v30
	v_lshl_add_u32 v11, v11, 23, v28
	v_or3_b32 v30, v30, v11, v19
.LBB279_142:                            ;   in Loop: Header=BB279_131 Depth=1
	s_or_b64 exec, exec, s[22:23]
.LBB279_143:                            ;   in Loop: Header=BB279_131 Depth=1
	s_or_b64 exec, exec, s[20:21]
.LBB279_144:                            ;   in Loop: Header=BB279_131 Depth=1
	s_or_b64 exec, exec, s[4:5]
	v_lshrrev_b32_e32 v11, 16, v17
	v_cmp_ne_u16_sdwa s[2:3], v11, v12 src0_sel:BYTE_0 src1_sel:DWORD
	v_mov_b32_e32 v32, 0
	v_mov_b32_e32 v31, 0
	s_and_saveexec_b64 s[4:5], s[2:3]
	s_cbranch_execz .LBB279_150
; %bb.145:                              ;   in Loop: Header=BB279_131 Depth=1
	v_cmp_ne_u16_sdwa s[2:3], v11, s41 src0_sel:BYTE_0 src1_sel:DWORD
	v_bfrev_b32_e32 v31, 1
	s_and_saveexec_b64 s[20:21], s[2:3]
	s_cbranch_execz .LBB279_149
; %bb.146:                              ;   in Loop: Header=BB279_131 Depth=1
	v_bfe_u32 v19, v17, 16, 7
	v_cmp_ne_u32_e64 s[2:3], s42, v19
	v_mov_b32_e32 v31, 0x7f800001
	s_and_saveexec_b64 s[22:23], s[2:3]
	s_cbranch_execz .LBB279_148
; %bb.147:                              ;   in Loop: Header=BB279_131 Depth=1
	v_and_b32_e32 v31, 7, v11
	v_ffbh_u32_e32 v33, v31
	v_min_u32_e32 v36, 32, v33
	v_subrev_u32_e32 v33, 28, v36
	v_lshlrev_b64 v[33:34], v33, v[11:12]
	v_lshrrev_b32_e32 v35, 3, v19
	v_sub_u32_e32 v34, 29, v36
	v_and_b32_e32 v33, 7, v33
	v_cmp_gt_u32_e64 s[2:3], 8, v19
	v_cndmask_b32_e64 v19, v35, v34, s[2:3]
	v_cndmask_b32_e64 v31, v31, v33, s[2:3]
	v_lshlrev_b32_e32 v11, 24, v11
	v_lshlrev_b32_e32 v31, 20, v31
	v_and_b32_e32 v11, 0x80000000, v11
	v_lshl_add_u32 v19, v19, 23, v28
	v_or3_b32 v31, v11, v19, v31
.LBB279_148:                            ;   in Loop: Header=BB279_131 Depth=1
	s_or_b64 exec, exec, s[22:23]
.LBB279_149:                            ;   in Loop: Header=BB279_131 Depth=1
	s_or_b64 exec, exec, s[20:21]
.LBB279_150:                            ;   in Loop: Header=BB279_131 Depth=1
	s_or_b64 exec, exec, s[4:5]
	v_cmp_lt_u32_e64 s[2:3], s13, v17
	s_and_saveexec_b64 s[4:5], s[2:3]
	s_cbranch_execz .LBB279_156
; %bb.151:                              ;   in Loop: Header=BB279_131 Depth=1
	v_lshrrev_b32_e32 v11, 24, v17
	v_cmp_ne_u32_e64 s[2:3], s41, v11
	v_bfrev_b32_e32 v32, 1
	s_and_saveexec_b64 s[20:21], s[2:3]
	s_cbranch_execz .LBB279_155
; %bb.152:                              ;   in Loop: Header=BB279_131 Depth=1
	v_bfe_u32 v19, v17, 24, 7
	v_cmp_ne_u32_e64 s[2:3], s42, v19
	v_mov_b32_e32 v32, 0x7f800001
	s_and_saveexec_b64 s[22:23], s[2:3]
	s_cbranch_execz .LBB279_154
; %bb.153:                              ;   in Loop: Header=BB279_131 Depth=1
	v_and_b32_e32 v34, 7, v11
	v_ffbh_u32_e32 v32, v34
	v_min_u32_e32 v36, 32, v32
	v_subrev_u32_e32 v32, 28, v36
	v_lshlrev_b64 v[32:33], v32, v[11:12]
	v_lshrrev_b32_e32 v35, 3, v19
	v_sub_u32_e32 v33, 29, v36
	v_and_b32_e32 v32, 7, v32
	v_cmp_gt_u32_e64 s[2:3], 8, v19
	v_cndmask_b32_e64 v19, v35, v33, s[2:3]
	v_cndmask_b32_e64 v32, v34, v32, s[2:3]
	v_lshlrev_b32_e32 v11, 24, v11
	v_lshlrev_b32_e32 v32, 20, v32
	v_and_b32_e32 v11, 0x80000000, v11
	v_lshl_add_u32 v19, v19, 23, v28
	v_or3_b32 v32, v11, v19, v32
.LBB279_154:                            ;   in Loop: Header=BB279_131 Depth=1
	s_or_b64 exec, exec, s[22:23]
.LBB279_155:                            ;   in Loop: Header=BB279_131 Depth=1
	s_or_b64 exec, exec, s[20:21]
.LBB279_156:                            ;   in Loop: Header=BB279_131 Depth=1
	s_or_b64 exec, exec, s[4:5]
	v_mov_b32_e32 v11, v18
	v_cmp_ne_u16_sdwa s[2:3], v18, v12 src0_sel:BYTE_0 src1_sel:DWORD
	v_mov_b32_e32 v34, 0
	v_mov_b32_e32 v33, 0
	s_and_saveexec_b64 s[4:5], s[2:3]
	s_cbranch_execz .LBB279_162
; %bb.157:                              ;   in Loop: Header=BB279_131 Depth=1
	v_cmp_ne_u16_sdwa s[2:3], v18, s41 src0_sel:BYTE_0 src1_sel:DWORD
	v_bfrev_b32_e32 v33, 1
	s_and_saveexec_b64 s[20:21], s[2:3]
	s_cbranch_execz .LBB279_161
; %bb.158:                              ;   in Loop: Header=BB279_131 Depth=1
	v_and_b32_e32 v19, 0x7f, v18
	v_cmp_ne_u32_e64 s[2:3], s42, v19
	v_mov_b32_e32 v33, 0x7f800001
	s_and_saveexec_b64 s[22:23], s[2:3]
	s_cbranch_execz .LBB279_160
; %bb.159:                              ;   in Loop: Header=BB279_131 Depth=1
	v_and_b32_e32 v33, 7, v18
	v_ffbh_u32_e32 v33, v33
	v_min_u32_e32 v33, 32, v33
	v_lshrrev_b32_e32 v35, 3, v19
	v_subrev_u32_e32 v36, 28, v33
	v_sub_u32_e32 v33, 29, v33
	v_cmp_gt_u32_e64 s[2:3], 8, v19
	v_cndmask_b32_e64 v19, v35, v33, s[2:3]
	v_cndmask_b32_e64 v33, 0, v36, s[2:3]
	v_lshlrev_b64 v[35:36], v33, v[11:12]
	v_lshl_add_u32 v19, v19, 23, v28
	v_lshlrev_b32_e32 v33, 20, v35
	v_lshlrev_b32_e32 v35, 24, v11
	v_and_b32_e32 v33, 0x700000, v33
	v_and_b32_e32 v35, 0x80000000, v35
	v_or3_b32 v33, v35, v19, v33
.LBB279_160:                            ;   in Loop: Header=BB279_131 Depth=1
	s_or_b64 exec, exec, s[22:23]
.LBB279_161:                            ;   in Loop: Header=BB279_131 Depth=1
	s_or_b64 exec, exec, s[20:21]
.LBB279_162:                            ;   in Loop: Header=BB279_131 Depth=1
	s_or_b64 exec, exec, s[4:5]
	v_lshrrev_b16_e32 v19, 8, v11
	v_cmp_ne_u16_e64 s[2:3], 0, v19
	s_and_saveexec_b64 s[4:5], s[2:3]
	s_cbranch_execz .LBB279_168
; %bb.163:                              ;   in Loop: Header=BB279_131 Depth=1
	v_cmp_ne_u16_e64 s[2:3], s41, v19
	v_bfrev_b32_e32 v34, 1
	s_and_saveexec_b64 s[20:21], s[2:3]
	s_cbranch_execz .LBB279_167
; %bb.164:                              ;   in Loop: Header=BB279_131 Depth=1
	v_and_b32_e32 v35, 0x7f, v19
	v_cmp_ne_u32_e64 s[2:3], s42, v35
	v_mov_b32_e32 v34, 0x7f800001
	s_and_saveexec_b64 s[22:23], s[2:3]
	s_cbranch_execz .LBB279_166
; %bb.165:                              ;   in Loop: Header=BB279_131 Depth=1
	v_and_b32_e32 v34, 7, v19
	v_ffbh_u32_e32 v36, v34
	v_min_u32_e32 v39, 32, v36
	v_subrev_u32_e32 v36, 28, v39
	v_lshlrev_b64 v[36:37], v36, v[19:20]
	v_lshrrev_b32_e32 v38, 3, v35
	v_sub_u32_e32 v19, 29, v39
	v_and_b32_e32 v36, 7, v36
	v_cmp_gt_u32_e64 s[2:3], 8, v35
	v_cndmask_b32_e64 v19, v38, v19, s[2:3]
	v_cndmask_b32_e64 v34, v34, v36, s[2:3]
	v_lshlrev_b32_e32 v11, 16, v11
	v_lshlrev_b32_e32 v34, 20, v34
	v_and_b32_e32 v11, 0x80000000, v11
	v_lshl_add_u32 v19, v19, 23, v28
	v_or3_b32 v34, v11, v19, v34
.LBB279_166:                            ;   in Loop: Header=BB279_131 Depth=1
	s_or_b64 exec, exec, s[22:23]
.LBB279_167:                            ;   in Loop: Header=BB279_131 Depth=1
	s_or_b64 exec, exec, s[20:21]
.LBB279_168:                            ;   in Loop: Header=BB279_131 Depth=1
	s_or_b64 exec, exec, s[4:5]
	v_lshrrev_b32_e32 v11, 16, v18
	v_cmp_ne_u16_sdwa s[2:3], v11, v12 src0_sel:BYTE_0 src1_sel:DWORD
	v_mov_b32_e32 v19, 0
	v_mov_b32_e32 v35, 0
	s_and_saveexec_b64 s[4:5], s[2:3]
	s_cbranch_execz .LBB279_174
; %bb.169:                              ;   in Loop: Header=BB279_131 Depth=1
	v_cmp_ne_u16_sdwa s[2:3], v11, s41 src0_sel:BYTE_0 src1_sel:DWORD
	v_bfrev_b32_e32 v35, 1
	s_and_saveexec_b64 s[20:21], s[2:3]
	s_cbranch_execz .LBB279_173
; %bb.170:                              ;   in Loop: Header=BB279_131 Depth=1
	v_bfe_u32 v36, v18, 16, 7
	v_cmp_ne_u32_e64 s[2:3], s42, v36
	v_mov_b32_e32 v35, 0x7f800001
	s_and_saveexec_b64 s[22:23], s[2:3]
	s_cbranch_execz .LBB279_172
; %bb.171:                              ;   in Loop: Header=BB279_131 Depth=1
	v_and_b32_e32 v35, 7, v11
	v_ffbh_u32_e32 v37, v35
	v_min_u32_e32 v40, 32, v37
	v_subrev_u32_e32 v37, 28, v40
	v_lshlrev_b64 v[37:38], v37, v[11:12]
	v_lshrrev_b32_e32 v39, 3, v36
	v_sub_u32_e32 v38, 29, v40
	v_and_b32_e32 v37, 7, v37
	v_cmp_gt_u32_e64 s[2:3], 8, v36
	v_cndmask_b32_e64 v36, v39, v38, s[2:3]
	v_cndmask_b32_e64 v35, v35, v37, s[2:3]
	v_lshlrev_b32_e32 v11, 24, v11
	v_lshlrev_b32_e32 v35, 20, v35
	v_and_b32_e32 v11, 0x80000000, v11
	v_lshl_add_u32 v36, v36, 23, v28
	v_or3_b32 v35, v11, v36, v35
.LBB279_172:                            ;   in Loop: Header=BB279_131 Depth=1
	s_or_b64 exec, exec, s[22:23]
.LBB279_173:                            ;   in Loop: Header=BB279_131 Depth=1
	s_or_b64 exec, exec, s[20:21]
.LBB279_174:                            ;   in Loop: Header=BB279_131 Depth=1
	s_or_b64 exec, exec, s[4:5]
	v_cmp_lt_u64_e64 s[2:3], s[12:13], v[17:18]
	s_and_saveexec_b64 s[4:5], s[2:3]
	s_cbranch_execz .LBB279_180
; %bb.175:                              ;   in Loop: Header=BB279_131 Depth=1
	v_lshrrev_b32_e32 v11, 24, v18
	v_cmp_ne_u32_e64 s[2:3], s41, v11
	v_bfrev_b32_e32 v19, 1
	s_and_saveexec_b64 s[20:21], s[2:3]
	s_cbranch_execz .LBB279_179
; %bb.176:                              ;   in Loop: Header=BB279_131 Depth=1
	v_bfe_u32 v17, v18, 24, 7
	v_cmp_ne_u32_e64 s[2:3], s42, v17
	v_mov_b32_e32 v19, 0x7f800001
	s_and_saveexec_b64 s[22:23], s[2:3]
	s_cbranch_execz .LBB279_178
; %bb.177:                              ;   in Loop: Header=BB279_131 Depth=1
	v_and_b32_e32 v36, 7, v11
	v_ffbh_u32_e32 v18, v36
	v_min_u32_e32 v38, 32, v18
	v_subrev_u32_e32 v18, 28, v38
	v_lshlrev_b64 v[18:19], v18, v[11:12]
	v_lshrrev_b32_e32 v37, 3, v17
	v_sub_u32_e32 v19, 29, v38
	v_and_b32_e32 v18, 7, v18
	v_cmp_gt_u32_e64 s[2:3], 8, v17
	v_cndmask_b32_e64 v17, v37, v19, s[2:3]
	v_cndmask_b32_e64 v18, v36, v18, s[2:3]
	v_lshlrev_b32_e32 v11, 24, v11
	v_lshlrev_b32_e32 v18, 20, v18
	v_and_b32_e32 v11, 0x80000000, v11
	v_lshl_add_u32 v17, v17, 23, v28
	v_or3_b32 v19, v11, v17, v18
.LBB279_178:                            ;   in Loop: Header=BB279_131 Depth=1
	s_or_b64 exec, exec, s[22:23]
.LBB279_179:                            ;   in Loop: Header=BB279_131 Depth=1
	s_or_b64 exec, exec, s[20:21]
.LBB279_180:                            ;   in Loop: Header=BB279_131 Depth=1
	s_or_b64 exec, exec, s[4:5]
	s_waitcnt lgkmcnt(0)
	v_mul_f32_e32 v11, s45, v34
	v_bfe_u32 v17, v11, 16, 1
	v_add3_u32 v17, v17, v11, s43
	v_or_b32_e32 v18, 0x400000, v11
	v_cmp_u_f32_e64 s[4:5], v11, v11
	v_cndmask_b32_e64 v11, v17, v18, s[4:5]
	v_mul_f32_e32 v17, s45, v33
	v_bfe_u32 v18, v17, 16, 1
	v_add3_u32 v18, v18, v17, s43
	v_or_b32_e32 v33, 0x400000, v17
	v_cmp_u_f32_e64 s[4:5], v17, v17
	v_cndmask_b32_e64 v17, v18, v33, s[4:5]
	v_lshrrev_b32_e32 v33, 16, v17
	v_mul_f32_e32 v17, s45, v32
	v_bfe_u32 v18, v17, 16, 1
	v_add3_u32 v18, v18, v17, s43
	v_or_b32_e32 v32, 0x400000, v17
	v_cmp_u_f32_e64 s[4:5], v17, v17
	v_cndmask_b32_e64 v17, v18, v32, s[4:5]
	v_lshrrev_b32_e32 v32, 16, v17
	v_mul_f32_e32 v17, s45, v31
	v_bfe_u32 v18, v17, 16, 1
	v_add3_u32 v18, v18, v17, s43
	v_or_b32_e32 v31, 0x400000, v17
	v_cmp_u_f32_e64 s[4:5], v17, v17
	v_cndmask_b32_e64 v17, v18, v31, s[4:5]
	v_lshrrev_b32_e32 v31, 16, v17
	v_mul_f32_e32 v17, s45, v30
	v_bfe_u32 v18, v17, 16, 1
	v_add3_u32 v18, v18, v17, s43
	v_or_b32_e32 v30, 0x400000, v17
	v_cmp_u_f32_e64 s[4:5], v17, v17
	v_cndmask_b32_e64 v17, v18, v30, s[4:5]
	v_lshrrev_b32_e32 v34, 16, v17
	v_mul_f32_e32 v17, s45, v29
	v_bfe_u32 v18, v17, 16, 1
	v_add3_u32 v18, v18, v17, s43
	v_or_b32_e32 v29, 0x400000, v17
	v_cmp_u_f32_e64 s[4:5], v17, v17
	v_cndmask_b32_e64 v17, v18, v29, s[4:5]
	v_lshrrev_b32_e32 v36, 16, v17
	v_mul_f32_e32 v17, s45, v35
	v_bfe_u32 v18, v17, 16, 1
	v_add3_u32 v18, v18, v17, s43
	v_or_b32_e32 v29, 0x400000, v17
	v_cmp_u_f32_e64 s[4:5], v17, v17
	v_cndmask_b32_e64 v17, v18, v29, s[4:5]
	v_lshrrev_b32_e32 v30, 16, v17
	v_mul_f32_e32 v17, s45, v19
	v_bfe_u32 v18, v17, 16, 1
	v_add3_u32 v18, v18, v17, s43
	v_or_b32_e32 v19, 0x400000, v17
	v_cmp_u_f32_e64 s[4:5], v17, v17
	v_cndmask_b32_e64 v17, v18, v19, s[4:5]
	v_cmp_eq_u32_e64 s[2:3], s40, v21
	v_lshrrev_b32_e32 v11, 16, v11
	v_lshrrev_b32_e32 v29, 16, v17
	s_and_saveexec_b64 s[20:21], s[2:3]
	s_cbranch_execz .LBB279_182
; %bb.181:                              ;   in Loop: Header=BB279_131 Depth=1
	v_cmp_gt_i32_e64 s[4:5], s25, v22
	v_add_u32_e32 v17, 1, v22
	v_cndmask_b32_e64 v36, 0, v36, s[4:5]
	v_cmp_gt_i32_e64 s[4:5], s25, v17
	v_add_u32_e32 v17, 2, v22
	v_cndmask_b32_e64 v34, 0, v34, s[4:5]
	;; [unrolled: 3-line block ×7, first 2 shown]
	v_cmp_gt_i32_e64 s[4:5], s25, v17
	v_cndmask_b32_e64 v29, 0, v29, s[4:5]
.LBB279_182:                            ;   in Loop: Header=BB279_131 Depth=1
	s_or_b64 exec, exec, s[20:21]
	v_bfe_u32 v17, v5, 16, 1
	v_add3_u32 v17, v17, v5, s43
	v_or_b32_e32 v18, 0x400000, v5
	v_cmp_u_f32_e64 s[4:5], v5, v5
	v_cndmask_b32_e64 v5, v17, v18, s[4:5]
	v_bfe_u32 v17, v6, 16, 1
	v_add3_u32 v17, v17, v6, s43
	v_or_b32_e32 v18, 0x400000, v6
	v_cmp_u_f32_e64 s[4:5], v6, v6
	v_cndmask_b32_e64 v6, v17, v18, s[4:5]
	;; [unrolled: 5-line block ×4, first 2 shown]
	v_bfe_u32 v17, v1, 16, 1
	v_add3_u32 v17, v17, v1, s43
	v_or_b32_e32 v18, 0x400000, v1
	v_cmp_u_f32_e64 s[4:5], v1, v1
	v_bfe_u32 v1, v2, 16, 1
	v_cndmask_b32_e64 v17, v17, v18, s[4:5]
	v_add3_u32 v1, v1, v2, s43
	v_or_b32_e32 v18, 0x400000, v2
	v_cmp_u_f32_e64 s[4:5], v2, v2
	v_cndmask_b32_e64 v18, v1, v18, s[4:5]
	v_bfe_u32 v1, v3, 16, 1
	v_add3_u32 v1, v1, v3, s43
	v_or_b32_e32 v2, 0x400000, v3
	v_cmp_u_f32_e64 s[4:5], v3, v3
	v_cndmask_b32_e64 v19, v1, v2, s[4:5]
	v_bfe_u32 v1, v4, 16, 1
	v_add3_u32 v1, v1, v4, s43
	v_or_b32_e32 v2, 0x400000, v4
	v_cmp_u_f32_e64 s[4:5], v4, v4
	v_cndmask_b32_e64 v4, v1, v2, s[4:5]
	v_and_b32_e32 v1, 0xffff0000, v5
	v_lshlrev_b32_e32 v2, 16, v36
	v_mul_f32_e32 v1, v1, v2
	v_bfe_u32 v2, v1, 16, 1
	v_add3_u32 v2, v2, v1, s43
	v_or_b32_e32 v3, 0x400000, v1
	v_cmp_u_f32_e64 s[4:5], v1, v1
	v_cndmask_b32_e64 v1, v2, v3, s[4:5]
	v_and_b32_e32 v2, 0xffff0000, v6
	v_lshlrev_b32_e32 v3, 16, v34
	v_mul_f32_e32 v2, v2, v3
	;; [unrolled: 8-line block ×7, first 2 shown]
	v_bfe_u32 v33, v30, 16, 1
	v_add3_u32 v33, v33, v30, s43
	v_or_b32_e32 v34, 0x400000, v30
	v_cmp_u_f32_e64 s[4:5], v30, v30
	v_cndmask_b32_e64 v30, v33, v34, s[4:5]
	v_and_b32_e32 v33, 0xffff0000, v4
	v_lshlrev_b32_e32 v29, 16, v29
	v_and_b32_e32 v2, 0xffff0000, v2
	v_and_b32_e32 v1, 0xffff0000, v1
	v_mul_f32_e32 v29, v33, v29
	v_add_f32_e32 v1, v1, v2
	v_and_b32_e32 v2, 0xffff0000, v31
	v_and_b32_e32 v3, 0xffff0000, v3
	v_bfe_u32 v33, v29, 16, 1
	v_add_f32_e32 v2, v3, v2
	v_add3_u32 v33, v33, v29, s43
	v_or_b32_e32 v34, 0x400000, v29
	v_cmp_u_f32_e64 s[4:5], v29, v29
	v_add_f32_e32 v1, v2, v1
	v_and_b32_e32 v2, 0xffff0000, v11
	v_and_b32_e32 v3, 0xffff0000, v32
	v_cndmask_b32_e64 v29, v33, v34, s[4:5]
	v_add_f32_e32 v2, v3, v2
	v_add_f32_e32 v1, v2, v1
	v_and_b32_e32 v2, 0xffff0000, v29
	v_and_b32_e32 v3, 0xffff0000, v30
	v_add_f32_e32 v2, v3, v2
	v_add_f32_e32 v1, v2, v1
	;; [unrolled: 1-line block ×3, first 2 shown]
	s_and_saveexec_b64 s[20:21], vcc
	s_cbranch_execz .LBB279_129
; %bb.183:                              ;   in Loop: Header=BB279_131 Depth=1
	v_add_co_u32_e64 v1, s[4:5], v15, v25
	v_addc_co_u32_e64 v2, s[4:5], 0, v16, s[4:5]
	global_load_dwordx2 v[1:2], v[1:2], off
	v_mov_b32_e32 v16, 0
	v_mov_b32_e32 v15, 0
	s_waitcnt vmcnt(0)
	v_cmp_ne_u16_sdwa s[4:5], v1, v12 src0_sel:BYTE_0 src1_sel:DWORD
	s_and_saveexec_b64 s[22:23], s[4:5]
	s_cbranch_execz .LBB279_189
; %bb.184:                              ;   in Loop: Header=BB279_131 Depth=1
	v_cmp_ne_u16_sdwa s[4:5], v1, s41 src0_sel:BYTE_0 src1_sel:DWORD
	v_bfrev_b32_e32 v15, 1
	s_and_saveexec_b64 s[30:31], s[4:5]
	s_cbranch_execz .LBB279_188
; %bb.185:                              ;   in Loop: Header=BB279_131 Depth=1
	v_and_b32_e32 v3, 0x7f, v1
	v_cmp_ne_u32_e64 s[4:5], s42, v3
	v_mov_b32_e32 v15, 0x7f800001
	s_and_saveexec_b64 s[34:35], s[4:5]
	s_cbranch_execz .LBB279_187
; %bb.186:                              ;   in Loop: Header=BB279_131 Depth=1
	v_and_b32_e32 v11, 7, v1
	v_ffbh_u32_e32 v11, v11
	v_min_u32_e32 v11, 32, v11
	v_lshrrev_b32_e32 v15, 3, v3
	v_subrev_u32_e32 v29, 28, v11
	v_sub_u32_e32 v11, 29, v11
	v_cmp_gt_u32_e64 s[4:5], 8, v3
	v_cndmask_b32_e64 v3, v15, v11, s[4:5]
	v_cndmask_b32_e64 v11, 0, v29, s[4:5]
	v_lshlrev_b64 v[29:30], v11, v[1:2]
	v_lshlrev_b32_e32 v15, 24, v1
	v_lshlrev_b32_e32 v11, 20, v29
	v_and_b32_e32 v11, 0x700000, v11
	v_and_b32_e32 v15, 0x80000000, v15
	v_lshl_add_u32 v3, v3, 23, v28
	v_or3_b32 v15, v15, v3, v11
.LBB279_187:                            ;   in Loop: Header=BB279_131 Depth=1
	s_or_b64 exec, exec, s[34:35]
.LBB279_188:                            ;   in Loop: Header=BB279_131 Depth=1
	s_or_b64 exec, exec, s[30:31]
.LBB279_189:                            ;   in Loop: Header=BB279_131 Depth=1
	s_or_b64 exec, exec, s[22:23]
	v_lshrrev_b16_e32 v3, 8, v1
	v_cmp_ne_u16_e64 s[4:5], 0, v3
	s_and_saveexec_b64 s[22:23], s[4:5]
	s_cbranch_execz .LBB279_195
; %bb.190:                              ;   in Loop: Header=BB279_131 Depth=1
	v_cmp_ne_u16_e64 s[4:5], s41, v3
	v_bfrev_b32_e32 v16, 1
	s_and_saveexec_b64 s[30:31], s[4:5]
	s_cbranch_execz .LBB279_194
; %bb.191:                              ;   in Loop: Header=BB279_131 Depth=1
	v_and_b32_e32 v11, 0x7f, v3
	v_cmp_ne_u32_e64 s[4:5], s42, v11
	v_mov_b32_e32 v16, 0x7f800001
	s_and_saveexec_b64 s[34:35], s[4:5]
	s_cbranch_execz .LBB279_193
; %bb.192:                              ;   in Loop: Header=BB279_131 Depth=1
	v_and_b32_e32 v16, 7, v3
	v_ffbh_u32_e32 v29, v16
	v_min_u32_e32 v32, 32, v29
	v_subrev_u32_e32 v29, 28, v32
	v_lshlrev_b64 v[29:30], v29, v[3:4]
	v_lshrrev_b32_e32 v31, 3, v11
	v_sub_u32_e32 v3, 29, v32
	v_and_b32_e32 v29, 7, v29
	v_cmp_gt_u32_e64 s[4:5], 8, v11
	v_cndmask_b32_e64 v3, v31, v3, s[4:5]
	v_cndmask_b32_e64 v11, v16, v29, s[4:5]
	v_lshlrev_b32_e32 v16, 16, v1
	v_lshlrev_b32_e32 v11, 20, v11
	v_and_b32_e32 v16, 0x80000000, v16
	v_lshl_add_u32 v3, v3, 23, v28
	v_or3_b32 v16, v16, v3, v11
.LBB279_193:                            ;   in Loop: Header=BB279_131 Depth=1
	s_or_b64 exec, exec, s[34:35]
.LBB279_194:                            ;   in Loop: Header=BB279_131 Depth=1
	s_or_b64 exec, exec, s[30:31]
.LBB279_195:                            ;   in Loop: Header=BB279_131 Depth=1
	s_or_b64 exec, exec, s[22:23]
	v_lshrrev_b32_e32 v3, 16, v1
	v_cmp_ne_u16_sdwa s[4:5], v3, v12 src0_sel:BYTE_0 src1_sel:DWORD
	v_mov_b32_e32 v30, 0
	v_mov_b32_e32 v29, 0
	s_and_saveexec_b64 s[22:23], s[4:5]
	s_cbranch_execz .LBB279_201
; %bb.196:                              ;   in Loop: Header=BB279_131 Depth=1
	v_cmp_ne_u16_sdwa s[4:5], v3, s41 src0_sel:BYTE_0 src1_sel:DWORD
	v_bfrev_b32_e32 v29, 1
	s_and_saveexec_b64 s[30:31], s[4:5]
	s_cbranch_execz .LBB279_200
; %bb.197:                              ;   in Loop: Header=BB279_131 Depth=1
	v_bfe_u32 v11, v1, 16, 7
	v_cmp_ne_u32_e64 s[4:5], s42, v11
	v_mov_b32_e32 v29, 0x7f800001
	s_and_saveexec_b64 s[34:35], s[4:5]
	s_cbranch_execz .LBB279_199
; %bb.198:                              ;   in Loop: Header=BB279_131 Depth=1
	v_and_b32_e32 v29, 7, v3
	v_ffbh_u32_e32 v31, v29
	v_min_u32_e32 v34, 32, v31
	v_subrev_u32_e32 v31, 28, v34
	v_lshlrev_b64 v[31:32], v31, v[3:4]
	v_lshrrev_b32_e32 v33, 3, v11
	v_sub_u32_e32 v32, 29, v34
	v_and_b32_e32 v31, 7, v31
	v_cmp_gt_u32_e64 s[4:5], 8, v11
	v_cndmask_b32_e64 v11, v33, v32, s[4:5]
	v_cndmask_b32_e64 v29, v29, v31, s[4:5]
	v_lshlrev_b32_e32 v3, 24, v3
	v_lshlrev_b32_e32 v29, 20, v29
	v_and_b32_e32 v3, 0x80000000, v3
	v_lshl_add_u32 v11, v11, 23, v28
	v_or3_b32 v29, v3, v11, v29
.LBB279_199:                            ;   in Loop: Header=BB279_131 Depth=1
	s_or_b64 exec, exec, s[34:35]
.LBB279_200:                            ;   in Loop: Header=BB279_131 Depth=1
	s_or_b64 exec, exec, s[30:31]
.LBB279_201:                            ;   in Loop: Header=BB279_131 Depth=1
	s_or_b64 exec, exec, s[22:23]
	v_cmp_lt_u32_e64 s[4:5], s13, v1
	s_and_saveexec_b64 s[22:23], s[4:5]
	s_cbranch_execz .LBB279_207
; %bb.202:                              ;   in Loop: Header=BB279_131 Depth=1
	v_lshrrev_b32_e32 v3, 24, v1
	v_cmp_ne_u32_e64 s[4:5], s41, v3
	v_bfrev_b32_e32 v30, 1
	s_and_saveexec_b64 s[30:31], s[4:5]
	s_cbranch_execz .LBB279_206
; %bb.203:                              ;   in Loop: Header=BB279_131 Depth=1
	v_bfe_u32 v11, v1, 24, 7
	v_cmp_ne_u32_e64 s[4:5], s42, v11
	v_mov_b32_e32 v30, 0x7f800001
	s_and_saveexec_b64 s[34:35], s[4:5]
	s_cbranch_execz .LBB279_205
; %bb.204:                              ;   in Loop: Header=BB279_131 Depth=1
	v_and_b32_e32 v32, 7, v3
	v_ffbh_u32_e32 v30, v32
	v_min_u32_e32 v34, 32, v30
	v_subrev_u32_e32 v30, 28, v34
	v_lshlrev_b64 v[30:31], v30, v[3:4]
	v_lshrrev_b32_e32 v33, 3, v11
	v_sub_u32_e32 v31, 29, v34
	v_and_b32_e32 v30, 7, v30
	v_cmp_gt_u32_e64 s[4:5], 8, v11
	v_cndmask_b32_e64 v11, v33, v31, s[4:5]
	v_cndmask_b32_e64 v30, v32, v30, s[4:5]
	v_lshlrev_b32_e32 v3, 24, v3
	v_lshlrev_b32_e32 v30, 20, v30
	v_and_b32_e32 v3, 0x80000000, v3
	v_lshl_add_u32 v11, v11, 23, v28
	v_or3_b32 v30, v3, v11, v30
.LBB279_205:                            ;   in Loop: Header=BB279_131 Depth=1
	s_or_b64 exec, exec, s[34:35]
.LBB279_206:                            ;   in Loop: Header=BB279_131 Depth=1
	s_or_b64 exec, exec, s[30:31]
.LBB279_207:                            ;   in Loop: Header=BB279_131 Depth=1
	s_or_b64 exec, exec, s[22:23]
	v_mov_b32_e32 v11, v2
	v_cmp_ne_u16_sdwa s[4:5], v2, v12 src0_sel:BYTE_0 src1_sel:DWORD
	v_mov_b32_e32 v32, 0
	v_mov_b32_e32 v31, 0
	s_and_saveexec_b64 s[22:23], s[4:5]
	s_cbranch_execz .LBB279_213
; %bb.208:                              ;   in Loop: Header=BB279_131 Depth=1
	v_cmp_ne_u16_sdwa s[4:5], v2, s41 src0_sel:BYTE_0 src1_sel:DWORD
	v_bfrev_b32_e32 v31, 1
	s_and_saveexec_b64 s[30:31], s[4:5]
	s_cbranch_execz .LBB279_212
; %bb.209:                              ;   in Loop: Header=BB279_131 Depth=1
	v_and_b32_e32 v3, 0x7f, v2
	v_cmp_ne_u32_e64 s[4:5], s42, v3
	v_mov_b32_e32 v31, 0x7f800001
	s_and_saveexec_b64 s[34:35], s[4:5]
	s_cbranch_execz .LBB279_211
; %bb.210:                              ;   in Loop: Header=BB279_131 Depth=1
	v_and_b32_e32 v31, 7, v2
	v_ffbh_u32_e32 v31, v31
	v_min_u32_e32 v31, 32, v31
	v_lshrrev_b32_e32 v33, 3, v3
	v_subrev_u32_e32 v34, 28, v31
	v_sub_u32_e32 v31, 29, v31
	v_cmp_gt_u32_e64 s[4:5], 8, v3
	v_cndmask_b32_e64 v3, v33, v31, s[4:5]
	v_cndmask_b32_e64 v31, 0, v34, s[4:5]
	v_lshlrev_b64 v[33:34], v31, v[11:12]
	v_lshl_add_u32 v3, v3, 23, v28
	v_lshlrev_b32_e32 v31, 20, v33
	v_lshlrev_b32_e32 v33, 24, v11
	v_and_b32_e32 v31, 0x700000, v31
	v_and_b32_e32 v33, 0x80000000, v33
	v_or3_b32 v31, v33, v3, v31
.LBB279_211:                            ;   in Loop: Header=BB279_131 Depth=1
	s_or_b64 exec, exec, s[34:35]
.LBB279_212:                            ;   in Loop: Header=BB279_131 Depth=1
	s_or_b64 exec, exec, s[30:31]
.LBB279_213:                            ;   in Loop: Header=BB279_131 Depth=1
	s_or_b64 exec, exec, s[22:23]
	v_lshrrev_b16_e32 v3, 8, v11
	v_cmp_ne_u16_e64 s[4:5], 0, v3
	s_and_saveexec_b64 s[22:23], s[4:5]
	s_cbranch_execz .LBB279_219
; %bb.214:                              ;   in Loop: Header=BB279_131 Depth=1
	v_cmp_ne_u16_e64 s[4:5], s41, v3
	v_bfrev_b32_e32 v32, 1
	s_and_saveexec_b64 s[30:31], s[4:5]
	s_cbranch_execz .LBB279_218
; %bb.215:                              ;   in Loop: Header=BB279_131 Depth=1
	v_and_b32_e32 v33, 0x7f, v3
	v_cmp_ne_u32_e64 s[4:5], s42, v33
	v_mov_b32_e32 v32, 0x7f800001
	s_and_saveexec_b64 s[34:35], s[4:5]
	s_cbranch_execz .LBB279_217
; %bb.216:                              ;   in Loop: Header=BB279_131 Depth=1
	v_and_b32_e32 v32, 7, v3
	v_ffbh_u32_e32 v34, v32
	v_min_u32_e32 v37, 32, v34
	v_subrev_u32_e32 v34, 28, v37
	v_lshlrev_b64 v[34:35], v34, v[3:4]
	v_lshrrev_b32_e32 v36, 3, v33
	v_sub_u32_e32 v3, 29, v37
	v_and_b32_e32 v34, 7, v34
	v_cmp_gt_u32_e64 s[4:5], 8, v33
	v_cndmask_b32_e64 v3, v36, v3, s[4:5]
	v_cndmask_b32_e64 v32, v32, v34, s[4:5]
	v_lshlrev_b32_e32 v11, 16, v11
	v_lshlrev_b32_e32 v32, 20, v32
	v_and_b32_e32 v11, 0x80000000, v11
	v_lshl_add_u32 v3, v3, 23, v28
	v_or3_b32 v32, v11, v3, v32
.LBB279_217:                            ;   in Loop: Header=BB279_131 Depth=1
	s_or_b64 exec, exec, s[34:35]
.LBB279_218:                            ;   in Loop: Header=BB279_131 Depth=1
	s_or_b64 exec, exec, s[30:31]
.LBB279_219:                            ;   in Loop: Header=BB279_131 Depth=1
	s_or_b64 exec, exec, s[22:23]
	v_lshrrev_b32_e32 v3, 16, v2
	v_cmp_ne_u16_sdwa s[4:5], v3, v12 src0_sel:BYTE_0 src1_sel:DWORD
	v_mov_b32_e32 v11, 0
	v_mov_b32_e32 v33, 0
	s_and_saveexec_b64 s[22:23], s[4:5]
	s_cbranch_execz .LBB279_225
; %bb.220:                              ;   in Loop: Header=BB279_131 Depth=1
	v_cmp_ne_u16_sdwa s[4:5], v3, s41 src0_sel:BYTE_0 src1_sel:DWORD
	v_bfrev_b32_e32 v33, 1
	s_and_saveexec_b64 s[30:31], s[4:5]
	s_cbranch_execz .LBB279_224
; %bb.221:                              ;   in Loop: Header=BB279_131 Depth=1
	v_bfe_u32 v34, v2, 16, 7
	v_cmp_ne_u32_e64 s[4:5], s42, v34
	v_mov_b32_e32 v33, 0x7f800001
	s_and_saveexec_b64 s[34:35], s[4:5]
	s_cbranch_execz .LBB279_223
; %bb.222:                              ;   in Loop: Header=BB279_131 Depth=1
	v_and_b32_e32 v33, 7, v3
	v_ffbh_u32_e32 v35, v33
	v_min_u32_e32 v38, 32, v35
	v_subrev_u32_e32 v35, 28, v38
	v_lshlrev_b64 v[35:36], v35, v[3:4]
	v_lshrrev_b32_e32 v37, 3, v34
	v_sub_u32_e32 v36, 29, v38
	v_and_b32_e32 v35, 7, v35
	v_cmp_gt_u32_e64 s[4:5], 8, v34
	v_cndmask_b32_e64 v34, v37, v36, s[4:5]
	v_cndmask_b32_e64 v33, v33, v35, s[4:5]
	v_lshlrev_b32_e32 v3, 24, v3
	v_lshlrev_b32_e32 v33, 20, v33
	v_and_b32_e32 v3, 0x80000000, v3
	v_lshl_add_u32 v34, v34, 23, v28
	v_or3_b32 v33, v3, v34, v33
.LBB279_223:                            ;   in Loop: Header=BB279_131 Depth=1
	s_or_b64 exec, exec, s[34:35]
.LBB279_224:                            ;   in Loop: Header=BB279_131 Depth=1
	s_or_b64 exec, exec, s[30:31]
.LBB279_225:                            ;   in Loop: Header=BB279_131 Depth=1
	s_or_b64 exec, exec, s[22:23]
	v_cmp_lt_u64_e64 s[4:5], s[12:13], v[1:2]
	s_and_saveexec_b64 s[22:23], s[4:5]
	s_cbranch_execz .LBB279_231
; %bb.226:                              ;   in Loop: Header=BB279_131 Depth=1
	v_lshrrev_b32_e32 v1, 24, v2
	v_cmp_ne_u32_e64 s[4:5], s41, v1
	v_bfrev_b32_e32 v11, 1
	s_and_saveexec_b64 s[30:31], s[4:5]
	s_cbranch_execz .LBB279_230
; %bb.227:                              ;   in Loop: Header=BB279_131 Depth=1
	v_bfe_u32 v2, v2, 24, 7
	v_cmp_ne_u32_e64 s[4:5], s42, v2
	v_mov_b32_e32 v11, 0x7f800001
	s_and_saveexec_b64 s[34:35], s[4:5]
	s_cbranch_execz .LBB279_229
; %bb.228:                              ;   in Loop: Header=BB279_131 Depth=1
	v_and_b32_e32 v3, 7, v1
	v_ffbh_u32_e32 v34, v3
	v_min_u32_e32 v36, 32, v34
	v_subrev_u32_e32 v34, 28, v36
	v_lshlrev_b64 v[34:35], v34, v[1:2]
	v_lshrrev_b32_e32 v11, 3, v2
	v_sub_u32_e32 v35, 29, v36
	v_and_b32_e32 v34, 7, v34
	v_cmp_gt_u32_e64 s[4:5], 8, v2
	v_cndmask_b32_e64 v2, v11, v35, s[4:5]
	v_cndmask_b32_e64 v3, v3, v34, s[4:5]
	v_lshlrev_b32_e32 v1, 24, v1
	v_lshlrev_b32_e32 v3, 20, v3
	v_and_b32_e32 v1, 0x80000000, v1
	v_lshl_add_u32 v2, v2, 23, v28
	v_or3_b32 v11, v1, v2, v3
.LBB279_229:                            ;   in Loop: Header=BB279_131 Depth=1
	s_or_b64 exec, exec, s[34:35]
.LBB279_230:                            ;   in Loop: Header=BB279_131 Depth=1
	s_or_b64 exec, exec, s[30:31]
.LBB279_231:                            ;   in Loop: Header=BB279_131 Depth=1
	s_or_b64 exec, exec, s[22:23]
	v_mul_f32_e32 v1, s45, v32
	v_bfe_u32 v2, v1, 16, 1
	v_add3_u32 v2, v2, v1, s43
	v_or_b32_e32 v3, 0x400000, v1
	v_cmp_u_f32_e64 s[4:5], v1, v1
	v_cndmask_b32_e64 v1, v2, v3, s[4:5]
	v_mul_f32_e32 v2, s45, v31
	v_bfe_u32 v3, v2, 16, 1
	v_add3_u32 v3, v3, v2, s43
	v_or_b32_e32 v31, 0x400000, v2
	v_cmp_u_f32_e64 s[4:5], v2, v2
	v_cndmask_b32_e64 v2, v3, v31, s[4:5]
	v_mul_f32_e32 v3, s45, v30
	v_bfe_u32 v30, v3, 16, 1
	v_add3_u32 v30, v30, v3, s43
	v_or_b32_e32 v31, 0x400000, v3
	v_cmp_u_f32_e64 s[4:5], v3, v3
	v_mul_f32_e32 v29, s45, v29
	v_cndmask_b32_e64 v3, v30, v31, s[4:5]
	v_bfe_u32 v30, v29, 16, 1
	v_add3_u32 v30, v30, v29, s43
	v_or_b32_e32 v31, 0x400000, v29
	v_cmp_u_f32_e64 s[4:5], v29, v29
	v_mul_f32_e32 v16, s45, v16
	v_cndmask_b32_e64 v29, v30, v31, s[4:5]
	;; [unrolled: 6-line block ×3, first 2 shown]
	v_bfe_u32 v30, v15, 16, 1
	v_add3_u32 v30, v30, v15, s43
	v_or_b32_e32 v31, 0x400000, v15
	v_cmp_u_f32_e64 s[4:5], v15, v15
	v_cndmask_b32_e64 v15, v30, v31, s[4:5]
	v_lshrrev_b32_e32 v30, 16, v15
	v_mul_f32_e32 v15, s45, v33
	v_bfe_u32 v31, v15, 16, 1
	v_add3_u32 v31, v31, v15, s43
	v_or_b32_e32 v32, 0x400000, v15
	v_cmp_u_f32_e64 s[4:5], v15, v15
	v_mul_f32_e32 v11, s45, v11
	v_cndmask_b32_e64 v15, v31, v32, s[4:5]
	v_bfe_u32 v31, v11, 16, 1
	v_add3_u32 v31, v31, v11, s43
	v_or_b32_e32 v32, 0x400000, v11
	v_cmp_u_f32_e64 s[4:5], v11, v11
	v_cndmask_b32_e64 v11, v31, v32, s[4:5]
	v_lshrrev_b32_e32 v1, 16, v1
	v_lshrrev_b32_e32 v2, 16, v2
	;; [unrolled: 1-line block ×7, first 2 shown]
	s_and_saveexec_b64 s[4:5], s[2:3]
	s_cbranch_execz .LBB279_128
; %bb.232:                              ;   in Loop: Header=BB279_131 Depth=1
	v_cmp_gt_i32_e64 s[2:3], s25, v22
	v_add_u32_e32 v31, 1, v22
	v_cndmask_b32_e64 v30, 0, v30, s[2:3]
	v_cmp_gt_i32_e64 s[2:3], s25, v31
	v_add_u32_e32 v31, 2, v22
	v_cndmask_b32_e64 v16, 0, v16, s[2:3]
	;; [unrolled: 3-line block ×7, first 2 shown]
	v_cmp_gt_i32_e64 s[2:3], s25, v31
	v_cndmask_b32_e64 v11, 0, v11, s[2:3]
	s_branch .LBB279_128
.LBB279_233:
	s_or_b64 exec, exec, s[16:17]
.LBB279_234:
	s_or_b64 exec, exec, s[6:7]
	v_and_b32_e32 v1, 0x3c0, v0
	v_cmp_eq_u32_e32 vcc, 64, v1
	s_barrier
	s_and_saveexec_b64 s[2:3], vcc
	s_cbranch_execz .LBB279_237
; %bb.235:
	v_mov_b32_e32 v1, 0x100
	v_lshl_add_u32 v2, v23, 2, v1
	ds_write_b32 v2, v9
	s_and_b64 exec, exec, s[0:1]
; %bb.236:
	v_lshl_add_u32 v1, v0, 2, v1
	ds_write_b32 v1, v10
.LBB279_237:
	s_or_b64 exec, exec, s[2:3]
	v_cmp_gt_u32_e32 vcc, 64, v0
	v_or_b32_e32 v1, 64, v0
	s_waitcnt lgkmcnt(0)
	s_barrier
	s_and_saveexec_b64 s[2:3], vcc
	s_cbranch_execz .LBB279_241
; %bb.238:
	v_mov_b32_e32 v2, 0x100
	v_lshl_add_u32 v0, v0, 2, v2
	ds_read_b32 v2, v0
	s_movk_i32 s0, 0x78
	v_cmp_gt_u32_e64 s[0:1], s0, v1
	s_waitcnt lgkmcnt(0)
	v_add_f32_e32 v9, v9, v2
	s_and_saveexec_b64 s[4:5], s[0:1]
	s_cbranch_execz .LBB279_240
; %bb.239:
	ds_read_b32 v0, v0 offset:256
	s_waitcnt lgkmcnt(0)
	v_add_f32_e32 v10, v10, v0
.LBB279_240:
	s_or_b64 exec, exec, s[4:5]
.LBB279_241:
	s_or_b64 exec, exec, s[2:3]
	s_barrier
	s_and_saveexec_b64 s[0:1], vcc
	s_cbranch_execz .LBB279_244
; %bb.242:
	s_mul_i32 s0, s24, s27
	s_mul_i32 s0, s0, s9
	s_mulk_i32 s0, 0x78
	s_ashr_i32 s1, s0, 31
	s_lshl_b64 s[0:1], s[0:1], 1
	s_add_u32 s2, s28, s0
	s_mul_i32 s0, s27, s26
	s_addc_u32 s4, s29, s1
	s_ashr_i32 s1, s0, 31
	s_lshl_b64 s[0:1], s[0:1], 1
	s_add_u32 s2, s2, s0
	s_mul_i32 s0, s8, 0x78
	s_addc_u32 s4, s4, s1
	s_ashr_i32 s1, s0, 31
	s_lshl_b64 s[0:1], s[0:1], 1
	s_add_u32 s0, s2, s0
	v_bfe_u32 v0, v9, 16, 1
	s_movk_i32 s2, 0x7fff
	s_movk_i32 s3, 0x78
	v_add3_u32 v0, v0, v9, s2
	v_or_b32_e32 v2, 0x400000, v9
	v_cmp_u_f32_e32 vcc, v9, v9
	s_addc_u32 s1, s4, s1
	v_cndmask_b32_e32 v0, v0, v2, vcc
	v_cmp_gt_u32_e32 vcc, s3, v1
	global_store_short_d16_hi v20, v0, s[0:1]
	s_and_b64 exec, exec, vcc
	s_cbranch_execz .LBB279_244
; %bb.243:
	v_mov_b32_e32 v1, s1
	v_add_co_u32_e32 v0, vcc, s0, v20
	v_addc_co_u32_e32 v1, vcc, 0, v1, vcc
	v_bfe_u32 v2, v10, 16, 1
	v_add3_u32 v2, v2, v10, s2
	v_or_b32_e32 v3, 0x400000, v10
	v_cmp_u_f32_e32 vcc, v10, v10
	v_cndmask_b32_e32 v2, v2, v3, vcc
	global_store_short_d16_hi v[0:1], v2, off offset:128
.LBB279_244:
	s_endpgm
	.section	.rodata,"a",@progbits
	.p2align	6, 0x0
	.amdhsa_kernel _ZN4vllm25paged_attention_v1_kernelI14__hip_bfloat16hLi120ELi8ELi128ELNS_18Fp8KVCacheDataTypeE1ELb1EEEvPT_PKS3_PKT0_S9_ifPKiSB_iPKfiiiSD_SD_iiiii
		.amdhsa_group_segment_fixed_size 256
		.amdhsa_private_segment_fixed_size 0
		.amdhsa_kernarg_size 384
		.amdhsa_user_sgpr_count 6
		.amdhsa_user_sgpr_private_segment_buffer 1
		.amdhsa_user_sgpr_dispatch_ptr 0
		.amdhsa_user_sgpr_queue_ptr 0
		.amdhsa_user_sgpr_kernarg_segment_ptr 1
		.amdhsa_user_sgpr_dispatch_id 0
		.amdhsa_user_sgpr_flat_scratch_init 0
		.amdhsa_user_sgpr_private_segment_size 0
		.amdhsa_uses_dynamic_stack 0
		.amdhsa_system_sgpr_private_segment_wavefront_offset 0
		.amdhsa_system_sgpr_workgroup_id_x 1
		.amdhsa_system_sgpr_workgroup_id_y 1
		.amdhsa_system_sgpr_workgroup_id_z 1
		.amdhsa_system_sgpr_workgroup_info 0
		.amdhsa_system_vgpr_workitem_id 0
		.amdhsa_next_free_vgpr 53
		.amdhsa_next_free_sgpr 58
		.amdhsa_reserve_vcc 1
		.amdhsa_reserve_flat_scratch 0
		.amdhsa_float_round_mode_32 0
		.amdhsa_float_round_mode_16_64 0
		.amdhsa_float_denorm_mode_32 3
		.amdhsa_float_denorm_mode_16_64 3
		.amdhsa_dx10_clamp 1
		.amdhsa_ieee_mode 1
		.amdhsa_fp16_overflow 0
		.amdhsa_exception_fp_ieee_invalid_op 0
		.amdhsa_exception_fp_denorm_src 0
		.amdhsa_exception_fp_ieee_div_zero 0
		.amdhsa_exception_fp_ieee_overflow 0
		.amdhsa_exception_fp_ieee_underflow 0
		.amdhsa_exception_fp_ieee_inexact 0
		.amdhsa_exception_int_div_zero 0
	.end_amdhsa_kernel
	.section	.text._ZN4vllm25paged_attention_v1_kernelI14__hip_bfloat16hLi120ELi8ELi128ELNS_18Fp8KVCacheDataTypeE1ELb1EEEvPT_PKS3_PKT0_S9_ifPKiSB_iPKfiiiSD_SD_iiiii,"axG",@progbits,_ZN4vllm25paged_attention_v1_kernelI14__hip_bfloat16hLi120ELi8ELi128ELNS_18Fp8KVCacheDataTypeE1ELb1EEEvPT_PKS3_PKT0_S9_ifPKiSB_iPKfiiiSD_SD_iiiii,comdat
.Lfunc_end279:
	.size	_ZN4vllm25paged_attention_v1_kernelI14__hip_bfloat16hLi120ELi8ELi128ELNS_18Fp8KVCacheDataTypeE1ELb1EEEvPT_PKS3_PKT0_S9_ifPKiSB_iPKfiiiSD_SD_iiiii, .Lfunc_end279-_ZN4vllm25paged_attention_v1_kernelI14__hip_bfloat16hLi120ELi8ELi128ELNS_18Fp8KVCacheDataTypeE1ELb1EEEvPT_PKS3_PKT0_S9_ifPKiSB_iPKfiiiSD_SD_iiiii
                                        ; -- End function
	.set _ZN4vllm25paged_attention_v1_kernelI14__hip_bfloat16hLi120ELi8ELi128ELNS_18Fp8KVCacheDataTypeE1ELb1EEEvPT_PKS3_PKT0_S9_ifPKiSB_iPKfiiiSD_SD_iiiii.num_vgpr, 53
	.set _ZN4vllm25paged_attention_v1_kernelI14__hip_bfloat16hLi120ELi8ELi128ELNS_18Fp8KVCacheDataTypeE1ELb1EEEvPT_PKS3_PKT0_S9_ifPKiSB_iPKfiiiSD_SD_iiiii.num_agpr, 0
	.set _ZN4vllm25paged_attention_v1_kernelI14__hip_bfloat16hLi120ELi8ELi128ELNS_18Fp8KVCacheDataTypeE1ELb1EEEvPT_PKS3_PKT0_S9_ifPKiSB_iPKfiiiSD_SD_iiiii.numbered_sgpr, 58
	.set _ZN4vllm25paged_attention_v1_kernelI14__hip_bfloat16hLi120ELi8ELi128ELNS_18Fp8KVCacheDataTypeE1ELb1EEEvPT_PKS3_PKT0_S9_ifPKiSB_iPKfiiiSD_SD_iiiii.num_named_barrier, 0
	.set _ZN4vllm25paged_attention_v1_kernelI14__hip_bfloat16hLi120ELi8ELi128ELNS_18Fp8KVCacheDataTypeE1ELb1EEEvPT_PKS3_PKT0_S9_ifPKiSB_iPKfiiiSD_SD_iiiii.private_seg_size, 0
	.set _ZN4vllm25paged_attention_v1_kernelI14__hip_bfloat16hLi120ELi8ELi128ELNS_18Fp8KVCacheDataTypeE1ELb1EEEvPT_PKS3_PKT0_S9_ifPKiSB_iPKfiiiSD_SD_iiiii.uses_vcc, 1
	.set _ZN4vllm25paged_attention_v1_kernelI14__hip_bfloat16hLi120ELi8ELi128ELNS_18Fp8KVCacheDataTypeE1ELb1EEEvPT_PKS3_PKT0_S9_ifPKiSB_iPKfiiiSD_SD_iiiii.uses_flat_scratch, 0
	.set _ZN4vllm25paged_attention_v1_kernelI14__hip_bfloat16hLi120ELi8ELi128ELNS_18Fp8KVCacheDataTypeE1ELb1EEEvPT_PKS3_PKT0_S9_ifPKiSB_iPKfiiiSD_SD_iiiii.has_dyn_sized_stack, 0
	.set _ZN4vllm25paged_attention_v1_kernelI14__hip_bfloat16hLi120ELi8ELi128ELNS_18Fp8KVCacheDataTypeE1ELb1EEEvPT_PKS3_PKT0_S9_ifPKiSB_iPKfiiiSD_SD_iiiii.has_recursion, 0
	.set _ZN4vllm25paged_attention_v1_kernelI14__hip_bfloat16hLi120ELi8ELi128ELNS_18Fp8KVCacheDataTypeE1ELb1EEEvPT_PKS3_PKT0_S9_ifPKiSB_iPKfiiiSD_SD_iiiii.has_indirect_call, 0
	.section	.AMDGPU.csdata,"",@progbits
; Kernel info:
; codeLenInByte = 12696
; TotalNumSgprs: 62
; NumVgprs: 53
; ScratchSize: 0
; MemoryBound: 0
; FloatMode: 240
; IeeeMode: 1
; LDSByteSize: 256 bytes/workgroup (compile time only)
; SGPRBlocks: 7
; VGPRBlocks: 13
; NumSGPRsForWavesPerEU: 62
; NumVGPRsForWavesPerEU: 53
; Occupancy: 4
; WaveLimiterHint : 1
; COMPUTE_PGM_RSRC2:SCRATCH_EN: 0
; COMPUTE_PGM_RSRC2:USER_SGPR: 6
; COMPUTE_PGM_RSRC2:TRAP_HANDLER: 0
; COMPUTE_PGM_RSRC2:TGID_X_EN: 1
; COMPUTE_PGM_RSRC2:TGID_Y_EN: 1
; COMPUTE_PGM_RSRC2:TGID_Z_EN: 1
; COMPUTE_PGM_RSRC2:TIDIG_COMP_CNT: 0
	.section	.text._ZN4vllm25paged_attention_v1_kernelI14__hip_bfloat16hLi128ELi8ELi128ELNS_18Fp8KVCacheDataTypeE1ELb1EEEvPT_PKS3_PKT0_S9_ifPKiSB_iPKfiiiSD_SD_iiiii,"axG",@progbits,_ZN4vllm25paged_attention_v1_kernelI14__hip_bfloat16hLi128ELi8ELi128ELNS_18Fp8KVCacheDataTypeE1ELb1EEEvPT_PKS3_PKT0_S9_ifPKiSB_iPKfiiiSD_SD_iiiii,comdat
	.protected	_ZN4vllm25paged_attention_v1_kernelI14__hip_bfloat16hLi128ELi8ELi128ELNS_18Fp8KVCacheDataTypeE1ELb1EEEvPT_PKS3_PKT0_S9_ifPKiSB_iPKfiiiSD_SD_iiiii ; -- Begin function _ZN4vllm25paged_attention_v1_kernelI14__hip_bfloat16hLi128ELi8ELi128ELNS_18Fp8KVCacheDataTypeE1ELb1EEEvPT_PKS3_PKT0_S9_ifPKiSB_iPKfiiiSD_SD_iiiii
	.globl	_ZN4vllm25paged_attention_v1_kernelI14__hip_bfloat16hLi128ELi8ELi128ELNS_18Fp8KVCacheDataTypeE1ELb1EEEvPT_PKS3_PKT0_S9_ifPKiSB_iPKfiiiSD_SD_iiiii
	.p2align	8
	.type	_ZN4vllm25paged_attention_v1_kernelI14__hip_bfloat16hLi128ELi8ELi128ELNS_18Fp8KVCacheDataTypeE1ELb1EEEvPT_PKS3_PKT0_S9_ifPKiSB_iPKfiiiSD_SD_iiiii,@function
_ZN4vllm25paged_attention_v1_kernelI14__hip_bfloat16hLi128ELi8ELi128ELNS_18Fp8KVCacheDataTypeE1ELb1EEEvPT_PKS3_PKT0_S9_ifPKiSB_iPKfiiiSD_SD_iiiii: ; @_ZN4vllm25paged_attention_v1_kernelI14__hip_bfloat16hLi128ELi8ELi128ELNS_18Fp8KVCacheDataTypeE1ELb1EEEvPT_PKS3_PKT0_S9_ifPKiSB_iPKfiiiSD_SD_iiiii
; %bb.0:
	s_load_dword s9, s[4:5], 0x80
	s_load_dwordx2 s[0:1], s[4:5], 0x30
	s_load_dwordx2 s[36:37], s[4:5], 0x20
	s_mov_b32 s10, s7
	s_ashr_i32 s11, s7, 31
	s_lshl_b64 s[2:3], s[10:11], 2
	s_waitcnt lgkmcnt(0)
	s_add_u32 s0, s0, s2
	s_addc_u32 s1, s1, s3
	s_abs_i32 s2, s36
	v_cvt_f32_u32_e32 v1, s2
	s_sub_i32 s11, 0, s2
	s_abs_i32 s7, s9
	s_xor_b32 s3, s9, s36
	v_rcp_iflag_f32_e32 v1, v1
	s_ashr_i32 s3, s3, 31
	s_mov_b32 s48, 0
	v_mul_f32_e32 v1, 0x4f7ffffe, v1
	v_cvt_u32_f32_e32 v1, v1
	v_readfirstlane_b32 s12, v1
	s_mul_i32 s11, s11, s12
	s_mul_hi_u32 s11, s12, s11
	s_add_i32 s12, s12, s11
	s_mul_hi_u32 s11, s7, s12
	s_mul_i32 s12, s11, s2
	s_sub_i32 s7, s7, s12
	s_add_i32 s12, s11, 1
	s_sub_i32 s13, s7, s2
	s_cmp_ge_u32 s7, s2
	s_cselect_b32 s11, s12, s11
	s_cselect_b32 s7, s13, s7
	s_add_i32 s12, s11, 1
	s_cmp_ge_u32 s7, s2
	s_cselect_b32 s2, s12, s11
	s_xor_b32 s2, s2, s3
	s_sub_i32 s15, s2, s3
	s_abs_i32 s12, s15
	v_cvt_f32_u32_e32 v1, s12
	s_load_dwordx2 s[2:3], s[4:5], 0x40
	s_sub_i32 s7, 0, s12
	s_abs_i32 s13, s6
	v_rcp_iflag_f32_e32 v1, v1
	v_mul_f32_e32 v1, 0x4f7ffffe, v1
	v_cvt_u32_f32_e32 v1, v1
	v_readfirstlane_b32 s11, v1
	s_mul_i32 s7, s7, s11
	s_mul_hi_u32 s7, s11, s7
	s_add_i32 s11, s11, s7
	s_waitcnt lgkmcnt(0)
	s_cmp_eq_u64 s[2:3], 0
	s_mul_hi_u32 s14, s13, s11
	s_cbranch_scc1 .LBB280_2
; %bb.1:
	s_ashr_i32 s7, s6, 31
	s_lshl_b64 s[16:17], s[6:7], 2
	s_add_u32 s2, s2, s16
	s_addc_u32 s3, s3, s17
	s_load_dword s48, s[2:3], 0x0
.LBB280_2:
	s_load_dword s11, s[0:1], 0x0
	s_load_dwordx4 s[16:19], s[4:5], 0x48
	s_movk_i32 s0, 0x80
	s_ashr_i32 s2, s6, 31
	s_ashr_i32 s7, s15, 31
	v_and_b32_e32 v1, 7, v0
	s_lshl_b32 s24, s6, 7
	v_cmp_gt_u32_e32 vcc, s0, v0
	v_lshlrev_b32_e32 v20, 1, v0
	s_and_saveexec_b64 s[0:1], vcc
	s_cbranch_execz .LBB280_4
; %bb.3:
	s_load_dwordx2 s[20:21], s[4:5], 0x8
	s_waitcnt lgkmcnt(0)
	s_mul_i32 s22, s16, s10
	s_ashr_i32 s23, s22, 31
	s_lshl_b64 s[22:23], s[22:23], 1
	v_lshrrev_b32_e32 v3, 2, v0
	s_add_u32 s3, s20, s22
	s_addc_u32 s15, s21, s23
	s_ashr_i32 s25, s24, 31
	s_lshl_b64 s[20:21], s[24:25], 1
	s_add_u32 s20, s3, s20
	s_addc_u32 s21, s15, s21
	global_load_ushort v2, v20, s[20:21]
	v_and_b32_e32 v3, 0xfe, v3
	v_lshl_add_u32 v3, v1, 5, v3
	s_waitcnt vmcnt(0)
	ds_write_b16 v3, v2
.LBB280_4:
	s_or_b64 exec, exec, s[0:1]
	s_mul_i32 s1, s14, s12
	s_sub_i32 s1, s13, s1
	s_xor_b32 s0, s2, s7
	s_add_i32 s2, s14, 1
	s_sub_i32 s7, s1, s12
	s_load_dwordx4 s[20:23], s[4:5], 0x68
	s_load_dword s3, s[4:5], 0x78
	s_cmp_ge_u32 s1, s12
	s_cselect_b32 s2, s2, s14
	s_cselect_b32 s1, s7, s1
	s_add_i32 s7, s2, 1
	s_cmp_ge_u32 s1, s12
	s_cselect_b32 s1, s7, s2
	s_waitcnt lgkmcnt(0)
	s_abs_i32 s25, s23
	v_cvt_f32_u32_e32 v2, s25
	s_xor_b32 s1, s1, s0
	s_sub_i32 s2, s1, s0
	s_sub_i32 s0, 0, s25
	v_rcp_iflag_f32_e32 v2, v2
	s_add_i32 s12, s11, -1
	s_abs_i32 s7, s12
	v_mul_f32_e32 v2, 0x4f7ffffe, v2
	v_cvt_u32_f32_e32 v2, v2
	s_barrier
	v_readfirstlane_b32 s33, v2
	s_mul_i32 s0, s0, s33
	s_mul_hi_u32 s0, s33, s0
	s_add_i32 s33, s33, s0
	s_cmp_lt_i32 s3, 0
	s_mul_hi_u32 s16, s7, s33
	s_cbranch_scc0 .LBB280_6
; %bb.5:
	s_mul_i32 s0, s20, s36
	s_add_i32 s0, s2, s0
	s_mul_i32 s0, s0, s3
	s_sub_i32 s36, 1, s0
	s_mov_b64 s[0:1], 0
	s_branch .LBB280_7
.LBB280_6:
	s_mov_b64 s[0:1], -1
                                        ; implicit-def: $sgpr36
.LBB280_7:
	s_load_dwordx2 s[28:29], s[4:5], 0x28
	s_ashr_i32 s19, s12, 31
	s_andn2_b64 vcc, exec, s[0:1]
	s_ashr_i32 s46, s23, 31
	s_cbranch_vccnz .LBB280_9
; %bb.8:
	s_mul_i32 s0, s9, s20
	s_add_i32 s0, s0, s6
	s_mul_i32 s0, s0, s3
	s_add_i32 s36, s0, 1
.LBB280_9:
	s_load_dword s0, s[4:5], 0x38
	s_load_dwordx2 s[26:27], s[4:5], 0x0
	s_load_dwordx2 s[34:35], s[4:5], 0x18
	s_load_dword s23, s[4:5], 0x88
	s_load_dwordx4 s[12:15], s[4:5], 0x58
	s_mul_i32 s1, s16, s25
	s_waitcnt lgkmcnt(0)
	s_mul_i32 s30, s0, s10
	s_sub_i32 s1, s7, s1
	s_ashr_i32 s31, s30, 31
	s_xor_b32 s0, s19, s46
	s_add_i32 s3, s16, 1
	s_sub_i32 s6, s1, s25
	s_cmp_ge_u32 s1, s25
	s_cselect_b32 s3, s3, s16
	s_cselect_b32 s1, s6, s1
	s_add_i32 s6, s3, 1
	s_cmp_ge_u32 s1, s25
	s_cselect_b32 s1, s6, s3
	s_xor_b32 s1, s1, s0
	s_sub_i32 s16, s1, s0
	s_add_i32 s0, s11, 7
	s_ashr_i32 s1, s0, 31
	s_lshr_b32 s1, s1, 29
	s_add_i32 s0, s0, s1
	s_ashr_i32 s47, s0, 3
	v_lshrrev_b32_e32 v21, 6, v0
	v_cmp_gt_i32_e64 s[0:1], s47, v21
	v_mov_b32_e32 v23, 0xff7fffff
	s_mul_i32 s20, s2, s18
	v_lshrrev_b32_e32 v16, 4, v0
	v_lshlrev_b32_e32 v22, 3, v21
	v_mbcnt_lo_u32_b32 v17, -1, 0
	s_and_saveexec_b64 s[18:19], s[0:1]
	s_cbranch_execz .LBB280_117
; %bb.10:
	s_load_dwordx2 s[2:3], s[4:5], 0x10
	s_sub_i32 s49, s16, s21
	s_ashr_i32 s4, s20, 31
	v_bfe_u32 v18, v0, 3, 3
	v_lshlrev_b32_e32 v3, 4, v18
	s_waitcnt lgkmcnt(0)
	s_add_u32 s5, s2, s20
	s_addc_u32 s4, s3, s4
	s_abs_i32 s50, s22
	v_cvt_f32_u32_e32 v2, s50
	v_mov_b32_e32 v4, s4
	s_sub_i32 s4, 0, s50
	v_cmp_eq_u32_e32 vcc, 0, v1
	v_rcp_iflag_f32_e32 v2, v2
	v_lshlrev_b32_e32 v19, 5, v1
	s_mov_b32 s51, s17
	v_cmp_neq_f32_e64 s[2:3], s48, 0
	v_mul_f32_e32 v2, 0x4f7ffffe, v2
	v_cvt_u32_f32_e32 v2, v2
	v_lshlrev_b32_e32 v25, 3, v21
	v_mov_b32_e32 v28, 0xff7fffff
	s_mov_b64 s[38:39], 0
	v_mul_lo_u32 v5, s4, v2
	v_add_co_u32_e64 v3, s[4:5], s5, v3
	v_addc_co_u32_e64 v4, s[4:5], 0, v4, s[4:5]
	v_add_co_u32_e64 v9, s[4:5], v3, v1
	v_mul_hi_u32 v5, v2, v5
	v_addc_co_u32_e64 v10, s[4:5], 0, v4, s[4:5]
	s_lshl_b64 s[4:5], s[30:31], 2
	s_add_u32 s4, s28, s4
	v_and_b32_e32 v1, 60, v16
	s_addc_u32 s5, s29, s5
	v_add_u32_e32 v24, v2, v5
	v_mov_b32_e32 v2, s5
	v_add_co_u32_e64 v11, s[4:5], s4, v1
	v_subrev_u32_e32 v1, s11, v18
	v_add_u32_e32 v26, 1, v1
	v_lshlrev_b32_e32 v1, 2, v18
	v_lshl_or_b32 v1, v21, 5, v1
	v_addc_co_u32_e64 v12, s[4:5], 0, v2, s[4:5]
	v_add_u32_e32 v27, 0x110, v1
	s_movk_i32 s52, 0x80
	s_movk_i32 s53, 0x7f
	;; [unrolled: 1-line block ×3, first 2 shown]
	v_bfrev_b32_e32 v29, 60
	v_mbcnt_hi_u32_b32 v30, -1, v17
	v_mov_b32_e32 v23, 0xff7fffff
	v_mov_b32_e32 v31, v21
	s_branch .LBB280_13
.LBB280_11:                             ;   in Loop: Header=BB280_13 Depth=1
	s_or_b64 exec, exec, s[40:41]
.LBB280_12:                             ;   in Loop: Header=BB280_13 Depth=1
	s_or_b64 exec, exec, s[6:7]
	v_add_co_u32_e64 v11, s[4:5], 8, v11
	v_add_u32_e32 v31, 2, v31
	v_addc_co_u32_e64 v12, s[4:5], 0, v12, s[4:5]
	v_cmp_le_i32_e64 s[4:5], s47, v31
	v_add_u32_e32 v25, 16, v25
	s_or_b64 s[38:39], s[4:5], s[38:39]
	v_add_u32_e32 v27, 64, v27
	s_andn2_b64 exec, exec, s[38:39]
	s_cbranch_execz .LBB280_116
.LBB280_13:                             ; =>This Inner Loop Header: Depth=1
	v_mul_hi_u32 v1, v25, s33
	s_waitcnt lgkmcnt(0)
	v_mul_lo_u32 v2, v1, s25
	v_add_u32_e32 v3, 1, v1
	v_sub_u32_e32 v2, v25, v2
	v_cmp_le_u32_e64 s[4:5], s25, v2
	v_cndmask_b32_e64 v1, v1, v3, s[4:5]
	v_subrev_u32_e32 v3, s25, v2
	v_cndmask_b32_e64 v2, v2, v3, s[4:5]
	v_add_u32_e32 v3, 1, v1
	v_cmp_le_u32_e64 s[4:5], s25, v2
	v_cndmask_b32_e64 v1, v1, v3, s[4:5]
	v_xor_b32_e32 v1, s46, v1
	v_subrev_u32_e32 v1, s46, v1
	v_add_u32_e32 v2, s36, v1
	v_sub_u32_e32 v3, 0, v2
	v_max_i32_e32 v3, v2, v3
	v_mul_hi_u32 v4, v3, v24
	v_ashrrev_i32_e32 v2, 31, v2
	v_cmp_ge_i32_e64 s[6:7], s49, v1
	v_mul_lo_u32 v4, v4, s50
	v_sub_u32_e32 v3, v3, v4
	v_subrev_u32_e32 v4, s50, v3
	v_cmp_le_u32_e64 s[4:5], s50, v3
	v_cndmask_b32_e64 v3, v3, v4, s[4:5]
	v_subrev_u32_e32 v4, s50, v3
	v_cmp_le_u32_e64 s[4:5], s50, v3
	v_cndmask_b32_e64 v3, v3, v4, s[4:5]
	v_xor_b32_e32 v3, v3, v2
	v_sub_u32_e32 v2, v3, v2
	v_cmp_ne_u32_e64 s[4:5], 0, v2
	s_and_b64 s[4:5], s[4:5], s[6:7]
	s_and_saveexec_b64 s[6:7], s[4:5]
	s_xor_b64 s[4:5], exec, s[6:7]
	s_cbranch_execz .LBB280_17
; %bb.14:                               ;   in Loop: Header=BB280_13 Depth=1
	s_and_saveexec_b64 s[6:7], vcc
; %bb.15:                               ;   in Loop: Header=BB280_13 Depth=1
	ds_write_b32 v27, v28
; %bb.16:                               ;   in Loop: Header=BB280_13 Depth=1
	s_or_b64 exec, exec, s[6:7]
.LBB280_17:                             ;   in Loop: Header=BB280_13 Depth=1
	s_andn2_saveexec_b64 s[6:7], s[4:5]
	s_cbranch_execz .LBB280_12
; %bb.18:                               ;   in Loop: Header=BB280_13 Depth=1
	global_load_dword v1, v[11:12], off
	v_mov_b32_e32 v33, 0
	v_mov_b32_e32 v32, 0
	s_waitcnt vmcnt(0)
	v_mad_i64_i32 v[13:14], s[4:5], v1, s51, v[9:10]
	global_load_ubyte v34, v[13:14], off
	ds_read_b128 v[5:8], v19
	ds_read_b128 v[1:4], v19 offset:16
	s_load_dword s55, s[12:13], 0x0
	s_waitcnt vmcnt(0)
	v_cmp_ne_u16_e64 s[4:5], 0, v34
	s_and_saveexec_b64 s[40:41], s[4:5]
	s_cbranch_execz .LBB280_24
; %bb.19:                               ;   in Loop: Header=BB280_13 Depth=1
	v_cmp_ne_u16_e64 s[4:5], s52, v34
	v_bfrev_b32_e32 v32, 1
	s_and_saveexec_b64 s[42:43], s[4:5]
	s_cbranch_execz .LBB280_23
; %bb.20:                               ;   in Loop: Header=BB280_13 Depth=1
	v_and_b32_e32 v15, 0xffff, v34
	v_and_b32_e32 v35, 0x7f, v15
	v_cmp_ne_u32_e64 s[4:5], s53, v35
	v_mov_b32_e32 v32, 0x7f800001
	s_and_saveexec_b64 s[44:45], s[4:5]
	s_cbranch_execz .LBB280_22
; %bb.21:                               ;   in Loop: Header=BB280_13 Depth=1
	v_and_b32_e32 v32, 7, v15
	v_ffbh_u32_e32 v36, v32
	v_min_u32_e32 v39, 32, v36
	v_subrev_u32_e32 v36, 28, v39
	v_lshlrev_b64 v[36:37], v36, v[15:16]
	v_lshrrev_b32_e32 v38, 3, v35
	v_sub_u32_e32 v15, 29, v39
	v_and_b32_e32 v36, 7, v36
	v_cmp_gt_u32_e64 s[4:5], 8, v35
	v_cndmask_b32_e64 v15, v38, v15, s[4:5]
	v_cndmask_b32_e64 v32, v32, v36, s[4:5]
	v_lshlrev_b32_e32 v34, 24, v34
	v_lshlrev_b32_e32 v32, 20, v32
	v_and_b32_e32 v34, 0x80000000, v34
	v_lshl_add_u32 v15, v15, 23, v29
	v_or3_b32 v32, v34, v15, v32
.LBB280_22:                             ;   in Loop: Header=BB280_13 Depth=1
	s_or_b64 exec, exec, s[44:45]
.LBB280_23:                             ;   in Loop: Header=BB280_13 Depth=1
	s_or_b64 exec, exec, s[42:43]
.LBB280_24:                             ;   in Loop: Header=BB280_13 Depth=1
	s_or_b64 exec, exec, s[40:41]
	global_load_ubyte v34, v[13:14], off offset:8
	s_waitcnt vmcnt(0)
	v_cmp_ne_u16_e64 s[4:5], 0, v34
	s_and_saveexec_b64 s[40:41], s[4:5]
	s_cbranch_execz .LBB280_30
; %bb.25:                               ;   in Loop: Header=BB280_13 Depth=1
	v_cmp_ne_u16_e64 s[4:5], s52, v34
	v_bfrev_b32_e32 v33, 1
	s_and_saveexec_b64 s[42:43], s[4:5]
	s_cbranch_execz .LBB280_29
; %bb.26:                               ;   in Loop: Header=BB280_13 Depth=1
	v_and_b32_e32 v15, 0xffff, v34
	v_and_b32_e32 v35, 0x7f, v15
	v_cmp_ne_u32_e64 s[4:5], s53, v35
	v_mov_b32_e32 v33, 0x7f800001
	s_and_saveexec_b64 s[44:45], s[4:5]
	s_cbranch_execz .LBB280_28
; %bb.27:                               ;   in Loop: Header=BB280_13 Depth=1
	v_and_b32_e32 v33, 7, v15
	v_ffbh_u32_e32 v36, v33
	v_min_u32_e32 v39, 32, v36
	v_subrev_u32_e32 v36, 28, v39
	v_lshlrev_b64 v[36:37], v36, v[15:16]
	v_lshrrev_b32_e32 v38, 3, v35
	v_sub_u32_e32 v15, 29, v39
	v_and_b32_e32 v36, 7, v36
	v_cmp_gt_u32_e64 s[4:5], 8, v35
	v_cndmask_b32_e64 v15, v38, v15, s[4:5]
	v_cndmask_b32_e64 v33, v33, v36, s[4:5]
	v_lshlrev_b32_e32 v34, 24, v34
	v_lshlrev_b32_e32 v33, 20, v33
	v_and_b32_e32 v34, 0x80000000, v34
	v_lshl_add_u32 v15, v15, 23, v29
	v_or3_b32 v33, v34, v15, v33
.LBB280_28:                             ;   in Loop: Header=BB280_13 Depth=1
	s_or_b64 exec, exec, s[44:45]
.LBB280_29:                             ;   in Loop: Header=BB280_13 Depth=1
	s_or_b64 exec, exec, s[42:43]
.LBB280_30:                             ;   in Loop: Header=BB280_13 Depth=1
	s_or_b64 exec, exec, s[40:41]
	global_load_ubyte v36, v[13:14], off offset:128
	v_mov_b32_e32 v35, 0
	v_mov_b32_e32 v34, 0
	s_waitcnt vmcnt(0)
	v_cmp_ne_u16_e64 s[4:5], 0, v36
	s_and_saveexec_b64 s[40:41], s[4:5]
	s_cbranch_execz .LBB280_36
; %bb.31:                               ;   in Loop: Header=BB280_13 Depth=1
	v_cmp_ne_u16_e64 s[4:5], s52, v36
	v_bfrev_b32_e32 v34, 1
	s_and_saveexec_b64 s[42:43], s[4:5]
	s_cbranch_execz .LBB280_35
; %bb.32:                               ;   in Loop: Header=BB280_13 Depth=1
	v_and_b32_e32 v15, 0xffff, v36
	v_and_b32_e32 v37, 0x7f, v15
	v_cmp_ne_u32_e64 s[4:5], s53, v37
	v_mov_b32_e32 v34, 0x7f800001
	s_and_saveexec_b64 s[44:45], s[4:5]
	s_cbranch_execz .LBB280_34
; %bb.33:                               ;   in Loop: Header=BB280_13 Depth=1
	v_and_b32_e32 v34, 7, v15
	v_ffbh_u32_e32 v38, v34
	v_min_u32_e32 v41, 32, v38
	v_subrev_u32_e32 v38, 28, v41
	v_lshlrev_b64 v[38:39], v38, v[15:16]
	v_lshrrev_b32_e32 v40, 3, v37
	v_sub_u32_e32 v15, 29, v41
	v_and_b32_e32 v38, 7, v38
	v_cmp_gt_u32_e64 s[4:5], 8, v37
	v_cndmask_b32_e64 v15, v40, v15, s[4:5]
	v_cndmask_b32_e64 v34, v34, v38, s[4:5]
	v_lshlrev_b32_e32 v36, 24, v36
	v_lshlrev_b32_e32 v34, 20, v34
	v_and_b32_e32 v36, 0x80000000, v36
	v_lshl_add_u32 v15, v15, 23, v29
	v_or3_b32 v34, v36, v15, v34
.LBB280_34:                             ;   in Loop: Header=BB280_13 Depth=1
	s_or_b64 exec, exec, s[44:45]
.LBB280_35:                             ;   in Loop: Header=BB280_13 Depth=1
	s_or_b64 exec, exec, s[42:43]
.LBB280_36:                             ;   in Loop: Header=BB280_13 Depth=1
	s_or_b64 exec, exec, s[40:41]
	global_load_ubyte v36, v[13:14], off offset:136
	s_waitcnt vmcnt(0)
	v_cmp_ne_u16_e64 s[4:5], 0, v36
	s_and_saveexec_b64 s[40:41], s[4:5]
	s_cbranch_execz .LBB280_42
; %bb.37:                               ;   in Loop: Header=BB280_13 Depth=1
	v_cmp_ne_u16_e64 s[4:5], s52, v36
	v_bfrev_b32_e32 v35, 1
	s_and_saveexec_b64 s[42:43], s[4:5]
	s_cbranch_execz .LBB280_41
; %bb.38:                               ;   in Loop: Header=BB280_13 Depth=1
	v_and_b32_e32 v15, 0xffff, v36
	v_and_b32_e32 v37, 0x7f, v15
	v_cmp_ne_u32_e64 s[4:5], s53, v37
	v_mov_b32_e32 v35, 0x7f800001
	s_and_saveexec_b64 s[44:45], s[4:5]
	s_cbranch_execz .LBB280_40
; %bb.39:                               ;   in Loop: Header=BB280_13 Depth=1
	v_and_b32_e32 v35, 7, v15
	v_ffbh_u32_e32 v38, v35
	v_min_u32_e32 v41, 32, v38
	v_subrev_u32_e32 v38, 28, v41
	v_lshlrev_b64 v[38:39], v38, v[15:16]
	v_lshrrev_b32_e32 v40, 3, v37
	v_sub_u32_e32 v15, 29, v41
	v_and_b32_e32 v38, 7, v38
	v_cmp_gt_u32_e64 s[4:5], 8, v37
	v_cndmask_b32_e64 v15, v40, v15, s[4:5]
	v_cndmask_b32_e64 v35, v35, v38, s[4:5]
	v_lshlrev_b32_e32 v36, 24, v36
	v_lshlrev_b32_e32 v35, 20, v35
	v_and_b32_e32 v36, 0x80000000, v36
	v_lshl_add_u32 v15, v15, 23, v29
	v_or3_b32 v35, v36, v15, v35
.LBB280_40:                             ;   in Loop: Header=BB280_13 Depth=1
	s_or_b64 exec, exec, s[44:45]
.LBB280_41:                             ;   in Loop: Header=BB280_13 Depth=1
	s_or_b64 exec, exec, s[42:43]
.LBB280_42:                             ;   in Loop: Header=BB280_13 Depth=1
	s_or_b64 exec, exec, s[40:41]
	global_load_ubyte v38, v[13:14], off offset:256
	v_mov_b32_e32 v37, 0
	v_mov_b32_e32 v36, 0
	s_waitcnt vmcnt(0)
	v_cmp_ne_u16_e64 s[4:5], 0, v38
	s_and_saveexec_b64 s[40:41], s[4:5]
	s_cbranch_execz .LBB280_48
; %bb.43:                               ;   in Loop: Header=BB280_13 Depth=1
	v_cmp_ne_u16_e64 s[4:5], s52, v38
	v_bfrev_b32_e32 v36, 1
	s_and_saveexec_b64 s[42:43], s[4:5]
	s_cbranch_execz .LBB280_47
; %bb.44:                               ;   in Loop: Header=BB280_13 Depth=1
	v_and_b32_e32 v15, 0xffff, v38
	v_and_b32_e32 v39, 0x7f, v15
	v_cmp_ne_u32_e64 s[4:5], s53, v39
	v_mov_b32_e32 v36, 0x7f800001
	s_and_saveexec_b64 s[44:45], s[4:5]
	s_cbranch_execz .LBB280_46
; %bb.45:                               ;   in Loop: Header=BB280_13 Depth=1
	v_and_b32_e32 v36, 7, v15
	v_ffbh_u32_e32 v40, v36
	v_min_u32_e32 v43, 32, v40
	v_subrev_u32_e32 v40, 28, v43
	v_lshlrev_b64 v[40:41], v40, v[15:16]
	v_lshrrev_b32_e32 v42, 3, v39
	v_sub_u32_e32 v15, 29, v43
	v_and_b32_e32 v40, 7, v40
	v_cmp_gt_u32_e64 s[4:5], 8, v39
	v_cndmask_b32_e64 v15, v42, v15, s[4:5]
	v_cndmask_b32_e64 v36, v36, v40, s[4:5]
	v_lshlrev_b32_e32 v38, 24, v38
	v_lshlrev_b32_e32 v36, 20, v36
	v_and_b32_e32 v38, 0x80000000, v38
	v_lshl_add_u32 v15, v15, 23, v29
	v_or3_b32 v36, v38, v15, v36
.LBB280_46:                             ;   in Loop: Header=BB280_13 Depth=1
	s_or_b64 exec, exec, s[44:45]
.LBB280_47:                             ;   in Loop: Header=BB280_13 Depth=1
	s_or_b64 exec, exec, s[42:43]
.LBB280_48:                             ;   in Loop: Header=BB280_13 Depth=1
	s_or_b64 exec, exec, s[40:41]
	global_load_ubyte v38, v[13:14], off offset:264
	s_waitcnt vmcnt(0)
	v_cmp_ne_u16_e64 s[4:5], 0, v38
	s_and_saveexec_b64 s[40:41], s[4:5]
	s_cbranch_execz .LBB280_54
; %bb.49:                               ;   in Loop: Header=BB280_13 Depth=1
	v_cmp_ne_u16_e64 s[4:5], s52, v38
	v_bfrev_b32_e32 v37, 1
	s_and_saveexec_b64 s[42:43], s[4:5]
	s_cbranch_execz .LBB280_53
; %bb.50:                               ;   in Loop: Header=BB280_13 Depth=1
	v_and_b32_e32 v15, 0xffff, v38
	v_and_b32_e32 v39, 0x7f, v15
	v_cmp_ne_u32_e64 s[4:5], s53, v39
	v_mov_b32_e32 v37, 0x7f800001
	s_and_saveexec_b64 s[44:45], s[4:5]
	s_cbranch_execz .LBB280_52
; %bb.51:                               ;   in Loop: Header=BB280_13 Depth=1
	v_and_b32_e32 v37, 7, v15
	v_ffbh_u32_e32 v40, v37
	v_min_u32_e32 v43, 32, v40
	v_subrev_u32_e32 v40, 28, v43
	v_lshlrev_b64 v[40:41], v40, v[15:16]
	v_lshrrev_b32_e32 v42, 3, v39
	v_sub_u32_e32 v15, 29, v43
	v_and_b32_e32 v40, 7, v40
	v_cmp_gt_u32_e64 s[4:5], 8, v39
	v_cndmask_b32_e64 v15, v42, v15, s[4:5]
	v_cndmask_b32_e64 v37, v37, v40, s[4:5]
	v_lshlrev_b32_e32 v38, 24, v38
	v_lshlrev_b32_e32 v37, 20, v37
	v_and_b32_e32 v38, 0x80000000, v38
	v_lshl_add_u32 v15, v15, 23, v29
	v_or3_b32 v37, v38, v15, v37
.LBB280_52:                             ;   in Loop: Header=BB280_13 Depth=1
	s_or_b64 exec, exec, s[44:45]
.LBB280_53:                             ;   in Loop: Header=BB280_13 Depth=1
	s_or_b64 exec, exec, s[42:43]
.LBB280_54:                             ;   in Loop: Header=BB280_13 Depth=1
	s_or_b64 exec, exec, s[40:41]
	global_load_ubyte v40, v[13:14], off offset:384
	v_mov_b32_e32 v39, 0
	v_mov_b32_e32 v38, 0
	s_waitcnt vmcnt(0)
	v_cmp_ne_u16_e64 s[4:5], 0, v40
	s_and_saveexec_b64 s[40:41], s[4:5]
	s_cbranch_execz .LBB280_60
; %bb.55:                               ;   in Loop: Header=BB280_13 Depth=1
	v_cmp_ne_u16_e64 s[4:5], s52, v40
	v_bfrev_b32_e32 v38, 1
	s_and_saveexec_b64 s[42:43], s[4:5]
	s_cbranch_execz .LBB280_59
; %bb.56:                               ;   in Loop: Header=BB280_13 Depth=1
	v_and_b32_e32 v15, 0xffff, v40
	v_and_b32_e32 v41, 0x7f, v15
	v_cmp_ne_u32_e64 s[4:5], s53, v41
	v_mov_b32_e32 v38, 0x7f800001
	s_and_saveexec_b64 s[44:45], s[4:5]
	s_cbranch_execz .LBB280_58
; %bb.57:                               ;   in Loop: Header=BB280_13 Depth=1
	v_and_b32_e32 v38, 7, v15
	v_ffbh_u32_e32 v42, v38
	v_min_u32_e32 v45, 32, v42
	v_subrev_u32_e32 v42, 28, v45
	v_lshlrev_b64 v[42:43], v42, v[15:16]
	v_lshrrev_b32_e32 v44, 3, v41
	v_sub_u32_e32 v15, 29, v45
	v_and_b32_e32 v42, 7, v42
	v_cmp_gt_u32_e64 s[4:5], 8, v41
	v_cndmask_b32_e64 v15, v44, v15, s[4:5]
	v_cndmask_b32_e64 v38, v38, v42, s[4:5]
	v_lshlrev_b32_e32 v40, 24, v40
	v_lshlrev_b32_e32 v38, 20, v38
	v_and_b32_e32 v40, 0x80000000, v40
	v_lshl_add_u32 v15, v15, 23, v29
	v_or3_b32 v38, v40, v15, v38
.LBB280_58:                             ;   in Loop: Header=BB280_13 Depth=1
	s_or_b64 exec, exec, s[44:45]
.LBB280_59:                             ;   in Loop: Header=BB280_13 Depth=1
	s_or_b64 exec, exec, s[42:43]
.LBB280_60:                             ;   in Loop: Header=BB280_13 Depth=1
	s_or_b64 exec, exec, s[40:41]
	global_load_ubyte v40, v[13:14], off offset:392
	s_waitcnt vmcnt(0)
	v_cmp_ne_u16_e64 s[4:5], 0, v40
	s_and_saveexec_b64 s[40:41], s[4:5]
	s_cbranch_execz .LBB280_66
; %bb.61:                               ;   in Loop: Header=BB280_13 Depth=1
	v_cmp_ne_u16_e64 s[4:5], s52, v40
	v_bfrev_b32_e32 v39, 1
	s_and_saveexec_b64 s[42:43], s[4:5]
	s_cbranch_execz .LBB280_65
; %bb.62:                               ;   in Loop: Header=BB280_13 Depth=1
	v_and_b32_e32 v15, 0xffff, v40
	v_and_b32_e32 v41, 0x7f, v15
	v_cmp_ne_u32_e64 s[4:5], s53, v41
	v_mov_b32_e32 v39, 0x7f800001
	s_and_saveexec_b64 s[44:45], s[4:5]
	s_cbranch_execz .LBB280_64
; %bb.63:                               ;   in Loop: Header=BB280_13 Depth=1
	v_and_b32_e32 v39, 7, v15
	v_ffbh_u32_e32 v42, v39
	v_min_u32_e32 v45, 32, v42
	v_subrev_u32_e32 v42, 28, v45
	v_lshlrev_b64 v[42:43], v42, v[15:16]
	v_lshrrev_b32_e32 v44, 3, v41
	v_sub_u32_e32 v15, 29, v45
	v_and_b32_e32 v42, 7, v42
	v_cmp_gt_u32_e64 s[4:5], 8, v41
	v_cndmask_b32_e64 v15, v44, v15, s[4:5]
	v_cndmask_b32_e64 v39, v39, v42, s[4:5]
	v_lshlrev_b32_e32 v40, 24, v40
	v_lshlrev_b32_e32 v39, 20, v39
	v_and_b32_e32 v40, 0x80000000, v40
	v_lshl_add_u32 v15, v15, 23, v29
	v_or3_b32 v39, v40, v15, v39
.LBB280_64:                             ;   in Loop: Header=BB280_13 Depth=1
	s_or_b64 exec, exec, s[44:45]
.LBB280_65:                             ;   in Loop: Header=BB280_13 Depth=1
	s_or_b64 exec, exec, s[42:43]
.LBB280_66:                             ;   in Loop: Header=BB280_13 Depth=1
	s_or_b64 exec, exec, s[40:41]
	global_load_ubyte v42, v[13:14], off offset:512
	v_mov_b32_e32 v41, 0
	v_mov_b32_e32 v40, 0
	s_waitcnt vmcnt(0)
	v_cmp_ne_u16_e64 s[4:5], 0, v42
	s_and_saveexec_b64 s[40:41], s[4:5]
	s_cbranch_execz .LBB280_72
; %bb.67:                               ;   in Loop: Header=BB280_13 Depth=1
	v_cmp_ne_u16_e64 s[4:5], s52, v42
	v_bfrev_b32_e32 v40, 1
	s_and_saveexec_b64 s[42:43], s[4:5]
	s_cbranch_execz .LBB280_71
; %bb.68:                               ;   in Loop: Header=BB280_13 Depth=1
	v_and_b32_e32 v15, 0xffff, v42
	v_and_b32_e32 v43, 0x7f, v15
	v_cmp_ne_u32_e64 s[4:5], s53, v43
	v_mov_b32_e32 v40, 0x7f800001
	s_and_saveexec_b64 s[44:45], s[4:5]
	s_cbranch_execz .LBB280_70
; %bb.69:                               ;   in Loop: Header=BB280_13 Depth=1
	v_and_b32_e32 v40, 7, v15
	v_ffbh_u32_e32 v44, v40
	v_min_u32_e32 v47, 32, v44
	v_subrev_u32_e32 v44, 28, v47
	v_lshlrev_b64 v[44:45], v44, v[15:16]
	v_lshrrev_b32_e32 v46, 3, v43
	v_sub_u32_e32 v15, 29, v47
	v_and_b32_e32 v44, 7, v44
	v_cmp_gt_u32_e64 s[4:5], 8, v43
	v_cndmask_b32_e64 v15, v46, v15, s[4:5]
	v_cndmask_b32_e64 v40, v40, v44, s[4:5]
	v_lshlrev_b32_e32 v42, 24, v42
	v_lshlrev_b32_e32 v40, 20, v40
	v_and_b32_e32 v42, 0x80000000, v42
	v_lshl_add_u32 v15, v15, 23, v29
	v_or3_b32 v40, v42, v15, v40
.LBB280_70:                             ;   in Loop: Header=BB280_13 Depth=1
	s_or_b64 exec, exec, s[44:45]
.LBB280_71:                             ;   in Loop: Header=BB280_13 Depth=1
	s_or_b64 exec, exec, s[42:43]
.LBB280_72:                             ;   in Loop: Header=BB280_13 Depth=1
	s_or_b64 exec, exec, s[40:41]
	global_load_ubyte v42, v[13:14], off offset:520
	s_waitcnt vmcnt(0)
	v_cmp_ne_u16_e64 s[4:5], 0, v42
	s_and_saveexec_b64 s[40:41], s[4:5]
	s_cbranch_execz .LBB280_78
; %bb.73:                               ;   in Loop: Header=BB280_13 Depth=1
	v_cmp_ne_u16_e64 s[4:5], s52, v42
	v_bfrev_b32_e32 v41, 1
	s_and_saveexec_b64 s[42:43], s[4:5]
	s_cbranch_execz .LBB280_77
; %bb.74:                               ;   in Loop: Header=BB280_13 Depth=1
	v_and_b32_e32 v15, 0xffff, v42
	v_and_b32_e32 v43, 0x7f, v15
	v_cmp_ne_u32_e64 s[4:5], s53, v43
	v_mov_b32_e32 v41, 0x7f800001
	s_and_saveexec_b64 s[44:45], s[4:5]
	s_cbranch_execz .LBB280_76
; %bb.75:                               ;   in Loop: Header=BB280_13 Depth=1
	v_and_b32_e32 v41, 7, v15
	v_ffbh_u32_e32 v44, v41
	v_min_u32_e32 v47, 32, v44
	v_subrev_u32_e32 v44, 28, v47
	v_lshlrev_b64 v[44:45], v44, v[15:16]
	v_lshrrev_b32_e32 v46, 3, v43
	v_sub_u32_e32 v15, 29, v47
	v_and_b32_e32 v44, 7, v44
	v_cmp_gt_u32_e64 s[4:5], 8, v43
	v_cndmask_b32_e64 v15, v46, v15, s[4:5]
	v_cndmask_b32_e64 v41, v41, v44, s[4:5]
	v_lshlrev_b32_e32 v42, 24, v42
	v_lshlrev_b32_e32 v41, 20, v41
	v_and_b32_e32 v42, 0x80000000, v42
	v_lshl_add_u32 v15, v15, 23, v29
	v_or3_b32 v41, v42, v15, v41
.LBB280_76:                             ;   in Loop: Header=BB280_13 Depth=1
	s_or_b64 exec, exec, s[44:45]
.LBB280_77:                             ;   in Loop: Header=BB280_13 Depth=1
	s_or_b64 exec, exec, s[42:43]
.LBB280_78:                             ;   in Loop: Header=BB280_13 Depth=1
	s_or_b64 exec, exec, s[40:41]
	global_load_ubyte v44, v[13:14], off offset:640
	v_mov_b32_e32 v43, 0
	v_mov_b32_e32 v42, 0
	s_waitcnt vmcnt(0)
	v_cmp_ne_u16_e64 s[4:5], 0, v44
	s_and_saveexec_b64 s[40:41], s[4:5]
	s_cbranch_execz .LBB280_84
; %bb.79:                               ;   in Loop: Header=BB280_13 Depth=1
	v_cmp_ne_u16_e64 s[4:5], s52, v44
	v_bfrev_b32_e32 v42, 1
	s_and_saveexec_b64 s[42:43], s[4:5]
	s_cbranch_execz .LBB280_83
; %bb.80:                               ;   in Loop: Header=BB280_13 Depth=1
	v_and_b32_e32 v15, 0xffff, v44
	v_and_b32_e32 v45, 0x7f, v15
	v_cmp_ne_u32_e64 s[4:5], s53, v45
	v_mov_b32_e32 v42, 0x7f800001
	s_and_saveexec_b64 s[44:45], s[4:5]
	s_cbranch_execz .LBB280_82
; %bb.81:                               ;   in Loop: Header=BB280_13 Depth=1
	v_and_b32_e32 v42, 7, v15
	v_ffbh_u32_e32 v46, v42
	v_min_u32_e32 v49, 32, v46
	v_subrev_u32_e32 v46, 28, v49
	v_lshlrev_b64 v[46:47], v46, v[15:16]
	v_lshrrev_b32_e32 v48, 3, v45
	v_sub_u32_e32 v15, 29, v49
	v_and_b32_e32 v46, 7, v46
	v_cmp_gt_u32_e64 s[4:5], 8, v45
	v_cndmask_b32_e64 v15, v48, v15, s[4:5]
	v_cndmask_b32_e64 v42, v42, v46, s[4:5]
	v_lshlrev_b32_e32 v44, 24, v44
	v_lshlrev_b32_e32 v42, 20, v42
	v_and_b32_e32 v44, 0x80000000, v44
	v_lshl_add_u32 v15, v15, 23, v29
	v_or3_b32 v42, v44, v15, v42
.LBB280_82:                             ;   in Loop: Header=BB280_13 Depth=1
	s_or_b64 exec, exec, s[44:45]
.LBB280_83:                             ;   in Loop: Header=BB280_13 Depth=1
	s_or_b64 exec, exec, s[42:43]
.LBB280_84:                             ;   in Loop: Header=BB280_13 Depth=1
	s_or_b64 exec, exec, s[40:41]
	global_load_ubyte v44, v[13:14], off offset:648
	s_waitcnt vmcnt(0)
	v_cmp_ne_u16_e64 s[4:5], 0, v44
	s_and_saveexec_b64 s[40:41], s[4:5]
	s_cbranch_execz .LBB280_90
; %bb.85:                               ;   in Loop: Header=BB280_13 Depth=1
	v_cmp_ne_u16_e64 s[4:5], s52, v44
	v_bfrev_b32_e32 v43, 1
	s_and_saveexec_b64 s[42:43], s[4:5]
	s_cbranch_execz .LBB280_89
; %bb.86:                               ;   in Loop: Header=BB280_13 Depth=1
	v_and_b32_e32 v15, 0xffff, v44
	v_and_b32_e32 v45, 0x7f, v15
	v_cmp_ne_u32_e64 s[4:5], s53, v45
	v_mov_b32_e32 v43, 0x7f800001
	s_and_saveexec_b64 s[44:45], s[4:5]
	s_cbranch_execz .LBB280_88
; %bb.87:                               ;   in Loop: Header=BB280_13 Depth=1
	v_and_b32_e32 v43, 7, v15
	v_ffbh_u32_e32 v46, v43
	v_min_u32_e32 v49, 32, v46
	v_subrev_u32_e32 v46, 28, v49
	v_lshlrev_b64 v[46:47], v46, v[15:16]
	v_lshrrev_b32_e32 v48, 3, v45
	v_sub_u32_e32 v15, 29, v49
	v_and_b32_e32 v46, 7, v46
	v_cmp_gt_u32_e64 s[4:5], 8, v45
	v_cndmask_b32_e64 v15, v48, v15, s[4:5]
	v_cndmask_b32_e64 v43, v43, v46, s[4:5]
	v_lshlrev_b32_e32 v44, 24, v44
	v_lshlrev_b32_e32 v43, 20, v43
	v_and_b32_e32 v44, 0x80000000, v44
	v_lshl_add_u32 v15, v15, 23, v29
	v_or3_b32 v43, v44, v15, v43
.LBB280_88:                             ;   in Loop: Header=BB280_13 Depth=1
	s_or_b64 exec, exec, s[44:45]
.LBB280_89:                             ;   in Loop: Header=BB280_13 Depth=1
	s_or_b64 exec, exec, s[42:43]
.LBB280_90:                             ;   in Loop: Header=BB280_13 Depth=1
	s_or_b64 exec, exec, s[40:41]
	global_load_ubyte v46, v[13:14], off offset:768
	v_mov_b32_e32 v45, 0
	v_mov_b32_e32 v44, 0
	s_waitcnt vmcnt(0)
	v_cmp_ne_u16_e64 s[4:5], 0, v46
	s_and_saveexec_b64 s[40:41], s[4:5]
	s_cbranch_execz .LBB280_96
; %bb.91:                               ;   in Loop: Header=BB280_13 Depth=1
	v_cmp_ne_u16_e64 s[4:5], s52, v46
	v_bfrev_b32_e32 v44, 1
	s_and_saveexec_b64 s[42:43], s[4:5]
	s_cbranch_execz .LBB280_95
; %bb.92:                               ;   in Loop: Header=BB280_13 Depth=1
	v_and_b32_e32 v15, 0xffff, v46
	v_and_b32_e32 v47, 0x7f, v15
	v_cmp_ne_u32_e64 s[4:5], s53, v47
	v_mov_b32_e32 v44, 0x7f800001
	s_and_saveexec_b64 s[44:45], s[4:5]
	s_cbranch_execz .LBB280_94
; %bb.93:                               ;   in Loop: Header=BB280_13 Depth=1
	v_and_b32_e32 v44, 7, v15
	v_ffbh_u32_e32 v48, v44
	v_min_u32_e32 v51, 32, v48
	v_subrev_u32_e32 v48, 28, v51
	v_lshlrev_b64 v[48:49], v48, v[15:16]
	v_lshrrev_b32_e32 v50, 3, v47
	v_sub_u32_e32 v15, 29, v51
	v_and_b32_e32 v48, 7, v48
	v_cmp_gt_u32_e64 s[4:5], 8, v47
	v_cndmask_b32_e64 v15, v50, v15, s[4:5]
	v_cndmask_b32_e64 v44, v44, v48, s[4:5]
	v_lshlrev_b32_e32 v46, 24, v46
	v_lshlrev_b32_e32 v44, 20, v44
	v_and_b32_e32 v46, 0x80000000, v46
	v_lshl_add_u32 v15, v15, 23, v29
	v_or3_b32 v44, v46, v15, v44
.LBB280_94:                             ;   in Loop: Header=BB280_13 Depth=1
	s_or_b64 exec, exec, s[44:45]
.LBB280_95:                             ;   in Loop: Header=BB280_13 Depth=1
	s_or_b64 exec, exec, s[42:43]
.LBB280_96:                             ;   in Loop: Header=BB280_13 Depth=1
	s_or_b64 exec, exec, s[40:41]
	global_load_ubyte v46, v[13:14], off offset:776
	s_waitcnt vmcnt(0)
	v_cmp_ne_u16_e64 s[4:5], 0, v46
	s_and_saveexec_b64 s[40:41], s[4:5]
	s_cbranch_execz .LBB280_102
; %bb.97:                               ;   in Loop: Header=BB280_13 Depth=1
	v_cmp_ne_u16_e64 s[4:5], s52, v46
	v_bfrev_b32_e32 v45, 1
	s_and_saveexec_b64 s[42:43], s[4:5]
	s_cbranch_execz .LBB280_101
; %bb.98:                               ;   in Loop: Header=BB280_13 Depth=1
	v_and_b32_e32 v15, 0xffff, v46
	v_and_b32_e32 v47, 0x7f, v15
	v_cmp_ne_u32_e64 s[4:5], s53, v47
	v_mov_b32_e32 v45, 0x7f800001
	s_and_saveexec_b64 s[44:45], s[4:5]
	s_cbranch_execz .LBB280_100
; %bb.99:                               ;   in Loop: Header=BB280_13 Depth=1
	v_and_b32_e32 v45, 7, v15
	v_ffbh_u32_e32 v48, v45
	v_min_u32_e32 v51, 32, v48
	v_subrev_u32_e32 v48, 28, v51
	v_lshlrev_b64 v[48:49], v48, v[15:16]
	v_lshrrev_b32_e32 v50, 3, v47
	v_sub_u32_e32 v15, 29, v51
	v_and_b32_e32 v48, 7, v48
	v_cmp_gt_u32_e64 s[4:5], 8, v47
	v_cndmask_b32_e64 v15, v50, v15, s[4:5]
	v_cndmask_b32_e64 v45, v45, v48, s[4:5]
	v_lshlrev_b32_e32 v46, 24, v46
	v_lshlrev_b32_e32 v45, 20, v45
	v_and_b32_e32 v46, 0x80000000, v46
	v_lshl_add_u32 v15, v15, 23, v29
	v_or3_b32 v45, v46, v15, v45
.LBB280_100:                            ;   in Loop: Header=BB280_13 Depth=1
	s_or_b64 exec, exec, s[44:45]
.LBB280_101:                            ;   in Loop: Header=BB280_13 Depth=1
	s_or_b64 exec, exec, s[42:43]
.LBB280_102:                            ;   in Loop: Header=BB280_13 Depth=1
	s_or_b64 exec, exec, s[40:41]
	global_load_ubyte v48, v[13:14], off offset:896
	v_mov_b32_e32 v46, 0
	v_mov_b32_e32 v47, 0
	s_waitcnt vmcnt(0)
	v_cmp_ne_u16_e64 s[4:5], 0, v48
	s_and_saveexec_b64 s[40:41], s[4:5]
	s_cbranch_execz .LBB280_108
; %bb.103:                              ;   in Loop: Header=BB280_13 Depth=1
	v_cmp_ne_u16_e64 s[4:5], s52, v48
	v_bfrev_b32_e32 v47, 1
	s_and_saveexec_b64 s[42:43], s[4:5]
	s_cbranch_execz .LBB280_107
; %bb.104:                              ;   in Loop: Header=BB280_13 Depth=1
	v_and_b32_e32 v15, 0xffff, v48
	v_and_b32_e32 v49, 0x7f, v15
	v_cmp_ne_u32_e64 s[4:5], s53, v49
	v_mov_b32_e32 v47, 0x7f800001
	s_and_saveexec_b64 s[44:45], s[4:5]
	s_cbranch_execz .LBB280_106
; %bb.105:                              ;   in Loop: Header=BB280_13 Depth=1
	v_and_b32_e32 v47, 7, v15
	v_ffbh_u32_e32 v50, v47
	v_min_u32_e32 v53, 32, v50
	v_subrev_u32_e32 v50, 28, v53
	v_lshlrev_b64 v[50:51], v50, v[15:16]
	v_lshrrev_b32_e32 v52, 3, v49
	v_sub_u32_e32 v15, 29, v53
	v_and_b32_e32 v50, 7, v50
	v_cmp_gt_u32_e64 s[4:5], 8, v49
	v_cndmask_b32_e64 v15, v52, v15, s[4:5]
	v_cndmask_b32_e64 v47, v47, v50, s[4:5]
	v_lshlrev_b32_e32 v48, 24, v48
	v_lshlrev_b32_e32 v47, 20, v47
	v_and_b32_e32 v48, 0x80000000, v48
	v_lshl_add_u32 v15, v15, 23, v29
	v_or3_b32 v47, v48, v15, v47
.LBB280_106:                            ;   in Loop: Header=BB280_13 Depth=1
	s_or_b64 exec, exec, s[44:45]
.LBB280_107:                            ;   in Loop: Header=BB280_13 Depth=1
	s_or_b64 exec, exec, s[42:43]
.LBB280_108:                            ;   in Loop: Header=BB280_13 Depth=1
	s_or_b64 exec, exec, s[40:41]
	global_load_ubyte v14, v[13:14], off offset:904
	s_waitcnt vmcnt(0)
	v_cmp_ne_u16_e64 s[4:5], 0, v14
	s_and_saveexec_b64 s[40:41], s[4:5]
	s_cbranch_execz .LBB280_114
; %bb.109:                              ;   in Loop: Header=BB280_13 Depth=1
	v_cmp_ne_u16_e64 s[4:5], s52, v14
	v_bfrev_b32_e32 v46, 1
	s_and_saveexec_b64 s[42:43], s[4:5]
	s_cbranch_execz .LBB280_113
; %bb.110:                              ;   in Loop: Header=BB280_13 Depth=1
	v_and_b32_e32 v13, 0xffff, v14
	v_and_b32_e32 v15, 0x7f, v13
	v_cmp_ne_u32_e64 s[4:5], s53, v15
	v_mov_b32_e32 v46, 0x7f800001
	s_and_saveexec_b64 s[44:45], s[4:5]
	s_cbranch_execz .LBB280_112
; %bb.111:                              ;   in Loop: Header=BB280_13 Depth=1
	v_and_b32_e32 v46, 7, v13
	v_ffbh_u32_e32 v48, v46
	v_min_u32_e32 v51, 32, v48
	v_subrev_u32_e32 v48, 28, v51
	v_lshlrev_b64 v[48:49], v48, v[13:14]
	v_lshrrev_b32_e32 v50, 3, v15
	v_sub_u32_e32 v13, 29, v51
	v_and_b32_e32 v48, 7, v48
	v_cmp_gt_u32_e64 s[4:5], 8, v15
	v_cndmask_b32_e64 v13, v50, v13, s[4:5]
	v_cndmask_b32_e64 v15, v46, v48, s[4:5]
	v_lshlrev_b32_e32 v14, 24, v14
	v_lshlrev_b32_e32 v15, 20, v15
	v_and_b32_e32 v14, 0x80000000, v14
	v_lshl_add_u32 v13, v13, 23, v29
	v_or3_b32 v46, v14, v13, v15
.LBB280_112:                            ;   in Loop: Header=BB280_13 Depth=1
	s_or_b64 exec, exec, s[44:45]
.LBB280_113:                            ;   in Loop: Header=BB280_13 Depth=1
	s_or_b64 exec, exec, s[42:43]
.LBB280_114:                            ;   in Loop: Header=BB280_13 Depth=1
	s_or_b64 exec, exec, s[40:41]
	s_waitcnt lgkmcnt(0)
	v_mul_f32_e32 v13, s55, v47
	v_bfe_u32 v14, v13, 16, 1
	v_add3_u32 v14, v14, v13, s54
	v_or_b32_e32 v15, 0x400000, v13
	v_cmp_u_f32_e64 s[4:5], v13, v13
	v_cndmask_b32_e64 v13, v14, v15, s[4:5]
	v_mul_f32_e32 v14, s55, v45
	v_bfe_u32 v15, v14, 16, 1
	v_add3_u32 v15, v15, v14, s54
	v_or_b32_e32 v45, 0x400000, v14
	v_cmp_u_f32_e64 s[4:5], v14, v14
	v_cndmask_b32_e64 v14, v15, v45, s[4:5]
	v_mul_f32_e32 v15, s55, v44
	v_bfe_u32 v44, v15, 16, 1
	v_add3_u32 v44, v44, v15, s54
	v_or_b32_e32 v45, 0x400000, v15
	v_cmp_u_f32_e64 s[4:5], v15, v15
	v_mul_f32_e32 v43, s55, v43
	v_cndmask_b32_e64 v15, v44, v45, s[4:5]
	v_bfe_u32 v44, v43, 16, 1
	v_add3_u32 v44, v44, v43, s54
	v_or_b32_e32 v45, 0x400000, v43
	v_cmp_u_f32_e64 s[4:5], v43, v43
	v_mul_f32_e32 v42, s55, v42
	v_cndmask_b32_e64 v43, v44, v45, s[4:5]
	;; [unrolled: 6-line block ×12, first 2 shown]
	v_bfe_u32 v44, v32, 16, 1
	v_add3_u32 v44, v44, v32, s54
	v_or_b32_e32 v45, 0x400000, v32
	v_cmp_u_f32_e64 s[4:5], v32, v32
	v_cndmask_b32_e64 v32, v44, v45, s[4:5]
	v_and_b32_e32 v44, 64, v30
	v_add_u32_e32 v44, 64, v44
	v_xor_b32_e32 v45, 4, v30
	v_mul_f32_e32 v46, s55, v46
	v_cmp_lt_i32_e64 s[4:5], v45, v44
	v_bfe_u32 v47, v46, 16, 1
	v_cndmask_b32_e64 v45, v30, v45, s[4:5]
	v_add3_u32 v47, v47, v46, s54
	v_or_b32_e32 v48, 0x400000, v46
	v_cmp_u_f32_e64 s[4:5], v46, v46
	v_cndmask_b32_e64 v46, v47, v48, s[4:5]
	v_lshlrev_b32_e32 v47, 16, v5
	v_and_b32_e32 v5, 0xffff0000, v5
	v_and_b32_e32 v33, 0xffff0000, v33
	;; [unrolled: 1-line block ×3, first 2 shown]
	v_mul_f32_e32 v5, v5, v33
	v_lshlrev_b32_e32 v48, 16, v6
	v_fmac_f32_e32 v5, v47, v32
	v_and_b32_e32 v32, 0xffff0000, v34
	v_and_b32_e32 v6, 0xffff0000, v6
	v_fmac_f32_e32 v5, v48, v32
	v_and_b32_e32 v32, 0xffff0000, v35
	v_lshlrev_b32_e32 v49, 16, v7
	v_fmac_f32_e32 v5, v6, v32
	v_and_b32_e32 v6, 0xffff0000, v36
	v_and_b32_e32 v7, 0xffff0000, v7
	v_fmac_f32_e32 v5, v49, v6
	v_and_b32_e32 v6, 0xffff0000, v37
	;; [unrolled: 6-line block ×7, first 2 shown]
	v_lshlrev_b32_e32 v45, 2, v45
	v_fmac_f32_e32 v5, v4, v1
	ds_bpermute_b32 v1, v45, v5
	v_xor_b32_e32 v2, 2, v30
	v_cmp_lt_i32_e64 s[4:5], v2, v44
	v_cndmask_b32_e64 v2, v30, v2, s[4:5]
	v_lshlrev_b32_e32 v2, 2, v2
	s_waitcnt lgkmcnt(0)
	v_add_f32_e32 v1, v5, v1
	ds_bpermute_b32 v2, v2, v1
	v_xor_b32_e32 v3, 1, v30
	v_cmp_lt_i32_e64 s[4:5], v3, v44
	v_cndmask_b32_e64 v3, v30, v3, s[4:5]
	v_lshlrev_b32_e32 v3, 2, v3
	s_waitcnt lgkmcnt(0)
	v_add_f32_e32 v1, v1, v2
	ds_bpermute_b32 v2, v3, v1
	s_and_saveexec_b64 s[40:41], vcc
	s_cbranch_execz .LBB280_11
; %bb.115:                              ;   in Loop: Header=BB280_13 Depth=1
	v_add_u32_e32 v3, v26, v25
	v_cvt_f32_i32_e32 v3, v3
	s_waitcnt lgkmcnt(0)
	v_add_f32_e32 v1, v1, v2
	v_add_u32_e32 v4, v18, v25
	v_cmp_gt_i32_e64 s[4:5], s11, v4
	v_mul_f32_e32 v2, s48, v3
	v_cndmask_b32_e64 v2, 0, v2, s[2:3]
	v_fmac_f32_e32 v2, s37, v1
	v_cndmask_b32_e64 v1, 0, v2, s[4:5]
	ds_write_b32 v27, v1
	v_max_f32_e32 v1, v23, v23
	v_max_f32_e32 v1, v1, v2
	v_cndmask_b32_e64 v23, v23, v1, s[4:5]
	s_branch .LBB280_11
.LBB280_116:
	s_or_b64 exec, exec, s[38:39]
.LBB280_117:
	s_or_b64 exec, exec, s[18:19]
	v_mbcnt_hi_u32_b32 v1, -1, v17
	v_and_b32_e32 v9, 64, v1
	s_waitcnt lgkmcnt(0)
	v_add_u32_e32 v2, 64, v9
	v_xor_b32_e32 v3, 32, v1
	v_cmp_lt_i32_e32 vcc, v3, v2
	v_cndmask_b32_e32 v3, v1, v3, vcc
	v_lshlrev_b32_e32 v4, 2, v3
	ds_bpermute_b32 v3, v4, v23
	v_xor_b32_e32 v6, 16, v1
	v_max_f32_e32 v5, v23, v23
	v_cmp_lt_i32_e32 vcc, v6, v2
	v_xor_b32_e32 v7, 8, v1
	s_waitcnt lgkmcnt(0)
	v_max_f32_e32 v3, v3, v3
	v_max_f32_e32 v3, v5, v3
	v_cndmask_b32_e32 v5, v1, v6, vcc
	v_lshlrev_b32_e32 v6, 2, v5
	ds_bpermute_b32 v5, v6, v3
	v_cmp_lt_i32_e32 vcc, v7, v2
	v_and_b32_e32 v23, 63, v0
	s_waitcnt lgkmcnt(0)
	v_max_f32_e32 v5, v5, v5
	v_max_f32_e32 v5, v3, v5
	v_cndmask_b32_e32 v3, v1, v7, vcc
	v_lshlrev_b32_e32 v8, 2, v3
	ds_bpermute_b32 v7, v8, v5
	v_cmp_eq_u32_e32 vcc, 0, v23
	v_lshlrev_b32_e32 v3, 2, v21
	s_and_saveexec_b64 s[2:3], vcc
	s_cbranch_execz .LBB280_119
; %bb.118:
	s_waitcnt lgkmcnt(0)
	v_max_f32_e32 v7, v7, v7
	v_max_f32_e32 v5, v5, v5
	v_max_f32_e32 v5, v5, v7
	ds_write_b32 v3, v5 offset:256
.LBB280_119:
	s_or_b64 exec, exec, s[2:3]
	v_cmp_gt_u32_e64 s[2:3], 2, v23
	v_mov_b32_e32 v10, 0xff7fffff
	v_lshlrev_b32_e32 v5, 2, v23
	s_waitcnt lgkmcnt(0)
	s_barrier
	s_and_saveexec_b64 s[4:5], s[2:3]
; %bb.120:
	ds_read_b32 v10, v5 offset:256
; %bb.121:
	s_or_b64 exec, exec, s[4:5]
	v_xor_b32_e32 v7, 1, v1
	v_cmp_lt_i32_e64 s[4:5], v7, v2
	v_cndmask_b32_e64 v7, v1, v7, s[4:5]
	v_lshlrev_b32_e32 v7, 2, v7
	s_waitcnt lgkmcnt(0)
	ds_bpermute_b32 v11, v7, v10
	v_max_f32_e32 v10, v10, v10
	v_lshlrev_b32_e32 v9, 2, v9
	s_lshl_b32 s4, s47, 3
	s_min_i32 s37, s4, s11
	s_waitcnt lgkmcnt(0)
	v_max_f32_e32 v11, v11, v11
	v_max_f32_e32 v10, v10, v11
	ds_bpermute_b32 v10, v9, v10
	v_cmp_gt_i32_e64 s[4:5], s37, v0
	v_mov_b32_e32 v9, 0
	s_and_saveexec_b64 s[12:13], s[4:5]
	s_cbranch_execz .LBB280_125
; %bb.122:
	v_mov_b32_e32 v9, 0x110
	v_lshl_add_u32 v11, v0, 2, v9
	v_mov_b32_e32 v9, 0
	s_mov_b64 s[18:19], 0
	v_mov_b32_e32 v12, v0
.LBB280_123:                            ; =>This Inner Loop Header: Depth=1
	ds_read_b32 v13, v11
	v_add_u32_e32 v12, 0x80, v12
	v_cmp_le_i32_e64 s[6:7], s37, v12
	s_or_b64 s[18:19], s[6:7], s[18:19]
	s_waitcnt lgkmcnt(0)
	v_sub_f32_e32 v13, v13, v10
	v_mul_f32_e32 v13, 0x3fb8aa3b, v13
	v_exp_f32_e32 v13, v13
	ds_write_b32 v11, v13
	v_add_f32_e32 v9, v9, v13
	v_add_u32_e32 v11, 0x200, v11
	s_andn2_b64 exec, exec, s[18:19]
	s_cbranch_execnz .LBB280_123
; %bb.124:
	s_or_b64 exec, exec, s[18:19]
.LBB280_125:
	s_or_b64 exec, exec, s[12:13]
	ds_bpermute_b32 v4, v4, v9
	s_waitcnt lgkmcnt(0)
	v_add_f32_e32 v4, v9, v4
	ds_bpermute_b32 v6, v6, v4
	s_waitcnt lgkmcnt(0)
	v_add_f32_e32 v4, v4, v6
	ds_bpermute_b32 v6, v8, v4
	v_xor_b32_e32 v8, 4, v1
	v_cmp_lt_i32_e64 s[6:7], v8, v2
	v_cndmask_b32_e64 v8, v1, v8, s[6:7]
	v_lshlrev_b32_e32 v8, 2, v8
	s_waitcnt lgkmcnt(0)
	v_add_f32_e32 v4, v4, v6
	ds_bpermute_b32 v6, v8, v4
	v_xor_b32_e32 v8, 2, v1
	v_cmp_lt_i32_e64 s[6:7], v8, v2
	v_cndmask_b32_e64 v2, v1, v8, s[6:7]
	v_lshlrev_b32_e32 v2, 2, v2
	s_waitcnt lgkmcnt(0)
	v_add_f32_e32 v4, v4, v6
	ds_bpermute_b32 v2, v2, v4
	s_waitcnt lgkmcnt(0)
	v_add_f32_e32 v2, v4, v2
	ds_bpermute_b32 v4, v7, v2
	s_waitcnt lgkmcnt(0)
	v_add_f32_e32 v2, v2, v4
	s_and_saveexec_b64 s[6:7], vcc
; %bb.126:
	ds_write_b32 v3, v2 offset:264
; %bb.127:
	s_or_b64 exec, exec, s[6:7]
	s_waitcnt lgkmcnt(0)
	s_barrier
	s_and_saveexec_b64 s[6:7], s[2:3]
; %bb.128:
	ds_read_b32 v2, v5 offset:264
; %bb.129:
	s_or_b64 exec, exec, s[6:7]
	s_waitcnt lgkmcnt(0)
	ds_bpermute_b32 v3, v7, v2
	v_lshlrev_b32_e32 v1, 2, v1
	v_and_b32_e32 v1, 0x100, v1
	s_waitcnt lgkmcnt(0)
	v_add_f32_e32 v2, v2, v3
	ds_bpermute_b32 v1, v1, v2
	s_and_saveexec_b64 s[2:3], s[4:5]
	s_cbranch_execz .LBB280_132
; %bb.130:
	s_waitcnt lgkmcnt(0)
	v_add_f32_e32 v2, 0x358637bd, v1
	v_div_scale_f32 v1, s[4:5], v2, v2, 1.0
	v_div_scale_f32 v3, vcc, 1.0, v2, 1.0
	s_mov_b64 s[4:5], 0
	v_rcp_f32_e32 v4, v1
	v_fma_f32 v5, -v1, v4, 1.0
	v_fmac_f32_e32 v4, v5, v4
	v_mul_f32_e32 v5, v3, v4
	v_fma_f32 v6, -v1, v5, v3
	v_fmac_f32_e32 v5, v6, v4
	v_fma_f32 v1, -v1, v5, v3
	v_div_fmas_f32 v3, v1, v4, v5
	v_mov_b32_e32 v1, 0x110
	v_lshl_add_u32 v1, v0, 2, v1
	v_div_fixup_f32 v2, v3, v2, 1.0
	v_mov_b32_e32 v3, v0
.LBB280_131:                            ; =>This Inner Loop Header: Depth=1
	ds_read_b32 v4, v1
	v_add_u32_e32 v3, 0x80, v3
	v_cmp_le_i32_e32 vcc, s37, v3
	s_or_b64 s[4:5], vcc, s[4:5]
	s_waitcnt lgkmcnt(0)
	v_mul_f32_e32 v4, v2, v4
	ds_write_b32 v1, v4
	v_add_u32_e32 v1, 0x200, v1
	s_andn2_b64 exec, exec, s[4:5]
	s_cbranch_execnz .LBB280_131
.LBB280_132:
	s_or_b64 exec, exec, s[2:3]
	v_mov_b32_e32 v24, 0
	v_mov_b32_e32 v25, 0
	s_waitcnt lgkmcnt(0)
	s_barrier
	s_and_saveexec_b64 s[2:3], s[0:1]
	s_cbranch_execz .LBB280_238
; %bb.133:
	s_sub_i32 s37, s16, s21
	s_ashr_i32 s0, s20, 31
	s_add_u32 s6, s34, s20
	s_addc_u32 s7, s35, s0
	s_abs_i32 s22, s22
	v_cvt_f32_u32_e32 v1, s22
	s_sub_i32 s0, 0, s22
	v_lshlrev_b32_e32 v2, 3, v23
	s_add_i32 s35, s47, -1
	v_rcp_iflag_f32_e32 v1, v1
	v_mov_b32_e32 v5, s7
	v_add_co_u32_e32 v11, vcc, s6, v2
	v_mul_f32_e32 v1, 0x4f7ffffe, v1
	v_cvt_u32_f32_e32 v1, v1
	v_and_b32_e32 v3, 60, v16
	v_addc_co_u32_e32 v12, vcc, 0, v5, vcc
	v_mul_lo_u32 v4, s0, v1
	s_lshl_b64 s[0:1], s[30:31], 2
	s_add_u32 s0, s28, s0
	s_addc_u32 s1, s29, s1
	v_mul_hi_u32 v4, v1, v4
	v_add_co_u32_e32 v13, vcc, s0, v3
	s_mov_b32 s4, -1
	v_add_u32_e32 v26, v1, v4
	v_mov_b32_e32 v1, s1
	v_addc_co_u32_e32 v14, vcc, 0, v1, vcc
	v_mov_b32_e32 v1, 0x110
	s_mov_b32 s34, s17
	s_mov_b32 s5, 0xffffff
	v_mov_b32_e32 v10, 0
	v_lshl_add_u32 v27, v21, 5, v1
	s_mov_b64 s[6:7], 0
	s_movk_i32 s28, 0x80
	s_movk_i32 s29, 0x7f
	;; [unrolled: 1-line block ×3, first 2 shown]
	v_bfrev_b32_e32 v28, 60
	v_mov_b32_e32 v25, 0
	v_mov_b32_e32 v24, 0
	s_branch .LBB280_136
.LBB280_134:                            ;   in Loop: Header=BB280_136 Depth=1
	s_or_b64 exec, exec, s[0:1]
	v_bfe_u32 v35, v5, 16, 1
	v_add3_u32 v35, v35, v5, s30
	v_or_b32_e32 v36, 0x400000, v5
	v_cmp_u_f32_e32 vcc, v5, v5
	v_cndmask_b32_e32 v5, v35, v36, vcc
	v_bfe_u32 v35, v6, 16, 1
	v_add3_u32 v35, v35, v6, s30
	v_or_b32_e32 v36, 0x400000, v6
	v_cmp_u_f32_e32 vcc, v6, v6
	v_cndmask_b32_e32 v6, v35, v36, vcc
	;; [unrolled: 5-line block ×7, first 2 shown]
	v_bfe_u32 v35, v4, 16, 1
	v_and_b32_e32 v5, 0xffff0000, v5
	v_lshlrev_b32_e32 v34, 16, v34
	v_add3_u32 v35, v35, v4, s30
	v_or_b32_e32 v36, 0x400000, v4
	v_cmp_u_f32_e32 vcc, v4, v4
	v_mul_f32_e32 v34, v5, v34
	v_cndmask_b32_e32 v4, v35, v36, vcc
	v_bfe_u32 v35, v34, 16, 1
	v_and_b32_e32 v6, 0xffff0000, v6
	v_lshlrev_b32_e32 v33, 16, v33
	v_add3_u32 v35, v35, v34, s30
	v_or_b32_e32 v36, 0x400000, v34
	v_cmp_u_f32_e32 vcc, v34, v34
	v_mul_f32_e32 v33, v6, v33
	v_cndmask_b32_e32 v34, v35, v36, vcc
	;; [unrolled: 8-line block ×8, first 2 shown]
	v_bfe_u32 v35, v30, 16, 1
	v_and_b32_e32 v33, 0xffff0000, v33
	v_and_b32_e32 v34, 0xffff0000, v34
	;; [unrolled: 1-line block ×4, first 2 shown]
	v_add3_u32 v35, v35, v30, s30
	v_or_b32_e32 v36, 0x400000, v30
	v_cmp_u_f32_e32 vcc, v30, v30
	v_add_f32_e32 v33, v34, v33
	v_add_f32_e32 v29, v32, v29
	v_and_b32_e32 v18, 0xffff0000, v18
	v_and_b32_e32 v19, 0xffff0000, v19
	v_cndmask_b32_e32 v30, v35, v36, vcc
	v_add_f32_e32 v29, v29, v33
	v_add_f32_e32 v18, v19, v18
	;; [unrolled: 1-line block ×3, first 2 shown]
	v_and_b32_e32 v19, 0xffff0000, v30
	v_and_b32_e32 v29, 0xffff0000, v31
	v_add_f32_e32 v19, v29, v19
	v_add_f32_e32 v18, v19, v18
	;; [unrolled: 1-line block ×3, first 2 shown]
	v_lshlrev_b32_e32 v18, 16, v45
	v_mul_f32_e32 v5, v5, v18
	v_bfe_u32 v18, v5, 16, 1
	v_add3_u32 v18, v18, v5, s30
	v_or_b32_e32 v19, 0x400000, v5
	v_cmp_u_f32_e32 vcc, v5, v5
	v_cndmask_b32_e32 v5, v18, v19, vcc
	v_lshlrev_b32_e32 v18, 16, v43
	v_mul_f32_e32 v6, v6, v18
	v_bfe_u32 v18, v6, 16, 1
	v_add3_u32 v18, v18, v6, s30
	v_or_b32_e32 v19, 0x400000, v6
	v_cmp_u_f32_e32 vcc, v6, v6
	v_cndmask_b32_e32 v6, v18, v19, vcc
	v_lshlrev_b32_e32 v18, 16, v44
	v_mul_f32_e32 v7, v7, v18
	v_lshlrev_b32_e32 v16, 16, v16
	v_bfe_u32 v18, v7, 16, 1
	v_mul_f32_e32 v8, v8, v16
	v_lshlrev_b32_e32 v15, 16, v15
	v_add3_u32 v18, v18, v7, s30
	v_or_b32_e32 v19, 0x400000, v7
	v_cmp_u_f32_e32 vcc, v7, v7
	v_bfe_u32 v16, v8, 16, 1
	v_mul_f32_e32 v1, v1, v15
	v_lshlrev_b32_e32 v9, 16, v9
	v_cndmask_b32_e32 v7, v18, v19, vcc
	v_add3_u32 v16, v16, v8, s30
	v_or_b32_e32 v18, 0x400000, v8
	v_cmp_u_f32_e32 vcc, v8, v8
	v_bfe_u32 v15, v1, 16, 1
	v_mul_f32_e32 v2, v2, v9
	v_cndmask_b32_e32 v8, v16, v18, vcc
	v_add3_u32 v15, v15, v1, s30
	v_or_b32_e32 v16, 0x400000, v1
	v_cmp_u_f32_e32 vcc, v1, v1
	v_bfe_u32 v9, v2, 16, 1
	v_cndmask_b32_e32 v1, v15, v16, vcc
	v_add3_u32 v9, v9, v2, s30
	v_or_b32_e32 v15, 0x400000, v2
	v_cmp_u_f32_e32 vcc, v2, v2
	v_cndmask_b32_e32 v2, v9, v15, vcc
	v_lshlrev_b32_e32 v9, 16, v17
	v_mul_f32_e32 v3, v3, v9
	v_bfe_u32 v9, v3, 16, 1
	v_add3_u32 v9, v9, v3, s30
	v_or_b32_e32 v15, 0x400000, v3
	v_cmp_u_f32_e32 vcc, v3, v3
	v_cndmask_b32_e32 v3, v9, v15, vcc
	v_lshlrev_b32_e32 v9, 16, v42
	v_mul_f32_e32 v4, v4, v9
	v_bfe_u32 v9, v4, 16, 1
	v_and_b32_e32 v6, 0xffff0000, v6
	v_and_b32_e32 v5, 0xffff0000, v5
	v_add3_u32 v9, v9, v4, s30
	v_or_b32_e32 v15, 0x400000, v4
	v_cmp_u_f32_e32 vcc, v4, v4
	v_add_f32_e32 v5, v5, v6
	v_and_b32_e32 v6, 0xffff0000, v8
	v_and_b32_e32 v7, 0xffff0000, v7
	v_cndmask_b32_e32 v4, v9, v15, vcc
	v_add_f32_e32 v6, v7, v6
	v_and_b32_e32 v2, 0xffff0000, v2
	v_and_b32_e32 v1, 0xffff0000, v1
	v_add_f32_e32 v5, v6, v5
	v_add_f32_e32 v1, v1, v2
	v_and_b32_e32 v2, 0xffff0000, v4
	v_and_b32_e32 v3, 0xffff0000, v3
	v_add_f32_e32 v1, v1, v5
	v_add_f32_e32 v2, v3, v2
	;; [unrolled: 1-line block ×4, first 2 shown]
.LBB280_135:                            ;   in Loop: Header=BB280_136 Depth=1
	s_or_b64 exec, exec, s[12:13]
	v_add_co_u32_e32 v13, vcc, 8, v13
	v_add_u32_e32 v21, 2, v21
	v_addc_co_u32_e32 v14, vcc, 0, v14, vcc
	v_cmp_le_i32_e32 vcc, s47, v21
	v_add_u32_e32 v22, 16, v22
	s_or_b64 s[6:7], vcc, s[6:7]
	v_add_u32_e32 v27, 64, v27
	s_andn2_b64 exec, exec, s[6:7]
	s_cbranch_execz .LBB280_237
.LBB280_136:                            ; =>This Inner Loop Header: Depth=1
	v_mul_hi_u32 v1, v22, s33
	v_mul_lo_u32 v2, v1, s25
	v_add_u32_e32 v3, 1, v1
	v_sub_u32_e32 v2, v22, v2
	v_cmp_le_u32_e32 vcc, s25, v2
	v_cndmask_b32_e32 v1, v1, v3, vcc
	v_subrev_u32_e32 v3, s25, v2
	v_cndmask_b32_e32 v2, v2, v3, vcc
	v_add_u32_e32 v3, 1, v1
	v_cmp_le_u32_e32 vcc, s25, v2
	v_cndmask_b32_e32 v1, v1, v3, vcc
	v_xor_b32_e32 v1, s46, v1
	v_subrev_u32_e32 v1, s46, v1
	v_add_u32_e32 v2, s36, v1
	v_sub_u32_e32 v3, 0, v2
	v_max_i32_e32 v3, v2, v3
	v_mul_hi_u32 v4, v3, v26
	v_ashrrev_i32_e32 v2, 31, v2
	v_cmp_lt_i32_e64 s[0:1], s37, v1
	v_mul_lo_u32 v4, v4, s22
	v_sub_u32_e32 v3, v3, v4
	v_subrev_u32_e32 v4, s22, v3
	v_cmp_le_u32_e32 vcc, s22, v3
	v_cndmask_b32_e32 v3, v3, v4, vcc
	v_subrev_u32_e32 v4, s22, v3
	v_cmp_le_u32_e32 vcc, s22, v3
	v_cndmask_b32_e32 v3, v3, v4, vcc
	v_xor_b32_e32 v3, v3, v2
	v_sub_u32_e32 v2, v3, v2
	v_cmp_eq_u32_e32 vcc, 0, v2
	s_or_b64 s[0:1], vcc, s[0:1]
	s_and_saveexec_b64 s[12:13], s[0:1]
	s_cbranch_execz .LBB280_135
; %bb.137:                              ;   in Loop: Header=BB280_136 Depth=1
	global_load_dword v1, v[13:14], off
	v_mov_b32_e32 v31, 0
	v_mov_b32_e32 v30, 0
	s_waitcnt vmcnt(0)
	v_mad_i64_i32 v[15:16], s[0:1], v1, s34, v[11:12]
	global_load_dwordx2 v[17:18], v[15:16], off
	ds_read2_b64 v[5:8], v27 offset1:1
	ds_read2_b64 v[1:4], v27 offset0:2 offset1:3
	s_load_dword s31, s[14:15], 0x0
	s_waitcnt vmcnt(0)
	v_cmp_ne_u16_sdwa s[16:17], v17, v10 src0_sel:BYTE_0 src1_sel:DWORD
	s_and_saveexec_b64 s[0:1], s[16:17]
	s_cbranch_execz .LBB280_143
; %bb.138:                              ;   in Loop: Header=BB280_136 Depth=1
	v_cmp_ne_u16_sdwa s[18:19], v17, s28 src0_sel:BYTE_0 src1_sel:DWORD
	v_bfrev_b32_e32 v30, 1
	s_and_saveexec_b64 s[16:17], s[18:19]
	s_cbranch_execz .LBB280_142
; %bb.139:                              ;   in Loop: Header=BB280_136 Depth=1
	v_and_b32_e32 v9, 0x7f, v17
	v_cmp_ne_u32_e32 vcc, s29, v9
	v_mov_b32_e32 v30, 0x7f800001
	s_and_saveexec_b64 s[18:19], vcc
	s_cbranch_execz .LBB280_141
; %bb.140:                              ;   in Loop: Header=BB280_136 Depth=1
	v_and_b32_e32 v19, 7, v17
	v_ffbh_u32_e32 v19, v19
	v_min_u32_e32 v19, 32, v19
	v_lshrrev_b32_e32 v29, 3, v9
	v_subrev_u32_e32 v30, 28, v19
	v_sub_u32_e32 v19, 29, v19
	v_cmp_gt_u32_e32 vcc, 8, v9
	v_cndmask_b32_e32 v9, v29, v19, vcc
	v_cndmask_b32_e32 v19, 0, v30, vcc
	v_lshlrev_b64 v[29:30], v19, v[17:18]
	v_lshl_add_u32 v9, v9, 23, v28
	v_lshlrev_b32_e32 v19, 20, v29
	v_lshlrev_b32_e32 v29, 24, v17
	v_and_b32_e32 v19, 0x700000, v19
	v_and_b32_e32 v29, 0x80000000, v29
	v_or3_b32 v30, v29, v9, v19
.LBB280_141:                            ;   in Loop: Header=BB280_136 Depth=1
	s_or_b64 exec, exec, s[18:19]
.LBB280_142:                            ;   in Loop: Header=BB280_136 Depth=1
	s_or_b64 exec, exec, s[16:17]
.LBB280_143:                            ;   in Loop: Header=BB280_136 Depth=1
	s_or_b64 exec, exec, s[0:1]
	v_lshrrev_b16_e32 v9, 8, v17
	v_cmp_ne_u16_e32 vcc, 0, v9
	s_and_saveexec_b64 s[0:1], vcc
	s_cbranch_execz .LBB280_149
; %bb.144:                              ;   in Loop: Header=BB280_136 Depth=1
	v_cmp_ne_u16_e32 vcc, s28, v9
	v_bfrev_b32_e32 v31, 1
	s_and_saveexec_b64 s[16:17], vcc
	s_cbranch_execz .LBB280_148
; %bb.145:                              ;   in Loop: Header=BB280_136 Depth=1
	v_and_b32_e32 v19, 0x7f, v9
	v_cmp_ne_u32_e32 vcc, s29, v19
	v_mov_b32_e32 v31, 0x7f800001
	s_and_saveexec_b64 s[18:19], vcc
	s_cbranch_execz .LBB280_147
; %bb.146:                              ;   in Loop: Header=BB280_136 Depth=1
	v_and_b32_e32 v29, 7, v9
	v_ffbh_u32_e32 v31, v29
	v_min_u32_e32 v34, 32, v31
	v_subrev_u32_e32 v31, 28, v34
	v_lshlrev_b64 v[31:32], v31, v[9:10]
	v_lshrrev_b32_e32 v33, 3, v19
	v_sub_u32_e32 v9, 29, v34
	v_and_b32_e32 v31, 7, v31
	v_cmp_gt_u32_e32 vcc, 8, v19
	v_cndmask_b32_e32 v9, v33, v9, vcc
	v_cndmask_b32_e32 v19, v29, v31, vcc
	v_lshlrev_b32_e32 v29, 16, v17
	v_lshlrev_b32_e32 v19, 20, v19
	v_and_b32_e32 v29, 0x80000000, v29
	v_lshl_add_u32 v9, v9, 23, v28
	v_or3_b32 v31, v29, v9, v19
.LBB280_147:                            ;   in Loop: Header=BB280_136 Depth=1
	s_or_b64 exec, exec, s[18:19]
.LBB280_148:                            ;   in Loop: Header=BB280_136 Depth=1
	s_or_b64 exec, exec, s[16:17]
.LBB280_149:                            ;   in Loop: Header=BB280_136 Depth=1
	s_or_b64 exec, exec, s[0:1]
	v_lshrrev_b32_e32 v9, 16, v17
	v_cmp_ne_u16_sdwa s[16:17], v9, v10 src0_sel:BYTE_0 src1_sel:DWORD
	v_mov_b32_e32 v29, 0
	v_mov_b32_e32 v32, 0
	s_and_saveexec_b64 s[0:1], s[16:17]
	s_cbranch_execz .LBB280_155
; %bb.150:                              ;   in Loop: Header=BB280_136 Depth=1
	v_cmp_ne_u16_sdwa s[18:19], v9, s28 src0_sel:BYTE_0 src1_sel:DWORD
	v_bfrev_b32_e32 v32, 1
	s_and_saveexec_b64 s[16:17], s[18:19]
	s_cbranch_execz .LBB280_154
; %bb.151:                              ;   in Loop: Header=BB280_136 Depth=1
	v_bfe_u32 v19, v17, 16, 7
	v_cmp_ne_u32_e32 vcc, s29, v19
	v_mov_b32_e32 v32, 0x7f800001
	s_and_saveexec_b64 s[18:19], vcc
	s_cbranch_execz .LBB280_153
; %bb.152:                              ;   in Loop: Header=BB280_136 Depth=1
	v_and_b32_e32 v34, 7, v9
	v_ffbh_u32_e32 v32, v34
	v_min_u32_e32 v36, 32, v32
	v_subrev_u32_e32 v32, 28, v36
	v_lshlrev_b64 v[32:33], v32, v[9:10]
	v_lshrrev_b32_e32 v35, 3, v19
	v_sub_u32_e32 v33, 29, v36
	v_and_b32_e32 v32, 7, v32
	v_cmp_gt_u32_e32 vcc, 8, v19
	v_cndmask_b32_e32 v19, v35, v33, vcc
	v_cndmask_b32_e32 v32, v34, v32, vcc
	v_lshlrev_b32_e32 v9, 24, v9
	v_lshlrev_b32_e32 v32, 20, v32
	v_and_b32_e32 v9, 0x80000000, v9
	v_lshl_add_u32 v19, v19, 23, v28
	v_or3_b32 v32, v9, v19, v32
.LBB280_153:                            ;   in Loop: Header=BB280_136 Depth=1
	s_or_b64 exec, exec, s[18:19]
.LBB280_154:                            ;   in Loop: Header=BB280_136 Depth=1
	s_or_b64 exec, exec, s[16:17]
.LBB280_155:                            ;   in Loop: Header=BB280_136 Depth=1
	s_or_b64 exec, exec, s[0:1]
	v_cmp_lt_u32_e32 vcc, s5, v17
	s_and_saveexec_b64 s[0:1], vcc
	s_cbranch_execz .LBB280_161
; %bb.156:                              ;   in Loop: Header=BB280_136 Depth=1
	v_lshrrev_b32_e32 v9, 24, v17
	v_cmp_ne_u32_e32 vcc, s28, v9
	v_bfrev_b32_e32 v29, 1
	s_and_saveexec_b64 s[16:17], vcc
	s_cbranch_execz .LBB280_160
; %bb.157:                              ;   in Loop: Header=BB280_136 Depth=1
	v_bfe_u32 v19, v17, 24, 7
	v_cmp_ne_u32_e32 vcc, s29, v19
	v_mov_b32_e32 v29, 0x7f800001
	s_and_saveexec_b64 s[18:19], vcc
	s_cbranch_execz .LBB280_159
; %bb.158:                              ;   in Loop: Header=BB280_136 Depth=1
	v_and_b32_e32 v29, 7, v9
	v_ffbh_u32_e32 v33, v29
	v_min_u32_e32 v36, 32, v33
	v_subrev_u32_e32 v33, 28, v36
	v_lshlrev_b64 v[33:34], v33, v[9:10]
	v_lshrrev_b32_e32 v35, 3, v19
	v_sub_u32_e32 v34, 29, v36
	v_and_b32_e32 v33, 7, v33
	v_cmp_gt_u32_e32 vcc, 8, v19
	v_cndmask_b32_e32 v19, v35, v34, vcc
	v_cndmask_b32_e32 v29, v29, v33, vcc
	v_lshlrev_b32_e32 v9, 24, v9
	v_lshlrev_b32_e32 v29, 20, v29
	v_and_b32_e32 v9, 0x80000000, v9
	v_lshl_add_u32 v19, v19, 23, v28
	v_or3_b32 v29, v9, v19, v29
.LBB280_159:                            ;   in Loop: Header=BB280_136 Depth=1
	s_or_b64 exec, exec, s[18:19]
.LBB280_160:                            ;   in Loop: Header=BB280_136 Depth=1
	s_or_b64 exec, exec, s[16:17]
.LBB280_161:                            ;   in Loop: Header=BB280_136 Depth=1
	s_or_b64 exec, exec, s[0:1]
	v_mov_b32_e32 v9, v18
	v_cmp_ne_u16_sdwa s[16:17], v18, v10 src0_sel:BYTE_0 src1_sel:DWORD
	v_mov_b32_e32 v34, 0
	v_mov_b32_e32 v33, 0
	s_and_saveexec_b64 s[0:1], s[16:17]
	s_cbranch_execz .LBB280_167
; %bb.162:                              ;   in Loop: Header=BB280_136 Depth=1
	v_cmp_ne_u16_sdwa s[18:19], v18, s28 src0_sel:BYTE_0 src1_sel:DWORD
	v_bfrev_b32_e32 v33, 1
	s_and_saveexec_b64 s[16:17], s[18:19]
	s_cbranch_execz .LBB280_166
; %bb.163:                              ;   in Loop: Header=BB280_136 Depth=1
	v_and_b32_e32 v19, 0x7f, v18
	v_cmp_ne_u32_e32 vcc, s29, v19
	v_mov_b32_e32 v33, 0x7f800001
	s_and_saveexec_b64 s[18:19], vcc
	s_cbranch_execz .LBB280_165
; %bb.164:                              ;   in Loop: Header=BB280_136 Depth=1
	v_and_b32_e32 v33, 7, v18
	v_ffbh_u32_e32 v33, v33
	v_min_u32_e32 v33, 32, v33
	v_lshrrev_b32_e32 v35, 3, v19
	v_subrev_u32_e32 v36, 28, v33
	v_sub_u32_e32 v33, 29, v33
	v_cmp_gt_u32_e32 vcc, 8, v19
	v_cndmask_b32_e32 v19, v35, v33, vcc
	v_cndmask_b32_e32 v33, 0, v36, vcc
	v_lshlrev_b64 v[35:36], v33, v[9:10]
	v_lshl_add_u32 v19, v19, 23, v28
	v_lshlrev_b32_e32 v33, 20, v35
	v_lshlrev_b32_e32 v35, 24, v9
	v_and_b32_e32 v33, 0x700000, v33
	v_and_b32_e32 v35, 0x80000000, v35
	v_or3_b32 v33, v35, v19, v33
.LBB280_165:                            ;   in Loop: Header=BB280_136 Depth=1
	s_or_b64 exec, exec, s[18:19]
.LBB280_166:                            ;   in Loop: Header=BB280_136 Depth=1
	s_or_b64 exec, exec, s[16:17]
.LBB280_167:                            ;   in Loop: Header=BB280_136 Depth=1
	s_or_b64 exec, exec, s[0:1]
	v_lshrrev_b16_e32 v19, 8, v9
	v_cmp_ne_u16_e32 vcc, 0, v19
	s_and_saveexec_b64 s[0:1], vcc
	s_cbranch_execz .LBB280_173
; %bb.168:                              ;   in Loop: Header=BB280_136 Depth=1
	v_cmp_ne_u16_e32 vcc, s28, v19
	v_bfrev_b32_e32 v34, 1
	s_and_saveexec_b64 s[16:17], vcc
	s_cbranch_execz .LBB280_172
; %bb.169:                              ;   in Loop: Header=BB280_136 Depth=1
	v_and_b32_e32 v35, 0x7f, v19
	v_cmp_ne_u32_e32 vcc, s29, v35
	v_mov_b32_e32 v34, 0x7f800001
	s_and_saveexec_b64 s[18:19], vcc
	s_cbranch_execz .LBB280_171
; %bb.170:                              ;   in Loop: Header=BB280_136 Depth=1
	v_and_b32_e32 v34, 7, v19
	v_ffbh_u32_e32 v36, v34
	v_min_u32_e32 v39, 32, v36
	v_subrev_u32_e32 v36, 28, v39
	v_lshlrev_b64 v[36:37], v36, v[19:20]
	v_lshrrev_b32_e32 v38, 3, v35
	v_sub_u32_e32 v19, 29, v39
	v_and_b32_e32 v36, 7, v36
	v_cmp_gt_u32_e32 vcc, 8, v35
	v_cndmask_b32_e32 v19, v38, v19, vcc
	v_cndmask_b32_e32 v34, v34, v36, vcc
	v_lshlrev_b32_e32 v9, 16, v9
	v_lshlrev_b32_e32 v34, 20, v34
	v_and_b32_e32 v9, 0x80000000, v9
	v_lshl_add_u32 v19, v19, 23, v28
	v_or3_b32 v34, v9, v19, v34
.LBB280_171:                            ;   in Loop: Header=BB280_136 Depth=1
	s_or_b64 exec, exec, s[18:19]
.LBB280_172:                            ;   in Loop: Header=BB280_136 Depth=1
	s_or_b64 exec, exec, s[16:17]
.LBB280_173:                            ;   in Loop: Header=BB280_136 Depth=1
	s_or_b64 exec, exec, s[0:1]
	v_lshrrev_b32_e32 v9, 16, v18
	v_cmp_ne_u16_sdwa s[16:17], v9, v10 src0_sel:BYTE_0 src1_sel:DWORD
	v_mov_b32_e32 v35, 0
	v_mov_b32_e32 v36, 0
	s_and_saveexec_b64 s[0:1], s[16:17]
	s_cbranch_execz .LBB280_179
; %bb.174:                              ;   in Loop: Header=BB280_136 Depth=1
	v_cmp_ne_u16_sdwa s[18:19], v9, s28 src0_sel:BYTE_0 src1_sel:DWORD
	v_bfrev_b32_e32 v36, 1
	s_and_saveexec_b64 s[16:17], s[18:19]
	s_cbranch_execz .LBB280_178
; %bb.175:                              ;   in Loop: Header=BB280_136 Depth=1
	v_bfe_u32 v19, v18, 16, 7
	v_cmp_ne_u32_e32 vcc, s29, v19
	v_mov_b32_e32 v36, 0x7f800001
	s_and_saveexec_b64 s[18:19], vcc
	s_cbranch_execz .LBB280_177
; %bb.176:                              ;   in Loop: Header=BB280_136 Depth=1
	v_and_b32_e32 v38, 7, v9
	v_ffbh_u32_e32 v36, v38
	v_min_u32_e32 v40, 32, v36
	v_subrev_u32_e32 v36, 28, v40
	v_lshlrev_b64 v[36:37], v36, v[9:10]
	v_lshrrev_b32_e32 v39, 3, v19
	v_sub_u32_e32 v37, 29, v40
	v_and_b32_e32 v36, 7, v36
	v_cmp_gt_u32_e32 vcc, 8, v19
	v_cndmask_b32_e32 v19, v39, v37, vcc
	v_cndmask_b32_e32 v36, v38, v36, vcc
	v_lshlrev_b32_e32 v9, 24, v9
	v_lshlrev_b32_e32 v36, 20, v36
	v_and_b32_e32 v9, 0x80000000, v9
	v_lshl_add_u32 v19, v19, 23, v28
	v_or3_b32 v36, v9, v19, v36
.LBB280_177:                            ;   in Loop: Header=BB280_136 Depth=1
	s_or_b64 exec, exec, s[18:19]
.LBB280_178:                            ;   in Loop: Header=BB280_136 Depth=1
	s_or_b64 exec, exec, s[16:17]
.LBB280_179:                            ;   in Loop: Header=BB280_136 Depth=1
	s_or_b64 exec, exec, s[0:1]
	v_cmp_lt_u64_e32 vcc, s[4:5], v[17:18]
	s_and_saveexec_b64 s[0:1], vcc
	s_cbranch_execz .LBB280_185
; %bb.180:                              ;   in Loop: Header=BB280_136 Depth=1
	v_lshrrev_b32_e32 v9, 24, v18
	v_cmp_ne_u32_e32 vcc, s28, v9
	v_bfrev_b32_e32 v35, 1
	s_and_saveexec_b64 s[16:17], vcc
	s_cbranch_execz .LBB280_184
; %bb.181:                              ;   in Loop: Header=BB280_136 Depth=1
	v_bfe_u32 v17, v18, 24, 7
	v_cmp_ne_u32_e32 vcc, s29, v17
	v_mov_b32_e32 v35, 0x7f800001
	s_and_saveexec_b64 s[18:19], vcc
	s_cbranch_execz .LBB280_183
; %bb.182:                              ;   in Loop: Header=BB280_136 Depth=1
	v_and_b32_e32 v35, 7, v9
	v_ffbh_u32_e32 v18, v35
	v_min_u32_e32 v38, 32, v18
	v_subrev_u32_e32 v18, 28, v38
	v_lshlrev_b64 v[18:19], v18, v[9:10]
	v_lshrrev_b32_e32 v37, 3, v17
	v_sub_u32_e32 v19, 29, v38
	v_and_b32_e32 v18, 7, v18
	v_cmp_gt_u32_e32 vcc, 8, v17
	v_cndmask_b32_e32 v17, v37, v19, vcc
	v_cndmask_b32_e32 v18, v35, v18, vcc
	v_lshlrev_b32_e32 v9, 24, v9
	v_lshlrev_b32_e32 v18, 20, v18
	v_and_b32_e32 v9, 0x80000000, v9
	v_lshl_add_u32 v17, v17, 23, v28
	v_or3_b32 v35, v9, v17, v18
.LBB280_183:                            ;   in Loop: Header=BB280_136 Depth=1
	s_or_b64 exec, exec, s[18:19]
.LBB280_184:                            ;   in Loop: Header=BB280_136 Depth=1
	s_or_b64 exec, exec, s[16:17]
.LBB280_185:                            ;   in Loop: Header=BB280_136 Depth=1
	s_or_b64 exec, exec, s[0:1]
	s_waitcnt lgkmcnt(0)
	v_mul_f32_e32 v9, s31, v34
	v_bfe_u32 v17, v9, 16, 1
	v_add3_u32 v17, v17, v9, s30
	v_or_b32_e32 v18, 0x400000, v9
	v_cmp_u_f32_e64 s[0:1], v9, v9
	v_cndmask_b32_e64 v9, v17, v18, s[0:1]
	v_lshrrev_b32_e32 v18, 16, v9
	v_mul_f32_e32 v9, s31, v33
	v_bfe_u32 v17, v9, 16, 1
	v_add3_u32 v17, v17, v9, s30
	v_or_b32_e32 v19, 0x400000, v9
	v_cmp_u_f32_e64 s[0:1], v9, v9
	v_cndmask_b32_e64 v9, v17, v19, s[0:1]
	v_lshrrev_b32_e32 v19, 16, v9
	;; [unrolled: 7-line block ×7, first 2 shown]
	v_mul_f32_e32 v9, s31, v35
	v_bfe_u32 v17, v9, 16, 1
	v_add3_u32 v17, v17, v9, s30
	v_or_b32_e32 v30, 0x400000, v9
	v_cmp_u_f32_e64 s[0:1], v9, v9
	v_cndmask_b32_e64 v9, v17, v30, s[0:1]
	v_cmp_eq_u32_e32 vcc, s35, v21
	v_lshrrev_b32_e32 v30, 16, v9
	v_add_u32_e32 v41, 1, v22
	v_add_u32_e32 v40, 2, v22
	;; [unrolled: 1-line block ×7, first 2 shown]
	s_and_saveexec_b64 s[16:17], vcc
	s_cbranch_execz .LBB280_187
; %bb.186:                              ;   in Loop: Header=BB280_136 Depth=1
	v_cmp_gt_i32_e64 s[0:1], s11, v22
	v_cndmask_b32_e64 v34, 0, v34, s[0:1]
	v_cmp_gt_i32_e64 s[0:1], s11, v41
	v_cndmask_b32_e64 v33, 0, v33, s[0:1]
	;; [unrolled: 2-line block ×8, first 2 shown]
.LBB280_187:                            ;   in Loop: Header=BB280_136 Depth=1
	s_or_b64 exec, exec, s[16:17]
	global_load_dwordx2 v[15:16], v[15:16], off offset:512
	v_mov_b32_e32 v43, 0
	v_mov_b32_e32 v42, 0
	s_waitcnt vmcnt(0)
	v_cmp_ne_u16_sdwa s[0:1], v15, v10 src0_sel:BYTE_0 src1_sel:DWORD
	s_and_saveexec_b64 s[16:17], s[0:1]
	s_cbranch_execz .LBB280_193
; %bb.188:                              ;   in Loop: Header=BB280_136 Depth=1
	v_cmp_ne_u16_sdwa s[0:1], v15, s28 src0_sel:BYTE_0 src1_sel:DWORD
	v_bfrev_b32_e32 v42, 1
	s_and_saveexec_b64 s[18:19], s[0:1]
	s_cbranch_execz .LBB280_192
; %bb.189:                              ;   in Loop: Header=BB280_136 Depth=1
	v_and_b32_e32 v9, 0x7f, v15
	v_cmp_ne_u32_e64 s[0:1], s29, v9
	v_mov_b32_e32 v42, 0x7f800001
	s_and_saveexec_b64 s[20:21], s[0:1]
	s_cbranch_execz .LBB280_191
; %bb.190:                              ;   in Loop: Header=BB280_136 Depth=1
	v_and_b32_e32 v17, 7, v15
	v_ffbh_u32_e32 v17, v17
	v_min_u32_e32 v17, 32, v17
	v_lshrrev_b32_e32 v42, 3, v9
	v_subrev_u32_e32 v44, 28, v17
	v_sub_u32_e32 v17, 29, v17
	v_cmp_gt_u32_e64 s[0:1], 8, v9
	v_cndmask_b32_e64 v9, v42, v17, s[0:1]
	v_cndmask_b32_e64 v17, 0, v44, s[0:1]
	v_lshlrev_b64 v[44:45], v17, v[15:16]
	v_lshlrev_b32_e32 v42, 24, v15
	v_lshlrev_b32_e32 v17, 20, v44
	v_and_b32_e32 v17, 0x700000, v17
	v_and_b32_e32 v42, 0x80000000, v42
	v_lshl_add_u32 v9, v9, 23, v28
	v_or3_b32 v42, v42, v9, v17
.LBB280_191:                            ;   in Loop: Header=BB280_136 Depth=1
	s_or_b64 exec, exec, s[20:21]
.LBB280_192:                            ;   in Loop: Header=BB280_136 Depth=1
	s_or_b64 exec, exec, s[18:19]
.LBB280_193:                            ;   in Loop: Header=BB280_136 Depth=1
	s_or_b64 exec, exec, s[16:17]
	v_lshrrev_b16_e32 v9, 8, v15
	v_cmp_ne_u16_e64 s[0:1], 0, v9
	s_and_saveexec_b64 s[16:17], s[0:1]
	s_cbranch_execz .LBB280_199
; %bb.194:                              ;   in Loop: Header=BB280_136 Depth=1
	v_cmp_ne_u16_e64 s[0:1], s28, v9
	v_bfrev_b32_e32 v43, 1
	s_and_saveexec_b64 s[18:19], s[0:1]
	s_cbranch_execz .LBB280_198
; %bb.195:                              ;   in Loop: Header=BB280_136 Depth=1
	v_and_b32_e32 v17, 0x7f, v9
	v_cmp_ne_u32_e64 s[0:1], s29, v17
	v_mov_b32_e32 v43, 0x7f800001
	s_and_saveexec_b64 s[20:21], s[0:1]
	s_cbranch_execz .LBB280_197
; %bb.196:                              ;   in Loop: Header=BB280_136 Depth=1
	v_and_b32_e32 v45, 7, v9
	v_ffbh_u32_e32 v43, v45
	v_min_u32_e32 v47, 32, v43
	v_subrev_u32_e32 v43, 28, v47
	v_lshlrev_b64 v[43:44], v43, v[9:10]
	v_lshrrev_b32_e32 v46, 3, v17
	v_sub_u32_e32 v9, 29, v47
	v_and_b32_e32 v43, 7, v43
	v_cmp_gt_u32_e64 s[0:1], 8, v17
	v_cndmask_b32_e64 v9, v46, v9, s[0:1]
	v_cndmask_b32_e64 v17, v45, v43, s[0:1]
	v_lshlrev_b32_e32 v43, 16, v15
	v_lshlrev_b32_e32 v17, 20, v17
	v_and_b32_e32 v43, 0x80000000, v43
	v_lshl_add_u32 v9, v9, 23, v28
	v_or3_b32 v43, v43, v9, v17
.LBB280_197:                            ;   in Loop: Header=BB280_136 Depth=1
	s_or_b64 exec, exec, s[20:21]
.LBB280_198:                            ;   in Loop: Header=BB280_136 Depth=1
	s_or_b64 exec, exec, s[18:19]
.LBB280_199:                            ;   in Loop: Header=BB280_136 Depth=1
	s_or_b64 exec, exec, s[16:17]
	v_lshrrev_b32_e32 v9, 16, v15
	v_cmp_ne_u16_sdwa s[0:1], v9, v10 src0_sel:BYTE_0 src1_sel:DWORD
	v_mov_b32_e32 v45, 0
	v_mov_b32_e32 v44, 0
	s_and_saveexec_b64 s[16:17], s[0:1]
	s_cbranch_execz .LBB280_205
; %bb.200:                              ;   in Loop: Header=BB280_136 Depth=1
	v_cmp_ne_u16_sdwa s[0:1], v9, s28 src0_sel:BYTE_0 src1_sel:DWORD
	v_bfrev_b32_e32 v44, 1
	s_and_saveexec_b64 s[18:19], s[0:1]
	s_cbranch_execz .LBB280_204
; %bb.201:                              ;   in Loop: Header=BB280_136 Depth=1
	v_bfe_u32 v17, v15, 16, 7
	v_cmp_ne_u32_e64 s[0:1], s29, v17
	v_mov_b32_e32 v44, 0x7f800001
	s_and_saveexec_b64 s[20:21], s[0:1]
	s_cbranch_execz .LBB280_203
; %bb.202:                              ;   in Loop: Header=BB280_136 Depth=1
	v_and_b32_e32 v44, 7, v9
	v_ffbh_u32_e32 v46, v44
	v_min_u32_e32 v49, 32, v46
	v_subrev_u32_e32 v46, 28, v49
	v_lshlrev_b64 v[46:47], v46, v[9:10]
	v_lshrrev_b32_e32 v48, 3, v17
	v_sub_u32_e32 v47, 29, v49
	v_and_b32_e32 v46, 7, v46
	v_cmp_gt_u32_e64 s[0:1], 8, v17
	v_cndmask_b32_e64 v17, v48, v47, s[0:1]
	v_cndmask_b32_e64 v44, v44, v46, s[0:1]
	v_lshlrev_b32_e32 v9, 24, v9
	v_lshlrev_b32_e32 v44, 20, v44
	v_and_b32_e32 v9, 0x80000000, v9
	v_lshl_add_u32 v17, v17, 23, v28
	v_or3_b32 v44, v9, v17, v44
.LBB280_203:                            ;   in Loop: Header=BB280_136 Depth=1
	s_or_b64 exec, exec, s[20:21]
.LBB280_204:                            ;   in Loop: Header=BB280_136 Depth=1
	s_or_b64 exec, exec, s[18:19]
.LBB280_205:                            ;   in Loop: Header=BB280_136 Depth=1
	s_or_b64 exec, exec, s[16:17]
	v_cmp_lt_u32_e64 s[0:1], s5, v15
	s_and_saveexec_b64 s[16:17], s[0:1]
	s_cbranch_execz .LBB280_211
; %bb.206:                              ;   in Loop: Header=BB280_136 Depth=1
	v_lshrrev_b32_e32 v9, 24, v15
	v_cmp_ne_u32_e64 s[0:1], s28, v9
	v_bfrev_b32_e32 v45, 1
	s_and_saveexec_b64 s[18:19], s[0:1]
	s_cbranch_execz .LBB280_210
; %bb.207:                              ;   in Loop: Header=BB280_136 Depth=1
	v_bfe_u32 v17, v15, 24, 7
	v_cmp_ne_u32_e64 s[0:1], s29, v17
	v_mov_b32_e32 v45, 0x7f800001
	s_and_saveexec_b64 s[20:21], s[0:1]
	s_cbranch_execz .LBB280_209
; %bb.208:                              ;   in Loop: Header=BB280_136 Depth=1
	v_and_b32_e32 v47, 7, v9
	v_ffbh_u32_e32 v45, v47
	v_min_u32_e32 v49, 32, v45
	v_subrev_u32_e32 v45, 28, v49
	v_lshlrev_b64 v[45:46], v45, v[9:10]
	v_lshrrev_b32_e32 v48, 3, v17
	v_sub_u32_e32 v46, 29, v49
	v_and_b32_e32 v45, 7, v45
	v_cmp_gt_u32_e64 s[0:1], 8, v17
	v_cndmask_b32_e64 v17, v48, v46, s[0:1]
	v_cndmask_b32_e64 v45, v47, v45, s[0:1]
	v_lshlrev_b32_e32 v9, 24, v9
	v_lshlrev_b32_e32 v45, 20, v45
	v_and_b32_e32 v9, 0x80000000, v9
	v_lshl_add_u32 v17, v17, 23, v28
	v_or3_b32 v45, v9, v17, v45
.LBB280_209:                            ;   in Loop: Header=BB280_136 Depth=1
	s_or_b64 exec, exec, s[20:21]
.LBB280_210:                            ;   in Loop: Header=BB280_136 Depth=1
	s_or_b64 exec, exec, s[18:19]
.LBB280_211:                            ;   in Loop: Header=BB280_136 Depth=1
	s_or_b64 exec, exec, s[16:17]
	v_mov_b32_e32 v9, v16
	v_cmp_ne_u16_sdwa s[0:1], v16, v10 src0_sel:BYTE_0 src1_sel:DWORD
	v_mov_b32_e32 v47, 0
	v_mov_b32_e32 v46, 0
	s_and_saveexec_b64 s[16:17], s[0:1]
	s_cbranch_execz .LBB280_217
; %bb.212:                              ;   in Loop: Header=BB280_136 Depth=1
	v_cmp_ne_u16_sdwa s[0:1], v16, s28 src0_sel:BYTE_0 src1_sel:DWORD
	v_bfrev_b32_e32 v46, 1
	s_and_saveexec_b64 s[18:19], s[0:1]
	s_cbranch_execz .LBB280_216
; %bb.213:                              ;   in Loop: Header=BB280_136 Depth=1
	v_and_b32_e32 v17, 0x7f, v16
	v_cmp_ne_u32_e64 s[0:1], s29, v17
	v_mov_b32_e32 v46, 0x7f800001
	s_and_saveexec_b64 s[20:21], s[0:1]
	s_cbranch_execz .LBB280_215
; %bb.214:                              ;   in Loop: Header=BB280_136 Depth=1
	v_and_b32_e32 v46, 7, v16
	v_ffbh_u32_e32 v46, v46
	v_min_u32_e32 v46, 32, v46
	v_lshrrev_b32_e32 v48, 3, v17
	v_subrev_u32_e32 v49, 28, v46
	v_sub_u32_e32 v46, 29, v46
	v_cmp_gt_u32_e64 s[0:1], 8, v17
	v_cndmask_b32_e64 v17, v48, v46, s[0:1]
	v_cndmask_b32_e64 v46, 0, v49, s[0:1]
	v_lshlrev_b64 v[48:49], v46, v[9:10]
	v_lshl_add_u32 v17, v17, 23, v28
	v_lshlrev_b32_e32 v46, 20, v48
	v_lshlrev_b32_e32 v48, 24, v9
	v_and_b32_e32 v46, 0x700000, v46
	v_and_b32_e32 v48, 0x80000000, v48
	v_or3_b32 v46, v48, v17, v46
.LBB280_215:                            ;   in Loop: Header=BB280_136 Depth=1
	s_or_b64 exec, exec, s[20:21]
.LBB280_216:                            ;   in Loop: Header=BB280_136 Depth=1
	s_or_b64 exec, exec, s[18:19]
.LBB280_217:                            ;   in Loop: Header=BB280_136 Depth=1
	s_or_b64 exec, exec, s[16:17]
	v_lshrrev_b16_e32 v17, 8, v9
	v_cmp_ne_u16_e64 s[0:1], 0, v17
	s_and_saveexec_b64 s[16:17], s[0:1]
	s_cbranch_execz .LBB280_223
; %bb.218:                              ;   in Loop: Header=BB280_136 Depth=1
	v_cmp_ne_u16_e64 s[0:1], s28, v17
	v_bfrev_b32_e32 v47, 1
	s_and_saveexec_b64 s[18:19], s[0:1]
	s_cbranch_execz .LBB280_222
; %bb.219:                              ;   in Loop: Header=BB280_136 Depth=1
	v_and_b32_e32 v48, 0x7f, v17
	v_cmp_ne_u32_e64 s[0:1], s29, v48
	v_mov_b32_e32 v47, 0x7f800001
	s_and_saveexec_b64 s[20:21], s[0:1]
	s_cbranch_execz .LBB280_221
; %bb.220:                              ;   in Loop: Header=BB280_136 Depth=1
	v_and_b32_e32 v47, 7, v17
	v_ffbh_u32_e32 v49, v47
	v_min_u32_e32 v52, 32, v49
	v_subrev_u32_e32 v49, 28, v52
	v_lshlrev_b64 v[49:50], v49, v[17:18]
	v_lshrrev_b32_e32 v51, 3, v48
	v_sub_u32_e32 v17, 29, v52
	v_and_b32_e32 v49, 7, v49
	v_cmp_gt_u32_e64 s[0:1], 8, v48
	v_cndmask_b32_e64 v17, v51, v17, s[0:1]
	v_cndmask_b32_e64 v47, v47, v49, s[0:1]
	v_lshlrev_b32_e32 v9, 16, v9
	v_lshlrev_b32_e32 v47, 20, v47
	v_and_b32_e32 v9, 0x80000000, v9
	v_lshl_add_u32 v17, v17, 23, v28
	v_or3_b32 v47, v9, v17, v47
.LBB280_221:                            ;   in Loop: Header=BB280_136 Depth=1
	s_or_b64 exec, exec, s[20:21]
.LBB280_222:                            ;   in Loop: Header=BB280_136 Depth=1
	s_or_b64 exec, exec, s[18:19]
.LBB280_223:                            ;   in Loop: Header=BB280_136 Depth=1
	s_or_b64 exec, exec, s[16:17]
	v_lshrrev_b32_e32 v9, 16, v16
	v_cmp_ne_u16_sdwa s[0:1], v9, v10 src0_sel:BYTE_0 src1_sel:DWORD
	v_mov_b32_e32 v48, 0
	v_mov_b32_e32 v17, 0
	s_and_saveexec_b64 s[16:17], s[0:1]
	s_cbranch_execz .LBB280_229
; %bb.224:                              ;   in Loop: Header=BB280_136 Depth=1
	v_cmp_ne_u16_sdwa s[0:1], v9, s28 src0_sel:BYTE_0 src1_sel:DWORD
	v_bfrev_b32_e32 v17, 1
	s_and_saveexec_b64 s[18:19], s[0:1]
	s_cbranch_execz .LBB280_228
; %bb.225:                              ;   in Loop: Header=BB280_136 Depth=1
	v_bfe_u32 v49, v16, 16, 7
	v_cmp_ne_u32_e64 s[0:1], s29, v49
	v_mov_b32_e32 v17, 0x7f800001
	s_and_saveexec_b64 s[20:21], s[0:1]
	s_cbranch_execz .LBB280_227
; %bb.226:                              ;   in Loop: Header=BB280_136 Depth=1
	v_and_b32_e32 v17, 7, v9
	v_ffbh_u32_e32 v50, v17
	v_min_u32_e32 v53, 32, v50
	v_subrev_u32_e32 v50, 28, v53
	v_lshlrev_b64 v[50:51], v50, v[9:10]
	v_lshrrev_b32_e32 v52, 3, v49
	v_sub_u32_e32 v51, 29, v53
	v_and_b32_e32 v50, 7, v50
	v_cmp_gt_u32_e64 s[0:1], 8, v49
	v_cndmask_b32_e64 v49, v52, v51, s[0:1]
	v_cndmask_b32_e64 v17, v17, v50, s[0:1]
	v_lshlrev_b32_e32 v9, 24, v9
	v_lshlrev_b32_e32 v17, 20, v17
	v_and_b32_e32 v9, 0x80000000, v9
	v_lshl_add_u32 v49, v49, 23, v28
	v_or3_b32 v17, v9, v49, v17
.LBB280_227:                            ;   in Loop: Header=BB280_136 Depth=1
	s_or_b64 exec, exec, s[20:21]
.LBB280_228:                            ;   in Loop: Header=BB280_136 Depth=1
	s_or_b64 exec, exec, s[18:19]
.LBB280_229:                            ;   in Loop: Header=BB280_136 Depth=1
	s_or_b64 exec, exec, s[16:17]
	v_cmp_lt_u64_e64 s[0:1], s[4:5], v[15:16]
	s_and_saveexec_b64 s[16:17], s[0:1]
	s_cbranch_execz .LBB280_235
; %bb.230:                              ;   in Loop: Header=BB280_136 Depth=1
	v_lshrrev_b32_e32 v9, 24, v16
	v_cmp_ne_u32_e64 s[0:1], s28, v9
	v_bfrev_b32_e32 v48, 1
	s_and_saveexec_b64 s[18:19], s[0:1]
	s_cbranch_execz .LBB280_234
; %bb.231:                              ;   in Loop: Header=BB280_136 Depth=1
	v_bfe_u32 v15, v16, 24, 7
	v_cmp_ne_u32_e64 s[0:1], s29, v15
	v_mov_b32_e32 v48, 0x7f800001
	s_and_saveexec_b64 s[20:21], s[0:1]
	s_cbranch_execz .LBB280_233
; %bb.232:                              ;   in Loop: Header=BB280_136 Depth=1
	v_and_b32_e32 v16, 7, v9
	v_ffbh_u32_e32 v48, v16
	v_min_u32_e32 v51, 32, v48
	v_subrev_u32_e32 v48, 28, v51
	v_lshlrev_b64 v[48:49], v48, v[9:10]
	v_lshrrev_b32_e32 v50, 3, v15
	v_sub_u32_e32 v49, 29, v51
	v_and_b32_e32 v48, 7, v48
	v_cmp_gt_u32_e64 s[0:1], 8, v15
	v_cndmask_b32_e64 v15, v50, v49, s[0:1]
	v_cndmask_b32_e64 v16, v16, v48, s[0:1]
	v_lshlrev_b32_e32 v9, 24, v9
	v_lshlrev_b32_e32 v16, 20, v16
	v_and_b32_e32 v9, 0x80000000, v9
	v_lshl_add_u32 v15, v15, 23, v28
	v_or3_b32 v48, v9, v15, v16
.LBB280_233:                            ;   in Loop: Header=BB280_136 Depth=1
	s_or_b64 exec, exec, s[20:21]
.LBB280_234:                            ;   in Loop: Header=BB280_136 Depth=1
	s_or_b64 exec, exec, s[18:19]
.LBB280_235:                            ;   in Loop: Header=BB280_136 Depth=1
	s_or_b64 exec, exec, s[16:17]
	v_mul_f32_e32 v9, s31, v47
	v_bfe_u32 v15, v9, 16, 1
	v_add3_u32 v15, v15, v9, s30
	v_or_b32_e32 v16, 0x400000, v9
	v_cmp_u_f32_e64 s[0:1], v9, v9
	v_cndmask_b32_e64 v9, v15, v16, s[0:1]
	v_mul_f32_e32 v15, s31, v46
	v_bfe_u32 v16, v15, 16, 1
	v_add3_u32 v16, v16, v15, s30
	v_or_b32_e32 v46, 0x400000, v15
	v_cmp_u_f32_e64 s[0:1], v15, v15
	v_cndmask_b32_e64 v15, v16, v46, s[0:1]
	v_mul_f32_e32 v16, s31, v45
	v_bfe_u32 v45, v16, 16, 1
	v_add3_u32 v45, v45, v16, s30
	v_or_b32_e32 v46, 0x400000, v16
	v_cmp_u_f32_e64 s[0:1], v16, v16
	v_mul_f32_e32 v44, s31, v44
	v_cndmask_b32_e64 v16, v45, v46, s[0:1]
	v_bfe_u32 v45, v44, 16, 1
	v_add3_u32 v45, v45, v44, s30
	v_or_b32_e32 v46, 0x400000, v44
	v_cmp_u_f32_e64 s[0:1], v44, v44
	v_mul_f32_e32 v43, s31, v43
	v_cndmask_b32_e64 v44, v45, v46, s[0:1]
	;; [unrolled: 6-line block ×3, first 2 shown]
	v_bfe_u32 v45, v42, 16, 1
	v_add3_u32 v45, v45, v42, s30
	v_or_b32_e32 v46, 0x400000, v42
	v_cmp_u_f32_e64 s[0:1], v42, v42
	v_cndmask_b32_e64 v42, v45, v46, s[0:1]
	v_mul_f32_e32 v17, s31, v17
	v_lshrrev_b32_e32 v45, 16, v42
	v_bfe_u32 v42, v17, 16, 1
	v_add3_u32 v42, v42, v17, s30
	v_or_b32_e32 v46, 0x400000, v17
	v_cmp_u_f32_e64 s[0:1], v17, v17
	v_cndmask_b32_e64 v17, v42, v46, s[0:1]
	v_mul_f32_e32 v42, s31, v48
	v_bfe_u32 v46, v42, 16, 1
	v_add3_u32 v46, v46, v42, s30
	v_or_b32_e32 v47, 0x400000, v42
	v_cmp_u_f32_e64 s[0:1], v42, v42
	v_cndmask_b32_e64 v42, v46, v47, s[0:1]
	v_lshrrev_b32_e32 v9, 16, v9
	v_lshrrev_b32_e32 v15, 16, v15
	;; [unrolled: 1-line block ×7, first 2 shown]
	s_and_saveexec_b64 s[0:1], vcc
	s_cbranch_execz .LBB280_134
; %bb.236:                              ;   in Loop: Header=BB280_136 Depth=1
	v_cmp_gt_i32_e32 vcc, s11, v22
	v_cndmask_b32_e32 v45, 0, v45, vcc
	v_cmp_gt_i32_e32 vcc, s11, v41
	v_cndmask_b32_e32 v43, 0, v43, vcc
	;; [unrolled: 2-line block ×8, first 2 shown]
	s_branch .LBB280_134
.LBB280_237:
	s_or_b64 exec, exec, s[6:7]
.LBB280_238:
	s_or_b64 exec, exec, s[2:3]
	v_and_b32_e32 v1, 0x3c0, v0
	v_cmp_eq_u32_e32 vcc, 64, v1
	s_barrier
	s_and_saveexec_b64 s[0:1], vcc
; %bb.239:
	v_mov_b32_e32 v1, 0x110
	v_lshl_add_u32 v1, v23, 2, v1
	ds_write2st64_b32 v1, v25, v24 offset1:1
; %bb.240:
	s_or_b64 exec, exec, s[0:1]
	v_cmp_gt_u32_e32 vcc, 64, v0
	s_waitcnt lgkmcnt(0)
	s_barrier
	s_and_saveexec_b64 s[0:1], vcc
	s_cbranch_execz .LBB280_242
; %bb.241:
	v_mov_b32_e32 v1, 0x110
	v_lshl_add_u32 v0, v0, 2, v1
	ds_read2st64_b32 v[0:1], v0 offset1:1
	s_waitcnt lgkmcnt(0)
	v_add_f32_e32 v25, v25, v0
	v_add_f32_e32 v24, v24, v1
.LBB280_242:
	s_or_b64 exec, exec, s[0:1]
	s_barrier
	s_and_saveexec_b64 s[0:1], vcc
	s_cbranch_execz .LBB280_244
; %bb.243:
	s_mul_i32 s0, s10, s23
	s_mul_i32 s0, s0, s9
	s_lshl_b32 s0, s0, 7
	s_ashr_i32 s1, s0, 31
	s_lshl_b64 s[0:1], s[0:1], 1
	s_add_u32 s2, s26, s0
	s_mul_i32 s0, s23, s24
	s_addc_u32 s3, s27, s1
	s_ashr_i32 s1, s0, 31
	s_lshl_b64 s[0:1], s[0:1], 1
	s_add_u32 s2, s2, s0
	s_addc_u32 s3, s3, s1
	s_lshl_b32 s0, s8, 7
	s_ashr_i32 s1, s0, 31
	s_lshl_b64 s[0:1], s[0:1], 1
	s_add_u32 s0, s2, s0
	v_bfe_u32 v0, v25, 16, 1
	s_movk_i32 s2, 0x7fff
	v_add3_u32 v0, v0, v25, s2
	v_or_b32_e32 v1, 0x400000, v25
	v_cmp_u_f32_e32 vcc, v25, v25
	s_addc_u32 s1, s3, s1
	v_cndmask_b32_e32 v0, v0, v1, vcc
	global_store_short_d16_hi v20, v0, s[0:1]
	v_bfe_u32 v0, v24, 16, 1
	v_add3_u32 v0, v0, v24, s2
	v_or_b32_e32 v1, 0x400000, v24
	v_cmp_u_f32_e32 vcc, v24, v24
	v_cndmask_b32_e32 v0, v0, v1, vcc
	global_store_short_d16_hi v20, v0, s[0:1] offset:128
.LBB280_244:
	s_endpgm
	.section	.rodata,"a",@progbits
	.p2align	6, 0x0
	.amdhsa_kernel _ZN4vllm25paged_attention_v1_kernelI14__hip_bfloat16hLi128ELi8ELi128ELNS_18Fp8KVCacheDataTypeE1ELb1EEEvPT_PKS3_PKT0_S9_ifPKiSB_iPKfiiiSD_SD_iiiii
		.amdhsa_group_segment_fixed_size 272
		.amdhsa_private_segment_fixed_size 0
		.amdhsa_kernarg_size 384
		.amdhsa_user_sgpr_count 6
		.amdhsa_user_sgpr_private_segment_buffer 1
		.amdhsa_user_sgpr_dispatch_ptr 0
		.amdhsa_user_sgpr_queue_ptr 0
		.amdhsa_user_sgpr_kernarg_segment_ptr 1
		.amdhsa_user_sgpr_dispatch_id 0
		.amdhsa_user_sgpr_flat_scratch_init 0
		.amdhsa_user_sgpr_private_segment_size 0
		.amdhsa_uses_dynamic_stack 0
		.amdhsa_system_sgpr_private_segment_wavefront_offset 0
		.amdhsa_system_sgpr_workgroup_id_x 1
		.amdhsa_system_sgpr_workgroup_id_y 1
		.amdhsa_system_sgpr_workgroup_id_z 1
		.amdhsa_system_sgpr_workgroup_info 0
		.amdhsa_system_vgpr_workitem_id 0
		.amdhsa_next_free_vgpr 55
		.amdhsa_next_free_sgpr 56
		.amdhsa_reserve_vcc 1
		.amdhsa_reserve_flat_scratch 0
		.amdhsa_float_round_mode_32 0
		.amdhsa_float_round_mode_16_64 0
		.amdhsa_float_denorm_mode_32 3
		.amdhsa_float_denorm_mode_16_64 3
		.amdhsa_dx10_clamp 1
		.amdhsa_ieee_mode 1
		.amdhsa_fp16_overflow 0
		.amdhsa_exception_fp_ieee_invalid_op 0
		.amdhsa_exception_fp_denorm_src 0
		.amdhsa_exception_fp_ieee_div_zero 0
		.amdhsa_exception_fp_ieee_overflow 0
		.amdhsa_exception_fp_ieee_underflow 0
		.amdhsa_exception_fp_ieee_inexact 0
		.amdhsa_exception_int_div_zero 0
	.end_amdhsa_kernel
	.section	.text._ZN4vllm25paged_attention_v1_kernelI14__hip_bfloat16hLi128ELi8ELi128ELNS_18Fp8KVCacheDataTypeE1ELb1EEEvPT_PKS3_PKT0_S9_ifPKiSB_iPKfiiiSD_SD_iiiii,"axG",@progbits,_ZN4vllm25paged_attention_v1_kernelI14__hip_bfloat16hLi128ELi8ELi128ELNS_18Fp8KVCacheDataTypeE1ELb1EEEvPT_PKS3_PKT0_S9_ifPKiSB_iPKfiiiSD_SD_iiiii,comdat
.Lfunc_end280:
	.size	_ZN4vllm25paged_attention_v1_kernelI14__hip_bfloat16hLi128ELi8ELi128ELNS_18Fp8KVCacheDataTypeE1ELb1EEEvPT_PKS3_PKT0_S9_ifPKiSB_iPKfiiiSD_SD_iiiii, .Lfunc_end280-_ZN4vllm25paged_attention_v1_kernelI14__hip_bfloat16hLi128ELi8ELi128ELNS_18Fp8KVCacheDataTypeE1ELb1EEEvPT_PKS3_PKT0_S9_ifPKiSB_iPKfiiiSD_SD_iiiii
                                        ; -- End function
	.set _ZN4vllm25paged_attention_v1_kernelI14__hip_bfloat16hLi128ELi8ELi128ELNS_18Fp8KVCacheDataTypeE1ELb1EEEvPT_PKS3_PKT0_S9_ifPKiSB_iPKfiiiSD_SD_iiiii.num_vgpr, 55
	.set _ZN4vllm25paged_attention_v1_kernelI14__hip_bfloat16hLi128ELi8ELi128ELNS_18Fp8KVCacheDataTypeE1ELb1EEEvPT_PKS3_PKT0_S9_ifPKiSB_iPKfiiiSD_SD_iiiii.num_agpr, 0
	.set _ZN4vllm25paged_attention_v1_kernelI14__hip_bfloat16hLi128ELi8ELi128ELNS_18Fp8KVCacheDataTypeE1ELb1EEEvPT_PKS3_PKT0_S9_ifPKiSB_iPKfiiiSD_SD_iiiii.numbered_sgpr, 56
	.set _ZN4vllm25paged_attention_v1_kernelI14__hip_bfloat16hLi128ELi8ELi128ELNS_18Fp8KVCacheDataTypeE1ELb1EEEvPT_PKS3_PKT0_S9_ifPKiSB_iPKfiiiSD_SD_iiiii.num_named_barrier, 0
	.set _ZN4vllm25paged_attention_v1_kernelI14__hip_bfloat16hLi128ELi8ELi128ELNS_18Fp8KVCacheDataTypeE1ELb1EEEvPT_PKS3_PKT0_S9_ifPKiSB_iPKfiiiSD_SD_iiiii.private_seg_size, 0
	.set _ZN4vllm25paged_attention_v1_kernelI14__hip_bfloat16hLi128ELi8ELi128ELNS_18Fp8KVCacheDataTypeE1ELb1EEEvPT_PKS3_PKT0_S9_ifPKiSB_iPKfiiiSD_SD_iiiii.uses_vcc, 1
	.set _ZN4vllm25paged_attention_v1_kernelI14__hip_bfloat16hLi128ELi8ELi128ELNS_18Fp8KVCacheDataTypeE1ELb1EEEvPT_PKS3_PKT0_S9_ifPKiSB_iPKfiiiSD_SD_iiiii.uses_flat_scratch, 0
	.set _ZN4vllm25paged_attention_v1_kernelI14__hip_bfloat16hLi128ELi8ELi128ELNS_18Fp8KVCacheDataTypeE1ELb1EEEvPT_PKS3_PKT0_S9_ifPKiSB_iPKfiiiSD_SD_iiiii.has_dyn_sized_stack, 0
	.set _ZN4vllm25paged_attention_v1_kernelI14__hip_bfloat16hLi128ELi8ELi128ELNS_18Fp8KVCacheDataTypeE1ELb1EEEvPT_PKS3_PKT0_S9_ifPKiSB_iPKfiiiSD_SD_iiiii.has_recursion, 0
	.set _ZN4vllm25paged_attention_v1_kernelI14__hip_bfloat16hLi128ELi8ELi128ELNS_18Fp8KVCacheDataTypeE1ELb1EEEvPT_PKS3_PKT0_S9_ifPKiSB_iPKfiiiSD_SD_iiiii.has_indirect_call, 0
	.section	.AMDGPU.csdata,"",@progbits
; Kernel info:
; codeLenInByte = 12184
; TotalNumSgprs: 60
; NumVgprs: 55
; ScratchSize: 0
; MemoryBound: 0
; FloatMode: 240
; IeeeMode: 1
; LDSByteSize: 272 bytes/workgroup (compile time only)
; SGPRBlocks: 7
; VGPRBlocks: 13
; NumSGPRsForWavesPerEU: 60
; NumVGPRsForWavesPerEU: 55
; Occupancy: 4
; WaveLimiterHint : 1
; COMPUTE_PGM_RSRC2:SCRATCH_EN: 0
; COMPUTE_PGM_RSRC2:USER_SGPR: 6
; COMPUTE_PGM_RSRC2:TRAP_HANDLER: 0
; COMPUTE_PGM_RSRC2:TGID_X_EN: 1
; COMPUTE_PGM_RSRC2:TGID_Y_EN: 1
; COMPUTE_PGM_RSRC2:TGID_Z_EN: 1
; COMPUTE_PGM_RSRC2:TIDIG_COMP_CNT: 0
	.section	.text._ZN4vllm25paged_attention_v1_kernelI14__hip_bfloat16hLi192ELi8ELi128ELNS_18Fp8KVCacheDataTypeE1ELb1EEEvPT_PKS3_PKT0_S9_ifPKiSB_iPKfiiiSD_SD_iiiii,"axG",@progbits,_ZN4vllm25paged_attention_v1_kernelI14__hip_bfloat16hLi192ELi8ELi128ELNS_18Fp8KVCacheDataTypeE1ELb1EEEvPT_PKS3_PKT0_S9_ifPKiSB_iPKfiiiSD_SD_iiiii,comdat
	.protected	_ZN4vllm25paged_attention_v1_kernelI14__hip_bfloat16hLi192ELi8ELi128ELNS_18Fp8KVCacheDataTypeE1ELb1EEEvPT_PKS3_PKT0_S9_ifPKiSB_iPKfiiiSD_SD_iiiii ; -- Begin function _ZN4vllm25paged_attention_v1_kernelI14__hip_bfloat16hLi192ELi8ELi128ELNS_18Fp8KVCacheDataTypeE1ELb1EEEvPT_PKS3_PKT0_S9_ifPKiSB_iPKfiiiSD_SD_iiiii
	.globl	_ZN4vllm25paged_attention_v1_kernelI14__hip_bfloat16hLi192ELi8ELi128ELNS_18Fp8KVCacheDataTypeE1ELb1EEEvPT_PKS3_PKT0_S9_ifPKiSB_iPKfiiiSD_SD_iiiii
	.p2align	8
	.type	_ZN4vllm25paged_attention_v1_kernelI14__hip_bfloat16hLi192ELi8ELi128ELNS_18Fp8KVCacheDataTypeE1ELb1EEEvPT_PKS3_PKT0_S9_ifPKiSB_iPKfiiiSD_SD_iiiii,@function
_ZN4vllm25paged_attention_v1_kernelI14__hip_bfloat16hLi192ELi8ELi128ELNS_18Fp8KVCacheDataTypeE1ELb1EEEvPT_PKS3_PKT0_S9_ifPKiSB_iPKfiiiSD_SD_iiiii: ; @_ZN4vllm25paged_attention_v1_kernelI14__hip_bfloat16hLi192ELi8ELi128ELNS_18Fp8KVCacheDataTypeE1ELb1EEEvPT_PKS3_PKT0_S9_ifPKiSB_iPKfiiiSD_SD_iiiii
; %bb.0:
	s_mov_b64 s[58:59], s[2:3]
	s_mov_b64 s[56:57], s[0:1]
	s_add_u32 s56, s56, s9
	s_load_dword s9, s[4:5], 0x80
	s_load_dwordx2 s[0:1], s[4:5], 0x30
	s_load_dwordx2 s[36:37], s[4:5], 0x20
	s_addc_u32 s57, s57, 0
	s_mov_b32 s10, s7
	s_ashr_i32 s11, s7, 31
	s_lshl_b64 s[2:3], s[10:11], 2
	s_waitcnt lgkmcnt(0)
	s_add_u32 s0, s0, s2
	s_addc_u32 s1, s1, s3
	s_abs_i32 s2, s36
	v_cvt_f32_u32_e32 v1, s2
	s_sub_i32 s11, 0, s2
	s_abs_i32 s7, s9
	s_xor_b32 s3, s9, s36
	v_rcp_iflag_f32_e32 v1, v1
	s_ashr_i32 s3, s3, 31
	s_mov_b32 s48, 0
	v_mul_f32_e32 v1, 0x4f7ffffe, v1
	v_cvt_u32_f32_e32 v1, v1
	v_readfirstlane_b32 s12, v1
	s_mul_i32 s11, s11, s12
	s_mul_hi_u32 s11, s12, s11
	s_add_i32 s12, s12, s11
	s_mul_hi_u32 s11, s7, s12
	s_mul_i32 s12, s11, s2
	s_sub_i32 s7, s7, s12
	s_add_i32 s12, s11, 1
	s_sub_i32 s13, s7, s2
	s_cmp_ge_u32 s7, s2
	s_cselect_b32 s11, s12, s11
	s_cselect_b32 s7, s13, s7
	s_add_i32 s12, s11, 1
	s_cmp_ge_u32 s7, s2
	s_cselect_b32 s2, s12, s11
	s_xor_b32 s2, s2, s3
	s_sub_i32 s11, s2, s3
	s_abs_i32 s12, s11
	v_cvt_f32_u32_e32 v1, s12
	s_load_dwordx2 s[2:3], s[4:5], 0x40
	s_sub_i32 s7, 0, s12
	s_abs_i32 s13, s6
	v_rcp_iflag_f32_e32 v1, v1
	v_mul_f32_e32 v1, 0x4f7ffffe, v1
	v_cvt_u32_f32_e32 v1, v1
	v_readfirstlane_b32 s14, v1
	s_mul_i32 s7, s7, s14
	s_mul_hi_u32 s7, s14, s7
	s_add_i32 s14, s14, s7
	s_waitcnt lgkmcnt(0)
	s_cmp_eq_u64 s[2:3], 0
	s_mul_hi_u32 s14, s13, s14
	s_cbranch_scc1 .LBB281_2
; %bb.1:
	s_ashr_i32 s7, s6, 31
	s_lshl_b64 s[16:17], s[6:7], 2
	s_add_u32 s2, s2, s16
	s_addc_u32 s3, s3, s17
	s_load_dword s48, s[2:3], 0x0
.LBB281_2:
	s_load_dword s33, s[0:1], 0x0
	s_ashr_i32 s15, s11, 31
	s_load_dword s11, s[4:5], 0x88
	s_load_dwordx4 s[16:19], s[4:5], 0x48
	s_movk_i32 s0, 0xc0
	s_ashr_i32 s7, s6, 31
	v_and_b32_e32 v1, 7, v0
	s_mul_i32 s24, s6, 0xc0
	v_cmp_gt_u32_e32 vcc, s0, v0
	v_lshlrev_b32_e32 v5, 1, v0
	s_and_saveexec_b64 s[0:1], vcc
	s_cbranch_execz .LBB281_5
; %bb.3:
	s_load_dwordx2 s[2:3], s[4:5], 0x8
	s_waitcnt lgkmcnt(0)
	s_mul_i32 s20, s16, s10
	s_ashr_i32 s21, s20, 31
	s_lshl_b64 s[20:21], s[20:21], 1
	v_lshrrev_b32_e32 v3, 3, v0
	s_add_u32 s16, s2, s20
	s_addc_u32 s19, s3, s21
	s_ashr_i32 s25, s24, 31
	s_lshl_b64 s[2:3], s[24:25], 1
	s_add_u32 s2, s16, s2
	s_addc_u32 s3, s19, s3
	global_load_ushort v4, v5, s[2:3]
	v_lshlrev_b32_e32 v2, 1, v3
	v_mad_u32_u24 v2, v1, 48, v2
	v_cmp_gt_u32_e32 vcc, 64, v0
	s_waitcnt vmcnt(0)
	ds_write_b16 v2, v4
	s_and_b64 exec, exec, vcc
	s_cbranch_execz .LBB281_5
; %bb.4:
	v_lshlrev_b32_e32 v3, 4, v3
	v_lshlrev_b32_e32 v4, 1, v1
	s_movk_i32 s16, 0x100
	v_or3_b32 v3, v3, v4, s16
	global_load_ushort v3, v3, s[2:3]
	s_waitcnt vmcnt(0)
	ds_write_b16 v2, v3 offset:32
.LBB281_5:
	s_or_b64 exec, exec, s[0:1]
	s_mul_i32 s1, s14, s12
	s_sub_i32 s1, s13, s1
	s_xor_b32 s0, s7, s15
	s_add_i32 s2, s14, 1
	s_sub_i32 s7, s1, s12
	s_load_dwordx4 s[20:23], s[4:5], 0x68
	s_load_dword s3, s[4:5], 0x78
	s_cmp_ge_u32 s1, s12
	s_cselect_b32 s2, s2, s14
	s_cselect_b32 s1, s7, s1
	s_add_i32 s7, s2, 1
	s_cmp_ge_u32 s1, s12
	s_cselect_b32 s1, s7, s2
	s_waitcnt lgkmcnt(0)
	s_abs_i32 s25, s23
	v_cvt_f32_u32_e32 v2, s25
	s_xor_b32 s1, s1, s0
	s_sub_i32 s2, s1, s0
	s_sub_i32 s0, 0, s25
	v_rcp_iflag_f32_e32 v2, v2
	s_add_i32 s12, s33, -1
	s_abs_i32 s7, s12
	v_mul_f32_e32 v2, 0x4f7ffffe, v2
	v_cvt_u32_f32_e32 v2, v2
	s_barrier
	v_readfirstlane_b32 s46, v2
	s_mul_i32 s0, s0, s46
	s_mul_hi_u32 s0, s46, s0
	s_add_i32 s46, s46, s0
	s_cmp_lt_i32 s3, 0
	s_mul_hi_u32 s16, s7, s46
	s_cbranch_scc0 .LBB281_7
; %bb.6:
	s_mul_i32 s0, s20, s36
	s_add_i32 s0, s2, s0
	s_mul_i32 s0, s0, s3
	s_sub_i32 s36, 1, s0
	s_mov_b64 s[0:1], 0
	s_branch .LBB281_8
.LBB281_7:
	s_mov_b64 s[0:1], -1
                                        ; implicit-def: $sgpr36
.LBB281_8:
	s_load_dwordx2 s[28:29], s[4:5], 0x28
	s_ashr_i32 s19, s12, 31
	s_andn2_b64 vcc, exec, s[0:1]
	s_ashr_i32 s23, s23, 31
	buffer_store_dword v5, off, s[56:59], 0 offset:12 ; 4-byte Folded Spill
	s_cbranch_vccnz .LBB281_10
; %bb.9:
	s_mul_i32 s0, s9, s20
	s_add_i32 s0, s0, s6
	s_mul_i32 s0, s0, s3
	s_add_i32 s36, s0, 1
.LBB281_10:
	s_load_dword s0, s[4:5], 0x38
	s_load_dwordx2 s[26:27], s[4:5], 0x0
	s_load_dwordx2 s[34:35], s[4:5], 0x18
	s_load_dwordx4 s[12:15], s[4:5], 0x58
	s_xor_b32 s1, s19, s23
	s_waitcnt lgkmcnt(0)
	s_mul_i32 s30, s0, s10
	s_mul_i32 s0, s16, s25
	s_sub_i32 s0, s7, s0
	s_ashr_i32 s31, s30, 31
	s_add_i32 s3, s16, 1
	s_sub_i32 s6, s0, s25
	s_cmp_ge_u32 s0, s25
	s_cselect_b32 s3, s3, s16
	s_cselect_b32 s0, s6, s0
	s_add_i32 s6, s3, 1
	s_cmp_ge_u32 s0, s25
	s_cselect_b32 s0, s6, s3
	s_xor_b32 s0, s0, s1
	s_sub_i32 s16, s0, s1
	s_add_i32 s0, s33, 7
	s_ashr_i32 s1, s0, 31
	s_lshr_b32 s1, s1, 29
	s_add_i32 s0, s0, s1
	s_ashr_i32 s47, s0, 3
	v_lshrrev_b32_e32 v21, 6, v0
	v_cmp_gt_i32_e64 s[0:1], s47, v21
	v_mov_b32_e32 v27, 0xff7fffff
	s_mul_i32 s20, s2, s18
	v_lshrrev_b32_e32 v14, 4, v0
	v_lshlrev_b32_e32 v22, 3, v21
	v_mbcnt_lo_u32_b32 v6, -1, 0
	s_and_saveexec_b64 s[18:19], s[0:1]
	s_cbranch_execz .LBB281_166
; %bb.11:
	s_load_dwordx2 s[2:3], s[4:5], 0x10
	s_sub_i32 s49, s16, s21
	s_ashr_i32 s4, s20, 31
	v_bfe_u32 v7, v0, 3, 3
	v_lshlrev_b32_e32 v3, 4, v7
	s_waitcnt lgkmcnt(0)
	s_add_u32 s5, s2, s20
	s_addc_u32 s4, s3, s4
	s_abs_i32 s50, s22
	v_cvt_f32_u32_e32 v2, s50
	v_mov_b32_e32 v4, s4
	s_sub_i32 s4, 0, s50
	v_cmp_eq_u32_e32 vcc, 0, v1
	v_rcp_iflag_f32_e32 v2, v2
	v_mul_u32_u24_e32 v26, 48, v1
	s_mov_b32 s51, s17
	v_cmp_neq_f32_e64 s[2:3], s48, 0
	v_mul_f32_e32 v2, 0x4f7ffffe, v2
	v_cvt_u32_f32_e32 v2, v2
	v_lshlrev_b32_e32 v29, 3, v21
	s_mov_b64 s[38:39], 0
	s_movk_i32 s52, 0x80
	v_mul_lo_u32 v5, s4, v2
	v_add_co_u32_e64 v3, s[4:5], s5, v3
	v_addc_co_u32_e64 v4, s[4:5], 0, v4, s[4:5]
	v_add_co_u32_e64 v3, s[4:5], v3, v1
	v_mul_hi_u32 v5, v2, v5
	v_addc_co_u32_e64 v4, s[4:5], 0, v4, s[4:5]
	s_lshl_b64 s[4:5], s[30:31], 2
	s_add_u32 s4, s28, s4
	v_and_b32_e32 v1, 60, v14
	s_addc_u32 s5, s29, s5
	v_add_u32_e32 v28, v2, v5
	v_mov_b32_e32 v2, s5
	v_add_co_u32_e64 v15, s[4:5], s4, v1
	v_subrev_u32_e32 v1, s33, v7
	v_add_u32_e32 v1, 1, v1
	buffer_store_dword v3, off, s[56:59], 0 ; 4-byte Folded Spill
	s_nop 0
	buffer_store_dword v4, off, s[56:59], 0 offset:4 ; 4-byte Folded Spill
	buffer_store_dword v1, off, s[56:59], 0 offset:8 ; 4-byte Folded Spill
	v_lshlrev_b32_e32 v1, 2, v7
	v_lshl_or_b32 v1, v21, 5, v1
	v_addc_co_u32_e64 v16, s[4:5], 0, v2, s[4:5]
	v_add_u32_e32 v31, 0x190, v1
	s_movk_i32 s53, 0x7f
	s_movk_i32 s54, 0x7fff
	v_bfrev_b32_e32 v32, 60
	v_mbcnt_hi_u32_b32 v33, -1, v6
	v_mov_b32_e32 v27, 0xff7fffff
	v_mov_b32_e32 v34, v21
	s_branch .LBB281_14
.LBB281_12:                             ;   in Loop: Header=BB281_14 Depth=1
	s_or_b64 exec, exec, s[40:41]
.LBB281_13:                             ;   in Loop: Header=BB281_14 Depth=1
	s_or_b64 exec, exec, s[6:7]
	v_add_co_u32_e64 v15, s[4:5], 8, v15
	v_add_u32_e32 v34, 2, v34
	v_addc_co_u32_e64 v16, s[4:5], 0, v16, s[4:5]
	v_cmp_le_i32_e64 s[4:5], s47, v34
	v_add_u32_e32 v29, 16, v29
	s_or_b64 s[38:39], s[4:5], s[38:39]
	v_add_u32_e32 v31, 64, v31
	s_andn2_b64 exec, exec, s[38:39]
	s_cbranch_execz .LBB281_165
.LBB281_14:                             ; =>This Inner Loop Header: Depth=1
	v_mul_hi_u32 v1, v29, s46
	s_waitcnt lgkmcnt(0)
	v_mul_lo_u32 v2, v1, s25
	v_add_u32_e32 v3, 1, v1
	v_sub_u32_e32 v2, v29, v2
	v_cmp_le_u32_e64 s[4:5], s25, v2
	v_cndmask_b32_e64 v1, v1, v3, s[4:5]
	v_subrev_u32_e32 v3, s25, v2
	v_cndmask_b32_e64 v2, v2, v3, s[4:5]
	v_add_u32_e32 v3, 1, v1
	v_cmp_le_u32_e64 s[4:5], s25, v2
	v_cndmask_b32_e64 v1, v1, v3, s[4:5]
	v_xor_b32_e32 v1, s23, v1
	v_subrev_u32_e32 v1, s23, v1
	v_add_u32_e32 v2, s36, v1
	v_sub_u32_e32 v3, 0, v2
	v_max_i32_e32 v3, v2, v3
	v_mul_hi_u32 v4, v3, v28
	v_ashrrev_i32_e32 v2, 31, v2
	v_cmp_ge_i32_e64 s[6:7], s49, v1
	v_mul_lo_u32 v4, v4, s50
	v_sub_u32_e32 v3, v3, v4
	v_subrev_u32_e32 v4, s50, v3
	v_cmp_le_u32_e64 s[4:5], s50, v3
	v_cndmask_b32_e64 v3, v3, v4, s[4:5]
	v_subrev_u32_e32 v4, s50, v3
	v_cmp_le_u32_e64 s[4:5], s50, v3
	v_cndmask_b32_e64 v3, v3, v4, s[4:5]
	v_xor_b32_e32 v3, v3, v2
	v_sub_u32_e32 v2, v3, v2
	v_cmp_ne_u32_e64 s[4:5], 0, v2
	s_and_b64 s[4:5], s[4:5], s[6:7]
	s_and_saveexec_b64 s[6:7], s[4:5]
	s_xor_b64 s[4:5], exec, s[6:7]
	s_cbranch_execz .LBB281_18
; %bb.15:                               ;   in Loop: Header=BB281_14 Depth=1
	s_and_saveexec_b64 s[6:7], vcc
; %bb.16:                               ;   in Loop: Header=BB281_14 Depth=1
	v_mov_b32_e32 v1, 0xff7fffff
	ds_write_b32 v31, v1
; %bb.17:                               ;   in Loop: Header=BB281_14 Depth=1
	s_or_b64 exec, exec, s[6:7]
.LBB281_18:                             ;   in Loop: Header=BB281_14 Depth=1
	s_andn2_saveexec_b64 s[6:7], s[4:5]
	s_cbranch_execz .LBB281_13
; %bb.19:                               ;   in Loop: Header=BB281_14 Depth=1
	global_load_dword v1, v[15:16], off
	buffer_load_dword v2, off, s[56:59], 0  ; 4-byte Folded Reload
	buffer_load_dword v3, off, s[56:59], 0 offset:4 ; 4-byte Folded Reload
	v_mov_b32_e32 v36, 0
	v_mov_b32_e32 v35, 0
	s_waitcnt vmcnt(0)
	v_mad_i64_i32 v[17:18], s[4:5], v1, s51, v[2:3]
	global_load_ubyte v37, v[17:18], off
	ds_read_b128 v[9:12], v26
	ds_read_b128 v[5:8], v26 offset:16
	ds_read_b128 v[1:4], v26 offset:32
	s_load_dword s55, s[12:13], 0x0
	s_waitcnt vmcnt(0)
	v_cmp_ne_u16_e64 s[4:5], 0, v37
	s_and_saveexec_b64 s[40:41], s[4:5]
	s_cbranch_execz .LBB281_25
; %bb.20:                               ;   in Loop: Header=BB281_14 Depth=1
	v_cmp_ne_u16_e64 s[4:5], s52, v37
	v_bfrev_b32_e32 v35, 1
	s_and_saveexec_b64 s[42:43], s[4:5]
	s_cbranch_execz .LBB281_24
; %bb.21:                               ;   in Loop: Header=BB281_14 Depth=1
	v_and_b32_e32 v19, 0xffff, v37
	v_and_b32_e32 v38, 0x7f, v19
	v_cmp_ne_u32_e64 s[4:5], s53, v38
	v_mov_b32_e32 v35, 0x7f800001
	s_and_saveexec_b64 s[44:45], s[4:5]
	s_cbranch_execz .LBB281_23
; %bb.22:                               ;   in Loop: Header=BB281_14 Depth=1
	v_and_b32_e32 v35, 7, v19
	v_ffbh_u32_e32 v39, v35
	v_min_u32_e32 v42, 32, v39
	v_subrev_u32_e32 v39, 28, v42
	v_lshlrev_b64 v[39:40], v39, v[19:20]
	v_lshrrev_b32_e32 v41, 3, v38
	v_sub_u32_e32 v19, 29, v42
	v_and_b32_e32 v39, 7, v39
	v_cmp_gt_u32_e64 s[4:5], 8, v38
	v_cndmask_b32_e64 v19, v41, v19, s[4:5]
	v_cndmask_b32_e64 v35, v35, v39, s[4:5]
	v_lshlrev_b32_e32 v37, 24, v37
	v_lshlrev_b32_e32 v35, 20, v35
	v_and_b32_e32 v37, 0x80000000, v37
	v_lshl_add_u32 v19, v19, 23, v32
	v_or3_b32 v35, v37, v19, v35
.LBB281_23:                             ;   in Loop: Header=BB281_14 Depth=1
	s_or_b64 exec, exec, s[44:45]
.LBB281_24:                             ;   in Loop: Header=BB281_14 Depth=1
	s_or_b64 exec, exec, s[42:43]
.LBB281_25:                             ;   in Loop: Header=BB281_14 Depth=1
	s_or_b64 exec, exec, s[40:41]
	global_load_ubyte v37, v[17:18], off offset:8
	s_waitcnt vmcnt(0)
	v_cmp_ne_u16_e64 s[4:5], 0, v37
	s_and_saveexec_b64 s[40:41], s[4:5]
	s_cbranch_execz .LBB281_31
; %bb.26:                               ;   in Loop: Header=BB281_14 Depth=1
	v_cmp_ne_u16_e64 s[4:5], s52, v37
	v_bfrev_b32_e32 v36, 1
	s_and_saveexec_b64 s[42:43], s[4:5]
	s_cbranch_execz .LBB281_30
; %bb.27:                               ;   in Loop: Header=BB281_14 Depth=1
	v_and_b32_e32 v19, 0xffff, v37
	v_and_b32_e32 v38, 0x7f, v19
	v_cmp_ne_u32_e64 s[4:5], s53, v38
	v_mov_b32_e32 v36, 0x7f800001
	s_and_saveexec_b64 s[44:45], s[4:5]
	s_cbranch_execz .LBB281_29
; %bb.28:                               ;   in Loop: Header=BB281_14 Depth=1
	v_and_b32_e32 v36, 7, v19
	v_ffbh_u32_e32 v39, v36
	v_min_u32_e32 v42, 32, v39
	v_subrev_u32_e32 v39, 28, v42
	v_lshlrev_b64 v[39:40], v39, v[19:20]
	v_lshrrev_b32_e32 v41, 3, v38
	v_sub_u32_e32 v19, 29, v42
	v_and_b32_e32 v39, 7, v39
	v_cmp_gt_u32_e64 s[4:5], 8, v38
	v_cndmask_b32_e64 v19, v41, v19, s[4:5]
	v_cndmask_b32_e64 v36, v36, v39, s[4:5]
	v_lshlrev_b32_e32 v37, 24, v37
	v_lshlrev_b32_e32 v36, 20, v36
	v_and_b32_e32 v37, 0x80000000, v37
	v_lshl_add_u32 v19, v19, 23, v32
	v_or3_b32 v36, v37, v19, v36
.LBB281_29:                             ;   in Loop: Header=BB281_14 Depth=1
	s_or_b64 exec, exec, s[44:45]
.LBB281_30:                             ;   in Loop: Header=BB281_14 Depth=1
	s_or_b64 exec, exec, s[42:43]
.LBB281_31:                             ;   in Loop: Header=BB281_14 Depth=1
	s_or_b64 exec, exec, s[40:41]
	global_load_ubyte v39, v[17:18], off offset:128
	v_mov_b32_e32 v38, 0
	v_mov_b32_e32 v37, 0
	s_waitcnt vmcnt(0)
	v_cmp_ne_u16_e64 s[4:5], 0, v39
	s_and_saveexec_b64 s[40:41], s[4:5]
	s_cbranch_execz .LBB281_37
; %bb.32:                               ;   in Loop: Header=BB281_14 Depth=1
	v_cmp_ne_u16_e64 s[4:5], s52, v39
	v_bfrev_b32_e32 v37, 1
	s_and_saveexec_b64 s[42:43], s[4:5]
	s_cbranch_execz .LBB281_36
; %bb.33:                               ;   in Loop: Header=BB281_14 Depth=1
	v_and_b32_e32 v19, 0xffff, v39
	v_and_b32_e32 v40, 0x7f, v19
	v_cmp_ne_u32_e64 s[4:5], s53, v40
	v_mov_b32_e32 v37, 0x7f800001
	s_and_saveexec_b64 s[44:45], s[4:5]
	s_cbranch_execz .LBB281_35
; %bb.34:                               ;   in Loop: Header=BB281_14 Depth=1
	v_and_b32_e32 v37, 7, v19
	v_ffbh_u32_e32 v41, v37
	v_min_u32_e32 v44, 32, v41
	v_subrev_u32_e32 v41, 28, v44
	v_lshlrev_b64 v[41:42], v41, v[19:20]
	v_lshrrev_b32_e32 v43, 3, v40
	v_sub_u32_e32 v19, 29, v44
	v_and_b32_e32 v41, 7, v41
	v_cmp_gt_u32_e64 s[4:5], 8, v40
	v_cndmask_b32_e64 v19, v43, v19, s[4:5]
	v_cndmask_b32_e64 v37, v37, v41, s[4:5]
	v_lshlrev_b32_e32 v39, 24, v39
	v_lshlrev_b32_e32 v37, 20, v37
	v_and_b32_e32 v39, 0x80000000, v39
	v_lshl_add_u32 v19, v19, 23, v32
	v_or3_b32 v37, v39, v19, v37
.LBB281_35:                             ;   in Loop: Header=BB281_14 Depth=1
	s_or_b64 exec, exec, s[44:45]
.LBB281_36:                             ;   in Loop: Header=BB281_14 Depth=1
	s_or_b64 exec, exec, s[42:43]
.LBB281_37:                             ;   in Loop: Header=BB281_14 Depth=1
	s_or_b64 exec, exec, s[40:41]
	global_load_ubyte v39, v[17:18], off offset:136
	s_waitcnt vmcnt(0)
	v_cmp_ne_u16_e64 s[4:5], 0, v39
	s_and_saveexec_b64 s[40:41], s[4:5]
	s_cbranch_execz .LBB281_43
; %bb.38:                               ;   in Loop: Header=BB281_14 Depth=1
	v_cmp_ne_u16_e64 s[4:5], s52, v39
	v_bfrev_b32_e32 v38, 1
	s_and_saveexec_b64 s[42:43], s[4:5]
	s_cbranch_execz .LBB281_42
; %bb.39:                               ;   in Loop: Header=BB281_14 Depth=1
	v_and_b32_e32 v19, 0xffff, v39
	v_and_b32_e32 v40, 0x7f, v19
	v_cmp_ne_u32_e64 s[4:5], s53, v40
	v_mov_b32_e32 v38, 0x7f800001
	s_and_saveexec_b64 s[44:45], s[4:5]
	s_cbranch_execz .LBB281_41
; %bb.40:                               ;   in Loop: Header=BB281_14 Depth=1
	v_and_b32_e32 v38, 7, v19
	v_ffbh_u32_e32 v41, v38
	v_min_u32_e32 v44, 32, v41
	v_subrev_u32_e32 v41, 28, v44
	v_lshlrev_b64 v[41:42], v41, v[19:20]
	v_lshrrev_b32_e32 v43, 3, v40
	v_sub_u32_e32 v19, 29, v44
	v_and_b32_e32 v41, 7, v41
	v_cmp_gt_u32_e64 s[4:5], 8, v40
	v_cndmask_b32_e64 v19, v43, v19, s[4:5]
	v_cndmask_b32_e64 v38, v38, v41, s[4:5]
	v_lshlrev_b32_e32 v39, 24, v39
	v_lshlrev_b32_e32 v38, 20, v38
	v_and_b32_e32 v39, 0x80000000, v39
	v_lshl_add_u32 v19, v19, 23, v32
	v_or3_b32 v38, v39, v19, v38
.LBB281_41:                             ;   in Loop: Header=BB281_14 Depth=1
	s_or_b64 exec, exec, s[44:45]
.LBB281_42:                             ;   in Loop: Header=BB281_14 Depth=1
	s_or_b64 exec, exec, s[42:43]
.LBB281_43:                             ;   in Loop: Header=BB281_14 Depth=1
	s_or_b64 exec, exec, s[40:41]
	global_load_ubyte v41, v[17:18], off offset:256
	v_mov_b32_e32 v40, 0
	v_mov_b32_e32 v39, 0
	s_waitcnt vmcnt(0)
	v_cmp_ne_u16_e64 s[4:5], 0, v41
	s_and_saveexec_b64 s[40:41], s[4:5]
	s_cbranch_execz .LBB281_49
; %bb.44:                               ;   in Loop: Header=BB281_14 Depth=1
	v_cmp_ne_u16_e64 s[4:5], s52, v41
	v_bfrev_b32_e32 v39, 1
	s_and_saveexec_b64 s[42:43], s[4:5]
	s_cbranch_execz .LBB281_48
; %bb.45:                               ;   in Loop: Header=BB281_14 Depth=1
	v_and_b32_e32 v19, 0xffff, v41
	v_and_b32_e32 v42, 0x7f, v19
	v_cmp_ne_u32_e64 s[4:5], s53, v42
	v_mov_b32_e32 v39, 0x7f800001
	s_and_saveexec_b64 s[44:45], s[4:5]
	s_cbranch_execz .LBB281_47
; %bb.46:                               ;   in Loop: Header=BB281_14 Depth=1
	v_and_b32_e32 v39, 7, v19
	v_ffbh_u32_e32 v43, v39
	v_min_u32_e32 v46, 32, v43
	v_subrev_u32_e32 v43, 28, v46
	v_lshlrev_b64 v[43:44], v43, v[19:20]
	v_lshrrev_b32_e32 v45, 3, v42
	v_sub_u32_e32 v19, 29, v46
	v_and_b32_e32 v43, 7, v43
	v_cmp_gt_u32_e64 s[4:5], 8, v42
	v_cndmask_b32_e64 v19, v45, v19, s[4:5]
	v_cndmask_b32_e64 v39, v39, v43, s[4:5]
	v_lshlrev_b32_e32 v41, 24, v41
	v_lshlrev_b32_e32 v39, 20, v39
	v_and_b32_e32 v41, 0x80000000, v41
	v_lshl_add_u32 v19, v19, 23, v32
	v_or3_b32 v39, v41, v19, v39
.LBB281_47:                             ;   in Loop: Header=BB281_14 Depth=1
	s_or_b64 exec, exec, s[44:45]
.LBB281_48:                             ;   in Loop: Header=BB281_14 Depth=1
	s_or_b64 exec, exec, s[42:43]
.LBB281_49:                             ;   in Loop: Header=BB281_14 Depth=1
	s_or_b64 exec, exec, s[40:41]
	global_load_ubyte v41, v[17:18], off offset:264
	s_waitcnt vmcnt(0)
	v_cmp_ne_u16_e64 s[4:5], 0, v41
	s_and_saveexec_b64 s[40:41], s[4:5]
	s_cbranch_execz .LBB281_55
; %bb.50:                               ;   in Loop: Header=BB281_14 Depth=1
	v_cmp_ne_u16_e64 s[4:5], s52, v41
	v_bfrev_b32_e32 v40, 1
	s_and_saveexec_b64 s[42:43], s[4:5]
	s_cbranch_execz .LBB281_54
; %bb.51:                               ;   in Loop: Header=BB281_14 Depth=1
	v_and_b32_e32 v19, 0xffff, v41
	v_and_b32_e32 v42, 0x7f, v19
	v_cmp_ne_u32_e64 s[4:5], s53, v42
	v_mov_b32_e32 v40, 0x7f800001
	s_and_saveexec_b64 s[44:45], s[4:5]
	s_cbranch_execz .LBB281_53
; %bb.52:                               ;   in Loop: Header=BB281_14 Depth=1
	v_and_b32_e32 v40, 7, v19
	v_ffbh_u32_e32 v43, v40
	v_min_u32_e32 v46, 32, v43
	v_subrev_u32_e32 v43, 28, v46
	v_lshlrev_b64 v[43:44], v43, v[19:20]
	v_lshrrev_b32_e32 v45, 3, v42
	v_sub_u32_e32 v19, 29, v46
	v_and_b32_e32 v43, 7, v43
	v_cmp_gt_u32_e64 s[4:5], 8, v42
	v_cndmask_b32_e64 v19, v45, v19, s[4:5]
	v_cndmask_b32_e64 v40, v40, v43, s[4:5]
	v_lshlrev_b32_e32 v41, 24, v41
	v_lshlrev_b32_e32 v40, 20, v40
	v_and_b32_e32 v41, 0x80000000, v41
	v_lshl_add_u32 v19, v19, 23, v32
	v_or3_b32 v40, v41, v19, v40
.LBB281_53:                             ;   in Loop: Header=BB281_14 Depth=1
	s_or_b64 exec, exec, s[44:45]
.LBB281_54:                             ;   in Loop: Header=BB281_14 Depth=1
	s_or_b64 exec, exec, s[42:43]
.LBB281_55:                             ;   in Loop: Header=BB281_14 Depth=1
	s_or_b64 exec, exec, s[40:41]
	global_load_ubyte v43, v[17:18], off offset:384
	v_mov_b32_e32 v42, 0
	v_mov_b32_e32 v41, 0
	s_waitcnt vmcnt(0)
	v_cmp_ne_u16_e64 s[4:5], 0, v43
	s_and_saveexec_b64 s[40:41], s[4:5]
	s_cbranch_execz .LBB281_61
; %bb.56:                               ;   in Loop: Header=BB281_14 Depth=1
	v_cmp_ne_u16_e64 s[4:5], s52, v43
	v_bfrev_b32_e32 v41, 1
	s_and_saveexec_b64 s[42:43], s[4:5]
	s_cbranch_execz .LBB281_60
; %bb.57:                               ;   in Loop: Header=BB281_14 Depth=1
	v_and_b32_e32 v19, 0xffff, v43
	v_and_b32_e32 v44, 0x7f, v19
	v_cmp_ne_u32_e64 s[4:5], s53, v44
	v_mov_b32_e32 v41, 0x7f800001
	s_and_saveexec_b64 s[44:45], s[4:5]
	s_cbranch_execz .LBB281_59
; %bb.58:                               ;   in Loop: Header=BB281_14 Depth=1
	v_and_b32_e32 v41, 7, v19
	v_ffbh_u32_e32 v45, v41
	v_min_u32_e32 v48, 32, v45
	v_subrev_u32_e32 v45, 28, v48
	v_lshlrev_b64 v[45:46], v45, v[19:20]
	v_lshrrev_b32_e32 v47, 3, v44
	v_sub_u32_e32 v19, 29, v48
	v_and_b32_e32 v45, 7, v45
	v_cmp_gt_u32_e64 s[4:5], 8, v44
	v_cndmask_b32_e64 v19, v47, v19, s[4:5]
	v_cndmask_b32_e64 v41, v41, v45, s[4:5]
	v_lshlrev_b32_e32 v43, 24, v43
	v_lshlrev_b32_e32 v41, 20, v41
	v_and_b32_e32 v43, 0x80000000, v43
	v_lshl_add_u32 v19, v19, 23, v32
	v_or3_b32 v41, v43, v19, v41
.LBB281_59:                             ;   in Loop: Header=BB281_14 Depth=1
	s_or_b64 exec, exec, s[44:45]
.LBB281_60:                             ;   in Loop: Header=BB281_14 Depth=1
	s_or_b64 exec, exec, s[42:43]
.LBB281_61:                             ;   in Loop: Header=BB281_14 Depth=1
	s_or_b64 exec, exec, s[40:41]
	global_load_ubyte v43, v[17:18], off offset:392
	s_waitcnt vmcnt(0)
	v_cmp_ne_u16_e64 s[4:5], 0, v43
	s_and_saveexec_b64 s[40:41], s[4:5]
	s_cbranch_execz .LBB281_67
; %bb.62:                               ;   in Loop: Header=BB281_14 Depth=1
	v_cmp_ne_u16_e64 s[4:5], s52, v43
	v_bfrev_b32_e32 v42, 1
	s_and_saveexec_b64 s[42:43], s[4:5]
	s_cbranch_execz .LBB281_66
; %bb.63:                               ;   in Loop: Header=BB281_14 Depth=1
	v_and_b32_e32 v19, 0xffff, v43
	v_and_b32_e32 v44, 0x7f, v19
	v_cmp_ne_u32_e64 s[4:5], s53, v44
	v_mov_b32_e32 v42, 0x7f800001
	s_and_saveexec_b64 s[44:45], s[4:5]
	s_cbranch_execz .LBB281_65
; %bb.64:                               ;   in Loop: Header=BB281_14 Depth=1
	v_and_b32_e32 v42, 7, v19
	v_ffbh_u32_e32 v45, v42
	v_min_u32_e32 v48, 32, v45
	v_subrev_u32_e32 v45, 28, v48
	v_lshlrev_b64 v[45:46], v45, v[19:20]
	v_lshrrev_b32_e32 v47, 3, v44
	v_sub_u32_e32 v19, 29, v48
	v_and_b32_e32 v45, 7, v45
	v_cmp_gt_u32_e64 s[4:5], 8, v44
	v_cndmask_b32_e64 v19, v47, v19, s[4:5]
	v_cndmask_b32_e64 v42, v42, v45, s[4:5]
	v_lshlrev_b32_e32 v43, 24, v43
	v_lshlrev_b32_e32 v42, 20, v42
	v_and_b32_e32 v43, 0x80000000, v43
	v_lshl_add_u32 v19, v19, 23, v32
	v_or3_b32 v42, v43, v19, v42
.LBB281_65:                             ;   in Loop: Header=BB281_14 Depth=1
	s_or_b64 exec, exec, s[44:45]
.LBB281_66:                             ;   in Loop: Header=BB281_14 Depth=1
	s_or_b64 exec, exec, s[42:43]
.LBB281_67:                             ;   in Loop: Header=BB281_14 Depth=1
	s_or_b64 exec, exec, s[40:41]
	global_load_ubyte v45, v[17:18], off offset:512
	v_mov_b32_e32 v44, 0
	v_mov_b32_e32 v43, 0
	s_waitcnt vmcnt(0)
	v_cmp_ne_u16_e64 s[4:5], 0, v45
	s_and_saveexec_b64 s[40:41], s[4:5]
	s_cbranch_execz .LBB281_73
; %bb.68:                               ;   in Loop: Header=BB281_14 Depth=1
	v_cmp_ne_u16_e64 s[4:5], s52, v45
	v_bfrev_b32_e32 v43, 1
	s_and_saveexec_b64 s[42:43], s[4:5]
	s_cbranch_execz .LBB281_72
; %bb.69:                               ;   in Loop: Header=BB281_14 Depth=1
	v_and_b32_e32 v19, 0xffff, v45
	v_and_b32_e32 v46, 0x7f, v19
	v_cmp_ne_u32_e64 s[4:5], s53, v46
	v_mov_b32_e32 v43, 0x7f800001
	s_and_saveexec_b64 s[44:45], s[4:5]
	s_cbranch_execz .LBB281_71
; %bb.70:                               ;   in Loop: Header=BB281_14 Depth=1
	v_and_b32_e32 v43, 7, v19
	v_ffbh_u32_e32 v47, v43
	v_min_u32_e32 v50, 32, v47
	v_subrev_u32_e32 v47, 28, v50
	v_lshlrev_b64 v[47:48], v47, v[19:20]
	v_lshrrev_b32_e32 v49, 3, v46
	v_sub_u32_e32 v19, 29, v50
	v_and_b32_e32 v47, 7, v47
	v_cmp_gt_u32_e64 s[4:5], 8, v46
	v_cndmask_b32_e64 v19, v49, v19, s[4:5]
	v_cndmask_b32_e64 v43, v43, v47, s[4:5]
	v_lshlrev_b32_e32 v45, 24, v45
	v_lshlrev_b32_e32 v43, 20, v43
	v_and_b32_e32 v45, 0x80000000, v45
	v_lshl_add_u32 v19, v19, 23, v32
	v_or3_b32 v43, v45, v19, v43
.LBB281_71:                             ;   in Loop: Header=BB281_14 Depth=1
	s_or_b64 exec, exec, s[44:45]
.LBB281_72:                             ;   in Loop: Header=BB281_14 Depth=1
	s_or_b64 exec, exec, s[42:43]
.LBB281_73:                             ;   in Loop: Header=BB281_14 Depth=1
	s_or_b64 exec, exec, s[40:41]
	global_load_ubyte v45, v[17:18], off offset:520
	s_waitcnt vmcnt(0)
	v_cmp_ne_u16_e64 s[4:5], 0, v45
	s_and_saveexec_b64 s[40:41], s[4:5]
	s_cbranch_execz .LBB281_79
; %bb.74:                               ;   in Loop: Header=BB281_14 Depth=1
	v_cmp_ne_u16_e64 s[4:5], s52, v45
	v_bfrev_b32_e32 v44, 1
	s_and_saveexec_b64 s[42:43], s[4:5]
	s_cbranch_execz .LBB281_78
; %bb.75:                               ;   in Loop: Header=BB281_14 Depth=1
	v_and_b32_e32 v19, 0xffff, v45
	v_and_b32_e32 v46, 0x7f, v19
	v_cmp_ne_u32_e64 s[4:5], s53, v46
	v_mov_b32_e32 v44, 0x7f800001
	s_and_saveexec_b64 s[44:45], s[4:5]
	s_cbranch_execz .LBB281_77
; %bb.76:                               ;   in Loop: Header=BB281_14 Depth=1
	v_and_b32_e32 v44, 7, v19
	v_ffbh_u32_e32 v47, v44
	v_min_u32_e32 v50, 32, v47
	v_subrev_u32_e32 v47, 28, v50
	v_lshlrev_b64 v[47:48], v47, v[19:20]
	v_lshrrev_b32_e32 v49, 3, v46
	v_sub_u32_e32 v19, 29, v50
	v_and_b32_e32 v47, 7, v47
	v_cmp_gt_u32_e64 s[4:5], 8, v46
	v_cndmask_b32_e64 v19, v49, v19, s[4:5]
	v_cndmask_b32_e64 v44, v44, v47, s[4:5]
	v_lshlrev_b32_e32 v45, 24, v45
	v_lshlrev_b32_e32 v44, 20, v44
	v_and_b32_e32 v45, 0x80000000, v45
	v_lshl_add_u32 v19, v19, 23, v32
	v_or3_b32 v44, v45, v19, v44
.LBB281_77:                             ;   in Loop: Header=BB281_14 Depth=1
	s_or_b64 exec, exec, s[44:45]
.LBB281_78:                             ;   in Loop: Header=BB281_14 Depth=1
	s_or_b64 exec, exec, s[42:43]
.LBB281_79:                             ;   in Loop: Header=BB281_14 Depth=1
	s_or_b64 exec, exec, s[40:41]
	global_load_ubyte v47, v[17:18], off offset:640
	v_mov_b32_e32 v46, 0
	v_mov_b32_e32 v45, 0
	s_waitcnt vmcnt(0)
	v_cmp_ne_u16_e64 s[4:5], 0, v47
	s_and_saveexec_b64 s[40:41], s[4:5]
	s_cbranch_execz .LBB281_85
; %bb.80:                               ;   in Loop: Header=BB281_14 Depth=1
	v_cmp_ne_u16_e64 s[4:5], s52, v47
	v_bfrev_b32_e32 v45, 1
	s_and_saveexec_b64 s[42:43], s[4:5]
	s_cbranch_execz .LBB281_84
; %bb.81:                               ;   in Loop: Header=BB281_14 Depth=1
	v_and_b32_e32 v19, 0xffff, v47
	v_and_b32_e32 v48, 0x7f, v19
	v_cmp_ne_u32_e64 s[4:5], s53, v48
	v_mov_b32_e32 v45, 0x7f800001
	s_and_saveexec_b64 s[44:45], s[4:5]
	s_cbranch_execz .LBB281_83
; %bb.82:                               ;   in Loop: Header=BB281_14 Depth=1
	v_and_b32_e32 v45, 7, v19
	v_ffbh_u32_e32 v49, v45
	v_min_u32_e32 v52, 32, v49
	v_subrev_u32_e32 v49, 28, v52
	v_lshlrev_b64 v[49:50], v49, v[19:20]
	v_lshrrev_b32_e32 v51, 3, v48
	v_sub_u32_e32 v19, 29, v52
	v_and_b32_e32 v49, 7, v49
	v_cmp_gt_u32_e64 s[4:5], 8, v48
	v_cndmask_b32_e64 v19, v51, v19, s[4:5]
	v_cndmask_b32_e64 v45, v45, v49, s[4:5]
	v_lshlrev_b32_e32 v47, 24, v47
	v_lshlrev_b32_e32 v45, 20, v45
	v_and_b32_e32 v47, 0x80000000, v47
	v_lshl_add_u32 v19, v19, 23, v32
	v_or3_b32 v45, v47, v19, v45
.LBB281_83:                             ;   in Loop: Header=BB281_14 Depth=1
	s_or_b64 exec, exec, s[44:45]
.LBB281_84:                             ;   in Loop: Header=BB281_14 Depth=1
	s_or_b64 exec, exec, s[42:43]
.LBB281_85:                             ;   in Loop: Header=BB281_14 Depth=1
	s_or_b64 exec, exec, s[40:41]
	global_load_ubyte v47, v[17:18], off offset:648
	s_waitcnt vmcnt(0)
	v_cmp_ne_u16_e64 s[4:5], 0, v47
	s_and_saveexec_b64 s[40:41], s[4:5]
	s_cbranch_execz .LBB281_91
; %bb.86:                               ;   in Loop: Header=BB281_14 Depth=1
	v_cmp_ne_u16_e64 s[4:5], s52, v47
	v_bfrev_b32_e32 v46, 1
	s_and_saveexec_b64 s[42:43], s[4:5]
	s_cbranch_execz .LBB281_90
; %bb.87:                               ;   in Loop: Header=BB281_14 Depth=1
	v_and_b32_e32 v19, 0xffff, v47
	v_and_b32_e32 v48, 0x7f, v19
	v_cmp_ne_u32_e64 s[4:5], s53, v48
	v_mov_b32_e32 v46, 0x7f800001
	s_and_saveexec_b64 s[44:45], s[4:5]
	s_cbranch_execz .LBB281_89
; %bb.88:                               ;   in Loop: Header=BB281_14 Depth=1
	v_and_b32_e32 v46, 7, v19
	v_ffbh_u32_e32 v49, v46
	v_min_u32_e32 v52, 32, v49
	v_subrev_u32_e32 v49, 28, v52
	v_lshlrev_b64 v[49:50], v49, v[19:20]
	v_lshrrev_b32_e32 v51, 3, v48
	v_sub_u32_e32 v19, 29, v52
	v_and_b32_e32 v49, 7, v49
	v_cmp_gt_u32_e64 s[4:5], 8, v48
	v_cndmask_b32_e64 v19, v51, v19, s[4:5]
	v_cndmask_b32_e64 v46, v46, v49, s[4:5]
	v_lshlrev_b32_e32 v47, 24, v47
	v_lshlrev_b32_e32 v46, 20, v46
	v_and_b32_e32 v47, 0x80000000, v47
	v_lshl_add_u32 v19, v19, 23, v32
	v_or3_b32 v46, v47, v19, v46
.LBB281_89:                             ;   in Loop: Header=BB281_14 Depth=1
	s_or_b64 exec, exec, s[44:45]
.LBB281_90:                             ;   in Loop: Header=BB281_14 Depth=1
	s_or_b64 exec, exec, s[42:43]
.LBB281_91:                             ;   in Loop: Header=BB281_14 Depth=1
	s_or_b64 exec, exec, s[40:41]
	global_load_ubyte v49, v[17:18], off offset:768
	v_mov_b32_e32 v48, 0
	v_mov_b32_e32 v47, 0
	s_waitcnt vmcnt(0)
	v_cmp_ne_u16_e64 s[4:5], 0, v49
	s_and_saveexec_b64 s[40:41], s[4:5]
	s_cbranch_execz .LBB281_97
; %bb.92:                               ;   in Loop: Header=BB281_14 Depth=1
	v_cmp_ne_u16_e64 s[4:5], s52, v49
	v_bfrev_b32_e32 v47, 1
	s_and_saveexec_b64 s[42:43], s[4:5]
	s_cbranch_execz .LBB281_96
; %bb.93:                               ;   in Loop: Header=BB281_14 Depth=1
	v_and_b32_e32 v19, 0xffff, v49
	v_and_b32_e32 v50, 0x7f, v19
	v_cmp_ne_u32_e64 s[4:5], s53, v50
	v_mov_b32_e32 v47, 0x7f800001
	s_and_saveexec_b64 s[44:45], s[4:5]
	s_cbranch_execz .LBB281_95
; %bb.94:                               ;   in Loop: Header=BB281_14 Depth=1
	v_and_b32_e32 v47, 7, v19
	v_ffbh_u32_e32 v51, v47
	v_min_u32_e32 v54, 32, v51
	v_subrev_u32_e32 v51, 28, v54
	v_lshlrev_b64 v[51:52], v51, v[19:20]
	v_lshrrev_b32_e32 v53, 3, v50
	v_sub_u32_e32 v19, 29, v54
	v_and_b32_e32 v51, 7, v51
	v_cmp_gt_u32_e64 s[4:5], 8, v50
	v_cndmask_b32_e64 v19, v53, v19, s[4:5]
	v_cndmask_b32_e64 v47, v47, v51, s[4:5]
	v_lshlrev_b32_e32 v49, 24, v49
	v_lshlrev_b32_e32 v47, 20, v47
	v_and_b32_e32 v49, 0x80000000, v49
	v_lshl_add_u32 v19, v19, 23, v32
	v_or3_b32 v47, v49, v19, v47
.LBB281_95:                             ;   in Loop: Header=BB281_14 Depth=1
	s_or_b64 exec, exec, s[44:45]
.LBB281_96:                             ;   in Loop: Header=BB281_14 Depth=1
	s_or_b64 exec, exec, s[42:43]
.LBB281_97:                             ;   in Loop: Header=BB281_14 Depth=1
	s_or_b64 exec, exec, s[40:41]
	global_load_ubyte v49, v[17:18], off offset:776
	s_waitcnt vmcnt(0)
	v_cmp_ne_u16_e64 s[4:5], 0, v49
	s_and_saveexec_b64 s[40:41], s[4:5]
	s_cbranch_execz .LBB281_103
; %bb.98:                               ;   in Loop: Header=BB281_14 Depth=1
	v_cmp_ne_u16_e64 s[4:5], s52, v49
	v_bfrev_b32_e32 v48, 1
	s_and_saveexec_b64 s[42:43], s[4:5]
	s_cbranch_execz .LBB281_102
; %bb.99:                               ;   in Loop: Header=BB281_14 Depth=1
	v_and_b32_e32 v19, 0xffff, v49
	v_and_b32_e32 v50, 0x7f, v19
	v_cmp_ne_u32_e64 s[4:5], s53, v50
	v_mov_b32_e32 v48, 0x7f800001
	s_and_saveexec_b64 s[44:45], s[4:5]
	s_cbranch_execz .LBB281_101
; %bb.100:                              ;   in Loop: Header=BB281_14 Depth=1
	v_and_b32_e32 v48, 7, v19
	v_ffbh_u32_e32 v51, v48
	v_min_u32_e32 v54, 32, v51
	v_subrev_u32_e32 v51, 28, v54
	v_lshlrev_b64 v[51:52], v51, v[19:20]
	v_lshrrev_b32_e32 v53, 3, v50
	v_sub_u32_e32 v19, 29, v54
	v_and_b32_e32 v51, 7, v51
	v_cmp_gt_u32_e64 s[4:5], 8, v50
	v_cndmask_b32_e64 v19, v53, v19, s[4:5]
	v_cndmask_b32_e64 v48, v48, v51, s[4:5]
	v_lshlrev_b32_e32 v49, 24, v49
	v_lshlrev_b32_e32 v48, 20, v48
	v_and_b32_e32 v49, 0x80000000, v49
	v_lshl_add_u32 v19, v19, 23, v32
	v_or3_b32 v48, v49, v19, v48
.LBB281_101:                            ;   in Loop: Header=BB281_14 Depth=1
	s_or_b64 exec, exec, s[44:45]
.LBB281_102:                            ;   in Loop: Header=BB281_14 Depth=1
	s_or_b64 exec, exec, s[42:43]
.LBB281_103:                            ;   in Loop: Header=BB281_14 Depth=1
	s_or_b64 exec, exec, s[40:41]
	global_load_ubyte v51, v[17:18], off offset:896
	v_mov_b32_e32 v50, 0
	v_mov_b32_e32 v49, 0
	s_waitcnt vmcnt(0)
	v_cmp_ne_u16_e64 s[4:5], 0, v51
	s_and_saveexec_b64 s[40:41], s[4:5]
	s_cbranch_execz .LBB281_109
; %bb.104:                              ;   in Loop: Header=BB281_14 Depth=1
	v_cmp_ne_u16_e64 s[4:5], s52, v51
	v_bfrev_b32_e32 v49, 1
	s_and_saveexec_b64 s[42:43], s[4:5]
	s_cbranch_execz .LBB281_108
; %bb.105:                              ;   in Loop: Header=BB281_14 Depth=1
	v_and_b32_e32 v19, 0xffff, v51
	v_and_b32_e32 v52, 0x7f, v19
	v_cmp_ne_u32_e64 s[4:5], s53, v52
	v_mov_b32_e32 v49, 0x7f800001
	s_and_saveexec_b64 s[44:45], s[4:5]
	s_cbranch_execz .LBB281_107
; %bb.106:                              ;   in Loop: Header=BB281_14 Depth=1
	v_and_b32_e32 v49, 7, v19
	v_ffbh_u32_e32 v53, v49
	v_min_u32_e32 v56, 32, v53
	v_subrev_u32_e32 v53, 28, v56
	v_lshlrev_b64 v[53:54], v53, v[19:20]
	v_lshrrev_b32_e32 v55, 3, v52
	v_sub_u32_e32 v19, 29, v56
	v_and_b32_e32 v53, 7, v53
	v_cmp_gt_u32_e64 s[4:5], 8, v52
	v_cndmask_b32_e64 v19, v55, v19, s[4:5]
	v_cndmask_b32_e64 v49, v49, v53, s[4:5]
	v_lshlrev_b32_e32 v51, 24, v51
	v_lshlrev_b32_e32 v49, 20, v49
	v_and_b32_e32 v51, 0x80000000, v51
	v_lshl_add_u32 v19, v19, 23, v32
	v_or3_b32 v49, v51, v19, v49
.LBB281_107:                            ;   in Loop: Header=BB281_14 Depth=1
	s_or_b64 exec, exec, s[44:45]
.LBB281_108:                            ;   in Loop: Header=BB281_14 Depth=1
	s_or_b64 exec, exec, s[42:43]
.LBB281_109:                            ;   in Loop: Header=BB281_14 Depth=1
	s_or_b64 exec, exec, s[40:41]
	global_load_ubyte v51, v[17:18], off offset:904
	s_waitcnt vmcnt(0)
	v_cmp_ne_u16_e64 s[4:5], 0, v51
	s_and_saveexec_b64 s[40:41], s[4:5]
	s_cbranch_execz .LBB281_115
; %bb.110:                              ;   in Loop: Header=BB281_14 Depth=1
	v_cmp_ne_u16_e64 s[4:5], s52, v51
	v_bfrev_b32_e32 v50, 1
	s_and_saveexec_b64 s[42:43], s[4:5]
	s_cbranch_execz .LBB281_114
; %bb.111:                              ;   in Loop: Header=BB281_14 Depth=1
	v_and_b32_e32 v19, 0xffff, v51
	v_and_b32_e32 v52, 0x7f, v19
	v_cmp_ne_u32_e64 s[4:5], s53, v52
	v_mov_b32_e32 v50, 0x7f800001
	s_and_saveexec_b64 s[44:45], s[4:5]
	s_cbranch_execz .LBB281_113
; %bb.112:                              ;   in Loop: Header=BB281_14 Depth=1
	v_and_b32_e32 v50, 7, v19
	v_ffbh_u32_e32 v53, v50
	v_min_u32_e32 v56, 32, v53
	v_subrev_u32_e32 v53, 28, v56
	v_lshlrev_b64 v[53:54], v53, v[19:20]
	v_lshrrev_b32_e32 v55, 3, v52
	v_sub_u32_e32 v19, 29, v56
	v_and_b32_e32 v53, 7, v53
	v_cmp_gt_u32_e64 s[4:5], 8, v52
	v_cndmask_b32_e64 v19, v55, v19, s[4:5]
	v_cndmask_b32_e64 v50, v50, v53, s[4:5]
	v_lshlrev_b32_e32 v51, 24, v51
	v_lshlrev_b32_e32 v50, 20, v50
	v_and_b32_e32 v51, 0x80000000, v51
	v_lshl_add_u32 v19, v19, 23, v32
	v_or3_b32 v50, v51, v19, v50
.LBB281_113:                            ;   in Loop: Header=BB281_14 Depth=1
	s_or_b64 exec, exec, s[44:45]
.LBB281_114:                            ;   in Loop: Header=BB281_14 Depth=1
	s_or_b64 exec, exec, s[42:43]
.LBB281_115:                            ;   in Loop: Header=BB281_14 Depth=1
	s_or_b64 exec, exec, s[40:41]
	global_load_ubyte v53, v[17:18], off offset:1024
	v_mov_b32_e32 v52, 0
	v_mov_b32_e32 v51, 0
	s_waitcnt vmcnt(0)
	v_cmp_ne_u16_e64 s[4:5], 0, v53
	s_and_saveexec_b64 s[40:41], s[4:5]
	s_cbranch_execz .LBB281_121
; %bb.116:                              ;   in Loop: Header=BB281_14 Depth=1
	v_cmp_ne_u16_e64 s[4:5], s52, v53
	v_bfrev_b32_e32 v51, 1
	s_and_saveexec_b64 s[42:43], s[4:5]
	s_cbranch_execz .LBB281_120
; %bb.117:                              ;   in Loop: Header=BB281_14 Depth=1
	v_and_b32_e32 v19, 0xffff, v53
	v_and_b32_e32 v54, 0x7f, v19
	v_cmp_ne_u32_e64 s[4:5], s53, v54
	v_mov_b32_e32 v51, 0x7f800001
	s_and_saveexec_b64 s[44:45], s[4:5]
	s_cbranch_execz .LBB281_119
; %bb.118:                              ;   in Loop: Header=BB281_14 Depth=1
	v_and_b32_e32 v51, 7, v19
	v_ffbh_u32_e32 v55, v51
	v_min_u32_e32 v58, 32, v55
	v_subrev_u32_e32 v55, 28, v58
	v_lshlrev_b64 v[55:56], v55, v[19:20]
	v_lshrrev_b32_e32 v57, 3, v54
	v_sub_u32_e32 v19, 29, v58
	v_and_b32_e32 v55, 7, v55
	v_cmp_gt_u32_e64 s[4:5], 8, v54
	v_cndmask_b32_e64 v19, v57, v19, s[4:5]
	v_cndmask_b32_e64 v51, v51, v55, s[4:5]
	v_lshlrev_b32_e32 v53, 24, v53
	v_lshlrev_b32_e32 v51, 20, v51
	v_and_b32_e32 v53, 0x80000000, v53
	v_lshl_add_u32 v19, v19, 23, v32
	v_or3_b32 v51, v53, v19, v51
.LBB281_119:                            ;   in Loop: Header=BB281_14 Depth=1
	s_or_b64 exec, exec, s[44:45]
.LBB281_120:                            ;   in Loop: Header=BB281_14 Depth=1
	s_or_b64 exec, exec, s[42:43]
.LBB281_121:                            ;   in Loop: Header=BB281_14 Depth=1
	s_or_b64 exec, exec, s[40:41]
	global_load_ubyte v53, v[17:18], off offset:1032
	s_waitcnt vmcnt(0)
	v_cmp_ne_u16_e64 s[4:5], 0, v53
	s_and_saveexec_b64 s[40:41], s[4:5]
	s_cbranch_execz .LBB281_127
; %bb.122:                              ;   in Loop: Header=BB281_14 Depth=1
	v_cmp_ne_u16_e64 s[4:5], s52, v53
	v_bfrev_b32_e32 v52, 1
	s_and_saveexec_b64 s[42:43], s[4:5]
	s_cbranch_execz .LBB281_126
; %bb.123:                              ;   in Loop: Header=BB281_14 Depth=1
	v_and_b32_e32 v19, 0xffff, v53
	v_and_b32_e32 v54, 0x7f, v19
	v_cmp_ne_u32_e64 s[4:5], s53, v54
	v_mov_b32_e32 v52, 0x7f800001
	s_and_saveexec_b64 s[44:45], s[4:5]
	s_cbranch_execz .LBB281_125
; %bb.124:                              ;   in Loop: Header=BB281_14 Depth=1
	v_and_b32_e32 v52, 7, v19
	v_ffbh_u32_e32 v55, v52
	v_min_u32_e32 v58, 32, v55
	v_subrev_u32_e32 v55, 28, v58
	v_lshlrev_b64 v[55:56], v55, v[19:20]
	v_lshrrev_b32_e32 v57, 3, v54
	v_sub_u32_e32 v19, 29, v58
	v_and_b32_e32 v55, 7, v55
	v_cmp_gt_u32_e64 s[4:5], 8, v54
	v_cndmask_b32_e64 v19, v57, v19, s[4:5]
	v_cndmask_b32_e64 v52, v52, v55, s[4:5]
	v_lshlrev_b32_e32 v53, 24, v53
	v_lshlrev_b32_e32 v52, 20, v52
	v_and_b32_e32 v53, 0x80000000, v53
	v_lshl_add_u32 v19, v19, 23, v32
	v_or3_b32 v52, v53, v19, v52
.LBB281_125:                            ;   in Loop: Header=BB281_14 Depth=1
	s_or_b64 exec, exec, s[44:45]
.LBB281_126:                            ;   in Loop: Header=BB281_14 Depth=1
	s_or_b64 exec, exec, s[42:43]
.LBB281_127:                            ;   in Loop: Header=BB281_14 Depth=1
	s_or_b64 exec, exec, s[40:41]
	global_load_ubyte v55, v[17:18], off offset:1152
	v_mov_b32_e32 v54, 0
	v_mov_b32_e32 v53, 0
	s_waitcnt vmcnt(0)
	v_cmp_ne_u16_e64 s[4:5], 0, v55
	s_and_saveexec_b64 s[40:41], s[4:5]
	s_cbranch_execz .LBB281_133
; %bb.128:                              ;   in Loop: Header=BB281_14 Depth=1
	v_cmp_ne_u16_e64 s[4:5], s52, v55
	v_bfrev_b32_e32 v53, 1
	s_and_saveexec_b64 s[42:43], s[4:5]
	s_cbranch_execz .LBB281_132
; %bb.129:                              ;   in Loop: Header=BB281_14 Depth=1
	v_and_b32_e32 v19, 0xffff, v55
	v_and_b32_e32 v56, 0x7f, v19
	v_cmp_ne_u32_e64 s[4:5], s53, v56
	v_mov_b32_e32 v53, 0x7f800001
	s_and_saveexec_b64 s[44:45], s[4:5]
	s_cbranch_execz .LBB281_131
; %bb.130:                              ;   in Loop: Header=BB281_14 Depth=1
	v_and_b32_e32 v53, 7, v19
	v_ffbh_u32_e32 v57, v53
	v_min_u32_e32 v60, 32, v57
	v_subrev_u32_e32 v57, 28, v60
	v_lshlrev_b64 v[57:58], v57, v[19:20]
	v_lshrrev_b32_e32 v59, 3, v56
	v_sub_u32_e32 v19, 29, v60
	v_and_b32_e32 v57, 7, v57
	v_cmp_gt_u32_e64 s[4:5], 8, v56
	v_cndmask_b32_e64 v19, v59, v19, s[4:5]
	v_cndmask_b32_e64 v53, v53, v57, s[4:5]
	v_lshlrev_b32_e32 v55, 24, v55
	v_lshlrev_b32_e32 v53, 20, v53
	v_and_b32_e32 v55, 0x80000000, v55
	v_lshl_add_u32 v19, v19, 23, v32
	v_or3_b32 v53, v55, v19, v53
.LBB281_131:                            ;   in Loop: Header=BB281_14 Depth=1
	s_or_b64 exec, exec, s[44:45]
.LBB281_132:                            ;   in Loop: Header=BB281_14 Depth=1
	s_or_b64 exec, exec, s[42:43]
.LBB281_133:                            ;   in Loop: Header=BB281_14 Depth=1
	s_or_b64 exec, exec, s[40:41]
	global_load_ubyte v55, v[17:18], off offset:1160
	s_waitcnt vmcnt(0)
	v_cmp_ne_u16_e64 s[4:5], 0, v55
	s_and_saveexec_b64 s[40:41], s[4:5]
	s_cbranch_execz .LBB281_139
; %bb.134:                              ;   in Loop: Header=BB281_14 Depth=1
	v_cmp_ne_u16_e64 s[4:5], s52, v55
	v_bfrev_b32_e32 v54, 1
	s_and_saveexec_b64 s[42:43], s[4:5]
	s_cbranch_execz .LBB281_138
; %bb.135:                              ;   in Loop: Header=BB281_14 Depth=1
	v_and_b32_e32 v19, 0xffff, v55
	v_and_b32_e32 v56, 0x7f, v19
	v_cmp_ne_u32_e64 s[4:5], s53, v56
	v_mov_b32_e32 v54, 0x7f800001
	s_and_saveexec_b64 s[44:45], s[4:5]
	s_cbranch_execz .LBB281_137
; %bb.136:                              ;   in Loop: Header=BB281_14 Depth=1
	v_and_b32_e32 v54, 7, v19
	v_ffbh_u32_e32 v57, v54
	v_min_u32_e32 v60, 32, v57
	v_subrev_u32_e32 v57, 28, v60
	v_lshlrev_b64 v[57:58], v57, v[19:20]
	v_lshrrev_b32_e32 v59, 3, v56
	v_sub_u32_e32 v19, 29, v60
	v_and_b32_e32 v57, 7, v57
	v_cmp_gt_u32_e64 s[4:5], 8, v56
	v_cndmask_b32_e64 v19, v59, v19, s[4:5]
	v_cndmask_b32_e64 v54, v54, v57, s[4:5]
	v_lshlrev_b32_e32 v55, 24, v55
	v_lshlrev_b32_e32 v54, 20, v54
	v_and_b32_e32 v55, 0x80000000, v55
	v_lshl_add_u32 v19, v19, 23, v32
	v_or3_b32 v54, v55, v19, v54
.LBB281_137:                            ;   in Loop: Header=BB281_14 Depth=1
	s_or_b64 exec, exec, s[44:45]
.LBB281_138:                            ;   in Loop: Header=BB281_14 Depth=1
	s_or_b64 exec, exec, s[42:43]
.LBB281_139:                            ;   in Loop: Header=BB281_14 Depth=1
	s_or_b64 exec, exec, s[40:41]
	global_load_ubyte v55, v[17:18], off offset:1280
	v_mov_b32_e32 v57, 0
	v_mov_b32_e32 v56, 0
	s_waitcnt vmcnt(0)
	v_cmp_ne_u16_e64 s[4:5], 0, v55
	s_and_saveexec_b64 s[40:41], s[4:5]
	s_cbranch_execz .LBB281_145
; %bb.140:                              ;   in Loop: Header=BB281_14 Depth=1
	v_cmp_ne_u16_e64 s[4:5], s52, v55
	v_bfrev_b32_e32 v56, 1
	s_and_saveexec_b64 s[42:43], s[4:5]
	s_cbranch_execz .LBB281_144
; %bb.141:                              ;   in Loop: Header=BB281_14 Depth=1
	v_and_b32_e32 v19, 0xffff, v55
	v_and_b32_e32 v58, 0x7f, v19
	v_cmp_ne_u32_e64 s[4:5], s53, v58
	v_mov_b32_e32 v56, 0x7f800001
	s_and_saveexec_b64 s[44:45], s[4:5]
	s_cbranch_execz .LBB281_143
; %bb.142:                              ;   in Loop: Header=BB281_14 Depth=1
	v_and_b32_e32 v56, 7, v19
	v_lshrrev_b32_e32 v60, 3, v58
	v_cmp_gt_u32_e64 s[4:5], 8, v58
	v_ffbh_u32_e32 v58, v56
	v_min_u32_e32 v61, 32, v58
	v_subrev_u32_e32 v58, 28, v61
	v_lshlrev_b64 v[58:59], v58, v[19:20]
	v_sub_u32_e32 v19, 29, v61
	v_and_b32_e32 v58, 7, v58
	v_cndmask_b32_e64 v19, v60, v19, s[4:5]
	v_cndmask_b32_e64 v56, v56, v58, s[4:5]
	v_lshlrev_b32_e32 v55, 24, v55
	v_lshlrev_b32_e32 v56, 20, v56
	v_and_b32_e32 v55, 0x80000000, v55
	v_lshl_add_u32 v19, v19, 23, v32
	v_or3_b32 v56, v55, v19, v56
.LBB281_143:                            ;   in Loop: Header=BB281_14 Depth=1
	s_or_b64 exec, exec, s[44:45]
.LBB281_144:                            ;   in Loop: Header=BB281_14 Depth=1
	s_or_b64 exec, exec, s[42:43]
.LBB281_145:                            ;   in Loop: Header=BB281_14 Depth=1
	s_or_b64 exec, exec, s[40:41]
	global_load_ubyte v55, v[17:18], off offset:1288
	s_waitcnt vmcnt(0)
	v_cmp_ne_u16_e64 s[4:5], 0, v55
	s_and_saveexec_b64 s[40:41], s[4:5]
	s_cbranch_execz .LBB281_151
; %bb.146:                              ;   in Loop: Header=BB281_14 Depth=1
	v_cmp_ne_u16_e64 s[4:5], s52, v55
	v_bfrev_b32_e32 v57, 1
	s_and_saveexec_b64 s[42:43], s[4:5]
	s_cbranch_execz .LBB281_150
; %bb.147:                              ;   in Loop: Header=BB281_14 Depth=1
	v_and_b32_e32 v19, 0xffff, v55
	v_and_b32_e32 v58, 0x7f, v19
	v_cmp_ne_u32_e64 s[4:5], s53, v58
	v_mov_b32_e32 v57, 0x7f800001
	s_and_saveexec_b64 s[44:45], s[4:5]
	s_cbranch_execz .LBB281_149
; %bb.148:                              ;   in Loop: Header=BB281_14 Depth=1
	v_and_b32_e32 v59, 7, v19
	v_ffbh_u32_e32 v57, v59
	v_min_u32_e32 v61, 32, v57
	v_subrev_u32_e32 v57, 28, v61
	v_lshrrev_b32_e32 v60, 3, v58
	v_cmp_gt_u32_e64 s[4:5], 8, v58
	v_lshlrev_b64 v[57:58], v57, v[19:20]
	v_sub_u32_e32 v19, 29, v61
	v_and_b32_e32 v57, 7, v57
	v_cndmask_b32_e64 v19, v60, v19, s[4:5]
	v_cndmask_b32_e64 v57, v59, v57, s[4:5]
	v_lshlrev_b32_e32 v55, 24, v55
	v_lshlrev_b32_e32 v57, 20, v57
	v_and_b32_e32 v55, 0x80000000, v55
	v_lshl_add_u32 v19, v19, 23, v32
	v_or3_b32 v57, v55, v19, v57
.LBB281_149:                            ;   in Loop: Header=BB281_14 Depth=1
	s_or_b64 exec, exec, s[44:45]
.LBB281_150:                            ;   in Loop: Header=BB281_14 Depth=1
	s_or_b64 exec, exec, s[42:43]
.LBB281_151:                            ;   in Loop: Header=BB281_14 Depth=1
	s_or_b64 exec, exec, s[40:41]
	global_load_ubyte v59, v[17:18], off offset:1408
	v_mov_b32_e32 v55, 0
	v_mov_b32_e32 v58, 0
	s_waitcnt vmcnt(0)
	v_cmp_ne_u16_e64 s[4:5], 0, v59
	s_and_saveexec_b64 s[40:41], s[4:5]
	s_cbranch_execz .LBB281_157
; %bb.152:                              ;   in Loop: Header=BB281_14 Depth=1
	v_cmp_ne_u16_e64 s[4:5], s52, v59
	v_bfrev_b32_e32 v58, 1
	s_and_saveexec_b64 s[42:43], s[4:5]
	s_cbranch_execz .LBB281_156
; %bb.153:                              ;   in Loop: Header=BB281_14 Depth=1
	v_and_b32_e32 v19, 0xffff, v59
	v_and_b32_e32 v60, 0x7f, v19
	v_cmp_ne_u32_e64 s[4:5], s53, v60
	v_mov_b32_e32 v58, 0x7f800001
	s_and_saveexec_b64 s[44:45], s[4:5]
	s_cbranch_execz .LBB281_155
; %bb.154:                              ;   in Loop: Header=BB281_14 Depth=1
	v_and_b32_e32 v58, 7, v19
	v_lshrrev_b32_e32 v62, 3, v60
	v_cmp_gt_u32_e64 s[4:5], 8, v60
	v_ffbh_u32_e32 v60, v58
	v_min_u32_e32 v63, 32, v60
	v_subrev_u32_e32 v60, 28, v63
	v_lshlrev_b64 v[60:61], v60, v[19:20]
	v_sub_u32_e32 v19, 29, v63
	v_and_b32_e32 v60, 7, v60
	v_cndmask_b32_e64 v19, v62, v19, s[4:5]
	v_cndmask_b32_e64 v58, v58, v60, s[4:5]
	v_lshlrev_b32_e32 v59, 24, v59
	v_lshlrev_b32_e32 v58, 20, v58
	v_and_b32_e32 v59, 0x80000000, v59
	v_lshl_add_u32 v19, v19, 23, v32
	v_or3_b32 v58, v59, v19, v58
.LBB281_155:                            ;   in Loop: Header=BB281_14 Depth=1
	s_or_b64 exec, exec, s[44:45]
.LBB281_156:                            ;   in Loop: Header=BB281_14 Depth=1
	s_or_b64 exec, exec, s[42:43]
.LBB281_157:                            ;   in Loop: Header=BB281_14 Depth=1
	s_or_b64 exec, exec, s[40:41]
	global_load_ubyte v18, v[17:18], off offset:1416
	s_waitcnt vmcnt(0)
	v_cmp_ne_u16_e64 s[4:5], 0, v18
	s_and_saveexec_b64 s[40:41], s[4:5]
	s_cbranch_execz .LBB281_163
; %bb.158:                              ;   in Loop: Header=BB281_14 Depth=1
	v_cmp_ne_u16_e64 s[4:5], s52, v18
	v_bfrev_b32_e32 v55, 1
	s_and_saveexec_b64 s[42:43], s[4:5]
	s_cbranch_execz .LBB281_162
; %bb.159:                              ;   in Loop: Header=BB281_14 Depth=1
	v_and_b32_e32 v17, 0xffff, v18
	v_and_b32_e32 v19, 0x7f, v17
	v_cmp_ne_u32_e64 s[4:5], s53, v19
	v_mov_b32_e32 v55, 0x7f800001
	s_and_saveexec_b64 s[44:45], s[4:5]
	s_cbranch_execz .LBB281_161
; %bb.160:                              ;   in Loop: Header=BB281_14 Depth=1
	v_and_b32_e32 v55, 7, v17
	v_lshrrev_b32_e32 v61, 3, v19
	v_cmp_gt_u32_e64 s[4:5], 8, v19
	v_ffbh_u32_e32 v19, v55
	v_min_u32_e32 v19, 32, v19
	v_subrev_u32_e32 v59, 28, v19
	v_lshlrev_b64 v[59:60], v59, v[17:18]
	v_sub_u32_e32 v17, 29, v19
	v_and_b32_e32 v19, 7, v59
	v_cndmask_b32_e64 v17, v61, v17, s[4:5]
	v_cndmask_b32_e64 v19, v55, v19, s[4:5]
	v_lshlrev_b32_e32 v18, 24, v18
	v_lshlrev_b32_e32 v19, 20, v19
	v_and_b32_e32 v18, 0x80000000, v18
	v_lshl_add_u32 v17, v17, 23, v32
	v_or3_b32 v55, v18, v17, v19
.LBB281_161:                            ;   in Loop: Header=BB281_14 Depth=1
	s_or_b64 exec, exec, s[44:45]
.LBB281_162:                            ;   in Loop: Header=BB281_14 Depth=1
	s_or_b64 exec, exec, s[42:43]
.LBB281_163:                            ;   in Loop: Header=BB281_14 Depth=1
	s_or_b64 exec, exec, s[40:41]
	s_waitcnt lgkmcnt(0)
	v_mul_f32_e32 v17, s55, v58
	v_bfe_u32 v18, v17, 16, 1
	v_add3_u32 v18, v18, v17, s54
	v_or_b32_e32 v19, 0x400000, v17
	v_cmp_u_f32_e64 s[4:5], v17, v17
	v_cndmask_b32_e64 v17, v18, v19, s[4:5]
	v_mul_f32_e32 v18, s55, v57
	v_bfe_u32 v19, v18, 16, 1
	v_add3_u32 v19, v19, v18, s54
	v_or_b32_e32 v57, 0x400000, v18
	v_cmp_u_f32_e64 s[4:5], v18, v18
	v_cndmask_b32_e64 v18, v19, v57, s[4:5]
	v_mul_f32_e32 v19, s55, v56
	v_bfe_u32 v56, v19, 16, 1
	v_add3_u32 v56, v56, v19, s54
	v_or_b32_e32 v57, 0x400000, v19
	v_cmp_u_f32_e64 s[4:5], v19, v19
	v_mul_f32_e32 v54, s55, v54
	v_cndmask_b32_e64 v19, v56, v57, s[4:5]
	v_bfe_u32 v56, v54, 16, 1
	v_add3_u32 v56, v56, v54, s54
	v_or_b32_e32 v57, 0x400000, v54
	v_cmp_u_f32_e64 s[4:5], v54, v54
	v_mul_f32_e32 v53, s55, v53
	v_cndmask_b32_e64 v54, v56, v57, s[4:5]
	;; [unrolled: 6-line block ×20, first 2 shown]
	v_bfe_u32 v56, v35, 16, 1
	v_add3_u32 v56, v56, v35, s54
	v_or_b32_e32 v57, 0x400000, v35
	v_cmp_u_f32_e64 s[4:5], v35, v35
	v_and_b32_e32 v35, 64, v33
	v_cndmask_b32_e64 v56, v56, v57, s[4:5]
	v_add_u32_e32 v35, 64, v35
	v_xor_b32_e32 v57, 4, v33
	v_mul_f32_e32 v55, s55, v55
	v_cmp_lt_i32_e64 s[4:5], v57, v35
	v_bfe_u32 v58, v55, 16, 1
	v_cndmask_b32_e64 v57, v33, v57, s[4:5]
	v_add3_u32 v58, v58, v55, s54
	v_or_b32_e32 v59, 0x400000, v55
	v_cmp_u_f32_e64 s[4:5], v55, v55
	v_cndmask_b32_e64 v55, v58, v59, s[4:5]
	v_lshlrev_b32_e32 v58, 16, v9
	v_and_b32_e32 v9, 0xffff0000, v9
	v_and_b32_e32 v36, 0xffff0000, v36
	;; [unrolled: 1-line block ×3, first 2 shown]
	v_mul_f32_e32 v9, v9, v36
	v_lshlrev_b32_e32 v59, 16, v10
	v_fmac_f32_e32 v9, v58, v56
	v_and_b32_e32 v36, 0xffff0000, v37
	v_and_b32_e32 v10, 0xffff0000, v10
	v_fmac_f32_e32 v9, v59, v36
	v_and_b32_e32 v36, 0xffff0000, v38
	v_lshlrev_b32_e32 v60, 16, v11
	v_fmac_f32_e32 v9, v10, v36
	v_and_b32_e32 v10, 0xffff0000, v39
	v_and_b32_e32 v11, 0xffff0000, v11
	v_fmac_f32_e32 v9, v60, v10
	v_and_b32_e32 v10, 0xffff0000, v40
	;; [unrolled: 6-line block ×11, first 2 shown]
	v_lshlrev_b32_e32 v14, 2, v57
	v_fmac_f32_e32 v9, v4, v1
	ds_bpermute_b32 v1, v14, v9
	v_xor_b32_e32 v2, 2, v33
	v_cmp_lt_i32_e64 s[4:5], v2, v35
	v_cndmask_b32_e64 v2, v33, v2, s[4:5]
	v_lshlrev_b32_e32 v2, 2, v2
	s_waitcnt lgkmcnt(0)
	v_add_f32_e32 v1, v9, v1
	ds_bpermute_b32 v2, v2, v1
	v_xor_b32_e32 v3, 1, v33
	v_cmp_lt_i32_e64 s[4:5], v3, v35
	v_cndmask_b32_e64 v3, v33, v3, s[4:5]
	v_lshlrev_b32_e32 v3, 2, v3
	s_waitcnt lgkmcnt(0)
	v_add_f32_e32 v1, v1, v2
	ds_bpermute_b32 v2, v3, v1
	s_and_saveexec_b64 s[40:41], vcc
	s_cbranch_execz .LBB281_12
; %bb.164:                              ;   in Loop: Header=BB281_14 Depth=1
	buffer_load_dword v3, off, s[56:59], 0 offset:8 ; 4-byte Folded Reload
	v_bfe_u32 v4, v0, 3, 3
	s_waitcnt lgkmcnt(0)
	v_add_f32_e32 v1, v1, v2
	v_add_u32_e32 v4, v4, v29
	v_cmp_gt_i32_e64 s[4:5], s33, v4
	s_waitcnt vmcnt(0)
	v_add_u32_e32 v3, v3, v29
	v_cvt_f32_i32_e32 v3, v3
	v_mul_f32_e32 v2, s48, v3
	v_cndmask_b32_e64 v2, 0, v2, s[2:3]
	v_fmac_f32_e32 v2, s37, v1
	v_cndmask_b32_e64 v1, 0, v2, s[4:5]
	ds_write_b32 v31, v1
	v_max_f32_e32 v1, v27, v27
	v_max_f32_e32 v1, v1, v2
	v_cndmask_b32_e64 v27, v27, v1, s[4:5]
	s_branch .LBB281_12
.LBB281_165:
	s_or_b64 exec, exec, s[38:39]
	v_lshrrev_b32_e32 v14, 4, v0
	v_mbcnt_lo_u32_b32 v6, -1, 0
.LBB281_166:
	s_or_b64 exec, exec, s[18:19]
	v_mbcnt_hi_u32_b32 v1, -1, v6
	v_and_b32_e32 v9, 64, v1
	s_waitcnt lgkmcnt(0)
	v_add_u32_e32 v2, 64, v9
	v_xor_b32_e32 v3, 32, v1
	v_cmp_lt_i32_e32 vcc, v3, v2
	v_cndmask_b32_e32 v3, v1, v3, vcc
	v_lshlrev_b32_e32 v4, 2, v3
	ds_bpermute_b32 v3, v4, v27
	v_xor_b32_e32 v6, 16, v1
	v_max_f32_e32 v5, v27, v27
	v_cmp_lt_i32_e32 vcc, v6, v2
	v_xor_b32_e32 v7, 8, v1
	s_waitcnt lgkmcnt(0)
	v_max_f32_e32 v3, v3, v3
	v_max_f32_e32 v3, v5, v3
	v_cndmask_b32_e32 v5, v1, v6, vcc
	v_lshlrev_b32_e32 v6, 2, v5
	ds_bpermute_b32 v5, v6, v3
	v_cmp_lt_i32_e32 vcc, v7, v2
	v_and_b32_e32 v23, 63, v0
	s_waitcnt lgkmcnt(0)
	v_max_f32_e32 v5, v5, v5
	v_max_f32_e32 v5, v3, v5
	v_cndmask_b32_e32 v3, v1, v7, vcc
	v_lshlrev_b32_e32 v8, 2, v3
	ds_bpermute_b32 v7, v8, v5
	v_cmp_eq_u32_e32 vcc, 0, v23
	v_lshlrev_b32_e32 v3, 2, v21
	s_and_saveexec_b64 s[2:3], vcc
	s_cbranch_execz .LBB281_168
; %bb.167:
	s_waitcnt lgkmcnt(0)
	v_max_f32_e32 v7, v7, v7
	v_max_f32_e32 v5, v5, v5
	;; [unrolled: 1-line block ×3, first 2 shown]
	ds_write_b32 v3, v5 offset:384
.LBB281_168:
	s_or_b64 exec, exec, s[2:3]
	v_cmp_gt_u32_e64 s[2:3], 2, v23
	v_mov_b32_e32 v10, 0xff7fffff
	v_lshlrev_b32_e32 v5, 2, v23
	s_waitcnt vmcnt(0) lgkmcnt(0)
	s_barrier
	s_and_saveexec_b64 s[4:5], s[2:3]
; %bb.169:
	ds_read_b32 v10, v5 offset:384
; %bb.170:
	s_or_b64 exec, exec, s[4:5]
	v_xor_b32_e32 v7, 1, v1
	v_cmp_lt_i32_e64 s[4:5], v7, v2
	v_cndmask_b32_e64 v7, v1, v7, s[4:5]
	v_lshlrev_b32_e32 v7, 2, v7
	s_waitcnt lgkmcnt(0)
	ds_bpermute_b32 v11, v7, v10
	v_max_f32_e32 v10, v10, v10
	v_lshlrev_b32_e32 v9, 2, v9
	s_lshl_b32 s4, s47, 3
	s_min_i32 s37, s4, s33
	s_waitcnt lgkmcnt(0)
	v_max_f32_e32 v11, v11, v11
	v_max_f32_e32 v10, v10, v11
	ds_bpermute_b32 v10, v9, v10
	v_cmp_gt_i32_e64 s[4:5], s37, v0
	v_mov_b32_e32 v9, 0
	s_and_saveexec_b64 s[12:13], s[4:5]
	s_cbranch_execz .LBB281_174
; %bb.171:
	v_mov_b32_e32 v9, 0x190
	v_lshl_add_u32 v11, v0, 2, v9
	v_mov_b32_e32 v9, 0
	s_mov_b64 s[18:19], 0
	v_mov_b32_e32 v12, v0
.LBB281_172:                            ; =>This Inner Loop Header: Depth=1
	ds_read_b32 v13, v11
	v_add_u32_e32 v12, 0x80, v12
	v_cmp_le_i32_e64 s[6:7], s37, v12
	s_or_b64 s[18:19], s[6:7], s[18:19]
	s_waitcnt lgkmcnt(0)
	v_sub_f32_e32 v13, v13, v10
	v_mul_f32_e32 v13, 0x3fb8aa3b, v13
	v_exp_f32_e32 v13, v13
	ds_write_b32 v11, v13
	v_add_f32_e32 v9, v9, v13
	v_add_u32_e32 v11, 0x200, v11
	s_andn2_b64 exec, exec, s[18:19]
	s_cbranch_execnz .LBB281_172
; %bb.173:
	s_or_b64 exec, exec, s[18:19]
.LBB281_174:
	s_or_b64 exec, exec, s[12:13]
	ds_bpermute_b32 v4, v4, v9
	s_waitcnt lgkmcnt(0)
	v_add_f32_e32 v4, v9, v4
	ds_bpermute_b32 v6, v6, v4
	s_waitcnt lgkmcnt(0)
	v_add_f32_e32 v4, v4, v6
	ds_bpermute_b32 v6, v8, v4
	v_xor_b32_e32 v8, 4, v1
	v_cmp_lt_i32_e64 s[6:7], v8, v2
	v_cndmask_b32_e64 v8, v1, v8, s[6:7]
	v_lshlrev_b32_e32 v8, 2, v8
	s_waitcnt lgkmcnt(0)
	v_add_f32_e32 v4, v4, v6
	ds_bpermute_b32 v6, v8, v4
	v_xor_b32_e32 v8, 2, v1
	v_cmp_lt_i32_e64 s[6:7], v8, v2
	v_cndmask_b32_e64 v2, v1, v8, s[6:7]
	v_lshlrev_b32_e32 v2, 2, v2
	s_waitcnt lgkmcnt(0)
	v_add_f32_e32 v4, v4, v6
	ds_bpermute_b32 v2, v2, v4
	s_waitcnt lgkmcnt(0)
	v_add_f32_e32 v2, v4, v2
	ds_bpermute_b32 v4, v7, v2
	s_waitcnt lgkmcnt(0)
	v_add_f32_e32 v2, v2, v4
	s_and_saveexec_b64 s[6:7], vcc
; %bb.175:
	ds_write_b32 v3, v2 offset:392
; %bb.176:
	s_or_b64 exec, exec, s[6:7]
	s_waitcnt lgkmcnt(0)
	s_barrier
	s_and_saveexec_b64 s[6:7], s[2:3]
; %bb.177:
	ds_read_b32 v2, v5 offset:392
; %bb.178:
	s_or_b64 exec, exec, s[6:7]
	s_waitcnt lgkmcnt(0)
	ds_bpermute_b32 v3, v7, v2
	v_lshlrev_b32_e32 v1, 2, v1
	v_and_b32_e32 v1, 0x100, v1
	s_waitcnt lgkmcnt(0)
	v_add_f32_e32 v2, v2, v3
	ds_bpermute_b32 v1, v1, v2
	s_and_saveexec_b64 s[2:3], s[4:5]
	s_cbranch_execz .LBB281_181
; %bb.179:
	s_waitcnt lgkmcnt(0)
	v_add_f32_e32 v2, 0x358637bd, v1
	v_div_scale_f32 v1, s[4:5], v2, v2, 1.0
	v_div_scale_f32 v3, vcc, 1.0, v2, 1.0
	s_mov_b64 s[4:5], 0
	v_rcp_f32_e32 v4, v1
	v_fma_f32 v5, -v1, v4, 1.0
	v_fmac_f32_e32 v4, v5, v4
	v_mul_f32_e32 v5, v3, v4
	v_fma_f32 v6, -v1, v5, v3
	v_fmac_f32_e32 v5, v6, v4
	v_fma_f32 v1, -v1, v5, v3
	v_div_fmas_f32 v3, v1, v4, v5
	v_mov_b32_e32 v1, 0x190
	v_lshl_add_u32 v1, v0, 2, v1
	v_div_fixup_f32 v2, v3, v2, 1.0
	v_mov_b32_e32 v3, v0
.LBB281_180:                            ; =>This Inner Loop Header: Depth=1
	ds_read_b32 v4, v1
	v_add_u32_e32 v3, 0x80, v3
	v_cmp_le_i32_e32 vcc, s37, v3
	s_or_b64 s[4:5], vcc, s[4:5]
	s_waitcnt lgkmcnt(0)
	v_mul_f32_e32 v4, v2, v4
	ds_write_b32 v1, v4
	v_add_u32_e32 v1, 0x200, v1
	s_andn2_b64 exec, exec, s[4:5]
	s_cbranch_execnz .LBB281_180
.LBB281_181:
	s_or_b64 exec, exec, s[2:3]
	v_mov_b32_e32 v27, 0
	v_mov_b32_e32 v26, 0
	;; [unrolled: 1-line block ×3, first 2 shown]
	s_waitcnt lgkmcnt(0)
	s_barrier
	s_and_saveexec_b64 s[2:3], s[0:1]
	s_cbranch_execz .LBB281_337
; %bb.182:
	s_sub_i32 s37, s16, s21
	s_ashr_i32 s0, s20, 31
	s_add_u32 s6, s34, s20
	s_addc_u32 s7, s35, s0
	s_abs_i32 s22, s22
	v_cvt_f32_u32_e32 v1, s22
	s_sub_i32 s0, 0, s22
	v_lshlrev_b32_e32 v2, 3, v23
	s_add_i32 s35, s47, -1
	v_rcp_iflag_f32_e32 v1, v1
	v_mov_b32_e32 v5, s7
	v_add_co_u32_e32 v11, vcc, s6, v2
	v_mul_f32_e32 v1, 0x4f7ffffe, v1
	v_cvt_u32_f32_e32 v1, v1
	v_and_b32_e32 v3, 60, v14
	v_addc_co_u32_e32 v12, vcc, 0, v5, vcc
	v_mul_lo_u32 v4, s0, v1
	s_lshl_b64 s[0:1], s[30:31], 2
	s_add_u32 s0, s28, s0
	s_addc_u32 s1, s29, s1
	v_mul_hi_u32 v4, v1, v4
	v_add_co_u32_e32 v13, vcc, s0, v3
	s_mov_b32 s4, -1
	v_add_u32_e32 v24, v1, v4
	v_mov_b32_e32 v1, s1
	v_addc_co_u32_e32 v14, vcc, 0, v1, vcc
	v_mov_b32_e32 v1, 0x190
	s_mov_b32 s34, s17
	s_mov_b32 s5, 0xffffff
	v_mov_b32_e32 v10, 0
	v_lshl_add_u32 v28, v21, 5, v1
	s_mov_b64 s[6:7], 0
	s_movk_i32 s28, 0x80
	s_movk_i32 s29, 0x7f
	;; [unrolled: 1-line block ×3, first 2 shown]
	v_bfrev_b32_e32 v29, 60
	v_mov_b32_e32 v25, 0
	v_mov_b32_e32 v26, 0
	;; [unrolled: 1-line block ×3, first 2 shown]
	s_branch .LBB281_185
.LBB281_183:                            ;   in Loop: Header=BB281_185 Depth=1
	s_or_b64 exec, exec, s[0:1]
	v_bfe_u32 v20, v5, 16, 1
	v_add3_u32 v20, v20, v5, s30
	v_or_b32_e32 v38, 0x400000, v5
	v_cmp_u_f32_e32 vcc, v5, v5
	v_cndmask_b32_e32 v5, v20, v38, vcc
	v_bfe_u32 v20, v6, 16, 1
	v_add3_u32 v20, v20, v6, s30
	v_or_b32_e32 v38, 0x400000, v6
	v_cmp_u_f32_e32 vcc, v6, v6
	v_cndmask_b32_e32 v6, v20, v38, vcc
	;; [unrolled: 5-line block ×4, first 2 shown]
	v_bfe_u32 v20, v1, 16, 1
	v_add3_u32 v20, v20, v1, s30
	v_or_b32_e32 v38, 0x400000, v1
	v_cmp_u_f32_e32 vcc, v1, v1
	v_bfe_u32 v1, v2, 16, 1
	v_cndmask_b32_e32 v20, v20, v38, vcc
	v_add3_u32 v1, v1, v2, s30
	v_or_b32_e32 v38, 0x400000, v2
	v_cmp_u_f32_e32 vcc, v2, v2
	v_cndmask_b32_e32 v38, v1, v38, vcc
	v_bfe_u32 v1, v3, 16, 1
	v_add3_u32 v1, v1, v3, s30
	v_or_b32_e32 v2, 0x400000, v3
	v_cmp_u_f32_e32 vcc, v3, v3
	v_cndmask_b32_e32 v39, v1, v2, vcc
	v_bfe_u32 v1, v4, 16, 1
	v_add3_u32 v1, v1, v4, s30
	v_or_b32_e32 v2, 0x400000, v4
	v_cmp_u_f32_e32 vcc, v4, v4
	v_cndmask_b32_e32 v40, v1, v2, vcc
	v_and_b32_e32 v1, 0xffff0000, v6
	v_lshlrev_b32_e32 v2, 16, v49
	v_mul_f32_e32 v2, v1, v2
	v_bfe_u32 v3, v2, 16, 1
	v_add3_u32 v3, v3, v2, s30
	v_or_b32_e32 v4, 0x400000, v2
	v_cmp_u_f32_e32 vcc, v2, v2
	v_cndmask_b32_e32 v41, v3, v4, vcc
	v_and_b32_e32 v2, 0xffff0000, v5
	v_lshlrev_b32_e32 v3, 16, v50
	v_mul_f32_e32 v3, v2, v3
	;; [unrolled: 8-line block ×8, first 2 shown]
	v_bfe_u32 v39, v38, 16, 1
	v_add3_u32 v39, v39, v38, s30
	v_or_b32_e32 v40, 0x400000, v38
	v_cmp_u_f32_e32 vcc, v38, v38
	v_cndmask_b32_e32 v38, v39, v40, vcc
	v_and_b32_e32 v39, 0xffff0000, v42
	v_and_b32_e32 v40, 0xffff0000, v41
	v_add_f32_e32 v39, v39, v40
	v_and_b32_e32 v40, 0xffff0000, v44
	v_and_b32_e32 v41, 0xffff0000, v43
	v_add_f32_e32 v40, v40, v41
	;; [unrolled: 3-line block ×3, first 2 shown]
	v_add_f32_e32 v18, v19, v18
	v_and_b32_e32 v19, 0xffff0000, v38
	v_and_b32_e32 v20, 0xffff0000, v20
	v_add_f32_e32 v18, v18, v39
	v_add_f32_e32 v19, v19, v20
	;; [unrolled: 1-line block ×4, first 2 shown]
	v_lshlrev_b32_e32 v18, 16, v36
	v_mul_f32_e32 v18, v1, v18
	v_bfe_u32 v19, v18, 16, 1
	v_add3_u32 v19, v19, v18, s30
	v_or_b32_e32 v20, 0x400000, v18
	v_cmp_u_f32_e32 vcc, v18, v18
	v_cndmask_b32_e32 v18, v19, v20, vcc
	v_lshlrev_b32_e32 v19, 16, v37
	v_mul_f32_e32 v19, v2, v19
	v_bfe_u32 v20, v19, 16, 1
	v_add3_u32 v20, v20, v19, s30
	v_or_b32_e32 v36, 0x400000, v19
	v_cmp_u_f32_e32 vcc, v19, v19
	v_cndmask_b32_e32 v19, v20, v36, vcc
	v_lshlrev_b32_e32 v20, 16, v33
	v_mul_f32_e32 v20, v3, v20
	v_bfe_u32 v33, v20, 16, 1
	v_add3_u32 v33, v33, v20, s30
	v_or_b32_e32 v36, 0x400000, v20
	v_cmp_u_f32_e32 vcc, v20, v20
	v_cndmask_b32_e32 v20, v33, v36, vcc
	v_lshlrev_b32_e32 v33, 16, v34
	v_mul_f32_e32 v33, v4, v33
	v_bfe_u32 v34, v33, 16, 1
	v_lshlrev_b32_e32 v30, 16, v30
	v_add3_u32 v34, v34, v33, s30
	v_or_b32_e32 v36, 0x400000, v33
	v_cmp_u_f32_e32 vcc, v33, v33
	v_mul_f32_e32 v30, v5, v30
	v_cndmask_b32_e32 v33, v34, v36, vcc
	v_bfe_u32 v34, v30, 16, 1
	v_lshlrev_b32_e32 v31, 16, v31
	v_add3_u32 v34, v34, v30, s30
	v_or_b32_e32 v36, 0x400000, v30
	v_cmp_u_f32_e32 vcc, v30, v30
	v_mul_f32_e32 v31, v6, v31
	v_cndmask_b32_e32 v30, v34, v36, vcc
	v_bfe_u32 v34, v31, 16, 1
	v_add3_u32 v34, v34, v31, s30
	v_or_b32_e32 v36, 0x400000, v31
	v_cmp_u_f32_e32 vcc, v31, v31
	v_cndmask_b32_e32 v31, v34, v36, vcc
	v_lshlrev_b32_e32 v34, 16, v35
	v_mul_f32_e32 v34, v7, v34
	v_bfe_u32 v35, v34, 16, 1
	v_lshlrev_b32_e32 v32, 16, v32
	v_and_b32_e32 v19, 0xffff0000, v19
	v_and_b32_e32 v18, 0xffff0000, v18
	v_add3_u32 v35, v35, v34, s30
	v_or_b32_e32 v36, 0x400000, v34
	v_cmp_u_f32_e32 vcc, v34, v34
	v_mul_f32_e32 v32, v8, v32
	v_add_f32_e32 v18, v19, v18
	v_and_b32_e32 v19, 0xffff0000, v33
	v_and_b32_e32 v20, 0xffff0000, v20
	v_cndmask_b32_e32 v34, v35, v36, vcc
	v_bfe_u32 v35, v32, 16, 1
	v_add_f32_e32 v19, v19, v20
	v_add3_u32 v35, v35, v32, s30
	v_or_b32_e32 v36, 0x400000, v32
	v_cmp_u_f32_e32 vcc, v32, v32
	v_add_f32_e32 v18, v19, v18
	v_and_b32_e32 v19, 0xffff0000, v31
	v_and_b32_e32 v20, 0xffff0000, v30
	v_cndmask_b32_e32 v32, v35, v36, vcc
	v_add_f32_e32 v19, v19, v20
	v_add_f32_e32 v18, v19, v18
	v_and_b32_e32 v19, 0xffff0000, v32
	v_and_b32_e32 v20, 0xffff0000, v34
	v_add_f32_e32 v19, v19, v20
	v_add_f32_e32 v18, v19, v18
	;; [unrolled: 1-line block ×3, first 2 shown]
	v_lshlrev_b32_e32 v18, 16, v52
	v_mul_f32_e32 v1, v1, v18
	v_bfe_u32 v18, v1, 16, 1
	v_add3_u32 v18, v18, v1, s30
	v_or_b32_e32 v19, 0x400000, v1
	v_cmp_u_f32_e32 vcc, v1, v1
	v_cndmask_b32_e32 v1, v18, v19, vcc
	v_lshlrev_b32_e32 v18, 16, v54
	v_mul_f32_e32 v2, v2, v18
	v_lshlrev_b32_e32 v17, 16, v17
	v_bfe_u32 v18, v2, 16, 1
	v_mul_f32_e32 v3, v3, v17
	v_add3_u32 v18, v18, v2, s30
	v_or_b32_e32 v19, 0x400000, v2
	v_cmp_u_f32_e32 vcc, v2, v2
	v_bfe_u32 v17, v3, 16, 1
	v_cndmask_b32_e32 v2, v18, v19, vcc
	v_add3_u32 v17, v17, v3, s30
	v_or_b32_e32 v18, 0x400000, v3
	v_cmp_u_f32_e32 vcc, v3, v3
	v_cndmask_b32_e32 v3, v17, v18, vcc
	v_lshlrev_b32_e32 v17, 16, v53
	v_mul_f32_e32 v4, v4, v17
	v_lshlrev_b32_e32 v9, 16, v9
	v_bfe_u32 v17, v4, 16, 1
	v_mul_f32_e32 v5, v5, v9
	v_add3_u32 v17, v17, v4, s30
	v_or_b32_e32 v18, 0x400000, v4
	v_cmp_u_f32_e32 vcc, v4, v4
	v_bfe_u32 v9, v5, 16, 1
	v_cndmask_b32_e32 v4, v17, v18, vcc
	v_add3_u32 v9, v9, v5, s30
	v_or_b32_e32 v17, 0x400000, v5
	v_cmp_u_f32_e32 vcc, v5, v5
	v_cndmask_b32_e32 v5, v9, v17, vcc
	v_lshlrev_b32_e32 v9, 16, v15
	v_mul_f32_e32 v6, v6, v9
	v_bfe_u32 v9, v6, 16, 1
	v_add3_u32 v9, v9, v6, s30
	v_or_b32_e32 v15, 0x400000, v6
	v_cmp_u_f32_e32 vcc, v6, v6
	v_cndmask_b32_e32 v6, v9, v15, vcc
	v_lshlrev_b32_e32 v9, 16, v51
	v_mul_f32_e32 v7, v7, v9
	v_bfe_u32 v9, v7, 16, 1
	v_add3_u32 v9, v9, v7, s30
	v_or_b32_e32 v15, 0x400000, v7
	v_cmp_u_f32_e32 vcc, v7, v7
	v_cndmask_b32_e32 v7, v9, v15, vcc
	v_lshlrev_b32_e32 v9, 16, v16
	v_and_b32_e32 v2, 0xffff0000, v2
	v_and_b32_e32 v1, 0xffff0000, v1
	v_mul_f32_e32 v8, v8, v9
	v_add_f32_e32 v1, v2, v1
	v_and_b32_e32 v2, 0xffff0000, v4
	v_and_b32_e32 v3, 0xffff0000, v3
	v_bfe_u32 v9, v8, 16, 1
	v_add_f32_e32 v2, v2, v3
	v_add3_u32 v9, v9, v8, s30
	v_or_b32_e32 v15, 0x400000, v8
	v_cmp_u_f32_e32 vcc, v8, v8
	v_add_f32_e32 v1, v2, v1
	v_and_b32_e32 v2, 0xffff0000, v6
	v_and_b32_e32 v3, 0xffff0000, v5
	v_cndmask_b32_e32 v8, v9, v15, vcc
	v_add_f32_e32 v2, v2, v3
	v_add_f32_e32 v1, v2, v1
	v_and_b32_e32 v2, 0xffff0000, v8
	v_and_b32_e32 v3, 0xffff0000, v7
	v_add_f32_e32 v2, v2, v3
	v_add_f32_e32 v1, v2, v1
	;; [unrolled: 1-line block ×3, first 2 shown]
.LBB281_184:                            ;   in Loop: Header=BB281_185 Depth=1
	s_or_b64 exec, exec, s[12:13]
	v_add_co_u32_e32 v13, vcc, 8, v13
	v_add_u32_e32 v21, 2, v21
	v_addc_co_u32_e32 v14, vcc, 0, v14, vcc
	v_cmp_le_i32_e32 vcc, s47, v21
	v_add_u32_e32 v22, 16, v22
	s_or_b64 s[6:7], vcc, s[6:7]
	v_add_u32_e32 v28, 64, v28
	s_andn2_b64 exec, exec, s[6:7]
	s_cbranch_execz .LBB281_336
.LBB281_185:                            ; =>This Inner Loop Header: Depth=1
	v_mul_hi_u32 v1, v22, s46
	v_mul_lo_u32 v2, v1, s25
	v_add_u32_e32 v3, 1, v1
	v_sub_u32_e32 v2, v22, v2
	v_cmp_le_u32_e32 vcc, s25, v2
	v_cndmask_b32_e32 v1, v1, v3, vcc
	v_subrev_u32_e32 v3, s25, v2
	v_cndmask_b32_e32 v2, v2, v3, vcc
	v_add_u32_e32 v3, 1, v1
	v_cmp_le_u32_e32 vcc, s25, v2
	v_cndmask_b32_e32 v1, v1, v3, vcc
	v_xor_b32_e32 v1, s23, v1
	v_subrev_u32_e32 v1, s23, v1
	v_add_u32_e32 v2, s36, v1
	v_sub_u32_e32 v3, 0, v2
	v_max_i32_e32 v3, v2, v3
	v_mul_hi_u32 v4, v3, v24
	v_ashrrev_i32_e32 v2, 31, v2
	v_cmp_lt_i32_e64 s[0:1], s37, v1
	v_mul_lo_u32 v4, v4, s22
	v_sub_u32_e32 v3, v3, v4
	v_subrev_u32_e32 v4, s22, v3
	v_cmp_le_u32_e32 vcc, s22, v3
	v_cndmask_b32_e32 v3, v3, v4, vcc
	v_subrev_u32_e32 v4, s22, v3
	v_cmp_le_u32_e32 vcc, s22, v3
	v_cndmask_b32_e32 v3, v3, v4, vcc
	v_xor_b32_e32 v3, v3, v2
	v_sub_u32_e32 v2, v3, v2
	v_cmp_eq_u32_e32 vcc, 0, v2
	s_or_b64 s[0:1], vcc, s[0:1]
	s_and_saveexec_b64 s[12:13], s[0:1]
	s_cbranch_execz .LBB281_184
; %bb.186:                              ;   in Loop: Header=BB281_185 Depth=1
	global_load_dword v1, v[13:14], off
	v_mov_b32_e32 v35, 0
	v_mov_b32_e32 v32, 0
	s_waitcnt vmcnt(0)
	v_mad_i64_i32 v[15:16], s[0:1], v1, s34, v[11:12]
	global_load_dwordx2 v[17:18], v[15:16], off
	ds_read2_b64 v[5:8], v28 offset1:1
	ds_read2_b64 v[1:4], v28 offset0:2 offset1:3
	s_load_dword s31, s[14:15], 0x0
	s_waitcnt vmcnt(0)
	v_cmp_ne_u16_sdwa s[16:17], v17, v10 src0_sel:BYTE_0 src1_sel:DWORD
	s_and_saveexec_b64 s[0:1], s[16:17]
	s_cbranch_execz .LBB281_192
; %bb.187:                              ;   in Loop: Header=BB281_185 Depth=1
	v_cmp_ne_u16_sdwa s[18:19], v17, s28 src0_sel:BYTE_0 src1_sel:DWORD
	v_bfrev_b32_e32 v32, 1
	s_and_saveexec_b64 s[16:17], s[18:19]
	s_cbranch_execz .LBB281_191
; %bb.188:                              ;   in Loop: Header=BB281_185 Depth=1
	v_and_b32_e32 v9, 0x7f, v17
	v_cmp_ne_u32_e32 vcc, s29, v9
	v_mov_b32_e32 v32, 0x7f800001
	s_and_saveexec_b64 s[18:19], vcc
	s_cbranch_execz .LBB281_190
; %bb.189:                              ;   in Loop: Header=BB281_185 Depth=1
	v_and_b32_e32 v19, 7, v17
	v_ffbh_u32_e32 v19, v19
	v_min_u32_e32 v19, 32, v19
	v_lshrrev_b32_e32 v20, 3, v9
	v_subrev_u32_e32 v30, 28, v19
	v_sub_u32_e32 v19, 29, v19
	v_cmp_gt_u32_e32 vcc, 8, v9
	v_cndmask_b32_e32 v9, v20, v19, vcc
	v_cndmask_b32_e32 v19, 0, v30, vcc
	v_lshlrev_b64 v[30:31], v19, v[17:18]
	v_lshlrev_b32_e32 v20, 24, v17
	v_lshlrev_b32_e32 v19, 20, v30
	v_and_b32_e32 v19, 0x700000, v19
	v_and_b32_e32 v20, 0x80000000, v20
	v_lshl_add_u32 v9, v9, 23, v29
	v_or3_b32 v32, v20, v9, v19
.LBB281_190:                            ;   in Loop: Header=BB281_185 Depth=1
	s_or_b64 exec, exec, s[18:19]
.LBB281_191:                            ;   in Loop: Header=BB281_185 Depth=1
	s_or_b64 exec, exec, s[16:17]
.LBB281_192:                            ;   in Loop: Header=BB281_185 Depth=1
	s_or_b64 exec, exec, s[0:1]
	v_lshrrev_b16_e32 v9, 8, v17
	v_cmp_ne_u16_e32 vcc, 0, v9
	s_and_saveexec_b64 s[0:1], vcc
	s_cbranch_execz .LBB281_198
; %bb.193:                              ;   in Loop: Header=BB281_185 Depth=1
	v_cmp_ne_u16_e32 vcc, s28, v9
	v_bfrev_b32_e32 v35, 1
	s_and_saveexec_b64 s[16:17], vcc
	s_cbranch_execz .LBB281_197
; %bb.194:                              ;   in Loop: Header=BB281_185 Depth=1
	v_and_b32_e32 v19, 0x7f, v9
	v_cmp_ne_u32_e32 vcc, s29, v19
	v_mov_b32_e32 v35, 0x7f800001
	s_and_saveexec_b64 s[18:19], vcc
	s_cbranch_execz .LBB281_196
; %bb.195:                              ;   in Loop: Header=BB281_185 Depth=1
	v_and_b32_e32 v20, 7, v9
	v_ffbh_u32_e32 v30, v20
	v_min_u32_e32 v34, 32, v30
	v_subrev_u32_e32 v30, 28, v34
	v_lshlrev_b64 v[30:31], v30, v[9:10]
	v_lshrrev_b32_e32 v33, 3, v19
	v_sub_u32_e32 v9, 29, v34
	v_and_b32_e32 v30, 7, v30
	v_cmp_gt_u32_e32 vcc, 8, v19
	v_cndmask_b32_e32 v9, v33, v9, vcc
	v_cndmask_b32_e32 v19, v20, v30, vcc
	v_lshlrev_b32_e32 v20, 16, v17
	v_lshlrev_b32_e32 v19, 20, v19
	v_and_b32_e32 v20, 0x80000000, v20
	v_lshl_add_u32 v9, v9, 23, v29
	v_or3_b32 v35, v20, v9, v19
.LBB281_196:                            ;   in Loop: Header=BB281_185 Depth=1
	s_or_b64 exec, exec, s[18:19]
.LBB281_197:                            ;   in Loop: Header=BB281_185 Depth=1
	s_or_b64 exec, exec, s[16:17]
.LBB281_198:                            ;   in Loop: Header=BB281_185 Depth=1
	s_or_b64 exec, exec, s[0:1]
	v_lshrrev_b32_e32 v9, 16, v17
	v_cmp_ne_u16_sdwa s[16:17], v9, v10 src0_sel:BYTE_0 src1_sel:DWORD
	v_mov_b32_e32 v33, 0
	v_mov_b32_e32 v34, 0
	s_and_saveexec_b64 s[0:1], s[16:17]
	s_cbranch_execz .LBB281_204
; %bb.199:                              ;   in Loop: Header=BB281_185 Depth=1
	v_cmp_ne_u16_sdwa s[18:19], v9, s28 src0_sel:BYTE_0 src1_sel:DWORD
	v_bfrev_b32_e32 v34, 1
	s_and_saveexec_b64 s[16:17], s[18:19]
	s_cbranch_execz .LBB281_203
; %bb.200:                              ;   in Loop: Header=BB281_185 Depth=1
	v_bfe_u32 v19, v17, 16, 7
	v_cmp_ne_u32_e32 vcc, s29, v19
	v_mov_b32_e32 v34, 0x7f800001
	s_and_saveexec_b64 s[18:19], vcc
	s_cbranch_execz .LBB281_202
; %bb.201:                              ;   in Loop: Header=BB281_185 Depth=1
	v_and_b32_e32 v20, 7, v9
	v_ffbh_u32_e32 v30, v20
	v_min_u32_e32 v36, 32, v30
	v_subrev_u32_e32 v30, 28, v36
	v_lshlrev_b64 v[30:31], v30, v[9:10]
	v_lshrrev_b32_e32 v34, 3, v19
	v_sub_u32_e32 v31, 29, v36
	v_and_b32_e32 v30, 7, v30
	v_cmp_gt_u32_e32 vcc, 8, v19
	v_cndmask_b32_e32 v19, v34, v31, vcc
	v_cndmask_b32_e32 v20, v20, v30, vcc
	v_lshlrev_b32_e32 v9, 24, v9
	v_lshlrev_b32_e32 v20, 20, v20
	v_and_b32_e32 v9, 0x80000000, v9
	v_lshl_add_u32 v19, v19, 23, v29
	v_or3_b32 v34, v9, v19, v20
.LBB281_202:                            ;   in Loop: Header=BB281_185 Depth=1
	s_or_b64 exec, exec, s[18:19]
.LBB281_203:                            ;   in Loop: Header=BB281_185 Depth=1
	s_or_b64 exec, exec, s[16:17]
.LBB281_204:                            ;   in Loop: Header=BB281_185 Depth=1
	s_or_b64 exec, exec, s[0:1]
	v_cmp_lt_u32_e32 vcc, s5, v17
	s_and_saveexec_b64 s[0:1], vcc
	s_cbranch_execz .LBB281_210
; %bb.205:                              ;   in Loop: Header=BB281_185 Depth=1
	v_lshrrev_b32_e32 v9, 24, v17
	v_cmp_ne_u32_e32 vcc, s28, v9
	v_bfrev_b32_e32 v33, 1
	s_and_saveexec_b64 s[16:17], vcc
	s_cbranch_execz .LBB281_209
; %bb.206:                              ;   in Loop: Header=BB281_185 Depth=1
	v_bfe_u32 v19, v17, 24, 7
	v_cmp_ne_u32_e32 vcc, s29, v19
	v_mov_b32_e32 v33, 0x7f800001
	s_and_saveexec_b64 s[18:19], vcc
	s_cbranch_execz .LBB281_208
; %bb.207:                              ;   in Loop: Header=BB281_185 Depth=1
	v_and_b32_e32 v20, 7, v9
	v_ffbh_u32_e32 v30, v20
	v_min_u32_e32 v36, 32, v30
	v_subrev_u32_e32 v30, 28, v36
	v_lshlrev_b64 v[30:31], v30, v[9:10]
	v_lshrrev_b32_e32 v33, 3, v19
	v_sub_u32_e32 v31, 29, v36
	v_and_b32_e32 v30, 7, v30
	v_cmp_gt_u32_e32 vcc, 8, v19
	v_cndmask_b32_e32 v19, v33, v31, vcc
	v_cndmask_b32_e32 v20, v20, v30, vcc
	v_lshlrev_b32_e32 v9, 24, v9
	v_lshlrev_b32_e32 v20, 20, v20
	v_and_b32_e32 v9, 0x80000000, v9
	v_lshl_add_u32 v19, v19, 23, v29
	v_or3_b32 v33, v9, v19, v20
.LBB281_208:                            ;   in Loop: Header=BB281_185 Depth=1
	s_or_b64 exec, exec, s[18:19]
.LBB281_209:                            ;   in Loop: Header=BB281_185 Depth=1
	s_or_b64 exec, exec, s[16:17]
.LBB281_210:                            ;   in Loop: Header=BB281_185 Depth=1
	s_or_b64 exec, exec, s[0:1]
	v_mov_b32_e32 v9, v18
	v_cmp_ne_u16_sdwa s[16:17], v18, v10 src0_sel:BYTE_0 src1_sel:DWORD
	v_mov_b32_e32 v30, 0
	v_mov_b32_e32 v31, 0
	s_and_saveexec_b64 s[0:1], s[16:17]
	s_cbranch_execz .LBB281_216
; %bb.211:                              ;   in Loop: Header=BB281_185 Depth=1
	v_cmp_ne_u16_sdwa s[18:19], v18, s28 src0_sel:BYTE_0 src1_sel:DWORD
	v_bfrev_b32_e32 v31, 1
	s_and_saveexec_b64 s[16:17], s[18:19]
	s_cbranch_execz .LBB281_215
; %bb.212:                              ;   in Loop: Header=BB281_185 Depth=1
	v_and_b32_e32 v19, 0x7f, v18
	v_cmp_ne_u32_e32 vcc, s29, v19
	v_mov_b32_e32 v31, 0x7f800001
	s_and_saveexec_b64 s[18:19], vcc
	s_cbranch_execz .LBB281_214
; %bb.213:                              ;   in Loop: Header=BB281_185 Depth=1
	v_and_b32_e32 v20, 7, v18
	v_ffbh_u32_e32 v20, v20
	v_min_u32_e32 v20, 32, v20
	v_lshrrev_b32_e32 v31, 3, v19
	v_subrev_u32_e32 v36, 28, v20
	v_sub_u32_e32 v20, 29, v20
	v_cmp_gt_u32_e32 vcc, 8, v19
	v_cndmask_b32_e32 v19, v31, v20, vcc
	v_cndmask_b32_e32 v20, 0, v36, vcc
	v_lshlrev_b64 v[36:37], v20, v[9:10]
	v_lshlrev_b32_e32 v31, 24, v9
	v_lshlrev_b32_e32 v20, 20, v36
	v_and_b32_e32 v20, 0x700000, v20
	v_and_b32_e32 v31, 0x80000000, v31
	v_lshl_add_u32 v19, v19, 23, v29
	v_or3_b32 v31, v31, v19, v20
.LBB281_214:                            ;   in Loop: Header=BB281_185 Depth=1
	s_or_b64 exec, exec, s[18:19]
.LBB281_215:                            ;   in Loop: Header=BB281_185 Depth=1
	s_or_b64 exec, exec, s[16:17]
.LBB281_216:                            ;   in Loop: Header=BB281_185 Depth=1
	s_or_b64 exec, exec, s[0:1]
	v_lshrrev_b16_e32 v19, 8, v9
	v_cmp_ne_u16_e32 vcc, 0, v19
	s_and_saveexec_b64 s[0:1], vcc
	s_cbranch_execz .LBB281_222
; %bb.217:                              ;   in Loop: Header=BB281_185 Depth=1
	v_cmp_ne_u16_e32 vcc, s28, v19
	v_bfrev_b32_e32 v30, 1
	s_and_saveexec_b64 s[16:17], vcc
	s_cbranch_execz .LBB281_221
; %bb.218:                              ;   in Loop: Header=BB281_185 Depth=1
	v_and_b32_e32 v36, 0x7f, v19
	v_cmp_ne_u32_e32 vcc, s29, v36
	v_mov_b32_e32 v30, 0x7f800001
	s_and_saveexec_b64 s[18:19], vcc
	s_cbranch_execz .LBB281_220
; %bb.219:                              ;   in Loop: Header=BB281_185 Depth=1
	v_and_b32_e32 v20, 7, v19
	v_ffbh_u32_e32 v37, v20
	v_min_u32_e32 v39, 32, v37
	v_subrev_u32_e32 v37, 28, v39
	v_lshlrev_b64 v[37:38], v37, v[19:20]
	v_lshrrev_b32_e32 v30, 3, v36
	v_sub_u32_e32 v19, 29, v39
	v_and_b32_e32 v37, 7, v37
	v_cmp_gt_u32_e32 vcc, 8, v36
	v_cndmask_b32_e32 v19, v30, v19, vcc
	v_cndmask_b32_e32 v20, v20, v37, vcc
	v_lshlrev_b32_e32 v9, 16, v9
	v_lshlrev_b32_e32 v20, 20, v20
	v_and_b32_e32 v9, 0x80000000, v9
	v_lshl_add_u32 v19, v19, 23, v29
	v_or3_b32 v30, v9, v19, v20
.LBB281_220:                            ;   in Loop: Header=BB281_185 Depth=1
	s_or_b64 exec, exec, s[18:19]
.LBB281_221:                            ;   in Loop: Header=BB281_185 Depth=1
	s_or_b64 exec, exec, s[16:17]
.LBB281_222:                            ;   in Loop: Header=BB281_185 Depth=1
	s_or_b64 exec, exec, s[0:1]
	v_lshrrev_b32_e32 v9, 16, v18
	v_cmp_ne_u16_sdwa s[16:17], v9, v10 src0_sel:BYTE_0 src1_sel:DWORD
	v_mov_b32_e32 v19, 0
	v_mov_b32_e32 v38, 0
	s_and_saveexec_b64 s[0:1], s[16:17]
	s_cbranch_execz .LBB281_228
; %bb.223:                              ;   in Loop: Header=BB281_185 Depth=1
	v_cmp_ne_u16_sdwa s[18:19], v9, s28 src0_sel:BYTE_0 src1_sel:DWORD
	v_bfrev_b32_e32 v38, 1
	s_and_saveexec_b64 s[16:17], s[18:19]
	s_cbranch_execz .LBB281_227
; %bb.224:                              ;   in Loop: Header=BB281_185 Depth=1
	v_bfe_u32 v36, v18, 16, 7
	v_cmp_ne_u32_e32 vcc, s29, v36
	v_mov_b32_e32 v38, 0x7f800001
	s_and_saveexec_b64 s[18:19], vcc
	s_cbranch_execz .LBB281_226
; %bb.225:                              ;   in Loop: Header=BB281_185 Depth=1
	v_and_b32_e32 v20, 7, v9
	v_ffbh_u32_e32 v37, v20
	v_min_u32_e32 v40, 32, v37
	v_subrev_u32_e32 v37, 28, v40
	v_lshlrev_b64 v[37:38], v37, v[9:10]
	v_lshrrev_b32_e32 v39, 3, v36
	v_sub_u32_e32 v38, 29, v40
	v_and_b32_e32 v37, 7, v37
	v_cmp_gt_u32_e32 vcc, 8, v36
	v_cndmask_b32_e32 v36, v39, v38, vcc
	v_cndmask_b32_e32 v20, v20, v37, vcc
	v_lshlrev_b32_e32 v9, 24, v9
	v_lshlrev_b32_e32 v20, 20, v20
	v_and_b32_e32 v9, 0x80000000, v9
	v_lshl_add_u32 v36, v36, 23, v29
	v_or3_b32 v38, v9, v36, v20
.LBB281_226:                            ;   in Loop: Header=BB281_185 Depth=1
	s_or_b64 exec, exec, s[18:19]
.LBB281_227:                            ;   in Loop: Header=BB281_185 Depth=1
	s_or_b64 exec, exec, s[16:17]
.LBB281_228:                            ;   in Loop: Header=BB281_185 Depth=1
	s_or_b64 exec, exec, s[0:1]
	v_cmp_lt_u64_e32 vcc, s[4:5], v[17:18]
	s_and_saveexec_b64 s[0:1], vcc
	s_cbranch_execz .LBB281_234
; %bb.229:                              ;   in Loop: Header=BB281_185 Depth=1
	v_lshrrev_b32_e32 v9, 24, v18
	v_cmp_ne_u32_e32 vcc, s28, v9
	v_bfrev_b32_e32 v19, 1
	s_and_saveexec_b64 s[16:17], vcc
	s_cbranch_execz .LBB281_233
; %bb.230:                              ;   in Loop: Header=BB281_185 Depth=1
	v_bfe_u32 v17, v18, 24, 7
	v_cmp_ne_u32_e32 vcc, s29, v17
	v_mov_b32_e32 v19, 0x7f800001
	s_and_saveexec_b64 s[18:19], vcc
	s_cbranch_execz .LBB281_232
; %bb.231:                              ;   in Loop: Header=BB281_185 Depth=1
	v_and_b32_e32 v20, 7, v9
	v_ffbh_u32_e32 v18, v20
	v_min_u32_e32 v37, 32, v18
	v_subrev_u32_e32 v18, 28, v37
	v_lshlrev_b64 v[18:19], v18, v[9:10]
	v_lshrrev_b32_e32 v36, 3, v17
	v_sub_u32_e32 v19, 29, v37
	v_and_b32_e32 v18, 7, v18
	v_cmp_gt_u32_e32 vcc, 8, v17
	v_cndmask_b32_e32 v17, v36, v19, vcc
	v_cndmask_b32_e32 v18, v20, v18, vcc
	v_lshlrev_b32_e32 v9, 24, v9
	v_lshlrev_b32_e32 v18, 20, v18
	v_and_b32_e32 v9, 0x80000000, v9
	v_lshl_add_u32 v17, v17, 23, v29
	v_or3_b32 v19, v9, v17, v18
.LBB281_232:                            ;   in Loop: Header=BB281_185 Depth=1
	s_or_b64 exec, exec, s[18:19]
.LBB281_233:                            ;   in Loop: Header=BB281_185 Depth=1
	s_or_b64 exec, exec, s[16:17]
.LBB281_234:                            ;   in Loop: Header=BB281_185 Depth=1
	s_or_b64 exec, exec, s[0:1]
	s_waitcnt lgkmcnt(0)
	v_mul_f32_e32 v9, s31, v30
	v_bfe_u32 v17, v9, 16, 1
	v_add3_u32 v17, v17, v9, s30
	v_or_b32_e32 v18, 0x400000, v9
	v_cmp_u_f32_e64 s[0:1], v9, v9
	v_cndmask_b32_e64 v9, v17, v18, s[0:1]
	v_lshrrev_b32_e32 v30, 16, v9
	v_mul_f32_e32 v9, s31, v31
	v_bfe_u32 v17, v9, 16, 1
	v_add3_u32 v17, v17, v9, s30
	v_or_b32_e32 v18, 0x400000, v9
	v_cmp_u_f32_e64 s[0:1], v9, v9
	v_cndmask_b32_e64 v9, v17, v18, s[0:1]
	v_lshrrev_b32_e32 v31, 16, v9
	;; [unrolled: 7-line block ×7, first 2 shown]
	v_mul_f32_e32 v9, s31, v19
	v_bfe_u32 v17, v9, 16, 1
	v_add3_u32 v17, v17, v9, s30
	v_or_b32_e32 v18, 0x400000, v9
	v_cmp_u_f32_e64 s[0:1], v9, v9
	v_cndmask_b32_e64 v9, v17, v18, s[0:1]
	v_cmp_eq_u32_e32 vcc, s35, v21
	v_lshrrev_b32_e32 v35, 16, v9
	v_add_u32_e32 v44, 1, v22
	v_add_u32_e32 v43, 2, v22
	;; [unrolled: 1-line block ×7, first 2 shown]
	s_and_saveexec_b64 s[16:17], vcc
	s_cbranch_execz .LBB281_236
; %bb.235:                              ;   in Loop: Header=BB281_185 Depth=1
	v_cmp_gt_i32_e64 s[0:1], s33, v22
	v_cndmask_b32_e64 v37, 0, v37, s[0:1]
	v_cmp_gt_i32_e64 s[0:1], s33, v44
	v_cndmask_b32_e64 v36, 0, v36, s[0:1]
	;; [unrolled: 2-line block ×8, first 2 shown]
.LBB281_236:                            ;   in Loop: Header=BB281_185 Depth=1
	s_or_b64 exec, exec, s[16:17]
	global_load_dwordx2 v[17:18], v[15:16], off offset:512
	v_mov_b32_e32 v48, 0
	v_mov_b32_e32 v45, 0
	s_waitcnt vmcnt(0)
	v_cmp_ne_u16_sdwa s[0:1], v17, v10 src0_sel:BYTE_0 src1_sel:DWORD
	s_and_saveexec_b64 s[16:17], s[0:1]
	s_cbranch_execz .LBB281_242
; %bb.237:                              ;   in Loop: Header=BB281_185 Depth=1
	v_cmp_ne_u16_sdwa s[0:1], v17, s28 src0_sel:BYTE_0 src1_sel:DWORD
	v_bfrev_b32_e32 v45, 1
	s_and_saveexec_b64 s[18:19], s[0:1]
	s_cbranch_execz .LBB281_241
; %bb.238:                              ;   in Loop: Header=BB281_185 Depth=1
	v_and_b32_e32 v9, 0x7f, v17
	v_cmp_ne_u32_e64 s[0:1], s29, v9
	v_mov_b32_e32 v45, 0x7f800001
	s_and_saveexec_b64 s[20:21], s[0:1]
	s_cbranch_execz .LBB281_240
; %bb.239:                              ;   in Loop: Header=BB281_185 Depth=1
	v_and_b32_e32 v19, 7, v17
	v_ffbh_u32_e32 v19, v19
	v_min_u32_e32 v19, 32, v19
	v_lshrrev_b32_e32 v20, 3, v9
	v_subrev_u32_e32 v45, 28, v19
	v_sub_u32_e32 v19, 29, v19
	v_cmp_gt_u32_e64 s[0:1], 8, v9
	v_cndmask_b32_e64 v9, v20, v19, s[0:1]
	v_cndmask_b32_e64 v19, 0, v45, s[0:1]
	v_lshlrev_b64 v[45:46], v19, v[17:18]
	v_lshlrev_b32_e32 v20, 24, v17
	v_lshlrev_b32_e32 v19, 20, v45
	v_and_b32_e32 v19, 0x700000, v19
	v_and_b32_e32 v20, 0x80000000, v20
	v_lshl_add_u32 v9, v9, 23, v29
	v_or3_b32 v45, v20, v9, v19
.LBB281_240:                            ;   in Loop: Header=BB281_185 Depth=1
	s_or_b64 exec, exec, s[20:21]
.LBB281_241:                            ;   in Loop: Header=BB281_185 Depth=1
	s_or_b64 exec, exec, s[18:19]
.LBB281_242:                            ;   in Loop: Header=BB281_185 Depth=1
	s_or_b64 exec, exec, s[16:17]
	v_lshrrev_b16_e32 v9, 8, v17
	v_cmp_ne_u16_e64 s[0:1], 0, v9
	s_and_saveexec_b64 s[16:17], s[0:1]
	s_cbranch_execz .LBB281_248
; %bb.243:                              ;   in Loop: Header=BB281_185 Depth=1
	v_cmp_ne_u16_e64 s[0:1], s28, v9
	v_bfrev_b32_e32 v48, 1
	s_and_saveexec_b64 s[18:19], s[0:1]
	s_cbranch_execz .LBB281_247
; %bb.244:                              ;   in Loop: Header=BB281_185 Depth=1
	v_and_b32_e32 v19, 0x7f, v9
	v_cmp_ne_u32_e64 s[0:1], s29, v19
	v_mov_b32_e32 v48, 0x7f800001
	s_and_saveexec_b64 s[20:21], s[0:1]
	s_cbranch_execz .LBB281_246
; %bb.245:                              ;   in Loop: Header=BB281_185 Depth=1
	v_and_b32_e32 v20, 7, v9
	v_ffbh_u32_e32 v46, v20
	v_min_u32_e32 v49, 32, v46
	v_subrev_u32_e32 v46, 28, v49
	v_lshlrev_b64 v[46:47], v46, v[9:10]
	v_lshrrev_b32_e32 v48, 3, v19
	v_sub_u32_e32 v9, 29, v49
	v_and_b32_e32 v46, 7, v46
	v_cmp_gt_u32_e64 s[0:1], 8, v19
	v_cndmask_b32_e64 v9, v48, v9, s[0:1]
	v_cndmask_b32_e64 v19, v20, v46, s[0:1]
	v_lshlrev_b32_e32 v20, 16, v17
	v_lshlrev_b32_e32 v19, 20, v19
	v_and_b32_e32 v20, 0x80000000, v20
	v_lshl_add_u32 v9, v9, 23, v29
	v_or3_b32 v48, v20, v9, v19
.LBB281_246:                            ;   in Loop: Header=BB281_185 Depth=1
	s_or_b64 exec, exec, s[20:21]
.LBB281_247:                            ;   in Loop: Header=BB281_185 Depth=1
	s_or_b64 exec, exec, s[18:19]
.LBB281_248:                            ;   in Loop: Header=BB281_185 Depth=1
	s_or_b64 exec, exec, s[16:17]
	v_lshrrev_b32_e32 v9, 16, v17
	v_cmp_ne_u16_sdwa s[0:1], v9, v10 src0_sel:BYTE_0 src1_sel:DWORD
	v_mov_b32_e32 v46, 0
	v_mov_b32_e32 v47, 0
	s_and_saveexec_b64 s[16:17], s[0:1]
	s_cbranch_execz .LBB281_254
; %bb.249:                              ;   in Loop: Header=BB281_185 Depth=1
	v_cmp_ne_u16_sdwa s[0:1], v9, s28 src0_sel:BYTE_0 src1_sel:DWORD
	v_bfrev_b32_e32 v47, 1
	s_and_saveexec_b64 s[18:19], s[0:1]
	s_cbranch_execz .LBB281_253
; %bb.250:                              ;   in Loop: Header=BB281_185 Depth=1
	v_bfe_u32 v19, v17, 16, 7
	v_cmp_ne_u32_e64 s[0:1], s29, v19
	v_mov_b32_e32 v47, 0x7f800001
	s_and_saveexec_b64 s[20:21], s[0:1]
	s_cbranch_execz .LBB281_252
; %bb.251:                              ;   in Loop: Header=BB281_185 Depth=1
	v_and_b32_e32 v20, 7, v9
	v_ffbh_u32_e32 v49, v20
	v_min_u32_e32 v51, 32, v49
	v_subrev_u32_e32 v49, 28, v51
	v_lshlrev_b64 v[49:50], v49, v[9:10]
	v_lshrrev_b32_e32 v47, 3, v19
	v_sub_u32_e32 v50, 29, v51
	v_and_b32_e32 v49, 7, v49
	v_cmp_gt_u32_e64 s[0:1], 8, v19
	v_cndmask_b32_e64 v19, v47, v50, s[0:1]
	v_cndmask_b32_e64 v20, v20, v49, s[0:1]
	v_lshlrev_b32_e32 v9, 24, v9
	v_lshlrev_b32_e32 v20, 20, v20
	v_and_b32_e32 v9, 0x80000000, v9
	v_lshl_add_u32 v19, v19, 23, v29
	v_or3_b32 v47, v9, v19, v20
.LBB281_252:                            ;   in Loop: Header=BB281_185 Depth=1
	s_or_b64 exec, exec, s[20:21]
.LBB281_253:                            ;   in Loop: Header=BB281_185 Depth=1
	s_or_b64 exec, exec, s[18:19]
.LBB281_254:                            ;   in Loop: Header=BB281_185 Depth=1
	s_or_b64 exec, exec, s[16:17]
	v_cmp_lt_u32_e64 s[0:1], s5, v17
	s_and_saveexec_b64 s[16:17], s[0:1]
	s_cbranch_execz .LBB281_260
; %bb.255:                              ;   in Loop: Header=BB281_185 Depth=1
	v_lshrrev_b32_e32 v9, 24, v17
	v_cmp_ne_u32_e64 s[0:1], s28, v9
	v_bfrev_b32_e32 v46, 1
	s_and_saveexec_b64 s[18:19], s[0:1]
	s_cbranch_execz .LBB281_259
; %bb.256:                              ;   in Loop: Header=BB281_185 Depth=1
	v_bfe_u32 v19, v17, 24, 7
	v_cmp_ne_u32_e64 s[0:1], s29, v19
	v_mov_b32_e32 v46, 0x7f800001
	s_and_saveexec_b64 s[20:21], s[0:1]
	s_cbranch_execz .LBB281_258
; %bb.257:                              ;   in Loop: Header=BB281_185 Depth=1
	v_and_b32_e32 v20, 7, v9
	v_ffbh_u32_e32 v49, v20
	v_min_u32_e32 v51, 32, v49
	v_subrev_u32_e32 v49, 28, v51
	v_lshlrev_b64 v[49:50], v49, v[9:10]
	v_lshrrev_b32_e32 v46, 3, v19
	v_sub_u32_e32 v50, 29, v51
	v_and_b32_e32 v49, 7, v49
	v_cmp_gt_u32_e64 s[0:1], 8, v19
	v_cndmask_b32_e64 v19, v46, v50, s[0:1]
	v_cndmask_b32_e64 v20, v20, v49, s[0:1]
	v_lshlrev_b32_e32 v9, 24, v9
	v_lshlrev_b32_e32 v20, 20, v20
	v_and_b32_e32 v9, 0x80000000, v9
	v_lshl_add_u32 v19, v19, 23, v29
	v_or3_b32 v46, v9, v19, v20
.LBB281_258:                            ;   in Loop: Header=BB281_185 Depth=1
	s_or_b64 exec, exec, s[20:21]
.LBB281_259:                            ;   in Loop: Header=BB281_185 Depth=1
	s_or_b64 exec, exec, s[18:19]
.LBB281_260:                            ;   in Loop: Header=BB281_185 Depth=1
	s_or_b64 exec, exec, s[16:17]
	v_mov_b32_e32 v9, v18
	v_cmp_ne_u16_sdwa s[0:1], v18, v10 src0_sel:BYTE_0 src1_sel:DWORD
	v_mov_b32_e32 v50, 0
	v_mov_b32_e32 v49, 0
	s_and_saveexec_b64 s[16:17], s[0:1]
	s_cbranch_execz .LBB281_266
; %bb.261:                              ;   in Loop: Header=BB281_185 Depth=1
	v_cmp_ne_u16_sdwa s[0:1], v18, s28 src0_sel:BYTE_0 src1_sel:DWORD
	v_bfrev_b32_e32 v49, 1
	s_and_saveexec_b64 s[18:19], s[0:1]
	s_cbranch_execz .LBB281_265
; %bb.262:                              ;   in Loop: Header=BB281_185 Depth=1
	v_and_b32_e32 v19, 0x7f, v18
	v_cmp_ne_u32_e64 s[0:1], s29, v19
	v_mov_b32_e32 v49, 0x7f800001
	s_and_saveexec_b64 s[20:21], s[0:1]
	s_cbranch_execz .LBB281_264
; %bb.263:                              ;   in Loop: Header=BB281_185 Depth=1
	v_and_b32_e32 v20, 7, v18
	v_ffbh_u32_e32 v20, v20
	v_min_u32_e32 v20, 32, v20
	v_lshrrev_b32_e32 v49, 3, v19
	v_subrev_u32_e32 v51, 28, v20
	v_sub_u32_e32 v20, 29, v20
	v_cmp_gt_u32_e64 s[0:1], 8, v19
	v_cndmask_b32_e64 v19, v49, v20, s[0:1]
	v_cndmask_b32_e64 v20, 0, v51, s[0:1]
	v_lshlrev_b64 v[51:52], v20, v[9:10]
	v_lshlrev_b32_e32 v49, 24, v9
	v_lshlrev_b32_e32 v20, 20, v51
	v_and_b32_e32 v20, 0x700000, v20
	v_and_b32_e32 v49, 0x80000000, v49
	v_lshl_add_u32 v19, v19, 23, v29
	v_or3_b32 v49, v49, v19, v20
.LBB281_264:                            ;   in Loop: Header=BB281_185 Depth=1
	s_or_b64 exec, exec, s[20:21]
.LBB281_265:                            ;   in Loop: Header=BB281_185 Depth=1
	s_or_b64 exec, exec, s[18:19]
.LBB281_266:                            ;   in Loop: Header=BB281_185 Depth=1
	s_or_b64 exec, exec, s[16:17]
	v_lshrrev_b16_e32 v19, 8, v9
	v_cmp_ne_u16_e64 s[0:1], 0, v19
	s_and_saveexec_b64 s[16:17], s[0:1]
	s_cbranch_execz .LBB281_272
; %bb.267:                              ;   in Loop: Header=BB281_185 Depth=1
	v_cmp_ne_u16_e64 s[0:1], s28, v19
	v_bfrev_b32_e32 v50, 1
	s_and_saveexec_b64 s[18:19], s[0:1]
	s_cbranch_execz .LBB281_271
; %bb.268:                              ;   in Loop: Header=BB281_185 Depth=1
	v_and_b32_e32 v51, 0x7f, v19
	v_cmp_ne_u32_e64 s[0:1], s29, v51
	v_mov_b32_e32 v50, 0x7f800001
	s_and_saveexec_b64 s[20:21], s[0:1]
	s_cbranch_execz .LBB281_270
; %bb.269:                              ;   in Loop: Header=BB281_185 Depth=1
	v_and_b32_e32 v20, 7, v19
	v_ffbh_u32_e32 v52, v20
	v_min_u32_e32 v54, 32, v52
	v_subrev_u32_e32 v52, 28, v54
	v_lshlrev_b64 v[52:53], v52, v[19:20]
	v_lshrrev_b32_e32 v50, 3, v51
	v_sub_u32_e32 v19, 29, v54
	v_and_b32_e32 v52, 7, v52
	v_cmp_gt_u32_e64 s[0:1], 8, v51
	v_cndmask_b32_e64 v19, v50, v19, s[0:1]
	v_cndmask_b32_e64 v20, v20, v52, s[0:1]
	v_lshlrev_b32_e32 v9, 16, v9
	v_lshlrev_b32_e32 v20, 20, v20
	v_and_b32_e32 v9, 0x80000000, v9
	v_lshl_add_u32 v19, v19, 23, v29
	v_or3_b32 v50, v9, v19, v20
.LBB281_270:                            ;   in Loop: Header=BB281_185 Depth=1
	s_or_b64 exec, exec, s[20:21]
.LBB281_271:                            ;   in Loop: Header=BB281_185 Depth=1
	s_or_b64 exec, exec, s[18:19]
.LBB281_272:                            ;   in Loop: Header=BB281_185 Depth=1
	s_or_b64 exec, exec, s[16:17]
	v_lshrrev_b32_e32 v9, 16, v18
	v_cmp_ne_u16_sdwa s[0:1], v9, v10 src0_sel:BYTE_0 src1_sel:DWORD
	v_mov_b32_e32 v51, 0
	v_mov_b32_e32 v52, 0
	s_and_saveexec_b64 s[16:17], s[0:1]
	s_cbranch_execz .LBB281_278
; %bb.273:                              ;   in Loop: Header=BB281_185 Depth=1
	v_cmp_ne_u16_sdwa s[0:1], v9, s28 src0_sel:BYTE_0 src1_sel:DWORD
	v_bfrev_b32_e32 v52, 1
	s_and_saveexec_b64 s[18:19], s[0:1]
	s_cbranch_execz .LBB281_277
; %bb.274:                              ;   in Loop: Header=BB281_185 Depth=1
	v_bfe_u32 v19, v18, 16, 7
	v_cmp_ne_u32_e64 s[0:1], s29, v19
	v_mov_b32_e32 v52, 0x7f800001
	s_and_saveexec_b64 s[20:21], s[0:1]
	s_cbranch_execz .LBB281_276
; %bb.275:                              ;   in Loop: Header=BB281_185 Depth=1
	v_and_b32_e32 v20, 7, v9
	v_ffbh_u32_e32 v52, v20
	v_min_u32_e32 v55, 32, v52
	v_subrev_u32_e32 v52, 28, v55
	v_lshlrev_b64 v[52:53], v52, v[9:10]
	v_lshrrev_b32_e32 v54, 3, v19
	v_sub_u32_e32 v53, 29, v55
	v_and_b32_e32 v52, 7, v52
	v_cmp_gt_u32_e64 s[0:1], 8, v19
	v_cndmask_b32_e64 v19, v54, v53, s[0:1]
	v_cndmask_b32_e64 v20, v20, v52, s[0:1]
	v_lshlrev_b32_e32 v9, 24, v9
	v_lshlrev_b32_e32 v20, 20, v20
	v_and_b32_e32 v9, 0x80000000, v9
	v_lshl_add_u32 v19, v19, 23, v29
	v_or3_b32 v52, v9, v19, v20
.LBB281_276:                            ;   in Loop: Header=BB281_185 Depth=1
	s_or_b64 exec, exec, s[20:21]
.LBB281_277:                            ;   in Loop: Header=BB281_185 Depth=1
	s_or_b64 exec, exec, s[18:19]
.LBB281_278:                            ;   in Loop: Header=BB281_185 Depth=1
	s_or_b64 exec, exec, s[16:17]
	v_cmp_lt_u64_e64 s[0:1], s[4:5], v[17:18]
	s_and_saveexec_b64 s[16:17], s[0:1]
	s_cbranch_execz .LBB281_284
; %bb.279:                              ;   in Loop: Header=BB281_185 Depth=1
	v_lshrrev_b32_e32 v9, 24, v18
	v_cmp_ne_u32_e64 s[0:1], s28, v9
	v_bfrev_b32_e32 v51, 1
	s_and_saveexec_b64 s[18:19], s[0:1]
	s_cbranch_execz .LBB281_283
; %bb.280:                              ;   in Loop: Header=BB281_185 Depth=1
	v_bfe_u32 v17, v18, 24, 7
	v_cmp_ne_u32_e64 s[0:1], s29, v17
	v_mov_b32_e32 v51, 0x7f800001
	s_and_saveexec_b64 s[20:21], s[0:1]
	s_cbranch_execz .LBB281_282
; %bb.281:                              ;   in Loop: Header=BB281_185 Depth=1
	v_and_b32_e32 v20, 7, v9
	v_ffbh_u32_e32 v18, v20
	v_min_u32_e32 v53, 32, v18
	v_subrev_u32_e32 v18, 28, v53
	v_lshlrev_b64 v[18:19], v18, v[9:10]
	v_lshrrev_b32_e32 v51, 3, v17
	v_sub_u32_e32 v19, 29, v53
	v_and_b32_e32 v18, 7, v18
	v_cmp_gt_u32_e64 s[0:1], 8, v17
	v_cndmask_b32_e64 v17, v51, v19, s[0:1]
	v_cndmask_b32_e64 v18, v20, v18, s[0:1]
	v_lshlrev_b32_e32 v9, 24, v9
	v_lshlrev_b32_e32 v18, 20, v18
	v_and_b32_e32 v9, 0x80000000, v9
	v_lshl_add_u32 v17, v17, 23, v29
	v_or3_b32 v51, v9, v17, v18
.LBB281_282:                            ;   in Loop: Header=BB281_185 Depth=1
	s_or_b64 exec, exec, s[20:21]
.LBB281_283:                            ;   in Loop: Header=BB281_185 Depth=1
	s_or_b64 exec, exec, s[18:19]
.LBB281_284:                            ;   in Loop: Header=BB281_185 Depth=1
	s_or_b64 exec, exec, s[16:17]
	v_mul_f32_e32 v9, s31, v50
	v_bfe_u32 v17, v9, 16, 1
	v_add3_u32 v17, v17, v9, s30
	v_or_b32_e32 v18, 0x400000, v9
	v_cmp_u_f32_e64 s[0:1], v9, v9
	v_cndmask_b32_e64 v9, v17, v18, s[0:1]
	v_lshrrev_b32_e32 v18, 16, v9
	v_mul_f32_e32 v9, s31, v49
	v_bfe_u32 v17, v9, 16, 1
	v_add3_u32 v17, v17, v9, s30
	v_or_b32_e32 v19, 0x400000, v9
	v_cmp_u_f32_e64 s[0:1], v9, v9
	v_cndmask_b32_e64 v9, v17, v19, s[0:1]
	v_lshrrev_b32_e32 v19, 16, v9
	;; [unrolled: 7-line block ×8, first 2 shown]
	s_and_saveexec_b64 s[16:17], vcc
	s_cbranch_execz .LBB281_286
; %bb.285:                              ;   in Loop: Header=BB281_185 Depth=1
	v_cmp_gt_i32_e64 s[0:1], s33, v22
	v_cndmask_b32_e64 v50, 0, v50, s[0:1]
	v_cmp_gt_i32_e64 s[0:1], s33, v44
	v_cndmask_b32_e64 v49, 0, v49, s[0:1]
	;; [unrolled: 2-line block ×8, first 2 shown]
.LBB281_286:                            ;   in Loop: Header=BB281_185 Depth=1
	s_or_b64 exec, exec, s[16:17]
	global_load_dwordx2 v[15:16], v[15:16], off offset:1024
	v_mov_b32_e32 v52, 0
	v_mov_b32_e32 v51, 0
	s_waitcnt vmcnt(0)
	v_cmp_ne_u16_sdwa s[0:1], v15, v10 src0_sel:BYTE_0 src1_sel:DWORD
	s_and_saveexec_b64 s[16:17], s[0:1]
	s_cbranch_execz .LBB281_292
; %bb.287:                              ;   in Loop: Header=BB281_185 Depth=1
	v_cmp_ne_u16_sdwa s[0:1], v15, s28 src0_sel:BYTE_0 src1_sel:DWORD
	v_bfrev_b32_e32 v51, 1
	s_and_saveexec_b64 s[18:19], s[0:1]
	s_cbranch_execz .LBB281_291
; %bb.288:                              ;   in Loop: Header=BB281_185 Depth=1
	v_and_b32_e32 v9, 0x7f, v15
	v_cmp_ne_u32_e64 s[0:1], s29, v9
	v_mov_b32_e32 v51, 0x7f800001
	s_and_saveexec_b64 s[20:21], s[0:1]
	s_cbranch_execz .LBB281_290
; %bb.289:                              ;   in Loop: Header=BB281_185 Depth=1
	v_and_b32_e32 v17, 7, v15
	v_ffbh_u32_e32 v17, v17
	v_min_u32_e32 v17, 32, v17
	v_lshrrev_b32_e32 v20, 3, v9
	v_subrev_u32_e32 v51, 28, v17
	v_sub_u32_e32 v17, 29, v17
	v_cmp_gt_u32_e64 s[0:1], 8, v9
	v_cndmask_b32_e64 v9, v20, v17, s[0:1]
	v_cndmask_b32_e64 v17, 0, v51, s[0:1]
	v_lshlrev_b64 v[53:54], v17, v[15:16]
	v_lshlrev_b32_e32 v20, 24, v15
	v_lshlrev_b32_e32 v17, 20, v53
	v_and_b32_e32 v17, 0x700000, v17
	v_and_b32_e32 v20, 0x80000000, v20
	v_lshl_add_u32 v9, v9, 23, v29
	v_or3_b32 v51, v20, v9, v17
.LBB281_290:                            ;   in Loop: Header=BB281_185 Depth=1
	s_or_b64 exec, exec, s[20:21]
.LBB281_291:                            ;   in Loop: Header=BB281_185 Depth=1
	s_or_b64 exec, exec, s[18:19]
.LBB281_292:                            ;   in Loop: Header=BB281_185 Depth=1
	s_or_b64 exec, exec, s[16:17]
	v_lshrrev_b16_e32 v9, 8, v15
	v_cmp_ne_u16_e64 s[0:1], 0, v9
	s_and_saveexec_b64 s[16:17], s[0:1]
	s_cbranch_execz .LBB281_298
; %bb.293:                              ;   in Loop: Header=BB281_185 Depth=1
	v_cmp_ne_u16_e64 s[0:1], s28, v9
	v_bfrev_b32_e32 v52, 1
	s_and_saveexec_b64 s[18:19], s[0:1]
	s_cbranch_execz .LBB281_297
; %bb.294:                              ;   in Loop: Header=BB281_185 Depth=1
	v_and_b32_e32 v17, 0x7f, v9
	v_cmp_ne_u32_e64 s[0:1], s29, v17
	v_mov_b32_e32 v52, 0x7f800001
	s_and_saveexec_b64 s[20:21], s[0:1]
	s_cbranch_execz .LBB281_296
; %bb.295:                              ;   in Loop: Header=BB281_185 Depth=1
	v_and_b32_e32 v20, 7, v9
	v_ffbh_u32_e32 v52, v20
	v_min_u32_e32 v55, 32, v52
	v_subrev_u32_e32 v52, 28, v55
	v_lshlrev_b64 v[52:53], v52, v[9:10]
	v_lshrrev_b32_e32 v54, 3, v17
	v_sub_u32_e32 v9, 29, v55
	v_and_b32_e32 v52, 7, v52
	v_cmp_gt_u32_e64 s[0:1], 8, v17
	v_cndmask_b32_e64 v9, v54, v9, s[0:1]
	v_cndmask_b32_e64 v17, v20, v52, s[0:1]
	v_lshlrev_b32_e32 v20, 16, v15
	v_lshlrev_b32_e32 v17, 20, v17
	v_and_b32_e32 v20, 0x80000000, v20
	v_lshl_add_u32 v9, v9, 23, v29
	v_or3_b32 v52, v20, v9, v17
.LBB281_296:                            ;   in Loop: Header=BB281_185 Depth=1
	s_or_b64 exec, exec, s[20:21]
.LBB281_297:                            ;   in Loop: Header=BB281_185 Depth=1
	s_or_b64 exec, exec, s[18:19]
.LBB281_298:                            ;   in Loop: Header=BB281_185 Depth=1
	s_or_b64 exec, exec, s[16:17]
	v_lshrrev_b32_e32 v9, 16, v15
	v_cmp_ne_u16_sdwa s[0:1], v9, v10 src0_sel:BYTE_0 src1_sel:DWORD
	v_mov_b32_e32 v54, 0
	v_mov_b32_e32 v53, 0
	s_and_saveexec_b64 s[16:17], s[0:1]
	s_cbranch_execz .LBB281_304
; %bb.299:                              ;   in Loop: Header=BB281_185 Depth=1
	v_cmp_ne_u16_sdwa s[0:1], v9, s28 src0_sel:BYTE_0 src1_sel:DWORD
	v_bfrev_b32_e32 v53, 1
	s_and_saveexec_b64 s[18:19], s[0:1]
	s_cbranch_execz .LBB281_303
; %bb.300:                              ;   in Loop: Header=BB281_185 Depth=1
	v_bfe_u32 v17, v15, 16, 7
	v_cmp_ne_u32_e64 s[0:1], s29, v17
	v_mov_b32_e32 v53, 0x7f800001
	s_and_saveexec_b64 s[20:21], s[0:1]
	s_cbranch_execz .LBB281_302
; %bb.301:                              ;   in Loop: Header=BB281_185 Depth=1
	v_and_b32_e32 v20, 7, v9
	v_ffbh_u32_e32 v55, v20
	v_min_u32_e32 v57, 32, v55
	v_subrev_u32_e32 v55, 28, v57
	v_lshlrev_b64 v[55:56], v55, v[9:10]
	v_lshrrev_b32_e32 v53, 3, v17
	v_sub_u32_e32 v56, 29, v57
	v_and_b32_e32 v55, 7, v55
	v_cmp_gt_u32_e64 s[0:1], 8, v17
	v_cndmask_b32_e64 v17, v53, v56, s[0:1]
	v_cndmask_b32_e64 v20, v20, v55, s[0:1]
	v_lshlrev_b32_e32 v9, 24, v9
	v_lshlrev_b32_e32 v20, 20, v20
	v_and_b32_e32 v9, 0x80000000, v9
	v_lshl_add_u32 v17, v17, 23, v29
	v_or3_b32 v53, v9, v17, v20
.LBB281_302:                            ;   in Loop: Header=BB281_185 Depth=1
	s_or_b64 exec, exec, s[20:21]
.LBB281_303:                            ;   in Loop: Header=BB281_185 Depth=1
	s_or_b64 exec, exec, s[18:19]
.LBB281_304:                            ;   in Loop: Header=BB281_185 Depth=1
	s_or_b64 exec, exec, s[16:17]
	v_cmp_lt_u32_e64 s[0:1], s5, v15
	s_and_saveexec_b64 s[16:17], s[0:1]
	s_cbranch_execz .LBB281_310
; %bb.305:                              ;   in Loop: Header=BB281_185 Depth=1
	v_lshrrev_b32_e32 v9, 24, v15
	v_cmp_ne_u32_e64 s[0:1], s28, v9
	v_bfrev_b32_e32 v54, 1
	s_and_saveexec_b64 s[18:19], s[0:1]
	s_cbranch_execz .LBB281_309
; %bb.306:                              ;   in Loop: Header=BB281_185 Depth=1
	v_bfe_u32 v17, v15, 24, 7
	v_cmp_ne_u32_e64 s[0:1], s29, v17
	v_mov_b32_e32 v54, 0x7f800001
	s_and_saveexec_b64 s[20:21], s[0:1]
	s_cbranch_execz .LBB281_308
; %bb.307:                              ;   in Loop: Header=BB281_185 Depth=1
	v_and_b32_e32 v20, 7, v9
	v_ffbh_u32_e32 v54, v20
	v_min_u32_e32 v57, 32, v54
	v_subrev_u32_e32 v54, 28, v57
	v_lshlrev_b64 v[54:55], v54, v[9:10]
	v_lshrrev_b32_e32 v56, 3, v17
	v_sub_u32_e32 v55, 29, v57
	v_and_b32_e32 v54, 7, v54
	v_cmp_gt_u32_e64 s[0:1], 8, v17
	v_cndmask_b32_e64 v17, v56, v55, s[0:1]
	v_cndmask_b32_e64 v20, v20, v54, s[0:1]
	v_lshlrev_b32_e32 v9, 24, v9
	v_lshlrev_b32_e32 v20, 20, v20
	v_and_b32_e32 v9, 0x80000000, v9
	v_lshl_add_u32 v17, v17, 23, v29
	v_or3_b32 v54, v9, v17, v20
.LBB281_308:                            ;   in Loop: Header=BB281_185 Depth=1
	s_or_b64 exec, exec, s[20:21]
.LBB281_309:                            ;   in Loop: Header=BB281_185 Depth=1
	s_or_b64 exec, exec, s[18:19]
.LBB281_310:                            ;   in Loop: Header=BB281_185 Depth=1
	s_or_b64 exec, exec, s[16:17]
	v_mov_b32_e32 v9, v16
	v_cmp_ne_u16_sdwa s[0:1], v16, v10 src0_sel:BYTE_0 src1_sel:DWORD
	v_mov_b32_e32 v56, 0
	v_mov_b32_e32 v55, 0
	s_and_saveexec_b64 s[16:17], s[0:1]
	s_cbranch_execz .LBB281_316
; %bb.311:                              ;   in Loop: Header=BB281_185 Depth=1
	v_cmp_ne_u16_sdwa s[0:1], v16, s28 src0_sel:BYTE_0 src1_sel:DWORD
	v_bfrev_b32_e32 v55, 1
	s_and_saveexec_b64 s[18:19], s[0:1]
	s_cbranch_execz .LBB281_315
; %bb.312:                              ;   in Loop: Header=BB281_185 Depth=1
	v_and_b32_e32 v17, 0x7f, v16
	v_cmp_ne_u32_e64 s[0:1], s29, v17
	v_mov_b32_e32 v55, 0x7f800001
	s_and_saveexec_b64 s[20:21], s[0:1]
	s_cbranch_execz .LBB281_314
; %bb.313:                              ;   in Loop: Header=BB281_185 Depth=1
	v_and_b32_e32 v20, 7, v16
	v_ffbh_u32_e32 v20, v20
	v_min_u32_e32 v20, 32, v20
	v_lshrrev_b32_e32 v55, 3, v17
	v_subrev_u32_e32 v57, 28, v20
	v_sub_u32_e32 v20, 29, v20
	v_cmp_gt_u32_e64 s[0:1], 8, v17
	v_cndmask_b32_e64 v17, v55, v20, s[0:1]
	v_cndmask_b32_e64 v20, 0, v57, s[0:1]
	v_lshlrev_b64 v[57:58], v20, v[9:10]
	v_lshlrev_b32_e32 v55, 24, v9
	v_lshlrev_b32_e32 v20, 20, v57
	v_and_b32_e32 v20, 0x700000, v20
	v_and_b32_e32 v55, 0x80000000, v55
	v_lshl_add_u32 v17, v17, 23, v29
	v_or3_b32 v55, v55, v17, v20
.LBB281_314:                            ;   in Loop: Header=BB281_185 Depth=1
	s_or_b64 exec, exec, s[20:21]
.LBB281_315:                            ;   in Loop: Header=BB281_185 Depth=1
	s_or_b64 exec, exec, s[18:19]
.LBB281_316:                            ;   in Loop: Header=BB281_185 Depth=1
	s_or_b64 exec, exec, s[16:17]
	v_lshrrev_b16_e32 v17, 8, v9
	v_cmp_ne_u16_e64 s[0:1], 0, v17
	s_and_saveexec_b64 s[16:17], s[0:1]
	s_cbranch_execz .LBB281_322
; %bb.317:                              ;   in Loop: Header=BB281_185 Depth=1
	v_cmp_ne_u16_e64 s[0:1], s28, v17
	v_bfrev_b32_e32 v56, 1
	s_and_saveexec_b64 s[18:19], s[0:1]
	s_cbranch_execz .LBB281_321
; %bb.318:                              ;   in Loop: Header=BB281_185 Depth=1
	v_and_b32_e32 v57, 0x7f, v17
	v_cmp_ne_u32_e64 s[0:1], s29, v57
	v_mov_b32_e32 v56, 0x7f800001
	s_and_saveexec_b64 s[20:21], s[0:1]
	s_cbranch_execz .LBB281_320
; %bb.319:                              ;   in Loop: Header=BB281_185 Depth=1
	v_and_b32_e32 v20, 7, v17
	v_ffbh_u32_e32 v58, v20
	v_min_u32_e32 v60, 32, v58
	v_subrev_u32_e32 v58, 28, v60
	v_lshlrev_b64 v[58:59], v58, v[17:18]
	v_lshrrev_b32_e32 v56, 3, v57
	v_sub_u32_e32 v17, 29, v60
	v_and_b32_e32 v58, 7, v58
	v_cmp_gt_u32_e64 s[0:1], 8, v57
	v_cndmask_b32_e64 v17, v56, v17, s[0:1]
	v_cndmask_b32_e64 v20, v20, v58, s[0:1]
	v_lshlrev_b32_e32 v9, 16, v9
	v_lshlrev_b32_e32 v20, 20, v20
	v_and_b32_e32 v9, 0x80000000, v9
	v_lshl_add_u32 v17, v17, 23, v29
	v_or3_b32 v56, v9, v17, v20
.LBB281_320:                            ;   in Loop: Header=BB281_185 Depth=1
	s_or_b64 exec, exec, s[20:21]
.LBB281_321:                            ;   in Loop: Header=BB281_185 Depth=1
	s_or_b64 exec, exec, s[18:19]
.LBB281_322:                            ;   in Loop: Header=BB281_185 Depth=1
	s_or_b64 exec, exec, s[16:17]
	v_lshrrev_b32_e32 v9, 16, v16
	v_cmp_ne_u16_sdwa s[0:1], v9, v10 src0_sel:BYTE_0 src1_sel:DWORD
	v_mov_b32_e32 v57, 0
	v_mov_b32_e32 v58, 0
	s_and_saveexec_b64 s[16:17], s[0:1]
	s_cbranch_execz .LBB281_328
; %bb.323:                              ;   in Loop: Header=BB281_185 Depth=1
	v_cmp_ne_u16_sdwa s[0:1], v9, s28 src0_sel:BYTE_0 src1_sel:DWORD
	v_bfrev_b32_e32 v58, 1
	s_and_saveexec_b64 s[18:19], s[0:1]
	s_cbranch_execz .LBB281_327
; %bb.324:                              ;   in Loop: Header=BB281_185 Depth=1
	v_bfe_u32 v17, v16, 16, 7
	v_cmp_ne_u32_e64 s[0:1], s29, v17
	v_mov_b32_e32 v58, 0x7f800001
	s_and_saveexec_b64 s[20:21], s[0:1]
	s_cbranch_execz .LBB281_326
; %bb.325:                              ;   in Loop: Header=BB281_185 Depth=1
	v_and_b32_e32 v20, 7, v9
	v_ffbh_u32_e32 v58, v20
	v_min_u32_e32 v61, 32, v58
	v_subrev_u32_e32 v58, 28, v61
	v_lshlrev_b64 v[58:59], v58, v[9:10]
	v_lshrrev_b32_e32 v60, 3, v17
	v_sub_u32_e32 v59, 29, v61
	v_and_b32_e32 v58, 7, v58
	v_cmp_gt_u32_e64 s[0:1], 8, v17
	v_cndmask_b32_e64 v17, v60, v59, s[0:1]
	v_cndmask_b32_e64 v20, v20, v58, s[0:1]
	v_lshlrev_b32_e32 v9, 24, v9
	v_lshlrev_b32_e32 v20, 20, v20
	v_and_b32_e32 v9, 0x80000000, v9
	v_lshl_add_u32 v17, v17, 23, v29
	v_or3_b32 v58, v9, v17, v20
.LBB281_326:                            ;   in Loop: Header=BB281_185 Depth=1
	s_or_b64 exec, exec, s[20:21]
.LBB281_327:                            ;   in Loop: Header=BB281_185 Depth=1
	s_or_b64 exec, exec, s[18:19]
.LBB281_328:                            ;   in Loop: Header=BB281_185 Depth=1
	s_or_b64 exec, exec, s[16:17]
	v_cmp_lt_u64_e64 s[0:1], s[4:5], v[15:16]
	s_and_saveexec_b64 s[16:17], s[0:1]
	s_cbranch_execz .LBB281_334
; %bb.329:                              ;   in Loop: Header=BB281_185 Depth=1
	v_lshrrev_b32_e32 v9, 24, v16
	v_cmp_ne_u32_e64 s[0:1], s28, v9
	v_bfrev_b32_e32 v57, 1
	s_and_saveexec_b64 s[18:19], s[0:1]
	s_cbranch_execz .LBB281_333
; %bb.330:                              ;   in Loop: Header=BB281_185 Depth=1
	v_bfe_u32 v15, v16, 24, 7
	v_cmp_ne_u32_e64 s[0:1], s29, v15
	v_mov_b32_e32 v57, 0x7f800001
	s_and_saveexec_b64 s[20:21], s[0:1]
	s_cbranch_execz .LBB281_332
; %bb.331:                              ;   in Loop: Header=BB281_185 Depth=1
	v_and_b32_e32 v20, 7, v9
	v_ffbh_u32_e32 v16, v20
	v_min_u32_e32 v59, 32, v16
	v_subrev_u32_e32 v16, 28, v59
	v_lshlrev_b64 v[16:17], v16, v[9:10]
	v_lshrrev_b32_e32 v57, 3, v15
	v_sub_u32_e32 v17, 29, v59
	v_and_b32_e32 v16, 7, v16
	v_cmp_gt_u32_e64 s[0:1], 8, v15
	v_cndmask_b32_e64 v15, v57, v17, s[0:1]
	v_cndmask_b32_e64 v16, v20, v16, s[0:1]
	v_lshlrev_b32_e32 v9, 24, v9
	v_lshlrev_b32_e32 v16, 20, v16
	v_and_b32_e32 v9, 0x80000000, v9
	v_lshl_add_u32 v15, v15, 23, v29
	v_or3_b32 v57, v9, v15, v16
.LBB281_332:                            ;   in Loop: Header=BB281_185 Depth=1
	s_or_b64 exec, exec, s[20:21]
.LBB281_333:                            ;   in Loop: Header=BB281_185 Depth=1
	s_or_b64 exec, exec, s[18:19]
.LBB281_334:                            ;   in Loop: Header=BB281_185 Depth=1
	s_or_b64 exec, exec, s[16:17]
	v_mul_f32_e32 v9, s31, v56
	v_bfe_u32 v15, v9, 16, 1
	v_add3_u32 v15, v15, v9, s30
	v_or_b32_e32 v16, 0x400000, v9
	v_cmp_u_f32_e64 s[0:1], v9, v9
	v_cndmask_b32_e64 v9, v15, v16, s[0:1]
	v_mul_f32_e32 v15, s31, v55
	v_bfe_u32 v16, v15, 16, 1
	v_add3_u32 v16, v16, v15, s30
	v_or_b32_e32 v17, 0x400000, v15
	v_cmp_u_f32_e64 s[0:1], v15, v15
	v_cndmask_b32_e64 v15, v16, v17, s[0:1]
	;; [unrolled: 6-line block ×3, first 2 shown]
	v_lshrrev_b32_e32 v17, 16, v16
	v_mul_f32_e32 v16, s31, v53
	v_bfe_u32 v20, v16, 16, 1
	v_add3_u32 v20, v20, v16, s30
	v_or_b32_e32 v53, 0x400000, v16
	v_cmp_u_f32_e64 s[0:1], v16, v16
	v_cndmask_b32_e64 v16, v20, v53, s[0:1]
	v_lshrrev_b32_e32 v53, 16, v16
	v_mul_f32_e32 v16, s31, v52
	v_bfe_u32 v20, v16, 16, 1
	v_add3_u32 v20, v20, v16, s30
	v_or_b32_e32 v52, 0x400000, v16
	v_cmp_u_f32_e64 s[0:1], v16, v16
	v_cndmask_b32_e64 v16, v20, v52, s[0:1]
	;; [unrolled: 7-line block ×4, first 2 shown]
	v_mul_f32_e32 v20, s31, v57
	v_bfe_u32 v51, v20, 16, 1
	v_add3_u32 v51, v51, v20, s30
	v_or_b32_e32 v55, 0x400000, v20
	v_cmp_u_f32_e64 s[0:1], v20, v20
	v_cndmask_b32_e64 v20, v51, v55, s[0:1]
	v_lshrrev_b32_e32 v9, 16, v9
	v_lshrrev_b32_e32 v15, 16, v15
	;; [unrolled: 1-line block ×4, first 2 shown]
	s_and_saveexec_b64 s[0:1], vcc
	s_cbranch_execz .LBB281_183
; %bb.335:                              ;   in Loop: Header=BB281_185 Depth=1
	v_cmp_gt_i32_e32 vcc, s33, v22
	v_cndmask_b32_e32 v54, 0, v54, vcc
	v_cmp_gt_i32_e32 vcc, s33, v44
	v_cndmask_b32_e32 v52, 0, v52, vcc
	;; [unrolled: 2-line block ×8, first 2 shown]
	s_branch .LBB281_183
.LBB281_336:
	s_or_b64 exec, exec, s[6:7]
.LBB281_337:
	s_or_b64 exec, exec, s[2:3]
	v_and_b32_e32 v1, 0x3c0, v0
	v_cmp_eq_u32_e32 vcc, 64, v1
	s_barrier
	s_and_saveexec_b64 s[0:1], vcc
	s_cbranch_execz .LBB281_339
; %bb.338:
	v_mov_b32_e32 v1, 0x190
	v_lshl_add_u32 v1, v23, 2, v1
	ds_write2st64_b32 v1, v27, v26 offset1:1
	ds_write_b32 v1, v25 offset:512
.LBB281_339:
	s_or_b64 exec, exec, s[0:1]
	v_cmp_gt_u32_e32 vcc, 64, v0
	s_waitcnt lgkmcnt(0)
	s_barrier
	s_and_saveexec_b64 s[0:1], vcc
	s_cbranch_execz .LBB281_341
; %bb.340:
	v_mov_b32_e32 v1, 0x190
	v_lshl_add_u32 v2, v0, 2, v1
	ds_read2st64_b32 v[0:1], v2 offset1:1
	ds_read_b32 v2, v2 offset:512
	s_waitcnt lgkmcnt(1)
	v_add_f32_e32 v27, v27, v0
	v_add_f32_e32 v26, v26, v1
	s_waitcnt lgkmcnt(0)
	v_add_f32_e32 v25, v25, v2
.LBB281_341:
	s_or_b64 exec, exec, s[0:1]
	s_barrier
	s_and_saveexec_b64 s[0:1], vcc
	s_cbranch_execz .LBB281_343
; %bb.342:
	buffer_load_dword v2, off, s[56:59], 0 offset:12 ; 4-byte Folded Reload
	s_mul_i32 s0, s10, s11
	s_mul_i32 s0, s0, s9
	s_mulk_i32 s0, 0xc0
	s_ashr_i32 s1, s0, 31
	s_lshl_b64 s[0:1], s[0:1], 1
	s_add_u32 s2, s26, s0
	s_mul_i32 s0, s11, s24
	s_addc_u32 s3, s27, s1
	s_ashr_i32 s1, s0, 31
	s_lshl_b64 s[0:1], s[0:1], 1
	s_add_u32 s2, s2, s0
	s_mul_i32 s0, s8, 0xc0
	s_addc_u32 s3, s3, s1
	s_ashr_i32 s1, s0, 31
	s_lshl_b64 s[0:1], s[0:1], 1
	s_add_u32 s0, s2, s0
	v_bfe_u32 v0, v27, 16, 1
	s_movk_i32 s2, 0x7fff
	v_add3_u32 v0, v0, v27, s2
	v_or_b32_e32 v1, 0x400000, v27
	v_cmp_u_f32_e32 vcc, v27, v27
	s_addc_u32 s1, s3, s1
	v_cndmask_b32_e32 v0, v0, v1, vcc
	v_or_b32_e32 v1, 0x400000, v26
	v_cmp_u_f32_e32 vcc, v26, v26
	s_waitcnt vmcnt(0)
	global_store_short_d16_hi v2, v0, s[0:1]
	v_bfe_u32 v0, v26, 16, 1
	v_add3_u32 v0, v0, v26, s2
	v_cndmask_b32_e32 v0, v0, v1, vcc
	global_store_short_d16_hi v2, v0, s[0:1] offset:128
	v_bfe_u32 v0, v25, 16, 1
	v_add3_u32 v0, v0, v25, s2
	v_or_b32_e32 v1, 0x400000, v25
	v_cmp_u_f32_e32 vcc, v25, v25
	v_cndmask_b32_e32 v0, v0, v1, vcc
	global_store_short_d16_hi v2, v0, s[0:1] offset:256
.LBB281_343:
	s_endpgm
	.section	.rodata,"a",@progbits
	.p2align	6, 0x0
	.amdhsa_kernel _ZN4vllm25paged_attention_v1_kernelI14__hip_bfloat16hLi192ELi8ELi128ELNS_18Fp8KVCacheDataTypeE1ELb1EEEvPT_PKS3_PKT0_S9_ifPKiSB_iPKfiiiSD_SD_iiiii
		.amdhsa_group_segment_fixed_size 400
		.amdhsa_private_segment_fixed_size 20
		.amdhsa_kernarg_size 384
		.amdhsa_user_sgpr_count 6
		.amdhsa_user_sgpr_private_segment_buffer 1
		.amdhsa_user_sgpr_dispatch_ptr 0
		.amdhsa_user_sgpr_queue_ptr 0
		.amdhsa_user_sgpr_kernarg_segment_ptr 1
		.amdhsa_user_sgpr_dispatch_id 0
		.amdhsa_user_sgpr_flat_scratch_init 0
		.amdhsa_user_sgpr_private_segment_size 0
		.amdhsa_uses_dynamic_stack 0
		.amdhsa_system_sgpr_private_segment_wavefront_offset 1
		.amdhsa_system_sgpr_workgroup_id_x 1
		.amdhsa_system_sgpr_workgroup_id_y 1
		.amdhsa_system_sgpr_workgroup_id_z 1
		.amdhsa_system_sgpr_workgroup_info 0
		.amdhsa_system_vgpr_workitem_id 0
		.amdhsa_next_free_vgpr 64
		.amdhsa_next_free_sgpr 60
		.amdhsa_reserve_vcc 1
		.amdhsa_reserve_flat_scratch 0
		.amdhsa_float_round_mode_32 0
		.amdhsa_float_round_mode_16_64 0
		.amdhsa_float_denorm_mode_32 3
		.amdhsa_float_denorm_mode_16_64 3
		.amdhsa_dx10_clamp 1
		.amdhsa_ieee_mode 1
		.amdhsa_fp16_overflow 0
		.amdhsa_exception_fp_ieee_invalid_op 0
		.amdhsa_exception_fp_denorm_src 0
		.amdhsa_exception_fp_ieee_div_zero 0
		.amdhsa_exception_fp_ieee_overflow 0
		.amdhsa_exception_fp_ieee_underflow 0
		.amdhsa_exception_fp_ieee_inexact 0
		.amdhsa_exception_int_div_zero 0
	.end_amdhsa_kernel
	.section	.text._ZN4vllm25paged_attention_v1_kernelI14__hip_bfloat16hLi192ELi8ELi128ELNS_18Fp8KVCacheDataTypeE1ELb1EEEvPT_PKS3_PKT0_S9_ifPKiSB_iPKfiiiSD_SD_iiiii,"axG",@progbits,_ZN4vllm25paged_attention_v1_kernelI14__hip_bfloat16hLi192ELi8ELi128ELNS_18Fp8KVCacheDataTypeE1ELb1EEEvPT_PKS3_PKT0_S9_ifPKiSB_iPKfiiiSD_SD_iiiii,comdat
.Lfunc_end281:
	.size	_ZN4vllm25paged_attention_v1_kernelI14__hip_bfloat16hLi192ELi8ELi128ELNS_18Fp8KVCacheDataTypeE1ELb1EEEvPT_PKS3_PKT0_S9_ifPKiSB_iPKfiiiSD_SD_iiiii, .Lfunc_end281-_ZN4vllm25paged_attention_v1_kernelI14__hip_bfloat16hLi192ELi8ELi128ELNS_18Fp8KVCacheDataTypeE1ELb1EEEvPT_PKS3_PKT0_S9_ifPKiSB_iPKfiiiSD_SD_iiiii
                                        ; -- End function
	.set _ZN4vllm25paged_attention_v1_kernelI14__hip_bfloat16hLi192ELi8ELi128ELNS_18Fp8KVCacheDataTypeE1ELb1EEEvPT_PKS3_PKT0_S9_ifPKiSB_iPKfiiiSD_SD_iiiii.num_vgpr, 64
	.set _ZN4vllm25paged_attention_v1_kernelI14__hip_bfloat16hLi192ELi8ELi128ELNS_18Fp8KVCacheDataTypeE1ELb1EEEvPT_PKS3_PKT0_S9_ifPKiSB_iPKfiiiSD_SD_iiiii.num_agpr, 0
	.set _ZN4vllm25paged_attention_v1_kernelI14__hip_bfloat16hLi192ELi8ELi128ELNS_18Fp8KVCacheDataTypeE1ELb1EEEvPT_PKS3_PKT0_S9_ifPKiSB_iPKfiiiSD_SD_iiiii.numbered_sgpr, 60
	.set _ZN4vllm25paged_attention_v1_kernelI14__hip_bfloat16hLi192ELi8ELi128ELNS_18Fp8KVCacheDataTypeE1ELb1EEEvPT_PKS3_PKT0_S9_ifPKiSB_iPKfiiiSD_SD_iiiii.num_named_barrier, 0
	.set _ZN4vllm25paged_attention_v1_kernelI14__hip_bfloat16hLi192ELi8ELi128ELNS_18Fp8KVCacheDataTypeE1ELb1EEEvPT_PKS3_PKT0_S9_ifPKiSB_iPKfiiiSD_SD_iiiii.private_seg_size, 20
	.set _ZN4vllm25paged_attention_v1_kernelI14__hip_bfloat16hLi192ELi8ELi128ELNS_18Fp8KVCacheDataTypeE1ELb1EEEvPT_PKS3_PKT0_S9_ifPKiSB_iPKfiiiSD_SD_iiiii.uses_vcc, 1
	.set _ZN4vllm25paged_attention_v1_kernelI14__hip_bfloat16hLi192ELi8ELi128ELNS_18Fp8KVCacheDataTypeE1ELb1EEEvPT_PKS3_PKT0_S9_ifPKiSB_iPKfiiiSD_SD_iiiii.uses_flat_scratch, 0
	.set _ZN4vllm25paged_attention_v1_kernelI14__hip_bfloat16hLi192ELi8ELi128ELNS_18Fp8KVCacheDataTypeE1ELb1EEEvPT_PKS3_PKT0_S9_ifPKiSB_iPKfiiiSD_SD_iiiii.has_dyn_sized_stack, 0
	.set _ZN4vllm25paged_attention_v1_kernelI14__hip_bfloat16hLi192ELi8ELi128ELNS_18Fp8KVCacheDataTypeE1ELb1EEEvPT_PKS3_PKT0_S9_ifPKiSB_iPKfiiiSD_SD_iiiii.has_recursion, 0
	.set _ZN4vllm25paged_attention_v1_kernelI14__hip_bfloat16hLi192ELi8ELi128ELNS_18Fp8KVCacheDataTypeE1ELb1EEEvPT_PKS3_PKT0_S9_ifPKiSB_iPKfiiiSD_SD_iiiii.has_indirect_call, 0
	.section	.AMDGPU.csdata,"",@progbits
; Kernel info:
; codeLenInByte = 16896
; TotalNumSgprs: 64
; NumVgprs: 64
; ScratchSize: 20
; MemoryBound: 0
; FloatMode: 240
; IeeeMode: 1
; LDSByteSize: 400 bytes/workgroup (compile time only)
; SGPRBlocks: 7
; VGPRBlocks: 15
; NumSGPRsForWavesPerEU: 64
; NumVGPRsForWavesPerEU: 64
; Occupancy: 4
; WaveLimiterHint : 1
; COMPUTE_PGM_RSRC2:SCRATCH_EN: 1
; COMPUTE_PGM_RSRC2:USER_SGPR: 6
; COMPUTE_PGM_RSRC2:TRAP_HANDLER: 0
; COMPUTE_PGM_RSRC2:TGID_X_EN: 1
; COMPUTE_PGM_RSRC2:TGID_Y_EN: 1
; COMPUTE_PGM_RSRC2:TGID_Z_EN: 1
; COMPUTE_PGM_RSRC2:TIDIG_COMP_CNT: 0
	.section	.text._ZN4vllm25paged_attention_v1_kernelI14__hip_bfloat16hLi256ELi8ELi128ELNS_18Fp8KVCacheDataTypeE1ELb1EEEvPT_PKS3_PKT0_S9_ifPKiSB_iPKfiiiSD_SD_iiiii,"axG",@progbits,_ZN4vllm25paged_attention_v1_kernelI14__hip_bfloat16hLi256ELi8ELi128ELNS_18Fp8KVCacheDataTypeE1ELb1EEEvPT_PKS3_PKT0_S9_ifPKiSB_iPKfiiiSD_SD_iiiii,comdat
	.protected	_ZN4vllm25paged_attention_v1_kernelI14__hip_bfloat16hLi256ELi8ELi128ELNS_18Fp8KVCacheDataTypeE1ELb1EEEvPT_PKS3_PKT0_S9_ifPKiSB_iPKfiiiSD_SD_iiiii ; -- Begin function _ZN4vllm25paged_attention_v1_kernelI14__hip_bfloat16hLi256ELi8ELi128ELNS_18Fp8KVCacheDataTypeE1ELb1EEEvPT_PKS3_PKT0_S9_ifPKiSB_iPKfiiiSD_SD_iiiii
	.globl	_ZN4vllm25paged_attention_v1_kernelI14__hip_bfloat16hLi256ELi8ELi128ELNS_18Fp8KVCacheDataTypeE1ELb1EEEvPT_PKS3_PKT0_S9_ifPKiSB_iPKfiiiSD_SD_iiiii
	.p2align	8
	.type	_ZN4vllm25paged_attention_v1_kernelI14__hip_bfloat16hLi256ELi8ELi128ELNS_18Fp8KVCacheDataTypeE1ELb1EEEvPT_PKS3_PKT0_S9_ifPKiSB_iPKfiiiSD_SD_iiiii,@function
_ZN4vllm25paged_attention_v1_kernelI14__hip_bfloat16hLi256ELi8ELi128ELNS_18Fp8KVCacheDataTypeE1ELb1EEEvPT_PKS3_PKT0_S9_ifPKiSB_iPKfiiiSD_SD_iiiii: ; @_ZN4vllm25paged_attention_v1_kernelI14__hip_bfloat16hLi256ELi8ELi128ELNS_18Fp8KVCacheDataTypeE1ELb1EEEvPT_PKS3_PKT0_S9_ifPKiSB_iPKfiiiSD_SD_iiiii
; %bb.0:
	s_mov_b64 s[58:59], s[2:3]
	s_mov_b64 s[56:57], s[0:1]
	s_add_u32 s56, s56, s9
	s_load_dword s9, s[4:5], 0x80
	s_load_dwordx2 s[0:1], s[4:5], 0x30
	s_load_dwordx2 s[36:37], s[4:5], 0x20
	s_addc_u32 s57, s57, 0
	s_mov_b32 s10, s7
	s_ashr_i32 s11, s7, 31
	s_lshl_b64 s[2:3], s[10:11], 2
	s_waitcnt lgkmcnt(0)
	s_add_u32 s0, s0, s2
	s_addc_u32 s1, s1, s3
	s_abs_i32 s2, s36
	v_cvt_f32_u32_e32 v1, s2
	s_sub_i32 s11, 0, s2
	s_abs_i32 s7, s9
	s_xor_b32 s3, s9, s36
	v_rcp_iflag_f32_e32 v1, v1
	s_ashr_i32 s3, s3, 31
	s_mov_b32 s48, 0
	v_mul_f32_e32 v1, 0x4f7ffffe, v1
	v_cvt_u32_f32_e32 v1, v1
	v_readfirstlane_b32 s12, v1
	s_mul_i32 s11, s11, s12
	s_mul_hi_u32 s11, s12, s11
	s_add_i32 s12, s12, s11
	s_mul_hi_u32 s11, s7, s12
	s_mul_i32 s12, s11, s2
	s_sub_i32 s7, s7, s12
	s_add_i32 s12, s11, 1
	s_sub_i32 s13, s7, s2
	s_cmp_ge_u32 s7, s2
	s_cselect_b32 s11, s12, s11
	s_cselect_b32 s7, s13, s7
	s_add_i32 s12, s11, 1
	s_cmp_ge_u32 s7, s2
	s_cselect_b32 s2, s12, s11
	s_xor_b32 s2, s2, s3
	s_sub_i32 s11, s2, s3
	s_abs_i32 s12, s11
	v_cvt_f32_u32_e32 v1, s12
	s_load_dwordx2 s[2:3], s[4:5], 0x40
	s_sub_i32 s7, 0, s12
	s_abs_i32 s13, s6
	v_rcp_iflag_f32_e32 v1, v1
	v_mul_f32_e32 v1, 0x4f7ffffe, v1
	v_cvt_u32_f32_e32 v1, v1
	v_readfirstlane_b32 s14, v1
	s_mul_i32 s7, s7, s14
	s_mul_hi_u32 s7, s14, s7
	s_add_i32 s14, s14, s7
	s_waitcnt lgkmcnt(0)
	s_cmp_eq_u64 s[2:3], 0
	s_mul_hi_u32 s14, s13, s14
	s_cbranch_scc1 .LBB282_2
; %bb.1:
	s_ashr_i32 s7, s6, 31
	s_lshl_b64 s[16:17], s[6:7], 2
	s_add_u32 s2, s2, s16
	s_addc_u32 s3, s3, s17
	s_load_dword s48, s[2:3], 0x0
.LBB282_2:
	s_load_dword s33, s[0:1], 0x0
	s_ashr_i32 s15, s11, 31
	s_load_dword s11, s[4:5], 0x88
	s_load_dwordx4 s[16:19], s[4:5], 0x48
	s_movk_i32 s0, 0x100
	s_ashr_i32 s7, s6, 31
	v_and_b32_e32 v5, 7, v0
	s_lshl_b32 s24, s6, 8
	v_cmp_gt_u32_e32 vcc, s0, v0
	v_lshlrev_b32_e32 v1, 1, v0
	buffer_store_dword v1, off, s[56:59], 0 offset:84 ; 4-byte Folded Spill
	s_and_saveexec_b64 s[0:1], vcc
	s_cbranch_execz .LBB282_5
; %bb.3:
	s_load_dwordx2 s[2:3], s[4:5], 0x8
	s_waitcnt lgkmcnt(0)
	s_mul_i32 s20, s16, s10
	s_ashr_i32 s21, s20, 31
	s_lshl_b64 s[20:21], s[20:21], 1
	v_lshlrev_b32_e32 v1, 1, v0
	s_add_u32 s16, s2, s20
	s_addc_u32 s19, s3, s21
	s_ashr_i32 s25, s24, 31
	s_lshl_b64 s[2:3], s[24:25], 1
	s_add_u32 s2, s16, s2
	s_addc_u32 s3, s19, s3
	global_load_ushort v3, v1, s[2:3]
	v_lshrrev_b32_e32 v2, 3, v0
	s_movk_i32 s16, 0x80
	v_lshlrev_b32_e32 v1, 1, v2
	v_lshl_add_u32 v1, v5, 6, v1
	v_cmp_gt_u32_e32 vcc, s16, v0
	s_waitcnt vmcnt(0)
	ds_write_b16 v1, v3
	s_and_b64 exec, exec, vcc
	s_cbranch_execz .LBB282_5
; %bb.4:
	v_lshlrev_b32_e32 v2, 4, v2
	v_lshlrev_b32_e32 v3, 1, v5
	s_movk_i32 s16, 0x100
	v_or3_b32 v2, v2, v3, s16
	global_load_ushort v2, v2, s[2:3]
	s_waitcnt vmcnt(0)
	ds_write_b16 v1, v2 offset:32
.LBB282_5:
	s_or_b64 exec, exec, s[0:1]
	s_mul_i32 s1, s14, s12
	s_sub_i32 s1, s13, s1
	s_xor_b32 s0, s7, s15
	s_add_i32 s2, s14, 1
	s_sub_i32 s7, s1, s12
	s_load_dwordx4 s[20:23], s[4:5], 0x68
	s_load_dword s3, s[4:5], 0x78
	s_cmp_ge_u32 s1, s12
	s_cselect_b32 s2, s2, s14
	s_cselect_b32 s1, s7, s1
	s_add_i32 s7, s2, 1
	s_cmp_ge_u32 s1, s12
	s_cselect_b32 s1, s7, s2
	s_waitcnt lgkmcnt(0)
	s_abs_i32 s25, s23
	v_cvt_f32_u32_e32 v1, s25
	s_xor_b32 s1, s1, s0
	s_sub_i32 s2, s1, s0
	s_sub_i32 s0, 0, s25
	v_rcp_iflag_f32_e32 v1, v1
	s_add_i32 s12, s33, -1
	s_abs_i32 s7, s12
	v_mul_f32_e32 v1, 0x4f7ffffe, v1
	v_cvt_u32_f32_e32 v1, v1
	s_waitcnt vmcnt(0)
	s_barrier
	v_readfirstlane_b32 s46, v1
	s_mul_i32 s0, s0, s46
	s_mul_hi_u32 s0, s46, s0
	s_add_i32 s46, s46, s0
	s_cmp_lt_i32 s3, 0
	s_mul_hi_u32 s16, s7, s46
	s_cbranch_scc0 .LBB282_7
; %bb.6:
	s_mul_i32 s0, s20, s36
	s_add_i32 s0, s2, s0
	s_mul_i32 s0, s0, s3
	s_sub_i32 s36, 1, s0
	s_mov_b64 s[0:1], 0
	s_branch .LBB282_8
.LBB282_7:
	s_mov_b64 s[0:1], -1
                                        ; implicit-def: $sgpr36
.LBB282_8:
	s_load_dwordx2 s[28:29], s[4:5], 0x28
	s_ashr_i32 s19, s12, 31
	s_andn2_b64 vcc, exec, s[0:1]
	s_ashr_i32 s23, s23, 31
	s_cbranch_vccnz .LBB282_10
; %bb.9:
	s_mul_i32 s0, s9, s20
	s_add_i32 s0, s0, s6
	s_mul_i32 s0, s0, s3
	s_add_i32 s36, s0, 1
.LBB282_10:
	s_load_dword s0, s[4:5], 0x38
	s_load_dwordx2 s[26:27], s[4:5], 0x0
	s_load_dwordx2 s[34:35], s[4:5], 0x18
	s_load_dwordx4 s[12:15], s[4:5], 0x58
	s_xor_b32 s1, s19, s23
	s_waitcnt lgkmcnt(0)
	s_mul_i32 s30, s0, s10
	s_mul_i32 s0, s16, s25
	s_sub_i32 s0, s7, s0
	s_ashr_i32 s31, s30, 31
	s_add_i32 s3, s16, 1
	s_sub_i32 s6, s0, s25
	s_cmp_ge_u32 s0, s25
	s_cselect_b32 s3, s3, s16
	s_cselect_b32 s0, s6, s0
	s_add_i32 s6, s3, 1
	s_cmp_ge_u32 s0, s25
	s_cselect_b32 s0, s6, s3
	s_xor_b32 s0, s0, s1
	s_sub_i32 s16, s0, s1
	s_add_i32 s0, s33, 7
	s_ashr_i32 s1, s0, 31
	s_lshr_b32 s1, s1, 29
	s_add_i32 s0, s0, s1
	s_ashr_i32 s47, s0, 3
	v_lshrrev_b32_e32 v1, 6, v0
	v_cmp_gt_i32_e64 s[0:1], s47, v1
	v_mov_b32_e32 v4, 0xff7fffff
	s_mul_i32 s20, s2, s18
	v_lshrrev_b32_e32 v13, 4, v0
	v_lshlrev_b32_e32 v26, 3, v1
	v_mbcnt_lo_u32_b32 v6, -1, 0
	buffer_store_dword v0, off, s[56:59], 0 offset:72 ; 4-byte Folded Spill
	buffer_store_dword v1, off, s[56:59], 0 ; 4-byte Folded Spill
	s_and_saveexec_b64 s[18:19], s[0:1]
	s_cbranch_execz .LBB282_214
; %bb.11:
	buffer_load_dword v0, off, s[56:59], 0 offset:72 ; 4-byte Folded Reload
	s_load_dwordx2 s[2:3], s[4:5], 0x10
	s_sub_i32 s49, s16, s21
	s_ashr_i32 s4, s20, 31
	v_cmp_eq_u32_e32 vcc, 0, v5
	s_mov_b32 s51, s17
	s_waitcnt lgkmcnt(0)
	s_add_u32 s5, s2, s20
	s_addc_u32 s4, s3, s4
	s_abs_i32 s50, s22
	v_cvt_f32_u32_e32 v1, s50
	v_mov_b32_e32 v3, s4
	s_sub_i32 s4, 0, s50
	v_cmp_neq_f32_e64 s[2:3], s48, 0
	v_rcp_iflag_f32_e32 v1, v1
	s_mov_b64 s[38:39], 0
	s_movk_i32 s52, 0x80
	s_movk_i32 s53, 0x7f
	v_mul_f32_e32 v1, 0x4f7ffffe, v1
	v_cvt_u32_f32_e32 v1, v1
	s_movk_i32 s54, 0x7fff
	v_mul_lo_u32 v4, s4, v1
	v_mul_hi_u32 v4, v1, v4
	s_waitcnt vmcnt(0)
	v_bfe_u32 v7, v0, 3, 3
	v_lshlrev_b32_e32 v2, 4, v7
	v_add_co_u32_e64 v2, s[4:5], s5, v2
	v_addc_co_u32_e64 v3, s[4:5], 0, v3, s[4:5]
	v_lshlrev_b32_e32 v0, 6, v5
	v_add_co_u32_e64 v2, s[4:5], v2, v5
	buffer_store_dword v0, off, s[56:59], 0 offset:56 ; 4-byte Folded Spill
	v_addc_co_u32_e64 v3, s[4:5], 0, v3, s[4:5]
	v_add_u32_e32 v0, v1, v4
	buffer_store_dword v2, off, s[56:59], 0 offset:60 ; 4-byte Folded Spill
	s_nop 0
	buffer_store_dword v3, off, s[56:59], 0 offset:64 ; 4-byte Folded Spill
	buffer_store_dword v0, off, s[56:59], 0 offset:16 ; 4-byte Folded Spill
	;; [unrolled: 1-line block ×3, first 2 shown]
	buffer_load_dword v38, off, s[56:59], 0 ; 4-byte Folded Reload
	s_lshl_b64 s[4:5], s[30:31], 2
	s_add_u32 s4, s28, s4
	v_and_b32_e32 v0, 60, v13
	s_addc_u32 s5, s29, s5
	v_mov_b32_e32 v1, s5
	v_add_co_u32_e64 v19, s[4:5], s4, v0
	v_subrev_u32_e32 v0, s33, v7
	v_add_u32_e32 v0, 1, v0
	buffer_store_dword v0, off, s[56:59], 0 offset:80 ; 4-byte Folded Spill
	buffer_store_dword v7, off, s[56:59], 0 offset:76 ; 4-byte Folded Spill
	v_lshlrev_b32_e32 v0, 2, v7
	v_addc_co_u32_e64 v20, s[4:5], 0, v1, s[4:5]
	s_waitcnt vmcnt(2)
	v_lshl_or_b32 v0, v38, 5, v0
	v_add_u32_e32 v35, 0x210, v0
	v_mbcnt_hi_u32_b32 v0, -1, v6
	v_lshlrev_b32_e32 v33, 3, v38
	buffer_store_dword v0, off, s[56:59], 0 offset:68 ; 4-byte Folded Spill
	v_mov_b32_e32 v0, 0xff7fffff
	buffer_store_dword v0, off, s[56:59], 0 offset:52 ; 4-byte Folded Spill
	s_branch .LBB282_14
.LBB282_12:                             ;   in Loop: Header=BB282_14 Depth=1
	s_or_b64 exec, exec, s[40:41]
.LBB282_13:                             ;   in Loop: Header=BB282_14 Depth=1
	s_or_b64 exec, exec, s[6:7]
	v_add_co_u32_e64 v19, s[4:5], 8, v19
	v_add_u32_e32 v38, 2, v38
	v_addc_co_u32_e64 v20, s[4:5], 0, v20, s[4:5]
	v_cmp_le_i32_e64 s[4:5], s47, v38
	v_add_u32_e32 v33, 16, v33
	s_or_b64 s[38:39], s[4:5], s[38:39]
	v_add_u32_e32 v35, 64, v35
	s_andn2_b64 exec, exec, s[38:39]
	s_cbranch_execz .LBB282_213
.LBB282_14:                             ; =>This Inner Loop Header: Depth=1
	buffer_load_dword v3, off, s[56:59], 0 offset:16 ; 4-byte Folded Reload
	v_mul_hi_u32 v0, v33, s46
	s_waitcnt lgkmcnt(0)
	v_mul_lo_u32 v1, v0, s25
	v_add_u32_e32 v2, 1, v0
	v_sub_u32_e32 v1, v33, v1
	v_cmp_le_u32_e64 s[4:5], s25, v1
	v_cndmask_b32_e64 v0, v0, v2, s[4:5]
	v_subrev_u32_e32 v2, s25, v1
	v_cndmask_b32_e64 v1, v1, v2, s[4:5]
	v_add_u32_e32 v2, 1, v0
	v_cmp_le_u32_e64 s[4:5], s25, v1
	v_cndmask_b32_e64 v0, v0, v2, s[4:5]
	v_xor_b32_e32 v0, s23, v0
	v_subrev_u32_e32 v0, s23, v0
	v_add_u32_e32 v1, s36, v0
	v_sub_u32_e32 v2, 0, v1
	v_max_i32_e32 v2, v1, v2
	v_ashrrev_i32_e32 v1, 31, v1
	v_cmp_ge_i32_e64 s[6:7], s49, v0
	s_waitcnt vmcnt(0)
	v_mul_hi_u32 v3, v2, v3
	v_mul_lo_u32 v3, v3, s50
	v_sub_u32_e32 v2, v2, v3
	v_subrev_u32_e32 v3, s50, v2
	v_cmp_le_u32_e64 s[4:5], s50, v2
	v_cndmask_b32_e64 v2, v2, v3, s[4:5]
	v_subrev_u32_e32 v3, s50, v2
	v_cmp_le_u32_e64 s[4:5], s50, v2
	v_cndmask_b32_e64 v2, v2, v3, s[4:5]
	v_xor_b32_e32 v2, v2, v1
	v_sub_u32_e32 v1, v2, v1
	v_cmp_ne_u32_e64 s[4:5], 0, v1
	s_and_b64 s[4:5], s[4:5], s[6:7]
	s_and_saveexec_b64 s[6:7], s[4:5]
	s_xor_b64 s[4:5], exec, s[6:7]
	s_cbranch_execz .LBB282_18
; %bb.15:                               ;   in Loop: Header=BB282_14 Depth=1
	s_and_saveexec_b64 s[6:7], vcc
; %bb.16:                               ;   in Loop: Header=BB282_14 Depth=1
	v_mov_b32_e32 v0, 0xff7fffff
	ds_write_b32 v35, v0
; %bb.17:                               ;   in Loop: Header=BB282_14 Depth=1
	s_or_b64 exec, exec, s[6:7]
.LBB282_18:                             ;   in Loop: Header=BB282_14 Depth=1
	s_andn2_saveexec_b64 s[6:7], s[4:5]
	s_cbranch_execz .LBB282_13
; %bb.19:                               ;   in Loop: Header=BB282_14 Depth=1
	global_load_dword v0, v[19:20], off
	buffer_load_dword v1, off, s[56:59], 0 offset:60 ; 4-byte Folded Reload
	buffer_load_dword v2, off, s[56:59], 0 offset:64 ; 4-byte Folded Reload
	v_mov_b32_e32 v46, 0
	v_mov_b32_e32 v47, 0
	s_waitcnt vmcnt(0)
	v_mad_i64_i32 v[21:22], s[4:5], v0, s51, v[1:2]
	buffer_load_dword v1, off, s[56:59], 0 offset:56 ; 4-byte Folded Reload
	global_load_ubyte v0, v[21:22], off
	s_waitcnt vmcnt(1)
	ds_read_b128 v[13:16], v1
	ds_read_b128 v[5:8], v1 offset:16
	s_load_dword s55, s[12:13], 0x0
	ds_read_b128 v[9:12], v1 offset:32
	ds_read_b128 v[1:4], v1 offset:48
	s_waitcnt vmcnt(0)
	v_cmp_ne_u16_e64 s[4:5], 0, v0
	s_and_saveexec_b64 s[40:41], s[4:5]
	s_cbranch_execz .LBB282_25
; %bb.20:                               ;   in Loop: Header=BB282_14 Depth=1
	v_cmp_ne_u16_e64 s[4:5], s52, v0
	v_bfrev_b32_e32 v47, 1
	s_and_saveexec_b64 s[42:43], s[4:5]
	s_cbranch_execz .LBB282_24
; %bb.21:                               ;   in Loop: Header=BB282_14 Depth=1
	v_and_b32_e32 v23, 0xffff, v0
	v_and_b32_e32 v17, 0x7f, v23
	v_cmp_ne_u32_e64 s[4:5], s53, v17
	v_mov_b32_e32 v47, 0x7f800001
	s_and_saveexec_b64 s[44:45], s[4:5]
	s_cbranch_execz .LBB282_23
; %bb.22:                               ;   in Loop: Header=BB282_14 Depth=1
	v_and_b32_e32 v18, 7, v23
	v_ffbh_u32_e32 v24, v18
	v_min_u32_e32 v27, 32, v24
	v_subrev_u32_e32 v24, 28, v27
	v_lshlrev_b64 v[23:24], v24, v[23:24]
	v_lshrrev_b32_e32 v25, 3, v17
	v_sub_u32_e32 v24, 29, v27
	v_and_b32_e32 v23, 7, v23
	v_cmp_gt_u32_e64 s[4:5], 8, v17
	v_cndmask_b32_e64 v17, v25, v24, s[4:5]
	v_cndmask_b32_e64 v18, v18, v23, s[4:5]
	v_lshlrev_b32_e32 v0, 24, v0
	v_bfrev_b32_e32 v23, 60
	v_lshlrev_b32_e32 v18, 20, v18
	v_and_b32_e32 v0, 0x80000000, v0
	v_lshl_add_u32 v17, v17, 23, v23
	v_or3_b32 v47, v0, v17, v18
.LBB282_23:                             ;   in Loop: Header=BB282_14 Depth=1
	s_or_b64 exec, exec, s[44:45]
.LBB282_24:                             ;   in Loop: Header=BB282_14 Depth=1
	s_or_b64 exec, exec, s[42:43]
.LBB282_25:                             ;   in Loop: Header=BB282_14 Depth=1
	s_or_b64 exec, exec, s[40:41]
	global_load_ubyte v0, v[21:22], off offset:8
	s_waitcnt vmcnt(0)
	v_cmp_ne_u16_e64 s[4:5], 0, v0
	s_and_saveexec_b64 s[40:41], s[4:5]
	s_cbranch_execz .LBB282_31
; %bb.26:                               ;   in Loop: Header=BB282_14 Depth=1
	v_cmp_ne_u16_e64 s[4:5], s52, v0
	v_bfrev_b32_e32 v46, 1
	s_and_saveexec_b64 s[42:43], s[4:5]
	s_cbranch_execz .LBB282_30
; %bb.27:                               ;   in Loop: Header=BB282_14 Depth=1
	v_and_b32_e32 v23, 0xffff, v0
	v_and_b32_e32 v17, 0x7f, v23
	v_cmp_ne_u32_e64 s[4:5], s53, v17
	v_mov_b32_e32 v46, 0x7f800001
	s_and_saveexec_b64 s[44:45], s[4:5]
	s_cbranch_execz .LBB282_29
; %bb.28:                               ;   in Loop: Header=BB282_14 Depth=1
	v_and_b32_e32 v18, 7, v23
	v_ffbh_u32_e32 v24, v18
	v_min_u32_e32 v27, 32, v24
	v_subrev_u32_e32 v24, 28, v27
	v_lshlrev_b64 v[23:24], v24, v[23:24]
	v_lshrrev_b32_e32 v25, 3, v17
	v_sub_u32_e32 v24, 29, v27
	v_and_b32_e32 v23, 7, v23
	v_cmp_gt_u32_e64 s[4:5], 8, v17
	v_cndmask_b32_e64 v17, v25, v24, s[4:5]
	v_cndmask_b32_e64 v18, v18, v23, s[4:5]
	v_lshlrev_b32_e32 v0, 24, v0
	v_bfrev_b32_e32 v23, 60
	v_lshlrev_b32_e32 v18, 20, v18
	v_and_b32_e32 v0, 0x80000000, v0
	v_lshl_add_u32 v17, v17, 23, v23
	v_or3_b32 v46, v0, v17, v18
.LBB282_29:                             ;   in Loop: Header=BB282_14 Depth=1
	s_or_b64 exec, exec, s[44:45]
.LBB282_30:                             ;   in Loop: Header=BB282_14 Depth=1
	s_or_b64 exec, exec, s[42:43]
.LBB282_31:                             ;   in Loop: Header=BB282_14 Depth=1
	s_or_b64 exec, exec, s[40:41]
	global_load_ubyte v0, v[21:22], off offset:128
	v_mov_b32_e32 v17, 0
	v_mov_b32_e32 v37, 0
	buffer_store_dword v17, off, s[56:59], 0 offset:4 ; 4-byte Folded Spill
	s_waitcnt vmcnt(1)
	v_cmp_ne_u16_e64 s[4:5], 0, v0
	s_and_saveexec_b64 s[40:41], s[4:5]
	s_cbranch_execz .LBB282_37
; %bb.32:                               ;   in Loop: Header=BB282_14 Depth=1
	v_cmp_ne_u16_e64 s[4:5], s52, v0
	v_bfrev_b32_e32 v37, 1
	s_and_saveexec_b64 s[42:43], s[4:5]
	s_cbranch_execz .LBB282_36
; %bb.33:                               ;   in Loop: Header=BB282_14 Depth=1
	v_and_b32_e32 v23, 0xffff, v0
	v_and_b32_e32 v17, 0x7f, v23
	v_cmp_ne_u32_e64 s[4:5], s53, v17
	v_mov_b32_e32 v37, 0x7f800001
	s_and_saveexec_b64 s[44:45], s[4:5]
	s_cbranch_execz .LBB282_35
; %bb.34:                               ;   in Loop: Header=BB282_14 Depth=1
	v_and_b32_e32 v18, 7, v23
	v_ffbh_u32_e32 v24, v18
	v_min_u32_e32 v27, 32, v24
	v_subrev_u32_e32 v24, 28, v27
	v_lshlrev_b64 v[23:24], v24, v[23:24]
	v_lshrrev_b32_e32 v25, 3, v17
	v_sub_u32_e32 v24, 29, v27
	v_and_b32_e32 v23, 7, v23
	v_cmp_gt_u32_e64 s[4:5], 8, v17
	v_cndmask_b32_e64 v17, v25, v24, s[4:5]
	v_cndmask_b32_e64 v18, v18, v23, s[4:5]
	v_lshlrev_b32_e32 v0, 24, v0
	v_bfrev_b32_e32 v23, 60
	v_lshlrev_b32_e32 v18, 20, v18
	v_and_b32_e32 v0, 0x80000000, v0
	v_lshl_add_u32 v17, v17, 23, v23
	v_or3_b32 v37, v0, v17, v18
.LBB282_35:                             ;   in Loop: Header=BB282_14 Depth=1
	s_or_b64 exec, exec, s[44:45]
.LBB282_36:                             ;   in Loop: Header=BB282_14 Depth=1
	s_or_b64 exec, exec, s[42:43]
.LBB282_37:                             ;   in Loop: Header=BB282_14 Depth=1
	s_or_b64 exec, exec, s[40:41]
	global_load_ubyte v0, v[21:22], off offset:136
	s_waitcnt vmcnt(0)
	v_cmp_ne_u16_e64 s[4:5], 0, v0
	s_and_saveexec_b64 s[40:41], s[4:5]
	s_cbranch_execz .LBB282_43
; %bb.38:                               ;   in Loop: Header=BB282_14 Depth=1
	v_cmp_ne_u16_e64 s[4:5], s52, v0
	v_bfrev_b32_e32 v17, 1
	buffer_store_dword v17, off, s[56:59], 0 offset:4 ; 4-byte Folded Spill
	s_and_saveexec_b64 s[42:43], s[4:5]
	s_cbranch_execz .LBB282_42
; %bb.39:                               ;   in Loop: Header=BB282_14 Depth=1
	v_and_b32_e32 v23, 0xffff, v0
	v_and_b32_e32 v17, 0x7f, v23
	v_cmp_ne_u32_e64 s[4:5], s53, v17
	v_mov_b32_e32 v18, 0x7f800001
	buffer_store_dword v18, off, s[56:59], 0 offset:4 ; 4-byte Folded Spill
	s_and_saveexec_b64 s[44:45], s[4:5]
	s_cbranch_execz .LBB282_41
; %bb.40:                               ;   in Loop: Header=BB282_14 Depth=1
	v_and_b32_e32 v18, 7, v23
	v_ffbh_u32_e32 v24, v18
	v_min_u32_e32 v27, 32, v24
	v_subrev_u32_e32 v24, 28, v27
	v_lshlrev_b64 v[23:24], v24, v[23:24]
	v_lshrrev_b32_e32 v25, 3, v17
	v_sub_u32_e32 v24, 29, v27
	v_and_b32_e32 v23, 7, v23
	v_cmp_gt_u32_e64 s[4:5], 8, v17
	v_cndmask_b32_e64 v17, v25, v24, s[4:5]
	v_cndmask_b32_e64 v18, v18, v23, s[4:5]
	v_lshlrev_b32_e32 v0, 24, v0
	v_bfrev_b32_e32 v23, 60
	v_lshlrev_b32_e32 v18, 20, v18
	v_and_b32_e32 v0, 0x80000000, v0
	v_lshl_add_u32 v17, v17, 23, v23
	v_or3_b32 v0, v0, v17, v18
	buffer_store_dword v0, off, s[56:59], 0 offset:4 ; 4-byte Folded Spill
.LBB282_41:                             ;   in Loop: Header=BB282_14 Depth=1
	s_or_b64 exec, exec, s[44:45]
.LBB282_42:                             ;   in Loop: Header=BB282_14 Depth=1
	s_or_b64 exec, exec, s[42:43]
.LBB282_43:                             ;   in Loop: Header=BB282_14 Depth=1
	s_or_b64 exec, exec, s[40:41]
	global_load_ubyte v0, v[21:22], off offset:256
	v_mov_b32_e32 v36, 0
	v_mov_b32_e32 v32, 0
	s_waitcnt vmcnt(0)
	v_cmp_ne_u16_e64 s[4:5], 0, v0
	s_and_saveexec_b64 s[40:41], s[4:5]
	s_cbranch_execz .LBB282_49
; %bb.44:                               ;   in Loop: Header=BB282_14 Depth=1
	v_cmp_ne_u16_e64 s[4:5], s52, v0
	v_bfrev_b32_e32 v32, 1
	s_and_saveexec_b64 s[42:43], s[4:5]
	s_cbranch_execz .LBB282_48
; %bb.45:                               ;   in Loop: Header=BB282_14 Depth=1
	v_and_b32_e32 v23, 0xffff, v0
	v_and_b32_e32 v17, 0x7f, v23
	v_cmp_ne_u32_e64 s[4:5], s53, v17
	v_mov_b32_e32 v32, 0x7f800001
	s_and_saveexec_b64 s[44:45], s[4:5]
	s_cbranch_execz .LBB282_47
; %bb.46:                               ;   in Loop: Header=BB282_14 Depth=1
	v_and_b32_e32 v18, 7, v23
	v_ffbh_u32_e32 v24, v18
	v_min_u32_e32 v27, 32, v24
	v_subrev_u32_e32 v24, 28, v27
	v_lshlrev_b64 v[23:24], v24, v[23:24]
	v_lshrrev_b32_e32 v25, 3, v17
	v_sub_u32_e32 v24, 29, v27
	v_and_b32_e32 v23, 7, v23
	v_cmp_gt_u32_e64 s[4:5], 8, v17
	v_cndmask_b32_e64 v17, v25, v24, s[4:5]
	v_cndmask_b32_e64 v18, v18, v23, s[4:5]
	v_lshlrev_b32_e32 v0, 24, v0
	v_bfrev_b32_e32 v23, 60
	v_lshlrev_b32_e32 v18, 20, v18
	v_and_b32_e32 v0, 0x80000000, v0
	v_lshl_add_u32 v17, v17, 23, v23
	v_or3_b32 v32, v0, v17, v18
.LBB282_47:                             ;   in Loop: Header=BB282_14 Depth=1
	s_or_b64 exec, exec, s[44:45]
.LBB282_48:                             ;   in Loop: Header=BB282_14 Depth=1
	s_or_b64 exec, exec, s[42:43]
.LBB282_49:                             ;   in Loop: Header=BB282_14 Depth=1
	s_or_b64 exec, exec, s[40:41]
	global_load_ubyte v0, v[21:22], off offset:264
	s_waitcnt vmcnt(0)
	v_cmp_ne_u16_e64 s[4:5], 0, v0
	s_and_saveexec_b64 s[40:41], s[4:5]
	s_cbranch_execz .LBB282_55
; %bb.50:                               ;   in Loop: Header=BB282_14 Depth=1
	v_cmp_ne_u16_e64 s[4:5], s52, v0
	v_bfrev_b32_e32 v36, 1
	s_and_saveexec_b64 s[42:43], s[4:5]
	s_cbranch_execz .LBB282_54
; %bb.51:                               ;   in Loop: Header=BB282_14 Depth=1
	v_and_b32_e32 v23, 0xffff, v0
	v_and_b32_e32 v17, 0x7f, v23
	v_cmp_ne_u32_e64 s[4:5], s53, v17
	v_mov_b32_e32 v36, 0x7f800001
	s_and_saveexec_b64 s[44:45], s[4:5]
	s_cbranch_execz .LBB282_53
; %bb.52:                               ;   in Loop: Header=BB282_14 Depth=1
	v_and_b32_e32 v18, 7, v23
	v_ffbh_u32_e32 v24, v18
	v_min_u32_e32 v27, 32, v24
	v_subrev_u32_e32 v24, 28, v27
	v_lshlrev_b64 v[23:24], v24, v[23:24]
	v_lshrrev_b32_e32 v25, 3, v17
	v_sub_u32_e32 v24, 29, v27
	v_and_b32_e32 v23, 7, v23
	v_cmp_gt_u32_e64 s[4:5], 8, v17
	v_cndmask_b32_e64 v17, v25, v24, s[4:5]
	v_cndmask_b32_e64 v18, v18, v23, s[4:5]
	v_lshlrev_b32_e32 v0, 24, v0
	v_bfrev_b32_e32 v23, 60
	v_lshlrev_b32_e32 v18, 20, v18
	v_and_b32_e32 v0, 0x80000000, v0
	v_lshl_add_u32 v17, v17, 23, v23
	v_or3_b32 v36, v0, v17, v18
.LBB282_53:                             ;   in Loop: Header=BB282_14 Depth=1
	s_or_b64 exec, exec, s[44:45]
.LBB282_54:                             ;   in Loop: Header=BB282_14 Depth=1
	s_or_b64 exec, exec, s[42:43]
.LBB282_55:                             ;   in Loop: Header=BB282_14 Depth=1
	s_or_b64 exec, exec, s[40:41]
	global_load_ubyte v0, v[21:22], off offset:384
	v_mov_b32_e32 v58, 0
	v_mov_b32_e32 v42, 0
	s_waitcnt vmcnt(0)
	v_cmp_ne_u16_e64 s[4:5], 0, v0
	s_and_saveexec_b64 s[40:41], s[4:5]
	s_cbranch_execz .LBB282_61
; %bb.56:                               ;   in Loop: Header=BB282_14 Depth=1
	v_cmp_ne_u16_e64 s[4:5], s52, v0
	v_bfrev_b32_e32 v42, 1
	s_and_saveexec_b64 s[42:43], s[4:5]
	s_cbranch_execz .LBB282_60
; %bb.57:                               ;   in Loop: Header=BB282_14 Depth=1
	v_and_b32_e32 v23, 0xffff, v0
	v_and_b32_e32 v17, 0x7f, v23
	v_cmp_ne_u32_e64 s[4:5], s53, v17
	v_mov_b32_e32 v42, 0x7f800001
	s_and_saveexec_b64 s[44:45], s[4:5]
	s_cbranch_execz .LBB282_59
; %bb.58:                               ;   in Loop: Header=BB282_14 Depth=1
	v_and_b32_e32 v18, 7, v23
	v_ffbh_u32_e32 v24, v18
	v_min_u32_e32 v27, 32, v24
	v_subrev_u32_e32 v24, 28, v27
	v_lshlrev_b64 v[23:24], v24, v[23:24]
	v_lshrrev_b32_e32 v25, 3, v17
	v_sub_u32_e32 v24, 29, v27
	v_and_b32_e32 v23, 7, v23
	v_cmp_gt_u32_e64 s[4:5], 8, v17
	v_cndmask_b32_e64 v17, v25, v24, s[4:5]
	v_cndmask_b32_e64 v18, v18, v23, s[4:5]
	v_lshlrev_b32_e32 v0, 24, v0
	v_bfrev_b32_e32 v23, 60
	v_lshlrev_b32_e32 v18, 20, v18
	v_and_b32_e32 v0, 0x80000000, v0
	v_lshl_add_u32 v17, v17, 23, v23
	v_or3_b32 v42, v0, v17, v18
.LBB282_59:                             ;   in Loop: Header=BB282_14 Depth=1
	s_or_b64 exec, exec, s[44:45]
.LBB282_60:                             ;   in Loop: Header=BB282_14 Depth=1
	s_or_b64 exec, exec, s[42:43]
.LBB282_61:                             ;   in Loop: Header=BB282_14 Depth=1
	s_or_b64 exec, exec, s[40:41]
	global_load_ubyte v0, v[21:22], off offset:392
	s_waitcnt vmcnt(0)
	v_cmp_ne_u16_e64 s[4:5], 0, v0
	s_and_saveexec_b64 s[40:41], s[4:5]
	s_cbranch_execz .LBB282_67
; %bb.62:                               ;   in Loop: Header=BB282_14 Depth=1
	v_cmp_ne_u16_e64 s[4:5], s52, v0
	v_bfrev_b32_e32 v58, 1
	s_and_saveexec_b64 s[42:43], s[4:5]
	s_cbranch_execz .LBB282_66
; %bb.63:                               ;   in Loop: Header=BB282_14 Depth=1
	v_and_b32_e32 v23, 0xffff, v0
	v_and_b32_e32 v17, 0x7f, v23
	v_cmp_ne_u32_e64 s[4:5], s53, v17
	v_mov_b32_e32 v58, 0x7f800001
	s_and_saveexec_b64 s[44:45], s[4:5]
	s_cbranch_execz .LBB282_65
; %bb.64:                               ;   in Loop: Header=BB282_14 Depth=1
	v_and_b32_e32 v18, 7, v23
	v_ffbh_u32_e32 v24, v18
	v_min_u32_e32 v27, 32, v24
	v_subrev_u32_e32 v24, 28, v27
	v_lshlrev_b64 v[23:24], v24, v[23:24]
	v_lshrrev_b32_e32 v25, 3, v17
	v_sub_u32_e32 v24, 29, v27
	v_and_b32_e32 v23, 7, v23
	v_cmp_gt_u32_e64 s[4:5], 8, v17
	v_cndmask_b32_e64 v17, v25, v24, s[4:5]
	v_cndmask_b32_e64 v18, v18, v23, s[4:5]
	v_lshlrev_b32_e32 v0, 24, v0
	v_bfrev_b32_e32 v23, 60
	v_lshlrev_b32_e32 v18, 20, v18
	v_and_b32_e32 v0, 0x80000000, v0
	v_lshl_add_u32 v17, v17, 23, v23
	v_or3_b32 v58, v0, v17, v18
.LBB282_65:                             ;   in Loop: Header=BB282_14 Depth=1
	s_or_b64 exec, exec, s[44:45]
.LBB282_66:                             ;   in Loop: Header=BB282_14 Depth=1
	s_or_b64 exec, exec, s[42:43]
.LBB282_67:                             ;   in Loop: Header=BB282_14 Depth=1
	s_or_b64 exec, exec, s[40:41]
	global_load_ubyte v0, v[21:22], off offset:512
	v_mov_b32_e32 v48, 0
	v_mov_b32_e32 v44, 0
	s_waitcnt vmcnt(0)
	v_cmp_ne_u16_e64 s[4:5], 0, v0
	s_and_saveexec_b64 s[40:41], s[4:5]
	s_cbranch_execz .LBB282_73
; %bb.68:                               ;   in Loop: Header=BB282_14 Depth=1
	v_cmp_ne_u16_e64 s[4:5], s52, v0
	v_bfrev_b32_e32 v44, 1
	s_and_saveexec_b64 s[42:43], s[4:5]
	s_cbranch_execz .LBB282_72
; %bb.69:                               ;   in Loop: Header=BB282_14 Depth=1
	v_and_b32_e32 v23, 0xffff, v0
	v_and_b32_e32 v17, 0x7f, v23
	v_cmp_ne_u32_e64 s[4:5], s53, v17
	v_mov_b32_e32 v44, 0x7f800001
	s_and_saveexec_b64 s[44:45], s[4:5]
	s_cbranch_execz .LBB282_71
; %bb.70:                               ;   in Loop: Header=BB282_14 Depth=1
	v_and_b32_e32 v18, 7, v23
	v_ffbh_u32_e32 v24, v18
	v_min_u32_e32 v27, 32, v24
	v_subrev_u32_e32 v24, 28, v27
	v_lshlrev_b64 v[23:24], v24, v[23:24]
	v_lshrrev_b32_e32 v25, 3, v17
	v_sub_u32_e32 v24, 29, v27
	v_and_b32_e32 v23, 7, v23
	v_cmp_gt_u32_e64 s[4:5], 8, v17
	v_cndmask_b32_e64 v17, v25, v24, s[4:5]
	v_cndmask_b32_e64 v18, v18, v23, s[4:5]
	v_lshlrev_b32_e32 v0, 24, v0
	v_bfrev_b32_e32 v23, 60
	v_lshlrev_b32_e32 v18, 20, v18
	v_and_b32_e32 v0, 0x80000000, v0
	v_lshl_add_u32 v17, v17, 23, v23
	v_or3_b32 v44, v0, v17, v18
.LBB282_71:                             ;   in Loop: Header=BB282_14 Depth=1
	s_or_b64 exec, exec, s[44:45]
.LBB282_72:                             ;   in Loop: Header=BB282_14 Depth=1
	s_or_b64 exec, exec, s[42:43]
.LBB282_73:                             ;   in Loop: Header=BB282_14 Depth=1
	s_or_b64 exec, exec, s[40:41]
	global_load_ubyte v0, v[21:22], off offset:520
	s_waitcnt vmcnt(0)
	v_cmp_ne_u16_e64 s[4:5], 0, v0
	s_and_saveexec_b64 s[40:41], s[4:5]
	s_cbranch_execz .LBB282_79
; %bb.74:                               ;   in Loop: Header=BB282_14 Depth=1
	v_cmp_ne_u16_e64 s[4:5], s52, v0
	v_bfrev_b32_e32 v48, 1
	s_and_saveexec_b64 s[42:43], s[4:5]
	s_cbranch_execz .LBB282_78
; %bb.75:                               ;   in Loop: Header=BB282_14 Depth=1
	v_and_b32_e32 v23, 0xffff, v0
	v_and_b32_e32 v17, 0x7f, v23
	v_cmp_ne_u32_e64 s[4:5], s53, v17
	v_mov_b32_e32 v48, 0x7f800001
	s_and_saveexec_b64 s[44:45], s[4:5]
	s_cbranch_execz .LBB282_77
; %bb.76:                               ;   in Loop: Header=BB282_14 Depth=1
	v_and_b32_e32 v18, 7, v23
	v_ffbh_u32_e32 v24, v18
	v_min_u32_e32 v27, 32, v24
	v_subrev_u32_e32 v24, 28, v27
	v_lshlrev_b64 v[23:24], v24, v[23:24]
	v_lshrrev_b32_e32 v25, 3, v17
	v_sub_u32_e32 v24, 29, v27
	v_and_b32_e32 v23, 7, v23
	v_cmp_gt_u32_e64 s[4:5], 8, v17
	v_cndmask_b32_e64 v17, v25, v24, s[4:5]
	v_cndmask_b32_e64 v18, v18, v23, s[4:5]
	v_lshlrev_b32_e32 v0, 24, v0
	v_bfrev_b32_e32 v23, 60
	v_lshlrev_b32_e32 v18, 20, v18
	v_and_b32_e32 v0, 0x80000000, v0
	v_lshl_add_u32 v17, v17, 23, v23
	v_or3_b32 v48, v0, v17, v18
.LBB282_77:                             ;   in Loop: Header=BB282_14 Depth=1
	s_or_b64 exec, exec, s[44:45]
.LBB282_78:                             ;   in Loop: Header=BB282_14 Depth=1
	s_or_b64 exec, exec, s[42:43]
.LBB282_79:                             ;   in Loop: Header=BB282_14 Depth=1
	s_or_b64 exec, exec, s[40:41]
	global_load_ubyte v0, v[21:22], off offset:640
	v_mov_b32_e32 v17, 0
	v_mov_b32_e32 v49, 0
	buffer_store_dword v17, off, s[56:59], 0 offset:12 ; 4-byte Folded Spill
	s_waitcnt vmcnt(1)
	v_cmp_ne_u16_e64 s[4:5], 0, v0
	s_and_saveexec_b64 s[40:41], s[4:5]
	s_cbranch_execz .LBB282_85
; %bb.80:                               ;   in Loop: Header=BB282_14 Depth=1
	v_cmp_ne_u16_e64 s[4:5], s52, v0
	v_bfrev_b32_e32 v49, 1
	s_and_saveexec_b64 s[42:43], s[4:5]
	s_cbranch_execz .LBB282_84
; %bb.81:                               ;   in Loop: Header=BB282_14 Depth=1
	v_and_b32_e32 v23, 0xffff, v0
	v_and_b32_e32 v17, 0x7f, v23
	v_cmp_ne_u32_e64 s[4:5], s53, v17
	v_mov_b32_e32 v49, 0x7f800001
	s_and_saveexec_b64 s[44:45], s[4:5]
	s_cbranch_execz .LBB282_83
; %bb.82:                               ;   in Loop: Header=BB282_14 Depth=1
	v_and_b32_e32 v18, 7, v23
	v_ffbh_u32_e32 v24, v18
	v_min_u32_e32 v27, 32, v24
	v_subrev_u32_e32 v24, 28, v27
	v_lshlrev_b64 v[23:24], v24, v[23:24]
	v_lshrrev_b32_e32 v25, 3, v17
	v_sub_u32_e32 v24, 29, v27
	v_and_b32_e32 v23, 7, v23
	v_cmp_gt_u32_e64 s[4:5], 8, v17
	v_cndmask_b32_e64 v17, v25, v24, s[4:5]
	v_cndmask_b32_e64 v18, v18, v23, s[4:5]
	v_lshlrev_b32_e32 v0, 24, v0
	v_bfrev_b32_e32 v23, 60
	v_lshlrev_b32_e32 v18, 20, v18
	v_and_b32_e32 v0, 0x80000000, v0
	v_lshl_add_u32 v17, v17, 23, v23
	v_or3_b32 v49, v0, v17, v18
.LBB282_83:                             ;   in Loop: Header=BB282_14 Depth=1
	s_or_b64 exec, exec, s[44:45]
.LBB282_84:                             ;   in Loop: Header=BB282_14 Depth=1
	s_or_b64 exec, exec, s[42:43]
.LBB282_85:                             ;   in Loop: Header=BB282_14 Depth=1
	s_or_b64 exec, exec, s[40:41]
	global_load_ubyte v0, v[21:22], off offset:648
	s_waitcnt vmcnt(0)
	v_cmp_ne_u16_e64 s[4:5], 0, v0
	s_and_saveexec_b64 s[40:41], s[4:5]
	s_cbranch_execz .LBB282_91
; %bb.86:                               ;   in Loop: Header=BB282_14 Depth=1
	v_cmp_ne_u16_e64 s[4:5], s52, v0
	v_bfrev_b32_e32 v17, 1
	buffer_store_dword v17, off, s[56:59], 0 offset:12 ; 4-byte Folded Spill
	s_and_saveexec_b64 s[42:43], s[4:5]
	s_cbranch_execz .LBB282_90
; %bb.87:                               ;   in Loop: Header=BB282_14 Depth=1
	v_and_b32_e32 v23, 0xffff, v0
	v_and_b32_e32 v17, 0x7f, v23
	v_cmp_ne_u32_e64 s[4:5], s53, v17
	v_mov_b32_e32 v18, 0x7f800001
	buffer_store_dword v18, off, s[56:59], 0 offset:12 ; 4-byte Folded Spill
	s_and_saveexec_b64 s[44:45], s[4:5]
	s_cbranch_execz .LBB282_89
; %bb.88:                               ;   in Loop: Header=BB282_14 Depth=1
	v_and_b32_e32 v18, 7, v23
	v_ffbh_u32_e32 v24, v18
	v_min_u32_e32 v27, 32, v24
	v_subrev_u32_e32 v24, 28, v27
	v_lshlrev_b64 v[23:24], v24, v[23:24]
	v_lshrrev_b32_e32 v25, 3, v17
	v_sub_u32_e32 v24, 29, v27
	v_and_b32_e32 v23, 7, v23
	v_cmp_gt_u32_e64 s[4:5], 8, v17
	v_cndmask_b32_e64 v17, v25, v24, s[4:5]
	v_cndmask_b32_e64 v18, v18, v23, s[4:5]
	v_lshlrev_b32_e32 v0, 24, v0
	v_bfrev_b32_e32 v23, 60
	v_lshlrev_b32_e32 v18, 20, v18
	v_and_b32_e32 v0, 0x80000000, v0
	v_lshl_add_u32 v17, v17, 23, v23
	v_or3_b32 v0, v0, v17, v18
	buffer_store_dword v0, off, s[56:59], 0 offset:12 ; 4-byte Folded Spill
.LBB282_89:                             ;   in Loop: Header=BB282_14 Depth=1
	s_or_b64 exec, exec, s[44:45]
.LBB282_90:                             ;   in Loop: Header=BB282_14 Depth=1
	s_or_b64 exec, exec, s[42:43]
.LBB282_91:                             ;   in Loop: Header=BB282_14 Depth=1
	s_or_b64 exec, exec, s[40:41]
	global_load_ubyte v0, v[21:22], off offset:768
	v_mov_b32_e32 v52, 0
	v_mov_b32_e32 v51, 0
	s_waitcnt vmcnt(0)
	v_cmp_ne_u16_e64 s[4:5], 0, v0
	s_and_saveexec_b64 s[40:41], s[4:5]
	s_cbranch_execz .LBB282_97
; %bb.92:                               ;   in Loop: Header=BB282_14 Depth=1
	v_cmp_ne_u16_e64 s[4:5], s52, v0
	v_bfrev_b32_e32 v51, 1
	s_and_saveexec_b64 s[42:43], s[4:5]
	s_cbranch_execz .LBB282_96
; %bb.93:                               ;   in Loop: Header=BB282_14 Depth=1
	v_and_b32_e32 v23, 0xffff, v0
	v_and_b32_e32 v17, 0x7f, v23
	v_cmp_ne_u32_e64 s[4:5], s53, v17
	v_mov_b32_e32 v51, 0x7f800001
	s_and_saveexec_b64 s[44:45], s[4:5]
	s_cbranch_execz .LBB282_95
; %bb.94:                               ;   in Loop: Header=BB282_14 Depth=1
	v_and_b32_e32 v18, 7, v23
	v_ffbh_u32_e32 v24, v18
	v_min_u32_e32 v27, 32, v24
	v_subrev_u32_e32 v24, 28, v27
	v_lshlrev_b64 v[23:24], v24, v[23:24]
	v_lshrrev_b32_e32 v25, 3, v17
	v_sub_u32_e32 v24, 29, v27
	v_and_b32_e32 v23, 7, v23
	v_cmp_gt_u32_e64 s[4:5], 8, v17
	v_cndmask_b32_e64 v17, v25, v24, s[4:5]
	v_cndmask_b32_e64 v18, v18, v23, s[4:5]
	v_lshlrev_b32_e32 v0, 24, v0
	v_bfrev_b32_e32 v23, 60
	v_lshlrev_b32_e32 v18, 20, v18
	v_and_b32_e32 v0, 0x80000000, v0
	v_lshl_add_u32 v17, v17, 23, v23
	v_or3_b32 v51, v0, v17, v18
.LBB282_95:                             ;   in Loop: Header=BB282_14 Depth=1
	s_or_b64 exec, exec, s[44:45]
.LBB282_96:                             ;   in Loop: Header=BB282_14 Depth=1
	s_or_b64 exec, exec, s[42:43]
.LBB282_97:                             ;   in Loop: Header=BB282_14 Depth=1
	s_or_b64 exec, exec, s[40:41]
	global_load_ubyte v0, v[21:22], off offset:776
	s_waitcnt vmcnt(0)
	v_cmp_ne_u16_e64 s[4:5], 0, v0
	s_and_saveexec_b64 s[40:41], s[4:5]
	s_cbranch_execz .LBB282_103
; %bb.98:                               ;   in Loop: Header=BB282_14 Depth=1
	v_cmp_ne_u16_e64 s[4:5], s52, v0
	v_bfrev_b32_e32 v52, 1
	s_and_saveexec_b64 s[42:43], s[4:5]
	s_cbranch_execz .LBB282_102
; %bb.99:                               ;   in Loop: Header=BB282_14 Depth=1
	v_and_b32_e32 v23, 0xffff, v0
	v_and_b32_e32 v17, 0x7f, v23
	v_cmp_ne_u32_e64 s[4:5], s53, v17
	v_mov_b32_e32 v52, 0x7f800001
	s_and_saveexec_b64 s[44:45], s[4:5]
	s_cbranch_execz .LBB282_101
; %bb.100:                              ;   in Loop: Header=BB282_14 Depth=1
	v_and_b32_e32 v18, 7, v23
	v_ffbh_u32_e32 v24, v18
	v_min_u32_e32 v27, 32, v24
	v_subrev_u32_e32 v24, 28, v27
	v_lshlrev_b64 v[23:24], v24, v[23:24]
	v_lshrrev_b32_e32 v25, 3, v17
	v_sub_u32_e32 v24, 29, v27
	v_and_b32_e32 v23, 7, v23
	v_cmp_gt_u32_e64 s[4:5], 8, v17
	v_cndmask_b32_e64 v17, v25, v24, s[4:5]
	v_cndmask_b32_e64 v18, v18, v23, s[4:5]
	v_lshlrev_b32_e32 v0, 24, v0
	v_bfrev_b32_e32 v23, 60
	v_lshlrev_b32_e32 v18, 20, v18
	v_and_b32_e32 v0, 0x80000000, v0
	v_lshl_add_u32 v17, v17, 23, v23
	v_or3_b32 v52, v0, v17, v18
.LBB282_101:                            ;   in Loop: Header=BB282_14 Depth=1
	s_or_b64 exec, exec, s[44:45]
.LBB282_102:                            ;   in Loop: Header=BB282_14 Depth=1
	s_or_b64 exec, exec, s[42:43]
.LBB282_103:                            ;   in Loop: Header=BB282_14 Depth=1
	s_or_b64 exec, exec, s[40:41]
	global_load_ubyte v0, v[21:22], off offset:896
	v_mov_b32_e32 v54, 0
	v_mov_b32_e32 v53, 0
	s_waitcnt vmcnt(0)
	v_cmp_ne_u16_e64 s[4:5], 0, v0
	s_and_saveexec_b64 s[40:41], s[4:5]
	s_cbranch_execz .LBB282_109
; %bb.104:                              ;   in Loop: Header=BB282_14 Depth=1
	v_cmp_ne_u16_e64 s[4:5], s52, v0
	v_bfrev_b32_e32 v53, 1
	s_and_saveexec_b64 s[42:43], s[4:5]
	s_cbranch_execz .LBB282_108
; %bb.105:                              ;   in Loop: Header=BB282_14 Depth=1
	v_and_b32_e32 v23, 0xffff, v0
	v_and_b32_e32 v17, 0x7f, v23
	v_cmp_ne_u32_e64 s[4:5], s53, v17
	v_mov_b32_e32 v53, 0x7f800001
	s_and_saveexec_b64 s[44:45], s[4:5]
	s_cbranch_execz .LBB282_107
; %bb.106:                              ;   in Loop: Header=BB282_14 Depth=1
	v_and_b32_e32 v18, 7, v23
	v_ffbh_u32_e32 v24, v18
	v_min_u32_e32 v27, 32, v24
	v_subrev_u32_e32 v24, 28, v27
	v_lshlrev_b64 v[23:24], v24, v[23:24]
	v_lshrrev_b32_e32 v25, 3, v17
	v_sub_u32_e32 v24, 29, v27
	v_and_b32_e32 v23, 7, v23
	v_cmp_gt_u32_e64 s[4:5], 8, v17
	v_cndmask_b32_e64 v17, v25, v24, s[4:5]
	v_cndmask_b32_e64 v18, v18, v23, s[4:5]
	v_lshlrev_b32_e32 v0, 24, v0
	v_bfrev_b32_e32 v23, 60
	v_lshlrev_b32_e32 v18, 20, v18
	v_and_b32_e32 v0, 0x80000000, v0
	v_lshl_add_u32 v17, v17, 23, v23
	v_or3_b32 v53, v0, v17, v18
.LBB282_107:                            ;   in Loop: Header=BB282_14 Depth=1
	s_or_b64 exec, exec, s[44:45]
.LBB282_108:                            ;   in Loop: Header=BB282_14 Depth=1
	s_or_b64 exec, exec, s[42:43]
.LBB282_109:                            ;   in Loop: Header=BB282_14 Depth=1
	s_or_b64 exec, exec, s[40:41]
	global_load_ubyte v0, v[21:22], off offset:904
	s_waitcnt vmcnt(0)
	v_cmp_ne_u16_e64 s[4:5], 0, v0
	s_and_saveexec_b64 s[40:41], s[4:5]
	s_cbranch_execz .LBB282_115
; %bb.110:                              ;   in Loop: Header=BB282_14 Depth=1
	v_cmp_ne_u16_e64 s[4:5], s52, v0
	v_bfrev_b32_e32 v54, 1
	s_and_saveexec_b64 s[42:43], s[4:5]
	s_cbranch_execz .LBB282_114
; %bb.111:                              ;   in Loop: Header=BB282_14 Depth=1
	v_and_b32_e32 v23, 0xffff, v0
	v_and_b32_e32 v17, 0x7f, v23
	v_cmp_ne_u32_e64 s[4:5], s53, v17
	v_mov_b32_e32 v54, 0x7f800001
	s_and_saveexec_b64 s[44:45], s[4:5]
	s_cbranch_execz .LBB282_113
; %bb.112:                              ;   in Loop: Header=BB282_14 Depth=1
	v_and_b32_e32 v18, 7, v23
	v_ffbh_u32_e32 v24, v18
	v_min_u32_e32 v27, 32, v24
	v_subrev_u32_e32 v24, 28, v27
	v_lshlrev_b64 v[23:24], v24, v[23:24]
	v_lshrrev_b32_e32 v25, 3, v17
	v_sub_u32_e32 v24, 29, v27
	v_and_b32_e32 v23, 7, v23
	v_cmp_gt_u32_e64 s[4:5], 8, v17
	v_cndmask_b32_e64 v17, v25, v24, s[4:5]
	v_cndmask_b32_e64 v18, v18, v23, s[4:5]
	v_lshlrev_b32_e32 v0, 24, v0
	v_bfrev_b32_e32 v23, 60
	v_lshlrev_b32_e32 v18, 20, v18
	v_and_b32_e32 v0, 0x80000000, v0
	v_lshl_add_u32 v17, v17, 23, v23
	v_or3_b32 v54, v0, v17, v18
.LBB282_113:                            ;   in Loop: Header=BB282_14 Depth=1
	s_or_b64 exec, exec, s[44:45]
.LBB282_114:                            ;   in Loop: Header=BB282_14 Depth=1
	s_or_b64 exec, exec, s[42:43]
.LBB282_115:                            ;   in Loop: Header=BB282_14 Depth=1
	s_or_b64 exec, exec, s[40:41]
	global_load_ubyte v0, v[21:22], off offset:1024
	v_mov_b32_e32 v56, 0
	v_mov_b32_e32 v55, 0
	s_waitcnt vmcnt(0)
	v_cmp_ne_u16_e64 s[4:5], 0, v0
	s_and_saveexec_b64 s[40:41], s[4:5]
	s_cbranch_execz .LBB282_121
; %bb.116:                              ;   in Loop: Header=BB282_14 Depth=1
	v_cmp_ne_u16_e64 s[4:5], s52, v0
	v_bfrev_b32_e32 v55, 1
	s_and_saveexec_b64 s[42:43], s[4:5]
	s_cbranch_execz .LBB282_120
; %bb.117:                              ;   in Loop: Header=BB282_14 Depth=1
	v_and_b32_e32 v23, 0xffff, v0
	v_and_b32_e32 v17, 0x7f, v23
	v_cmp_ne_u32_e64 s[4:5], s53, v17
	v_mov_b32_e32 v55, 0x7f800001
	s_and_saveexec_b64 s[44:45], s[4:5]
	s_cbranch_execz .LBB282_119
; %bb.118:                              ;   in Loop: Header=BB282_14 Depth=1
	v_and_b32_e32 v24, 7, v23
	v_lshrrev_b32_e32 v25, 3, v17
	v_cmp_gt_u32_e64 s[4:5], 8, v17
	v_ffbh_u32_e32 v17, v24
	v_min_u32_e32 v27, 32, v17
	v_subrev_u32_e32 v17, 28, v27
	v_lshlrev_b64 v[17:18], v17, v[23:24]
	v_sub_u32_e32 v18, 29, v27
	v_and_b32_e32 v17, 7, v17
	v_cndmask_b32_e64 v18, v25, v18, s[4:5]
	v_cndmask_b32_e64 v17, v24, v17, s[4:5]
	v_lshlrev_b32_e32 v0, 24, v0
	v_bfrev_b32_e32 v23, 60
	v_lshlrev_b32_e32 v17, 20, v17
	v_and_b32_e32 v0, 0x80000000, v0
	v_lshl_add_u32 v18, v18, 23, v23
	v_or3_b32 v55, v0, v18, v17
.LBB282_119:                            ;   in Loop: Header=BB282_14 Depth=1
	s_or_b64 exec, exec, s[44:45]
.LBB282_120:                            ;   in Loop: Header=BB282_14 Depth=1
	s_or_b64 exec, exec, s[42:43]
.LBB282_121:                            ;   in Loop: Header=BB282_14 Depth=1
	s_or_b64 exec, exec, s[40:41]
	global_load_ubyte v0, v[21:22], off offset:1032
	s_waitcnt vmcnt(0)
	v_cmp_ne_u16_e64 s[4:5], 0, v0
	s_and_saveexec_b64 s[40:41], s[4:5]
	s_cbranch_execz .LBB282_127
; %bb.122:                              ;   in Loop: Header=BB282_14 Depth=1
	v_cmp_ne_u16_e64 s[4:5], s52, v0
	v_bfrev_b32_e32 v56, 1
	s_and_saveexec_b64 s[42:43], s[4:5]
	s_cbranch_execz .LBB282_126
; %bb.123:                              ;   in Loop: Header=BB282_14 Depth=1
	v_and_b32_e32 v23, 0xffff, v0
	v_and_b32_e32 v17, 0x7f, v23
	v_cmp_ne_u32_e64 s[4:5], s53, v17
	v_mov_b32_e32 v56, 0x7f800001
	s_and_saveexec_b64 s[44:45], s[4:5]
	s_cbranch_execz .LBB282_125
; %bb.124:                              ;   in Loop: Header=BB282_14 Depth=1
	v_and_b32_e32 v24, 7, v23
	v_lshrrev_b32_e32 v25, 3, v17
	v_cmp_gt_u32_e64 s[4:5], 8, v17
	v_ffbh_u32_e32 v17, v24
	v_min_u32_e32 v27, 32, v17
	v_subrev_u32_e32 v17, 28, v27
	v_lshlrev_b64 v[17:18], v17, v[23:24]
	v_sub_u32_e32 v18, 29, v27
	v_and_b32_e32 v17, 7, v17
	v_cndmask_b32_e64 v18, v25, v18, s[4:5]
	v_cndmask_b32_e64 v17, v24, v17, s[4:5]
	v_lshlrev_b32_e32 v0, 24, v0
	v_bfrev_b32_e32 v23, 60
	v_lshlrev_b32_e32 v17, 20, v17
	v_and_b32_e32 v0, 0x80000000, v0
	v_lshl_add_u32 v18, v18, 23, v23
	v_or3_b32 v56, v0, v18, v17
.LBB282_125:                            ;   in Loop: Header=BB282_14 Depth=1
	s_or_b64 exec, exec, s[44:45]
.LBB282_126:                            ;   in Loop: Header=BB282_14 Depth=1
	s_or_b64 exec, exec, s[42:43]
.LBB282_127:                            ;   in Loop: Header=BB282_14 Depth=1
	s_or_b64 exec, exec, s[40:41]
	global_load_ubyte v0, v[21:22], off offset:1152
	v_mov_b32_e32 v50, 0
	v_mov_b32_e32 v57, 0
	s_waitcnt vmcnt(0)
	v_cmp_ne_u16_e64 s[4:5], 0, v0
	s_and_saveexec_b64 s[40:41], s[4:5]
	s_cbranch_execz .LBB282_133
; %bb.128:                              ;   in Loop: Header=BB282_14 Depth=1
	v_cmp_ne_u16_e64 s[4:5], s52, v0
	v_bfrev_b32_e32 v57, 1
	s_and_saveexec_b64 s[42:43], s[4:5]
	s_cbranch_execz .LBB282_132
; %bb.129:                              ;   in Loop: Header=BB282_14 Depth=1
	v_and_b32_e32 v23, 0xffff, v0
	v_and_b32_e32 v17, 0x7f, v23
	v_cmp_ne_u32_e64 s[4:5], s53, v17
	v_mov_b32_e32 v57, 0x7f800001
	s_and_saveexec_b64 s[44:45], s[4:5]
	s_cbranch_execz .LBB282_131
; %bb.130:                              ;   in Loop: Header=BB282_14 Depth=1
	v_and_b32_e32 v24, 7, v23
	v_lshrrev_b32_e32 v25, 3, v17
	v_cmp_gt_u32_e64 s[4:5], 8, v17
	v_ffbh_u32_e32 v17, v24
	v_min_u32_e32 v27, 32, v17
	v_subrev_u32_e32 v17, 28, v27
	v_lshlrev_b64 v[17:18], v17, v[23:24]
	v_sub_u32_e32 v18, 29, v27
	v_and_b32_e32 v17, 7, v17
	v_cndmask_b32_e64 v18, v25, v18, s[4:5]
	v_cndmask_b32_e64 v17, v24, v17, s[4:5]
	v_lshlrev_b32_e32 v0, 24, v0
	v_bfrev_b32_e32 v23, 60
	v_lshlrev_b32_e32 v17, 20, v17
	v_and_b32_e32 v0, 0x80000000, v0
	v_lshl_add_u32 v18, v18, 23, v23
	v_or3_b32 v57, v0, v18, v17
.LBB282_131:                            ;   in Loop: Header=BB282_14 Depth=1
	s_or_b64 exec, exec, s[44:45]
.LBB282_132:                            ;   in Loop: Header=BB282_14 Depth=1
	s_or_b64 exec, exec, s[42:43]
.LBB282_133:                            ;   in Loop: Header=BB282_14 Depth=1
	s_or_b64 exec, exec, s[40:41]
	global_load_ubyte v0, v[21:22], off offset:1160
	s_waitcnt vmcnt(0)
	v_cmp_ne_u16_e64 s[4:5], 0, v0
	s_and_saveexec_b64 s[40:41], s[4:5]
	s_cbranch_execz .LBB282_139
; %bb.134:                              ;   in Loop: Header=BB282_14 Depth=1
	v_cmp_ne_u16_e64 s[4:5], s52, v0
	v_bfrev_b32_e32 v50, 1
	s_and_saveexec_b64 s[42:43], s[4:5]
	s_cbranch_execz .LBB282_138
; %bb.135:                              ;   in Loop: Header=BB282_14 Depth=1
	v_and_b32_e32 v23, 0xffff, v0
	v_and_b32_e32 v17, 0x7f, v23
	v_cmp_ne_u32_e64 s[4:5], s53, v17
	v_mov_b32_e32 v50, 0x7f800001
	s_and_saveexec_b64 s[44:45], s[4:5]
	s_cbranch_execz .LBB282_137
; %bb.136:                              ;   in Loop: Header=BB282_14 Depth=1
	v_and_b32_e32 v24, 7, v23
	v_lshrrev_b32_e32 v25, 3, v17
	v_cmp_gt_u32_e64 s[4:5], 8, v17
	v_ffbh_u32_e32 v17, v24
	v_min_u32_e32 v27, 32, v17
	v_subrev_u32_e32 v17, 28, v27
	v_lshlrev_b64 v[17:18], v17, v[23:24]
	v_sub_u32_e32 v18, 29, v27
	v_and_b32_e32 v17, 7, v17
	v_cndmask_b32_e64 v18, v25, v18, s[4:5]
	v_cndmask_b32_e64 v17, v24, v17, s[4:5]
	v_lshlrev_b32_e32 v0, 24, v0
	v_bfrev_b32_e32 v23, 60
	v_lshlrev_b32_e32 v17, 20, v17
	v_and_b32_e32 v0, 0x80000000, v0
	v_lshl_add_u32 v18, v18, 23, v23
	v_or3_b32 v50, v0, v18, v17
.LBB282_137:                            ;   in Loop: Header=BB282_14 Depth=1
	s_or_b64 exec, exec, s[44:45]
.LBB282_138:                            ;   in Loop: Header=BB282_14 Depth=1
	s_or_b64 exec, exec, s[42:43]
.LBB282_139:                            ;   in Loop: Header=BB282_14 Depth=1
	s_or_b64 exec, exec, s[40:41]
	global_load_ubyte v0, v[21:22], off offset:1280
	v_mov_b32_e32 v60, 0
	v_mov_b32_e32 v59, 0
	s_waitcnt vmcnt(0)
	v_cmp_ne_u16_e64 s[4:5], 0, v0
	s_and_saveexec_b64 s[40:41], s[4:5]
	s_cbranch_execz .LBB282_145
; %bb.140:                              ;   in Loop: Header=BB282_14 Depth=1
	v_cmp_ne_u16_e64 s[4:5], s52, v0
	v_bfrev_b32_e32 v59, 1
	s_and_saveexec_b64 s[42:43], s[4:5]
	s_cbranch_execz .LBB282_144
; %bb.141:                              ;   in Loop: Header=BB282_14 Depth=1
	v_and_b32_e32 v23, 0xffff, v0
	v_and_b32_e32 v17, 0x7f, v23
	v_cmp_ne_u32_e64 s[4:5], s53, v17
	v_mov_b32_e32 v59, 0x7f800001
	s_and_saveexec_b64 s[44:45], s[4:5]
	s_cbranch_execz .LBB282_143
; %bb.142:                              ;   in Loop: Header=BB282_14 Depth=1
	v_and_b32_e32 v24, 7, v23
	v_lshrrev_b32_e32 v25, 3, v17
	v_cmp_gt_u32_e64 s[4:5], 8, v17
	v_ffbh_u32_e32 v17, v24
	v_min_u32_e32 v27, 32, v17
	v_subrev_u32_e32 v17, 28, v27
	v_lshlrev_b64 v[17:18], v17, v[23:24]
	v_sub_u32_e32 v18, 29, v27
	v_and_b32_e32 v17, 7, v17
	v_cndmask_b32_e64 v18, v25, v18, s[4:5]
	v_cndmask_b32_e64 v17, v24, v17, s[4:5]
	v_lshlrev_b32_e32 v0, 24, v0
	v_bfrev_b32_e32 v23, 60
	v_lshlrev_b32_e32 v17, 20, v17
	v_and_b32_e32 v0, 0x80000000, v0
	v_lshl_add_u32 v18, v18, 23, v23
	v_or3_b32 v59, v0, v18, v17
.LBB282_143:                            ;   in Loop: Header=BB282_14 Depth=1
	s_or_b64 exec, exec, s[44:45]
.LBB282_144:                            ;   in Loop: Header=BB282_14 Depth=1
	s_or_b64 exec, exec, s[42:43]
.LBB282_145:                            ;   in Loop: Header=BB282_14 Depth=1
	s_or_b64 exec, exec, s[40:41]
	global_load_ubyte v0, v[21:22], off offset:1288
	s_waitcnt vmcnt(0)
	v_cmp_ne_u16_e64 s[4:5], 0, v0
	s_and_saveexec_b64 s[40:41], s[4:5]
	s_cbranch_execz .LBB282_151
; %bb.146:                              ;   in Loop: Header=BB282_14 Depth=1
	v_cmp_ne_u16_e64 s[4:5], s52, v0
	v_bfrev_b32_e32 v60, 1
	s_and_saveexec_b64 s[42:43], s[4:5]
	s_cbranch_execz .LBB282_150
; %bb.147:                              ;   in Loop: Header=BB282_14 Depth=1
	v_and_b32_e32 v23, 0xffff, v0
	v_and_b32_e32 v17, 0x7f, v23
	v_cmp_ne_u32_e64 s[4:5], s53, v17
	v_mov_b32_e32 v60, 0x7f800001
	s_and_saveexec_b64 s[44:45], s[4:5]
	s_cbranch_execz .LBB282_149
; %bb.148:                              ;   in Loop: Header=BB282_14 Depth=1
	v_and_b32_e32 v24, 7, v23
	v_lshrrev_b32_e32 v25, 3, v17
	v_cmp_gt_u32_e64 s[4:5], 8, v17
	v_ffbh_u32_e32 v17, v24
	v_min_u32_e32 v27, 32, v17
	v_subrev_u32_e32 v17, 28, v27
	v_lshlrev_b64 v[17:18], v17, v[23:24]
	v_sub_u32_e32 v18, 29, v27
	v_and_b32_e32 v17, 7, v17
	v_cndmask_b32_e64 v18, v25, v18, s[4:5]
	v_cndmask_b32_e64 v17, v24, v17, s[4:5]
	v_lshlrev_b32_e32 v0, 24, v0
	v_bfrev_b32_e32 v23, 60
	v_lshlrev_b32_e32 v17, 20, v17
	v_and_b32_e32 v0, 0x80000000, v0
	v_lshl_add_u32 v18, v18, 23, v23
	v_or3_b32 v60, v0, v18, v17
.LBB282_149:                            ;   in Loop: Header=BB282_14 Depth=1
	s_or_b64 exec, exec, s[44:45]
.LBB282_150:                            ;   in Loop: Header=BB282_14 Depth=1
	s_or_b64 exec, exec, s[42:43]
.LBB282_151:                            ;   in Loop: Header=BB282_14 Depth=1
	s_or_b64 exec, exec, s[40:41]
	global_load_ubyte v0, v[21:22], off offset:1408
	v_mov_b32_e32 v62, 0
	v_mov_b32_e32 v61, 0
	s_waitcnt vmcnt(0)
	v_cmp_ne_u16_e64 s[4:5], 0, v0
	s_and_saveexec_b64 s[40:41], s[4:5]
	s_cbranch_execz .LBB282_157
; %bb.152:                              ;   in Loop: Header=BB282_14 Depth=1
	v_cmp_ne_u16_e64 s[4:5], s52, v0
	v_bfrev_b32_e32 v61, 1
	s_and_saveexec_b64 s[42:43], s[4:5]
	s_cbranch_execz .LBB282_156
; %bb.153:                              ;   in Loop: Header=BB282_14 Depth=1
	v_and_b32_e32 v23, 0xffff, v0
	v_and_b32_e32 v17, 0x7f, v23
	v_cmp_ne_u32_e64 s[4:5], s53, v17
	v_mov_b32_e32 v61, 0x7f800001
	s_and_saveexec_b64 s[44:45], s[4:5]
	s_cbranch_execz .LBB282_155
; %bb.154:                              ;   in Loop: Header=BB282_14 Depth=1
	v_and_b32_e32 v24, 7, v23
	v_lshrrev_b32_e32 v25, 3, v17
	v_cmp_gt_u32_e64 s[4:5], 8, v17
	v_ffbh_u32_e32 v17, v24
	v_min_u32_e32 v27, 32, v17
	v_subrev_u32_e32 v17, 28, v27
	v_lshlrev_b64 v[17:18], v17, v[23:24]
	v_sub_u32_e32 v18, 29, v27
	v_and_b32_e32 v17, 7, v17
	v_cndmask_b32_e64 v18, v25, v18, s[4:5]
	v_cndmask_b32_e64 v17, v24, v17, s[4:5]
	v_lshlrev_b32_e32 v0, 24, v0
	v_bfrev_b32_e32 v23, 60
	v_lshlrev_b32_e32 v17, 20, v17
	v_and_b32_e32 v0, 0x80000000, v0
	v_lshl_add_u32 v18, v18, 23, v23
	v_or3_b32 v61, v0, v18, v17
.LBB282_155:                            ;   in Loop: Header=BB282_14 Depth=1
	s_or_b64 exec, exec, s[44:45]
.LBB282_156:                            ;   in Loop: Header=BB282_14 Depth=1
	s_or_b64 exec, exec, s[42:43]
.LBB282_157:                            ;   in Loop: Header=BB282_14 Depth=1
	s_or_b64 exec, exec, s[40:41]
	global_load_ubyte v0, v[21:22], off offset:1416
	s_waitcnt vmcnt(0)
	v_cmp_ne_u16_e64 s[4:5], 0, v0
	s_and_saveexec_b64 s[40:41], s[4:5]
	s_cbranch_execz .LBB282_163
; %bb.158:                              ;   in Loop: Header=BB282_14 Depth=1
	v_cmp_ne_u16_e64 s[4:5], s52, v0
	v_bfrev_b32_e32 v62, 1
	s_and_saveexec_b64 s[42:43], s[4:5]
	s_cbranch_execz .LBB282_162
; %bb.159:                              ;   in Loop: Header=BB282_14 Depth=1
	v_and_b32_e32 v23, 0xffff, v0
	v_and_b32_e32 v17, 0x7f, v23
	v_cmp_ne_u32_e64 s[4:5], s53, v17
	v_mov_b32_e32 v62, 0x7f800001
	s_and_saveexec_b64 s[44:45], s[4:5]
	s_cbranch_execz .LBB282_161
; %bb.160:                              ;   in Loop: Header=BB282_14 Depth=1
	v_and_b32_e32 v24, 7, v23
	v_lshrrev_b32_e32 v25, 3, v17
	v_cmp_gt_u32_e64 s[4:5], 8, v17
	v_ffbh_u32_e32 v17, v24
	v_min_u32_e32 v27, 32, v17
	v_subrev_u32_e32 v17, 28, v27
	v_lshlrev_b64 v[17:18], v17, v[23:24]
	v_sub_u32_e32 v18, 29, v27
	v_and_b32_e32 v17, 7, v17
	v_cndmask_b32_e64 v18, v25, v18, s[4:5]
	v_cndmask_b32_e64 v17, v24, v17, s[4:5]
	v_lshlrev_b32_e32 v0, 24, v0
	v_bfrev_b32_e32 v23, 60
	v_lshlrev_b32_e32 v17, 20, v17
	v_and_b32_e32 v0, 0x80000000, v0
	v_lshl_add_u32 v18, v18, 23, v23
	v_or3_b32 v62, v0, v18, v17
.LBB282_161:                            ;   in Loop: Header=BB282_14 Depth=1
	s_or_b64 exec, exec, s[44:45]
.LBB282_162:                            ;   in Loop: Header=BB282_14 Depth=1
	s_or_b64 exec, exec, s[42:43]
.LBB282_163:                            ;   in Loop: Header=BB282_14 Depth=1
	s_or_b64 exec, exec, s[40:41]
	global_load_ubyte v0, v[21:22], off offset:1536
	v_mov_b32_e32 v27, 0
	v_mov_b32_e32 v63, 0
	s_waitcnt vmcnt(0)
	v_cmp_ne_u16_e64 s[4:5], 0, v0
	s_and_saveexec_b64 s[40:41], s[4:5]
	s_cbranch_execz .LBB282_169
; %bb.164:                              ;   in Loop: Header=BB282_14 Depth=1
	v_cmp_ne_u16_e64 s[4:5], s52, v0
	v_bfrev_b32_e32 v63, 1
	s_and_saveexec_b64 s[42:43], s[4:5]
	s_cbranch_execz .LBB282_168
; %bb.165:                              ;   in Loop: Header=BB282_14 Depth=1
	v_and_b32_e32 v23, 0xffff, v0
	v_and_b32_e32 v17, 0x7f, v23
	v_cmp_ne_u32_e64 s[4:5], s53, v17
	v_mov_b32_e32 v63, 0x7f800001
	s_and_saveexec_b64 s[44:45], s[4:5]
	s_cbranch_execz .LBB282_167
; %bb.166:                              ;   in Loop: Header=BB282_14 Depth=1
	v_and_b32_e32 v24, 7, v23
	v_lshrrev_b32_e32 v25, 3, v17
	v_cmp_gt_u32_e64 s[4:5], 8, v17
	v_ffbh_u32_e32 v17, v24
	v_min_u32_e32 v28, 32, v17
	v_subrev_u32_e32 v17, 28, v28
	v_lshlrev_b64 v[17:18], v17, v[23:24]
	v_sub_u32_e32 v18, 29, v28
	v_and_b32_e32 v17, 7, v17
	v_cndmask_b32_e64 v18, v25, v18, s[4:5]
	v_cndmask_b32_e64 v17, v24, v17, s[4:5]
	v_lshlrev_b32_e32 v0, 24, v0
	v_bfrev_b32_e32 v23, 60
	v_lshlrev_b32_e32 v17, 20, v17
	v_and_b32_e32 v0, 0x80000000, v0
	v_lshl_add_u32 v18, v18, 23, v23
	v_or3_b32 v63, v0, v18, v17
.LBB282_167:                            ;   in Loop: Header=BB282_14 Depth=1
	s_or_b64 exec, exec, s[44:45]
.LBB282_168:                            ;   in Loop: Header=BB282_14 Depth=1
	s_or_b64 exec, exec, s[42:43]
.LBB282_169:                            ;   in Loop: Header=BB282_14 Depth=1
	s_or_b64 exec, exec, s[40:41]
	global_load_ubyte v0, v[21:22], off offset:1544
	s_waitcnt vmcnt(0)
	v_cmp_ne_u16_e64 s[4:5], 0, v0
	s_and_saveexec_b64 s[40:41], s[4:5]
	s_cbranch_execz .LBB282_175
; %bb.170:                              ;   in Loop: Header=BB282_14 Depth=1
	v_cmp_ne_u16_e64 s[4:5], s52, v0
	v_bfrev_b32_e32 v27, 1
	s_and_saveexec_b64 s[42:43], s[4:5]
	s_cbranch_execz .LBB282_174
; %bb.171:                              ;   in Loop: Header=BB282_14 Depth=1
	v_and_b32_e32 v23, 0xffff, v0
	v_and_b32_e32 v17, 0x7f, v23
	v_cmp_ne_u32_e64 s[4:5], s53, v17
	v_mov_b32_e32 v27, 0x7f800001
	s_and_saveexec_b64 s[44:45], s[4:5]
	s_cbranch_execz .LBB282_173
; %bb.172:                              ;   in Loop: Header=BB282_14 Depth=1
	v_and_b32_e32 v24, 7, v23
	v_lshrrev_b32_e32 v25, 3, v17
	v_cmp_gt_u32_e64 s[4:5], 8, v17
	v_ffbh_u32_e32 v17, v24
	v_min_u32_e32 v27, 32, v17
	v_subrev_u32_e32 v17, 28, v27
	v_lshlrev_b64 v[17:18], v17, v[23:24]
	v_sub_u32_e32 v18, 29, v27
	v_and_b32_e32 v17, 7, v17
	v_cndmask_b32_e64 v18, v25, v18, s[4:5]
	v_cndmask_b32_e64 v17, v24, v17, s[4:5]
	v_lshlrev_b32_e32 v0, 24, v0
	v_bfrev_b32_e32 v23, 60
	v_lshlrev_b32_e32 v17, 20, v17
	v_and_b32_e32 v0, 0x80000000, v0
	v_lshl_add_u32 v18, v18, 23, v23
	v_or3_b32 v27, v0, v18, v17
.LBB282_173:                            ;   in Loop: Header=BB282_14 Depth=1
	s_or_b64 exec, exec, s[44:45]
.LBB282_174:                            ;   in Loop: Header=BB282_14 Depth=1
	s_or_b64 exec, exec, s[42:43]
.LBB282_175:                            ;   in Loop: Header=BB282_14 Depth=1
	s_or_b64 exec, exec, s[40:41]
	global_load_ubyte v0, v[21:22], off offset:1664
	v_mov_b32_e32 v29, 0
	v_mov_b32_e32 v24, 0
	s_waitcnt vmcnt(0)
	v_cmp_ne_u16_e64 s[4:5], 0, v0
	s_and_saveexec_b64 s[40:41], s[4:5]
	s_cbranch_execz .LBB282_181
; %bb.176:                              ;   in Loop: Header=BB282_14 Depth=1
	v_cmp_ne_u16_e64 s[4:5], s52, v0
	v_bfrev_b32_e32 v24, 1
	s_and_saveexec_b64 s[42:43], s[4:5]
	s_cbranch_execz .LBB282_180
; %bb.177:                              ;   in Loop: Header=BB282_14 Depth=1
	v_and_b32_e32 v23, 0xffff, v0
	v_and_b32_e32 v17, 0x7f, v23
	v_cmp_ne_u32_e64 s[4:5], s53, v17
	v_mov_b32_e32 v24, 0x7f800001
	s_and_saveexec_b64 s[44:45], s[4:5]
	s_cbranch_execz .LBB282_179
; %bb.178:                              ;   in Loop: Header=BB282_14 Depth=1
	v_and_b32_e32 v24, 7, v23
	v_lshrrev_b32_e32 v25, 3, v17
	v_cmp_gt_u32_e64 s[4:5], 8, v17
	v_ffbh_u32_e32 v17, v24
	v_min_u32_e32 v28, 32, v17
	v_subrev_u32_e32 v17, 28, v28
	v_lshlrev_b64 v[17:18], v17, v[23:24]
	v_sub_u32_e32 v18, 29, v28
	v_and_b32_e32 v17, 7, v17
	v_cndmask_b32_e64 v18, v25, v18, s[4:5]
	v_cndmask_b32_e64 v17, v24, v17, s[4:5]
	v_lshlrev_b32_e32 v0, 24, v0
	v_bfrev_b32_e32 v23, 60
	v_lshlrev_b32_e32 v17, 20, v17
	v_and_b32_e32 v0, 0x80000000, v0
	v_lshl_add_u32 v18, v18, 23, v23
	v_or3_b32 v24, v0, v18, v17
.LBB282_179:                            ;   in Loop: Header=BB282_14 Depth=1
	s_or_b64 exec, exec, s[44:45]
.LBB282_180:                            ;   in Loop: Header=BB282_14 Depth=1
	s_or_b64 exec, exec, s[42:43]
.LBB282_181:                            ;   in Loop: Header=BB282_14 Depth=1
	s_or_b64 exec, exec, s[40:41]
	global_load_ubyte v0, v[21:22], off offset:1672
	s_waitcnt vmcnt(0)
	v_cmp_ne_u16_e64 s[4:5], 0, v0
	s_and_saveexec_b64 s[40:41], s[4:5]
	s_cbranch_execz .LBB282_187
; %bb.182:                              ;   in Loop: Header=BB282_14 Depth=1
	v_cmp_ne_u16_e64 s[4:5], s52, v0
	v_bfrev_b32_e32 v29, 1
	s_and_saveexec_b64 s[42:43], s[4:5]
	s_cbranch_execz .LBB282_186
; %bb.183:                              ;   in Loop: Header=BB282_14 Depth=1
	v_and_b32_e32 v23, 0xffff, v0
	v_and_b32_e32 v17, 0x7f, v23
	v_cmp_ne_u32_e64 s[4:5], s53, v17
	v_mov_b32_e32 v29, 0x7f800001
	s_and_saveexec_b64 s[44:45], s[4:5]
	s_cbranch_execz .LBB282_185
; %bb.184:                              ;   in Loop: Header=BB282_14 Depth=1
	v_and_b32_e32 v25, 7, v23
	v_lshrrev_b32_e32 v28, 3, v17
	v_cmp_gt_u32_e64 s[4:5], 8, v17
	v_ffbh_u32_e32 v17, v25
	v_min_u32_e32 v29, 32, v17
	v_subrev_u32_e32 v17, 28, v29
	v_lshlrev_b64 v[17:18], v17, v[23:24]
	v_sub_u32_e32 v18, 29, v29
	v_and_b32_e32 v17, 7, v17
	v_cndmask_b32_e64 v18, v28, v18, s[4:5]
	v_cndmask_b32_e64 v17, v25, v17, s[4:5]
	v_lshlrev_b32_e32 v0, 24, v0
	v_bfrev_b32_e32 v23, 60
	v_lshlrev_b32_e32 v17, 20, v17
	v_and_b32_e32 v0, 0x80000000, v0
	v_lshl_add_u32 v18, v18, 23, v23
	v_or3_b32 v29, v0, v18, v17
.LBB282_185:                            ;   in Loop: Header=BB282_14 Depth=1
	s_or_b64 exec, exec, s[44:45]
.LBB282_186:                            ;   in Loop: Header=BB282_14 Depth=1
	s_or_b64 exec, exec, s[42:43]
.LBB282_187:                            ;   in Loop: Header=BB282_14 Depth=1
	s_or_b64 exec, exec, s[40:41]
	global_load_ubyte v0, v[21:22], off offset:1792
	v_mov_b32_e32 v40, 0
	v_mov_b32_e32 v39, 0
	s_waitcnt vmcnt(0)
	v_cmp_ne_u16_e64 s[4:5], 0, v0
	s_and_saveexec_b64 s[40:41], s[4:5]
	s_cbranch_execz .LBB282_193
; %bb.188:                              ;   in Loop: Header=BB282_14 Depth=1
	v_cmp_ne_u16_e64 s[4:5], s52, v0
	v_bfrev_b32_e32 v39, 1
	s_and_saveexec_b64 s[42:43], s[4:5]
	s_cbranch_execz .LBB282_192
; %bb.189:                              ;   in Loop: Header=BB282_14 Depth=1
	v_and_b32_e32 v23, 0xffff, v0
	v_and_b32_e32 v17, 0x7f, v23
	v_cmp_ne_u32_e64 s[4:5], s53, v17
	v_mov_b32_e32 v39, 0x7f800001
	s_and_saveexec_b64 s[44:45], s[4:5]
	s_cbranch_execz .LBB282_191
; %bb.190:                              ;   in Loop: Header=BB282_14 Depth=1
	v_and_b32_e32 v25, 7, v23
	v_lshrrev_b32_e32 v28, 3, v17
	v_cmp_gt_u32_e64 s[4:5], 8, v17
	v_ffbh_u32_e32 v17, v25
	v_min_u32_e32 v30, 32, v17
	v_subrev_u32_e32 v17, 28, v30
	v_lshlrev_b64 v[17:18], v17, v[23:24]
	v_sub_u32_e32 v18, 29, v30
	v_and_b32_e32 v17, 7, v17
	v_cndmask_b32_e64 v18, v28, v18, s[4:5]
	v_cndmask_b32_e64 v17, v25, v17, s[4:5]
	v_lshlrev_b32_e32 v0, 24, v0
	v_bfrev_b32_e32 v23, 60
	v_lshlrev_b32_e32 v17, 20, v17
	v_and_b32_e32 v0, 0x80000000, v0
	v_lshl_add_u32 v18, v18, 23, v23
	v_or3_b32 v39, v0, v18, v17
.LBB282_191:                            ;   in Loop: Header=BB282_14 Depth=1
	s_or_b64 exec, exec, s[44:45]
.LBB282_192:                            ;   in Loop: Header=BB282_14 Depth=1
	s_or_b64 exec, exec, s[42:43]
.LBB282_193:                            ;   in Loop: Header=BB282_14 Depth=1
	s_or_b64 exec, exec, s[40:41]
	global_load_ubyte v0, v[21:22], off offset:1800
	s_waitcnt vmcnt(0)
	v_cmp_ne_u16_e64 s[4:5], 0, v0
	s_and_saveexec_b64 s[40:41], s[4:5]
	s_cbranch_execz .LBB282_199
; %bb.194:                              ;   in Loop: Header=BB282_14 Depth=1
	v_cmp_ne_u16_e64 s[4:5], s52, v0
	v_bfrev_b32_e32 v40, 1
	s_and_saveexec_b64 s[42:43], s[4:5]
	s_cbranch_execz .LBB282_198
; %bb.195:                              ;   in Loop: Header=BB282_14 Depth=1
	v_and_b32_e32 v23, 0xffff, v0
	v_and_b32_e32 v17, 0x7f, v23
	v_cmp_ne_u32_e64 s[4:5], s53, v17
	v_mov_b32_e32 v40, 0x7f800001
	s_and_saveexec_b64 s[44:45], s[4:5]
	s_cbranch_execz .LBB282_197
; %bb.196:                              ;   in Loop: Header=BB282_14 Depth=1
	v_and_b32_e32 v25, 7, v23
	v_lshrrev_b32_e32 v28, 3, v17
	v_cmp_gt_u32_e64 s[4:5], 8, v17
	v_ffbh_u32_e32 v17, v25
	v_min_u32_e32 v30, 32, v17
	v_subrev_u32_e32 v17, 28, v30
	v_lshlrev_b64 v[17:18], v17, v[23:24]
	v_sub_u32_e32 v18, 29, v30
	v_and_b32_e32 v17, 7, v17
	v_cndmask_b32_e64 v18, v28, v18, s[4:5]
	v_cndmask_b32_e64 v17, v25, v17, s[4:5]
	v_lshlrev_b32_e32 v0, 24, v0
	v_bfrev_b32_e32 v23, 60
	v_lshlrev_b32_e32 v17, 20, v17
	v_and_b32_e32 v0, 0x80000000, v0
	v_lshl_add_u32 v18, v18, 23, v23
	v_or3_b32 v40, v0, v18, v17
.LBB282_197:                            ;   in Loop: Header=BB282_14 Depth=1
	s_or_b64 exec, exec, s[44:45]
.LBB282_198:                            ;   in Loop: Header=BB282_14 Depth=1
	s_or_b64 exec, exec, s[42:43]
.LBB282_199:                            ;   in Loop: Header=BB282_14 Depth=1
	s_or_b64 exec, exec, s[40:41]
	global_load_ubyte v0, v[21:22], off offset:1920
	v_mov_b32_e32 v34, 0
	v_mov_b32_e32 v41, 0
	s_waitcnt vmcnt(0)
	v_cmp_ne_u16_e64 s[4:5], 0, v0
	s_and_saveexec_b64 s[40:41], s[4:5]
	s_cbranch_execz .LBB282_205
; %bb.200:                              ;   in Loop: Header=BB282_14 Depth=1
	v_cmp_ne_u16_e64 s[4:5], s52, v0
	v_bfrev_b32_e32 v41, 1
	s_and_saveexec_b64 s[42:43], s[4:5]
	s_cbranch_execz .LBB282_204
; %bb.201:                              ;   in Loop: Header=BB282_14 Depth=1
	v_and_b32_e32 v23, 0xffff, v0
	v_and_b32_e32 v17, 0x7f, v23
	v_cmp_ne_u32_e64 s[4:5], s53, v17
	v_mov_b32_e32 v41, 0x7f800001
	s_and_saveexec_b64 s[44:45], s[4:5]
	s_cbranch_execz .LBB282_203
; %bb.202:                              ;   in Loop: Header=BB282_14 Depth=1
	v_and_b32_e32 v25, 7, v23
	v_lshrrev_b32_e32 v30, 3, v17
	v_cmp_gt_u32_e64 s[4:5], 8, v17
	v_ffbh_u32_e32 v17, v25
	v_min_u32_e32 v31, 32, v17
	v_subrev_u32_e32 v17, 28, v31
	v_lshlrev_b64 v[17:18], v17, v[23:24]
	v_sub_u32_e32 v18, 29, v31
	v_and_b32_e32 v17, 7, v17
	v_cndmask_b32_e64 v18, v30, v18, s[4:5]
	v_cndmask_b32_e64 v17, v25, v17, s[4:5]
	v_lshlrev_b32_e32 v0, 24, v0
	v_bfrev_b32_e32 v23, 60
	v_lshlrev_b32_e32 v17, 20, v17
	v_and_b32_e32 v0, 0x80000000, v0
	v_lshl_add_u32 v18, v18, 23, v23
	v_or3_b32 v41, v0, v18, v17
.LBB282_203:                            ;   in Loop: Header=BB282_14 Depth=1
	s_or_b64 exec, exec, s[44:45]
.LBB282_204:                            ;   in Loop: Header=BB282_14 Depth=1
	s_or_b64 exec, exec, s[42:43]
.LBB282_205:                            ;   in Loop: Header=BB282_14 Depth=1
	s_or_b64 exec, exec, s[40:41]
	global_load_ubyte v0, v[21:22], off offset:1928
	v_mov_b32_e32 v31, v44
	v_mov_b32_e32 v28, v42
	s_waitcnt vmcnt(0)
	v_cmp_ne_u16_e64 s[4:5], 0, v0
	s_and_saveexec_b64 s[40:41], s[4:5]
	s_cbranch_execz .LBB282_211
; %bb.206:                              ;   in Loop: Header=BB282_14 Depth=1
	v_cmp_ne_u16_e64 s[4:5], s52, v0
	v_bfrev_b32_e32 v34, 1
	s_and_saveexec_b64 s[42:43], s[4:5]
	s_cbranch_execz .LBB282_210
; %bb.207:                              ;   in Loop: Header=BB282_14 Depth=1
	v_and_b32_e32 v21, 0xffff, v0
	v_and_b32_e32 v17, 0x7f, v21
	v_cmp_ne_u32_e64 s[4:5], s53, v17
	v_mov_b32_e32 v34, 0x7f800001
	s_and_saveexec_b64 s[44:45], s[4:5]
	s_cbranch_execz .LBB282_209
; %bb.208:                              ;   in Loop: Header=BB282_14 Depth=1
	v_and_b32_e32 v22, 7, v21
	v_lshrrev_b32_e32 v23, 3, v17
	v_cmp_gt_u32_e64 s[4:5], 8, v17
	v_ffbh_u32_e32 v17, v22
	v_min_u32_e32 v25, 32, v17
	v_subrev_u32_e32 v17, 28, v25
	v_lshlrev_b64 v[17:18], v17, v[21:22]
	v_sub_u32_e32 v18, 29, v25
	v_and_b32_e32 v17, 7, v17
	v_cndmask_b32_e64 v18, v23, v18, s[4:5]
	v_cndmask_b32_e64 v17, v22, v17, s[4:5]
	v_lshlrev_b32_e32 v0, 24, v0
	v_bfrev_b32_e32 v21, 60
	v_lshlrev_b32_e32 v17, 20, v17
	v_and_b32_e32 v0, 0x80000000, v0
	v_lshl_add_u32 v18, v18, 23, v21
	v_or3_b32 v34, v0, v18, v17
.LBB282_209:                            ;   in Loop: Header=BB282_14 Depth=1
	s_or_b64 exec, exec, s[44:45]
.LBB282_210:                            ;   in Loop: Header=BB282_14 Depth=1
	s_or_b64 exec, exec, s[42:43]
.LBB282_211:                            ;   in Loop: Header=BB282_14 Depth=1
	s_or_b64 exec, exec, s[40:41]
	s_waitcnt lgkmcnt(0)
	v_lshlrev_b32_e32 v0, 16, v13
	v_and_b32_e32 v25, 0xffff0000, v13
	v_lshlrev_b32_e32 v30, 16, v16
	v_and_b32_e32 v13, 0xffff0000, v16
	;; [unrolled: 2-line block ×8, first 2 shown]
	buffer_store_dword v12, off, s[56:59], 0 offset:48 ; 4-byte Folded Spill
	v_lshlrev_b32_e32 v12, 16, v1
	v_and_b32_e32 v1, 0xffff0000, v1
	buffer_store_dword v1, off, s[56:59], 0 offset:40 ; 4-byte Folded Spill
	v_lshlrev_b32_e32 v1, 16, v2
	buffer_store_dword v1, off, s[56:59], 0 offset:36 ; 4-byte Folded Spill
	v_lshlrev_b32_e32 v1, 16, v3
	buffer_store_dword v1, off, s[56:59], 0 offset:32 ; 4-byte Folded Spill
	v_and_b32_e32 v1, 0xffff0000, v3
	buffer_store_dword v1, off, s[56:59], 0 offset:28 ; 4-byte Folded Spill
	v_lshlrev_b32_e32 v1, 16, v4
	buffer_store_dword v1, off, s[56:59], 0 offset:24 ; 4-byte Folded Spill
	v_and_b32_e32 v1, 0xffff0000, v4
	v_mul_f32_e32 v4, s55, v46
	buffer_store_dword v12, off, s[56:59], 0 offset:44 ; 4-byte Folded Spill
	v_bfe_u32 v12, v4, 16, 1
	v_add3_u32 v12, v12, v4, s54
	v_or_b32_e32 v46, 0x400000, v4
	v_cmp_u_f32_e64 s[4:5], v4, v4
	v_cndmask_b32_e64 v4, v12, v46, s[4:5]
	v_mul_f32_e32 v12, s55, v47
	v_bfe_u32 v46, v12, 16, 1
	v_add3_u32 v46, v46, v12, s54
	v_or_b32_e32 v47, 0x400000, v12
	v_cmp_u_f32_e64 s[4:5], v12, v12
	v_cndmask_b32_e64 v12, v46, v47, s[4:5]
	v_and_b32_e32 v4, 0xffff0000, v4
	v_mul_f32_e32 v4, v25, v4
	v_and_b32_e32 v12, 0xffff0000, v12
	v_fmac_f32_e32 v4, v0, v12
	v_mul_f32_e32 v0, s55, v37
	v_bfe_u32 v12, v0, 16, 1
	v_add3_u32 v12, v12, v0, s54
	v_or_b32_e32 v25, 0x400000, v0
	v_cmp_u_f32_e64 s[4:5], v0, v0
	v_cndmask_b32_e64 v0, v12, v25, s[4:5]
	v_lshlrev_b32_e32 v44, 16, v14
	v_and_b32_e32 v0, 0xffff0000, v0
	v_fmac_f32_e32 v4, v44, v0
	v_mul_f32_e32 v0, s55, v41
	v_bfe_u32 v12, v0, 16, 1
	v_add3_u32 v12, v12, v0, s54
	v_or_b32_e32 v25, 0x400000, v0
	v_cmp_u_f32_e64 s[4:5], v0, v0
	v_mul_f32_e32 v0, s55, v40
	v_cndmask_b32_e64 v12, v12, v25, s[4:5]
	v_bfe_u32 v25, v0, 16, 1
	v_add3_u32 v25, v25, v0, s54
	v_or_b32_e32 v40, 0x400000, v0
	v_cmp_u_f32_e64 s[4:5], v0, v0
	v_mul_f32_e32 v0, s55, v39
	v_cndmask_b32_e64 v40, v25, v40, s[4:5]
	;; [unrolled: 6-line block ×3, first 2 shown]
	v_bfe_u32 v25, v0, 16, 1
	v_add3_u32 v25, v25, v0, s54
	v_or_b32_e32 v29, 0x400000, v0
	v_cmp_u_f32_e64 s[4:5], v0, v0
	v_mul_f32_e32 v0, s55, v24
	v_bfe_u32 v24, v0, 16, 1
	v_cndmask_b32_e64 v29, v25, v29, s[4:5]
	v_add3_u32 v24, v24, v0, s54
	v_or_b32_e32 v25, 0x400000, v0
	v_cmp_u_f32_e64 s[4:5], v0, v0
	v_mul_f32_e32 v0, s55, v27
	v_cndmask_b32_e64 v24, v24, v25, s[4:5]
	v_bfe_u32 v25, v0, 16, 1
	v_add3_u32 v25, v25, v0, s54
	v_or_b32_e32 v27, 0x400000, v0
	v_cmp_u_f32_e64 s[4:5], v0, v0
	v_mul_f32_e32 v0, s55, v63
	v_cndmask_b32_e64 v27, v25, v27, s[4:5]
	v_bfe_u32 v25, v0, 16, 1
	;; [unrolled: 6-line block ×14, first 2 shown]
	v_add3_u32 v25, v25, v0, s54
	v_or_b32_e32 v46, 0x400000, v0
	v_cmp_u_f32_e64 s[4:5], v0, v0
	buffer_load_dword v0, off, s[56:59], 0 offset:12 ; 4-byte Folded Reload
	v_cndmask_b32_e64 v51, v25, v46, s[4:5]
	buffer_store_dword v1, off, s[56:59], 0 offset:20 ; 4-byte Folded Spill
	buffer_load_dword v3, off, s[56:59], 0 offset:68 ; 4-byte Folded Reload
	v_and_b32_e32 v45, 0xffff0000, v14
	v_lshlrev_b32_e32 v43, 16, v15
	v_and_b32_e32 v42, 0xffff0000, v15
	v_lshlrev_b32_e32 v14, 16, v5
	;; [unrolled: 2-line block ×3, first 2 shown]
	v_and_b32_e32 v6, 0xffff0000, v6
	v_and_b32_e32 v2, 0xffff0000, v2
	s_waitcnt vmcnt(2)
	v_mul_f32_e32 v0, s55, v0
	v_bfe_u32 v25, v0, 16, 1
	v_add3_u32 v25, v25, v0, s54
	v_or_b32_e32 v46, 0x400000, v0
	v_cmp_u_f32_e64 s[4:5], v0, v0
	v_mul_f32_e32 v0, s55, v49
	v_cndmask_b32_e64 v50, v25, v46, s[4:5]
	v_bfe_u32 v25, v0, 16, 1
	v_add3_u32 v25, v25, v0, s54
	v_or_b32_e32 v46, 0x400000, v0
	v_cmp_u_f32_e64 s[4:5], v0, v0
	v_mul_f32_e32 v0, s55, v48
	v_cndmask_b32_e64 v49, v25, v46, s[4:5]
	;; [unrolled: 6-line block ×7, first 2 shown]
	v_bfe_u32 v58, v0, 16, 1
	v_add3_u32 v58, v58, v0, s54
	v_or_b32_e32 v1, 0x400000, v0
	v_cmp_u_f32_e64 s[4:5], v0, v0
	v_cndmask_b32_e64 v0, v58, v1, s[4:5]
	buffer_load_dword v1, off, s[56:59], 0 offset:4 ; 4-byte Folded Reload
	v_and_b32_e32 v0, 0xffff0000, v0
	s_waitcnt vmcnt(0)
	v_mul_f32_e32 v1, s55, v1
	v_bfe_u32 v58, v1, 16, 1
	v_add3_u32 v58, v58, v1, s54
	v_or_b32_e32 v28, 0x400000, v1
	v_cmp_u_f32_e64 s[4:5], v1, v1
	v_cndmask_b32_e64 v1, v58, v28, s[4:5]
	v_mul_f32_e32 v28, s55, v34
	v_and_b32_e32 v1, 0xffff0000, v1
	v_fmac_f32_e32 v4, v45, v1
	v_bfe_u32 v1, v28, 16, 1
	v_add3_u32 v1, v1, v28, s54
	v_or_b32_e32 v34, 0x400000, v28
	v_cmp_u_f32_e64 s[4:5], v28, v28
	v_and_b32_e32 v28, 64, v3
	v_add_u32_e32 v28, 64, v28
	v_cndmask_b32_e64 v45, v1, v34, s[4:5]
	v_xor_b32_e32 v1, 4, v3
	v_cmp_lt_i32_e64 s[4:5], v1, v28
	v_cndmask_b32_e64 v1, v3, v1, s[4:5]
	v_lshlrev_b32_e32 v58, 2, v1
	buffer_load_dword v1, off, s[56:59], 0 offset:48 ; 4-byte Folded Reload
	v_fmac_f32_e32 v4, v43, v0
	v_and_b32_e32 v0, 0xffff0000, v25
	v_fmac_f32_e32 v4, v42, v0
	v_and_b32_e32 v0, 0xffff0000, v63
	;; [unrolled: 2-line block ×19, first 2 shown]
	s_waitcnt vmcnt(0)
	v_fmac_f32_e32 v4, v1, v0
	buffer_load_dword v1, off, s[56:59], 0 offset:44 ; 4-byte Folded Reload
	v_and_b32_e32 v0, 0xffff0000, v44
	s_waitcnt vmcnt(0)
	v_fmac_f32_e32 v4, v1, v0
	buffer_load_dword v1, off, s[56:59], 0 offset:40 ; 4-byte Folded Reload
	v_and_b32_e32 v0, 0xffff0000, v27
	;; [unrolled: 4-line block ×4, first 2 shown]
	v_fmac_f32_e32 v4, v2, v0
	v_and_b32_e32 v0, 0xffff0000, v41
	v_xor_b32_e32 v2, 1, v3
	s_waitcnt vmcnt(0)
	v_fmac_f32_e32 v4, v1, v0
	buffer_load_dword v1, off, s[56:59], 0 offset:28 ; 4-byte Folded Reload
	v_and_b32_e32 v0, 0xffff0000, v40
	s_waitcnt vmcnt(0)
	v_fmac_f32_e32 v4, v1, v0
	buffer_load_dword v1, off, s[56:59], 0 offset:24 ; 4-byte Folded Reload
	v_and_b32_e32 v0, 0xffff0000, v12
	s_waitcnt vmcnt(0)
	v_fmac_f32_e32 v4, v1, v0
	buffer_load_dword v1, off, s[56:59], 0 offset:20 ; 4-byte Folded Reload
	v_and_b32_e32 v0, 0xffff0000, v45
	s_waitcnt vmcnt(0)
	v_fmac_f32_e32 v4, v1, v0
	ds_bpermute_b32 v0, v58, v4
	v_xor_b32_e32 v1, 2, v3
	v_cmp_lt_i32_e64 s[4:5], v1, v28
	v_cndmask_b32_e64 v1, v3, v1, s[4:5]
	v_lshlrev_b32_e32 v1, 2, v1
	s_waitcnt lgkmcnt(0)
	v_add_f32_e32 v0, v4, v0
	ds_bpermute_b32 v1, v1, v0
	v_cmp_lt_i32_e64 s[4:5], v2, v28
	v_cndmask_b32_e64 v2, v3, v2, s[4:5]
	v_lshlrev_b32_e32 v2, 2, v2
	s_waitcnt lgkmcnt(0)
	v_add_f32_e32 v0, v0, v1
	ds_bpermute_b32 v1, v2, v0
	s_and_saveexec_b64 s[40:41], vcc
	s_cbranch_execz .LBB282_12
; %bb.212:                              ;   in Loop: Header=BB282_14 Depth=1
	buffer_load_dword v2, off, s[56:59], 0 offset:80 ; 4-byte Folded Reload
	buffer_load_dword v3, off, s[56:59], 0 offset:76 ; 4-byte Folded Reload
	s_waitcnt lgkmcnt(0)
	v_add_f32_e32 v0, v0, v1
	s_waitcnt vmcnt(1)
	v_add_u32_e32 v2, v2, v33
	v_cvt_f32_i32_e32 v2, v2
	v_mul_f32_e32 v1, s48, v2
	buffer_load_dword v2, off, s[56:59], 0 offset:52 ; 4-byte Folded Reload
	s_waitcnt vmcnt(1)
	v_add_u32_e32 v3, v3, v33
	v_cndmask_b32_e64 v1, 0, v1, s[2:3]
	v_fmac_f32_e32 v1, s37, v0
	v_cmp_gt_i32_e64 s[4:5], s33, v3
	v_cndmask_b32_e64 v0, 0, v1, s[4:5]
	ds_write_b32 v35, v0
	s_waitcnt vmcnt(0)
	v_max_f32_e32 v0, v2, v2
	v_max_f32_e32 v0, v0, v1
	v_cndmask_b32_e64 v2, v2, v0, s[4:5]
	buffer_store_dword v2, off, s[56:59], 0 offset:52 ; 4-byte Folded Spill
	s_branch .LBB282_12
.LBB282_213:
	s_or_b64 exec, exec, s[38:39]
	buffer_load_dword v13, off, s[56:59], 0 offset:88 ; 4-byte Folded Reload
	buffer_load_dword v4, off, s[56:59], 0 offset:52 ; 4-byte Folded Reload
	v_mbcnt_lo_u32_b32 v6, -1, 0
.LBB282_214:
	s_or_b64 exec, exec, s[18:19]
	v_mbcnt_hi_u32_b32 v0, -1, v6
	v_and_b32_e32 v8, 64, v0
	s_waitcnt lgkmcnt(0)
	v_add_u32_e32 v1, 64, v8
	v_xor_b32_e32 v2, 32, v0
	v_cmp_lt_i32_e32 vcc, v2, v1
	v_cndmask_b32_e32 v2, v0, v2, vcc
	v_lshlrev_b32_e32 v3, 2, v2
	s_waitcnt vmcnt(0)
	ds_bpermute_b32 v2, v3, v4
	v_xor_b32_e32 v5, 16, v0
	v_max_f32_e32 v4, v4, v4
	v_cmp_lt_i32_e32 vcc, v5, v1
	v_xor_b32_e32 v6, 8, v0
	s_waitcnt lgkmcnt(0)
	v_max_f32_e32 v2, v2, v2
	v_max_f32_e32 v2, v4, v2
	v_cndmask_b32_e32 v4, v0, v5, vcc
	v_lshlrev_b32_e32 v5, 2, v4
	ds_bpermute_b32 v4, v5, v2
	v_cmp_lt_i32_e32 vcc, v6, v1
	s_waitcnt lgkmcnt(0)
	v_max_f32_e32 v4, v4, v4
	v_max_f32_e32 v4, v2, v4
	v_cndmask_b32_e32 v2, v0, v6, vcc
	v_lshlrev_b32_e32 v7, 2, v2
	buffer_load_dword v2, off, s[56:59], 0 offset:72 ; 4-byte Folded Reload
	ds_bpermute_b32 v6, v7, v4
	s_waitcnt vmcnt(0)
	v_and_b32_e32 v14, 63, v2
	buffer_load_dword v2, off, s[56:59], 0  ; 4-byte Folded Reload
	v_cmp_eq_u32_e32 vcc, 0, v14
	s_waitcnt vmcnt(0)
	v_lshlrev_b32_e32 v2, 2, v2
	s_and_saveexec_b64 s[2:3], vcc
	s_cbranch_execz .LBB282_216
; %bb.215:
	s_waitcnt lgkmcnt(0)
	v_max_f32_e32 v6, v6, v6
	v_max_f32_e32 v4, v4, v4
	;; [unrolled: 1-line block ×3, first 2 shown]
	ds_write_b32 v2, v4 offset:512
.LBB282_216:
	s_or_b64 exec, exec, s[2:3]
	v_cmp_gt_u32_e64 s[2:3], 2, v14
	v_mov_b32_e32 v9, 0xff7fffff
	v_lshlrev_b32_e32 v4, 2, v14
	s_waitcnt lgkmcnt(0)
	s_barrier
	s_and_saveexec_b64 s[4:5], s[2:3]
; %bb.217:
	ds_read_b32 v9, v4 offset:512
; %bb.218:
	s_or_b64 exec, exec, s[4:5]
	v_xor_b32_e32 v6, 1, v0
	v_cmp_lt_i32_e64 s[4:5], v6, v1
	v_cndmask_b32_e64 v6, v0, v6, s[4:5]
	v_lshlrev_b32_e32 v6, 2, v6
	s_waitcnt lgkmcnt(0)
	ds_bpermute_b32 v10, v6, v9
	v_max_f32_e32 v9, v9, v9
	v_lshlrev_b32_e32 v8, 2, v8
	s_lshl_b32 s4, s47, 3
	s_min_i32 s37, s4, s33
	s_waitcnt lgkmcnt(0)
	v_max_f32_e32 v10, v10, v10
	v_max_f32_e32 v9, v9, v10
	ds_bpermute_b32 v9, v8, v9
	buffer_load_dword v8, off, s[56:59], 0 offset:72 ; 4-byte Folded Reload
	s_waitcnt vmcnt(0)
	v_cmp_gt_i32_e64 s[4:5], s37, v8
	v_mov_b32_e32 v8, 0
	s_and_saveexec_b64 s[12:13], s[4:5]
	s_cbranch_execz .LBB282_222
; %bb.219:
	buffer_load_dword v11, off, s[56:59], 0 offset:72 ; 4-byte Folded Reload
	v_mov_b32_e32 v8, 0x210
	s_mov_b64 s[18:19], 0
	s_waitcnt vmcnt(0)
	v_lshl_add_u32 v10, v11, 2, v8
	v_mov_b32_e32 v8, 0
.LBB282_220:                            ; =>This Inner Loop Header: Depth=1
	ds_read_b32 v12, v10
	v_add_u32_e32 v11, 0x80, v11
	v_cmp_le_i32_e64 s[6:7], s37, v11
	s_or_b64 s[18:19], s[6:7], s[18:19]
	s_waitcnt lgkmcnt(0)
	v_sub_f32_e32 v12, v12, v9
	v_mul_f32_e32 v12, 0x3fb8aa3b, v12
	v_exp_f32_e32 v12, v12
	ds_write_b32 v10, v12
	v_add_f32_e32 v8, v8, v12
	v_add_u32_e32 v10, 0x200, v10
	s_andn2_b64 exec, exec, s[18:19]
	s_cbranch_execnz .LBB282_220
; %bb.221:
	s_or_b64 exec, exec, s[18:19]
.LBB282_222:
	s_or_b64 exec, exec, s[12:13]
	ds_bpermute_b32 v3, v3, v8
	s_waitcnt lgkmcnt(0)
	v_add_f32_e32 v3, v8, v3
	ds_bpermute_b32 v5, v5, v3
	s_waitcnt lgkmcnt(0)
	v_add_f32_e32 v3, v3, v5
	ds_bpermute_b32 v5, v7, v3
	v_xor_b32_e32 v7, 4, v0
	v_cmp_lt_i32_e64 s[6:7], v7, v1
	v_cndmask_b32_e64 v7, v0, v7, s[6:7]
	v_lshlrev_b32_e32 v7, 2, v7
	s_waitcnt lgkmcnt(0)
	v_add_f32_e32 v3, v3, v5
	ds_bpermute_b32 v5, v7, v3
	v_xor_b32_e32 v7, 2, v0
	v_cmp_lt_i32_e64 s[6:7], v7, v1
	v_cndmask_b32_e64 v1, v0, v7, s[6:7]
	v_lshlrev_b32_e32 v1, 2, v1
	s_waitcnt lgkmcnt(0)
	v_add_f32_e32 v3, v3, v5
	ds_bpermute_b32 v1, v1, v3
	s_waitcnt lgkmcnt(0)
	v_add_f32_e32 v1, v3, v1
	ds_bpermute_b32 v3, v6, v1
	s_waitcnt lgkmcnt(0)
	v_add_f32_e32 v1, v1, v3
	s_and_saveexec_b64 s[6:7], vcc
; %bb.223:
	ds_write_b32 v2, v1 offset:520
; %bb.224:
	s_or_b64 exec, exec, s[6:7]
	s_waitcnt lgkmcnt(0)
	s_barrier
	s_and_saveexec_b64 s[6:7], s[2:3]
; %bb.225:
	ds_read_b32 v1, v4 offset:520
; %bb.226:
	s_or_b64 exec, exec, s[6:7]
	s_waitcnt lgkmcnt(0)
	ds_bpermute_b32 v2, v6, v1
	v_lshlrev_b32_e32 v0, 2, v0
	v_and_b32_e32 v0, 0x100, v0
	s_waitcnt lgkmcnt(0)
	v_add_f32_e32 v1, v1, v2
	ds_bpermute_b32 v0, v0, v1
	s_and_saveexec_b64 s[2:3], s[4:5]
	s_cbranch_execz .LBB282_229
; %bb.227:
	s_waitcnt lgkmcnt(0)
	v_add_f32_e32 v1, 0x358637bd, v0
	v_div_scale_f32 v0, s[4:5], v1, v1, 1.0
	v_div_scale_f32 v2, vcc, 1.0, v1, 1.0
	s_mov_b64 s[4:5], 0
	v_rcp_f32_e32 v3, v0
	v_fma_f32 v4, -v0, v3, 1.0
	v_fmac_f32_e32 v3, v4, v3
	v_mul_f32_e32 v4, v2, v3
	v_fma_f32 v5, -v0, v4, v2
	v_fmac_f32_e32 v4, v5, v3
	v_fma_f32 v0, -v0, v4, v2
	v_div_fmas_f32 v2, v0, v3, v4
	buffer_load_dword v3, off, s[56:59], 0 offset:72 ; 4-byte Folded Reload
	v_mov_b32_e32 v0, 0x210
	v_div_fixup_f32 v1, v2, v1, 1.0
	s_waitcnt vmcnt(0)
	v_lshl_add_u32 v0, v3, 2, v0
	v_mov_b32_e32 v2, v3
.LBB282_228:                            ; =>This Inner Loop Header: Depth=1
	ds_read_b32 v3, v0
	v_add_u32_e32 v2, 0x80, v2
	v_cmp_le_i32_e32 vcc, s37, v2
	s_or_b64 s[4:5], vcc, s[4:5]
	s_waitcnt lgkmcnt(0)
	v_mul_f32_e32 v3, v1, v3
	ds_write_b32 v0, v3
	v_add_u32_e32 v0, 0x200, v0
	s_andn2_b64 exec, exec, s[4:5]
	s_cbranch_execnz .LBB282_228
.LBB282_229:
	s_or_b64 exec, exec, s[2:3]
	v_mov_b32_e32 v28, 0
	v_mov_b32_e32 v23, 0
	;; [unrolled: 1-line block ×4, first 2 shown]
	s_waitcnt lgkmcnt(0)
	s_barrier
	s_and_saveexec_b64 s[2:3], s[0:1]
	s_cbranch_execz .LBB282_435
; %bb.230:
	s_sub_i32 s37, s16, s21
	s_ashr_i32 s0, s20, 31
	s_add_u32 s6, s34, s20
	s_addc_u32 s7, s35, s0
	v_lshlrev_b32_e32 v1, 3, v14
	v_mov_b32_e32 v4, s7
	v_add_co_u32_e32 v5, vcc, s6, v1
	v_addc_co_u32_e32 v6, vcc, 0, v4, vcc
	buffer_store_dword v14, off, s[56:59], 0 offset:12 ; 4-byte Folded Spill
	buffer_store_dword v5, off, s[56:59], 0 offset:4 ; 4-byte Folded Spill
	s_nop 0
	buffer_store_dword v6, off, s[56:59], 0 offset:8 ; 4-byte Folded Spill
	buffer_load_dword v1, off, s[56:59], 0  ; 4-byte Folded Reload
	s_abs_i32 s22, s22
	v_cvt_f32_u32_e32 v0, s22
	s_sub_i32 s0, 0, s22
	s_add_i32 s35, s47, -1
	v_and_b32_e32 v2, 60, v13
	v_rcp_iflag_f32_e32 v0, v0
	s_mov_b32 s4, -1
	s_mov_b32 s34, s17
	s_mov_b32 s5, 0xffffff
	v_mul_f32_e32 v0, 0x4f7ffffe, v0
	v_cvt_u32_f32_e32 v0, v0
	v_mov_b32_e32 v10, 0
	s_mov_b64 s[6:7], 0
	v_mov_b32_e32 v21, 0
	v_mul_lo_u32 v3, s0, v0
	s_lshl_b64 s[0:1], s[30:31], 2
	s_add_u32 s0, s28, s0
	s_addc_u32 s1, s29, s1
	v_mul_hi_u32 v3, v0, v3
	v_add_co_u32_e32 v13, vcc, s0, v2
	s_movk_i32 s28, 0x80
	v_add_u32_e32 v27, v0, v3
	v_mov_b32_e32 v0, s1
	v_addc_co_u32_e32 v14, vcc, 0, v0, vcc
	v_mov_b32_e32 v0, 0x210
	s_movk_i32 s29, 0x7f
	s_movk_i32 s30, 0x7fff
	v_mov_b32_e32 v22, 0
	v_mov_b32_e32 v23, 0
	;; [unrolled: 1-line block ×3, first 2 shown]
	s_waitcnt vmcnt(0)
	v_lshl_add_u32 v29, v1, 5, v0
	s_branch .LBB282_233
.LBB282_231:                            ;   in Loop: Header=BB282_233 Depth=1
	s_or_b64 exec, exec, s[0:1]
	v_bfe_u32 v11, v5, 16, 1
	v_add3_u32 v11, v11, v5, s30
	v_or_b32_e32 v12, 0x400000, v5
	v_cmp_u_f32_e32 vcc, v5, v5
	v_cndmask_b32_e32 v5, v11, v12, vcc
	v_bfe_u32 v11, v6, 16, 1
	v_add3_u32 v11, v11, v6, s30
	v_or_b32_e32 v12, 0x400000, v6
	v_cmp_u_f32_e32 vcc, v6, v6
	v_cndmask_b32_e32 v6, v11, v12, vcc
	;; [unrolled: 5-line block ×4, first 2 shown]
	v_bfe_u32 v11, v1, 16, 1
	v_add3_u32 v11, v11, v1, s30
	v_or_b32_e32 v12, 0x400000, v1
	v_cmp_u_f32_e32 vcc, v1, v1
	v_bfe_u32 v1, v2, 16, 1
	v_cndmask_b32_e32 v11, v11, v12, vcc
	v_add3_u32 v1, v1, v2, s30
	v_or_b32_e32 v12, 0x400000, v2
	v_cmp_u_f32_e32 vcc, v2, v2
	v_cndmask_b32_e32 v12, v1, v12, vcc
	v_bfe_u32 v1, v3, 16, 1
	v_add3_u32 v1, v1, v3, s30
	v_or_b32_e32 v2, 0x400000, v3
	v_cmp_u_f32_e32 vcc, v3, v3
	v_cndmask_b32_e32 v20, v1, v2, vcc
	v_bfe_u32 v1, v4, 16, 1
	v_add3_u32 v1, v1, v4, s30
	v_or_b32_e32 v2, 0x400000, v4
	v_cmp_u_f32_e32 vcc, v4, v4
	v_cndmask_b32_e32 v25, v1, v2, vcc
	v_and_b32_e32 v1, 0xffff0000, v6
	v_lshlrev_b32_e32 v2, 16, v58
	v_mul_f32_e32 v2, v1, v2
	v_bfe_u32 v3, v2, 16, 1
	v_add3_u32 v3, v3, v2, s30
	v_or_b32_e32 v4, 0x400000, v2
	v_cmp_u_f32_e32 vcc, v2, v2
	v_cndmask_b32_e32 v30, v3, v4, vcc
	v_and_b32_e32 v2, 0xffff0000, v5
	v_lshlrev_b32_e32 v3, 16, v59
	v_mul_f32_e32 v3, v2, v3
	;; [unrolled: 8-line block ×8, first 2 shown]
	v_bfe_u32 v20, v19, 16, 1
	v_add3_u32 v20, v20, v19, s30
	v_or_b32_e32 v25, 0x400000, v19
	v_cmp_u_f32_e32 vcc, v19, v19
	v_cndmask_b32_e32 v19, v20, v25, vcc
	v_and_b32_e32 v20, 0xffff0000, v39
	v_and_b32_e32 v25, 0xffff0000, v30
	v_add_f32_e32 v20, v20, v25
	v_and_b32_e32 v25, 0xffff0000, v41
	v_and_b32_e32 v30, 0xffff0000, v40
	v_add_f32_e32 v25, v25, v30
	;; [unrolled: 3-line block ×3, first 2 shown]
	v_add_f32_e32 v11, v11, v12
	v_and_b32_e32 v12, 0xffff0000, v19
	v_and_b32_e32 v18, 0xffff0000, v18
	v_add_f32_e32 v11, v11, v20
	v_add_f32_e32 v12, v12, v18
	;; [unrolled: 1-line block ×4, first 2 shown]
	v_lshlrev_b32_e32 v11, 16, v52
	v_mul_f32_e32 v11, v1, v11
	v_bfe_u32 v12, v11, 16, 1
	v_add3_u32 v12, v12, v11, s30
	v_or_b32_e32 v18, 0x400000, v11
	v_cmp_u_f32_e32 vcc, v11, v11
	v_cndmask_b32_e32 v11, v12, v18, vcc
	v_lshlrev_b32_e32 v12, 16, v53
	v_mul_f32_e32 v12, v2, v12
	v_bfe_u32 v18, v12, 16, 1
	v_add3_u32 v18, v18, v12, s30
	v_or_b32_e32 v19, 0x400000, v12
	v_cmp_u_f32_e32 vcc, v12, v12
	v_cndmask_b32_e32 v12, v18, v19, vcc
	;; [unrolled: 7-line block ×7, first 2 shown]
	v_lshlrev_b32_e32 v39, 16, v48
	v_and_b32_e32 v12, 0xffff0000, v12
	v_and_b32_e32 v11, 0xffff0000, v11
	v_mul_f32_e32 v39, v8, v39
	v_add_f32_e32 v11, v12, v11
	v_and_b32_e32 v12, 0xffff0000, v19
	v_and_b32_e32 v18, 0xffff0000, v18
	v_bfe_u32 v40, v39, 16, 1
	v_add_f32_e32 v12, v12, v18
	v_add3_u32 v40, v40, v39, s30
	v_or_b32_e32 v41, 0x400000, v39
	v_cmp_u_f32_e32 vcc, v39, v39
	v_add_f32_e32 v11, v12, v11
	v_and_b32_e32 v12, 0xffff0000, v25
	v_and_b32_e32 v18, 0xffff0000, v20
	v_cndmask_b32_e32 v39, v40, v41, vcc
	v_add_f32_e32 v12, v12, v18
	v_add_f32_e32 v11, v12, v11
	v_and_b32_e32 v12, 0xffff0000, v39
	v_and_b32_e32 v18, 0xffff0000, v30
	v_add_f32_e32 v12, v12, v18
	v_add_f32_e32 v11, v12, v11
	;; [unrolled: 1-line block ×3, first 2 shown]
	v_lshlrev_b32_e32 v11, 16, v37
	v_mul_f32_e32 v11, v1, v11
	v_bfe_u32 v12, v11, 16, 1
	v_add3_u32 v12, v12, v11, s30
	v_or_b32_e32 v18, 0x400000, v11
	v_cmp_u_f32_e32 vcc, v11, v11
	v_cndmask_b32_e32 v11, v12, v18, vcc
	v_lshlrev_b32_e32 v12, 16, v38
	v_mul_f32_e32 v12, v2, v12
	v_bfe_u32 v18, v12, 16, 1
	v_add3_u32 v18, v18, v12, s30
	v_or_b32_e32 v19, 0x400000, v12
	v_cmp_u_f32_e32 vcc, v12, v12
	v_cndmask_b32_e32 v12, v18, v19, vcc
	;; [unrolled: 7-line block ×7, first 2 shown]
	v_lshlrev_b32_e32 v31, 16, v33
	v_and_b32_e32 v12, 0xffff0000, v12
	v_and_b32_e32 v11, 0xffff0000, v11
	v_mul_f32_e32 v31, v8, v31
	v_add_f32_e32 v11, v12, v11
	v_and_b32_e32 v12, 0xffff0000, v19
	v_and_b32_e32 v18, 0xffff0000, v18
	v_bfe_u32 v32, v31, 16, 1
	v_add_f32_e32 v12, v12, v18
	v_add3_u32 v32, v32, v31, s30
	v_or_b32_e32 v33, 0x400000, v31
	v_cmp_u_f32_e32 vcc, v31, v31
	v_add_f32_e32 v11, v12, v11
	v_and_b32_e32 v12, 0xffff0000, v25
	v_and_b32_e32 v18, 0xffff0000, v20
	v_cndmask_b32_e32 v31, v32, v33, vcc
	v_add_f32_e32 v12, v12, v18
	v_add_f32_e32 v11, v12, v11
	v_and_b32_e32 v12, 0xffff0000, v31
	v_and_b32_e32 v18, 0xffff0000, v30
	v_add_f32_e32 v12, v12, v18
	v_add_f32_e32 v11, v12, v11
	v_add_f32_e32 v28, v28, v11
	v_lshlrev_b32_e32 v11, 16, v60
	v_mul_f32_e32 v1, v1, v11
	v_bfe_u32 v11, v1, 16, 1
	v_add3_u32 v11, v11, v1, s30
	v_or_b32_e32 v12, 0x400000, v1
	v_cmp_u_f32_e32 vcc, v1, v1
	v_cndmask_b32_e32 v1, v11, v12, vcc
	v_lshlrev_b32_e32 v11, 16, v61
	v_mul_f32_e32 v2, v2, v11
	v_bfe_u32 v11, v2, 16, 1
	v_add3_u32 v11, v11, v2, s30
	v_or_b32_e32 v12, 0x400000, v2
	v_cmp_u_f32_e32 vcc, v2, v2
	v_cndmask_b32_e32 v2, v11, v12, vcc
	;; [unrolled: 7-line block ×3, first 2 shown]
	v_lshlrev_b32_e32 v11, 16, v17
	v_mul_f32_e32 v4, v4, v11
	v_lshlrev_b32_e32 v9, 16, v9
	v_bfe_u32 v11, v4, 16, 1
	v_mul_f32_e32 v5, v5, v9
	v_add3_u32 v11, v11, v4, s30
	v_or_b32_e32 v12, 0x400000, v4
	v_cmp_u_f32_e32 vcc, v4, v4
	v_bfe_u32 v9, v5, 16, 1
	v_cndmask_b32_e32 v4, v11, v12, vcc
	v_add3_u32 v9, v9, v5, s30
	v_or_b32_e32 v11, 0x400000, v5
	v_cmp_u_f32_e32 vcc, v5, v5
	v_cndmask_b32_e32 v5, v9, v11, vcc
	v_lshlrev_b32_e32 v9, 16, v15
	v_mul_f32_e32 v6, v6, v9
	v_bfe_u32 v9, v6, 16, 1
	v_add3_u32 v9, v9, v6, s30
	v_or_b32_e32 v11, 0x400000, v6
	v_cmp_u_f32_e32 vcc, v6, v6
	v_cndmask_b32_e32 v6, v9, v11, vcc
	v_lshlrev_b32_e32 v9, 16, v24
	v_mul_f32_e32 v7, v7, v9
	v_lshlrev_b32_e32 v0, 16, v0
	v_and_b32_e32 v2, 0xffff0000, v2
	v_and_b32_e32 v1, 0xffff0000, v1
	v_bfe_u32 v9, v7, 16, 1
	v_mul_f32_e32 v0, v8, v0
	v_add_f32_e32 v1, v2, v1
	v_and_b32_e32 v2, 0xffff0000, v4
	v_and_b32_e32 v3, 0xffff0000, v3
	v_add3_u32 v9, v9, v7, s30
	v_or_b32_e32 v11, 0x400000, v7
	v_cmp_u_f32_e32 vcc, v7, v7
	v_bfe_u32 v8, v0, 16, 1
	v_add_f32_e32 v2, v2, v3
	v_cndmask_b32_e32 v7, v9, v11, vcc
	v_add3_u32 v8, v8, v0, s30
	v_or_b32_e32 v9, 0x400000, v0
	v_cmp_u_f32_e32 vcc, v0, v0
	v_add_f32_e32 v1, v2, v1
	v_and_b32_e32 v2, 0xffff0000, v6
	v_and_b32_e32 v3, 0xffff0000, v5
	v_cndmask_b32_e32 v0, v8, v9, vcc
	v_add_f32_e32 v2, v2, v3
	v_add_f32_e32 v1, v2, v1
	v_and_b32_e32 v0, 0xffff0000, v0
	v_and_b32_e32 v2, 0xffff0000, v7
	v_add_f32_e32 v0, v0, v2
	v_add_f32_e32 v0, v0, v1
	;; [unrolled: 1-line block ×3, first 2 shown]
.LBB282_232:                            ;   in Loop: Header=BB282_233 Depth=1
	s_or_b64 exec, exec, s[12:13]
	buffer_load_dword v0, off, s[56:59], 0  ; 4-byte Folded Reload
	v_add_co_u32_e32 v13, vcc, 8, v13
	v_addc_co_u32_e32 v14, vcc, 0, v14, vcc
	v_add_u32_e32 v26, 16, v26
	v_add_u32_e32 v29, 64, v29
	s_waitcnt vmcnt(0)
	v_add_u32_e32 v0, 2, v0
	v_cmp_le_i32_e32 vcc, s47, v0
	s_or_b64 s[6:7], vcc, s[6:7]
	buffer_store_dword v0, off, s[56:59], 0 ; 4-byte Folded Spill
	s_andn2_b64 exec, exec, s[6:7]
	s_cbranch_execz .LBB282_434
.LBB282_233:                            ; =>This Inner Loop Header: Depth=1
	v_mul_hi_u32 v0, v26, s46
	v_mul_lo_u32 v1, v0, s25
	v_add_u32_e32 v2, 1, v0
	v_sub_u32_e32 v1, v26, v1
	v_cmp_le_u32_e32 vcc, s25, v1
	v_cndmask_b32_e32 v0, v0, v2, vcc
	v_subrev_u32_e32 v2, s25, v1
	v_cndmask_b32_e32 v1, v1, v2, vcc
	v_add_u32_e32 v2, 1, v0
	v_cmp_le_u32_e32 vcc, s25, v1
	v_cndmask_b32_e32 v0, v0, v2, vcc
	v_xor_b32_e32 v0, s23, v0
	v_subrev_u32_e32 v0, s23, v0
	v_add_u32_e32 v1, s36, v0
	v_sub_u32_e32 v2, 0, v1
	v_max_i32_e32 v2, v1, v2
	v_mul_hi_u32 v3, v2, v27
	v_ashrrev_i32_e32 v1, 31, v1
	v_cmp_lt_i32_e64 s[0:1], s37, v0
	v_mul_lo_u32 v3, v3, s22
	v_sub_u32_e32 v2, v2, v3
	v_subrev_u32_e32 v3, s22, v2
	v_cmp_le_u32_e32 vcc, s22, v2
	v_cndmask_b32_e32 v2, v2, v3, vcc
	v_subrev_u32_e32 v3, s22, v2
	v_cmp_le_u32_e32 vcc, s22, v2
	v_cndmask_b32_e32 v2, v2, v3, vcc
	v_xor_b32_e32 v2, v2, v1
	v_sub_u32_e32 v1, v2, v1
	v_cmp_eq_u32_e32 vcc, 0, v1
	s_or_b64 s[0:1], vcc, s[0:1]
	s_and_saveexec_b64 s[12:13], s[0:1]
	s_cbranch_execz .LBB282_232
; %bb.234:                              ;   in Loop: Header=BB282_233 Depth=1
	global_load_dword v0, v[13:14], off
	buffer_load_dword v1, off, s[56:59], 0 offset:4 ; 4-byte Folded Reload
	buffer_load_dword v2, off, s[56:59], 0 offset:8 ; 4-byte Folded Reload
	v_mov_b32_e32 v24, 0
	s_waitcnt vmcnt(0)
	v_mad_i64_i32 v[15:16], s[0:1], v0, s34, v[1:2]
	v_mov_b32_e32 v0, 0
	global_load_dwordx2 v[17:18], v[15:16], off
	ds_read2_b64 v[5:8], v29 offset1:1
	ds_read2_b64 v[1:4], v29 offset0:2 offset1:3
	s_load_dword s31, s[14:15], 0x0
	s_waitcnt vmcnt(0)
	v_cmp_ne_u16_sdwa s[16:17], v17, v10 src0_sel:BYTE_0 src1_sel:DWORD
	s_and_saveexec_b64 s[0:1], s[16:17]
	s_cbranch_execz .LBB282_240
; %bb.235:                              ;   in Loop: Header=BB282_233 Depth=1
	v_cmp_ne_u16_sdwa s[18:19], v17, s28 src0_sel:BYTE_0 src1_sel:DWORD
	v_bfrev_b32_e32 v0, 1
	s_and_saveexec_b64 s[16:17], s[18:19]
	s_cbranch_execz .LBB282_239
; %bb.236:                              ;   in Loop: Header=BB282_233 Depth=1
	v_and_b32_e32 v9, 0x7f, v17
	v_cmp_ne_u32_e32 vcc, s29, v9
	v_mov_b32_e32 v0, 0x7f800001
	s_and_saveexec_b64 s[18:19], vcc
	s_cbranch_execz .LBB282_238
; %bb.237:                              ;   in Loop: Header=BB282_233 Depth=1
	v_and_b32_e32 v0, 7, v17
	v_ffbh_u32_e32 v0, v0
	v_min_u32_e32 v0, 32, v0
	v_subrev_u32_e32 v12, 28, v0
	v_cmp_gt_u32_e32 vcc, 8, v9
	v_lshrrev_b32_e32 v11, 3, v9
	v_cndmask_b32_e32 v9, 0, v12, vcc
	v_lshlrev_b64 v[19:20], v9, v[17:18]
	v_sub_u32_e32 v0, 29, v0
	v_cndmask_b32_e32 v0, v11, v0, vcc
	v_lshlrev_b32_e32 v9, 20, v19
	v_lshlrev_b32_e32 v11, 24, v17
	v_bfrev_b32_e32 v12, 60
	v_and_b32_e32 v9, 0x700000, v9
	v_and_b32_e32 v11, 0x80000000, v11
	v_lshl_add_u32 v0, v0, 23, v12
	v_or3_b32 v0, v11, v0, v9
.LBB282_238:                            ;   in Loop: Header=BB282_233 Depth=1
	s_or_b64 exec, exec, s[18:19]
.LBB282_239:                            ;   in Loop: Header=BB282_233 Depth=1
	s_or_b64 exec, exec, s[16:17]
.LBB282_240:                            ;   in Loop: Header=BB282_233 Depth=1
	s_or_b64 exec, exec, s[0:1]
	v_lshrrev_b16_e32 v9, 8, v17
	v_cmp_ne_u16_e32 vcc, 0, v9
	s_and_saveexec_b64 s[0:1], vcc
	s_cbranch_execz .LBB282_246
; %bb.241:                              ;   in Loop: Header=BB282_233 Depth=1
	v_cmp_ne_u16_e32 vcc, s28, v9
	v_bfrev_b32_e32 v24, 1
	s_and_saveexec_b64 s[16:17], vcc
	s_cbranch_execz .LBB282_245
; %bb.242:                              ;   in Loop: Header=BB282_233 Depth=1
	v_and_b32_e32 v19, 0x7f, v9
	v_cmp_ne_u32_e32 vcc, s29, v19
	v_mov_b32_e32 v24, 0x7f800001
	s_and_saveexec_b64 s[18:19], vcc
	s_cbranch_execz .LBB282_244
; %bb.243:                              ;   in Loop: Header=BB282_233 Depth=1
	v_and_b32_e32 v11, 7, v9
	v_ffbh_u32_e32 v20, v11
	v_min_u32_e32 v20, 32, v20
	v_subrev_u32_e32 v24, 28, v20
	v_lshlrev_b64 v[24:25], v24, v[9:10]
	v_lshrrev_b32_e32 v12, 3, v19
	v_sub_u32_e32 v9, 29, v20
	v_and_b32_e32 v20, 7, v24
	v_cmp_gt_u32_e32 vcc, 8, v19
	v_cndmask_b32_e32 v9, v12, v9, vcc
	v_cndmask_b32_e32 v11, v11, v20, vcc
	v_lshlrev_b32_e32 v12, 16, v17
	v_bfrev_b32_e32 v19, 60
	v_lshlrev_b32_e32 v11, 20, v11
	v_and_b32_e32 v12, 0x80000000, v12
	v_lshl_add_u32 v9, v9, 23, v19
	v_or3_b32 v24, v12, v9, v11
.LBB282_244:                            ;   in Loop: Header=BB282_233 Depth=1
	s_or_b64 exec, exec, s[18:19]
.LBB282_245:                            ;   in Loop: Header=BB282_233 Depth=1
	s_or_b64 exec, exec, s[16:17]
.LBB282_246:                            ;   in Loop: Header=BB282_233 Depth=1
	s_or_b64 exec, exec, s[0:1]
	v_lshrrev_b32_e32 v9, 16, v17
	v_cmp_ne_u16_sdwa s[16:17], v9, v10 src0_sel:BYTE_0 src1_sel:DWORD
	v_mov_b32_e32 v34, 0
	v_mov_b32_e32 v33, 0
	s_and_saveexec_b64 s[0:1], s[16:17]
	s_cbranch_execz .LBB282_252
; %bb.247:                              ;   in Loop: Header=BB282_233 Depth=1
	v_cmp_ne_u16_sdwa s[18:19], v9, s28 src0_sel:BYTE_0 src1_sel:DWORD
	v_bfrev_b32_e32 v33, 1
	s_and_saveexec_b64 s[16:17], s[18:19]
	s_cbranch_execz .LBB282_251
; %bb.248:                              ;   in Loop: Header=BB282_233 Depth=1
	v_bfe_u32 v19, v17, 16, 7
	v_cmp_ne_u32_e32 vcc, s29, v19
	v_mov_b32_e32 v33, 0x7f800001
	s_and_saveexec_b64 s[18:19], vcc
	s_cbranch_execz .LBB282_250
; %bb.249:                              ;   in Loop: Header=BB282_233 Depth=1
	v_and_b32_e32 v11, 7, v9
	v_ffbh_u32_e32 v20, v11
	v_min_u32_e32 v20, 32, v20
	v_subrev_u32_e32 v25, 28, v20
	v_lshlrev_b64 v[31:32], v25, v[9:10]
	v_lshrrev_b32_e32 v12, 3, v19
	v_sub_u32_e32 v20, 29, v20
	v_and_b32_e32 v25, 7, v31
	v_cmp_gt_u32_e32 vcc, 8, v19
	v_cndmask_b32_e32 v12, v12, v20, vcc
	v_cndmask_b32_e32 v11, v11, v25, vcc
	v_lshlrev_b32_e32 v9, 24, v9
	v_bfrev_b32_e32 v19, 60
	v_lshlrev_b32_e32 v11, 20, v11
	v_and_b32_e32 v9, 0x80000000, v9
	v_lshl_add_u32 v12, v12, 23, v19
	v_or3_b32 v33, v9, v12, v11
.LBB282_250:                            ;   in Loop: Header=BB282_233 Depth=1
	s_or_b64 exec, exec, s[18:19]
.LBB282_251:                            ;   in Loop: Header=BB282_233 Depth=1
	s_or_b64 exec, exec, s[16:17]
.LBB282_252:                            ;   in Loop: Header=BB282_233 Depth=1
	s_or_b64 exec, exec, s[0:1]
	v_cmp_lt_u32_e32 vcc, s5, v17
	s_and_saveexec_b64 s[0:1], vcc
	s_cbranch_execz .LBB282_258
; %bb.253:                              ;   in Loop: Header=BB282_233 Depth=1
	v_lshrrev_b32_e32 v9, 24, v17
	v_cmp_ne_u32_e32 vcc, s28, v9
	v_bfrev_b32_e32 v34, 1
	s_and_saveexec_b64 s[16:17], vcc
	s_cbranch_execz .LBB282_257
; %bb.254:                              ;   in Loop: Header=BB282_233 Depth=1
	v_bfe_u32 v19, v17, 24, 7
	v_cmp_ne_u32_e32 vcc, s29, v19
	v_mov_b32_e32 v34, 0x7f800001
	s_and_saveexec_b64 s[18:19], vcc
	s_cbranch_execz .LBB282_256
; %bb.255:                              ;   in Loop: Header=BB282_233 Depth=1
	v_and_b32_e32 v11, 7, v9
	v_ffbh_u32_e32 v20, v11
	v_min_u32_e32 v20, 32, v20
	v_subrev_u32_e32 v25, 28, v20
	v_lshlrev_b64 v[31:32], v25, v[9:10]
	v_lshrrev_b32_e32 v12, 3, v19
	v_sub_u32_e32 v20, 29, v20
	v_and_b32_e32 v25, 7, v31
	v_cmp_gt_u32_e32 vcc, 8, v19
	v_cndmask_b32_e32 v12, v12, v20, vcc
	v_cndmask_b32_e32 v11, v11, v25, vcc
	v_lshlrev_b32_e32 v9, 24, v9
	v_bfrev_b32_e32 v19, 60
	v_lshlrev_b32_e32 v11, 20, v11
	v_and_b32_e32 v9, 0x80000000, v9
	v_lshl_add_u32 v12, v12, 23, v19
	v_or3_b32 v34, v9, v12, v11
.LBB282_256:                            ;   in Loop: Header=BB282_233 Depth=1
	s_or_b64 exec, exec, s[18:19]
.LBB282_257:                            ;   in Loop: Header=BB282_233 Depth=1
	s_or_b64 exec, exec, s[16:17]
.LBB282_258:                            ;   in Loop: Header=BB282_233 Depth=1
	s_or_b64 exec, exec, s[0:1]
	v_mov_b32_e32 v9, v18
	v_cmp_ne_u16_sdwa s[16:17], v18, v10 src0_sel:BYTE_0 src1_sel:DWORD
	v_mov_b32_e32 v31, 0
	v_mov_b32_e32 v25, 0
	s_and_saveexec_b64 s[0:1], s[16:17]
	s_cbranch_execz .LBB282_264
; %bb.259:                              ;   in Loop: Header=BB282_233 Depth=1
	v_cmp_ne_u16_sdwa s[18:19], v18, s28 src0_sel:BYTE_0 src1_sel:DWORD
	v_bfrev_b32_e32 v25, 1
	s_and_saveexec_b64 s[16:17], s[18:19]
	s_cbranch_execz .LBB282_263
; %bb.260:                              ;   in Loop: Header=BB282_233 Depth=1
	v_and_b32_e32 v19, 0x7f, v18
	v_cmp_ne_u32_e32 vcc, s29, v19
	v_mov_b32_e32 v25, 0x7f800001
	s_and_saveexec_b64 s[18:19], vcc
	s_cbranch_execz .LBB282_262
; %bb.261:                              ;   in Loop: Header=BB282_233 Depth=1
	v_and_b32_e32 v11, 7, v18
	v_ffbh_u32_e32 v11, v11
	v_min_u32_e32 v11, 32, v11
	v_lshrrev_b32_e32 v12, 3, v19
	v_subrev_u32_e32 v20, 28, v11
	v_sub_u32_e32 v11, 29, v11
	v_cmp_gt_u32_e32 vcc, 8, v19
	v_cndmask_b32_e32 v11, v12, v11, vcc
	v_cndmask_b32_e32 v12, 0, v20, vcc
	v_lshlrev_b64 v[19:20], v12, v[9:10]
	v_bfrev_b32_e32 v20, 60
	v_lshlrev_b32_e32 v12, 20, v19
	v_lshlrev_b32_e32 v19, 24, v9
	v_and_b32_e32 v12, 0x700000, v12
	v_and_b32_e32 v19, 0x80000000, v19
	v_lshl_add_u32 v11, v11, 23, v20
	v_or3_b32 v25, v19, v11, v12
.LBB282_262:                            ;   in Loop: Header=BB282_233 Depth=1
	s_or_b64 exec, exec, s[18:19]
.LBB282_263:                            ;   in Loop: Header=BB282_233 Depth=1
	s_or_b64 exec, exec, s[16:17]
.LBB282_264:                            ;   in Loop: Header=BB282_233 Depth=1
	s_or_b64 exec, exec, s[0:1]
	v_lshrrev_b16_e32 v19, 8, v9
	v_cmp_ne_u16_e32 vcc, 0, v19
	s_and_saveexec_b64 s[0:1], vcc
	s_cbranch_execz .LBB282_270
; %bb.265:                              ;   in Loop: Header=BB282_233 Depth=1
	v_cmp_ne_u16_e32 vcc, s28, v19
	v_bfrev_b32_e32 v31, 1
	s_and_saveexec_b64 s[16:17], vcc
	s_cbranch_execz .LBB282_269
; %bb.266:                              ;   in Loop: Header=BB282_233 Depth=1
	v_and_b32_e32 v20, 0x7f, v19
	v_cmp_ne_u32_e32 vcc, s29, v20
	v_mov_b32_e32 v31, 0x7f800001
	s_and_saveexec_b64 s[18:19], vcc
	s_cbranch_execz .LBB282_268
; %bb.267:                              ;   in Loop: Header=BB282_233 Depth=1
	v_and_b32_e32 v11, 7, v19
	v_ffbh_u32_e32 v31, v11
	v_min_u32_e32 v35, 32, v31
	v_subrev_u32_e32 v31, 28, v35
	v_lshlrev_b64 v[31:32], v31, v[19:20]
	v_lshrrev_b32_e32 v12, 3, v20
	v_sub_u32_e32 v19, 29, v35
	v_and_b32_e32 v31, 7, v31
	v_cmp_gt_u32_e32 vcc, 8, v20
	v_cndmask_b32_e32 v12, v12, v19, vcc
	v_cndmask_b32_e32 v11, v11, v31, vcc
	v_lshlrev_b32_e32 v9, 16, v9
	v_bfrev_b32_e32 v19, 60
	v_lshlrev_b32_e32 v11, 20, v11
	v_and_b32_e32 v9, 0x80000000, v9
	v_lshl_add_u32 v12, v12, 23, v19
	v_or3_b32 v31, v9, v12, v11
.LBB282_268:                            ;   in Loop: Header=BB282_233 Depth=1
	s_or_b64 exec, exec, s[18:19]
.LBB282_269:                            ;   in Loop: Header=BB282_233 Depth=1
	s_or_b64 exec, exec, s[16:17]
.LBB282_270:                            ;   in Loop: Header=BB282_233 Depth=1
	s_or_b64 exec, exec, s[0:1]
	v_lshrrev_b32_e32 v9, 16, v18
	v_cmp_ne_u16_sdwa s[16:17], v9, v10 src0_sel:BYTE_0 src1_sel:DWORD
	v_mov_b32_e32 v19, 0
	v_mov_b32_e32 v20, 0
	s_and_saveexec_b64 s[0:1], s[16:17]
	s_cbranch_execz .LBB282_276
; %bb.271:                              ;   in Loop: Header=BB282_233 Depth=1
	v_cmp_ne_u16_sdwa s[18:19], v9, s28 src0_sel:BYTE_0 src1_sel:DWORD
	v_bfrev_b32_e32 v20, 1
	s_and_saveexec_b64 s[16:17], s[18:19]
	s_cbranch_execz .LBB282_275
; %bb.272:                              ;   in Loop: Header=BB282_233 Depth=1
	v_bfe_u32 v32, v18, 16, 7
	v_cmp_ne_u32_e32 vcc, s29, v32
	v_mov_b32_e32 v20, 0x7f800001
	s_and_saveexec_b64 s[18:19], vcc
	s_cbranch_execz .LBB282_274
; %bb.273:                              ;   in Loop: Header=BB282_233 Depth=1
	v_and_b32_e32 v11, 7, v9
	v_ffbh_u32_e32 v20, v11
	v_min_u32_e32 v20, 32, v20
	v_subrev_u32_e32 v35, 28, v20
	v_lshlrev_b64 v[35:36], v35, v[9:10]
	v_lshrrev_b32_e32 v12, 3, v32
	v_sub_u32_e32 v20, 29, v20
	v_and_b32_e32 v35, 7, v35
	v_cmp_gt_u32_e32 vcc, 8, v32
	v_cndmask_b32_e32 v12, v12, v20, vcc
	v_cndmask_b32_e32 v11, v11, v35, vcc
	v_lshlrev_b32_e32 v9, 24, v9
	v_bfrev_b32_e32 v20, 60
	v_lshlrev_b32_e32 v11, 20, v11
	v_and_b32_e32 v9, 0x80000000, v9
	v_lshl_add_u32 v12, v12, 23, v20
	v_or3_b32 v20, v9, v12, v11
.LBB282_274:                            ;   in Loop: Header=BB282_233 Depth=1
	s_or_b64 exec, exec, s[18:19]
.LBB282_275:                            ;   in Loop: Header=BB282_233 Depth=1
	s_or_b64 exec, exec, s[16:17]
.LBB282_276:                            ;   in Loop: Header=BB282_233 Depth=1
	s_or_b64 exec, exec, s[0:1]
	v_cmp_lt_u64_e32 vcc, s[4:5], v[17:18]
	s_and_saveexec_b64 s[0:1], vcc
	s_cbranch_execz .LBB282_282
; %bb.277:                              ;   in Loop: Header=BB282_233 Depth=1
	v_lshrrev_b32_e32 v9, 24, v18
	v_cmp_ne_u32_e32 vcc, s28, v9
	v_bfrev_b32_e32 v19, 1
	s_and_saveexec_b64 s[16:17], vcc
	s_cbranch_execz .LBB282_281
; %bb.278:                              ;   in Loop: Header=BB282_233 Depth=1
	v_bfe_u32 v17, v18, 24, 7
	v_cmp_ne_u32_e32 vcc, s29, v17
	v_mov_b32_e32 v19, 0x7f800001
	s_and_saveexec_b64 s[18:19], vcc
	s_cbranch_execz .LBB282_280
; %bb.279:                              ;   in Loop: Header=BB282_233 Depth=1
	v_and_b32_e32 v11, 7, v9
	v_ffbh_u32_e32 v18, v11
	v_min_u32_e32 v32, 32, v18
	v_subrev_u32_e32 v18, 28, v32
	v_lshlrev_b64 v[18:19], v18, v[9:10]
	v_lshrrev_b32_e32 v12, 3, v17
	v_sub_u32_e32 v19, 29, v32
	v_and_b32_e32 v18, 7, v18
	v_cmp_gt_u32_e32 vcc, 8, v17
	v_cndmask_b32_e32 v12, v12, v19, vcc
	v_cndmask_b32_e32 v11, v11, v18, vcc
	v_lshlrev_b32_e32 v9, 24, v9
	v_bfrev_b32_e32 v17, 60
	v_lshlrev_b32_e32 v11, 20, v11
	v_and_b32_e32 v9, 0x80000000, v9
	v_lshl_add_u32 v12, v12, 23, v17
	v_or3_b32 v19, v9, v12, v11
.LBB282_280:                            ;   in Loop: Header=BB282_233 Depth=1
	s_or_b64 exec, exec, s[18:19]
.LBB282_281:                            ;   in Loop: Header=BB282_233 Depth=1
	s_or_b64 exec, exec, s[16:17]
.LBB282_282:                            ;   in Loop: Header=BB282_233 Depth=1
	s_or_b64 exec, exec, s[0:1]
	buffer_load_dword v9, off, s[56:59], 0  ; 4-byte Folded Reload
	s_waitcnt lgkmcnt(0)
	v_mul_f32_e32 v0, s31, v0
	v_add_u32_e32 v45, 1, v26
	v_add_u32_e32 v44, 2, v26
	;; [unrolled: 1-line block ×7, first 2 shown]
	s_waitcnt vmcnt(0)
	v_cmp_eq_u32_e32 vcc, s35, v9
	v_mul_f32_e32 v9, s31, v31
	v_bfe_u32 v11, v9, 16, 1
	v_add3_u32 v11, v11, v9, s30
	v_or_b32_e32 v12, 0x400000, v9
	v_cmp_u_f32_e64 s[0:1], v9, v9
	v_cndmask_b32_e64 v9, v11, v12, s[0:1]
	v_lshrrev_b32_e32 v31, 16, v9
	v_mul_f32_e32 v9, s31, v25
	v_bfe_u32 v11, v9, 16, 1
	v_add3_u32 v11, v11, v9, s30
	v_or_b32_e32 v12, 0x400000, v9
	v_cmp_u_f32_e64 s[0:1], v9, v9
	v_cndmask_b32_e64 v9, v11, v12, s[0:1]
	v_lshrrev_b32_e32 v32, 16, v9
	;; [unrolled: 7-line block ×5, first 2 shown]
	v_bfe_u32 v9, v0, 16, 1
	v_add3_u32 v9, v9, v0, s30
	v_or_b32_e32 v11, 0x400000, v0
	v_cmp_u_f32_e64 s[0:1], v0, v0
	v_cndmask_b32_e64 v0, v9, v11, s[0:1]
	v_lshrrev_b32_e32 v38, 16, v0
	v_mul_f32_e32 v0, s31, v20
	v_bfe_u32 v9, v0, 16, 1
	v_add3_u32 v9, v9, v0, s30
	v_or_b32_e32 v11, 0x400000, v0
	v_cmp_u_f32_e64 s[0:1], v0, v0
	v_cndmask_b32_e64 v0, v9, v11, s[0:1]
	v_lshrrev_b32_e32 v33, 16, v0
	v_mul_f32_e32 v0, s31, v19
	v_bfe_u32 v9, v0, 16, 1
	v_add3_u32 v9, v9, v0, s30
	v_or_b32_e32 v11, 0x400000, v0
	v_cmp_u_f32_e64 s[0:1], v0, v0
	v_cndmask_b32_e64 v0, v9, v11, s[0:1]
	v_lshrrev_b32_e32 v36, 16, v0
	s_and_saveexec_b64 s[16:17], vcc
	s_cbranch_execz .LBB282_284
; %bb.283:                              ;   in Loop: Header=BB282_233 Depth=1
	v_cmp_gt_i32_e64 s[0:1], s33, v26
	v_cndmask_b32_e64 v38, 0, v38, s[0:1]
	v_cmp_gt_i32_e64 s[0:1], s33, v45
	v_cndmask_b32_e64 v37, 0, v37, s[0:1]
	;; [unrolled: 2-line block ×8, first 2 shown]
.LBB282_284:                            ;   in Loop: Header=BB282_233 Depth=1
	s_or_b64 exec, exec, s[16:17]
	global_load_dwordx2 v[17:18], v[15:16], off offset:512
	v_mov_b32_e32 v24, 0
	v_mov_b32_e32 v0, 0
	s_waitcnt vmcnt(0)
	v_cmp_ne_u16_sdwa s[0:1], v17, v10 src0_sel:BYTE_0 src1_sel:DWORD
	s_and_saveexec_b64 s[16:17], s[0:1]
	s_cbranch_execz .LBB282_290
; %bb.285:                              ;   in Loop: Header=BB282_233 Depth=1
	v_cmp_ne_u16_sdwa s[0:1], v17, s28 src0_sel:BYTE_0 src1_sel:DWORD
	v_bfrev_b32_e32 v0, 1
	s_and_saveexec_b64 s[18:19], s[0:1]
	s_cbranch_execz .LBB282_289
; %bb.286:                              ;   in Loop: Header=BB282_233 Depth=1
	v_and_b32_e32 v9, 0x7f, v17
	v_cmp_ne_u32_e64 s[0:1], s29, v9
	v_mov_b32_e32 v0, 0x7f800001
	s_and_saveexec_b64 s[20:21], s[0:1]
	s_cbranch_execz .LBB282_288
; %bb.287:                              ;   in Loop: Header=BB282_233 Depth=1
	v_and_b32_e32 v0, 7, v17
	v_ffbh_u32_e32 v0, v0
	v_min_u32_e32 v0, 32, v0
	v_subrev_u32_e32 v12, 28, v0
	v_cmp_gt_u32_e64 s[0:1], 8, v9
	v_lshrrev_b32_e32 v11, 3, v9
	v_cndmask_b32_e64 v9, 0, v12, s[0:1]
	v_lshlrev_b64 v[19:20], v9, v[17:18]
	v_sub_u32_e32 v0, 29, v0
	v_cndmask_b32_e64 v0, v11, v0, s[0:1]
	v_lshlrev_b32_e32 v9, 20, v19
	v_lshlrev_b32_e32 v11, 24, v17
	v_bfrev_b32_e32 v12, 60
	v_and_b32_e32 v9, 0x700000, v9
	v_and_b32_e32 v11, 0x80000000, v11
	v_lshl_add_u32 v0, v0, 23, v12
	v_or3_b32 v0, v11, v0, v9
.LBB282_288:                            ;   in Loop: Header=BB282_233 Depth=1
	s_or_b64 exec, exec, s[20:21]
.LBB282_289:                            ;   in Loop: Header=BB282_233 Depth=1
	s_or_b64 exec, exec, s[18:19]
.LBB282_290:                            ;   in Loop: Header=BB282_233 Depth=1
	s_or_b64 exec, exec, s[16:17]
	v_lshrrev_b16_e32 v9, 8, v17
	v_cmp_ne_u16_e64 s[0:1], 0, v9
	s_and_saveexec_b64 s[16:17], s[0:1]
	s_cbranch_execz .LBB282_296
; %bb.291:                              ;   in Loop: Header=BB282_233 Depth=1
	v_cmp_ne_u16_e64 s[0:1], s28, v9
	v_bfrev_b32_e32 v24, 1
	s_and_saveexec_b64 s[18:19], s[0:1]
	s_cbranch_execz .LBB282_295
; %bb.292:                              ;   in Loop: Header=BB282_233 Depth=1
	v_and_b32_e32 v19, 0x7f, v9
	v_cmp_ne_u32_e64 s[0:1], s29, v19
	v_mov_b32_e32 v24, 0x7f800001
	s_and_saveexec_b64 s[20:21], s[0:1]
	s_cbranch_execz .LBB282_294
; %bb.293:                              ;   in Loop: Header=BB282_233 Depth=1
	v_and_b32_e32 v11, 7, v9
	v_ffbh_u32_e32 v20, v11
	v_min_u32_e32 v20, 32, v20
	v_subrev_u32_e32 v24, 28, v20
	v_lshlrev_b64 v[24:25], v24, v[9:10]
	v_lshrrev_b32_e32 v12, 3, v19
	v_sub_u32_e32 v9, 29, v20
	v_and_b32_e32 v20, 7, v24
	v_cmp_gt_u32_e64 s[0:1], 8, v19
	v_cndmask_b32_e64 v9, v12, v9, s[0:1]
	v_cndmask_b32_e64 v11, v11, v20, s[0:1]
	v_lshlrev_b32_e32 v12, 16, v17
	v_bfrev_b32_e32 v19, 60
	v_lshlrev_b32_e32 v11, 20, v11
	v_and_b32_e32 v12, 0x80000000, v12
	v_lshl_add_u32 v9, v9, 23, v19
	v_or3_b32 v24, v12, v9, v11
.LBB282_294:                            ;   in Loop: Header=BB282_233 Depth=1
	s_or_b64 exec, exec, s[20:21]
.LBB282_295:                            ;   in Loop: Header=BB282_233 Depth=1
	s_or_b64 exec, exec, s[18:19]
.LBB282_296:                            ;   in Loop: Header=BB282_233 Depth=1
	s_or_b64 exec, exec, s[16:17]
	v_lshrrev_b32_e32 v9, 16, v17
	v_cmp_ne_u16_sdwa s[0:1], v9, v10 src0_sel:BYTE_0 src1_sel:DWORD
	v_mov_b32_e32 v49, 0
	v_mov_b32_e32 v48, 0
	s_and_saveexec_b64 s[16:17], s[0:1]
	s_cbranch_execz .LBB282_302
; %bb.297:                              ;   in Loop: Header=BB282_233 Depth=1
	v_cmp_ne_u16_sdwa s[0:1], v9, s28 src0_sel:BYTE_0 src1_sel:DWORD
	v_bfrev_b32_e32 v48, 1
	s_and_saveexec_b64 s[18:19], s[0:1]
	s_cbranch_execz .LBB282_301
; %bb.298:                              ;   in Loop: Header=BB282_233 Depth=1
	v_bfe_u32 v19, v17, 16, 7
	v_cmp_ne_u32_e64 s[0:1], s29, v19
	v_mov_b32_e32 v48, 0x7f800001
	s_and_saveexec_b64 s[20:21], s[0:1]
	s_cbranch_execz .LBB282_300
; %bb.299:                              ;   in Loop: Header=BB282_233 Depth=1
	v_and_b32_e32 v11, 7, v9
	v_ffbh_u32_e32 v20, v11
	v_min_u32_e32 v20, 32, v20
	v_subrev_u32_e32 v25, 28, v20
	v_lshlrev_b64 v[46:47], v25, v[9:10]
	v_lshrrev_b32_e32 v12, 3, v19
	v_sub_u32_e32 v20, 29, v20
	v_and_b32_e32 v25, 7, v46
	v_cmp_gt_u32_e64 s[0:1], 8, v19
	v_cndmask_b32_e64 v12, v12, v20, s[0:1]
	v_cndmask_b32_e64 v11, v11, v25, s[0:1]
	v_lshlrev_b32_e32 v9, 24, v9
	v_bfrev_b32_e32 v19, 60
	v_lshlrev_b32_e32 v11, 20, v11
	v_and_b32_e32 v9, 0x80000000, v9
	v_lshl_add_u32 v12, v12, 23, v19
	v_or3_b32 v48, v9, v12, v11
.LBB282_300:                            ;   in Loop: Header=BB282_233 Depth=1
	s_or_b64 exec, exec, s[20:21]
.LBB282_301:                            ;   in Loop: Header=BB282_233 Depth=1
	s_or_b64 exec, exec, s[18:19]
.LBB282_302:                            ;   in Loop: Header=BB282_233 Depth=1
	s_or_b64 exec, exec, s[16:17]
	v_cmp_lt_u32_e64 s[0:1], s5, v17
	s_and_saveexec_b64 s[16:17], s[0:1]
	s_cbranch_execz .LBB282_308
; %bb.303:                              ;   in Loop: Header=BB282_233 Depth=1
	v_lshrrev_b32_e32 v9, 24, v17
	v_cmp_ne_u32_e64 s[0:1], s28, v9
	v_bfrev_b32_e32 v49, 1
	s_and_saveexec_b64 s[18:19], s[0:1]
	s_cbranch_execz .LBB282_307
; %bb.304:                              ;   in Loop: Header=BB282_233 Depth=1
	v_bfe_u32 v19, v17, 24, 7
	v_cmp_ne_u32_e64 s[0:1], s29, v19
	v_mov_b32_e32 v49, 0x7f800001
	s_and_saveexec_b64 s[20:21], s[0:1]
	s_cbranch_execz .LBB282_306
; %bb.305:                              ;   in Loop: Header=BB282_233 Depth=1
	v_and_b32_e32 v11, 7, v9
	v_ffbh_u32_e32 v20, v11
	v_min_u32_e32 v20, 32, v20
	v_subrev_u32_e32 v25, 28, v20
	v_lshlrev_b64 v[46:47], v25, v[9:10]
	v_lshrrev_b32_e32 v12, 3, v19
	v_sub_u32_e32 v20, 29, v20
	v_and_b32_e32 v25, 7, v46
	v_cmp_gt_u32_e64 s[0:1], 8, v19
	v_cndmask_b32_e64 v12, v12, v20, s[0:1]
	v_cndmask_b32_e64 v11, v11, v25, s[0:1]
	v_lshlrev_b32_e32 v9, 24, v9
	v_bfrev_b32_e32 v19, 60
	v_lshlrev_b32_e32 v11, 20, v11
	v_and_b32_e32 v9, 0x80000000, v9
	v_lshl_add_u32 v12, v12, 23, v19
	v_or3_b32 v49, v9, v12, v11
.LBB282_306:                            ;   in Loop: Header=BB282_233 Depth=1
	s_or_b64 exec, exec, s[20:21]
.LBB282_307:                            ;   in Loop: Header=BB282_233 Depth=1
	s_or_b64 exec, exec, s[18:19]
.LBB282_308:                            ;   in Loop: Header=BB282_233 Depth=1
	s_or_b64 exec, exec, s[16:17]
	v_mov_b32_e32 v9, v18
	v_cmp_ne_u16_sdwa s[0:1], v18, v10 src0_sel:BYTE_0 src1_sel:DWORD
	v_mov_b32_e32 v46, 0
	v_mov_b32_e32 v25, 0
	s_and_saveexec_b64 s[16:17], s[0:1]
	s_cbranch_execz .LBB282_314
; %bb.309:                              ;   in Loop: Header=BB282_233 Depth=1
	v_cmp_ne_u16_sdwa s[0:1], v18, s28 src0_sel:BYTE_0 src1_sel:DWORD
	v_bfrev_b32_e32 v25, 1
	s_and_saveexec_b64 s[18:19], s[0:1]
	s_cbranch_execz .LBB282_313
; %bb.310:                              ;   in Loop: Header=BB282_233 Depth=1
	v_and_b32_e32 v19, 0x7f, v18
	v_cmp_ne_u32_e64 s[0:1], s29, v19
	v_mov_b32_e32 v25, 0x7f800001
	s_and_saveexec_b64 s[20:21], s[0:1]
	s_cbranch_execz .LBB282_312
; %bb.311:                              ;   in Loop: Header=BB282_233 Depth=1
	v_and_b32_e32 v11, 7, v18
	v_ffbh_u32_e32 v11, v11
	v_min_u32_e32 v11, 32, v11
	v_lshrrev_b32_e32 v12, 3, v19
	v_subrev_u32_e32 v20, 28, v11
	v_sub_u32_e32 v11, 29, v11
	v_cmp_gt_u32_e64 s[0:1], 8, v19
	v_cndmask_b32_e64 v11, v12, v11, s[0:1]
	v_cndmask_b32_e64 v12, 0, v20, s[0:1]
	v_lshlrev_b64 v[19:20], v12, v[9:10]
	v_bfrev_b32_e32 v20, 60
	v_lshlrev_b32_e32 v12, 20, v19
	v_lshlrev_b32_e32 v19, 24, v9
	v_and_b32_e32 v12, 0x700000, v12
	v_and_b32_e32 v19, 0x80000000, v19
	v_lshl_add_u32 v11, v11, 23, v20
	v_or3_b32 v25, v19, v11, v12
.LBB282_312:                            ;   in Loop: Header=BB282_233 Depth=1
	s_or_b64 exec, exec, s[20:21]
.LBB282_313:                            ;   in Loop: Header=BB282_233 Depth=1
	s_or_b64 exec, exec, s[18:19]
.LBB282_314:                            ;   in Loop: Header=BB282_233 Depth=1
	s_or_b64 exec, exec, s[16:17]
	v_lshrrev_b16_e32 v19, 8, v9
	v_cmp_ne_u16_e64 s[0:1], 0, v19
	s_and_saveexec_b64 s[16:17], s[0:1]
	s_cbranch_execz .LBB282_320
; %bb.315:                              ;   in Loop: Header=BB282_233 Depth=1
	v_cmp_ne_u16_e64 s[0:1], s28, v19
	v_bfrev_b32_e32 v46, 1
	s_and_saveexec_b64 s[18:19], s[0:1]
	s_cbranch_execz .LBB282_319
; %bb.316:                              ;   in Loop: Header=BB282_233 Depth=1
	v_and_b32_e32 v20, 0x7f, v19
	v_cmp_ne_u32_e64 s[0:1], s29, v20
	v_mov_b32_e32 v46, 0x7f800001
	s_and_saveexec_b64 s[20:21], s[0:1]
	s_cbranch_execz .LBB282_318
; %bb.317:                              ;   in Loop: Header=BB282_233 Depth=1
	v_and_b32_e32 v11, 7, v19
	v_ffbh_u32_e32 v46, v11
	v_min_u32_e32 v50, 32, v46
	v_subrev_u32_e32 v46, 28, v50
	v_lshlrev_b64 v[46:47], v46, v[19:20]
	v_lshrrev_b32_e32 v12, 3, v20
	v_sub_u32_e32 v19, 29, v50
	v_and_b32_e32 v46, 7, v46
	v_cmp_gt_u32_e64 s[0:1], 8, v20
	v_cndmask_b32_e64 v12, v12, v19, s[0:1]
	v_cndmask_b32_e64 v11, v11, v46, s[0:1]
	v_lshlrev_b32_e32 v9, 16, v9
	v_bfrev_b32_e32 v19, 60
	v_lshlrev_b32_e32 v11, 20, v11
	v_and_b32_e32 v9, 0x80000000, v9
	v_lshl_add_u32 v12, v12, 23, v19
	v_or3_b32 v46, v9, v12, v11
.LBB282_318:                            ;   in Loop: Header=BB282_233 Depth=1
	s_or_b64 exec, exec, s[20:21]
.LBB282_319:                            ;   in Loop: Header=BB282_233 Depth=1
	s_or_b64 exec, exec, s[18:19]
.LBB282_320:                            ;   in Loop: Header=BB282_233 Depth=1
	s_or_b64 exec, exec, s[16:17]
	v_lshrrev_b32_e32 v9, 16, v18
	v_cmp_ne_u16_sdwa s[0:1], v9, v10 src0_sel:BYTE_0 src1_sel:DWORD
	v_mov_b32_e32 v19, 0
	v_mov_b32_e32 v20, 0
	s_and_saveexec_b64 s[16:17], s[0:1]
	s_cbranch_execz .LBB282_326
; %bb.321:                              ;   in Loop: Header=BB282_233 Depth=1
	v_cmp_ne_u16_sdwa s[0:1], v9, s28 src0_sel:BYTE_0 src1_sel:DWORD
	v_bfrev_b32_e32 v20, 1
	s_and_saveexec_b64 s[18:19], s[0:1]
	s_cbranch_execz .LBB282_325
; %bb.322:                              ;   in Loop: Header=BB282_233 Depth=1
	v_bfe_u32 v47, v18, 16, 7
	v_cmp_ne_u32_e64 s[0:1], s29, v47
	v_mov_b32_e32 v20, 0x7f800001
	s_and_saveexec_b64 s[20:21], s[0:1]
	s_cbranch_execz .LBB282_324
; %bb.323:                              ;   in Loop: Header=BB282_233 Depth=1
	v_and_b32_e32 v11, 7, v9
	v_ffbh_u32_e32 v20, v11
	v_min_u32_e32 v20, 32, v20
	v_subrev_u32_e32 v50, 28, v20
	v_lshlrev_b64 v[50:51], v50, v[9:10]
	v_lshrrev_b32_e32 v12, 3, v47
	v_sub_u32_e32 v20, 29, v20
	v_and_b32_e32 v50, 7, v50
	v_cmp_gt_u32_e64 s[0:1], 8, v47
	v_cndmask_b32_e64 v12, v12, v20, s[0:1]
	v_cndmask_b32_e64 v11, v11, v50, s[0:1]
	v_lshlrev_b32_e32 v9, 24, v9
	v_bfrev_b32_e32 v20, 60
	v_lshlrev_b32_e32 v11, 20, v11
	v_and_b32_e32 v9, 0x80000000, v9
	v_lshl_add_u32 v12, v12, 23, v20
	v_or3_b32 v20, v9, v12, v11
.LBB282_324:                            ;   in Loop: Header=BB282_233 Depth=1
	s_or_b64 exec, exec, s[20:21]
.LBB282_325:                            ;   in Loop: Header=BB282_233 Depth=1
	s_or_b64 exec, exec, s[18:19]
.LBB282_326:                            ;   in Loop: Header=BB282_233 Depth=1
	s_or_b64 exec, exec, s[16:17]
	v_cmp_lt_u64_e64 s[0:1], s[4:5], v[17:18]
	s_and_saveexec_b64 s[16:17], s[0:1]
	s_cbranch_execz .LBB282_332
; %bb.327:                              ;   in Loop: Header=BB282_233 Depth=1
	v_lshrrev_b32_e32 v9, 24, v18
	v_cmp_ne_u32_e64 s[0:1], s28, v9
	v_bfrev_b32_e32 v19, 1
	s_and_saveexec_b64 s[18:19], s[0:1]
	s_cbranch_execz .LBB282_331
; %bb.328:                              ;   in Loop: Header=BB282_233 Depth=1
	v_bfe_u32 v17, v18, 24, 7
	v_cmp_ne_u32_e64 s[0:1], s29, v17
	v_mov_b32_e32 v19, 0x7f800001
	s_and_saveexec_b64 s[20:21], s[0:1]
	s_cbranch_execz .LBB282_330
; %bb.329:                              ;   in Loop: Header=BB282_233 Depth=1
	v_and_b32_e32 v11, 7, v9
	v_ffbh_u32_e32 v18, v11
	v_min_u32_e32 v47, 32, v18
	v_subrev_u32_e32 v18, 28, v47
	v_lshlrev_b64 v[18:19], v18, v[9:10]
	v_lshrrev_b32_e32 v12, 3, v17
	v_sub_u32_e32 v19, 29, v47
	v_and_b32_e32 v18, 7, v18
	v_cmp_gt_u32_e64 s[0:1], 8, v17
	v_cndmask_b32_e64 v12, v12, v19, s[0:1]
	v_cndmask_b32_e64 v11, v11, v18, s[0:1]
	v_lshlrev_b32_e32 v9, 24, v9
	v_bfrev_b32_e32 v17, 60
	v_lshlrev_b32_e32 v11, 20, v11
	v_and_b32_e32 v9, 0x80000000, v9
	v_lshl_add_u32 v12, v12, 23, v17
	v_or3_b32 v19, v9, v12, v11
.LBB282_330:                            ;   in Loop: Header=BB282_233 Depth=1
	s_or_b64 exec, exec, s[20:21]
.LBB282_331:                            ;   in Loop: Header=BB282_233 Depth=1
	s_or_b64 exec, exec, s[18:19]
.LBB282_332:                            ;   in Loop: Header=BB282_233 Depth=1
	s_or_b64 exec, exec, s[16:17]
	v_mul_f32_e32 v9, s31, v46
	v_bfe_u32 v11, v9, 16, 1
	v_add3_u32 v11, v11, v9, s30
	v_or_b32_e32 v12, 0x400000, v9
	v_cmp_u_f32_e64 s[0:1], v9, v9
	v_cndmask_b32_e64 v9, v11, v12, s[0:1]
	v_lshrrev_b32_e32 v46, 16, v9
	v_mul_f32_e32 v9, s31, v25
	v_bfe_u32 v11, v9, 16, 1
	v_add3_u32 v11, v11, v9, s30
	v_or_b32_e32 v12, 0x400000, v9
	v_cmp_u_f32_e64 s[0:1], v9, v9
	v_cndmask_b32_e64 v9, v11, v12, s[0:1]
	v_lshrrev_b32_e32 v47, 16, v9
	v_mul_f32_e32 v9, s31, v49
	v_bfe_u32 v11, v9, 16, 1
	v_add3_u32 v11, v11, v9, s30
	v_or_b32_e32 v12, 0x400000, v9
	v_cmp_u_f32_e64 s[0:1], v9, v9
	v_cndmask_b32_e64 v9, v11, v12, s[0:1]
	v_lshrrev_b32_e32 v49, 16, v9
	v_mul_f32_e32 v9, s31, v48
	v_bfe_u32 v11, v9, 16, 1
	v_add3_u32 v11, v11, v9, s30
	v_or_b32_e32 v12, 0x400000, v9
	v_cmp_u_f32_e64 s[0:1], v9, v9
	v_cndmask_b32_e64 v9, v11, v12, s[0:1]
	v_lshrrev_b32_e32 v50, 16, v9
	v_mul_f32_e32 v9, s31, v24
	v_bfe_u32 v11, v9, 16, 1
	v_add3_u32 v11, v11, v9, s30
	v_or_b32_e32 v12, 0x400000, v9
	v_cmp_u_f32_e64 s[0:1], v9, v9
	v_cndmask_b32_e64 v9, v11, v12, s[0:1]
	v_mul_f32_e32 v0, s31, v0
	v_lshrrev_b32_e32 v52, 16, v9
	v_bfe_u32 v9, v0, 16, 1
	v_add3_u32 v9, v9, v0, s30
	v_or_b32_e32 v11, 0x400000, v0
	v_cmp_u_f32_e64 s[0:1], v0, v0
	v_cndmask_b32_e64 v0, v9, v11, s[0:1]
	v_lshrrev_b32_e32 v53, 16, v0
	v_mul_f32_e32 v0, s31, v20
	v_bfe_u32 v9, v0, 16, 1
	v_add3_u32 v9, v9, v0, s30
	v_or_b32_e32 v11, 0x400000, v0
	v_cmp_u_f32_e64 s[0:1], v0, v0
	v_cndmask_b32_e64 v0, v9, v11, s[0:1]
	v_lshrrev_b32_e32 v48, 16, v0
	v_mul_f32_e32 v0, s31, v19
	v_bfe_u32 v9, v0, 16, 1
	v_add3_u32 v9, v9, v0, s30
	v_or_b32_e32 v11, 0x400000, v0
	v_cmp_u_f32_e64 s[0:1], v0, v0
	v_cndmask_b32_e64 v0, v9, v11, s[0:1]
	v_lshrrev_b32_e32 v51, 16, v0
	s_and_saveexec_b64 s[16:17], vcc
	s_cbranch_execz .LBB282_334
; %bb.333:                              ;   in Loop: Header=BB282_233 Depth=1
	v_cmp_gt_i32_e64 s[0:1], s33, v26
	v_cndmask_b32_e64 v53, 0, v53, s[0:1]
	v_cmp_gt_i32_e64 s[0:1], s33, v45
	v_cndmask_b32_e64 v52, 0, v52, s[0:1]
	;; [unrolled: 2-line block ×8, first 2 shown]
.LBB282_334:                            ;   in Loop: Header=BB282_233 Depth=1
	s_or_b64 exec, exec, s[16:17]
	global_load_dwordx2 v[17:18], v[15:16], off offset:1024
	v_mov_b32_e32 v24, 0
	v_mov_b32_e32 v0, 0
	s_waitcnt vmcnt(0)
	v_cmp_ne_u16_sdwa s[0:1], v17, v10 src0_sel:BYTE_0 src1_sel:DWORD
	s_and_saveexec_b64 s[16:17], s[0:1]
	s_cbranch_execz .LBB282_340
; %bb.335:                              ;   in Loop: Header=BB282_233 Depth=1
	v_cmp_ne_u16_sdwa s[0:1], v17, s28 src0_sel:BYTE_0 src1_sel:DWORD
	v_bfrev_b32_e32 v0, 1
	s_and_saveexec_b64 s[18:19], s[0:1]
	s_cbranch_execz .LBB282_339
; %bb.336:                              ;   in Loop: Header=BB282_233 Depth=1
	v_and_b32_e32 v9, 0x7f, v17
	v_cmp_ne_u32_e64 s[0:1], s29, v9
	v_mov_b32_e32 v0, 0x7f800001
	s_and_saveexec_b64 s[20:21], s[0:1]
	s_cbranch_execz .LBB282_338
; %bb.337:                              ;   in Loop: Header=BB282_233 Depth=1
	v_and_b32_e32 v0, 7, v17
	v_ffbh_u32_e32 v0, v0
	v_min_u32_e32 v0, 32, v0
	v_subrev_u32_e32 v12, 28, v0
	v_cmp_gt_u32_e64 s[0:1], 8, v9
	v_lshrrev_b32_e32 v11, 3, v9
	v_cndmask_b32_e64 v9, 0, v12, s[0:1]
	v_lshlrev_b64 v[19:20], v9, v[17:18]
	v_sub_u32_e32 v0, 29, v0
	v_cndmask_b32_e64 v0, v11, v0, s[0:1]
	v_lshlrev_b32_e32 v9, 20, v19
	v_lshlrev_b32_e32 v11, 24, v17
	v_bfrev_b32_e32 v12, 60
	v_and_b32_e32 v9, 0x700000, v9
	v_and_b32_e32 v11, 0x80000000, v11
	v_lshl_add_u32 v0, v0, 23, v12
	v_or3_b32 v0, v11, v0, v9
.LBB282_338:                            ;   in Loop: Header=BB282_233 Depth=1
	s_or_b64 exec, exec, s[20:21]
.LBB282_339:                            ;   in Loop: Header=BB282_233 Depth=1
	s_or_b64 exec, exec, s[18:19]
.LBB282_340:                            ;   in Loop: Header=BB282_233 Depth=1
	s_or_b64 exec, exec, s[16:17]
	v_lshrrev_b16_e32 v9, 8, v17
	v_cmp_ne_u16_e64 s[0:1], 0, v9
	s_and_saveexec_b64 s[16:17], s[0:1]
	s_cbranch_execz .LBB282_346
; %bb.341:                              ;   in Loop: Header=BB282_233 Depth=1
	v_cmp_ne_u16_e64 s[0:1], s28, v9
	v_bfrev_b32_e32 v24, 1
	s_and_saveexec_b64 s[18:19], s[0:1]
	s_cbranch_execz .LBB282_345
; %bb.342:                              ;   in Loop: Header=BB282_233 Depth=1
	v_and_b32_e32 v19, 0x7f, v9
	v_cmp_ne_u32_e64 s[0:1], s29, v19
	v_mov_b32_e32 v24, 0x7f800001
	s_and_saveexec_b64 s[20:21], s[0:1]
	s_cbranch_execz .LBB282_344
; %bb.343:                              ;   in Loop: Header=BB282_233 Depth=1
	v_and_b32_e32 v11, 7, v9
	v_ffbh_u32_e32 v20, v11
	v_min_u32_e32 v20, 32, v20
	v_subrev_u32_e32 v24, 28, v20
	v_lshlrev_b64 v[24:25], v24, v[9:10]
	v_lshrrev_b32_e32 v12, 3, v19
	v_sub_u32_e32 v9, 29, v20
	v_and_b32_e32 v20, 7, v24
	v_cmp_gt_u32_e64 s[0:1], 8, v19
	v_cndmask_b32_e64 v9, v12, v9, s[0:1]
	v_cndmask_b32_e64 v11, v11, v20, s[0:1]
	v_lshlrev_b32_e32 v12, 16, v17
	v_bfrev_b32_e32 v19, 60
	v_lshlrev_b32_e32 v11, 20, v11
	v_and_b32_e32 v12, 0x80000000, v12
	v_lshl_add_u32 v9, v9, 23, v19
	v_or3_b32 v24, v12, v9, v11
.LBB282_344:                            ;   in Loop: Header=BB282_233 Depth=1
	s_or_b64 exec, exec, s[20:21]
.LBB282_345:                            ;   in Loop: Header=BB282_233 Depth=1
	s_or_b64 exec, exec, s[18:19]
.LBB282_346:                            ;   in Loop: Header=BB282_233 Depth=1
	s_or_b64 exec, exec, s[16:17]
	v_lshrrev_b32_e32 v9, 16, v17
	v_cmp_ne_u16_sdwa s[0:1], v9, v10 src0_sel:BYTE_0 src1_sel:DWORD
	v_mov_b32_e32 v55, 0
	v_mov_b32_e32 v54, 0
	s_and_saveexec_b64 s[16:17], s[0:1]
	s_cbranch_execz .LBB282_352
; %bb.347:                              ;   in Loop: Header=BB282_233 Depth=1
	v_cmp_ne_u16_sdwa s[0:1], v9, s28 src0_sel:BYTE_0 src1_sel:DWORD
	v_bfrev_b32_e32 v54, 1
	s_and_saveexec_b64 s[18:19], s[0:1]
	s_cbranch_execz .LBB282_351
; %bb.348:                              ;   in Loop: Header=BB282_233 Depth=1
	v_bfe_u32 v19, v17, 16, 7
	v_cmp_ne_u32_e64 s[0:1], s29, v19
	v_mov_b32_e32 v54, 0x7f800001
	s_and_saveexec_b64 s[20:21], s[0:1]
	s_cbranch_execz .LBB282_350
; %bb.349:                              ;   in Loop: Header=BB282_233 Depth=1
	v_and_b32_e32 v11, 7, v9
	v_ffbh_u32_e32 v20, v11
	v_min_u32_e32 v20, 32, v20
	v_subrev_u32_e32 v25, 28, v20
	v_lshlrev_b64 v[56:57], v25, v[9:10]
	v_lshrrev_b32_e32 v12, 3, v19
	v_sub_u32_e32 v20, 29, v20
	v_and_b32_e32 v25, 7, v56
	v_cmp_gt_u32_e64 s[0:1], 8, v19
	v_cndmask_b32_e64 v12, v12, v20, s[0:1]
	v_cndmask_b32_e64 v11, v11, v25, s[0:1]
	v_lshlrev_b32_e32 v9, 24, v9
	v_bfrev_b32_e32 v19, 60
	v_lshlrev_b32_e32 v11, 20, v11
	v_and_b32_e32 v9, 0x80000000, v9
	v_lshl_add_u32 v12, v12, 23, v19
	v_or3_b32 v54, v9, v12, v11
.LBB282_350:                            ;   in Loop: Header=BB282_233 Depth=1
	s_or_b64 exec, exec, s[20:21]
.LBB282_351:                            ;   in Loop: Header=BB282_233 Depth=1
	s_or_b64 exec, exec, s[18:19]
.LBB282_352:                            ;   in Loop: Header=BB282_233 Depth=1
	s_or_b64 exec, exec, s[16:17]
	v_cmp_lt_u32_e64 s[0:1], s5, v17
	s_and_saveexec_b64 s[16:17], s[0:1]
	s_cbranch_execz .LBB282_358
; %bb.353:                              ;   in Loop: Header=BB282_233 Depth=1
	v_lshrrev_b32_e32 v9, 24, v17
	v_cmp_ne_u32_e64 s[0:1], s28, v9
	v_bfrev_b32_e32 v55, 1
	s_and_saveexec_b64 s[18:19], s[0:1]
	s_cbranch_execz .LBB282_357
; %bb.354:                              ;   in Loop: Header=BB282_233 Depth=1
	v_bfe_u32 v19, v17, 24, 7
	v_cmp_ne_u32_e64 s[0:1], s29, v19
	v_mov_b32_e32 v55, 0x7f800001
	s_and_saveexec_b64 s[20:21], s[0:1]
	s_cbranch_execz .LBB282_356
; %bb.355:                              ;   in Loop: Header=BB282_233 Depth=1
	v_and_b32_e32 v11, 7, v9
	v_ffbh_u32_e32 v20, v11
	v_min_u32_e32 v20, 32, v20
	v_subrev_u32_e32 v25, 28, v20
	v_lshlrev_b64 v[55:56], v25, v[9:10]
	v_lshrrev_b32_e32 v12, 3, v19
	v_sub_u32_e32 v20, 29, v20
	v_and_b32_e32 v25, 7, v55
	v_cmp_gt_u32_e64 s[0:1], 8, v19
	v_cndmask_b32_e64 v12, v12, v20, s[0:1]
	v_cndmask_b32_e64 v11, v11, v25, s[0:1]
	v_lshlrev_b32_e32 v9, 24, v9
	v_bfrev_b32_e32 v19, 60
	v_lshlrev_b32_e32 v11, 20, v11
	v_and_b32_e32 v9, 0x80000000, v9
	v_lshl_add_u32 v12, v12, 23, v19
	v_or3_b32 v55, v9, v12, v11
.LBB282_356:                            ;   in Loop: Header=BB282_233 Depth=1
	s_or_b64 exec, exec, s[20:21]
.LBB282_357:                            ;   in Loop: Header=BB282_233 Depth=1
	s_or_b64 exec, exec, s[18:19]
.LBB282_358:                            ;   in Loop: Header=BB282_233 Depth=1
	s_or_b64 exec, exec, s[16:17]
	v_mov_b32_e32 v9, v18
	v_cmp_ne_u16_sdwa s[0:1], v18, v10 src0_sel:BYTE_0 src1_sel:DWORD
	v_mov_b32_e32 v25, 0
	v_mov_b32_e32 v56, 0
	s_and_saveexec_b64 s[16:17], s[0:1]
	s_cbranch_execz .LBB282_364
; %bb.359:                              ;   in Loop: Header=BB282_233 Depth=1
	v_cmp_ne_u16_sdwa s[0:1], v18, s28 src0_sel:BYTE_0 src1_sel:DWORD
	v_bfrev_b32_e32 v56, 1
	s_and_saveexec_b64 s[18:19], s[0:1]
	s_cbranch_execz .LBB282_363
; %bb.360:                              ;   in Loop: Header=BB282_233 Depth=1
	v_and_b32_e32 v19, 0x7f, v18
	v_cmp_ne_u32_e64 s[0:1], s29, v19
	v_mov_b32_e32 v56, 0x7f800001
	s_and_saveexec_b64 s[20:21], s[0:1]
	s_cbranch_execz .LBB282_362
; %bb.361:                              ;   in Loop: Header=BB282_233 Depth=1
	v_and_b32_e32 v11, 7, v18
	v_ffbh_u32_e32 v11, v11
	v_min_u32_e32 v11, 32, v11
	v_lshrrev_b32_e32 v12, 3, v19
	v_subrev_u32_e32 v20, 28, v11
	v_sub_u32_e32 v11, 29, v11
	v_cmp_gt_u32_e64 s[0:1], 8, v19
	v_cndmask_b32_e64 v11, v12, v11, s[0:1]
	v_cndmask_b32_e64 v12, 0, v20, s[0:1]
	v_lshlrev_b64 v[19:20], v12, v[9:10]
	v_bfrev_b32_e32 v20, 60
	v_lshlrev_b32_e32 v12, 20, v19
	v_lshlrev_b32_e32 v19, 24, v9
	v_and_b32_e32 v12, 0x700000, v12
	v_and_b32_e32 v19, 0x80000000, v19
	v_lshl_add_u32 v11, v11, 23, v20
	v_or3_b32 v56, v19, v11, v12
.LBB282_362:                            ;   in Loop: Header=BB282_233 Depth=1
	s_or_b64 exec, exec, s[20:21]
.LBB282_363:                            ;   in Loop: Header=BB282_233 Depth=1
	s_or_b64 exec, exec, s[18:19]
.LBB282_364:                            ;   in Loop: Header=BB282_233 Depth=1
	s_or_b64 exec, exec, s[16:17]
	v_lshrrev_b16_e32 v19, 8, v9
	v_cmp_ne_u16_e64 s[0:1], 0, v19
	s_and_saveexec_b64 s[16:17], s[0:1]
	s_cbranch_execz .LBB282_370
; %bb.365:                              ;   in Loop: Header=BB282_233 Depth=1
	v_cmp_ne_u16_e64 s[0:1], s28, v19
	v_bfrev_b32_e32 v25, 1
	s_and_saveexec_b64 s[18:19], s[0:1]
	s_cbranch_execz .LBB282_369
; %bb.366:                              ;   in Loop: Header=BB282_233 Depth=1
	v_and_b32_e32 v20, 0x7f, v19
	v_cmp_ne_u32_e64 s[0:1], s29, v20
	v_mov_b32_e32 v25, 0x7f800001
	s_and_saveexec_b64 s[20:21], s[0:1]
	s_cbranch_execz .LBB282_368
; %bb.367:                              ;   in Loop: Header=BB282_233 Depth=1
	v_and_b32_e32 v11, 7, v19
	v_lshrrev_b32_e32 v12, 3, v20
	v_cmp_gt_u32_e64 s[0:1], 8, v20
	v_ffbh_u32_e32 v20, v11
	v_min_u32_e32 v25, 32, v20
	v_subrev_u32_e32 v20, 28, v25
	v_lshlrev_b64 v[19:20], v20, v[19:20]
	v_sub_u32_e32 v20, 29, v25
	v_and_b32_e32 v19, 7, v19
	v_cndmask_b32_e64 v12, v12, v20, s[0:1]
	v_cndmask_b32_e64 v11, v11, v19, s[0:1]
	v_lshlrev_b32_e32 v9, 16, v9
	v_bfrev_b32_e32 v19, 60
	v_lshlrev_b32_e32 v11, 20, v11
	v_and_b32_e32 v9, 0x80000000, v9
	v_lshl_add_u32 v12, v12, 23, v19
	v_or3_b32 v25, v9, v12, v11
.LBB282_368:                            ;   in Loop: Header=BB282_233 Depth=1
	s_or_b64 exec, exec, s[20:21]
.LBB282_369:                            ;   in Loop: Header=BB282_233 Depth=1
	s_or_b64 exec, exec, s[18:19]
.LBB282_370:                            ;   in Loop: Header=BB282_233 Depth=1
	s_or_b64 exec, exec, s[16:17]
	v_lshrrev_b32_e32 v9, 16, v18
	v_cmp_ne_u16_sdwa s[0:1], v9, v10 src0_sel:BYTE_0 src1_sel:DWORD
	v_mov_b32_e32 v57, 0
	v_mov_b32_e32 v60, 0
	s_and_saveexec_b64 s[16:17], s[0:1]
	s_cbranch_execz .LBB282_376
; %bb.371:                              ;   in Loop: Header=BB282_233 Depth=1
	v_cmp_ne_u16_sdwa s[0:1], v9, s28 src0_sel:BYTE_0 src1_sel:DWORD
	v_bfrev_b32_e32 v60, 1
	s_and_saveexec_b64 s[18:19], s[0:1]
	s_cbranch_execz .LBB282_375
; %bb.372:                              ;   in Loop: Header=BB282_233 Depth=1
	v_bfe_u32 v19, v18, 16, 7
	v_cmp_ne_u32_e64 s[0:1], s29, v19
	v_mov_b32_e32 v60, 0x7f800001
	s_and_saveexec_b64 s[20:21], s[0:1]
	s_cbranch_execz .LBB282_374
; %bb.373:                              ;   in Loop: Header=BB282_233 Depth=1
	v_and_b32_e32 v11, 7, v9
	v_lshrrev_b32_e32 v12, 3, v19
	v_cmp_gt_u32_e64 s[0:1], 8, v19
	v_ffbh_u32_e32 v19, v11
	v_min_u32_e32 v58, 32, v19
	v_subrev_u32_e32 v19, 28, v58
	v_lshlrev_b64 v[19:20], v19, v[9:10]
	v_sub_u32_e32 v20, 29, v58
	v_and_b32_e32 v19, 7, v19
	v_cndmask_b32_e64 v12, v12, v20, s[0:1]
	v_cndmask_b32_e64 v11, v11, v19, s[0:1]
	v_lshlrev_b32_e32 v9, 24, v9
	v_bfrev_b32_e32 v19, 60
	v_lshlrev_b32_e32 v11, 20, v11
	v_and_b32_e32 v9, 0x80000000, v9
	v_lshl_add_u32 v12, v12, 23, v19
	v_or3_b32 v60, v9, v12, v11
.LBB282_374:                            ;   in Loop: Header=BB282_233 Depth=1
	s_or_b64 exec, exec, s[20:21]
.LBB282_375:                            ;   in Loop: Header=BB282_233 Depth=1
	s_or_b64 exec, exec, s[18:19]
.LBB282_376:                            ;   in Loop: Header=BB282_233 Depth=1
	s_or_b64 exec, exec, s[16:17]
	v_cmp_lt_u64_e64 s[0:1], s[4:5], v[17:18]
	s_and_saveexec_b64 s[16:17], s[0:1]
	s_cbranch_execz .LBB282_382
; %bb.377:                              ;   in Loop: Header=BB282_233 Depth=1
	v_lshrrev_b32_e32 v9, 24, v18
	v_cmp_ne_u32_e64 s[0:1], s28, v9
	v_bfrev_b32_e32 v57, 1
	s_and_saveexec_b64 s[18:19], s[0:1]
	s_cbranch_execz .LBB282_381
; %bb.378:                              ;   in Loop: Header=BB282_233 Depth=1
	v_bfe_u32 v17, v18, 24, 7
	v_cmp_ne_u32_e64 s[0:1], s29, v17
	v_mov_b32_e32 v57, 0x7f800001
	s_and_saveexec_b64 s[20:21], s[0:1]
	s_cbranch_execz .LBB282_380
; %bb.379:                              ;   in Loop: Header=BB282_233 Depth=1
	v_and_b32_e32 v11, 7, v9
	v_lshrrev_b32_e32 v12, 3, v17
	v_cmp_gt_u32_e64 s[0:1], 8, v17
	v_ffbh_u32_e32 v17, v11
	v_min_u32_e32 v19, 32, v17
	v_subrev_u32_e32 v17, 28, v19
	v_lshlrev_b64 v[17:18], v17, v[9:10]
	v_sub_u32_e32 v18, 29, v19
	v_and_b32_e32 v17, 7, v17
	v_cndmask_b32_e64 v12, v12, v18, s[0:1]
	v_cndmask_b32_e64 v11, v11, v17, s[0:1]
	v_lshlrev_b32_e32 v9, 24, v9
	v_bfrev_b32_e32 v17, 60
	v_lshlrev_b32_e32 v11, 20, v11
	v_and_b32_e32 v9, 0x80000000, v9
	v_lshl_add_u32 v12, v12, 23, v17
	v_or3_b32 v57, v9, v12, v11
.LBB282_380:                            ;   in Loop: Header=BB282_233 Depth=1
	s_or_b64 exec, exec, s[20:21]
.LBB282_381:                            ;   in Loop: Header=BB282_233 Depth=1
	s_or_b64 exec, exec, s[18:19]
.LBB282_382:                            ;   in Loop: Header=BB282_233 Depth=1
	s_or_b64 exec, exec, s[16:17]
	v_mul_f32_e32 v9, s31, v25
	v_bfe_u32 v11, v9, 16, 1
	v_add3_u32 v11, v11, v9, s30
	v_or_b32_e32 v12, 0x400000, v9
	v_cmp_u_f32_e64 s[0:1], v9, v9
	v_cndmask_b32_e64 v9, v11, v12, s[0:1]
	v_lshrrev_b32_e32 v18, 16, v9
	v_mul_f32_e32 v9, s31, v56
	v_bfe_u32 v11, v9, 16, 1
	v_add3_u32 v11, v11, v9, s30
	v_or_b32_e32 v12, 0x400000, v9
	v_cmp_u_f32_e64 s[0:1], v9, v9
	v_cndmask_b32_e64 v9, v11, v12, s[0:1]
	v_lshrrev_b32_e32 v19, 16, v9
	;; [unrolled: 7-line block ×4, first 2 shown]
	v_mul_f32_e32 v9, s31, v24
	v_bfe_u32 v11, v9, 16, 1
	v_add3_u32 v11, v11, v9, s30
	v_or_b32_e32 v12, 0x400000, v9
	v_cmp_u_f32_e64 s[0:1], v9, v9
	v_cndmask_b32_e64 v9, v11, v12, s[0:1]
	v_mul_f32_e32 v0, s31, v0
	v_lshrrev_b32_e32 v58, 16, v9
	v_bfe_u32 v9, v0, 16, 1
	v_add3_u32 v9, v9, v0, s30
	v_or_b32_e32 v11, 0x400000, v0
	v_cmp_u_f32_e64 s[0:1], v0, v0
	v_cndmask_b32_e64 v0, v9, v11, s[0:1]
	v_lshrrev_b32_e32 v59, 16, v0
	v_mul_f32_e32 v0, s31, v60
	v_bfe_u32 v9, v0, 16, 1
	v_add3_u32 v9, v9, v0, s30
	v_or_b32_e32 v11, 0x400000, v0
	v_cmp_u_f32_e64 s[0:1], v0, v0
	v_cndmask_b32_e64 v0, v9, v11, s[0:1]
	v_lshrrev_b32_e32 v54, 16, v0
	v_mul_f32_e32 v0, s31, v57
	v_bfe_u32 v9, v0, 16, 1
	v_add3_u32 v9, v9, v0, s30
	v_or_b32_e32 v11, 0x400000, v0
	v_cmp_u_f32_e64 s[0:1], v0, v0
	v_cndmask_b32_e64 v0, v9, v11, s[0:1]
	v_lshrrev_b32_e32 v57, 16, v0
	s_and_saveexec_b64 s[16:17], vcc
	s_cbranch_execz .LBB282_384
; %bb.383:                              ;   in Loop: Header=BB282_233 Depth=1
	v_cmp_gt_i32_e64 s[0:1], s33, v26
	v_cndmask_b32_e64 v59, 0, v59, s[0:1]
	v_cmp_gt_i32_e64 s[0:1], s33, v45
	v_cndmask_b32_e64 v58, 0, v58, s[0:1]
	;; [unrolled: 2-line block ×8, first 2 shown]
.LBB282_384:                            ;   in Loop: Header=BB282_233 Depth=1
	s_or_b64 exec, exec, s[16:17]
	global_load_dwordx2 v[15:16], v[15:16], off offset:1536
	v_mov_b32_e32 v24, 0
	v_mov_b32_e32 v0, 0
	s_waitcnt vmcnt(0)
	v_cmp_ne_u16_sdwa s[0:1], v15, v10 src0_sel:BYTE_0 src1_sel:DWORD
	s_and_saveexec_b64 s[16:17], s[0:1]
	s_cbranch_execz .LBB282_390
; %bb.385:                              ;   in Loop: Header=BB282_233 Depth=1
	v_cmp_ne_u16_sdwa s[0:1], v15, s28 src0_sel:BYTE_0 src1_sel:DWORD
	v_bfrev_b32_e32 v0, 1
	s_and_saveexec_b64 s[18:19], s[0:1]
	s_cbranch_execz .LBB282_389
; %bb.386:                              ;   in Loop: Header=BB282_233 Depth=1
	v_and_b32_e32 v9, 0x7f, v15
	v_cmp_ne_u32_e64 s[0:1], s29, v9
	v_mov_b32_e32 v0, 0x7f800001
	s_and_saveexec_b64 s[20:21], s[0:1]
	s_cbranch_execz .LBB282_388
; %bb.387:                              ;   in Loop: Header=BB282_233 Depth=1
	v_and_b32_e32 v0, 7, v15
	v_ffbh_u32_e32 v0, v0
	v_min_u32_e32 v0, 32, v0
	v_subrev_u32_e32 v12, 28, v0
	v_cmp_gt_u32_e64 s[0:1], 8, v9
	v_lshrrev_b32_e32 v11, 3, v9
	v_cndmask_b32_e64 v9, 0, v12, s[0:1]
	v_lshlrev_b64 v[60:61], v9, v[15:16]
	v_sub_u32_e32 v0, 29, v0
	v_cndmask_b32_e64 v0, v11, v0, s[0:1]
	v_lshlrev_b32_e32 v9, 20, v60
	v_lshlrev_b32_e32 v11, 24, v15
	v_bfrev_b32_e32 v12, 60
	v_and_b32_e32 v9, 0x700000, v9
	v_and_b32_e32 v11, 0x80000000, v11
	v_lshl_add_u32 v0, v0, 23, v12
	v_or3_b32 v0, v11, v0, v9
.LBB282_388:                            ;   in Loop: Header=BB282_233 Depth=1
	s_or_b64 exec, exec, s[20:21]
.LBB282_389:                            ;   in Loop: Header=BB282_233 Depth=1
	s_or_b64 exec, exec, s[18:19]
.LBB282_390:                            ;   in Loop: Header=BB282_233 Depth=1
	s_or_b64 exec, exec, s[16:17]
	v_lshrrev_b16_e32 v9, 8, v15
	v_cmp_ne_u16_e64 s[0:1], 0, v9
	s_and_saveexec_b64 s[16:17], s[0:1]
	s_cbranch_execz .LBB282_396
; %bb.391:                              ;   in Loop: Header=BB282_233 Depth=1
	v_cmp_ne_u16_e64 s[0:1], s28, v9
	v_bfrev_b32_e32 v24, 1
	s_and_saveexec_b64 s[18:19], s[0:1]
	s_cbranch_execz .LBB282_395
; %bb.392:                              ;   in Loop: Header=BB282_233 Depth=1
	v_and_b32_e32 v17, 0x7f, v9
	v_cmp_ne_u32_e64 s[0:1], s29, v17
	v_mov_b32_e32 v24, 0x7f800001
	s_and_saveexec_b64 s[20:21], s[0:1]
	s_cbranch_execz .LBB282_394
; %bb.393:                              ;   in Loop: Header=BB282_233 Depth=1
	v_and_b32_e32 v11, 7, v9
	v_lshrrev_b32_e32 v12, 3, v17
	v_cmp_gt_u32_e64 s[0:1], 8, v17
	v_ffbh_u32_e32 v17, v11
	v_min_u32_e32 v17, 32, v17
	v_subrev_u32_e32 v20, 28, v17
	v_lshlrev_b64 v[24:25], v20, v[9:10]
	v_sub_u32_e32 v9, 29, v17
	v_and_b32_e32 v17, 7, v24
	v_cndmask_b32_e64 v9, v12, v9, s[0:1]
	v_cndmask_b32_e64 v11, v11, v17, s[0:1]
	v_lshlrev_b32_e32 v12, 16, v15
	v_bfrev_b32_e32 v17, 60
	v_lshlrev_b32_e32 v11, 20, v11
	v_and_b32_e32 v12, 0x80000000, v12
	v_lshl_add_u32 v9, v9, 23, v17
	v_or3_b32 v24, v12, v9, v11
.LBB282_394:                            ;   in Loop: Header=BB282_233 Depth=1
	s_or_b64 exec, exec, s[20:21]
.LBB282_395:                            ;   in Loop: Header=BB282_233 Depth=1
	s_or_b64 exec, exec, s[18:19]
.LBB282_396:                            ;   in Loop: Header=BB282_233 Depth=1
	s_or_b64 exec, exec, s[16:17]
	v_lshrrev_b32_e32 v9, 16, v15
	v_cmp_ne_u16_sdwa s[0:1], v9, v10 src0_sel:BYTE_0 src1_sel:DWORD
	v_mov_b32_e32 v61, 0
	v_mov_b32_e32 v60, 0
	s_and_saveexec_b64 s[16:17], s[0:1]
	s_cbranch_execz .LBB282_402
; %bb.397:                              ;   in Loop: Header=BB282_233 Depth=1
	v_cmp_ne_u16_sdwa s[0:1], v9, s28 src0_sel:BYTE_0 src1_sel:DWORD
	v_bfrev_b32_e32 v60, 1
	s_and_saveexec_b64 s[18:19], s[0:1]
	s_cbranch_execz .LBB282_401
; %bb.398:                              ;   in Loop: Header=BB282_233 Depth=1
	v_bfe_u32 v17, v15, 16, 7
	v_cmp_ne_u32_e64 s[0:1], s29, v17
	v_mov_b32_e32 v60, 0x7f800001
	s_and_saveexec_b64 s[20:21], s[0:1]
	s_cbranch_execz .LBB282_400
; %bb.399:                              ;   in Loop: Header=BB282_233 Depth=1
	v_and_b32_e32 v11, 7, v9
	v_lshrrev_b32_e32 v12, 3, v17
	v_cmp_gt_u32_e64 s[0:1], 8, v17
	v_ffbh_u32_e32 v17, v11
	v_min_u32_e32 v17, 32, v17
	v_subrev_u32_e32 v20, 28, v17
	v_lshlrev_b64 v[62:63], v20, v[9:10]
	v_sub_u32_e32 v17, 29, v17
	v_and_b32_e32 v20, 7, v62
	v_cndmask_b32_e64 v12, v12, v17, s[0:1]
	v_cndmask_b32_e64 v11, v11, v20, s[0:1]
	v_lshlrev_b32_e32 v9, 24, v9
	v_bfrev_b32_e32 v17, 60
	v_lshlrev_b32_e32 v11, 20, v11
	v_and_b32_e32 v9, 0x80000000, v9
	v_lshl_add_u32 v12, v12, 23, v17
	v_or3_b32 v60, v9, v12, v11
.LBB282_400:                            ;   in Loop: Header=BB282_233 Depth=1
	s_or_b64 exec, exec, s[20:21]
.LBB282_401:                            ;   in Loop: Header=BB282_233 Depth=1
	s_or_b64 exec, exec, s[18:19]
.LBB282_402:                            ;   in Loop: Header=BB282_233 Depth=1
	s_or_b64 exec, exec, s[16:17]
	v_cmp_lt_u32_e64 s[0:1], s5, v15
	s_and_saveexec_b64 s[16:17], s[0:1]
	s_cbranch_execz .LBB282_408
; %bb.403:                              ;   in Loop: Header=BB282_233 Depth=1
	v_lshrrev_b32_e32 v9, 24, v15
	v_cmp_ne_u32_e64 s[0:1], s28, v9
	v_bfrev_b32_e32 v61, 1
	s_and_saveexec_b64 s[18:19], s[0:1]
	s_cbranch_execz .LBB282_407
; %bb.404:                              ;   in Loop: Header=BB282_233 Depth=1
	v_bfe_u32 v17, v15, 24, 7
	v_cmp_ne_u32_e64 s[0:1], s29, v17
	v_mov_b32_e32 v61, 0x7f800001
	s_and_saveexec_b64 s[20:21], s[0:1]
	s_cbranch_execz .LBB282_406
; %bb.405:                              ;   in Loop: Header=BB282_233 Depth=1
	v_and_b32_e32 v11, 7, v9
	v_lshrrev_b32_e32 v12, 3, v17
	v_cmp_gt_u32_e64 s[0:1], 8, v17
	v_ffbh_u32_e32 v17, v11
	v_min_u32_e32 v17, 32, v17
	v_subrev_u32_e32 v20, 28, v17
	v_lshlrev_b64 v[61:62], v20, v[9:10]
	v_sub_u32_e32 v17, 29, v17
	v_and_b32_e32 v20, 7, v61
	v_cndmask_b32_e64 v12, v12, v17, s[0:1]
	v_cndmask_b32_e64 v11, v11, v20, s[0:1]
	v_lshlrev_b32_e32 v9, 24, v9
	v_bfrev_b32_e32 v17, 60
	v_lshlrev_b32_e32 v11, 20, v11
	v_and_b32_e32 v9, 0x80000000, v9
	v_lshl_add_u32 v12, v12, 23, v17
	v_or3_b32 v61, v9, v12, v11
.LBB282_406:                            ;   in Loop: Header=BB282_233 Depth=1
	s_or_b64 exec, exec, s[20:21]
.LBB282_407:                            ;   in Loop: Header=BB282_233 Depth=1
	s_or_b64 exec, exec, s[18:19]
.LBB282_408:                            ;   in Loop: Header=BB282_233 Depth=1
	s_or_b64 exec, exec, s[16:17]
	v_mov_b32_e32 v9, v16
	v_cmp_ne_u16_sdwa s[0:1], v16, v10 src0_sel:BYTE_0 src1_sel:DWORD
	v_mov_b32_e32 v63, 0
	v_mov_b32_e32 v62, 0
	s_and_saveexec_b64 s[16:17], s[0:1]
	s_cbranch_execz .LBB282_414
; %bb.409:                              ;   in Loop: Header=BB282_233 Depth=1
	v_cmp_ne_u16_sdwa s[0:1], v16, s28 src0_sel:BYTE_0 src1_sel:DWORD
	v_bfrev_b32_e32 v62, 1
	s_and_saveexec_b64 s[18:19], s[0:1]
	s_cbranch_execz .LBB282_413
; %bb.410:                              ;   in Loop: Header=BB282_233 Depth=1
	v_and_b32_e32 v17, 0x7f, v16
	v_cmp_ne_u32_e64 s[0:1], s29, v17
	v_mov_b32_e32 v62, 0x7f800001
	s_and_saveexec_b64 s[20:21], s[0:1]
	s_cbranch_execz .LBB282_412
; %bb.411:                              ;   in Loop: Header=BB282_233 Depth=1
	v_and_b32_e32 v11, 7, v16
	v_ffbh_u32_e32 v11, v11
	v_min_u32_e32 v11, 32, v11
	v_lshrrev_b32_e32 v12, 3, v17
	v_cmp_gt_u32_e64 s[0:1], 8, v17
	v_subrev_u32_e32 v17, 28, v11
	v_sub_u32_e32 v11, 29, v11
	v_cndmask_b32_e64 v20, v12, v11, s[0:1]
	v_cndmask_b32_e64 v11, 0, v17, s[0:1]
	v_lshlrev_b64 v[11:12], v11, v[9:10]
	v_lshlrev_b32_e32 v12, 24, v9
	v_lshlrev_b32_e32 v11, 20, v11
	v_bfrev_b32_e32 v17, 60
	v_and_b32_e32 v11, 0x700000, v11
	v_and_b32_e32 v12, 0x80000000, v12
	v_lshl_add_u32 v17, v20, 23, v17
	v_or3_b32 v62, v12, v17, v11
.LBB282_412:                            ;   in Loop: Header=BB282_233 Depth=1
	s_or_b64 exec, exec, s[20:21]
.LBB282_413:                            ;   in Loop: Header=BB282_233 Depth=1
	s_or_b64 exec, exec, s[18:19]
.LBB282_414:                            ;   in Loop: Header=BB282_233 Depth=1
	s_or_b64 exec, exec, s[16:17]
	v_lshrrev_b16_e32 v17, 8, v9
	v_cmp_ne_u16_e64 s[0:1], 0, v17
	s_and_saveexec_b64 s[16:17], s[0:1]
	s_cbranch_execz .LBB282_420
; %bb.415:                              ;   in Loop: Header=BB282_233 Depth=1
	v_cmp_ne_u16_e64 s[0:1], s28, v17
	v_bfrev_b32_e32 v63, 1
	s_and_saveexec_b64 s[18:19], s[0:1]
	s_cbranch_execz .LBB282_419
; %bb.416:                              ;   in Loop: Header=BB282_233 Depth=1
	v_and_b32_e32 v20, 0x7f, v17
	v_cmp_ne_u32_e64 s[0:1], s29, v20
	v_mov_b32_e32 v63, 0x7f800001
	s_and_saveexec_b64 s[20:21], s[0:1]
	s_cbranch_execz .LBB282_418
; %bb.417:                              ;   in Loop: Header=BB282_233 Depth=1
	v_and_b32_e32 v25, 7, v17
	v_ffbh_u32_e32 v11, v25
	v_lshrrev_b32_e32 v63, 3, v20
	v_cmp_gt_u32_e64 s[0:1], 8, v20
	v_min_u32_e32 v20, 32, v11
	v_subrev_u32_e32 v11, 28, v20
	v_lshlrev_b64 v[11:12], v11, v[17:18]
	v_sub_u32_e32 v12, 29, v20
	v_and_b32_e32 v11, 7, v11
	v_cndmask_b32_e64 v12, v63, v12, s[0:1]
	v_cndmask_b32_e64 v11, v25, v11, s[0:1]
	v_lshlrev_b32_e32 v9, 16, v9
	v_bfrev_b32_e32 v17, 60
	v_lshlrev_b32_e32 v11, 20, v11
	v_and_b32_e32 v9, 0x80000000, v9
	v_lshl_add_u32 v12, v12, 23, v17
	v_or3_b32 v63, v9, v12, v11
.LBB282_418:                            ;   in Loop: Header=BB282_233 Depth=1
	s_or_b64 exec, exec, s[20:21]
.LBB282_419:                            ;   in Loop: Header=BB282_233 Depth=1
	s_or_b64 exec, exec, s[18:19]
.LBB282_420:                            ;   in Loop: Header=BB282_233 Depth=1
	s_or_b64 exec, exec, s[16:17]
	v_lshrrev_b32_e32 v9, 16, v16
	v_cmp_ne_u16_sdwa s[0:1], v9, v10 src0_sel:BYTE_0 src1_sel:DWORD
	v_mov_b32_e32 v25, 0
	v_mov_b32_e32 v20, 0
	s_and_saveexec_b64 s[16:17], s[0:1]
	s_cbranch_execz .LBB282_426
; %bb.421:                              ;   in Loop: Header=BB282_233 Depth=1
	v_cmp_ne_u16_sdwa s[0:1], v9, s28 src0_sel:BYTE_0 src1_sel:DWORD
	v_bfrev_b32_e32 v20, 1
	s_and_saveexec_b64 s[18:19], s[0:1]
	s_cbranch_execz .LBB282_425
; %bb.422:                              ;   in Loop: Header=BB282_233 Depth=1
	v_bfe_u32 v17, v16, 16, 7
	v_cmp_ne_u32_e64 s[0:1], s29, v17
	v_mov_b32_e32 v20, 0x7f800001
	s_and_saveexec_b64 s[20:21], s[0:1]
	s_cbranch_execz .LBB282_424
; %bb.423:                              ;   in Loop: Header=BB282_233 Depth=1
	v_and_b32_e32 v20, 7, v9
	v_ffbh_u32_e32 v11, v20
	v_lshrrev_b32_e32 v30, 3, v17
	v_cmp_gt_u32_e64 s[0:1], 8, v17
	v_min_u32_e32 v17, 32, v11
	v_subrev_u32_e32 v11, 28, v17
	v_lshlrev_b64 v[11:12], v11, v[9:10]
	v_sub_u32_e32 v12, 29, v17
	v_and_b32_e32 v11, 7, v11
	v_cndmask_b32_e64 v12, v30, v12, s[0:1]
	v_cndmask_b32_e64 v11, v20, v11, s[0:1]
	v_lshlrev_b32_e32 v9, 24, v9
	v_bfrev_b32_e32 v17, 60
	v_lshlrev_b32_e32 v11, 20, v11
	v_and_b32_e32 v9, 0x80000000, v9
	v_lshl_add_u32 v12, v12, 23, v17
	v_or3_b32 v20, v9, v12, v11
.LBB282_424:                            ;   in Loop: Header=BB282_233 Depth=1
	s_or_b64 exec, exec, s[20:21]
.LBB282_425:                            ;   in Loop: Header=BB282_233 Depth=1
	s_or_b64 exec, exec, s[18:19]
.LBB282_426:                            ;   in Loop: Header=BB282_233 Depth=1
	s_or_b64 exec, exec, s[16:17]
	v_cmp_lt_u64_e64 s[0:1], s[4:5], v[15:16]
	s_and_saveexec_b64 s[16:17], s[0:1]
	s_cbranch_execz .LBB282_432
; %bb.427:                              ;   in Loop: Header=BB282_233 Depth=1
	v_lshrrev_b32_e32 v9, 24, v16
	v_cmp_ne_u32_e64 s[0:1], s28, v9
	v_bfrev_b32_e32 v25, 1
	s_and_saveexec_b64 s[18:19], s[0:1]
	s_cbranch_execz .LBB282_431
; %bb.428:                              ;   in Loop: Header=BB282_233 Depth=1
	v_bfe_u32 v15, v16, 24, 7
	v_cmp_ne_u32_e64 s[0:1], s29, v15
	v_mov_b32_e32 v25, 0x7f800001
	s_and_saveexec_b64 s[20:21], s[0:1]
	s_cbranch_execz .LBB282_430
; %bb.429:                              ;   in Loop: Header=BB282_233 Depth=1
	v_and_b32_e32 v16, 7, v9
	v_ffbh_u32_e32 v11, v16
	v_lshrrev_b32_e32 v17, 3, v15
	v_cmp_gt_u32_e64 s[0:1], 8, v15
	v_min_u32_e32 v15, 32, v11
	v_subrev_u32_e32 v11, 28, v15
	v_lshlrev_b64 v[11:12], v11, v[9:10]
	v_sub_u32_e32 v12, 29, v15
	v_and_b32_e32 v11, 7, v11
	v_cndmask_b32_e64 v12, v17, v12, s[0:1]
	v_cndmask_b32_e64 v11, v16, v11, s[0:1]
	v_lshlrev_b32_e32 v9, 24, v9
	v_bfrev_b32_e32 v15, 60
	v_lshlrev_b32_e32 v11, 20, v11
	v_and_b32_e32 v9, 0x80000000, v9
	v_lshl_add_u32 v12, v12, 23, v15
	v_or3_b32 v25, v9, v12, v11
.LBB282_430:                            ;   in Loop: Header=BB282_233 Depth=1
	s_or_b64 exec, exec, s[20:21]
.LBB282_431:                            ;   in Loop: Header=BB282_233 Depth=1
	s_or_b64 exec, exec, s[18:19]
.LBB282_432:                            ;   in Loop: Header=BB282_233 Depth=1
	s_or_b64 exec, exec, s[16:17]
	v_mul_f32_e32 v9, s31, v63
	v_bfe_u32 v11, v9, 16, 1
	v_add3_u32 v11, v11, v9, s30
	v_or_b32_e32 v12, 0x400000, v9
	v_cmp_u_f32_e64 s[0:1], v9, v9
	v_cndmask_b32_e64 v9, v11, v12, s[0:1]
	v_mul_f32_e32 v11, s31, v62
	v_bfe_u32 v12, v11, 16, 1
	v_add3_u32 v12, v12, v11, s30
	v_or_b32_e32 v15, 0x400000, v11
	v_cmp_u_f32_e64 s[0:1], v11, v11
	v_cndmask_b32_e64 v11, v12, v15, s[0:1]
	v_lshrrev_b32_e32 v15, 16, v11
	v_mul_f32_e32 v11, s31, v61
	v_bfe_u32 v12, v11, 16, 1
	v_add3_u32 v12, v12, v11, s30
	v_or_b32_e32 v16, 0x400000, v11
	v_cmp_u_f32_e64 s[0:1], v11, v11
	v_cndmask_b32_e64 v11, v12, v16, s[0:1]
	v_lshrrev_b32_e32 v16, 16, v11
	;; [unrolled: 7-line block ×3, first 2 shown]
	v_mul_f32_e32 v11, s31, v24
	v_bfe_u32 v12, v11, 16, 1
	v_add3_u32 v12, v12, v11, s30
	v_or_b32_e32 v24, 0x400000, v11
	v_cmp_u_f32_e64 s[0:1], v11, v11
	v_cndmask_b32_e64 v11, v12, v24, s[0:1]
	v_mul_f32_e32 v0, s31, v0
	v_lshrrev_b32_e32 v60, 16, v11
	v_bfe_u32 v11, v0, 16, 1
	v_add3_u32 v11, v11, v0, s30
	v_or_b32_e32 v12, 0x400000, v0
	v_cmp_u_f32_e64 s[0:1], v0, v0
	v_cndmask_b32_e64 v0, v11, v12, s[0:1]
	v_lshrrev_b32_e32 v61, 16, v0
	v_mul_f32_e32 v0, s31, v20
	v_bfe_u32 v11, v0, 16, 1
	v_add3_u32 v11, v11, v0, s30
	v_or_b32_e32 v12, 0x400000, v0
	v_cmp_u_f32_e64 s[0:1], v0, v0
	v_cndmask_b32_e64 v0, v11, v12, s[0:1]
	v_mul_f32_e32 v11, s31, v25
	v_bfe_u32 v12, v11, 16, 1
	v_add3_u32 v12, v12, v11, s30
	v_or_b32_e32 v20, 0x400000, v11
	v_cmp_u_f32_e64 s[0:1], v11, v11
	v_cndmask_b32_e64 v11, v12, v20, s[0:1]
	v_lshrrev_b32_e32 v9, 16, v9
	v_lshrrev_b32_e32 v0, 16, v0
	;; [unrolled: 1-line block ×3, first 2 shown]
	s_and_saveexec_b64 s[0:1], vcc
	s_cbranch_execz .LBB282_231
; %bb.433:                              ;   in Loop: Header=BB282_233 Depth=1
	v_cmp_gt_i32_e32 vcc, s33, v26
	v_cndmask_b32_e32 v61, 0, v61, vcc
	v_cmp_gt_i32_e32 vcc, s33, v45
	v_cndmask_b32_e32 v60, 0, v60, vcc
	;; [unrolled: 2-line block ×8, first 2 shown]
	s_branch .LBB282_231
.LBB282_434:
	s_or_b64 exec, exec, s[6:7]
	buffer_load_dword v14, off, s[56:59], 0 offset:12 ; 4-byte Folded Reload
.LBB282_435:
	s_or_b64 exec, exec, s[2:3]
	s_waitcnt vmcnt(0)
	s_barrier
	buffer_load_dword v1, off, s[56:59], 0 offset:72 ; 4-byte Folded Reload
	s_waitcnt vmcnt(0)
	v_and_b32_e32 v0, 0x3c0, v1
	v_cmp_eq_u32_e32 vcc, 64, v0
	s_and_saveexec_b64 s[0:1], vcc
	s_cbranch_execz .LBB282_437
; %bb.436:
	v_mov_b32_e32 v0, 0x210
	v_lshl_add_u32 v0, v14, 2, v0
	ds_write2st64_b32 v0, v28, v23 offset1:1
	ds_write2st64_b32 v0, v22, v21 offset0:2 offset1:3
.LBB282_437:
	s_or_b64 exec, exec, s[0:1]
	v_cmp_gt_u32_e32 vcc, 64, v1
	s_waitcnt lgkmcnt(0)
	s_barrier
	s_and_saveexec_b64 s[0:1], vcc
	s_cbranch_execz .LBB282_439
; %bb.438:
	v_mov_b32_e32 v0, 0x210
	v_lshl_add_u32 v2, v1, 2, v0
	ds_read2st64_b32 v[0:1], v2 offset1:1
	ds_read2st64_b32 v[2:3], v2 offset0:2 offset1:3
	s_waitcnt lgkmcnt(1)
	v_add_f32_e32 v28, v28, v0
	v_add_f32_e32 v23, v23, v1
	s_waitcnt lgkmcnt(0)
	v_add_f32_e32 v22, v22, v2
	v_add_f32_e32 v21, v21, v3
.LBB282_439:
	s_or_b64 exec, exec, s[0:1]
	s_barrier
	s_and_saveexec_b64 s[0:1], vcc
	s_cbranch_execz .LBB282_441
; %bb.440:
	buffer_load_dword v2, off, s[56:59], 0 offset:84 ; 4-byte Folded Reload
	s_mul_i32 s0, s10, s11
	s_mul_i32 s0, s0, s9
	s_lshl_b32 s0, s0, 8
	s_ashr_i32 s1, s0, 31
	s_lshl_b64 s[0:1], s[0:1], 1
	s_add_u32 s2, s26, s0
	s_mul_i32 s0, s11, s24
	s_addc_u32 s3, s27, s1
	s_ashr_i32 s1, s0, 31
	s_lshl_b64 s[0:1], s[0:1], 1
	s_add_u32 s2, s2, s0
	s_addc_u32 s3, s3, s1
	s_lshl_b32 s0, s8, 8
	s_ashr_i32 s1, s0, 31
	s_lshl_b64 s[0:1], s[0:1], 1
	s_add_u32 s0, s2, s0
	v_bfe_u32 v0, v28, 16, 1
	s_movk_i32 s2, 0x7fff
	v_add3_u32 v0, v0, v28, s2
	v_or_b32_e32 v1, 0x400000, v28
	v_cmp_u_f32_e32 vcc, v28, v28
	s_addc_u32 s1, s3, s1
	v_cndmask_b32_e32 v0, v0, v1, vcc
	v_or_b32_e32 v1, 0x400000, v23
	v_cmp_u_f32_e32 vcc, v23, v23
	s_waitcnt vmcnt(0)
	global_store_short_d16_hi v2, v0, s[0:1]
	v_bfe_u32 v0, v23, 16, 1
	v_add3_u32 v0, v0, v23, s2
	v_cndmask_b32_e32 v0, v0, v1, vcc
	global_store_short_d16_hi v2, v0, s[0:1] offset:128
	v_bfe_u32 v0, v22, 16, 1
	v_add3_u32 v0, v0, v22, s2
	v_or_b32_e32 v1, 0x400000, v22
	v_cmp_u_f32_e32 vcc, v22, v22
	v_cndmask_b32_e32 v0, v0, v1, vcc
	global_store_short_d16_hi v2, v0, s[0:1] offset:256
	v_bfe_u32 v0, v21, 16, 1
	v_add3_u32 v0, v0, v21, s2
	v_or_b32_e32 v1, 0x400000, v21
	v_cmp_u_f32_e32 vcc, v21, v21
	v_cndmask_b32_e32 v0, v0, v1, vcc
	global_store_short_d16_hi v2, v0, s[0:1] offset:384
.LBB282_441:
	s_endpgm
	.section	.rodata,"a",@progbits
	.p2align	6, 0x0
	.amdhsa_kernel _ZN4vllm25paged_attention_v1_kernelI14__hip_bfloat16hLi256ELi8ELi128ELNS_18Fp8KVCacheDataTypeE1ELb1EEEvPT_PKS3_PKT0_S9_ifPKiSB_iPKfiiiSD_SD_iiiii
		.amdhsa_group_segment_fixed_size 528
		.amdhsa_private_segment_fixed_size 96
		.amdhsa_kernarg_size 384
		.amdhsa_user_sgpr_count 6
		.amdhsa_user_sgpr_private_segment_buffer 1
		.amdhsa_user_sgpr_dispatch_ptr 0
		.amdhsa_user_sgpr_queue_ptr 0
		.amdhsa_user_sgpr_kernarg_segment_ptr 1
		.amdhsa_user_sgpr_dispatch_id 0
		.amdhsa_user_sgpr_flat_scratch_init 0
		.amdhsa_user_sgpr_private_segment_size 0
		.amdhsa_uses_dynamic_stack 0
		.amdhsa_system_sgpr_private_segment_wavefront_offset 1
		.amdhsa_system_sgpr_workgroup_id_x 1
		.amdhsa_system_sgpr_workgroup_id_y 1
		.amdhsa_system_sgpr_workgroup_id_z 1
		.amdhsa_system_sgpr_workgroup_info 0
		.amdhsa_system_vgpr_workitem_id 0
		.amdhsa_next_free_vgpr 64
		.amdhsa_next_free_sgpr 60
		.amdhsa_reserve_vcc 1
		.amdhsa_reserve_flat_scratch 0
		.amdhsa_float_round_mode_32 0
		.amdhsa_float_round_mode_16_64 0
		.amdhsa_float_denorm_mode_32 3
		.amdhsa_float_denorm_mode_16_64 3
		.amdhsa_dx10_clamp 1
		.amdhsa_ieee_mode 1
		.amdhsa_fp16_overflow 0
		.amdhsa_exception_fp_ieee_invalid_op 0
		.amdhsa_exception_fp_denorm_src 0
		.amdhsa_exception_fp_ieee_div_zero 0
		.amdhsa_exception_fp_ieee_overflow 0
		.amdhsa_exception_fp_ieee_underflow 0
		.amdhsa_exception_fp_ieee_inexact 0
		.amdhsa_exception_int_div_zero 0
	.end_amdhsa_kernel
	.section	.text._ZN4vllm25paged_attention_v1_kernelI14__hip_bfloat16hLi256ELi8ELi128ELNS_18Fp8KVCacheDataTypeE1ELb1EEEvPT_PKS3_PKT0_S9_ifPKiSB_iPKfiiiSD_SD_iiiii,"axG",@progbits,_ZN4vllm25paged_attention_v1_kernelI14__hip_bfloat16hLi256ELi8ELi128ELNS_18Fp8KVCacheDataTypeE1ELb1EEEvPT_PKS3_PKT0_S9_ifPKiSB_iPKfiiiSD_SD_iiiii,comdat
.Lfunc_end282:
	.size	_ZN4vllm25paged_attention_v1_kernelI14__hip_bfloat16hLi256ELi8ELi128ELNS_18Fp8KVCacheDataTypeE1ELb1EEEvPT_PKS3_PKT0_S9_ifPKiSB_iPKfiiiSD_SD_iiiii, .Lfunc_end282-_ZN4vllm25paged_attention_v1_kernelI14__hip_bfloat16hLi256ELi8ELi128ELNS_18Fp8KVCacheDataTypeE1ELb1EEEvPT_PKS3_PKT0_S9_ifPKiSB_iPKfiiiSD_SD_iiiii
                                        ; -- End function
	.set _ZN4vllm25paged_attention_v1_kernelI14__hip_bfloat16hLi256ELi8ELi128ELNS_18Fp8KVCacheDataTypeE1ELb1EEEvPT_PKS3_PKT0_S9_ifPKiSB_iPKfiiiSD_SD_iiiii.num_vgpr, 64
	.set _ZN4vllm25paged_attention_v1_kernelI14__hip_bfloat16hLi256ELi8ELi128ELNS_18Fp8KVCacheDataTypeE1ELb1EEEvPT_PKS3_PKT0_S9_ifPKiSB_iPKfiiiSD_SD_iiiii.num_agpr, 0
	.set _ZN4vllm25paged_attention_v1_kernelI14__hip_bfloat16hLi256ELi8ELi128ELNS_18Fp8KVCacheDataTypeE1ELb1EEEvPT_PKS3_PKT0_S9_ifPKiSB_iPKfiiiSD_SD_iiiii.numbered_sgpr, 60
	.set _ZN4vllm25paged_attention_v1_kernelI14__hip_bfloat16hLi256ELi8ELi128ELNS_18Fp8KVCacheDataTypeE1ELb1EEEvPT_PKS3_PKT0_S9_ifPKiSB_iPKfiiiSD_SD_iiiii.num_named_barrier, 0
	.set _ZN4vllm25paged_attention_v1_kernelI14__hip_bfloat16hLi256ELi8ELi128ELNS_18Fp8KVCacheDataTypeE1ELb1EEEvPT_PKS3_PKT0_S9_ifPKiSB_iPKfiiiSD_SD_iiiii.private_seg_size, 96
	.set _ZN4vllm25paged_attention_v1_kernelI14__hip_bfloat16hLi256ELi8ELi128ELNS_18Fp8KVCacheDataTypeE1ELb1EEEvPT_PKS3_PKT0_S9_ifPKiSB_iPKfiiiSD_SD_iiiii.uses_vcc, 1
	.set _ZN4vllm25paged_attention_v1_kernelI14__hip_bfloat16hLi256ELi8ELi128ELNS_18Fp8KVCacheDataTypeE1ELb1EEEvPT_PKS3_PKT0_S9_ifPKiSB_iPKfiiiSD_SD_iiiii.uses_flat_scratch, 0
	.set _ZN4vllm25paged_attention_v1_kernelI14__hip_bfloat16hLi256ELi8ELi128ELNS_18Fp8KVCacheDataTypeE1ELb1EEEvPT_PKS3_PKT0_S9_ifPKiSB_iPKfiiiSD_SD_iiiii.has_dyn_sized_stack, 0
	.set _ZN4vllm25paged_attention_v1_kernelI14__hip_bfloat16hLi256ELi8ELi128ELNS_18Fp8KVCacheDataTypeE1ELb1EEEvPT_PKS3_PKT0_S9_ifPKiSB_iPKfiiiSD_SD_iiiii.has_recursion, 0
	.set _ZN4vllm25paged_attention_v1_kernelI14__hip_bfloat16hLi256ELi8ELi128ELNS_18Fp8KVCacheDataTypeE1ELb1EEEvPT_PKS3_PKT0_S9_ifPKiSB_iPKfiiiSD_SD_iiiii.has_indirect_call, 0
	.section	.AMDGPU.csdata,"",@progbits
; Kernel info:
; codeLenInByte = 22248
; TotalNumSgprs: 64
; NumVgprs: 64
; ScratchSize: 96
; MemoryBound: 0
; FloatMode: 240
; IeeeMode: 1
; LDSByteSize: 528 bytes/workgroup (compile time only)
; SGPRBlocks: 7
; VGPRBlocks: 15
; NumSGPRsForWavesPerEU: 64
; NumVGPRsForWavesPerEU: 64
; Occupancy: 4
; WaveLimiterHint : 1
; COMPUTE_PGM_RSRC2:SCRATCH_EN: 1
; COMPUTE_PGM_RSRC2:USER_SGPR: 6
; COMPUTE_PGM_RSRC2:TRAP_HANDLER: 0
; COMPUTE_PGM_RSRC2:TGID_X_EN: 1
; COMPUTE_PGM_RSRC2:TGID_Y_EN: 1
; COMPUTE_PGM_RSRC2:TGID_Z_EN: 1
; COMPUTE_PGM_RSRC2:TIDIG_COMP_CNT: 0
	.section	.text._ZN4vllm25paged_attention_v1_kernelI14__hip_bfloat16hLi32ELi8ELi128ELNS_18Fp8KVCacheDataTypeE1ELb0EEEvPT_PKS3_PKT0_S9_ifPKiSB_iPKfiiiSD_SD_iiiii,"axG",@progbits,_ZN4vllm25paged_attention_v1_kernelI14__hip_bfloat16hLi32ELi8ELi128ELNS_18Fp8KVCacheDataTypeE1ELb0EEEvPT_PKS3_PKT0_S9_ifPKiSB_iPKfiiiSD_SD_iiiii,comdat
	.protected	_ZN4vllm25paged_attention_v1_kernelI14__hip_bfloat16hLi32ELi8ELi128ELNS_18Fp8KVCacheDataTypeE1ELb0EEEvPT_PKS3_PKT0_S9_ifPKiSB_iPKfiiiSD_SD_iiiii ; -- Begin function _ZN4vllm25paged_attention_v1_kernelI14__hip_bfloat16hLi32ELi8ELi128ELNS_18Fp8KVCacheDataTypeE1ELb0EEEvPT_PKS3_PKT0_S9_ifPKiSB_iPKfiiiSD_SD_iiiii
	.globl	_ZN4vllm25paged_attention_v1_kernelI14__hip_bfloat16hLi32ELi8ELi128ELNS_18Fp8KVCacheDataTypeE1ELb0EEEvPT_PKS3_PKT0_S9_ifPKiSB_iPKfiiiSD_SD_iiiii
	.p2align	8
	.type	_ZN4vllm25paged_attention_v1_kernelI14__hip_bfloat16hLi32ELi8ELi128ELNS_18Fp8KVCacheDataTypeE1ELb0EEEvPT_PKS3_PKT0_S9_ifPKiSB_iPKfiiiSD_SD_iiiii,@function
_ZN4vllm25paged_attention_v1_kernelI14__hip_bfloat16hLi32ELi8ELi128ELNS_18Fp8KVCacheDataTypeE1ELb0EEEvPT_PKS3_PKT0_S9_ifPKiSB_iPKfiiiSD_SD_iiiii: ; @_ZN4vllm25paged_attention_v1_kernelI14__hip_bfloat16hLi32ELi8ELi128ELNS_18Fp8KVCacheDataTypeE1ELb0EEEvPT_PKS3_PKT0_S9_ifPKiSB_iPKfiiiSD_SD_iiiii
; %bb.0:
	s_load_dword s9, s[4:5], 0x80
	s_load_dwordx2 s[0:1], s[4:5], 0x30
	s_load_dwordx2 s[30:31], s[4:5], 0x20
	s_mov_b32 s10, s7
	s_ashr_i32 s11, s7, 31
	s_lshl_b64 s[2:3], s[10:11], 2
	s_waitcnt lgkmcnt(0)
	s_add_u32 s0, s0, s2
	s_addc_u32 s1, s1, s3
	s_abs_i32 s2, s30
	v_cvt_f32_u32_e32 v1, s2
	s_sub_i32 s11, 0, s2
	s_abs_i32 s7, s9
	s_xor_b32 s3, s9, s30
	v_rcp_iflag_f32_e32 v1, v1
	s_ashr_i32 s3, s3, 31
	s_mov_b32 s33, 0
	v_mul_f32_e32 v1, 0x4f7ffffe, v1
	v_cvt_u32_f32_e32 v1, v1
	v_readfirstlane_b32 s12, v1
	s_mul_i32 s11, s11, s12
	s_mul_hi_u32 s11, s12, s11
	s_add_i32 s12, s12, s11
	s_mul_hi_u32 s11, s7, s12
	s_mul_i32 s12, s11, s2
	s_sub_i32 s7, s7, s12
	s_add_i32 s12, s11, 1
	s_sub_i32 s13, s7, s2
	s_cmp_ge_u32 s7, s2
	s_cselect_b32 s11, s12, s11
	s_cselect_b32 s7, s13, s7
	s_add_i32 s12, s11, 1
	s_cmp_ge_u32 s7, s2
	s_cselect_b32 s2, s12, s11
	s_xor_b32 s2, s2, s3
	s_sub_i32 s15, s2, s3
	s_abs_i32 s12, s15
	v_cvt_f32_u32_e32 v1, s12
	s_load_dwordx2 s[2:3], s[4:5], 0x40
	s_sub_i32 s7, 0, s12
	s_abs_i32 s13, s6
	v_rcp_iflag_f32_e32 v1, v1
	v_mul_f32_e32 v1, 0x4f7ffffe, v1
	v_cvt_u32_f32_e32 v1, v1
	v_readfirstlane_b32 s11, v1
	s_mul_i32 s7, s7, s11
	s_mul_hi_u32 s7, s11, s7
	s_add_i32 s11, s11, s7
	s_waitcnt lgkmcnt(0)
	s_cmp_eq_u64 s[2:3], 0
	s_mul_hi_u32 s14, s13, s11
	s_cbranch_scc1 .LBB283_2
; %bb.1:
	s_ashr_i32 s7, s6, 31
	s_lshl_b64 s[16:17], s[6:7], 2
	s_add_u32 s2, s2, s16
	s_addc_u32 s3, s3, s17
	s_load_dword s33, s[2:3], 0x0
.LBB283_2:
	s_load_dword s11, s[0:1], 0x0
	s_load_dwordx4 s[16:19], s[4:5], 0x48
	s_ashr_i32 s2, s6, 31
	s_ashr_i32 s3, s15, 31
	v_and_b32_e32 v1, 7, v0
	s_lshl_b32 s20, s6, 5
	v_cmp_gt_u32_e32 vcc, 32, v0
	s_and_saveexec_b64 s[0:1], vcc
	s_cbranch_execz .LBB283_4
; %bb.3:
	s_load_dwordx2 s[6:7], s[4:5], 0x8
	s_waitcnt lgkmcnt(0)
	s_mul_i32 s22, s16, s10
	s_ashr_i32 s23, s22, 31
	s_lshl_b64 s[22:23], s[22:23], 1
	v_lshlrev_b32_e32 v2, 1, v0
	s_add_u32 s15, s6, s22
	s_addc_u32 s16, s7, s23
	s_ashr_i32 s21, s20, 31
	s_lshl_b64 s[6:7], s[20:21], 1
	s_add_u32 s6, s15, s6
	s_addc_u32 s7, s16, s7
	global_load_ushort v2, v2, s[6:7]
	v_lshrrev_b32_e32 v3, 2, v0
	v_and_b32_e32 v3, 0xfe, v3
	v_lshl_add_u32 v3, v1, 3, v3
	s_waitcnt vmcnt(0)
	ds_write_b16 v3, v2
.LBB283_4:
	s_or_b64 exec, exec, s[0:1]
	s_waitcnt lgkmcnt(0)
	s_add_i32 s1, s11, 7
	s_ashr_i32 s6, s1, 31
	s_lshr_b32 s6, s6, 29
	s_add_i32 s1, s1, s6
	s_ashr_i32 s30, s1, 3
	s_xor_b32 s1, s2, s3
	s_mul_i32 s2, s14, s12
	s_sub_i32 s2, s13, s2
	s_add_i32 s3, s14, 1
	s_sub_i32 s6, s2, s12
	s_load_dwordx2 s[24:25], s[4:5], 0x28
	s_load_dword s0, s[4:5], 0x38
	s_cmp_ge_u32 s2, s12
	s_cselect_b32 s3, s3, s14
	s_cselect_b32 s2, s6, s2
	s_add_i32 s6, s3, 1
	s_cmp_ge_u32 s2, s12
	s_cselect_b32 s2, s6, s3
	v_lshrrev_b32_e32 v18, 6, v0
	s_xor_b32 s2, s2, s1
	s_waitcnt lgkmcnt(0)
	s_mul_i32 s26, s0, s10
	s_sub_i32 s16, s2, s1
	s_ashr_i32 s27, s26, 31
	v_cmp_gt_i32_e64 s[0:1], s30, v18
	v_cmp_le_i32_e32 vcc, s30, v18
	v_mbcnt_lo_u32_b32 v2, -1, 0
	s_barrier
                                        ; implicit-def: $vgpr9
                                        ; implicit-def: $vgpr11
                                        ; implicit-def: $vgpr10
	s_and_saveexec_b64 s[2:3], vcc
	s_xor_b64 s[2:3], exec, s[2:3]
; %bb.5:
	v_mbcnt_hi_u32_b32 v9, -1, v2
	v_and_b32_e32 v11, 64, v9
	v_add_u32_e32 v10, 64, v11
                                        ; implicit-def: $vgpr1
                                        ; implicit-def: $vgpr2
; %bb.6:
	s_or_saveexec_b64 s[6:7], s[2:3]
	s_load_dwordx2 s[22:23], s[4:5], 0x0
	s_load_dwordx2 s[28:29], s[4:5], 0x18
	s_load_dword s21, s[4:5], 0x88
	s_load_dwordx4 s[12:15], s[4:5], 0x58
	v_mov_b32_e32 v16, 0xff7fffff
	s_mul_i32 s16, s16, s18
	v_lshrrev_b32_e32 v8, 4, v0
	s_xor_b64 exec, exec, s[6:7]
	s_cbranch_execz .LBB283_36
; %bb.7:
	s_load_dwordx2 s[2:3], s[4:5], 0x10
	s_ashr_i32 s4, s16, 31
	v_bfe_u32 v5, v0, 3, 3
	v_lshlrev_b32_e32 v6, 4, v5
	v_mbcnt_hi_u32_b32 v9, -1, v2
	s_waitcnt lgkmcnt(0)
	s_add_u32 s2, s2, s16
	s_addc_u32 s3, s3, s4
	v_mov_b32_e32 v7, s3
	v_add_co_u32_e32 v6, vcc, s2, v6
	v_and_b32_e32 v11, 64, v9
	v_addc_co_u32_e32 v7, vcc, 0, v7, vcc
	v_add_u32_e32 v10, 64, v11
	v_xor_b32_e32 v2, 4, v9
	v_cmp_lt_i32_e32 vcc, v2, v10
	v_cndmask_b32_e32 v2, v9, v2, vcc
	v_lshlrev_b32_e32 v17, 2, v2
	v_xor_b32_e32 v2, 2, v9
	v_lshlrev_b32_e32 v3, 3, v1
	v_cmp_lt_i32_e32 vcc, v2, v10
	ds_read_b64 v[3:4], v3
	v_cndmask_b32_e32 v2, v9, v2, vcc
	v_lshlrev_b32_e32 v19, 2, v2
	v_xor_b32_e32 v2, 1, v9
	v_cmp_lt_i32_e32 vcc, v2, v10
	v_cndmask_b32_e32 v2, v9, v2, vcc
	v_cmp_eq_u32_e32 vcc, 0, v1
	v_add_co_u32_e64 v1, s[4:5], v6, v1
	v_lshlrev_b32_e32 v20, 2, v2
	v_addc_co_u32_e64 v2, s[4:5], 0, v7, s[4:5]
	s_waitcnt lgkmcnt(0)
	v_lshlrev_b32_e32 v12, 16, v3
	v_and_b32_e32 v13, 0xffff0000, v3
	s_load_dword s39, s[12:13], 0x0
	s_sub_i32 s40, 1, s11
	v_lshlrev_b32_e32 v3, 2, v5
	s_lshl_b64 s[4:5], s[26:27], 2
	v_lshl_or_b32 v3, v18, 5, v3
	s_add_u32 s4, s24, s4
	v_add_u32_e32 v22, 0x50, v3
	v_and_b32_e32 v3, 60, v8
	s_addc_u32 s5, s25, s5
	v_lshlrev_b32_e32 v14, 16, v4
	v_and_b32_e32 v15, 0xffff0000, v4
	v_mov_b32_e32 v4, s5
	v_add_co_u32_e64 v3, s[4:5], s4, v3
	s_mov_b32 s38, s17
	v_cmp_neq_f32_e64 s[2:3], s33, 0
	v_lshl_or_b32 v21, v18, 3, v5
	v_addc_co_u32_e64 v4, s[4:5], 0, v4, s[4:5]
	v_mov_b32_e32 v16, 0xff7fffff
	s_mov_b64 s[12:13], 0
	s_movk_i32 s41, 0x80
	s_movk_i32 s42, 0x7f
	;; [unrolled: 1-line block ×3, first 2 shown]
	v_bfrev_b32_e32 v23, 60
	v_mov_b32_e32 v24, v18
	s_branch .LBB283_9
.LBB283_8:                              ;   in Loop: Header=BB283_9 Depth=1
	s_or_b64 exec, exec, s[18:19]
	v_add_u32_e32 v24, 2, v24
	v_cmp_le_i32_e64 s[4:5], s30, v24
	s_or_b64 s[12:13], s[4:5], s[12:13]
	v_add_co_u32_e64 v3, s[4:5], 8, v3
	v_add_u32_e32 v21, 16, v21
	v_add_u32_e32 v22, 64, v22
	v_addc_co_u32_e64 v4, s[4:5], 0, v4, s[4:5]
	s_andn2_b64 exec, exec, s[12:13]
	s_cbranch_execz .LBB283_35
.LBB283_9:                              ; =>This Inner Loop Header: Depth=1
	global_load_dword v5, v[3:4], off
	v_mov_b32_e32 v25, 0
	s_waitcnt vmcnt(0) lgkmcnt(0)
	v_mad_i64_i32 v[5:6], s[4:5], v5, s38, v[1:2]
	global_load_ubyte v26, v[5:6], off
	s_waitcnt vmcnt(0)
	v_cmp_ne_u16_e64 s[4:5], 0, v26
	s_and_saveexec_b64 s[18:19], s[4:5]
	s_cbranch_execz .LBB283_15
; %bb.10:                               ;   in Loop: Header=BB283_9 Depth=1
	v_cmp_ne_u16_e64 s[4:5], s41, v26
	v_bfrev_b32_e32 v25, 1
	s_and_saveexec_b64 s[34:35], s[4:5]
	s_cbranch_execz .LBB283_14
; %bb.11:                               ;   in Loop: Header=BB283_9 Depth=1
	v_and_b32_e32 v7, 0xffff, v26
	v_and_b32_e32 v27, 0x7f, v7
	v_cmp_ne_u32_e64 s[4:5], s42, v27
	v_mov_b32_e32 v25, 0x7f800001
	s_and_saveexec_b64 s[36:37], s[4:5]
	s_cbranch_execz .LBB283_13
; %bb.12:                               ;   in Loop: Header=BB283_9 Depth=1
	v_and_b32_e32 v25, 7, v7
	v_ffbh_u32_e32 v28, v25
	v_min_u32_e32 v31, 32, v28
	v_subrev_u32_e32 v28, 28, v31
	v_lshlrev_b64 v[28:29], v28, v[7:8]
	v_lshrrev_b32_e32 v30, 3, v27
	v_sub_u32_e32 v7, 29, v31
	v_and_b32_e32 v28, 7, v28
	v_cmp_gt_u32_e64 s[4:5], 8, v27
	v_cndmask_b32_e64 v7, v30, v7, s[4:5]
	v_cndmask_b32_e64 v25, v25, v28, s[4:5]
	v_lshlrev_b32_e32 v26, 24, v26
	v_lshlrev_b32_e32 v25, 20, v25
	v_and_b32_e32 v26, 0x80000000, v26
	v_lshl_add_u32 v7, v7, 23, v23
	v_or3_b32 v25, v26, v7, v25
.LBB283_13:                             ;   in Loop: Header=BB283_9 Depth=1
	s_or_b64 exec, exec, s[36:37]
.LBB283_14:                             ;   in Loop: Header=BB283_9 Depth=1
	s_or_b64 exec, exec, s[34:35]
.LBB283_15:                             ;   in Loop: Header=BB283_9 Depth=1
	s_or_b64 exec, exec, s[18:19]
	global_load_ubyte v28, v[5:6], off offset:8
	v_mov_b32_e32 v27, 0
	v_mov_b32_e32 v26, 0
	s_waitcnt vmcnt(0)
	v_cmp_ne_u16_e64 s[4:5], 0, v28
	s_and_saveexec_b64 s[18:19], s[4:5]
	s_cbranch_execz .LBB283_21
; %bb.16:                               ;   in Loop: Header=BB283_9 Depth=1
	v_cmp_ne_u16_e64 s[4:5], s41, v28
	v_bfrev_b32_e32 v26, 1
	s_and_saveexec_b64 s[34:35], s[4:5]
	s_cbranch_execz .LBB283_20
; %bb.17:                               ;   in Loop: Header=BB283_9 Depth=1
	v_and_b32_e32 v7, 0xffff, v28
	v_and_b32_e32 v29, 0x7f, v7
	v_cmp_ne_u32_e64 s[4:5], s42, v29
	v_mov_b32_e32 v26, 0x7f800001
	s_and_saveexec_b64 s[36:37], s[4:5]
	s_cbranch_execz .LBB283_19
; %bb.18:                               ;   in Loop: Header=BB283_9 Depth=1
	v_and_b32_e32 v26, 7, v7
	v_ffbh_u32_e32 v30, v26
	v_min_u32_e32 v33, 32, v30
	v_subrev_u32_e32 v30, 28, v33
	v_lshlrev_b64 v[30:31], v30, v[7:8]
	v_lshrrev_b32_e32 v32, 3, v29
	v_sub_u32_e32 v7, 29, v33
	v_and_b32_e32 v30, 7, v30
	v_cmp_gt_u32_e64 s[4:5], 8, v29
	v_cndmask_b32_e64 v7, v32, v7, s[4:5]
	v_cndmask_b32_e64 v26, v26, v30, s[4:5]
	v_lshlrev_b32_e32 v28, 24, v28
	v_lshlrev_b32_e32 v26, 20, v26
	v_and_b32_e32 v28, 0x80000000, v28
	v_lshl_add_u32 v7, v7, 23, v23
	v_or3_b32 v26, v28, v7, v26
.LBB283_19:                             ;   in Loop: Header=BB283_9 Depth=1
	s_or_b64 exec, exec, s[36:37]
.LBB283_20:                             ;   in Loop: Header=BB283_9 Depth=1
	s_or_b64 exec, exec, s[34:35]
.LBB283_21:                             ;   in Loop: Header=BB283_9 Depth=1
	s_or_b64 exec, exec, s[18:19]
	global_load_ubyte v28, v[5:6], off offset:128
	s_waitcnt vmcnt(0)
	v_cmp_ne_u16_e64 s[4:5], 0, v28
	s_and_saveexec_b64 s[18:19], s[4:5]
	s_cbranch_execz .LBB283_27
; %bb.22:                               ;   in Loop: Header=BB283_9 Depth=1
	v_cmp_ne_u16_e64 s[4:5], s41, v28
	v_bfrev_b32_e32 v27, 1
	s_and_saveexec_b64 s[34:35], s[4:5]
	s_cbranch_execz .LBB283_26
; %bb.23:                               ;   in Loop: Header=BB283_9 Depth=1
	v_and_b32_e32 v7, 0xffff, v28
	v_and_b32_e32 v29, 0x7f, v7
	v_cmp_ne_u32_e64 s[4:5], s42, v29
	v_mov_b32_e32 v27, 0x7f800001
	s_and_saveexec_b64 s[36:37], s[4:5]
	s_cbranch_execz .LBB283_25
; %bb.24:                               ;   in Loop: Header=BB283_9 Depth=1
	v_and_b32_e32 v27, 7, v7
	v_ffbh_u32_e32 v30, v27
	v_min_u32_e32 v33, 32, v30
	v_subrev_u32_e32 v30, 28, v33
	v_lshlrev_b64 v[30:31], v30, v[7:8]
	v_lshrrev_b32_e32 v32, 3, v29
	v_sub_u32_e32 v7, 29, v33
	v_and_b32_e32 v30, 7, v30
	v_cmp_gt_u32_e64 s[4:5], 8, v29
	v_cndmask_b32_e64 v7, v32, v7, s[4:5]
	v_cndmask_b32_e64 v27, v27, v30, s[4:5]
	v_lshlrev_b32_e32 v28, 24, v28
	v_lshlrev_b32_e32 v27, 20, v27
	v_and_b32_e32 v28, 0x80000000, v28
	v_lshl_add_u32 v7, v7, 23, v23
	v_or3_b32 v27, v28, v7, v27
.LBB283_25:                             ;   in Loop: Header=BB283_9 Depth=1
	s_or_b64 exec, exec, s[36:37]
.LBB283_26:                             ;   in Loop: Header=BB283_9 Depth=1
	s_or_b64 exec, exec, s[34:35]
.LBB283_27:                             ;   in Loop: Header=BB283_9 Depth=1
	s_or_b64 exec, exec, s[18:19]
	global_load_ubyte v7, v[5:6], off offset:136
	v_mov_b32_e32 v6, 0
	s_waitcnt vmcnt(0)
	v_cmp_ne_u16_e64 s[4:5], 0, v7
	s_and_saveexec_b64 s[18:19], s[4:5]
	s_cbranch_execz .LBB283_33
; %bb.28:                               ;   in Loop: Header=BB283_9 Depth=1
	v_cmp_ne_u16_e64 s[4:5], s41, v7
	v_bfrev_b32_e32 v6, 1
	s_and_saveexec_b64 s[34:35], s[4:5]
	s_cbranch_execz .LBB283_32
; %bb.29:                               ;   in Loop: Header=BB283_9 Depth=1
	v_and_b32_e32 v5, 0xffff, v7
	v_and_b32_e32 v28, 0x7f, v5
	v_cmp_ne_u32_e64 s[4:5], s42, v28
	v_mov_b32_e32 v6, 0x7f800001
	s_and_saveexec_b64 s[36:37], s[4:5]
	s_cbranch_execz .LBB283_31
; %bb.30:                               ;   in Loop: Header=BB283_9 Depth=1
	v_and_b32_e32 v29, 7, v5
	v_ffbh_u32_e32 v6, v29
	v_min_u32_e32 v31, 32, v6
	v_subrev_u32_e32 v6, 28, v31
	v_lshlrev_b64 v[5:6], v6, v[5:6]
	v_lshrrev_b32_e32 v30, 3, v28
	v_sub_u32_e32 v6, 29, v31
	v_and_b32_e32 v5, 7, v5
	v_cmp_gt_u32_e64 s[4:5], 8, v28
	v_cndmask_b32_e64 v6, v30, v6, s[4:5]
	v_cndmask_b32_e64 v5, v29, v5, s[4:5]
	v_lshlrev_b32_e32 v7, 24, v7
	v_lshlrev_b32_e32 v5, 20, v5
	v_and_b32_e32 v7, 0x80000000, v7
	v_lshl_add_u32 v6, v6, 23, v23
	v_or3_b32 v6, v7, v6, v5
.LBB283_31:                             ;   in Loop: Header=BB283_9 Depth=1
	s_or_b64 exec, exec, s[36:37]
.LBB283_32:                             ;   in Loop: Header=BB283_9 Depth=1
	s_or_b64 exec, exec, s[34:35]
.LBB283_33:                             ;   in Loop: Header=BB283_9 Depth=1
	s_or_b64 exec, exec, s[18:19]
	s_waitcnt lgkmcnt(0)
	v_mul_f32_e32 v5, s39, v27
	v_bfe_u32 v7, v5, 16, 1
	v_add3_u32 v7, v7, v5, s43
	v_or_b32_e32 v27, 0x400000, v5
	v_cmp_u_f32_e64 s[4:5], v5, v5
	v_cndmask_b32_e64 v5, v7, v27, s[4:5]
	v_mul_f32_e32 v7, s39, v26
	v_bfe_u32 v26, v7, 16, 1
	v_add3_u32 v26, v26, v7, s43
	v_or_b32_e32 v27, 0x400000, v7
	v_cmp_u_f32_e64 s[4:5], v7, v7
	v_mul_f32_e32 v25, s39, v25
	v_cndmask_b32_e64 v7, v26, v27, s[4:5]
	v_bfe_u32 v26, v25, 16, 1
	v_add3_u32 v26, v26, v25, s43
	v_or_b32_e32 v27, 0x400000, v25
	v_cmp_u_f32_e64 s[4:5], v25, v25
	v_mul_f32_e32 v6, s39, v6
	v_cndmask_b32_e64 v25, v26, v27, s[4:5]
	v_bfe_u32 v26, v6, 16, 1
	v_and_b32_e32 v7, 0xffff0000, v7
	v_add3_u32 v26, v26, v6, s43
	v_or_b32_e32 v27, 0x400000, v6
	v_cmp_u_f32_e64 s[4:5], v6, v6
	v_and_b32_e32 v25, 0xffff0000, v25
	v_mul_f32_e32 v7, v13, v7
	v_cndmask_b32_e64 v6, v26, v27, s[4:5]
	v_fmac_f32_e32 v7, v12, v25
	v_and_b32_e32 v5, 0xffff0000, v5
	v_fmac_f32_e32 v7, v14, v5
	v_and_b32_e32 v5, 0xffff0000, v6
	v_fmac_f32_e32 v7, v15, v5
	ds_bpermute_b32 v5, v17, v7
	s_waitcnt lgkmcnt(0)
	v_add_f32_e32 v5, v7, v5
	ds_bpermute_b32 v6, v19, v5
	s_waitcnt lgkmcnt(0)
	v_add_f32_e32 v5, v5, v6
	ds_bpermute_b32 v6, v20, v5
	s_and_saveexec_b64 s[18:19], vcc
	s_cbranch_execz .LBB283_8
; %bb.34:                               ;   in Loop: Header=BB283_9 Depth=1
	v_add_u32_e32 v7, s40, v21
	v_cvt_f32_i32_e32 v7, v7
	s_waitcnt lgkmcnt(0)
	v_add_f32_e32 v5, v5, v6
	v_cmp_gt_i32_e64 s[4:5], s11, v21
	v_max_f32_e32 v6, v16, v16
	v_mul_f32_e32 v7, s33, v7
	v_cndmask_b32_e64 v7, 0, v7, s[2:3]
	v_fmac_f32_e32 v7, s31, v5
	v_cndmask_b32_e64 v5, 0, v7, s[4:5]
	ds_write_b32 v22, v5
	v_max_f32_e32 v5, v6, v7
	v_cndmask_b32_e64 v16, v16, v5, s[4:5]
	s_branch .LBB283_8
.LBB283_35:
	s_or_b64 exec, exec, s[12:13]
.LBB283_36:
	s_or_b64 exec, exec, s[6:7]
	v_xor_b32_e32 v1, 32, v9
	v_cmp_lt_i32_e32 vcc, v1, v10
	v_cndmask_b32_e32 v1, v9, v1, vcc
	v_lshlrev_b32_e32 v2, 2, v1
	ds_bpermute_b32 v1, v2, v16
	v_xor_b32_e32 v4, 16, v9
	v_max_f32_e32 v3, v16, v16
	v_cmp_lt_i32_e32 vcc, v4, v10
	v_xor_b32_e32 v5, 8, v9
	s_waitcnt lgkmcnt(0)
	v_max_f32_e32 v1, v1, v1
	v_max_f32_e32 v1, v3, v1
	v_cndmask_b32_e32 v3, v9, v4, vcc
	v_lshlrev_b32_e32 v4, 2, v3
	ds_bpermute_b32 v3, v4, v1
	v_cmp_lt_i32_e32 vcc, v5, v10
	v_and_b32_e32 v19, 63, v0
	s_waitcnt lgkmcnt(0)
	v_max_f32_e32 v3, v3, v3
	v_max_f32_e32 v3, v1, v3
	v_cndmask_b32_e32 v1, v9, v5, vcc
	v_lshlrev_b32_e32 v6, 2, v1
	ds_bpermute_b32 v5, v6, v3
	v_cmp_eq_u32_e32 vcc, 0, v19
	v_lshlrev_b32_e32 v1, 2, v18
	s_and_saveexec_b64 s[2:3], vcc
	s_cbranch_execz .LBB283_38
; %bb.37:
	s_waitcnt lgkmcnt(0)
	v_max_f32_e32 v5, v5, v5
	v_max_f32_e32 v3, v3, v3
	v_max_f32_e32 v3, v3, v5
	ds_write_b32 v1, v3 offset:64
.LBB283_38:
	s_or_b64 exec, exec, s[2:3]
	v_cmp_gt_u32_e64 s[2:3], 2, v19
	v_mov_b32_e32 v7, 0xff7fffff
	v_lshlrev_b32_e32 v3, 2, v19
	s_waitcnt lgkmcnt(0)
	s_barrier
	s_and_saveexec_b64 s[4:5], s[2:3]
; %bb.39:
	ds_read_b32 v7, v3 offset:64
; %bb.40:
	s_or_b64 exec, exec, s[4:5]
	v_xor_b32_e32 v5, 1, v9
	v_cmp_lt_i32_e64 s[4:5], v5, v10
	v_cndmask_b32_e64 v5, v9, v5, s[4:5]
	v_lshlrev_b32_e32 v5, 2, v5
	s_waitcnt lgkmcnt(0)
	ds_bpermute_b32 v12, v5, v7
	v_max_f32_e32 v7, v7, v7
	v_lshlrev_b32_e32 v11, 2, v11
	s_lshl_b32 s4, s30, 3
	s_min_i32 s31, s4, s11
	s_waitcnt lgkmcnt(0)
	v_max_f32_e32 v12, v12, v12
	v_max_f32_e32 v7, v7, v12
	ds_bpermute_b32 v11, v11, v7
	v_cmp_gt_i32_e64 s[4:5], s31, v0
	v_mov_b32_e32 v7, 0
	s_and_saveexec_b64 s[12:13], s[4:5]
	s_cbranch_execz .LBB283_44
; %bb.41:
	v_mov_b32_e32 v7, 0x50
	v_lshl_add_u32 v12, v0, 2, v7
	v_mov_b32_e32 v7, 0
	s_mov_b64 s[18:19], 0
	v_mov_b32_e32 v13, v0
.LBB283_42:                             ; =>This Inner Loop Header: Depth=1
	ds_read_b32 v14, v12
	v_add_u32_e32 v13, 0x80, v13
	v_cmp_le_i32_e64 s[6:7], s31, v13
	s_or_b64 s[18:19], s[6:7], s[18:19]
	s_waitcnt lgkmcnt(0)
	v_sub_f32_e32 v14, v14, v11
	v_mul_f32_e32 v14, 0x3fb8aa3b, v14
	v_exp_f32_e32 v14, v14
	ds_write_b32 v12, v14
	v_add_f32_e32 v7, v7, v14
	v_add_u32_e32 v12, 0x200, v12
	s_andn2_b64 exec, exec, s[18:19]
	s_cbranch_execnz .LBB283_42
; %bb.43:
	s_or_b64 exec, exec, s[18:19]
.LBB283_44:
	s_or_b64 exec, exec, s[12:13]
	ds_bpermute_b32 v2, v2, v7
	s_waitcnt lgkmcnt(0)
	v_add_f32_e32 v2, v7, v2
	ds_bpermute_b32 v4, v4, v2
	s_waitcnt lgkmcnt(0)
	v_add_f32_e32 v2, v2, v4
	ds_bpermute_b32 v4, v6, v2
	v_xor_b32_e32 v6, 4, v9
	v_cmp_lt_i32_e64 s[6:7], v6, v10
	v_cndmask_b32_e64 v6, v9, v6, s[6:7]
	v_lshlrev_b32_e32 v6, 2, v6
	s_waitcnt lgkmcnt(0)
	v_add_f32_e32 v2, v2, v4
	ds_bpermute_b32 v4, v6, v2
	v_xor_b32_e32 v6, 2, v9
	v_cmp_lt_i32_e64 s[6:7], v6, v10
	v_cndmask_b32_e64 v6, v9, v6, s[6:7]
	s_waitcnt lgkmcnt(0)
	v_add_f32_e32 v2, v2, v4
	v_lshlrev_b32_e32 v4, 2, v6
	ds_bpermute_b32 v4, v4, v2
	s_waitcnt lgkmcnt(0)
	v_add_f32_e32 v2, v2, v4
	ds_bpermute_b32 v4, v5, v2
	s_waitcnt lgkmcnt(0)
	v_add_f32_e32 v2, v2, v4
	s_and_saveexec_b64 s[6:7], vcc
; %bb.45:
	ds_write_b32 v1, v2 offset:72
; %bb.46:
	s_or_b64 exec, exec, s[6:7]
	s_waitcnt lgkmcnt(0)
	s_barrier
	s_and_saveexec_b64 s[6:7], s[2:3]
; %bb.47:
	ds_read_b32 v2, v3 offset:72
; %bb.48:
	s_or_b64 exec, exec, s[6:7]
	s_waitcnt lgkmcnt(0)
	ds_bpermute_b32 v1, v5, v2
	v_lshlrev_b32_e32 v3, 2, v9
	s_waitcnt lgkmcnt(0)
	v_add_f32_e32 v1, v2, v1
	v_and_b32_e32 v2, 0xffffff00, v3
	ds_bpermute_b32 v1, v2, v1
	s_and_saveexec_b64 s[2:3], s[4:5]
	s_cbranch_execz .LBB283_51
; %bb.49:
	s_waitcnt lgkmcnt(0)
	v_add_f32_e32 v2, 0x358637bd, v1
	v_div_scale_f32 v1, s[4:5], v2, v2, 1.0
	v_div_scale_f32 v3, vcc, 1.0, v2, 1.0
	s_mov_b64 s[4:5], 0
	v_rcp_f32_e32 v4, v1
	v_fma_f32 v5, -v1, v4, 1.0
	v_fmac_f32_e32 v4, v5, v4
	v_mul_f32_e32 v5, v3, v4
	v_fma_f32 v6, -v1, v5, v3
	v_fmac_f32_e32 v5, v6, v4
	v_fma_f32 v1, -v1, v5, v3
	v_div_fmas_f32 v3, v1, v4, v5
	v_mov_b32_e32 v1, 0x50
	v_lshl_add_u32 v1, v0, 2, v1
	v_div_fixup_f32 v2, v3, v2, 1.0
	v_mov_b32_e32 v3, v0
.LBB283_50:                             ; =>This Inner Loop Header: Depth=1
	ds_read_b32 v4, v1
	v_add_u32_e32 v3, 0x80, v3
	v_cmp_le_i32_e32 vcc, s31, v3
	s_or_b64 s[4:5], vcc, s[4:5]
	s_waitcnt lgkmcnt(0)
	v_mul_f32_e32 v4, v2, v4
	ds_write_b32 v1, v4
	v_add_u32_e32 v1, 0x200, v1
	s_andn2_b64 exec, exec, s[4:5]
	s_cbranch_execnz .LBB283_50
.LBB283_51:
	s_or_b64 exec, exec, s[2:3]
	v_mov_b32_e32 v20, 0
	s_waitcnt lgkmcnt(0)
	s_barrier
	s_and_saveexec_b64 s[4:5], s[0:1]
	s_cbranch_execz .LBB283_107
; %bb.52:
	s_ashr_i32 s0, s16, 31
	s_add_u32 s1, s28, s16
	s_addc_u32 s0, s29, s0
	v_lshlrev_b32_e32 v1, 3, v19
	v_mov_b32_e32 v2, s0
	v_add_co_u32_e64 v11, s[0:1], s1, v1
	v_addc_co_u32_e64 v12, s[0:1], 0, v2, s[0:1]
	s_add_i32 s28, s30, -1
	s_lshl_b64 s[0:1], s[26:27], 2
	s_add_u32 s0, s24, s0
	v_and_b32_e32 v1, 60, v8
	s_addc_u32 s1, s25, s1
	s_mov_b32 s6, -1
	v_mov_b32_e32 v2, s1
	v_add_co_u32_e64 v13, s[0:1], s0, v1
	v_mov_b32_e32 v1, 0x50
	s_mov_b32 s31, s17
	v_cmp_gt_u32_e32 vcc, 32, v19
	v_mov_b32_e32 v10, 0
	s_mov_b32 s7, 0xffffff
	v_addc_co_u32_e64 v14, s[0:1], 0, v2, s[0:1]
	v_lshl_or_b32 v21, v18, 3, 7
	v_lshl_add_u32 v22, v18, 5, v1
	s_mov_b64 s[12:13], 0
	s_movk_i32 s26, 0x80
	s_movk_i32 s27, 0x7f
	;; [unrolled: 1-line block ×3, first 2 shown]
	v_bfrev_b32_e32 v23, 60
	v_mov_b32_e32 v20, 0
	s_branch .LBB283_55
.LBB283_53:                             ;   in Loop: Header=BB283_55 Depth=1
	s_or_b64 exec, exec, s[2:3]
	v_bfe_u32 v28, v5, 16, 1
	v_add3_u32 v28, v28, v5, s29
	v_or_b32_e32 v29, 0x400000, v5
	v_cmp_u_f32_e64 s[0:1], v5, v5
	v_cndmask_b32_e64 v5, v28, v29, s[0:1]
	v_bfe_u32 v28, v6, 16, 1
	v_add3_u32 v28, v28, v6, s29
	v_or_b32_e32 v29, 0x400000, v6
	v_cmp_u_f32_e64 s[0:1], v6, v6
	v_cndmask_b32_e64 v6, v28, v29, s[0:1]
	v_bfe_u32 v28, v7, 16, 1
	v_add3_u32 v28, v28, v7, s29
	v_or_b32_e32 v29, 0x400000, v7
	v_cmp_u_f32_e64 s[0:1], v7, v7
	v_cndmask_b32_e64 v7, v28, v29, s[0:1]
	v_bfe_u32 v28, v8, 16, 1
	v_add3_u32 v28, v28, v8, s29
	v_or_b32_e32 v29, 0x400000, v8
	v_cmp_u_f32_e64 s[0:1], v8, v8
	v_cndmask_b32_e64 v8, v28, v29, s[0:1]
	v_bfe_u32 v28, v1, 16, 1
	v_add3_u32 v28, v28, v1, s29
	v_or_b32_e32 v29, 0x400000, v1
	v_cmp_u_f32_e64 s[0:1], v1, v1
	v_cndmask_b32_e64 v1, v28, v29, s[0:1]
	v_bfe_u32 v28, v2, 16, 1
	v_add3_u32 v28, v28, v2, s29
	v_or_b32_e32 v29, 0x400000, v2
	v_cmp_u_f32_e64 s[0:1], v2, v2
	v_cndmask_b32_e64 v2, v28, v29, s[0:1]
	v_bfe_u32 v28, v3, 16, 1
	v_add3_u32 v28, v28, v3, s29
	v_or_b32_e32 v29, 0x400000, v3
	v_cmp_u_f32_e64 s[0:1], v3, v3
	v_and_b32_e32 v5, 0xffff0000, v5
	v_lshlrev_b32_e32 v27, 16, v27
	v_cndmask_b32_e64 v3, v28, v29, s[0:1]
	v_bfe_u32 v28, v4, 16, 1
	v_mul_f32_e32 v5, v5, v27
	v_and_b32_e32 v6, 0xffff0000, v6
	v_lshlrev_b32_e32 v25, 16, v25
	v_add3_u32 v28, v28, v4, s29
	v_or_b32_e32 v29, 0x400000, v4
	v_cmp_u_f32_e64 s[0:1], v4, v4
	v_bfe_u32 v27, v5, 16, 1
	v_mul_f32_e32 v6, v6, v25
	v_cndmask_b32_e64 v4, v28, v29, s[0:1]
	v_add3_u32 v27, v27, v5, s29
	v_or_b32_e32 v28, 0x400000, v5
	v_cmp_u_f32_e64 s[0:1], v5, v5
	v_bfe_u32 v25, v6, 16, 1
	v_cndmask_b32_e64 v5, v27, v28, s[0:1]
	v_add3_u32 v25, v25, v6, s29
	v_or_b32_e32 v27, 0x400000, v6
	v_cmp_u_f32_e64 s[0:1], v6, v6
	v_cndmask_b32_e64 v6, v25, v27, s[0:1]
	v_and_b32_e32 v7, 0xffff0000, v7
	v_lshlrev_b32_e32 v25, 16, v26
	v_mul_f32_e32 v7, v7, v25
	v_and_b32_e32 v8, 0xffff0000, v8
	v_lshlrev_b32_e32 v16, 16, v16
	v_bfe_u32 v25, v7, 16, 1
	v_mul_f32_e32 v8, v8, v16
	v_and_b32_e32 v1, 0xffff0000, v1
	v_lshlrev_b32_e32 v15, 16, v15
	v_add3_u32 v25, v25, v7, s29
	v_or_b32_e32 v26, 0x400000, v7
	v_cmp_u_f32_e64 s[0:1], v7, v7
	v_bfe_u32 v16, v8, 16, 1
	v_mul_f32_e32 v1, v1, v15
	v_and_b32_e32 v2, 0xffff0000, v2
	v_lshlrev_b32_e32 v9, 16, v9
	v_cndmask_b32_e64 v7, v25, v26, s[0:1]
	v_add3_u32 v16, v16, v8, s29
	v_or_b32_e32 v25, 0x400000, v8
	v_cmp_u_f32_e64 s[0:1], v8, v8
	v_bfe_u32 v15, v1, 16, 1
	v_mul_f32_e32 v2, v2, v9
	v_cndmask_b32_e64 v8, v16, v25, s[0:1]
	v_add3_u32 v15, v15, v1, s29
	v_or_b32_e32 v16, 0x400000, v1
	v_cmp_u_f32_e64 s[0:1], v1, v1
	v_bfe_u32 v9, v2, 16, 1
	v_cndmask_b32_e64 v1, v15, v16, s[0:1]
	v_add3_u32 v9, v9, v2, s29
	v_or_b32_e32 v15, 0x400000, v2
	v_cmp_u_f32_e64 s[0:1], v2, v2
	v_cndmask_b32_e64 v2, v9, v15, s[0:1]
	v_and_b32_e32 v3, 0xffff0000, v3
	v_lshlrev_b32_e32 v9, 16, v24
	v_mul_f32_e32 v3, v3, v9
	v_bfe_u32 v9, v3, 16, 1
	v_add3_u32 v9, v9, v3, s29
	v_or_b32_e32 v15, 0x400000, v3
	v_cmp_u_f32_e64 s[0:1], v3, v3
	v_cndmask_b32_e64 v3, v9, v15, s[0:1]
	v_and_b32_e32 v4, 0xffff0000, v4
	v_lshlrev_b32_e32 v9, 16, v17
	v_mul_f32_e32 v4, v4, v9
	v_bfe_u32 v9, v4, 16, 1
	v_and_b32_e32 v6, 0xffff0000, v6
	v_and_b32_e32 v5, 0xffff0000, v5
	v_add3_u32 v9, v9, v4, s29
	v_or_b32_e32 v15, 0x400000, v4
	v_cmp_u_f32_e64 s[0:1], v4, v4
	v_add_f32_e32 v5, v5, v6
	v_and_b32_e32 v6, 0xffff0000, v8
	v_and_b32_e32 v7, 0xffff0000, v7
	v_cndmask_b32_e64 v4, v9, v15, s[0:1]
	v_add_f32_e32 v6, v7, v6
	v_and_b32_e32 v2, 0xffff0000, v2
	v_and_b32_e32 v1, 0xffff0000, v1
	v_add_f32_e32 v5, v6, v5
	v_add_f32_e32 v1, v1, v2
	v_and_b32_e32 v2, 0xffff0000, v4
	v_and_b32_e32 v3, 0xffff0000, v3
	v_add_f32_e32 v1, v1, v5
	v_add_f32_e32 v2, v3, v2
	;; [unrolled: 1-line block ×4, first 2 shown]
.LBB283_54:                             ;   in Loop: Header=BB283_55 Depth=1
	s_or_b64 exec, exec, s[16:17]
	v_add_co_u32_e64 v13, s[0:1], 8, v13
	v_add_u32_e32 v18, 2, v18
	v_addc_co_u32_e64 v14, s[0:1], 0, v14, s[0:1]
	v_cmp_le_i32_e64 s[0:1], s30, v18
	v_add_u32_e32 v21, 16, v21
	s_or_b64 s[12:13], s[0:1], s[12:13]
	v_add_u32_e32 v22, 64, v22
	s_andn2_b64 exec, exec, s[12:13]
	s_cbranch_execz .LBB283_106
.LBB283_55:                             ; =>This Inner Loop Header: Depth=1
	s_and_saveexec_b64 s[16:17], vcc
	s_cbranch_execz .LBB283_54
; %bb.56:                               ;   in Loop: Header=BB283_55 Depth=1
	global_load_dword v1, v[13:14], off
	v_mov_b32_e32 v25, 0
	v_mov_b32_e32 v24, 0
	s_waitcnt vmcnt(0)
	v_mad_i64_i32 v[1:2], s[0:1], v1, s31, v[11:12]
	global_load_dwordx2 v[15:16], v[1:2], off
	ds_read2_b64 v[5:8], v22 offset1:1
	ds_read2_b64 v[1:4], v22 offset0:2 offset1:3
	s_load_dword s33, s[14:15], 0x0
	s_waitcnt vmcnt(0)
	v_cmp_ne_u16_sdwa s[0:1], v15, v10 src0_sel:BYTE_0 src1_sel:DWORD
	s_and_saveexec_b64 s[2:3], s[0:1]
	s_cbranch_execz .LBB283_62
; %bb.57:                               ;   in Loop: Header=BB283_55 Depth=1
	v_cmp_ne_u16_sdwa s[0:1], v15, s26 src0_sel:BYTE_0 src1_sel:DWORD
	v_bfrev_b32_e32 v24, 1
	s_and_saveexec_b64 s[18:19], s[0:1]
	s_cbranch_execz .LBB283_61
; %bb.58:                               ;   in Loop: Header=BB283_55 Depth=1
	v_and_b32_e32 v9, 0x7f, v15
	v_cmp_ne_u32_e64 s[0:1], s27, v9
	v_mov_b32_e32 v24, 0x7f800001
	s_and_saveexec_b64 s[24:25], s[0:1]
	s_cbranch_execz .LBB283_60
; %bb.59:                               ;   in Loop: Header=BB283_55 Depth=1
	v_and_b32_e32 v17, 7, v15
	v_ffbh_u32_e32 v17, v17
	v_min_u32_e32 v17, 32, v17
	v_lshrrev_b32_e32 v24, 3, v9
	v_subrev_u32_e32 v26, 28, v17
	v_sub_u32_e32 v17, 29, v17
	v_cmp_gt_u32_e64 s[0:1], 8, v9
	v_cndmask_b32_e64 v9, v24, v17, s[0:1]
	v_cndmask_b32_e64 v17, 0, v26, s[0:1]
	v_lshlrev_b64 v[26:27], v17, v[15:16]
	v_lshlrev_b32_e32 v24, 24, v15
	v_lshlrev_b32_e32 v17, 20, v26
	v_and_b32_e32 v17, 0x700000, v17
	v_and_b32_e32 v24, 0x80000000, v24
	v_lshl_add_u32 v9, v9, 23, v23
	v_or3_b32 v24, v24, v9, v17
.LBB283_60:                             ;   in Loop: Header=BB283_55 Depth=1
	s_or_b64 exec, exec, s[24:25]
.LBB283_61:                             ;   in Loop: Header=BB283_55 Depth=1
	s_or_b64 exec, exec, s[18:19]
.LBB283_62:                             ;   in Loop: Header=BB283_55 Depth=1
	s_or_b64 exec, exec, s[2:3]
	v_lshrrev_b16_e32 v9, 8, v15
	v_cmp_ne_u16_e64 s[0:1], 0, v9
	s_and_saveexec_b64 s[2:3], s[0:1]
	s_cbranch_execz .LBB283_68
; %bb.63:                               ;   in Loop: Header=BB283_55 Depth=1
	v_cmp_ne_u16_e64 s[0:1], s26, v9
	v_bfrev_b32_e32 v25, 1
	s_and_saveexec_b64 s[18:19], s[0:1]
	s_cbranch_execz .LBB283_67
; %bb.64:                               ;   in Loop: Header=BB283_55 Depth=1
	v_and_b32_e32 v17, 0x7f, v9
	v_cmp_ne_u32_e64 s[0:1], s27, v17
	v_mov_b32_e32 v25, 0x7f800001
	s_and_saveexec_b64 s[24:25], s[0:1]
	s_cbranch_execz .LBB283_66
; %bb.65:                               ;   in Loop: Header=BB283_55 Depth=1
	v_and_b32_e32 v27, 7, v9
	v_ffbh_u32_e32 v25, v27
	v_min_u32_e32 v29, 32, v25
	v_subrev_u32_e32 v25, 28, v29
	v_lshlrev_b64 v[25:26], v25, v[9:10]
	v_lshrrev_b32_e32 v28, 3, v17
	v_sub_u32_e32 v9, 29, v29
	v_and_b32_e32 v25, 7, v25
	v_cmp_gt_u32_e64 s[0:1], 8, v17
	v_cndmask_b32_e64 v9, v28, v9, s[0:1]
	v_cndmask_b32_e64 v17, v27, v25, s[0:1]
	v_lshlrev_b32_e32 v25, 16, v15
	v_lshlrev_b32_e32 v17, 20, v17
	v_and_b32_e32 v25, 0x80000000, v25
	v_lshl_add_u32 v9, v9, 23, v23
	v_or3_b32 v25, v25, v9, v17
.LBB283_66:                             ;   in Loop: Header=BB283_55 Depth=1
	s_or_b64 exec, exec, s[24:25]
.LBB283_67:                             ;   in Loop: Header=BB283_55 Depth=1
	s_or_b64 exec, exec, s[18:19]
.LBB283_68:                             ;   in Loop: Header=BB283_55 Depth=1
	s_or_b64 exec, exec, s[2:3]
	v_lshrrev_b32_e32 v9, 16, v15
	v_cmp_ne_u16_sdwa s[0:1], v9, v10 src0_sel:BYTE_0 src1_sel:DWORD
	v_mov_b32_e32 v27, 0
	v_mov_b32_e32 v26, 0
	s_and_saveexec_b64 s[2:3], s[0:1]
	s_cbranch_execz .LBB283_74
; %bb.69:                               ;   in Loop: Header=BB283_55 Depth=1
	v_cmp_ne_u16_sdwa s[0:1], v9, s26 src0_sel:BYTE_0 src1_sel:DWORD
	v_bfrev_b32_e32 v26, 1
	s_and_saveexec_b64 s[18:19], s[0:1]
	s_cbranch_execz .LBB283_73
; %bb.70:                               ;   in Loop: Header=BB283_55 Depth=1
	v_bfe_u32 v17, v15, 16, 7
	v_cmp_ne_u32_e64 s[0:1], s27, v17
	v_mov_b32_e32 v26, 0x7f800001
	s_and_saveexec_b64 s[24:25], s[0:1]
	s_cbranch_execz .LBB283_72
; %bb.71:                               ;   in Loop: Header=BB283_55 Depth=1
	v_and_b32_e32 v26, 7, v9
	v_ffbh_u32_e32 v28, v26
	v_min_u32_e32 v31, 32, v28
	v_subrev_u32_e32 v28, 28, v31
	v_lshlrev_b64 v[28:29], v28, v[9:10]
	v_lshrrev_b32_e32 v30, 3, v17
	v_sub_u32_e32 v29, 29, v31
	v_and_b32_e32 v28, 7, v28
	v_cmp_gt_u32_e64 s[0:1], 8, v17
	v_cndmask_b32_e64 v17, v30, v29, s[0:1]
	v_cndmask_b32_e64 v26, v26, v28, s[0:1]
	v_lshlrev_b32_e32 v9, 24, v9
	v_lshlrev_b32_e32 v26, 20, v26
	v_and_b32_e32 v9, 0x80000000, v9
	v_lshl_add_u32 v17, v17, 23, v23
	v_or3_b32 v26, v9, v17, v26
.LBB283_72:                             ;   in Loop: Header=BB283_55 Depth=1
	s_or_b64 exec, exec, s[24:25]
.LBB283_73:                             ;   in Loop: Header=BB283_55 Depth=1
	s_or_b64 exec, exec, s[18:19]
.LBB283_74:                             ;   in Loop: Header=BB283_55 Depth=1
	s_or_b64 exec, exec, s[2:3]
	v_cmp_lt_u32_e64 s[0:1], s7, v15
	s_and_saveexec_b64 s[2:3], s[0:1]
	s_cbranch_execz .LBB283_80
; %bb.75:                               ;   in Loop: Header=BB283_55 Depth=1
	v_lshrrev_b32_e32 v9, 24, v15
	v_cmp_ne_u32_e64 s[0:1], s26, v9
	v_bfrev_b32_e32 v27, 1
	s_and_saveexec_b64 s[18:19], s[0:1]
	s_cbranch_execz .LBB283_79
; %bb.76:                               ;   in Loop: Header=BB283_55 Depth=1
	v_bfe_u32 v17, v15, 24, 7
	v_cmp_ne_u32_e64 s[0:1], s27, v17
	v_mov_b32_e32 v27, 0x7f800001
	s_and_saveexec_b64 s[24:25], s[0:1]
	s_cbranch_execz .LBB283_78
; %bb.77:                               ;   in Loop: Header=BB283_55 Depth=1
	v_and_b32_e32 v29, 7, v9
	v_ffbh_u32_e32 v27, v29
	v_min_u32_e32 v31, 32, v27
	v_subrev_u32_e32 v27, 28, v31
	v_lshlrev_b64 v[27:28], v27, v[9:10]
	v_lshrrev_b32_e32 v30, 3, v17
	v_sub_u32_e32 v28, 29, v31
	v_and_b32_e32 v27, 7, v27
	v_cmp_gt_u32_e64 s[0:1], 8, v17
	v_cndmask_b32_e64 v17, v30, v28, s[0:1]
	v_cndmask_b32_e64 v27, v29, v27, s[0:1]
	v_lshlrev_b32_e32 v9, 24, v9
	v_lshlrev_b32_e32 v27, 20, v27
	v_and_b32_e32 v9, 0x80000000, v9
	v_lshl_add_u32 v17, v17, 23, v23
	v_or3_b32 v27, v9, v17, v27
.LBB283_78:                             ;   in Loop: Header=BB283_55 Depth=1
	s_or_b64 exec, exec, s[24:25]
.LBB283_79:                             ;   in Loop: Header=BB283_55 Depth=1
	s_or_b64 exec, exec, s[18:19]
.LBB283_80:                             ;   in Loop: Header=BB283_55 Depth=1
	s_or_b64 exec, exec, s[2:3]
	v_mov_b32_e32 v9, v16
	v_cmp_ne_u16_sdwa s[0:1], v16, v10 src0_sel:BYTE_0 src1_sel:DWORD
	v_mov_b32_e32 v29, 0
	v_mov_b32_e32 v28, 0
	s_and_saveexec_b64 s[2:3], s[0:1]
	s_cbranch_execz .LBB283_86
; %bb.81:                               ;   in Loop: Header=BB283_55 Depth=1
	v_cmp_ne_u16_sdwa s[0:1], v16, s26 src0_sel:BYTE_0 src1_sel:DWORD
	v_bfrev_b32_e32 v28, 1
	s_and_saveexec_b64 s[18:19], s[0:1]
	s_cbranch_execz .LBB283_85
; %bb.82:                               ;   in Loop: Header=BB283_55 Depth=1
	v_and_b32_e32 v17, 0x7f, v16
	v_cmp_ne_u32_e64 s[0:1], s27, v17
	v_mov_b32_e32 v28, 0x7f800001
	s_and_saveexec_b64 s[24:25], s[0:1]
	s_cbranch_execz .LBB283_84
; %bb.83:                               ;   in Loop: Header=BB283_55 Depth=1
	v_and_b32_e32 v28, 7, v16
	v_ffbh_u32_e32 v28, v28
	v_min_u32_e32 v28, 32, v28
	v_lshrrev_b32_e32 v30, 3, v17
	v_subrev_u32_e32 v31, 28, v28
	v_sub_u32_e32 v28, 29, v28
	v_cmp_gt_u32_e64 s[0:1], 8, v17
	v_cndmask_b32_e64 v17, v30, v28, s[0:1]
	v_cndmask_b32_e64 v28, 0, v31, s[0:1]
	v_lshlrev_b64 v[30:31], v28, v[9:10]
	v_lshl_add_u32 v17, v17, 23, v23
	v_lshlrev_b32_e32 v28, 20, v30
	v_lshlrev_b32_e32 v30, 24, v9
	v_and_b32_e32 v28, 0x700000, v28
	v_and_b32_e32 v30, 0x80000000, v30
	v_or3_b32 v28, v30, v17, v28
.LBB283_84:                             ;   in Loop: Header=BB283_55 Depth=1
	s_or_b64 exec, exec, s[24:25]
.LBB283_85:                             ;   in Loop: Header=BB283_55 Depth=1
	s_or_b64 exec, exec, s[18:19]
.LBB283_86:                             ;   in Loop: Header=BB283_55 Depth=1
	s_or_b64 exec, exec, s[2:3]
	v_lshrrev_b16_e32 v17, 8, v9
	v_cmp_ne_u16_e64 s[0:1], 0, v17
	s_and_saveexec_b64 s[2:3], s[0:1]
	s_cbranch_execz .LBB283_92
; %bb.87:                               ;   in Loop: Header=BB283_55 Depth=1
	v_cmp_ne_u16_e64 s[0:1], s26, v17
	v_bfrev_b32_e32 v29, 1
	s_and_saveexec_b64 s[18:19], s[0:1]
	s_cbranch_execz .LBB283_91
; %bb.88:                               ;   in Loop: Header=BB283_55 Depth=1
	v_and_b32_e32 v30, 0x7f, v17
	v_cmp_ne_u32_e64 s[0:1], s27, v30
	v_mov_b32_e32 v29, 0x7f800001
	s_and_saveexec_b64 s[24:25], s[0:1]
	s_cbranch_execz .LBB283_90
; %bb.89:                               ;   in Loop: Header=BB283_55 Depth=1
	v_and_b32_e32 v29, 7, v17
	v_ffbh_u32_e32 v31, v29
	v_min_u32_e32 v34, 32, v31
	v_subrev_u32_e32 v31, 28, v34
	v_lshlrev_b64 v[31:32], v31, v[17:18]
	v_lshrrev_b32_e32 v33, 3, v30
	v_sub_u32_e32 v17, 29, v34
	v_and_b32_e32 v31, 7, v31
	v_cmp_gt_u32_e64 s[0:1], 8, v30
	v_cndmask_b32_e64 v17, v33, v17, s[0:1]
	v_cndmask_b32_e64 v29, v29, v31, s[0:1]
	v_lshlrev_b32_e32 v9, 16, v9
	v_lshlrev_b32_e32 v29, 20, v29
	v_and_b32_e32 v9, 0x80000000, v9
	v_lshl_add_u32 v17, v17, 23, v23
	v_or3_b32 v29, v9, v17, v29
.LBB283_90:                             ;   in Loop: Header=BB283_55 Depth=1
	s_or_b64 exec, exec, s[24:25]
.LBB283_91:                             ;   in Loop: Header=BB283_55 Depth=1
	s_or_b64 exec, exec, s[18:19]
.LBB283_92:                             ;   in Loop: Header=BB283_55 Depth=1
	s_or_b64 exec, exec, s[2:3]
	v_lshrrev_b32_e32 v9, 16, v16
	v_cmp_ne_u16_sdwa s[0:1], v9, v10 src0_sel:BYTE_0 src1_sel:DWORD
	v_mov_b32_e32 v17, 0
	v_mov_b32_e32 v30, 0
	s_and_saveexec_b64 s[2:3], s[0:1]
	s_cbranch_execz .LBB283_98
; %bb.93:                               ;   in Loop: Header=BB283_55 Depth=1
	v_cmp_ne_u16_sdwa s[0:1], v9, s26 src0_sel:BYTE_0 src1_sel:DWORD
	v_bfrev_b32_e32 v30, 1
	s_and_saveexec_b64 s[18:19], s[0:1]
	s_cbranch_execz .LBB283_97
; %bb.94:                               ;   in Loop: Header=BB283_55 Depth=1
	v_bfe_u32 v31, v16, 16, 7
	v_cmp_ne_u32_e64 s[0:1], s27, v31
	v_mov_b32_e32 v30, 0x7f800001
	s_and_saveexec_b64 s[24:25], s[0:1]
	s_cbranch_execz .LBB283_96
; %bb.95:                               ;   in Loop: Header=BB283_55 Depth=1
	v_and_b32_e32 v30, 7, v9
	v_ffbh_u32_e32 v32, v30
	v_min_u32_e32 v35, 32, v32
	v_subrev_u32_e32 v32, 28, v35
	v_lshlrev_b64 v[32:33], v32, v[9:10]
	v_lshrrev_b32_e32 v34, 3, v31
	v_sub_u32_e32 v33, 29, v35
	v_and_b32_e32 v32, 7, v32
	v_cmp_gt_u32_e64 s[0:1], 8, v31
	v_cndmask_b32_e64 v31, v34, v33, s[0:1]
	v_cndmask_b32_e64 v30, v30, v32, s[0:1]
	v_lshlrev_b32_e32 v9, 24, v9
	v_lshlrev_b32_e32 v30, 20, v30
	v_and_b32_e32 v9, 0x80000000, v9
	v_lshl_add_u32 v31, v31, 23, v23
	v_or3_b32 v30, v9, v31, v30
.LBB283_96:                             ;   in Loop: Header=BB283_55 Depth=1
	s_or_b64 exec, exec, s[24:25]
.LBB283_97:                             ;   in Loop: Header=BB283_55 Depth=1
	s_or_b64 exec, exec, s[18:19]
.LBB283_98:                             ;   in Loop: Header=BB283_55 Depth=1
	s_or_b64 exec, exec, s[2:3]
	v_cmp_lt_u64_e64 s[0:1], s[6:7], v[15:16]
	s_and_saveexec_b64 s[2:3], s[0:1]
	s_cbranch_execz .LBB283_104
; %bb.99:                               ;   in Loop: Header=BB283_55 Depth=1
	v_lshrrev_b32_e32 v9, 24, v16
	v_cmp_ne_u32_e64 s[0:1], s26, v9
	v_bfrev_b32_e32 v17, 1
	s_and_saveexec_b64 s[18:19], s[0:1]
	s_cbranch_execz .LBB283_103
; %bb.100:                              ;   in Loop: Header=BB283_55 Depth=1
	v_bfe_u32 v15, v16, 24, 7
	v_cmp_ne_u32_e64 s[0:1], s27, v15
	v_mov_b32_e32 v17, 0x7f800001
	s_and_saveexec_b64 s[24:25], s[0:1]
	s_cbranch_execz .LBB283_102
; %bb.101:                              ;   in Loop: Header=BB283_55 Depth=1
	v_and_b32_e32 v31, 7, v9
	v_ffbh_u32_e32 v16, v31
	v_min_u32_e32 v33, 32, v16
	v_subrev_u32_e32 v16, 28, v33
	v_lshlrev_b64 v[16:17], v16, v[9:10]
	v_lshrrev_b32_e32 v32, 3, v15
	v_sub_u32_e32 v17, 29, v33
	v_and_b32_e32 v16, 7, v16
	v_cmp_gt_u32_e64 s[0:1], 8, v15
	v_cndmask_b32_e64 v15, v32, v17, s[0:1]
	v_cndmask_b32_e64 v16, v31, v16, s[0:1]
	v_lshlrev_b32_e32 v9, 24, v9
	v_lshlrev_b32_e32 v16, 20, v16
	v_and_b32_e32 v9, 0x80000000, v9
	v_lshl_add_u32 v15, v15, 23, v23
	v_or3_b32 v17, v9, v15, v16
.LBB283_102:                            ;   in Loop: Header=BB283_55 Depth=1
	s_or_b64 exec, exec, s[24:25]
.LBB283_103:                            ;   in Loop: Header=BB283_55 Depth=1
	s_or_b64 exec, exec, s[18:19]
.LBB283_104:                            ;   in Loop: Header=BB283_55 Depth=1
	s_or_b64 exec, exec, s[2:3]
	s_waitcnt lgkmcnt(0)
	v_mul_f32_e32 v9, s33, v29
	v_bfe_u32 v15, v9, 16, 1
	v_add3_u32 v15, v15, v9, s29
	v_or_b32_e32 v16, 0x400000, v9
	v_cmp_u_f32_e64 s[2:3], v9, v9
	v_cndmask_b32_e64 v9, v15, v16, s[2:3]
	v_mul_f32_e32 v15, s33, v28
	v_bfe_u32 v16, v15, 16, 1
	v_add3_u32 v16, v16, v15, s29
	v_or_b32_e32 v28, 0x400000, v15
	v_cmp_u_f32_e64 s[2:3], v15, v15
	v_cndmask_b32_e64 v15, v16, v28, s[2:3]
	v_mul_f32_e32 v16, s33, v27
	v_bfe_u32 v27, v16, 16, 1
	v_add3_u32 v27, v27, v16, s29
	v_or_b32_e32 v28, 0x400000, v16
	v_cmp_u_f32_e64 s[2:3], v16, v16
	v_mul_f32_e32 v26, s33, v26
	v_cndmask_b32_e64 v16, v27, v28, s[2:3]
	v_bfe_u32 v27, v26, 16, 1
	v_add3_u32 v27, v27, v26, s29
	v_or_b32_e32 v28, 0x400000, v26
	v_cmp_u_f32_e64 s[2:3], v26, v26
	v_mul_f32_e32 v25, s33, v25
	v_cndmask_b32_e64 v26, v27, v28, s[2:3]
	;; [unrolled: 6-line block ×3, first 2 shown]
	v_bfe_u32 v27, v24, 16, 1
	v_add3_u32 v27, v27, v24, s29
	v_or_b32_e32 v28, 0x400000, v24
	v_cmp_u_f32_e64 s[2:3], v24, v24
	v_cndmask_b32_e64 v24, v27, v28, s[2:3]
	v_lshrrev_b32_e32 v27, 16, v24
	v_mul_f32_e32 v24, s33, v30
	v_bfe_u32 v28, v24, 16, 1
	v_add3_u32 v28, v28, v24, s29
	v_or_b32_e32 v29, 0x400000, v24
	v_cmp_u_f32_e64 s[2:3], v24, v24
	v_mul_f32_e32 v17, s33, v17
	v_cndmask_b32_e64 v24, v28, v29, s[2:3]
	v_bfe_u32 v28, v17, 16, 1
	v_add3_u32 v28, v28, v17, s29
	v_or_b32_e32 v29, 0x400000, v17
	v_cmp_u_f32_e64 s[2:3], v17, v17
	v_cndmask_b32_e64 v17, v28, v29, s[2:3]
	v_cmp_eq_u32_e64 s[0:1], s28, v18
	v_lshrrev_b32_e32 v9, 16, v9
	v_lshrrev_b32_e32 v15, 16, v15
	;; [unrolled: 1-line block ×7, first 2 shown]
	s_and_saveexec_b64 s[2:3], s[0:1]
	s_cbranch_execz .LBB283_53
; %bb.105:                              ;   in Loop: Header=BB283_55 Depth=1
	v_add_u32_e32 v28, -7, v21
	v_cmp_gt_i32_e64 s[0:1], s11, v28
	v_add_u32_e32 v28, -6, v21
	v_cndmask_b32_e64 v27, 0, v27, s[0:1]
	v_cmp_gt_i32_e64 s[0:1], s11, v28
	v_add_u32_e32 v28, -5, v21
	v_cndmask_b32_e64 v25, 0, v25, s[0:1]
	;; [unrolled: 3-line block ×6, first 2 shown]
	v_cmp_gt_i32_e64 s[0:1], s11, v28
	v_cndmask_b32_e64 v24, 0, v24, s[0:1]
	v_cmp_gt_i32_e64 s[0:1], s11, v21
	v_cndmask_b32_e64 v17, 0, v17, s[0:1]
	s_branch .LBB283_53
.LBB283_106:
	s_or_b64 exec, exec, s[12:13]
.LBB283_107:
	s_or_b64 exec, exec, s[4:5]
	v_and_b32_e32 v1, 0x3c0, v0
	v_cmp_eq_u32_e64 s[0:1], 64, v1
	v_cmp_gt_u32_e64 s[2:3], 32, v19
	v_mov_b32_e32 v1, 0x50
	v_cmp_lt_u32_e32 vcc, 31, v19
	v_lshl_add_u32 v1, v19, 2, v1
	s_and_b64 s[2:3], s[0:1], s[2:3]
	s_barrier
	s_and_saveexec_b64 s[0:1], s[2:3]
; %bb.108:
	ds_write_b32 v1, v20
; %bb.109:
	s_or_b64 exec, exec, s[0:1]
	v_cmp_gt_u32_e64 s[0:1], 64, v0
	s_xor_b64 s[2:3], vcc, -1
	s_and_b64 s[2:3], s[0:1], s[2:3]
	s_waitcnt lgkmcnt(0)
	s_barrier
	s_and_saveexec_b64 s[0:1], s[2:3]
	s_cbranch_execz .LBB283_111
; %bb.110:
	ds_read_b32 v1, v1
	s_waitcnt lgkmcnt(0)
	v_add_f32_e32 v20, v20, v1
.LBB283_111:
	s_or_b64 exec, exec, s[0:1]
	v_cmp_gt_u32_e32 vcc, 64, v0
	v_cmp_gt_u32_e64 s[0:1], 32, v19
	s_and_b64 s[0:1], vcc, s[0:1]
	s_barrier
	s_and_saveexec_b64 s[2:3], s[0:1]
	s_cbranch_execz .LBB283_113
; %bb.112:
	s_mul_i32 s0, s10, s21
	s_mul_i32 s0, s0, s9
	s_lshl_b32 s0, s0, 5
	s_ashr_i32 s1, s0, 31
	s_lshl_b64 s[0:1], s[0:1], 1
	s_add_u32 s2, s22, s0
	s_mul_i32 s0, s21, s20
	s_addc_u32 s3, s23, s1
	s_ashr_i32 s1, s0, 31
	s_lshl_b64 s[0:1], s[0:1], 1
	s_add_u32 s2, s2, s0
	s_addc_u32 s3, s3, s1
	s_lshl_b32 s0, s8, 5
	s_ashr_i32 s1, s0, 31
	s_lshl_b64 s[0:1], s[0:1], 1
	s_add_u32 s0, s2, s0
	v_bfe_u32 v1, v20, 16, 1
	s_movk_i32 s2, 0x7fff
	v_add3_u32 v1, v1, v20, s2
	v_or_b32_e32 v2, 0x400000, v20
	v_cmp_u_f32_e32 vcc, v20, v20
	s_addc_u32 s1, s3, s1
	v_lshlrev_b32_e32 v0, 1, v19
	v_cndmask_b32_e32 v1, v1, v2, vcc
	global_store_short_d16_hi v0, v1, s[0:1]
.LBB283_113:
	s_endpgm
	.section	.rodata,"a",@progbits
	.p2align	6, 0x0
	.amdhsa_kernel _ZN4vllm25paged_attention_v1_kernelI14__hip_bfloat16hLi32ELi8ELi128ELNS_18Fp8KVCacheDataTypeE1ELb0EEEvPT_PKS3_PKT0_S9_ifPKiSB_iPKfiiiSD_SD_iiiii
		.amdhsa_group_segment_fixed_size 80
		.amdhsa_private_segment_fixed_size 0
		.amdhsa_kernarg_size 384
		.amdhsa_user_sgpr_count 6
		.amdhsa_user_sgpr_private_segment_buffer 1
		.amdhsa_user_sgpr_dispatch_ptr 0
		.amdhsa_user_sgpr_queue_ptr 0
		.amdhsa_user_sgpr_kernarg_segment_ptr 1
		.amdhsa_user_sgpr_dispatch_id 0
		.amdhsa_user_sgpr_flat_scratch_init 0
		.amdhsa_user_sgpr_private_segment_size 0
		.amdhsa_uses_dynamic_stack 0
		.amdhsa_system_sgpr_private_segment_wavefront_offset 0
		.amdhsa_system_sgpr_workgroup_id_x 1
		.amdhsa_system_sgpr_workgroup_id_y 1
		.amdhsa_system_sgpr_workgroup_id_z 1
		.amdhsa_system_sgpr_workgroup_info 0
		.amdhsa_system_vgpr_workitem_id 0
		.amdhsa_next_free_vgpr 36
		.amdhsa_next_free_sgpr 44
		.amdhsa_reserve_vcc 1
		.amdhsa_reserve_flat_scratch 0
		.amdhsa_float_round_mode_32 0
		.amdhsa_float_round_mode_16_64 0
		.amdhsa_float_denorm_mode_32 3
		.amdhsa_float_denorm_mode_16_64 3
		.amdhsa_dx10_clamp 1
		.amdhsa_ieee_mode 1
		.amdhsa_fp16_overflow 0
		.amdhsa_exception_fp_ieee_invalid_op 0
		.amdhsa_exception_fp_denorm_src 0
		.amdhsa_exception_fp_ieee_div_zero 0
		.amdhsa_exception_fp_ieee_overflow 0
		.amdhsa_exception_fp_ieee_underflow 0
		.amdhsa_exception_fp_ieee_inexact 0
		.amdhsa_exception_int_div_zero 0
	.end_amdhsa_kernel
	.section	.text._ZN4vllm25paged_attention_v1_kernelI14__hip_bfloat16hLi32ELi8ELi128ELNS_18Fp8KVCacheDataTypeE1ELb0EEEvPT_PKS3_PKT0_S9_ifPKiSB_iPKfiiiSD_SD_iiiii,"axG",@progbits,_ZN4vllm25paged_attention_v1_kernelI14__hip_bfloat16hLi32ELi8ELi128ELNS_18Fp8KVCacheDataTypeE1ELb0EEEvPT_PKS3_PKT0_S9_ifPKiSB_iPKfiiiSD_SD_iiiii,comdat
.Lfunc_end283:
	.size	_ZN4vllm25paged_attention_v1_kernelI14__hip_bfloat16hLi32ELi8ELi128ELNS_18Fp8KVCacheDataTypeE1ELb0EEEvPT_PKS3_PKT0_S9_ifPKiSB_iPKfiiiSD_SD_iiiii, .Lfunc_end283-_ZN4vllm25paged_attention_v1_kernelI14__hip_bfloat16hLi32ELi8ELi128ELNS_18Fp8KVCacheDataTypeE1ELb0EEEvPT_PKS3_PKT0_S9_ifPKiSB_iPKfiiiSD_SD_iiiii
                                        ; -- End function
	.set _ZN4vllm25paged_attention_v1_kernelI14__hip_bfloat16hLi32ELi8ELi128ELNS_18Fp8KVCacheDataTypeE1ELb0EEEvPT_PKS3_PKT0_S9_ifPKiSB_iPKfiiiSD_SD_iiiii.num_vgpr, 36
	.set _ZN4vllm25paged_attention_v1_kernelI14__hip_bfloat16hLi32ELi8ELi128ELNS_18Fp8KVCacheDataTypeE1ELb0EEEvPT_PKS3_PKT0_S9_ifPKiSB_iPKfiiiSD_SD_iiiii.num_agpr, 0
	.set _ZN4vllm25paged_attention_v1_kernelI14__hip_bfloat16hLi32ELi8ELi128ELNS_18Fp8KVCacheDataTypeE1ELb0EEEvPT_PKS3_PKT0_S9_ifPKiSB_iPKfiiiSD_SD_iiiii.numbered_sgpr, 44
	.set _ZN4vllm25paged_attention_v1_kernelI14__hip_bfloat16hLi32ELi8ELi128ELNS_18Fp8KVCacheDataTypeE1ELb0EEEvPT_PKS3_PKT0_S9_ifPKiSB_iPKfiiiSD_SD_iiiii.num_named_barrier, 0
	.set _ZN4vllm25paged_attention_v1_kernelI14__hip_bfloat16hLi32ELi8ELi128ELNS_18Fp8KVCacheDataTypeE1ELb0EEEvPT_PKS3_PKT0_S9_ifPKiSB_iPKfiiiSD_SD_iiiii.private_seg_size, 0
	.set _ZN4vllm25paged_attention_v1_kernelI14__hip_bfloat16hLi32ELi8ELi128ELNS_18Fp8KVCacheDataTypeE1ELb0EEEvPT_PKS3_PKT0_S9_ifPKiSB_iPKfiiiSD_SD_iiiii.uses_vcc, 1
	.set _ZN4vllm25paged_attention_v1_kernelI14__hip_bfloat16hLi32ELi8ELi128ELNS_18Fp8KVCacheDataTypeE1ELb0EEEvPT_PKS3_PKT0_S9_ifPKiSB_iPKfiiiSD_SD_iiiii.uses_flat_scratch, 0
	.set _ZN4vllm25paged_attention_v1_kernelI14__hip_bfloat16hLi32ELi8ELi128ELNS_18Fp8KVCacheDataTypeE1ELb0EEEvPT_PKS3_PKT0_S9_ifPKiSB_iPKfiiiSD_SD_iiiii.has_dyn_sized_stack, 0
	.set _ZN4vllm25paged_attention_v1_kernelI14__hip_bfloat16hLi32ELi8ELi128ELNS_18Fp8KVCacheDataTypeE1ELb0EEEvPT_PKS3_PKT0_S9_ifPKiSB_iPKfiiiSD_SD_iiiii.has_recursion, 0
	.set _ZN4vllm25paged_attention_v1_kernelI14__hip_bfloat16hLi32ELi8ELi128ELNS_18Fp8KVCacheDataTypeE1ELb0EEEvPT_PKS3_PKT0_S9_ifPKiSB_iPKfiiiSD_SD_iiiii.has_indirect_call, 0
	.section	.AMDGPU.csdata,"",@progbits
; Kernel info:
; codeLenInByte = 6360
; TotalNumSgprs: 48
; NumVgprs: 36
; ScratchSize: 0
; MemoryBound: 0
; FloatMode: 240
; IeeeMode: 1
; LDSByteSize: 80 bytes/workgroup (compile time only)
; SGPRBlocks: 5
; VGPRBlocks: 8
; NumSGPRsForWavesPerEU: 48
; NumVGPRsForWavesPerEU: 36
; Occupancy: 7
; WaveLimiterHint : 1
; COMPUTE_PGM_RSRC2:SCRATCH_EN: 0
; COMPUTE_PGM_RSRC2:USER_SGPR: 6
; COMPUTE_PGM_RSRC2:TRAP_HANDLER: 0
; COMPUTE_PGM_RSRC2:TGID_X_EN: 1
; COMPUTE_PGM_RSRC2:TGID_Y_EN: 1
; COMPUTE_PGM_RSRC2:TGID_Z_EN: 1
; COMPUTE_PGM_RSRC2:TIDIG_COMP_CNT: 0
	.section	.text._ZN4vllm25paged_attention_v1_kernelI14__hip_bfloat16hLi64ELi8ELi128ELNS_18Fp8KVCacheDataTypeE1ELb0EEEvPT_PKS3_PKT0_S9_ifPKiSB_iPKfiiiSD_SD_iiiii,"axG",@progbits,_ZN4vllm25paged_attention_v1_kernelI14__hip_bfloat16hLi64ELi8ELi128ELNS_18Fp8KVCacheDataTypeE1ELb0EEEvPT_PKS3_PKT0_S9_ifPKiSB_iPKfiiiSD_SD_iiiii,comdat
	.protected	_ZN4vllm25paged_attention_v1_kernelI14__hip_bfloat16hLi64ELi8ELi128ELNS_18Fp8KVCacheDataTypeE1ELb0EEEvPT_PKS3_PKT0_S9_ifPKiSB_iPKfiiiSD_SD_iiiii ; -- Begin function _ZN4vllm25paged_attention_v1_kernelI14__hip_bfloat16hLi64ELi8ELi128ELNS_18Fp8KVCacheDataTypeE1ELb0EEEvPT_PKS3_PKT0_S9_ifPKiSB_iPKfiiiSD_SD_iiiii
	.globl	_ZN4vllm25paged_attention_v1_kernelI14__hip_bfloat16hLi64ELi8ELi128ELNS_18Fp8KVCacheDataTypeE1ELb0EEEvPT_PKS3_PKT0_S9_ifPKiSB_iPKfiiiSD_SD_iiiii
	.p2align	8
	.type	_ZN4vllm25paged_attention_v1_kernelI14__hip_bfloat16hLi64ELi8ELi128ELNS_18Fp8KVCacheDataTypeE1ELb0EEEvPT_PKS3_PKT0_S9_ifPKiSB_iPKfiiiSD_SD_iiiii,@function
_ZN4vllm25paged_attention_v1_kernelI14__hip_bfloat16hLi64ELi8ELi128ELNS_18Fp8KVCacheDataTypeE1ELb0EEEvPT_PKS3_PKT0_S9_ifPKiSB_iPKfiiiSD_SD_iiiii: ; @_ZN4vllm25paged_attention_v1_kernelI14__hip_bfloat16hLi64ELi8ELi128ELNS_18Fp8KVCacheDataTypeE1ELb0EEEvPT_PKS3_PKT0_S9_ifPKiSB_iPKfiiiSD_SD_iiiii
; %bb.0:
	s_load_dword s9, s[4:5], 0x80
	s_load_dwordx2 s[0:1], s[4:5], 0x30
	s_load_dwordx2 s[10:11], s[4:5], 0x20
	s_mov_b32 s20, s7
	s_ashr_i32 s21, s7, 31
	s_lshl_b64 s[2:3], s[20:21], 2
	s_waitcnt lgkmcnt(0)
	s_add_u32 s0, s0, s2
	s_addc_u32 s1, s1, s3
	s_abs_i32 s2, s10
	v_cvt_f32_u32_e32 v1, s2
	s_xor_b32 s3, s9, s10
	s_sub_i32 s10, 0, s2
	s_abs_i32 s7, s9
	v_rcp_iflag_f32_e32 v1, v1
	s_ashr_i32 s3, s3, 31
	v_mul_f32_e32 v1, 0x4f7ffffe, v1
	v_cvt_u32_f32_e32 v1, v1
	v_readfirstlane_b32 s12, v1
	s_mul_i32 s10, s10, s12
	s_mul_hi_u32 s10, s12, s10
	s_add_i32 s12, s12, s10
	s_mul_hi_u32 s10, s7, s12
	s_mul_i32 s12, s10, s2
	s_sub_i32 s7, s7, s12
	s_add_i32 s12, s10, 1
	s_sub_i32 s13, s7, s2
	s_cmp_ge_u32 s7, s2
	s_cselect_b32 s10, s12, s10
	s_cselect_b32 s7, s13, s7
	s_add_i32 s12, s10, 1
	s_cmp_ge_u32 s7, s2
	s_cselect_b32 s2, s12, s10
	s_xor_b32 s2, s2, s3
	s_sub_i32 s19, s2, s3
	s_abs_i32 s16, s19
	v_cvt_f32_u32_e32 v1, s16
	s_load_dwordx2 s[2:3], s[4:5], 0x40
	s_sub_i32 s7, 0, s16
	s_abs_i32 s17, s6
	v_rcp_iflag_f32_e32 v1, v1
	s_mov_b32 s10, 0
	v_mul_f32_e32 v1, 0x4f7ffffe, v1
	v_cvt_u32_f32_e32 v1, v1
	v_readfirstlane_b32 s12, v1
	s_mul_i32 s7, s7, s12
	s_mul_hi_u32 s7, s12, s7
	s_add_i32 s12, s12, s7
	s_waitcnt lgkmcnt(0)
	s_cmp_eq_u64 s[2:3], 0
	s_mul_hi_u32 s18, s17, s12
	s_cbranch_scc1 .LBB284_2
; %bb.1:
	s_ashr_i32 s7, s6, 31
	s_lshl_b64 s[12:13], s[6:7], 2
	s_add_u32 s2, s2, s12
	s_addc_u32 s3, s3, s13
	s_load_dword s10, s[2:3], 0x0
.LBB284_2:
	s_load_dword s21, s[0:1], 0x0
	s_load_dwordx4 s[12:15], s[4:5], 0x48
	s_ashr_i32 s7, s6, 31
	s_waitcnt lgkmcnt(0)
	s_ashr_i32 s15, s19, 31
	v_and_b32_e32 v1, 7, v0
	s_lshl_b32 s22, s6, 6
	v_cmp_gt_u32_e64 s[0:1], 64, v0
	s_and_saveexec_b64 s[2:3], s[0:1]
	s_cbranch_execz .LBB284_4
; %bb.3:
	s_load_dwordx2 s[24:25], s[4:5], 0x8
	s_mul_i32 s26, s12, s20
	s_ashr_i32 s27, s26, 31
	s_lshl_b64 s[26:27], s[26:27], 1
	v_lshlrev_b32_e32 v2, 1, v0
	s_waitcnt lgkmcnt(0)
	s_add_u32 s6, s24, s26
	s_addc_u32 s12, s25, s27
	s_ashr_i32 s23, s22, 31
	s_lshl_b64 s[24:25], s[22:23], 1
	s_add_u32 s24, s6, s24
	s_addc_u32 s25, s12, s25
	global_load_ushort v2, v2, s[24:25]
	v_lshrrev_b32_e32 v3, 2, v0
	v_and_b32_e32 v3, 0xfe, v3
	v_lshl_add_u32 v3, v1, 4, v3
	s_waitcnt vmcnt(0)
	ds_write_b16 v3, v2
.LBB284_4:
	s_or_b64 exec, exec, s[2:3]
	s_add_i32 s3, s21, 7
	s_ashr_i32 s6, s3, 31
	s_lshr_b32 s6, s6, 29
	s_add_i32 s3, s3, s6
	s_mul_i32 s6, s18, s16
	s_sub_i32 s6, s17, s6
	s_ashr_i32 s33, s3, 3
	s_xor_b32 s3, s7, s15
	s_add_i32 s7, s18, 1
	s_sub_i32 s12, s6, s16
	s_load_dwordx2 s[26:27], s[4:5], 0x28
	s_load_dword s2, s[4:5], 0x38
	s_cmp_ge_u32 s6, s16
	s_cselect_b32 s7, s7, s18
	s_cselect_b32 s6, s12, s6
	s_add_i32 s12, s7, 1
	s_cmp_ge_u32 s6, s16
	s_cselect_b32 s6, s12, s7
	v_lshrrev_b32_e32 v17, 6, v0
	s_xor_b32 s6, s6, s3
	s_waitcnt lgkmcnt(0)
	s_mul_i32 s28, s2, s20
	s_sub_i32 s12, s6, s3
	s_ashr_i32 s29, s28, 31
	v_cmp_gt_i32_e64 s[2:3], s33, v17
	v_cmp_le_i32_e32 vcc, s33, v17
	v_mbcnt_lo_u32_b32 v2, -1, 0
	s_barrier
                                        ; implicit-def: $vgpr9
                                        ; implicit-def: $vgpr11
                                        ; implicit-def: $vgpr10
	s_and_saveexec_b64 s[6:7], vcc
	s_xor_b64 s[6:7], exec, s[6:7]
; %bb.5:
	v_mbcnt_hi_u32_b32 v9, -1, v2
	v_and_b32_e32 v11, 64, v9
	v_add_u32_e32 v10, 64, v11
                                        ; implicit-def: $vgpr1
                                        ; implicit-def: $vgpr2
; %bb.6:
	s_or_saveexec_b64 s[34:35], s[6:7]
	s_load_dwordx2 s[24:25], s[4:5], 0x0
	s_load_dwordx2 s[30:31], s[4:5], 0x18
	s_load_dword s23, s[4:5], 0x88
	s_load_dwordx4 s[16:19], s[4:5], 0x58
	v_mov_b32_e32 v21, 0xff7fffff
	s_mul_i32 s12, s12, s14
	v_lshrrev_b32_e32 v8, 4, v0
	s_xor_b64 exec, exec, s[34:35]
	s_cbranch_execz .LBB284_60
; %bb.7:
	s_load_dwordx2 s[4:5], s[4:5], 0x10
	s_ashr_i32 s6, s12, 31
	v_bfe_u32 v7, v0, 3, 3
	v_lshlrev_b32_e32 v9, 4, v7
	v_lshlrev_b32_e32 v3, 4, v1
	s_waitcnt lgkmcnt(0)
	s_add_u32 s4, s4, s12
	s_addc_u32 s5, s5, s6
	v_mov_b32_e32 v10, s5
	v_add_co_u32_e32 v21, vcc, s4, v9
	ds_read_b128 v[3:6], v3
	v_addc_co_u32_e32 v22, vcc, 0, v10, vcc
	v_cmp_eq_u32_e32 vcc, 0, v1
	v_add_co_u32_e64 v1, s[4:5], v21, v1
	v_mbcnt_hi_u32_b32 v9, -1, v2
	v_addc_co_u32_e64 v2, s[4:5], 0, v22, s[4:5]
	s_sub_i32 s41, 1, s21
	s_lshl_b64 s[4:5], s[28:29], 2
	s_add_u32 s4, s26, s4
	s_waitcnt lgkmcnt(0)
	v_lshlrev_b32_e32 v12, 16, v3
	v_and_b32_e32 v13, 0xffff0000, v3
	v_and_b32_e32 v3, 60, v8
	s_addc_u32 s5, s27, s5
	v_lshlrev_b32_e32 v14, 16, v4
	v_and_b32_e32 v15, 0xffff0000, v4
	v_and_b32_e32 v11, 64, v9
	v_mov_b32_e32 v4, s5
	v_add_co_u32_e64 v3, s[4:5], s4, v3
	v_lshlrev_b32_e32 v16, 16, v5
	v_and_b32_e32 v18, 0xffff0000, v5
	v_add_u32_e32 v10, 64, v11
	v_addc_co_u32_e64 v4, s[4:5], 0, v4, s[4:5]
	v_xor_b32_e32 v5, 4, v9
	v_cmp_lt_i32_e64 s[4:5], v5, v10
	v_cndmask_b32_e64 v5, v9, v5, s[4:5]
	v_lshlrev_b32_e32 v22, 2, v5
	v_xor_b32_e32 v5, 2, v9
	v_cmp_lt_i32_e64 s[4:5], v5, v10
	v_cndmask_b32_e64 v5, v9, v5, s[4:5]
	v_lshlrev_b32_e32 v23, 2, v5
	v_xor_b32_e32 v5, 1, v9
	v_cmp_lt_i32_e64 s[4:5], v5, v10
	s_load_dword s42, s[16:17], 0x0
	v_cndmask_b32_e64 v5, v9, v5, s[4:5]
	v_lshlrev_b32_e32 v24, 2, v5
	v_lshlrev_b32_e32 v5, 2, v7
	v_lshl_or_b32 v5, v17, 5, v5
	s_mov_b32 s40, s13
	v_lshlrev_b32_e32 v19, 16, v6
	v_and_b32_e32 v20, 0xffff0000, v6
	v_cmp_neq_f32_e64 s[4:5], s10, 0
	v_lshl_or_b32 v25, v17, 3, v7
	v_add_u32_e32 v26, 0x90, v5
	s_mov_b64 s[14:15], 0
	s_movk_i32 s43, 0x80
	s_movk_i32 s44, 0x7f
	;; [unrolled: 1-line block ×3, first 2 shown]
	v_mov_b32_e32 v21, 0xff7fffff
	v_bfrev_b32_e32 v27, 60
	v_mov_b32_e32 v28, v17
	s_branch .LBB284_9
.LBB284_8:                              ;   in Loop: Header=BB284_9 Depth=1
	s_or_b64 exec, exec, s[16:17]
	v_add_u32_e32 v28, 2, v28
	v_cmp_le_i32_e64 s[6:7], s33, v28
	s_or_b64 s[14:15], s[6:7], s[14:15]
	v_add_co_u32_e64 v3, s[6:7], 8, v3
	v_add_u32_e32 v25, 16, v25
	v_add_u32_e32 v26, 64, v26
	v_addc_co_u32_e64 v4, s[6:7], 0, v4, s[6:7]
	s_andn2_b64 exec, exec, s[14:15]
	s_cbranch_execz .LBB284_59
.LBB284_9:                              ; =>This Inner Loop Header: Depth=1
	global_load_dword v5, v[3:4], off
	v_mov_b32_e32 v29, 0
	s_waitcnt vmcnt(0) lgkmcnt(0)
	v_mad_i64_i32 v[5:6], s[6:7], v5, s40, v[1:2]
	global_load_ubyte v30, v[5:6], off
	s_waitcnt vmcnt(0)
	v_cmp_ne_u16_e64 s[6:7], 0, v30
	s_and_saveexec_b64 s[16:17], s[6:7]
	s_cbranch_execz .LBB284_15
; %bb.10:                               ;   in Loop: Header=BB284_9 Depth=1
	v_cmp_ne_u16_e64 s[6:7], s43, v30
	v_bfrev_b32_e32 v29, 1
	s_and_saveexec_b64 s[36:37], s[6:7]
	s_cbranch_execz .LBB284_14
; %bb.11:                               ;   in Loop: Header=BB284_9 Depth=1
	v_and_b32_e32 v7, 0xffff, v30
	v_and_b32_e32 v31, 0x7f, v7
	v_cmp_ne_u32_e64 s[6:7], s44, v31
	v_mov_b32_e32 v29, 0x7f800001
	s_and_saveexec_b64 s[38:39], s[6:7]
	s_cbranch_execz .LBB284_13
; %bb.12:                               ;   in Loop: Header=BB284_9 Depth=1
	v_and_b32_e32 v29, 7, v7
	v_ffbh_u32_e32 v32, v29
	v_min_u32_e32 v35, 32, v32
	v_subrev_u32_e32 v32, 28, v35
	v_lshlrev_b64 v[32:33], v32, v[7:8]
	v_lshrrev_b32_e32 v34, 3, v31
	v_sub_u32_e32 v7, 29, v35
	v_and_b32_e32 v32, 7, v32
	v_cmp_gt_u32_e64 s[6:7], 8, v31
	v_cndmask_b32_e64 v7, v34, v7, s[6:7]
	v_cndmask_b32_e64 v29, v29, v32, s[6:7]
	v_lshlrev_b32_e32 v30, 24, v30
	v_lshlrev_b32_e32 v29, 20, v29
	v_and_b32_e32 v30, 0x80000000, v30
	v_lshl_add_u32 v7, v7, 23, v27
	v_or3_b32 v29, v30, v7, v29
.LBB284_13:                             ;   in Loop: Header=BB284_9 Depth=1
	s_or_b64 exec, exec, s[38:39]
.LBB284_14:                             ;   in Loop: Header=BB284_9 Depth=1
	s_or_b64 exec, exec, s[36:37]
.LBB284_15:                             ;   in Loop: Header=BB284_9 Depth=1
	s_or_b64 exec, exec, s[16:17]
	global_load_ubyte v32, v[5:6], off offset:8
	v_mov_b32_e32 v31, 0
	v_mov_b32_e32 v30, 0
	s_waitcnt vmcnt(0)
	v_cmp_ne_u16_e64 s[6:7], 0, v32
	s_and_saveexec_b64 s[16:17], s[6:7]
	s_cbranch_execz .LBB284_21
; %bb.16:                               ;   in Loop: Header=BB284_9 Depth=1
	v_cmp_ne_u16_e64 s[6:7], s43, v32
	v_bfrev_b32_e32 v30, 1
	s_and_saveexec_b64 s[36:37], s[6:7]
	s_cbranch_execz .LBB284_20
; %bb.17:                               ;   in Loop: Header=BB284_9 Depth=1
	v_and_b32_e32 v7, 0xffff, v32
	v_and_b32_e32 v33, 0x7f, v7
	v_cmp_ne_u32_e64 s[6:7], s44, v33
	v_mov_b32_e32 v30, 0x7f800001
	s_and_saveexec_b64 s[38:39], s[6:7]
	s_cbranch_execz .LBB284_19
; %bb.18:                               ;   in Loop: Header=BB284_9 Depth=1
	v_and_b32_e32 v30, 7, v7
	v_ffbh_u32_e32 v34, v30
	v_min_u32_e32 v37, 32, v34
	v_subrev_u32_e32 v34, 28, v37
	v_lshlrev_b64 v[34:35], v34, v[7:8]
	v_lshrrev_b32_e32 v36, 3, v33
	v_sub_u32_e32 v7, 29, v37
	v_and_b32_e32 v34, 7, v34
	v_cmp_gt_u32_e64 s[6:7], 8, v33
	v_cndmask_b32_e64 v7, v36, v7, s[6:7]
	v_cndmask_b32_e64 v30, v30, v34, s[6:7]
	v_lshlrev_b32_e32 v32, 24, v32
	v_lshlrev_b32_e32 v30, 20, v30
	v_and_b32_e32 v32, 0x80000000, v32
	v_lshl_add_u32 v7, v7, 23, v27
	v_or3_b32 v30, v32, v7, v30
.LBB284_19:                             ;   in Loop: Header=BB284_9 Depth=1
	s_or_b64 exec, exec, s[38:39]
.LBB284_20:                             ;   in Loop: Header=BB284_9 Depth=1
	s_or_b64 exec, exec, s[36:37]
.LBB284_21:                             ;   in Loop: Header=BB284_9 Depth=1
	s_or_b64 exec, exec, s[16:17]
	global_load_ubyte v32, v[5:6], off offset:128
	s_waitcnt vmcnt(0)
	v_cmp_ne_u16_e64 s[6:7], 0, v32
	s_and_saveexec_b64 s[16:17], s[6:7]
	s_cbranch_execz .LBB284_27
; %bb.22:                               ;   in Loop: Header=BB284_9 Depth=1
	v_cmp_ne_u16_e64 s[6:7], s43, v32
	v_bfrev_b32_e32 v31, 1
	s_and_saveexec_b64 s[36:37], s[6:7]
	s_cbranch_execz .LBB284_26
; %bb.23:                               ;   in Loop: Header=BB284_9 Depth=1
	v_and_b32_e32 v7, 0xffff, v32
	v_and_b32_e32 v33, 0x7f, v7
	v_cmp_ne_u32_e64 s[6:7], s44, v33
	v_mov_b32_e32 v31, 0x7f800001
	s_and_saveexec_b64 s[38:39], s[6:7]
	s_cbranch_execz .LBB284_25
; %bb.24:                               ;   in Loop: Header=BB284_9 Depth=1
	v_and_b32_e32 v31, 7, v7
	v_ffbh_u32_e32 v34, v31
	v_min_u32_e32 v37, 32, v34
	v_subrev_u32_e32 v34, 28, v37
	v_lshlrev_b64 v[34:35], v34, v[7:8]
	v_lshrrev_b32_e32 v36, 3, v33
	v_sub_u32_e32 v7, 29, v37
	v_and_b32_e32 v34, 7, v34
	v_cmp_gt_u32_e64 s[6:7], 8, v33
	v_cndmask_b32_e64 v7, v36, v7, s[6:7]
	v_cndmask_b32_e64 v31, v31, v34, s[6:7]
	v_lshlrev_b32_e32 v32, 24, v32
	v_lshlrev_b32_e32 v31, 20, v31
	v_and_b32_e32 v32, 0x80000000, v32
	v_lshl_add_u32 v7, v7, 23, v27
	v_or3_b32 v31, v32, v7, v31
.LBB284_25:                             ;   in Loop: Header=BB284_9 Depth=1
	s_or_b64 exec, exec, s[38:39]
.LBB284_26:                             ;   in Loop: Header=BB284_9 Depth=1
	s_or_b64 exec, exec, s[36:37]
.LBB284_27:                             ;   in Loop: Header=BB284_9 Depth=1
	s_or_b64 exec, exec, s[16:17]
	global_load_ubyte v34, v[5:6], off offset:136
	v_mov_b32_e32 v33, 0
	v_mov_b32_e32 v32, 0
	s_waitcnt vmcnt(0)
	v_cmp_ne_u16_e64 s[6:7], 0, v34
	s_and_saveexec_b64 s[16:17], s[6:7]
	s_cbranch_execz .LBB284_33
; %bb.28:                               ;   in Loop: Header=BB284_9 Depth=1
	v_cmp_ne_u16_e64 s[6:7], s43, v34
	v_bfrev_b32_e32 v32, 1
	s_and_saveexec_b64 s[36:37], s[6:7]
	s_cbranch_execz .LBB284_32
; %bb.29:                               ;   in Loop: Header=BB284_9 Depth=1
	v_and_b32_e32 v7, 0xffff, v34
	v_and_b32_e32 v35, 0x7f, v7
	v_cmp_ne_u32_e64 s[6:7], s44, v35
	v_mov_b32_e32 v32, 0x7f800001
	s_and_saveexec_b64 s[38:39], s[6:7]
	s_cbranch_execz .LBB284_31
; %bb.30:                               ;   in Loop: Header=BB284_9 Depth=1
	v_and_b32_e32 v32, 7, v7
	v_ffbh_u32_e32 v36, v32
	v_min_u32_e32 v39, 32, v36
	v_subrev_u32_e32 v36, 28, v39
	v_lshlrev_b64 v[36:37], v36, v[7:8]
	v_lshrrev_b32_e32 v38, 3, v35
	v_sub_u32_e32 v7, 29, v39
	v_and_b32_e32 v36, 7, v36
	v_cmp_gt_u32_e64 s[6:7], 8, v35
	v_cndmask_b32_e64 v7, v38, v7, s[6:7]
	v_cndmask_b32_e64 v32, v32, v36, s[6:7]
	v_lshlrev_b32_e32 v34, 24, v34
	v_lshlrev_b32_e32 v32, 20, v32
	v_and_b32_e32 v34, 0x80000000, v34
	v_lshl_add_u32 v7, v7, 23, v27
	v_or3_b32 v32, v34, v7, v32
.LBB284_31:                             ;   in Loop: Header=BB284_9 Depth=1
	s_or_b64 exec, exec, s[38:39]
.LBB284_32:                             ;   in Loop: Header=BB284_9 Depth=1
	s_or_b64 exec, exec, s[36:37]
.LBB284_33:                             ;   in Loop: Header=BB284_9 Depth=1
	s_or_b64 exec, exec, s[16:17]
	global_load_ubyte v34, v[5:6], off offset:256
	s_waitcnt vmcnt(0)
	v_cmp_ne_u16_e64 s[6:7], 0, v34
	s_and_saveexec_b64 s[16:17], s[6:7]
	s_cbranch_execz .LBB284_39
; %bb.34:                               ;   in Loop: Header=BB284_9 Depth=1
	v_cmp_ne_u16_e64 s[6:7], s43, v34
	v_bfrev_b32_e32 v33, 1
	s_and_saveexec_b64 s[36:37], s[6:7]
	s_cbranch_execz .LBB284_38
; %bb.35:                               ;   in Loop: Header=BB284_9 Depth=1
	v_and_b32_e32 v7, 0xffff, v34
	v_and_b32_e32 v35, 0x7f, v7
	v_cmp_ne_u32_e64 s[6:7], s44, v35
	v_mov_b32_e32 v33, 0x7f800001
	s_and_saveexec_b64 s[38:39], s[6:7]
	s_cbranch_execz .LBB284_37
; %bb.36:                               ;   in Loop: Header=BB284_9 Depth=1
	v_and_b32_e32 v33, 7, v7
	v_ffbh_u32_e32 v36, v33
	v_min_u32_e32 v39, 32, v36
	v_subrev_u32_e32 v36, 28, v39
	v_lshlrev_b64 v[36:37], v36, v[7:8]
	v_lshrrev_b32_e32 v38, 3, v35
	v_sub_u32_e32 v7, 29, v39
	v_and_b32_e32 v36, 7, v36
	v_cmp_gt_u32_e64 s[6:7], 8, v35
	v_cndmask_b32_e64 v7, v38, v7, s[6:7]
	v_cndmask_b32_e64 v33, v33, v36, s[6:7]
	v_lshlrev_b32_e32 v34, 24, v34
	v_lshlrev_b32_e32 v33, 20, v33
	v_and_b32_e32 v34, 0x80000000, v34
	v_lshl_add_u32 v7, v7, 23, v27
	v_or3_b32 v33, v34, v7, v33
.LBB284_37:                             ;   in Loop: Header=BB284_9 Depth=1
	s_or_b64 exec, exec, s[38:39]
.LBB284_38:                             ;   in Loop: Header=BB284_9 Depth=1
	s_or_b64 exec, exec, s[36:37]
.LBB284_39:                             ;   in Loop: Header=BB284_9 Depth=1
	s_or_b64 exec, exec, s[16:17]
	global_load_ubyte v36, v[5:6], off offset:264
	v_mov_b32_e32 v35, 0
	v_mov_b32_e32 v34, 0
	s_waitcnt vmcnt(0)
	v_cmp_ne_u16_e64 s[6:7], 0, v36
	s_and_saveexec_b64 s[16:17], s[6:7]
	s_cbranch_execz .LBB284_45
; %bb.40:                               ;   in Loop: Header=BB284_9 Depth=1
	v_cmp_ne_u16_e64 s[6:7], s43, v36
	v_bfrev_b32_e32 v34, 1
	s_and_saveexec_b64 s[36:37], s[6:7]
	s_cbranch_execz .LBB284_44
; %bb.41:                               ;   in Loop: Header=BB284_9 Depth=1
	v_and_b32_e32 v7, 0xffff, v36
	v_and_b32_e32 v37, 0x7f, v7
	v_cmp_ne_u32_e64 s[6:7], s44, v37
	v_mov_b32_e32 v34, 0x7f800001
	s_and_saveexec_b64 s[38:39], s[6:7]
	s_cbranch_execz .LBB284_43
; %bb.42:                               ;   in Loop: Header=BB284_9 Depth=1
	v_and_b32_e32 v34, 7, v7
	v_ffbh_u32_e32 v38, v34
	v_min_u32_e32 v41, 32, v38
	v_subrev_u32_e32 v38, 28, v41
	v_lshlrev_b64 v[38:39], v38, v[7:8]
	v_lshrrev_b32_e32 v40, 3, v37
	v_sub_u32_e32 v7, 29, v41
	v_and_b32_e32 v38, 7, v38
	v_cmp_gt_u32_e64 s[6:7], 8, v37
	v_cndmask_b32_e64 v7, v40, v7, s[6:7]
	v_cndmask_b32_e64 v34, v34, v38, s[6:7]
	v_lshlrev_b32_e32 v36, 24, v36
	v_lshlrev_b32_e32 v34, 20, v34
	v_and_b32_e32 v36, 0x80000000, v36
	v_lshl_add_u32 v7, v7, 23, v27
	v_or3_b32 v34, v36, v7, v34
.LBB284_43:                             ;   in Loop: Header=BB284_9 Depth=1
	s_or_b64 exec, exec, s[38:39]
.LBB284_44:                             ;   in Loop: Header=BB284_9 Depth=1
	s_or_b64 exec, exec, s[36:37]
.LBB284_45:                             ;   in Loop: Header=BB284_9 Depth=1
	s_or_b64 exec, exec, s[16:17]
	global_load_ubyte v36, v[5:6], off offset:384
	s_waitcnt vmcnt(0)
	v_cmp_ne_u16_e64 s[6:7], 0, v36
	s_and_saveexec_b64 s[16:17], s[6:7]
	s_cbranch_execz .LBB284_51
; %bb.46:                               ;   in Loop: Header=BB284_9 Depth=1
	v_cmp_ne_u16_e64 s[6:7], s43, v36
	v_bfrev_b32_e32 v35, 1
	s_and_saveexec_b64 s[36:37], s[6:7]
	s_cbranch_execz .LBB284_50
; %bb.47:                               ;   in Loop: Header=BB284_9 Depth=1
	v_and_b32_e32 v7, 0xffff, v36
	v_and_b32_e32 v37, 0x7f, v7
	v_cmp_ne_u32_e64 s[6:7], s44, v37
	v_mov_b32_e32 v35, 0x7f800001
	s_and_saveexec_b64 s[38:39], s[6:7]
	s_cbranch_execz .LBB284_49
; %bb.48:                               ;   in Loop: Header=BB284_9 Depth=1
	v_and_b32_e32 v35, 7, v7
	v_ffbh_u32_e32 v38, v35
	v_min_u32_e32 v41, 32, v38
	v_subrev_u32_e32 v38, 28, v41
	v_lshlrev_b64 v[38:39], v38, v[7:8]
	v_lshrrev_b32_e32 v40, 3, v37
	v_sub_u32_e32 v7, 29, v41
	v_and_b32_e32 v38, 7, v38
	v_cmp_gt_u32_e64 s[6:7], 8, v37
	v_cndmask_b32_e64 v7, v40, v7, s[6:7]
	v_cndmask_b32_e64 v35, v35, v38, s[6:7]
	v_lshlrev_b32_e32 v36, 24, v36
	v_lshlrev_b32_e32 v35, 20, v35
	v_and_b32_e32 v36, 0x80000000, v36
	v_lshl_add_u32 v7, v7, 23, v27
	v_or3_b32 v35, v36, v7, v35
.LBB284_49:                             ;   in Loop: Header=BB284_9 Depth=1
	s_or_b64 exec, exec, s[38:39]
.LBB284_50:                             ;   in Loop: Header=BB284_9 Depth=1
	s_or_b64 exec, exec, s[36:37]
.LBB284_51:                             ;   in Loop: Header=BB284_9 Depth=1
	s_or_b64 exec, exec, s[16:17]
	global_load_ubyte v7, v[5:6], off offset:392
	v_mov_b32_e32 v6, 0
	s_waitcnt vmcnt(0)
	v_cmp_ne_u16_e64 s[6:7], 0, v7
	s_and_saveexec_b64 s[16:17], s[6:7]
	s_cbranch_execz .LBB284_57
; %bb.52:                               ;   in Loop: Header=BB284_9 Depth=1
	v_cmp_ne_u16_e64 s[6:7], s43, v7
	v_bfrev_b32_e32 v6, 1
	s_and_saveexec_b64 s[36:37], s[6:7]
	s_cbranch_execz .LBB284_56
; %bb.53:                               ;   in Loop: Header=BB284_9 Depth=1
	v_and_b32_e32 v5, 0xffff, v7
	v_and_b32_e32 v36, 0x7f, v5
	v_cmp_ne_u32_e64 s[6:7], s44, v36
	v_mov_b32_e32 v6, 0x7f800001
	s_and_saveexec_b64 s[38:39], s[6:7]
	s_cbranch_execz .LBB284_55
; %bb.54:                               ;   in Loop: Header=BB284_9 Depth=1
	v_and_b32_e32 v37, 7, v5
	v_ffbh_u32_e32 v6, v37
	v_min_u32_e32 v39, 32, v6
	v_subrev_u32_e32 v6, 28, v39
	v_lshlrev_b64 v[5:6], v6, v[5:6]
	v_lshrrev_b32_e32 v38, 3, v36
	v_sub_u32_e32 v6, 29, v39
	v_and_b32_e32 v5, 7, v5
	v_cmp_gt_u32_e64 s[6:7], 8, v36
	v_cndmask_b32_e64 v6, v38, v6, s[6:7]
	v_cndmask_b32_e64 v5, v37, v5, s[6:7]
	v_lshlrev_b32_e32 v7, 24, v7
	v_lshlrev_b32_e32 v5, 20, v5
	v_and_b32_e32 v7, 0x80000000, v7
	v_lshl_add_u32 v6, v6, 23, v27
	v_or3_b32 v6, v7, v6, v5
.LBB284_55:                             ;   in Loop: Header=BB284_9 Depth=1
	s_or_b64 exec, exec, s[38:39]
.LBB284_56:                             ;   in Loop: Header=BB284_9 Depth=1
	s_or_b64 exec, exec, s[36:37]
.LBB284_57:                             ;   in Loop: Header=BB284_9 Depth=1
	s_or_b64 exec, exec, s[16:17]
	s_waitcnt lgkmcnt(0)
	v_mul_f32_e32 v5, s42, v35
	v_bfe_u32 v7, v5, 16, 1
	v_add3_u32 v7, v7, v5, s45
	v_or_b32_e32 v35, 0x400000, v5
	v_cmp_u_f32_e64 s[6:7], v5, v5
	v_cndmask_b32_e64 v5, v7, v35, s[6:7]
	v_mul_f32_e32 v7, s42, v34
	v_bfe_u32 v34, v7, 16, 1
	v_add3_u32 v34, v34, v7, s45
	v_or_b32_e32 v35, 0x400000, v7
	v_cmp_u_f32_e64 s[6:7], v7, v7
	v_mul_f32_e32 v33, s42, v33
	v_cndmask_b32_e64 v7, v34, v35, s[6:7]
	v_bfe_u32 v34, v33, 16, 1
	v_add3_u32 v34, v34, v33, s45
	v_or_b32_e32 v35, 0x400000, v33
	v_cmp_u_f32_e64 s[6:7], v33, v33
	v_mul_f32_e32 v32, s42, v32
	v_cndmask_b32_e64 v33, v34, v35, s[6:7]
	;; [unrolled: 6-line block ×5, first 2 shown]
	v_bfe_u32 v34, v29, 16, 1
	v_add3_u32 v34, v34, v29, s45
	v_or_b32_e32 v35, 0x400000, v29
	v_cmp_u_f32_e64 s[6:7], v29, v29
	v_cndmask_b32_e64 v29, v34, v35, s[6:7]
	v_and_b32_e32 v30, 0xffff0000, v30
	v_and_b32_e32 v29, 0xffff0000, v29
	v_mul_f32_e32 v30, v13, v30
	v_fmac_f32_e32 v30, v12, v29
	v_and_b32_e32 v29, 0xffff0000, v31
	v_mul_f32_e32 v6, s42, v6
	v_fmac_f32_e32 v30, v14, v29
	v_and_b32_e32 v29, 0xffff0000, v32
	v_bfe_u32 v34, v6, 16, 1
	v_fmac_f32_e32 v30, v15, v29
	v_and_b32_e32 v29, 0xffff0000, v33
	v_add3_u32 v34, v34, v6, s45
	v_or_b32_e32 v35, 0x400000, v6
	v_cmp_u_f32_e64 s[6:7], v6, v6
	v_fmac_f32_e32 v30, v16, v29
	v_and_b32_e32 v7, 0xffff0000, v7
	v_cndmask_b32_e64 v6, v34, v35, s[6:7]
	v_fmac_f32_e32 v30, v18, v7
	v_and_b32_e32 v5, 0xffff0000, v5
	v_fmac_f32_e32 v30, v19, v5
	v_and_b32_e32 v5, 0xffff0000, v6
	v_fmac_f32_e32 v30, v20, v5
	ds_bpermute_b32 v5, v22, v30
	s_waitcnt lgkmcnt(0)
	v_add_f32_e32 v5, v30, v5
	ds_bpermute_b32 v6, v23, v5
	s_waitcnt lgkmcnt(0)
	v_add_f32_e32 v5, v5, v6
	ds_bpermute_b32 v6, v24, v5
	s_and_saveexec_b64 s[16:17], vcc
	s_cbranch_execz .LBB284_8
; %bb.58:                               ;   in Loop: Header=BB284_9 Depth=1
	v_add_u32_e32 v7, s41, v25
	v_cvt_f32_i32_e32 v7, v7
	s_waitcnt lgkmcnt(0)
	v_add_f32_e32 v5, v5, v6
	v_cmp_gt_i32_e64 s[6:7], s21, v25
	v_max_f32_e32 v6, v21, v21
	v_mul_f32_e32 v7, s10, v7
	v_cndmask_b32_e64 v7, 0, v7, s[4:5]
	v_fmac_f32_e32 v7, s11, v5
	v_cndmask_b32_e64 v5, 0, v7, s[6:7]
	ds_write_b32 v26, v5
	v_max_f32_e32 v5, v6, v7
	v_cndmask_b32_e64 v21, v21, v5, s[6:7]
	s_branch .LBB284_8
.LBB284_59:
	s_or_b64 exec, exec, s[14:15]
.LBB284_60:
	s_or_b64 exec, exec, s[34:35]
	v_xor_b32_e32 v1, 32, v9
	v_cmp_lt_i32_e32 vcc, v1, v10
	v_cndmask_b32_e32 v1, v9, v1, vcc
	v_lshlrev_b32_e32 v2, 2, v1
	ds_bpermute_b32 v1, v2, v21
	v_xor_b32_e32 v4, 16, v9
	v_max_f32_e32 v3, v21, v21
	v_cmp_lt_i32_e32 vcc, v4, v10
	v_xor_b32_e32 v5, 8, v9
	s_waitcnt lgkmcnt(0)
	v_max_f32_e32 v1, v1, v1
	v_max_f32_e32 v1, v3, v1
	v_cndmask_b32_e32 v3, v9, v4, vcc
	v_lshlrev_b32_e32 v4, 2, v3
	ds_bpermute_b32 v3, v4, v1
	v_cmp_lt_i32_e32 vcc, v5, v10
	v_and_b32_e32 v18, 63, v0
	s_waitcnt lgkmcnt(0)
	v_max_f32_e32 v3, v3, v3
	v_max_f32_e32 v3, v1, v3
	v_cndmask_b32_e32 v1, v9, v5, vcc
	v_lshlrev_b32_e32 v6, 2, v1
	ds_bpermute_b32 v5, v6, v3
	v_cmp_eq_u32_e32 vcc, 0, v18
	v_lshlrev_b32_e32 v1, 2, v17
	s_and_saveexec_b64 s[4:5], vcc
	s_cbranch_execz .LBB284_62
; %bb.61:
	s_waitcnt lgkmcnt(0)
	v_max_f32_e32 v5, v5, v5
	v_max_f32_e32 v3, v3, v3
	v_max_f32_e32 v3, v3, v5
	ds_write_b32 v1, v3 offset:128
.LBB284_62:
	s_or_b64 exec, exec, s[4:5]
	v_cmp_gt_u32_e64 s[4:5], 2, v18
	v_mov_b32_e32 v7, 0xff7fffff
	v_lshlrev_b32_e32 v3, 2, v18
	s_waitcnt lgkmcnt(0)
	s_barrier
	s_and_saveexec_b64 s[6:7], s[4:5]
; %bb.63:
	ds_read_b32 v7, v3 offset:128
; %bb.64:
	s_or_b64 exec, exec, s[6:7]
	v_xor_b32_e32 v5, 1, v9
	v_cmp_lt_i32_e64 s[6:7], v5, v10
	v_cndmask_b32_e64 v5, v9, v5, s[6:7]
	v_lshlrev_b32_e32 v5, 2, v5
	s_waitcnt lgkmcnt(0)
	ds_bpermute_b32 v12, v5, v7
	v_max_f32_e32 v7, v7, v7
	v_lshlrev_b32_e32 v11, 2, v11
	s_lshl_b32 s6, s33, 3
	s_min_i32 s34, s6, s21
	s_waitcnt lgkmcnt(0)
	v_max_f32_e32 v12, v12, v12
	v_max_f32_e32 v7, v7, v12
	ds_bpermute_b32 v11, v11, v7
	v_cmp_gt_i32_e64 s[6:7], s34, v0
	v_mov_b32_e32 v7, 0
	s_and_saveexec_b64 s[14:15], s[6:7]
	s_cbranch_execz .LBB284_68
; %bb.65:
	v_mov_b32_e32 v7, 0x90
	v_lshl_add_u32 v12, v0, 2, v7
	v_mov_b32_e32 v7, 0
	s_mov_b64 s[16:17], 0
	v_mov_b32_e32 v13, v0
.LBB284_66:                             ; =>This Inner Loop Header: Depth=1
	ds_read_b32 v14, v12
	v_add_u32_e32 v13, 0x80, v13
	v_cmp_le_i32_e64 s[10:11], s34, v13
	s_or_b64 s[16:17], s[10:11], s[16:17]
	s_waitcnt lgkmcnt(0)
	v_sub_f32_e32 v14, v14, v11
	v_mul_f32_e32 v14, 0x3fb8aa3b, v14
	v_exp_f32_e32 v14, v14
	ds_write_b32 v12, v14
	v_add_f32_e32 v7, v7, v14
	v_add_u32_e32 v12, 0x200, v12
	s_andn2_b64 exec, exec, s[16:17]
	s_cbranch_execnz .LBB284_66
; %bb.67:
	s_or_b64 exec, exec, s[16:17]
.LBB284_68:
	s_or_b64 exec, exec, s[14:15]
	ds_bpermute_b32 v2, v2, v7
	s_waitcnt lgkmcnt(0)
	v_add_f32_e32 v2, v7, v2
	ds_bpermute_b32 v4, v4, v2
	s_waitcnt lgkmcnt(0)
	v_add_f32_e32 v2, v2, v4
	ds_bpermute_b32 v4, v6, v2
	v_xor_b32_e32 v6, 4, v9
	v_cmp_lt_i32_e64 s[10:11], v6, v10
	v_cndmask_b32_e64 v6, v9, v6, s[10:11]
	v_lshlrev_b32_e32 v6, 2, v6
	s_waitcnt lgkmcnt(0)
	v_add_f32_e32 v2, v2, v4
	ds_bpermute_b32 v4, v6, v2
	v_xor_b32_e32 v6, 2, v9
	v_cmp_lt_i32_e64 s[10:11], v6, v10
	v_cndmask_b32_e64 v6, v9, v6, s[10:11]
	s_waitcnt lgkmcnt(0)
	v_add_f32_e32 v2, v2, v4
	v_lshlrev_b32_e32 v4, 2, v6
	ds_bpermute_b32 v4, v4, v2
	s_waitcnt lgkmcnt(0)
	v_add_f32_e32 v2, v2, v4
	ds_bpermute_b32 v4, v5, v2
	s_waitcnt lgkmcnt(0)
	v_add_f32_e32 v2, v2, v4
	s_and_saveexec_b64 s[10:11], vcc
; %bb.69:
	ds_write_b32 v1, v2 offset:136
; %bb.70:
	s_or_b64 exec, exec, s[10:11]
	s_waitcnt lgkmcnt(0)
	s_barrier
	s_and_saveexec_b64 s[10:11], s[4:5]
; %bb.71:
	ds_read_b32 v2, v3 offset:136
; %bb.72:
	s_or_b64 exec, exec, s[10:11]
	s_waitcnt lgkmcnt(0)
	ds_bpermute_b32 v1, v5, v2
	v_lshlrev_b32_e32 v3, 2, v9
	s_waitcnt lgkmcnt(0)
	v_add_f32_e32 v1, v2, v1
	v_and_b32_e32 v2, 0xffffff00, v3
	ds_bpermute_b32 v1, v2, v1
	s_and_saveexec_b64 s[4:5], s[6:7]
	s_cbranch_execz .LBB284_75
; %bb.73:
	s_waitcnt lgkmcnt(0)
	v_add_f32_e32 v2, 0x358637bd, v1
	v_div_scale_f32 v1, s[6:7], v2, v2, 1.0
	v_div_scale_f32 v3, vcc, 1.0, v2, 1.0
	s_mov_b64 s[6:7], 0
	v_rcp_f32_e32 v4, v1
	v_fma_f32 v5, -v1, v4, 1.0
	v_fmac_f32_e32 v4, v5, v4
	v_mul_f32_e32 v5, v3, v4
	v_fma_f32 v6, -v1, v5, v3
	v_fmac_f32_e32 v5, v6, v4
	v_fma_f32 v1, -v1, v5, v3
	v_div_fmas_f32 v3, v1, v4, v5
	v_mov_b32_e32 v1, 0x90
	v_lshl_add_u32 v1, v0, 2, v1
	v_div_fixup_f32 v2, v3, v2, 1.0
	v_mov_b32_e32 v3, v0
.LBB284_74:                             ; =>This Inner Loop Header: Depth=1
	ds_read_b32 v4, v1
	v_add_u32_e32 v3, 0x80, v3
	v_cmp_le_i32_e32 vcc, s34, v3
	s_or_b64 s[6:7], vcc, s[6:7]
	s_waitcnt lgkmcnt(0)
	v_mul_f32_e32 v4, v2, v4
	ds_write_b32 v1, v4
	v_add_u32_e32 v1, 0x200, v1
	s_andn2_b64 exec, exec, s[6:7]
	s_cbranch_execnz .LBB284_74
.LBB284_75:
	s_or_b64 exec, exec, s[4:5]
	v_mov_b32_e32 v19, 0
	s_waitcnt lgkmcnt(0)
	s_barrier
	s_and_saveexec_b64 s[4:5], s[2:3]
	s_cbranch_execz .LBB284_129
; %bb.76:
	s_ashr_i32 s2, s12, 31
	s_add_u32 s3, s30, s12
	s_addc_u32 s2, s31, s2
	v_lshlrev_b32_e32 v1, 3, v18
	v_mov_b32_e32 v2, s2
	v_add_co_u32_e32 v11, vcc, s3, v1
	s_load_dword s17, s[18:19], 0x0
	s_add_i32 s18, s33, -1
	s_lshl_b64 s[2:3], s[28:29], 2
	v_mov_b32_e32 v1, 0x90
	s_add_u32 s2, s26, s2
	v_addc_co_u32_e32 v12, vcc, 0, v2, vcc
	v_lshl_add_u32 v21, v17, 5, v1
	v_and_b32_e32 v1, 60, v8
	s_addc_u32 s3, s27, s3
	s_mov_b32 s6, -1
	v_mov_b32_e32 v2, s3
	v_add_co_u32_e32 v13, vcc, s2, v1
	s_mov_b32 s16, s13
	v_mov_b32_e32 v10, 0
	s_mov_b32 s7, 0xffffff
	v_lshl_or_b32 v20, v17, 3, 7
	v_addc_co_u32_e32 v14, vcc, 0, v2, vcc
	s_mov_b64 s[10:11], 0
	s_movk_i32 s19, 0x7f
	s_movk_i32 s26, 0x80
	;; [unrolled: 1-line block ×3, first 2 shown]
	v_bfrev_b32_e32 v22, 60
	v_mov_b32_e32 v23, 0x7f800001
	v_bfrev_b32_e32 v24, 1
	v_mov_b32_e32 v19, 0
	s_branch .LBB284_78
.LBB284_77:                             ;   in Loop: Header=BB284_78 Depth=1
	s_or_b64 exec, exec, s[2:3]
	v_bfe_u32 v30, v5, 16, 1
	v_add3_u32 v30, v30, v5, s27
	v_or_b32_e32 v31, 0x400000, v5
	v_cmp_u_f32_e32 vcc, v5, v5
	v_cndmask_b32_e32 v5, v30, v31, vcc
	v_bfe_u32 v30, v6, 16, 1
	v_add3_u32 v30, v30, v6, s27
	v_or_b32_e32 v31, 0x400000, v6
	v_cmp_u_f32_e32 vcc, v6, v6
	v_cndmask_b32_e32 v6, v30, v31, vcc
	;; [unrolled: 5-line block ×6, first 2 shown]
	v_bfe_u32 v30, v3, 16, 1
	v_add3_u32 v30, v30, v3, s27
	v_or_b32_e32 v31, 0x400000, v3
	v_cmp_u_f32_e32 vcc, v3, v3
	v_and_b32_e32 v5, 0xffff0000, v5
	v_lshlrev_b32_e32 v29, 16, v29
	v_cndmask_b32_e32 v3, v30, v31, vcc
	v_bfe_u32 v30, v4, 16, 1
	v_mul_f32_e32 v5, v5, v29
	v_and_b32_e32 v6, 0xffff0000, v6
	v_lshlrev_b32_e32 v28, 16, v28
	v_add3_u32 v30, v30, v4, s27
	v_or_b32_e32 v31, 0x400000, v4
	v_cmp_u_f32_e32 vcc, v4, v4
	v_bfe_u32 v29, v5, 16, 1
	v_mul_f32_e32 v6, v6, v28
	v_and_b32_e32 v7, 0xffff0000, v7
	v_lshlrev_b32_e32 v27, 16, v27
	v_cndmask_b32_e32 v4, v30, v31, vcc
	v_add3_u32 v29, v29, v5, s27
	v_or_b32_e32 v30, 0x400000, v5
	v_cmp_u_f32_e32 vcc, v5, v5
	v_bfe_u32 v28, v6, 16, 1
	v_mul_f32_e32 v7, v7, v27
	v_and_b32_e32 v8, 0xffff0000, v8
	v_lshlrev_b32_e32 v16, 16, v16
	v_cndmask_b32_e32 v5, v29, v30, vcc
	;; [unrolled: 8-line block ×4, first 2 shown]
	v_add3_u32 v16, v16, v8, s27
	v_or_b32_e32 v27, 0x400000, v8
	v_cmp_u_f32_e32 vcc, v8, v8
	v_bfe_u32 v15, v1, 16, 1
	v_mul_f32_e32 v2, v2, v9
	v_cndmask_b32_e32 v8, v16, v27, vcc
	v_add3_u32 v15, v15, v1, s27
	v_or_b32_e32 v16, 0x400000, v1
	v_cmp_u_f32_e32 vcc, v1, v1
	v_bfe_u32 v9, v2, 16, 1
	v_cndmask_b32_e32 v1, v15, v16, vcc
	v_add3_u32 v9, v9, v2, s27
	v_or_b32_e32 v15, 0x400000, v2
	v_cmp_u_f32_e32 vcc, v2, v2
	v_cndmask_b32_e32 v2, v9, v15, vcc
	v_and_b32_e32 v3, 0xffff0000, v3
	v_lshlrev_b32_e32 v9, 16, v26
	v_mul_f32_e32 v3, v3, v9
	v_bfe_u32 v9, v3, 16, 1
	v_add3_u32 v9, v9, v3, s27
	v_or_b32_e32 v15, 0x400000, v3
	v_cmp_u_f32_e32 vcc, v3, v3
	v_cndmask_b32_e32 v3, v9, v15, vcc
	v_and_b32_e32 v4, 0xffff0000, v4
	v_lshlrev_b32_e32 v9, 16, v25
	v_mul_f32_e32 v4, v4, v9
	v_bfe_u32 v9, v4, 16, 1
	v_and_b32_e32 v6, 0xffff0000, v6
	v_and_b32_e32 v5, 0xffff0000, v5
	v_add3_u32 v9, v9, v4, s27
	v_or_b32_e32 v15, 0x400000, v4
	v_cmp_u_f32_e32 vcc, v4, v4
	v_add_f32_e32 v5, v5, v6
	v_and_b32_e32 v6, 0xffff0000, v8
	v_and_b32_e32 v7, 0xffff0000, v7
	v_cndmask_b32_e32 v4, v9, v15, vcc
	v_add_f32_e32 v6, v7, v6
	v_and_b32_e32 v2, 0xffff0000, v2
	v_and_b32_e32 v1, 0xffff0000, v1
	v_add_f32_e32 v5, v6, v5
	v_add_f32_e32 v1, v1, v2
	v_and_b32_e32 v2, 0xffff0000, v4
	v_and_b32_e32 v3, 0xffff0000, v3
	v_add_u32_e32 v17, 2, v17
	v_add_f32_e32 v1, v1, v5
	v_add_f32_e32 v2, v3, v2
	v_cmp_le_i32_e32 vcc, s33, v17
	v_add_f32_e32 v1, v2, v1
	s_or_b64 s[10:11], vcc, s[10:11]
	v_add_co_u32_e32 v13, vcc, 8, v13
	v_add_f32_e32 v19, v19, v1
	v_add_u32_e32 v20, 16, v20
	v_add_u32_e32 v21, 64, v21
	v_addc_co_u32_e32 v14, vcc, 0, v14, vcc
	s_andn2_b64 exec, exec, s[10:11]
	s_cbranch_execz .LBB284_128
.LBB284_78:                             ; =>This Inner Loop Header: Depth=1
	global_load_dword v1, v[13:14], off
	s_waitcnt vmcnt(0)
	v_mad_i64_i32 v[1:2], s[2:3], v1, s16, v[11:12]
	s_mov_b64 s[2:3], 0
	global_load_dwordx2 v[15:16], v[1:2], off
	ds_read2_b64 v[5:8], v21 offset1:1
	ds_read2_b64 v[1:4], v21 offset0:2 offset1:3
	s_waitcnt vmcnt(0)
	v_cmp_gt_i16_sdwa s[12:13], v15, s19 src0_sel:BYTE_0 src1_sel:DWORD
	s_and_saveexec_b64 s[14:15], s[12:13]
	s_xor_b64 s[12:13], exec, s[14:15]
	s_cbranch_execnz .LBB284_104
; %bb.79:                               ;   in Loop: Header=BB284_78 Depth=1
	s_or_saveexec_b64 s[12:13], s[12:13]
	v_bfrev_b32_e32 v25, 1
	s_xor_b64 exec, exec, s[12:13]
	s_cbranch_execnz .LBB284_107
.LBB284_80:                             ;   in Loop: Header=BB284_78 Depth=1
	s_or_b64 exec, exec, s[12:13]
	s_and_saveexec_b64 s[12:13], s[2:3]
	s_cbranch_execz .LBB284_82
.LBB284_81:                             ;   in Loop: Header=BB284_78 Depth=1
	v_and_b32_e32 v25, 7, v15
	v_ffbh_u32_e32 v25, v25
	v_and_b32_e32 v27, 0x7f, v15
	v_min_u32_e32 v25, 32, v25
	v_sub_u32_e32 v26, 29, v25
	v_cmp_gt_u32_e32 vcc, 8, v27
	v_subrev_u32_e32 v25, 28, v25
	v_bfe_u32 v28, v15, 3, 4
	v_cndmask_b32_e32 v25, 0, v25, vcc
	v_cndmask_b32_e32 v28, v28, v26, vcc
	v_lshlrev_b64 v[25:26], v25, v[15:16]
	v_lshlrev_b32_e32 v9, 24, v15
	v_lshlrev_b32_e32 v25, 20, v25
	v_and_b32_e32 v9, 0x80000000, v9
	v_lshl_add_u32 v26, v28, 23, v22
	v_and_b32_e32 v25, 0x700000, v25
	v_or3_b32 v9, v9, v26, v25
	v_cmp_ne_u32_e32 vcc, s19, v27
	v_cndmask_b32_e32 v25, v23, v9, vcc
.LBB284_82:                             ;   in Loop: Header=BB284_78 Depth=1
	s_or_b64 exec, exec, s[12:13]
	v_lshrrev_b16_e32 v9, 8, v15
	v_cmp_lt_i16_e32 vcc, s19, v9
	s_mov_b64 s[2:3], 0
	s_and_saveexec_b64 s[12:13], vcc
	s_xor_b64 s[12:13], exec, s[12:13]
	s_cbranch_execnz .LBB284_108
; %bb.83:                               ;   in Loop: Header=BB284_78 Depth=1
	s_or_saveexec_b64 s[12:13], s[12:13]
	v_bfrev_b32_e32 v26, 1
	s_xor_b64 exec, exec, s[12:13]
	s_cbranch_execnz .LBB284_111
.LBB284_84:                             ;   in Loop: Header=BB284_78 Depth=1
	s_or_b64 exec, exec, s[12:13]
	s_and_saveexec_b64 s[12:13], s[2:3]
	s_cbranch_execz .LBB284_86
.LBB284_85:                             ;   in Loop: Header=BB284_78 Depth=1
	v_and_b32_e32 v28, 7, v9
	v_ffbh_u32_e32 v26, v28
	v_min_u32_e32 v31, 32, v26
	v_subrev_u32_e32 v26, 28, v31
	v_lshlrev_b64 v[26:27], v26, v[9:10]
	v_and_b32_e32 v29, 0x7f, v9
	v_bfe_u32 v30, v9, 3, 4
	v_sub_u32_e32 v27, 29, v31
	v_and_b32_e32 v26, 7, v26
	v_cmp_gt_u32_e32 vcc, 8, v29
	v_cndmask_b32_e32 v27, v30, v27, vcc
	v_cndmask_b32_e32 v26, v28, v26, vcc
	v_lshlrev_b32_e32 v9, 24, v9
	v_lshlrev_b32_e32 v26, 20, v26
	v_and_b32_e32 v9, 0x80000000, v9
	v_lshl_add_u32 v27, v27, 23, v22
	v_or3_b32 v9, v9, v27, v26
	v_cmp_ne_u32_e32 vcc, s19, v29
	v_cndmask_b32_e32 v26, v23, v9, vcc
.LBB284_86:                             ;   in Loop: Header=BB284_78 Depth=1
	s_or_b64 exec, exec, s[12:13]
	v_lshrrev_b32_e32 v9, 16, v15
	v_cmp_gt_i16_sdwa s[12:13], v9, s19 src0_sel:BYTE_0 src1_sel:DWORD
	s_mov_b64 s[2:3], 0
	s_and_saveexec_b64 s[14:15], s[12:13]
	s_xor_b64 s[12:13], exec, s[14:15]
	s_cbranch_execnz .LBB284_112
; %bb.87:                               ;   in Loop: Header=BB284_78 Depth=1
	s_or_saveexec_b64 s[12:13], s[12:13]
	v_bfrev_b32_e32 v27, 1
	s_xor_b64 exec, exec, s[12:13]
	s_cbranch_execnz .LBB284_115
.LBB284_88:                             ;   in Loop: Header=BB284_78 Depth=1
	s_or_b64 exec, exec, s[12:13]
	s_and_saveexec_b64 s[12:13], s[2:3]
	s_cbranch_execz .LBB284_90
.LBB284_89:                             ;   in Loop: Header=BB284_78 Depth=1
	v_and_b32_e32 v29, 7, v9
	v_ffbh_u32_e32 v27, v29
	v_min_u32_e32 v32, 32, v27
	v_subrev_u32_e32 v27, 28, v32
	v_lshlrev_b64 v[27:28], v27, v[9:10]
	v_and_b32_e32 v30, 0x7f, v9
	v_bfe_u32 v31, v9, 3, 4
	v_sub_u32_e32 v28, 29, v32
	v_and_b32_e32 v27, 7, v27
	v_cmp_gt_u32_e32 vcc, 8, v30
	v_cndmask_b32_e32 v28, v31, v28, vcc
	v_cndmask_b32_e32 v27, v29, v27, vcc
	v_lshlrev_b32_e32 v9, 24, v9
	v_lshlrev_b32_e32 v27, 20, v27
	v_and_b32_e32 v9, 0x80000000, v9
	v_lshl_add_u32 v28, v28, 23, v22
	v_or3_b32 v9, v9, v28, v27
	v_cmp_ne_u32_e32 vcc, s19, v30
	v_cndmask_b32_e32 v27, v23, v9, vcc
.LBB284_90:                             ;   in Loop: Header=BB284_78 Depth=1
	s_or_b64 exec, exec, s[12:13]
	v_cmp_gt_i16_sdwa s[12:13], v16, s19 src0_sel:BYTE_0 src1_sel:DWORD
	s_mov_b64 s[2:3], 0
	s_and_saveexec_b64 s[14:15], s[12:13]
	s_xor_b64 s[12:13], exec, s[14:15]
	s_cbranch_execnz .LBB284_116
; %bb.91:                               ;   in Loop: Header=BB284_78 Depth=1
	s_or_saveexec_b64 s[12:13], s[12:13]
	v_bfrev_b32_e32 v28, 1
	s_xor_b64 exec, exec, s[12:13]
	s_cbranch_execnz .LBB284_119
.LBB284_92:                             ;   in Loop: Header=BB284_78 Depth=1
	s_or_b64 exec, exec, s[12:13]
	v_mov_b32_e32 v9, v16
	s_and_saveexec_b64 s[12:13], s[2:3]
	s_cbranch_execz .LBB284_94
.LBB284_93:                             ;   in Loop: Header=BB284_78 Depth=1
	v_and_b32_e32 v28, 7, v16
	v_ffbh_u32_e32 v28, v28
	v_and_b32_e32 v30, 0x7f, v16
	v_min_u32_e32 v28, 32, v28
	v_bfe_u32 v29, v16, 3, 4
	v_subrev_u32_e32 v31, 28, v28
	v_sub_u32_e32 v28, 29, v28
	v_cmp_gt_u32_e32 vcc, 8, v30
	v_cndmask_b32_e32 v32, v29, v28, vcc
	v_cndmask_b32_e32 v28, 0, v31, vcc
	v_lshlrev_b64 v[28:29], v28, v[9:10]
	v_lshlrev_b32_e32 v29, 24, v9
	v_lshlrev_b32_e32 v28, 20, v28
	v_and_b32_e32 v28, 0x700000, v28
	v_and_b32_e32 v29, 0x80000000, v29
	v_lshl_add_u32 v31, v32, 23, v22
	v_or3_b32 v28, v29, v31, v28
	v_cmp_ne_u32_e32 vcc, s19, v30
	v_cndmask_b32_e32 v28, v23, v28, vcc
.LBB284_94:                             ;   in Loop: Header=BB284_78 Depth=1
	s_or_b64 exec, exec, s[12:13]
	v_lshrrev_b16_e32 v9, 8, v9
	v_cmp_lt_i16_e32 vcc, s19, v9
	s_mov_b64 s[2:3], 0
	s_and_saveexec_b64 s[12:13], vcc
	s_xor_b64 s[12:13], exec, s[12:13]
	s_cbranch_execnz .LBB284_120
; %bb.95:                               ;   in Loop: Header=BB284_78 Depth=1
	s_or_saveexec_b64 s[12:13], s[12:13]
	v_bfrev_b32_e32 v29, 1
	s_xor_b64 exec, exec, s[12:13]
	s_cbranch_execnz .LBB284_123
.LBB284_96:                             ;   in Loop: Header=BB284_78 Depth=1
	s_or_b64 exec, exec, s[12:13]
	s_and_saveexec_b64 s[12:13], s[2:3]
	s_cbranch_execz .LBB284_98
.LBB284_97:                             ;   in Loop: Header=BB284_78 Depth=1
	v_and_b32_e32 v31, 7, v9
	v_ffbh_u32_e32 v29, v31
	v_min_u32_e32 v34, 32, v29
	v_subrev_u32_e32 v29, 28, v34
	v_lshlrev_b64 v[29:30], v29, v[9:10]
	v_and_b32_e32 v32, 0x7f, v9
	v_bfe_u32 v33, v9, 3, 4
	v_sub_u32_e32 v30, 29, v34
	v_and_b32_e32 v29, 7, v29
	v_cmp_gt_u32_e32 vcc, 8, v32
	v_cndmask_b32_e32 v30, v33, v30, vcc
	v_cndmask_b32_e32 v29, v31, v29, vcc
	v_lshlrev_b32_e32 v9, 24, v9
	v_lshlrev_b32_e32 v29, 20, v29
	v_and_b32_e32 v9, 0x80000000, v9
	v_lshl_add_u32 v30, v30, 23, v22
	v_or3_b32 v9, v9, v30, v29
	v_cmp_ne_u32_e32 vcc, s19, v32
	v_cndmask_b32_e32 v29, v23, v9, vcc
.LBB284_98:                             ;   in Loop: Header=BB284_78 Depth=1
	s_or_b64 exec, exec, s[12:13]
	v_lshrrev_b32_e32 v9, 16, v16
	v_cmp_gt_i16_sdwa s[12:13], v9, s19 src0_sel:BYTE_0 src1_sel:DWORD
	s_mov_b64 s[2:3], 0
	s_and_saveexec_b64 s[14:15], s[12:13]
	s_xor_b64 s[12:13], exec, s[14:15]
	s_cbranch_execnz .LBB284_124
; %bb.99:                               ;   in Loop: Header=BB284_78 Depth=1
	s_or_saveexec_b64 s[12:13], s[12:13]
	v_bfrev_b32_e32 v30, 1
	s_xor_b64 exec, exec, s[12:13]
	s_cbranch_execnz .LBB284_127
.LBB284_100:                            ;   in Loop: Header=BB284_78 Depth=1
	s_or_b64 exec, exec, s[12:13]
	s_and_saveexec_b64 s[12:13], s[2:3]
	s_cbranch_execz .LBB284_102
.LBB284_101:                            ;   in Loop: Header=BB284_78 Depth=1
	v_and_b32_e32 v32, 7, v9
	v_ffbh_u32_e32 v30, v32
	v_min_u32_e32 v35, 32, v30
	v_subrev_u32_e32 v30, 28, v35
	v_lshlrev_b64 v[30:31], v30, v[9:10]
	v_and_b32_e32 v33, 0x7f, v9
	v_bfe_u32 v34, v9, 3, 4
	v_sub_u32_e32 v31, 29, v35
	v_and_b32_e32 v30, 7, v30
	v_cmp_gt_u32_e32 vcc, 8, v33
	v_cndmask_b32_e32 v31, v34, v31, vcc
	v_cndmask_b32_e32 v30, v32, v30, vcc
	v_lshlrev_b32_e32 v9, 24, v9
	v_lshlrev_b32_e32 v30, 20, v30
	v_and_b32_e32 v9, 0x80000000, v9
	v_lshl_add_u32 v31, v31, 23, v22
	v_or3_b32 v9, v9, v31, v30
	v_cmp_ne_u32_e32 vcc, s19, v33
	v_cndmask_b32_e32 v30, v23, v9, vcc
.LBB284_102:                            ;   in Loop: Header=BB284_78 Depth=1
	s_or_b64 exec, exec, s[12:13]
	v_bfe_u32 v33, v15, 24, 3
	v_ffbh_u32_e32 v31, v33
	v_min_u32_e32 v36, 32, v31
	v_lshrrev_b32_e32 v9, 24, v15
	v_subrev_u32_e32 v31, 28, v36
	v_lshlrev_b64 v[31:32], v31, v[9:10]
	v_bfe_u32 v34, v15, 24, 7
	v_bfe_u32 v35, v9, 3, 4
	v_sub_u32_e32 v32, 29, v36
	v_and_b32_e32 v31, 7, v31
	v_cmp_gt_u32_e32 vcc, 8, v34
	v_cndmask_b32_e32 v32, v35, v32, vcc
	v_cndmask_b32_e32 v31, v33, v31, vcc
	v_lshlrev_b32_e32 v31, 20, v31
	v_and_b32_e32 v33, 0x80000000, v15
	v_lshl_add_u32 v32, v32, 23, v22
	v_or3_b32 v31, v33, v32, v31
	v_cmp_ne_u32_e32 vcc, s19, v34
	v_cndmask_b32_e32 v31, v23, v31, vcc
	v_cmp_ne_u32_e32 vcc, s26, v9
	v_bfe_u32 v34, v16, 24, 3
	v_cndmask_b32_e32 v9, v24, v31, vcc
	v_ffbh_u32_e32 v31, v34
	v_cmp_lt_u32_e32 vcc, s7, v15
	v_min_u32_e32 v37, 32, v31
	v_cndmask_b32_e32 v33, 0, v9, vcc
	v_lshrrev_b32_e32 v9, 24, v16
	v_subrev_u32_e32 v31, 28, v37
	v_lshlrev_b64 v[31:32], v31, v[9:10]
	v_bfe_u32 v35, v16, 24, 7
	v_bfe_u32 v36, v9, 3, 4
	v_sub_u32_e32 v32, 29, v37
	v_and_b32_e32 v31, 7, v31
	v_cmp_gt_u32_e32 vcc, 8, v35
	v_cndmask_b32_e32 v32, v36, v32, vcc
	v_cndmask_b32_e32 v31, v34, v31, vcc
	v_lshlrev_b32_e32 v31, 20, v31
	v_and_b32_e32 v34, 0x80000000, v16
	v_lshl_add_u32 v32, v32, 23, v22
	v_or3_b32 v31, v34, v32, v31
	v_cmp_ne_u32_e64 s[2:3], s19, v35
	v_cndmask_b32_e64 v31, v23, v31, s[2:3]
	v_cmp_ne_u32_e64 s[2:3], s26, v9
	v_cndmask_b32_e64 v9, v24, v31, s[2:3]
	v_cmp_lt_u64_e64 s[2:3], s[6:7], v[15:16]
	s_waitcnt lgkmcnt(0)
	v_mul_f32_e32 v27, s17, v27
	v_cndmask_b32_e64 v31, 0, v9, s[2:3]
	v_mul_f32_e32 v9, s17, v29
	v_bfe_u32 v15, v9, 16, 1
	v_add3_u32 v15, v15, v9, s27
	v_or_b32_e32 v16, 0x400000, v9
	v_cmp_u_f32_e64 s[2:3], v9, v9
	v_cndmask_b32_e64 v9, v15, v16, s[2:3]
	v_mul_f32_e32 v15, s17, v28
	v_bfe_u32 v16, v15, 16, 1
	v_add3_u32 v16, v16, v15, s27
	v_or_b32_e32 v28, 0x400000, v15
	v_cmp_u_f32_e64 s[2:3], v15, v15
	;; [unrolled: 6-line block ×3, first 2 shown]
	v_cndmask_b32_e64 v16, v28, v29, s[2:3]
	v_bfe_u32 v28, v27, 16, 1
	v_add3_u32 v28, v28, v27, s27
	v_or_b32_e32 v29, 0x400000, v27
	v_cmp_u_f32_e64 s[2:3], v27, v27
	v_mul_f32_e32 v26, s17, v26
	v_cndmask_b32_e64 v27, v28, v29, s[2:3]
	v_bfe_u32 v28, v26, 16, 1
	v_add3_u32 v28, v28, v26, s27
	v_or_b32_e32 v29, 0x400000, v26
	v_cmp_u_f32_e64 s[2:3], v26, v26
	v_cndmask_b32_e64 v26, v28, v29, s[2:3]
	v_mul_f32_e32 v25, s17, v25
	v_lshrrev_b32_e32 v28, 16, v26
	v_bfe_u32 v26, v25, 16, 1
	v_add3_u32 v26, v26, v25, s27
	v_or_b32_e32 v29, 0x400000, v25
	v_cmp_u_f32_e64 s[2:3], v25, v25
	v_cndmask_b32_e64 v25, v26, v29, s[2:3]
	v_lshrrev_b32_e32 v29, 16, v25
	v_mul_f32_e32 v25, s17, v30
	v_bfe_u32 v26, v25, 16, 1
	v_add3_u32 v26, v26, v25, s27
	v_or_b32_e32 v30, 0x400000, v25
	v_cmp_u_f32_e64 s[2:3], v25, v25
	v_cndmask_b32_e64 v25, v26, v30, s[2:3]
	v_lshrrev_b32_e32 v26, 16, v25
	v_mul_f32_e32 v25, s17, v31
	v_bfe_u32 v30, v25, 16, 1
	v_add3_u32 v30, v30, v25, s27
	v_or_b32_e32 v31, 0x400000, v25
	v_cmp_u_f32_e64 s[2:3], v25, v25
	v_cndmask_b32_e64 v25, v30, v31, s[2:3]
	v_cmp_eq_u32_e32 vcc, s18, v17
	v_lshrrev_b32_e32 v9, 16, v9
	v_lshrrev_b32_e32 v15, 16, v15
	;; [unrolled: 1-line block ×5, first 2 shown]
	s_and_saveexec_b64 s[2:3], vcc
	s_cbranch_execz .LBB284_77
; %bb.103:                              ;   in Loop: Header=BB284_78 Depth=1
	v_add_u32_e32 v30, -7, v20
	v_cmp_gt_i32_e32 vcc, s21, v30
	v_add_u32_e32 v30, -6, v20
	v_cndmask_b32_e32 v29, 0, v29, vcc
	v_cmp_gt_i32_e32 vcc, s21, v30
	v_add_u32_e32 v30, -5, v20
	v_cndmask_b32_e32 v28, 0, v28, vcc
	;; [unrolled: 3-line block ×6, first 2 shown]
	v_cmp_gt_i32_e32 vcc, s21, v30
	v_cndmask_b32_e32 v26, 0, v26, vcc
	v_cmp_gt_i32_e32 vcc, s21, v20
	v_cndmask_b32_e32 v25, 0, v25, vcc
	s_branch .LBB284_77
.LBB284_104:                            ;   in Loop: Header=BB284_78 Depth=1
	v_cmp_eq_u16_sdwa s[28:29], v15, s26 src0_sel:BYTE_0 src1_sel:DWORD
	s_mov_b64 s[2:3], -1
	s_and_saveexec_b64 s[14:15], s[28:29]
; %bb.105:                              ;   in Loop: Header=BB284_78 Depth=1
	s_xor_b64 s[2:3], exec, -1
; %bb.106:                              ;   in Loop: Header=BB284_78 Depth=1
	s_or_b64 exec, exec, s[14:15]
	s_and_b64 s[2:3], s[2:3], exec
	s_or_saveexec_b64 s[12:13], s[12:13]
	v_bfrev_b32_e32 v25, 1
	s_xor_b64 exec, exec, s[12:13]
	s_cbranch_execz .LBB284_80
.LBB284_107:                            ;   in Loop: Header=BB284_78 Depth=1
	v_cmp_ne_u16_sdwa s[14:15], v15, v10 src0_sel:BYTE_0 src1_sel:DWORD
	s_andn2_b64 s[2:3], s[2:3], exec
	s_and_b64 s[14:15], s[14:15], exec
	v_mov_b32_e32 v25, 0
	s_or_b64 s[2:3], s[2:3], s[14:15]
	s_or_b64 exec, exec, s[12:13]
	s_and_saveexec_b64 s[12:13], s[2:3]
	s_cbranch_execnz .LBB284_81
	s_branch .LBB284_82
.LBB284_108:                            ;   in Loop: Header=BB284_78 Depth=1
	v_cmp_eq_u16_e32 vcc, s26, v9
	s_mov_b64 s[2:3], -1
	s_and_saveexec_b64 s[14:15], vcc
; %bb.109:                              ;   in Loop: Header=BB284_78 Depth=1
	s_xor_b64 s[2:3], exec, -1
; %bb.110:                              ;   in Loop: Header=BB284_78 Depth=1
	s_or_b64 exec, exec, s[14:15]
	s_and_b64 s[2:3], s[2:3], exec
	s_or_saveexec_b64 s[12:13], s[12:13]
	v_bfrev_b32_e32 v26, 1
	s_xor_b64 exec, exec, s[12:13]
	s_cbranch_execz .LBB284_84
.LBB284_111:                            ;   in Loop: Header=BB284_78 Depth=1
	v_cmp_ne_u16_e32 vcc, 0, v9
	s_andn2_b64 s[2:3], s[2:3], exec
	s_and_b64 s[14:15], vcc, exec
	v_mov_b32_e32 v26, 0
	s_or_b64 s[2:3], s[2:3], s[14:15]
	s_or_b64 exec, exec, s[12:13]
	s_and_saveexec_b64 s[12:13], s[2:3]
	s_cbranch_execnz .LBB284_85
	s_branch .LBB284_86
.LBB284_112:                            ;   in Loop: Header=BB284_78 Depth=1
	v_cmp_eq_u16_sdwa s[28:29], v9, s26 src0_sel:BYTE_0 src1_sel:DWORD
	s_mov_b64 s[2:3], -1
	s_and_saveexec_b64 s[14:15], s[28:29]
; %bb.113:                              ;   in Loop: Header=BB284_78 Depth=1
	s_xor_b64 s[2:3], exec, -1
; %bb.114:                              ;   in Loop: Header=BB284_78 Depth=1
	s_or_b64 exec, exec, s[14:15]
	s_and_b64 s[2:3], s[2:3], exec
	s_or_saveexec_b64 s[12:13], s[12:13]
	v_bfrev_b32_e32 v27, 1
	s_xor_b64 exec, exec, s[12:13]
	s_cbranch_execz .LBB284_88
.LBB284_115:                            ;   in Loop: Header=BB284_78 Depth=1
	v_cmp_ne_u16_sdwa s[14:15], v9, v10 src0_sel:BYTE_0 src1_sel:DWORD
	s_andn2_b64 s[2:3], s[2:3], exec
	s_and_b64 s[14:15], s[14:15], exec
	v_mov_b32_e32 v27, 0
	s_or_b64 s[2:3], s[2:3], s[14:15]
	s_or_b64 exec, exec, s[12:13]
	s_and_saveexec_b64 s[12:13], s[2:3]
	s_cbranch_execnz .LBB284_89
	s_branch .LBB284_90
.LBB284_116:                            ;   in Loop: Header=BB284_78 Depth=1
	v_cmp_eq_u16_sdwa s[28:29], v16, s26 src0_sel:BYTE_0 src1_sel:DWORD
	s_mov_b64 s[2:3], -1
	s_and_saveexec_b64 s[14:15], s[28:29]
; %bb.117:                              ;   in Loop: Header=BB284_78 Depth=1
	s_xor_b64 s[2:3], exec, -1
; %bb.118:                              ;   in Loop: Header=BB284_78 Depth=1
	s_or_b64 exec, exec, s[14:15]
	s_and_b64 s[2:3], s[2:3], exec
	s_or_saveexec_b64 s[12:13], s[12:13]
	v_bfrev_b32_e32 v28, 1
	s_xor_b64 exec, exec, s[12:13]
	s_cbranch_execz .LBB284_92
.LBB284_119:                            ;   in Loop: Header=BB284_78 Depth=1
	v_cmp_ne_u16_sdwa s[14:15], v16, v10 src0_sel:BYTE_0 src1_sel:DWORD
	s_andn2_b64 s[2:3], s[2:3], exec
	s_and_b64 s[14:15], s[14:15], exec
	v_mov_b32_e32 v28, 0
	s_or_b64 s[2:3], s[2:3], s[14:15]
	s_or_b64 exec, exec, s[12:13]
	v_mov_b32_e32 v9, v16
	s_and_saveexec_b64 s[12:13], s[2:3]
	s_cbranch_execnz .LBB284_93
	s_branch .LBB284_94
.LBB284_120:                            ;   in Loop: Header=BB284_78 Depth=1
	v_cmp_eq_u16_e32 vcc, s26, v9
	s_mov_b64 s[2:3], -1
	s_and_saveexec_b64 s[14:15], vcc
; %bb.121:                              ;   in Loop: Header=BB284_78 Depth=1
	s_xor_b64 s[2:3], exec, -1
; %bb.122:                              ;   in Loop: Header=BB284_78 Depth=1
	s_or_b64 exec, exec, s[14:15]
	s_and_b64 s[2:3], s[2:3], exec
	s_or_saveexec_b64 s[12:13], s[12:13]
	v_bfrev_b32_e32 v29, 1
	s_xor_b64 exec, exec, s[12:13]
	s_cbranch_execz .LBB284_96
.LBB284_123:                            ;   in Loop: Header=BB284_78 Depth=1
	v_cmp_ne_u16_e32 vcc, 0, v9
	s_andn2_b64 s[2:3], s[2:3], exec
	s_and_b64 s[14:15], vcc, exec
	v_mov_b32_e32 v29, 0
	s_or_b64 s[2:3], s[2:3], s[14:15]
	s_or_b64 exec, exec, s[12:13]
	s_and_saveexec_b64 s[12:13], s[2:3]
	s_cbranch_execnz .LBB284_97
	s_branch .LBB284_98
.LBB284_124:                            ;   in Loop: Header=BB284_78 Depth=1
	v_cmp_eq_u16_sdwa s[28:29], v9, s26 src0_sel:BYTE_0 src1_sel:DWORD
	s_mov_b64 s[2:3], -1
	s_and_saveexec_b64 s[14:15], s[28:29]
; %bb.125:                              ;   in Loop: Header=BB284_78 Depth=1
	s_xor_b64 s[2:3], exec, -1
; %bb.126:                              ;   in Loop: Header=BB284_78 Depth=1
	s_or_b64 exec, exec, s[14:15]
	s_and_b64 s[2:3], s[2:3], exec
	s_or_saveexec_b64 s[12:13], s[12:13]
	v_bfrev_b32_e32 v30, 1
	s_xor_b64 exec, exec, s[12:13]
	s_cbranch_execz .LBB284_100
.LBB284_127:                            ;   in Loop: Header=BB284_78 Depth=1
	v_cmp_ne_u16_sdwa s[14:15], v9, v10 src0_sel:BYTE_0 src1_sel:DWORD
	s_andn2_b64 s[2:3], s[2:3], exec
	s_and_b64 s[14:15], s[14:15], exec
	v_mov_b32_e32 v30, 0
	s_or_b64 s[2:3], s[2:3], s[14:15]
	s_or_b64 exec, exec, s[12:13]
	s_and_saveexec_b64 s[12:13], s[2:3]
	s_cbranch_execnz .LBB284_101
	s_branch .LBB284_102
.LBB284_128:
	s_or_b64 exec, exec, s[10:11]
.LBB284_129:
	s_or_b64 exec, exec, s[4:5]
	v_and_b32_e32 v0, 0x3c0, v0
	v_cmp_eq_u32_e32 vcc, 64, v0
	v_mov_b32_e32 v0, 0x90
	v_lshl_add_u32 v0, v18, 2, v0
	s_barrier
	s_and_saveexec_b64 s[2:3], vcc
; %bb.130:
	ds_write_b32 v0, v19
; %bb.131:
	s_or_b64 exec, exec, s[2:3]
	s_waitcnt lgkmcnt(0)
	s_barrier
	s_and_saveexec_b64 s[2:3], s[0:1]
	s_cbranch_execz .LBB284_133
; %bb.132:
	ds_read_b32 v0, v0
	s_waitcnt lgkmcnt(0)
	v_add_f32_e32 v19, v19, v0
.LBB284_133:
	s_or_b64 exec, exec, s[2:3]
	s_barrier
	s_and_saveexec_b64 s[2:3], s[0:1]
	s_cbranch_execz .LBB284_135
; %bb.134:
	s_mul_i32 s0, s20, s23
	s_mul_i32 s0, s0, s9
	s_lshl_b32 s0, s0, 6
	s_ashr_i32 s1, s0, 31
	s_lshl_b64 s[0:1], s[0:1], 1
	s_add_u32 s2, s24, s0
	s_mul_i32 s0, s23, s22
	s_addc_u32 s3, s25, s1
	s_ashr_i32 s1, s0, 31
	s_lshl_b64 s[0:1], s[0:1], 1
	s_add_u32 s2, s2, s0
	s_addc_u32 s3, s3, s1
	s_lshl_b32 s0, s8, 6
	s_ashr_i32 s1, s0, 31
	s_lshl_b64 s[0:1], s[0:1], 1
	s_add_u32 s0, s2, s0
	v_bfe_u32 v1, v19, 16, 1
	s_movk_i32 s2, 0x7fff
	v_add3_u32 v1, v1, v19, s2
	v_or_b32_e32 v2, 0x400000, v19
	v_cmp_u_f32_e32 vcc, v19, v19
	s_addc_u32 s1, s3, s1
	v_lshlrev_b32_e32 v0, 1, v18
	v_cndmask_b32_e32 v1, v1, v2, vcc
	global_store_short_d16_hi v0, v1, s[0:1]
.LBB284_135:
	s_endpgm
	.section	.rodata,"a",@progbits
	.p2align	6, 0x0
	.amdhsa_kernel _ZN4vllm25paged_attention_v1_kernelI14__hip_bfloat16hLi64ELi8ELi128ELNS_18Fp8KVCacheDataTypeE1ELb0EEEvPT_PKS3_PKT0_S9_ifPKiSB_iPKfiiiSD_SD_iiiii
		.amdhsa_group_segment_fixed_size 144
		.amdhsa_private_segment_fixed_size 0
		.amdhsa_kernarg_size 384
		.amdhsa_user_sgpr_count 6
		.amdhsa_user_sgpr_private_segment_buffer 1
		.amdhsa_user_sgpr_dispatch_ptr 0
		.amdhsa_user_sgpr_queue_ptr 0
		.amdhsa_user_sgpr_kernarg_segment_ptr 1
		.amdhsa_user_sgpr_dispatch_id 0
		.amdhsa_user_sgpr_flat_scratch_init 0
		.amdhsa_user_sgpr_private_segment_size 0
		.amdhsa_uses_dynamic_stack 0
		.amdhsa_system_sgpr_private_segment_wavefront_offset 0
		.amdhsa_system_sgpr_workgroup_id_x 1
		.amdhsa_system_sgpr_workgroup_id_y 1
		.amdhsa_system_sgpr_workgroup_id_z 1
		.amdhsa_system_sgpr_workgroup_info 0
		.amdhsa_system_vgpr_workitem_id 0
		.amdhsa_next_free_vgpr 42
		.amdhsa_next_free_sgpr 46
		.amdhsa_reserve_vcc 1
		.amdhsa_reserve_flat_scratch 0
		.amdhsa_float_round_mode_32 0
		.amdhsa_float_round_mode_16_64 0
		.amdhsa_float_denorm_mode_32 3
		.amdhsa_float_denorm_mode_16_64 3
		.amdhsa_dx10_clamp 1
		.amdhsa_ieee_mode 1
		.amdhsa_fp16_overflow 0
		.amdhsa_exception_fp_ieee_invalid_op 0
		.amdhsa_exception_fp_denorm_src 0
		.amdhsa_exception_fp_ieee_div_zero 0
		.amdhsa_exception_fp_ieee_overflow 0
		.amdhsa_exception_fp_ieee_underflow 0
		.amdhsa_exception_fp_ieee_inexact 0
		.amdhsa_exception_int_div_zero 0
	.end_amdhsa_kernel
	.section	.text._ZN4vllm25paged_attention_v1_kernelI14__hip_bfloat16hLi64ELi8ELi128ELNS_18Fp8KVCacheDataTypeE1ELb0EEEvPT_PKS3_PKT0_S9_ifPKiSB_iPKfiiiSD_SD_iiiii,"axG",@progbits,_ZN4vllm25paged_attention_v1_kernelI14__hip_bfloat16hLi64ELi8ELi128ELNS_18Fp8KVCacheDataTypeE1ELb0EEEvPT_PKS3_PKT0_S9_ifPKiSB_iPKfiiiSD_SD_iiiii,comdat
.Lfunc_end284:
	.size	_ZN4vllm25paged_attention_v1_kernelI14__hip_bfloat16hLi64ELi8ELi128ELNS_18Fp8KVCacheDataTypeE1ELb0EEEvPT_PKS3_PKT0_S9_ifPKiSB_iPKfiiiSD_SD_iiiii, .Lfunc_end284-_ZN4vllm25paged_attention_v1_kernelI14__hip_bfloat16hLi64ELi8ELi128ELNS_18Fp8KVCacheDataTypeE1ELb0EEEvPT_PKS3_PKT0_S9_ifPKiSB_iPKfiiiSD_SD_iiiii
                                        ; -- End function
	.set _ZN4vllm25paged_attention_v1_kernelI14__hip_bfloat16hLi64ELi8ELi128ELNS_18Fp8KVCacheDataTypeE1ELb0EEEvPT_PKS3_PKT0_S9_ifPKiSB_iPKfiiiSD_SD_iiiii.num_vgpr, 42
	.set _ZN4vllm25paged_attention_v1_kernelI14__hip_bfloat16hLi64ELi8ELi128ELNS_18Fp8KVCacheDataTypeE1ELb0EEEvPT_PKS3_PKT0_S9_ifPKiSB_iPKfiiiSD_SD_iiiii.num_agpr, 0
	.set _ZN4vllm25paged_attention_v1_kernelI14__hip_bfloat16hLi64ELi8ELi128ELNS_18Fp8KVCacheDataTypeE1ELb0EEEvPT_PKS3_PKT0_S9_ifPKiSB_iPKfiiiSD_SD_iiiii.numbered_sgpr, 46
	.set _ZN4vllm25paged_attention_v1_kernelI14__hip_bfloat16hLi64ELi8ELi128ELNS_18Fp8KVCacheDataTypeE1ELb0EEEvPT_PKS3_PKT0_S9_ifPKiSB_iPKfiiiSD_SD_iiiii.num_named_barrier, 0
	.set _ZN4vllm25paged_attention_v1_kernelI14__hip_bfloat16hLi64ELi8ELi128ELNS_18Fp8KVCacheDataTypeE1ELb0EEEvPT_PKS3_PKT0_S9_ifPKiSB_iPKfiiiSD_SD_iiiii.private_seg_size, 0
	.set _ZN4vllm25paged_attention_v1_kernelI14__hip_bfloat16hLi64ELi8ELi128ELNS_18Fp8KVCacheDataTypeE1ELb0EEEvPT_PKS3_PKT0_S9_ifPKiSB_iPKfiiiSD_SD_iiiii.uses_vcc, 1
	.set _ZN4vllm25paged_attention_v1_kernelI14__hip_bfloat16hLi64ELi8ELi128ELNS_18Fp8KVCacheDataTypeE1ELb0EEEvPT_PKS3_PKT0_S9_ifPKiSB_iPKfiiiSD_SD_iiiii.uses_flat_scratch, 0
	.set _ZN4vllm25paged_attention_v1_kernelI14__hip_bfloat16hLi64ELi8ELi128ELNS_18Fp8KVCacheDataTypeE1ELb0EEEvPT_PKS3_PKT0_S9_ifPKiSB_iPKfiiiSD_SD_iiiii.has_dyn_sized_stack, 0
	.set _ZN4vllm25paged_attention_v1_kernelI14__hip_bfloat16hLi64ELi8ELi128ELNS_18Fp8KVCacheDataTypeE1ELb0EEEvPT_PKS3_PKT0_S9_ifPKiSB_iPKfiiiSD_SD_iiiii.has_recursion, 0
	.set _ZN4vllm25paged_attention_v1_kernelI14__hip_bfloat16hLi64ELi8ELi128ELNS_18Fp8KVCacheDataTypeE1ELb0EEEvPT_PKS3_PKT0_S9_ifPKiSB_iPKfiiiSD_SD_iiiii.has_indirect_call, 0
	.section	.AMDGPU.csdata,"",@progbits
; Kernel info:
; codeLenInByte = 7408
; TotalNumSgprs: 50
; NumVgprs: 42
; ScratchSize: 0
; MemoryBound: 0
; FloatMode: 240
; IeeeMode: 1
; LDSByteSize: 144 bytes/workgroup (compile time only)
; SGPRBlocks: 6
; VGPRBlocks: 10
; NumSGPRsForWavesPerEU: 50
; NumVGPRsForWavesPerEU: 42
; Occupancy: 5
; WaveLimiterHint : 1
; COMPUTE_PGM_RSRC2:SCRATCH_EN: 0
; COMPUTE_PGM_RSRC2:USER_SGPR: 6
; COMPUTE_PGM_RSRC2:TRAP_HANDLER: 0
; COMPUTE_PGM_RSRC2:TGID_X_EN: 1
; COMPUTE_PGM_RSRC2:TGID_Y_EN: 1
; COMPUTE_PGM_RSRC2:TGID_Z_EN: 1
; COMPUTE_PGM_RSRC2:TIDIG_COMP_CNT: 0
	.section	.text._ZN4vllm25paged_attention_v1_kernelI14__hip_bfloat16hLi80ELi8ELi128ELNS_18Fp8KVCacheDataTypeE1ELb0EEEvPT_PKS3_PKT0_S9_ifPKiSB_iPKfiiiSD_SD_iiiii,"axG",@progbits,_ZN4vllm25paged_attention_v1_kernelI14__hip_bfloat16hLi80ELi8ELi128ELNS_18Fp8KVCacheDataTypeE1ELb0EEEvPT_PKS3_PKT0_S9_ifPKiSB_iPKfiiiSD_SD_iiiii,comdat
	.protected	_ZN4vllm25paged_attention_v1_kernelI14__hip_bfloat16hLi80ELi8ELi128ELNS_18Fp8KVCacheDataTypeE1ELb0EEEvPT_PKS3_PKT0_S9_ifPKiSB_iPKfiiiSD_SD_iiiii ; -- Begin function _ZN4vllm25paged_attention_v1_kernelI14__hip_bfloat16hLi80ELi8ELi128ELNS_18Fp8KVCacheDataTypeE1ELb0EEEvPT_PKS3_PKT0_S9_ifPKiSB_iPKfiiiSD_SD_iiiii
	.globl	_ZN4vllm25paged_attention_v1_kernelI14__hip_bfloat16hLi80ELi8ELi128ELNS_18Fp8KVCacheDataTypeE1ELb0EEEvPT_PKS3_PKT0_S9_ifPKiSB_iPKfiiiSD_SD_iiiii
	.p2align	8
	.type	_ZN4vllm25paged_attention_v1_kernelI14__hip_bfloat16hLi80ELi8ELi128ELNS_18Fp8KVCacheDataTypeE1ELb0EEEvPT_PKS3_PKT0_S9_ifPKiSB_iPKfiiiSD_SD_iiiii,@function
_ZN4vllm25paged_attention_v1_kernelI14__hip_bfloat16hLi80ELi8ELi128ELNS_18Fp8KVCacheDataTypeE1ELb0EEEvPT_PKS3_PKT0_S9_ifPKiSB_iPKfiiiSD_SD_iiiii: ; @_ZN4vllm25paged_attention_v1_kernelI14__hip_bfloat16hLi80ELi8ELi128ELNS_18Fp8KVCacheDataTypeE1ELb0EEEvPT_PKS3_PKT0_S9_ifPKiSB_iPKfiiiSD_SD_iiiii
; %bb.0:
	s_load_dword s9, s[4:5], 0x80
	s_load_dwordx2 s[0:1], s[4:5], 0x30
	s_load_dwordx2 s[10:11], s[4:5], 0x20
	s_mov_b32 s20, s7
	s_ashr_i32 s21, s7, 31
	s_lshl_b64 s[2:3], s[20:21], 2
	s_waitcnt lgkmcnt(0)
	s_add_u32 s0, s0, s2
	s_addc_u32 s1, s1, s3
	s_abs_i32 s2, s10
	v_cvt_f32_u32_e32 v1, s2
	s_xor_b32 s3, s9, s10
	s_sub_i32 s10, 0, s2
	s_abs_i32 s7, s9
	v_rcp_iflag_f32_e32 v1, v1
	s_ashr_i32 s3, s3, 31
	v_mul_f32_e32 v1, 0x4f7ffffe, v1
	v_cvt_u32_f32_e32 v1, v1
	v_readfirstlane_b32 s12, v1
	s_mul_i32 s10, s10, s12
	s_mul_hi_u32 s10, s12, s10
	s_add_i32 s12, s12, s10
	s_mul_hi_u32 s10, s7, s12
	s_mul_i32 s12, s10, s2
	s_sub_i32 s7, s7, s12
	s_add_i32 s12, s10, 1
	s_sub_i32 s13, s7, s2
	s_cmp_ge_u32 s7, s2
	s_cselect_b32 s10, s12, s10
	s_cselect_b32 s7, s13, s7
	s_add_i32 s12, s10, 1
	s_cmp_ge_u32 s7, s2
	s_cselect_b32 s2, s12, s10
	s_xor_b32 s2, s2, s3
	s_sub_i32 s12, s2, s3
	s_abs_i32 s16, s12
	v_cvt_f32_u32_e32 v1, s16
	s_load_dwordx2 s[2:3], s[4:5], 0x40
	s_sub_i32 s7, 0, s16
	s_abs_i32 s17, s6
	v_rcp_iflag_f32_e32 v1, v1
	s_mov_b32 s10, 0
	v_mul_f32_e32 v1, 0x4f7ffffe, v1
	v_cvt_u32_f32_e32 v1, v1
	v_readfirstlane_b32 s13, v1
	s_mul_i32 s7, s7, s13
	s_mul_hi_u32 s7, s13, s7
	s_add_i32 s13, s13, s7
	s_waitcnt lgkmcnt(0)
	s_cmp_eq_u64 s[2:3], 0
	s_mul_hi_u32 s18, s17, s13
	s_cbranch_scc1 .LBB285_2
; %bb.1:
	s_ashr_i32 s7, s6, 31
	s_lshl_b64 s[14:15], s[6:7], 2
	s_add_u32 s2, s2, s14
	s_addc_u32 s3, s3, s15
	s_load_dword s10, s[2:3], 0x0
.LBB285_2:
	s_load_dword s21, s[0:1], 0x0
	s_ashr_i32 s19, s12, 31
	s_load_dwordx4 s[12:15], s[4:5], 0x48
	s_movk_i32 s0, 0x50
	s_ashr_i32 s7, s6, 31
	v_and_b32_e32 v1, 7, v0
	s_mul_i32 s22, s6, 0x50
	v_cmp_gt_u32_e64 s[0:1], s0, v0
	v_lshlrev_b32_e32 v22, 1, v0
	s_and_saveexec_b64 s[2:3], s[0:1]
	s_cbranch_execz .LBB285_4
; %bb.3:
	s_load_dwordx2 s[24:25], s[4:5], 0x8
	s_waitcnt lgkmcnt(0)
	s_mul_i32 s26, s12, s20
	s_ashr_i32 s27, s26, 31
	s_lshl_b64 s[26:27], s[26:27], 1
	v_lshrrev_b32_e32 v3, 2, v0
	s_add_u32 s6, s24, s26
	s_addc_u32 s12, s25, s27
	s_ashr_i32 s23, s22, 31
	s_lshl_b64 s[24:25], s[22:23], 1
	s_add_u32 s24, s6, s24
	s_addc_u32 s25, s12, s25
	global_load_ushort v2, v22, s[24:25]
	v_and_b32_e32 v3, 0xfe, v3
	v_mad_u32_u24 v3, v1, 20, v3
	s_waitcnt vmcnt(0)
	ds_write_b16 v3, v2
.LBB285_4:
	s_or_b64 exec, exec, s[2:3]
	s_waitcnt lgkmcnt(0)
	s_add_i32 s3, s21, 7
	s_ashr_i32 s6, s3, 31
	s_lshr_b32 s6, s6, 29
	s_add_i32 s3, s3, s6
	s_mul_i32 s6, s18, s16
	s_sub_i32 s6, s17, s6
	s_ashr_i32 s33, s3, 3
	s_xor_b32 s3, s7, s19
	s_add_i32 s7, s18, 1
	s_sub_i32 s12, s6, s16
	s_load_dwordx2 s[26:27], s[4:5], 0x28
	s_load_dword s2, s[4:5], 0x38
	s_cmp_ge_u32 s6, s16
	s_cselect_b32 s7, s7, s18
	s_cselect_b32 s6, s12, s6
	s_add_i32 s12, s7, 1
	s_cmp_ge_u32 s6, s16
	s_cselect_b32 s6, s12, s7
	v_lshrrev_b32_e32 v23, 6, v0
	s_xor_b32 s6, s6, s3
	s_waitcnt lgkmcnt(0)
	s_mul_i32 s28, s2, s20
	s_sub_i32 s12, s6, s3
	s_ashr_i32 s29, s28, 31
	v_cmp_gt_i32_e64 s[2:3], s33, v23
	v_cmp_le_i32_e32 vcc, s33, v23
	v_mbcnt_lo_u32_b32 v2, -1, 0
	s_barrier
                                        ; implicit-def: $vgpr9
                                        ; implicit-def: $vgpr11
                                        ; implicit-def: $vgpr10
	s_and_saveexec_b64 s[6:7], vcc
	s_xor_b64 s[6:7], exec, s[6:7]
; %bb.5:
	v_mbcnt_hi_u32_b32 v9, -1, v2
	v_and_b32_e32 v11, 64, v9
	v_add_u32_e32 v10, 64, v11
                                        ; implicit-def: $vgpr1
                                        ; implicit-def: $vgpr2
; %bb.6:
	s_or_saveexec_b64 s[34:35], s[6:7]
	s_load_dwordx2 s[24:25], s[4:5], 0x0
	s_load_dwordx2 s[30:31], s[4:5], 0x18
	s_load_dword s23, s[4:5], 0x88
	s_load_dwordx4 s[16:19], s[4:5], 0x58
	v_mov_b32_e32 v24, 0xff7fffff
	s_mul_i32 s12, s12, s14
	v_lshrrev_b32_e32 v8, 4, v0
	s_xor_b64 exec, exec, s[34:35]
	s_cbranch_execz .LBB285_72
; %bb.7:
	s_load_dwordx2 s[4:5], s[4:5], 0x10
	s_ashr_i32 s6, s12, 31
	v_bfe_u32 v7, v0, 3, 3
	v_lshlrev_b32_e32 v5, 4, v7
	v_mul_u32_u24_e32 v9, 20, v1
	s_waitcnt lgkmcnt(0)
	s_add_u32 s4, s4, s12
	s_addc_u32 s5, s5, s6
	v_mov_b32_e32 v6, s5
	v_add_co_u32_e32 v10, vcc, s4, v5
	ds_read2_b32 v[3:4], v9 offset1:1
	v_addc_co_u32_e32 v11, vcc, 0, v6, vcc
	ds_read2_b32 v[5:6], v9 offset0:2 offset1:3
	ds_read_b32 v9, v9 offset:16
	v_cmp_eq_u32_e32 vcc, 0, v1
	v_add_co_u32_e64 v1, s[4:5], v10, v1
	s_sub_i32 s41, 1, s21
	s_waitcnt lgkmcnt(0)
	v_lshlrev_b32_e32 v20, 16, v9
	v_and_b32_e32 v21, 0xffff0000, v9
	v_mbcnt_hi_u32_b32 v9, -1, v2
	v_addc_co_u32_e64 v2, s[4:5], 0, v11, s[4:5]
	s_lshl_b64 s[4:5], s[28:29], 2
	s_add_u32 s4, s26, s4
	v_lshlrev_b32_e32 v12, 16, v3
	v_and_b32_e32 v13, 0xffff0000, v3
	v_and_b32_e32 v3, 60, v8
	s_addc_u32 s5, s27, s5
	v_lshlrev_b32_e32 v14, 16, v4
	v_and_b32_e32 v15, 0xffff0000, v4
	v_mov_b32_e32 v4, s5
	v_add_co_u32_e64 v3, s[4:5], s4, v3
	v_and_b32_e32 v11, 64, v9
	v_lshlrev_b32_e32 v16, 16, v5
	v_and_b32_e32 v17, 0xffff0000, v5
	v_addc_co_u32_e64 v4, s[4:5], 0, v4, s[4:5]
	v_add_u32_e32 v10, 64, v11
	v_xor_b32_e32 v5, 4, v9
	v_cmp_lt_i32_e64 s[4:5], v5, v10
	v_cndmask_b32_e64 v5, v9, v5, s[4:5]
	v_lshlrev_b32_e32 v25, 2, v5
	v_xor_b32_e32 v5, 2, v9
	v_cmp_lt_i32_e64 s[4:5], v5, v10
	v_cndmask_b32_e64 v5, v9, v5, s[4:5]
	v_lshlrev_b32_e32 v26, 2, v5
	v_xor_b32_e32 v5, 1, v9
	v_cmp_lt_i32_e64 s[4:5], v5, v10
	s_load_dword s42, s[16:17], 0x0
	v_cndmask_b32_e64 v5, v9, v5, s[4:5]
	v_lshlrev_b32_e32 v27, 2, v5
	v_lshlrev_b32_e32 v5, 2, v7
	v_lshl_or_b32 v5, v23, 5, v5
	s_mov_b32 s40, s13
	v_lshlrev_b32_e32 v18, 16, v6
	v_and_b32_e32 v19, 0xffff0000, v6
	v_cmp_neq_f32_e64 s[4:5], s10, 0
	v_lshl_or_b32 v28, v23, 3, v7
	v_add_u32_e32 v29, 0xb0, v5
	s_mov_b64 s[14:15], 0
	s_movk_i32 s43, 0x80
	s_movk_i32 s44, 0x7f
	;; [unrolled: 1-line block ×3, first 2 shown]
	v_mov_b32_e32 v24, 0xff7fffff
	v_bfrev_b32_e32 v30, 60
	v_mov_b32_e32 v31, v23
	s_branch .LBB285_9
.LBB285_8:                              ;   in Loop: Header=BB285_9 Depth=1
	s_or_b64 exec, exec, s[16:17]
	v_add_u32_e32 v31, 2, v31
	v_cmp_le_i32_e64 s[6:7], s33, v31
	s_or_b64 s[14:15], s[6:7], s[14:15]
	v_add_co_u32_e64 v3, s[6:7], 8, v3
	v_add_u32_e32 v28, 16, v28
	v_add_u32_e32 v29, 64, v29
	v_addc_co_u32_e64 v4, s[6:7], 0, v4, s[6:7]
	s_andn2_b64 exec, exec, s[14:15]
	s_cbranch_execz .LBB285_71
.LBB285_9:                              ; =>This Inner Loop Header: Depth=1
	global_load_dword v5, v[3:4], off
	v_mov_b32_e32 v32, 0
	s_waitcnt vmcnt(0) lgkmcnt(0)
	v_mad_i64_i32 v[5:6], s[6:7], v5, s40, v[1:2]
	global_load_ubyte v33, v[5:6], off
	s_waitcnt vmcnt(0)
	v_cmp_ne_u16_e64 s[6:7], 0, v33
	s_and_saveexec_b64 s[16:17], s[6:7]
	s_cbranch_execz .LBB285_15
; %bb.10:                               ;   in Loop: Header=BB285_9 Depth=1
	v_cmp_ne_u16_e64 s[6:7], s43, v33
	v_bfrev_b32_e32 v32, 1
	s_and_saveexec_b64 s[36:37], s[6:7]
	s_cbranch_execz .LBB285_14
; %bb.11:                               ;   in Loop: Header=BB285_9 Depth=1
	v_and_b32_e32 v7, 0xffff, v33
	v_and_b32_e32 v34, 0x7f, v7
	v_cmp_ne_u32_e64 s[6:7], s44, v34
	v_mov_b32_e32 v32, 0x7f800001
	s_and_saveexec_b64 s[38:39], s[6:7]
	s_cbranch_execz .LBB285_13
; %bb.12:                               ;   in Loop: Header=BB285_9 Depth=1
	v_and_b32_e32 v32, 7, v7
	v_ffbh_u32_e32 v35, v32
	v_min_u32_e32 v38, 32, v35
	v_subrev_u32_e32 v35, 28, v38
	v_lshlrev_b64 v[35:36], v35, v[7:8]
	v_lshrrev_b32_e32 v37, 3, v34
	v_sub_u32_e32 v7, 29, v38
	v_and_b32_e32 v35, 7, v35
	v_cmp_gt_u32_e64 s[6:7], 8, v34
	v_cndmask_b32_e64 v7, v37, v7, s[6:7]
	v_cndmask_b32_e64 v32, v32, v35, s[6:7]
	v_lshlrev_b32_e32 v33, 24, v33
	v_lshlrev_b32_e32 v32, 20, v32
	v_and_b32_e32 v33, 0x80000000, v33
	v_lshl_add_u32 v7, v7, 23, v30
	v_or3_b32 v32, v33, v7, v32
.LBB285_13:                             ;   in Loop: Header=BB285_9 Depth=1
	s_or_b64 exec, exec, s[38:39]
.LBB285_14:                             ;   in Loop: Header=BB285_9 Depth=1
	s_or_b64 exec, exec, s[36:37]
.LBB285_15:                             ;   in Loop: Header=BB285_9 Depth=1
	s_or_b64 exec, exec, s[16:17]
	global_load_ubyte v35, v[5:6], off offset:8
	v_mov_b32_e32 v34, 0
	v_mov_b32_e32 v33, 0
	s_waitcnt vmcnt(0)
	v_cmp_ne_u16_e64 s[6:7], 0, v35
	s_and_saveexec_b64 s[16:17], s[6:7]
	s_cbranch_execz .LBB285_21
; %bb.16:                               ;   in Loop: Header=BB285_9 Depth=1
	v_cmp_ne_u16_e64 s[6:7], s43, v35
	v_bfrev_b32_e32 v33, 1
	s_and_saveexec_b64 s[36:37], s[6:7]
	s_cbranch_execz .LBB285_20
; %bb.17:                               ;   in Loop: Header=BB285_9 Depth=1
	v_and_b32_e32 v7, 0xffff, v35
	v_and_b32_e32 v36, 0x7f, v7
	v_cmp_ne_u32_e64 s[6:7], s44, v36
	v_mov_b32_e32 v33, 0x7f800001
	s_and_saveexec_b64 s[38:39], s[6:7]
	s_cbranch_execz .LBB285_19
; %bb.18:                               ;   in Loop: Header=BB285_9 Depth=1
	v_and_b32_e32 v33, 7, v7
	v_ffbh_u32_e32 v37, v33
	v_min_u32_e32 v40, 32, v37
	v_subrev_u32_e32 v37, 28, v40
	v_lshlrev_b64 v[37:38], v37, v[7:8]
	v_lshrrev_b32_e32 v39, 3, v36
	v_sub_u32_e32 v7, 29, v40
	v_and_b32_e32 v37, 7, v37
	v_cmp_gt_u32_e64 s[6:7], 8, v36
	v_cndmask_b32_e64 v7, v39, v7, s[6:7]
	v_cndmask_b32_e64 v33, v33, v37, s[6:7]
	v_lshlrev_b32_e32 v35, 24, v35
	v_lshlrev_b32_e32 v33, 20, v33
	v_and_b32_e32 v35, 0x80000000, v35
	v_lshl_add_u32 v7, v7, 23, v30
	v_or3_b32 v33, v35, v7, v33
.LBB285_19:                             ;   in Loop: Header=BB285_9 Depth=1
	s_or_b64 exec, exec, s[38:39]
.LBB285_20:                             ;   in Loop: Header=BB285_9 Depth=1
	s_or_b64 exec, exec, s[36:37]
.LBB285_21:                             ;   in Loop: Header=BB285_9 Depth=1
	s_or_b64 exec, exec, s[16:17]
	global_load_ubyte v35, v[5:6], off offset:128
	s_waitcnt vmcnt(0)
	v_cmp_ne_u16_e64 s[6:7], 0, v35
	s_and_saveexec_b64 s[16:17], s[6:7]
	s_cbranch_execz .LBB285_27
; %bb.22:                               ;   in Loop: Header=BB285_9 Depth=1
	v_cmp_ne_u16_e64 s[6:7], s43, v35
	v_bfrev_b32_e32 v34, 1
	s_and_saveexec_b64 s[36:37], s[6:7]
	s_cbranch_execz .LBB285_26
; %bb.23:                               ;   in Loop: Header=BB285_9 Depth=1
	v_and_b32_e32 v7, 0xffff, v35
	v_and_b32_e32 v36, 0x7f, v7
	v_cmp_ne_u32_e64 s[6:7], s44, v36
	v_mov_b32_e32 v34, 0x7f800001
	s_and_saveexec_b64 s[38:39], s[6:7]
	s_cbranch_execz .LBB285_25
; %bb.24:                               ;   in Loop: Header=BB285_9 Depth=1
	v_and_b32_e32 v34, 7, v7
	v_ffbh_u32_e32 v37, v34
	v_min_u32_e32 v40, 32, v37
	v_subrev_u32_e32 v37, 28, v40
	v_lshlrev_b64 v[37:38], v37, v[7:8]
	v_lshrrev_b32_e32 v39, 3, v36
	v_sub_u32_e32 v7, 29, v40
	v_and_b32_e32 v37, 7, v37
	v_cmp_gt_u32_e64 s[6:7], 8, v36
	v_cndmask_b32_e64 v7, v39, v7, s[6:7]
	v_cndmask_b32_e64 v34, v34, v37, s[6:7]
	v_lshlrev_b32_e32 v35, 24, v35
	v_lshlrev_b32_e32 v34, 20, v34
	v_and_b32_e32 v35, 0x80000000, v35
	v_lshl_add_u32 v7, v7, 23, v30
	v_or3_b32 v34, v35, v7, v34
.LBB285_25:                             ;   in Loop: Header=BB285_9 Depth=1
	s_or_b64 exec, exec, s[38:39]
.LBB285_26:                             ;   in Loop: Header=BB285_9 Depth=1
	s_or_b64 exec, exec, s[36:37]
.LBB285_27:                             ;   in Loop: Header=BB285_9 Depth=1
	s_or_b64 exec, exec, s[16:17]
	global_load_ubyte v37, v[5:6], off offset:136
	v_mov_b32_e32 v36, 0
	v_mov_b32_e32 v35, 0
	s_waitcnt vmcnt(0)
	v_cmp_ne_u16_e64 s[6:7], 0, v37
	s_and_saveexec_b64 s[16:17], s[6:7]
	s_cbranch_execz .LBB285_33
; %bb.28:                               ;   in Loop: Header=BB285_9 Depth=1
	v_cmp_ne_u16_e64 s[6:7], s43, v37
	v_bfrev_b32_e32 v35, 1
	s_and_saveexec_b64 s[36:37], s[6:7]
	s_cbranch_execz .LBB285_32
; %bb.29:                               ;   in Loop: Header=BB285_9 Depth=1
	v_and_b32_e32 v7, 0xffff, v37
	v_and_b32_e32 v38, 0x7f, v7
	v_cmp_ne_u32_e64 s[6:7], s44, v38
	v_mov_b32_e32 v35, 0x7f800001
	s_and_saveexec_b64 s[38:39], s[6:7]
	s_cbranch_execz .LBB285_31
; %bb.30:                               ;   in Loop: Header=BB285_9 Depth=1
	v_and_b32_e32 v35, 7, v7
	v_ffbh_u32_e32 v39, v35
	v_min_u32_e32 v42, 32, v39
	v_subrev_u32_e32 v39, 28, v42
	v_lshlrev_b64 v[39:40], v39, v[7:8]
	v_lshrrev_b32_e32 v41, 3, v38
	v_sub_u32_e32 v7, 29, v42
	v_and_b32_e32 v39, 7, v39
	v_cmp_gt_u32_e64 s[6:7], 8, v38
	v_cndmask_b32_e64 v7, v41, v7, s[6:7]
	v_cndmask_b32_e64 v35, v35, v39, s[6:7]
	v_lshlrev_b32_e32 v37, 24, v37
	v_lshlrev_b32_e32 v35, 20, v35
	v_and_b32_e32 v37, 0x80000000, v37
	v_lshl_add_u32 v7, v7, 23, v30
	v_or3_b32 v35, v37, v7, v35
.LBB285_31:                             ;   in Loop: Header=BB285_9 Depth=1
	s_or_b64 exec, exec, s[38:39]
.LBB285_32:                             ;   in Loop: Header=BB285_9 Depth=1
	s_or_b64 exec, exec, s[36:37]
.LBB285_33:                             ;   in Loop: Header=BB285_9 Depth=1
	s_or_b64 exec, exec, s[16:17]
	global_load_ubyte v37, v[5:6], off offset:256
	s_waitcnt vmcnt(0)
	v_cmp_ne_u16_e64 s[6:7], 0, v37
	s_and_saveexec_b64 s[16:17], s[6:7]
	s_cbranch_execz .LBB285_39
; %bb.34:                               ;   in Loop: Header=BB285_9 Depth=1
	v_cmp_ne_u16_e64 s[6:7], s43, v37
	v_bfrev_b32_e32 v36, 1
	s_and_saveexec_b64 s[36:37], s[6:7]
	s_cbranch_execz .LBB285_38
; %bb.35:                               ;   in Loop: Header=BB285_9 Depth=1
	v_and_b32_e32 v7, 0xffff, v37
	v_and_b32_e32 v38, 0x7f, v7
	v_cmp_ne_u32_e64 s[6:7], s44, v38
	v_mov_b32_e32 v36, 0x7f800001
	s_and_saveexec_b64 s[38:39], s[6:7]
	s_cbranch_execz .LBB285_37
; %bb.36:                               ;   in Loop: Header=BB285_9 Depth=1
	v_and_b32_e32 v36, 7, v7
	v_ffbh_u32_e32 v39, v36
	v_min_u32_e32 v42, 32, v39
	v_subrev_u32_e32 v39, 28, v42
	v_lshlrev_b64 v[39:40], v39, v[7:8]
	v_lshrrev_b32_e32 v41, 3, v38
	v_sub_u32_e32 v7, 29, v42
	v_and_b32_e32 v39, 7, v39
	v_cmp_gt_u32_e64 s[6:7], 8, v38
	v_cndmask_b32_e64 v7, v41, v7, s[6:7]
	v_cndmask_b32_e64 v36, v36, v39, s[6:7]
	v_lshlrev_b32_e32 v37, 24, v37
	v_lshlrev_b32_e32 v36, 20, v36
	v_and_b32_e32 v37, 0x80000000, v37
	v_lshl_add_u32 v7, v7, 23, v30
	v_or3_b32 v36, v37, v7, v36
.LBB285_37:                             ;   in Loop: Header=BB285_9 Depth=1
	s_or_b64 exec, exec, s[38:39]
.LBB285_38:                             ;   in Loop: Header=BB285_9 Depth=1
	s_or_b64 exec, exec, s[36:37]
.LBB285_39:                             ;   in Loop: Header=BB285_9 Depth=1
	s_or_b64 exec, exec, s[16:17]
	global_load_ubyte v39, v[5:6], off offset:264
	v_mov_b32_e32 v38, 0
	v_mov_b32_e32 v37, 0
	s_waitcnt vmcnt(0)
	v_cmp_ne_u16_e64 s[6:7], 0, v39
	s_and_saveexec_b64 s[16:17], s[6:7]
	s_cbranch_execz .LBB285_45
; %bb.40:                               ;   in Loop: Header=BB285_9 Depth=1
	v_cmp_ne_u16_e64 s[6:7], s43, v39
	v_bfrev_b32_e32 v37, 1
	s_and_saveexec_b64 s[36:37], s[6:7]
	s_cbranch_execz .LBB285_44
; %bb.41:                               ;   in Loop: Header=BB285_9 Depth=1
	v_and_b32_e32 v7, 0xffff, v39
	v_and_b32_e32 v40, 0x7f, v7
	v_cmp_ne_u32_e64 s[6:7], s44, v40
	v_mov_b32_e32 v37, 0x7f800001
	s_and_saveexec_b64 s[38:39], s[6:7]
	s_cbranch_execz .LBB285_43
; %bb.42:                               ;   in Loop: Header=BB285_9 Depth=1
	v_and_b32_e32 v37, 7, v7
	v_ffbh_u32_e32 v41, v37
	v_min_u32_e32 v44, 32, v41
	v_subrev_u32_e32 v41, 28, v44
	v_lshlrev_b64 v[41:42], v41, v[7:8]
	v_lshrrev_b32_e32 v43, 3, v40
	v_sub_u32_e32 v7, 29, v44
	v_and_b32_e32 v41, 7, v41
	v_cmp_gt_u32_e64 s[6:7], 8, v40
	v_cndmask_b32_e64 v7, v43, v7, s[6:7]
	v_cndmask_b32_e64 v37, v37, v41, s[6:7]
	v_lshlrev_b32_e32 v39, 24, v39
	v_lshlrev_b32_e32 v37, 20, v37
	v_and_b32_e32 v39, 0x80000000, v39
	v_lshl_add_u32 v7, v7, 23, v30
	v_or3_b32 v37, v39, v7, v37
.LBB285_43:                             ;   in Loop: Header=BB285_9 Depth=1
	s_or_b64 exec, exec, s[38:39]
.LBB285_44:                             ;   in Loop: Header=BB285_9 Depth=1
	s_or_b64 exec, exec, s[36:37]
.LBB285_45:                             ;   in Loop: Header=BB285_9 Depth=1
	s_or_b64 exec, exec, s[16:17]
	global_load_ubyte v39, v[5:6], off offset:384
	s_waitcnt vmcnt(0)
	v_cmp_ne_u16_e64 s[6:7], 0, v39
	s_and_saveexec_b64 s[16:17], s[6:7]
	s_cbranch_execz .LBB285_51
; %bb.46:                               ;   in Loop: Header=BB285_9 Depth=1
	v_cmp_ne_u16_e64 s[6:7], s43, v39
	v_bfrev_b32_e32 v38, 1
	s_and_saveexec_b64 s[36:37], s[6:7]
	s_cbranch_execz .LBB285_50
; %bb.47:                               ;   in Loop: Header=BB285_9 Depth=1
	v_and_b32_e32 v7, 0xffff, v39
	v_and_b32_e32 v40, 0x7f, v7
	v_cmp_ne_u32_e64 s[6:7], s44, v40
	v_mov_b32_e32 v38, 0x7f800001
	s_and_saveexec_b64 s[38:39], s[6:7]
	s_cbranch_execz .LBB285_49
; %bb.48:                               ;   in Loop: Header=BB285_9 Depth=1
	v_and_b32_e32 v38, 7, v7
	v_ffbh_u32_e32 v41, v38
	v_min_u32_e32 v44, 32, v41
	v_subrev_u32_e32 v41, 28, v44
	v_lshlrev_b64 v[41:42], v41, v[7:8]
	v_lshrrev_b32_e32 v43, 3, v40
	v_sub_u32_e32 v7, 29, v44
	v_and_b32_e32 v41, 7, v41
	v_cmp_gt_u32_e64 s[6:7], 8, v40
	v_cndmask_b32_e64 v7, v43, v7, s[6:7]
	v_cndmask_b32_e64 v38, v38, v41, s[6:7]
	v_lshlrev_b32_e32 v39, 24, v39
	v_lshlrev_b32_e32 v38, 20, v38
	v_and_b32_e32 v39, 0x80000000, v39
	v_lshl_add_u32 v7, v7, 23, v30
	v_or3_b32 v38, v39, v7, v38
.LBB285_49:                             ;   in Loop: Header=BB285_9 Depth=1
	s_or_b64 exec, exec, s[38:39]
.LBB285_50:                             ;   in Loop: Header=BB285_9 Depth=1
	s_or_b64 exec, exec, s[36:37]
.LBB285_51:                             ;   in Loop: Header=BB285_9 Depth=1
	s_or_b64 exec, exec, s[16:17]
	global_load_ubyte v41, v[5:6], off offset:392
	v_mov_b32_e32 v40, 0
	v_mov_b32_e32 v39, 0
	s_waitcnt vmcnt(0)
	v_cmp_ne_u16_e64 s[6:7], 0, v41
	s_and_saveexec_b64 s[16:17], s[6:7]
	s_cbranch_execz .LBB285_57
; %bb.52:                               ;   in Loop: Header=BB285_9 Depth=1
	v_cmp_ne_u16_e64 s[6:7], s43, v41
	v_bfrev_b32_e32 v39, 1
	s_and_saveexec_b64 s[36:37], s[6:7]
	s_cbranch_execz .LBB285_56
; %bb.53:                               ;   in Loop: Header=BB285_9 Depth=1
	v_and_b32_e32 v7, 0xffff, v41
	v_and_b32_e32 v42, 0x7f, v7
	v_cmp_ne_u32_e64 s[6:7], s44, v42
	v_mov_b32_e32 v39, 0x7f800001
	s_and_saveexec_b64 s[38:39], s[6:7]
	s_cbranch_execz .LBB285_55
; %bb.54:                               ;   in Loop: Header=BB285_9 Depth=1
	v_and_b32_e32 v39, 7, v7
	v_ffbh_u32_e32 v43, v39
	v_min_u32_e32 v46, 32, v43
	v_subrev_u32_e32 v43, 28, v46
	v_lshlrev_b64 v[43:44], v43, v[7:8]
	v_lshrrev_b32_e32 v45, 3, v42
	v_sub_u32_e32 v7, 29, v46
	v_and_b32_e32 v43, 7, v43
	v_cmp_gt_u32_e64 s[6:7], 8, v42
	v_cndmask_b32_e64 v7, v45, v7, s[6:7]
	v_cndmask_b32_e64 v39, v39, v43, s[6:7]
	v_lshlrev_b32_e32 v41, 24, v41
	v_lshlrev_b32_e32 v39, 20, v39
	v_and_b32_e32 v41, 0x80000000, v41
	v_lshl_add_u32 v7, v7, 23, v30
	v_or3_b32 v39, v41, v7, v39
.LBB285_55:                             ;   in Loop: Header=BB285_9 Depth=1
	s_or_b64 exec, exec, s[38:39]
.LBB285_56:                             ;   in Loop: Header=BB285_9 Depth=1
	s_or_b64 exec, exec, s[36:37]
.LBB285_57:                             ;   in Loop: Header=BB285_9 Depth=1
	s_or_b64 exec, exec, s[16:17]
	global_load_ubyte v41, v[5:6], off offset:512
	s_waitcnt vmcnt(0)
	v_cmp_ne_u16_e64 s[6:7], 0, v41
	s_and_saveexec_b64 s[16:17], s[6:7]
	s_cbranch_execz .LBB285_63
; %bb.58:                               ;   in Loop: Header=BB285_9 Depth=1
	v_cmp_ne_u16_e64 s[6:7], s43, v41
	v_bfrev_b32_e32 v40, 1
	s_and_saveexec_b64 s[36:37], s[6:7]
	s_cbranch_execz .LBB285_62
; %bb.59:                               ;   in Loop: Header=BB285_9 Depth=1
	v_and_b32_e32 v7, 0xffff, v41
	v_and_b32_e32 v42, 0x7f, v7
	v_cmp_ne_u32_e64 s[6:7], s44, v42
	v_mov_b32_e32 v40, 0x7f800001
	s_and_saveexec_b64 s[38:39], s[6:7]
	s_cbranch_execz .LBB285_61
; %bb.60:                               ;   in Loop: Header=BB285_9 Depth=1
	v_and_b32_e32 v40, 7, v7
	v_ffbh_u32_e32 v43, v40
	v_min_u32_e32 v46, 32, v43
	v_subrev_u32_e32 v43, 28, v46
	v_lshlrev_b64 v[43:44], v43, v[7:8]
	v_lshrrev_b32_e32 v45, 3, v42
	v_sub_u32_e32 v7, 29, v46
	v_and_b32_e32 v43, 7, v43
	v_cmp_gt_u32_e64 s[6:7], 8, v42
	v_cndmask_b32_e64 v7, v45, v7, s[6:7]
	v_cndmask_b32_e64 v40, v40, v43, s[6:7]
	v_lshlrev_b32_e32 v41, 24, v41
	v_lshlrev_b32_e32 v40, 20, v40
	v_and_b32_e32 v41, 0x80000000, v41
	v_lshl_add_u32 v7, v7, 23, v30
	v_or3_b32 v40, v41, v7, v40
.LBB285_61:                             ;   in Loop: Header=BB285_9 Depth=1
	s_or_b64 exec, exec, s[38:39]
.LBB285_62:                             ;   in Loop: Header=BB285_9 Depth=1
	s_or_b64 exec, exec, s[36:37]
.LBB285_63:                             ;   in Loop: Header=BB285_9 Depth=1
	s_or_b64 exec, exec, s[16:17]
	global_load_ubyte v7, v[5:6], off offset:520
	v_mov_b32_e32 v6, 0
	s_waitcnt vmcnt(0)
	v_cmp_ne_u16_e64 s[6:7], 0, v7
	s_and_saveexec_b64 s[16:17], s[6:7]
	s_cbranch_execz .LBB285_69
; %bb.64:                               ;   in Loop: Header=BB285_9 Depth=1
	v_cmp_ne_u16_e64 s[6:7], s43, v7
	v_bfrev_b32_e32 v6, 1
	s_and_saveexec_b64 s[36:37], s[6:7]
	s_cbranch_execz .LBB285_68
; %bb.65:                               ;   in Loop: Header=BB285_9 Depth=1
	v_and_b32_e32 v5, 0xffff, v7
	v_and_b32_e32 v41, 0x7f, v5
	v_cmp_ne_u32_e64 s[6:7], s44, v41
	v_mov_b32_e32 v6, 0x7f800001
	s_and_saveexec_b64 s[38:39], s[6:7]
	s_cbranch_execz .LBB285_67
; %bb.66:                               ;   in Loop: Header=BB285_9 Depth=1
	v_and_b32_e32 v42, 7, v5
	v_ffbh_u32_e32 v6, v42
	v_min_u32_e32 v44, 32, v6
	v_subrev_u32_e32 v6, 28, v44
	v_lshlrev_b64 v[5:6], v6, v[5:6]
	v_lshrrev_b32_e32 v43, 3, v41
	v_sub_u32_e32 v6, 29, v44
	v_and_b32_e32 v5, 7, v5
	v_cmp_gt_u32_e64 s[6:7], 8, v41
	v_cndmask_b32_e64 v6, v43, v6, s[6:7]
	v_cndmask_b32_e64 v5, v42, v5, s[6:7]
	v_lshlrev_b32_e32 v7, 24, v7
	v_lshlrev_b32_e32 v5, 20, v5
	v_and_b32_e32 v7, 0x80000000, v7
	v_lshl_add_u32 v6, v6, 23, v30
	v_or3_b32 v6, v7, v6, v5
.LBB285_67:                             ;   in Loop: Header=BB285_9 Depth=1
	s_or_b64 exec, exec, s[38:39]
.LBB285_68:                             ;   in Loop: Header=BB285_9 Depth=1
	s_or_b64 exec, exec, s[36:37]
.LBB285_69:                             ;   in Loop: Header=BB285_9 Depth=1
	s_or_b64 exec, exec, s[16:17]
	s_waitcnt lgkmcnt(0)
	v_mul_f32_e32 v5, s42, v40
	v_bfe_u32 v7, v5, 16, 1
	v_add3_u32 v7, v7, v5, s45
	v_or_b32_e32 v40, 0x400000, v5
	v_cmp_u_f32_e64 s[6:7], v5, v5
	v_cndmask_b32_e64 v5, v7, v40, s[6:7]
	v_mul_f32_e32 v7, s42, v39
	v_bfe_u32 v39, v7, 16, 1
	v_add3_u32 v39, v39, v7, s45
	v_or_b32_e32 v40, 0x400000, v7
	v_cmp_u_f32_e64 s[6:7], v7, v7
	v_mul_f32_e32 v38, s42, v38
	v_cndmask_b32_e64 v7, v39, v40, s[6:7]
	v_bfe_u32 v39, v38, 16, 1
	v_add3_u32 v39, v39, v38, s45
	v_or_b32_e32 v40, 0x400000, v38
	v_cmp_u_f32_e64 s[6:7], v38, v38
	v_mul_f32_e32 v37, s42, v37
	v_cndmask_b32_e64 v38, v39, v40, s[6:7]
	;; [unrolled: 6-line block ×7, first 2 shown]
	v_bfe_u32 v39, v32, 16, 1
	v_add3_u32 v39, v39, v32, s45
	v_or_b32_e32 v40, 0x400000, v32
	v_cmp_u_f32_e64 s[6:7], v32, v32
	v_cndmask_b32_e64 v32, v39, v40, s[6:7]
	v_and_b32_e32 v33, 0xffff0000, v33
	v_and_b32_e32 v32, 0xffff0000, v32
	v_mul_f32_e32 v33, v13, v33
	v_fmac_f32_e32 v33, v12, v32
	v_and_b32_e32 v32, 0xffff0000, v34
	v_fmac_f32_e32 v33, v14, v32
	v_and_b32_e32 v32, 0xffff0000, v35
	v_fmac_f32_e32 v33, v15, v32
	v_and_b32_e32 v32, 0xffff0000, v36
	v_mul_f32_e32 v6, s42, v6
	v_fmac_f32_e32 v33, v16, v32
	v_and_b32_e32 v32, 0xffff0000, v37
	v_bfe_u32 v39, v6, 16, 1
	v_fmac_f32_e32 v33, v17, v32
	v_and_b32_e32 v32, 0xffff0000, v38
	v_add3_u32 v39, v39, v6, s45
	v_or_b32_e32 v40, 0x400000, v6
	v_cmp_u_f32_e64 s[6:7], v6, v6
	v_fmac_f32_e32 v33, v18, v32
	v_and_b32_e32 v7, 0xffff0000, v7
	v_cndmask_b32_e64 v6, v39, v40, s[6:7]
	v_fmac_f32_e32 v33, v19, v7
	v_and_b32_e32 v5, 0xffff0000, v5
	v_fmac_f32_e32 v33, v20, v5
	v_and_b32_e32 v5, 0xffff0000, v6
	v_fmac_f32_e32 v33, v21, v5
	ds_bpermute_b32 v5, v25, v33
	s_waitcnt lgkmcnt(0)
	v_add_f32_e32 v5, v33, v5
	ds_bpermute_b32 v6, v26, v5
	s_waitcnt lgkmcnt(0)
	v_add_f32_e32 v5, v5, v6
	ds_bpermute_b32 v6, v27, v5
	s_and_saveexec_b64 s[16:17], vcc
	s_cbranch_execz .LBB285_8
; %bb.70:                               ;   in Loop: Header=BB285_9 Depth=1
	v_add_u32_e32 v7, s41, v28
	v_cvt_f32_i32_e32 v7, v7
	s_waitcnt lgkmcnt(0)
	v_add_f32_e32 v5, v5, v6
	v_cmp_gt_i32_e64 s[6:7], s21, v28
	v_max_f32_e32 v6, v24, v24
	v_mul_f32_e32 v7, s10, v7
	v_cndmask_b32_e64 v7, 0, v7, s[4:5]
	v_fmac_f32_e32 v7, s11, v5
	v_cndmask_b32_e64 v5, 0, v7, s[6:7]
	ds_write_b32 v29, v5
	v_max_f32_e32 v5, v6, v7
	v_cndmask_b32_e64 v24, v24, v5, s[6:7]
	s_branch .LBB285_8
.LBB285_71:
	s_or_b64 exec, exec, s[14:15]
.LBB285_72:
	s_or_b64 exec, exec, s[34:35]
	v_xor_b32_e32 v1, 32, v9
	v_cmp_lt_i32_e32 vcc, v1, v10
	v_cndmask_b32_e32 v1, v9, v1, vcc
	v_lshlrev_b32_e32 v2, 2, v1
	ds_bpermute_b32 v1, v2, v24
	v_xor_b32_e32 v4, 16, v9
	v_max_f32_e32 v3, v24, v24
	v_cmp_lt_i32_e32 vcc, v4, v10
	v_xor_b32_e32 v5, 8, v9
	s_waitcnt lgkmcnt(0)
	v_max_f32_e32 v1, v1, v1
	v_max_f32_e32 v1, v3, v1
	v_cndmask_b32_e32 v3, v9, v4, vcc
	v_lshlrev_b32_e32 v4, 2, v3
	ds_bpermute_b32 v3, v4, v1
	v_cmp_lt_i32_e32 vcc, v5, v10
	v_and_b32_e32 v24, 63, v0
	s_waitcnt lgkmcnt(0)
	v_max_f32_e32 v3, v3, v3
	v_max_f32_e32 v3, v1, v3
	v_cndmask_b32_e32 v1, v9, v5, vcc
	v_lshlrev_b32_e32 v6, 2, v1
	ds_bpermute_b32 v5, v6, v3
	v_cmp_eq_u32_e32 vcc, 0, v24
	v_lshlrev_b32_e32 v1, 2, v23
	s_and_saveexec_b64 s[4:5], vcc
	s_cbranch_execz .LBB285_74
; %bb.73:
	s_waitcnt lgkmcnt(0)
	v_max_f32_e32 v5, v5, v5
	v_max_f32_e32 v3, v3, v3
	v_max_f32_e32 v3, v3, v5
	ds_write_b32 v1, v3 offset:160
.LBB285_74:
	s_or_b64 exec, exec, s[4:5]
	v_cmp_gt_u32_e64 s[4:5], 2, v24
	v_mov_b32_e32 v7, 0xff7fffff
	v_lshlrev_b32_e32 v3, 2, v24
	s_waitcnt lgkmcnt(0)
	s_barrier
	s_and_saveexec_b64 s[6:7], s[4:5]
; %bb.75:
	ds_read_b32 v7, v3 offset:160
; %bb.76:
	s_or_b64 exec, exec, s[6:7]
	v_xor_b32_e32 v5, 1, v9
	v_cmp_lt_i32_e64 s[6:7], v5, v10
	v_cndmask_b32_e64 v5, v9, v5, s[6:7]
	v_lshlrev_b32_e32 v5, 2, v5
	s_waitcnt lgkmcnt(0)
	ds_bpermute_b32 v12, v5, v7
	v_max_f32_e32 v7, v7, v7
	v_lshlrev_b32_e32 v11, 2, v11
	s_lshl_b32 s6, s33, 3
	s_min_i32 s34, s6, s21
	s_waitcnt lgkmcnt(0)
	v_max_f32_e32 v12, v12, v12
	v_max_f32_e32 v7, v7, v12
	ds_bpermute_b32 v11, v11, v7
	v_cmp_gt_i32_e64 s[6:7], s34, v0
	v_mov_b32_e32 v7, 0
	s_and_saveexec_b64 s[14:15], s[6:7]
	s_cbranch_execz .LBB285_80
; %bb.77:
	v_mov_b32_e32 v7, 0xb0
	v_lshl_add_u32 v12, v0, 2, v7
	v_mov_b32_e32 v7, 0
	s_mov_b64 s[16:17], 0
	v_mov_b32_e32 v13, v0
.LBB285_78:                             ; =>This Inner Loop Header: Depth=1
	ds_read_b32 v14, v12
	v_add_u32_e32 v13, 0x80, v13
	v_cmp_le_i32_e64 s[10:11], s34, v13
	s_or_b64 s[16:17], s[10:11], s[16:17]
	s_waitcnt lgkmcnt(0)
	v_sub_f32_e32 v14, v14, v11
	v_mul_f32_e32 v14, 0x3fb8aa3b, v14
	v_exp_f32_e32 v14, v14
	ds_write_b32 v12, v14
	v_add_f32_e32 v7, v7, v14
	v_add_u32_e32 v12, 0x200, v12
	s_andn2_b64 exec, exec, s[16:17]
	s_cbranch_execnz .LBB285_78
; %bb.79:
	s_or_b64 exec, exec, s[16:17]
.LBB285_80:
	s_or_b64 exec, exec, s[14:15]
	ds_bpermute_b32 v2, v2, v7
	s_waitcnt lgkmcnt(0)
	v_add_f32_e32 v2, v7, v2
	ds_bpermute_b32 v4, v4, v2
	s_waitcnt lgkmcnt(0)
	v_add_f32_e32 v2, v2, v4
	ds_bpermute_b32 v4, v6, v2
	v_xor_b32_e32 v6, 4, v9
	v_cmp_lt_i32_e64 s[10:11], v6, v10
	v_cndmask_b32_e64 v6, v9, v6, s[10:11]
	v_lshlrev_b32_e32 v6, 2, v6
	s_waitcnt lgkmcnt(0)
	v_add_f32_e32 v2, v2, v4
	ds_bpermute_b32 v4, v6, v2
	v_xor_b32_e32 v6, 2, v9
	v_cmp_lt_i32_e64 s[10:11], v6, v10
	v_cndmask_b32_e64 v6, v9, v6, s[10:11]
	s_waitcnt lgkmcnt(0)
	v_add_f32_e32 v2, v2, v4
	v_lshlrev_b32_e32 v4, 2, v6
	ds_bpermute_b32 v4, v4, v2
	s_waitcnt lgkmcnt(0)
	v_add_f32_e32 v2, v2, v4
	ds_bpermute_b32 v4, v5, v2
	s_waitcnt lgkmcnt(0)
	v_add_f32_e32 v2, v2, v4
	s_and_saveexec_b64 s[10:11], vcc
; %bb.81:
	ds_write_b32 v1, v2 offset:168
; %bb.82:
	s_or_b64 exec, exec, s[10:11]
	s_waitcnt lgkmcnt(0)
	s_barrier
	s_and_saveexec_b64 s[10:11], s[4:5]
; %bb.83:
	ds_read_b32 v2, v3 offset:168
; %bb.84:
	s_or_b64 exec, exec, s[10:11]
	s_waitcnt lgkmcnt(0)
	ds_bpermute_b32 v1, v5, v2
	v_lshlrev_b32_e32 v3, 2, v9
	s_waitcnt lgkmcnt(0)
	v_add_f32_e32 v1, v2, v1
	v_and_b32_e32 v2, 0xffffff00, v3
	ds_bpermute_b32 v1, v2, v1
	s_and_saveexec_b64 s[4:5], s[6:7]
	s_cbranch_execz .LBB285_87
; %bb.85:
	s_waitcnt lgkmcnt(0)
	v_add_f32_e32 v2, 0x358637bd, v1
	v_div_scale_f32 v1, s[6:7], v2, v2, 1.0
	v_div_scale_f32 v3, vcc, 1.0, v2, 1.0
	s_mov_b64 s[6:7], 0
	v_rcp_f32_e32 v4, v1
	v_fma_f32 v5, -v1, v4, 1.0
	v_fmac_f32_e32 v4, v5, v4
	v_mul_f32_e32 v5, v3, v4
	v_fma_f32 v6, -v1, v5, v3
	v_fmac_f32_e32 v5, v6, v4
	v_fma_f32 v1, -v1, v5, v3
	v_div_fmas_f32 v3, v1, v4, v5
	v_mov_b32_e32 v1, 0xb0
	v_lshl_add_u32 v1, v0, 2, v1
	v_div_fixup_f32 v2, v3, v2, 1.0
	v_mov_b32_e32 v3, v0
.LBB285_86:                             ; =>This Inner Loop Header: Depth=1
	ds_read_b32 v4, v1
	v_add_u32_e32 v3, 0x80, v3
	v_cmp_le_i32_e32 vcc, s34, v3
	s_or_b64 s[6:7], vcc, s[6:7]
	s_waitcnt lgkmcnt(0)
	v_mul_f32_e32 v4, v2, v4
	ds_write_b32 v1, v4
	v_add_u32_e32 v1, 0x200, v1
	s_andn2_b64 exec, exec, s[6:7]
	s_cbranch_execnz .LBB285_86
.LBB285_87:
	s_or_b64 exec, exec, s[4:5]
	v_mov_b32_e32 v12, 0
	v_mov_b32_e32 v11, v12
	;; [unrolled: 1-line block ×4, first 2 shown]
	s_waitcnt lgkmcnt(0)
	s_barrier
	s_and_saveexec_b64 s[6:7], s[2:3]
	s_cbranch_execz .LBB285_193
; %bb.88:
	s_ashr_i32 s2, s12, 31
	s_add_u32 s4, s30, s12
	s_addc_u32 s5, s31, s2
	v_or_b32_e32 v1, 64, v24
	s_movk_i32 s2, 0x50
	s_add_i32 s30, s33, -1
	s_load_dword s31, s[18:19], 0x0
	v_cmp_gt_u32_e32 vcc, s2, v1
	s_lshl_b64 s[2:3], s[28:29], 2
	v_lshlrev_b32_e32 v26, 3, v1
	v_mov_b32_e32 v1, 0xb0
	s_add_u32 s2, s26, s2
	v_lshl_add_u32 v28, v23, 5, v1
	v_and_b32_e32 v1, 60, v8
	s_addc_u32 s3, s27, s3
	v_mov_b32_e32 v11, v12
	s_mov_b32 s10, -1
	v_mov_b32_e32 v2, s3
	v_add_co_u32_e64 v13, s[2:3], s2, v1
	v_mov_b32_e32 v16, s5
	v_mov_b32_e32 v9, v11
	s_mov_b32 s34, s13
	s_mov_b32 s11, 0xffffff
	v_lshlrev_b32_e32 v25, 3, v24
	v_lshl_or_b32 v27, v23, 3, 7
	v_addc_co_u32_e64 v14, s[2:3], 0, v2, s[2:3]
	s_mov_b64 s[12:13], 0
	v_mov_b32_e32 v15, s4
	s_movk_i32 s28, 0x80
	s_movk_i32 s29, 0x7f
	s_movk_i32 s35, 0x7fff
	s_mov_b32 s36, 0x7060302
	v_bfrev_b32_e32 v29, 60
	v_mov_b32_e32 v10, v12
	s_branch .LBB285_91
.LBB285_89:                             ;   in Loop: Header=BB285_91 Depth=1
	s_or_b64 exec, exec, s[4:5]
	v_perm_b32 v5, v6, v5, s36
	v_perm_b32 v6, v8, v7, s36
	v_lshlrev_b32_e32 v8, 16, v5
	v_lshlrev_b32_e32 v19, 16, v32
	v_mul_f32_e32 v8, v8, v19
	v_and_b32_e32 v5, 0xffff0000, v5
	v_lshlrev_b32_e32 v18, 16, v18
	v_bfe_u32 v19, v8, 16, 1
	v_mul_f32_e32 v5, v5, v18
	v_perm_b32 v7, v21, v20, s36
	v_add3_u32 v19, v19, v8, s35
	v_or_b32_e32 v20, 0x400000, v8
	v_cmp_u_f32_e64 s[2:3], v8, v8
	v_bfe_u32 v18, v5, 16, 1
	v_cndmask_b32_e64 v8, v19, v20, s[2:3]
	v_add3_u32 v18, v18, v5, s35
	v_or_b32_e32 v19, 0x400000, v5
	v_cmp_u_f32_e64 s[2:3], v5, v5
	v_cndmask_b32_e64 v5, v18, v19, s[2:3]
	v_lshlrev_b32_e32 v18, 16, v6
	v_lshlrev_b32_e32 v19, 16, v31
	v_mul_f32_e32 v18, v18, v19
	v_and_b32_e32 v6, 0xffff0000, v6
	v_lshlrev_b32_e32 v3, 16, v3
	v_bfe_u32 v19, v18, 16, 1
	v_mul_f32_e32 v3, v6, v3
	v_add3_u32 v19, v19, v18, s35
	v_or_b32_e32 v20, 0x400000, v18
	v_cmp_u_f32_e64 s[2:3], v18, v18
	v_bfe_u32 v6, v3, 16, 1
	v_cndmask_b32_e64 v18, v19, v20, s[2:3]
	v_add3_u32 v6, v6, v3, s35
	v_or_b32_e32 v19, 0x400000, v3
	v_cmp_u_f32_e64 s[2:3], v3, v3
	v_cndmask_b32_e64 v3, v6, v19, s[2:3]
	v_lshlrev_b32_e32 v6, 16, v7
	v_lshlrev_b32_e32 v2, 16, v2
	v_mul_f32_e32 v2, v6, v2
	v_bfe_u32 v6, v2, 16, 1
	v_add3_u32 v6, v6, v2, s35
	v_or_b32_e32 v19, 0x400000, v2
	v_cmp_u_f32_e64 s[2:3], v2, v2
	v_cndmask_b32_e64 v2, v6, v19, s[2:3]
	v_and_b32_e32 v6, 0xffff0000, v7
	v_lshlrev_b32_e32 v1, 16, v1
	v_mul_f32_e32 v1, v6, v1
	v_bfe_u32 v6, v1, 16, 1
	v_perm_b32 v4, v4, v30, s36
	v_add3_u32 v6, v6, v1, s35
	v_or_b32_e32 v7, 0x400000, v1
	v_cmp_u_f32_e64 s[2:3], v1, v1
	v_cndmask_b32_e64 v1, v6, v7, s[2:3]
	v_lshlrev_b32_e32 v6, 16, v4
	v_lshlrev_b32_e32 v7, 16, v17
	v_mul_f32_e32 v6, v6, v7
	v_bfe_u32 v7, v6, 16, 1
	v_add3_u32 v7, v7, v6, s35
	v_or_b32_e32 v17, 0x400000, v6
	v_cmp_u_f32_e64 s[2:3], v6, v6
	v_cndmask_b32_e64 v6, v7, v17, s[2:3]
	v_and_b32_e32 v4, 0xffff0000, v4
	v_lshlrev_b32_e32 v7, 16, v11
	v_mul_f32_e32 v4, v4, v7
	v_bfe_u32 v7, v4, 16, 1
	v_add3_u32 v7, v7, v4, s35
	v_or_b32_e32 v11, 0x400000, v4
	v_cmp_u_f32_e64 s[2:3], v4, v4
	v_cndmask_b32_e64 v4, v7, v11, s[2:3]
	v_and_b32_e32 v5, 0xffff0000, v5
	v_and_b32_e32 v7, 0xffff0000, v8
	v_add_f32_e32 v5, v7, v5
	v_and_b32_e32 v3, 0xffff0000, v3
	v_and_b32_e32 v7, 0xffff0000, v18
	v_add_f32_e32 v3, v7, v3
	;; [unrolled: 3-line block ×3, first 2 shown]
	v_add_f32_e32 v1, v2, v1
	v_add_f32_e32 v1, v1, v3
	v_and_b32_e32 v2, 0xffff0000, v4
	v_and_b32_e32 v3, 0xffff0000, v6
	v_add_f32_e32 v2, v3, v2
	v_add_f32_e32 v1, v2, v1
	v_add_f32_e32 v10, v10, v1
.LBB285_90:                             ;   in Loop: Header=BB285_91 Depth=1
	s_or_b64 exec, exec, s[14:15]
	v_add_u32_e32 v23, 2, v23
	v_cmp_le_i32_e64 s[2:3], s33, v23
	s_or_b64 s[12:13], s[2:3], s[12:13]
	v_add_co_u32_e64 v13, s[2:3], 8, v13
	v_add_u32_e32 v27, 16, v27
	v_add_u32_e32 v28, 64, v28
	v_addc_co_u32_e64 v14, s[2:3], 0, v14, s[2:3]
	s_andn2_b64 exec, exec, s[12:13]
	s_cbranch_execz .LBB285_192
.LBB285_91:                             ; =>This Inner Loop Header: Depth=1
	global_load_dword v1, v[13:14], off
	v_mov_b32_e32 v30, 0
	s_waitcnt vmcnt(0)
	v_mad_i64_i32 v[17:18], s[2:3], v1, s34, v[15:16]
	v_add_co_u32_e64 v1, s[2:3], v17, v25
	v_addc_co_u32_e64 v2, s[2:3], 0, v18, s[2:3]
	global_load_dwordx2 v[19:20], v[1:2], off
	ds_read2_b64 v[5:8], v28 offset1:1
	ds_read2_b64 v[1:4], v28 offset0:2 offset1:3
	s_waitcnt vmcnt(0)
	v_cmp_ne_u16_sdwa s[2:3], v19, v12 src0_sel:BYTE_0 src1_sel:DWORD
	s_and_saveexec_b64 s[4:5], s[2:3]
	s_cbranch_execz .LBB285_97
; %bb.92:                               ;   in Loop: Header=BB285_91 Depth=1
	v_cmp_ne_u16_sdwa s[2:3], v19, s28 src0_sel:BYTE_0 src1_sel:DWORD
	v_bfrev_b32_e32 v30, 1
	s_and_saveexec_b64 s[14:15], s[2:3]
	s_cbranch_execz .LBB285_96
; %bb.93:                               ;   in Loop: Header=BB285_91 Depth=1
	v_and_b32_e32 v11, 0x7f, v19
	v_cmp_ne_u32_e64 s[2:3], s29, v11
	v_mov_b32_e32 v30, 0x7f800001
	s_and_saveexec_b64 s[16:17], s[2:3]
	s_cbranch_execz .LBB285_95
; %bb.94:                               ;   in Loop: Header=BB285_91 Depth=1
	v_and_b32_e32 v21, 7, v19
	v_ffbh_u32_e32 v21, v21
	v_min_u32_e32 v21, 32, v21
	v_lshrrev_b32_e32 v30, 3, v11
	v_subrev_u32_e32 v31, 28, v21
	v_sub_u32_e32 v21, 29, v21
	v_cmp_gt_u32_e64 s[2:3], 8, v11
	v_cndmask_b32_e64 v11, v30, v21, s[2:3]
	v_cndmask_b32_e64 v21, 0, v31, s[2:3]
	v_lshlrev_b64 v[30:31], v21, v[19:20]
	v_lshl_add_u32 v11, v11, 23, v29
	v_lshlrev_b32_e32 v21, 20, v30
	v_lshlrev_b32_e32 v30, 24, v19
	v_and_b32_e32 v21, 0x700000, v21
	v_and_b32_e32 v30, 0x80000000, v30
	v_or3_b32 v30, v30, v11, v21
.LBB285_95:                             ;   in Loop: Header=BB285_91 Depth=1
	s_or_b64 exec, exec, s[16:17]
.LBB285_96:                             ;   in Loop: Header=BB285_91 Depth=1
	s_or_b64 exec, exec, s[14:15]
.LBB285_97:                             ;   in Loop: Header=BB285_91 Depth=1
	s_or_b64 exec, exec, s[4:5]
	v_lshrrev_b16_e32 v11, 8, v19
	v_cmp_ne_u16_e64 s[2:3], 0, v11
	v_mov_b32_e32 v32, 0
	v_mov_b32_e32 v31, 0
	s_and_saveexec_b64 s[4:5], s[2:3]
	s_cbranch_execz .LBB285_103
; %bb.98:                               ;   in Loop: Header=BB285_91 Depth=1
	v_cmp_ne_u16_e64 s[2:3], s28, v11
	v_bfrev_b32_e32 v31, 1
	s_and_saveexec_b64 s[14:15], s[2:3]
	s_cbranch_execz .LBB285_102
; %bb.99:                               ;   in Loop: Header=BB285_91 Depth=1
	v_and_b32_e32 v21, 0x7f, v11
	v_cmp_ne_u32_e64 s[2:3], s29, v21
	v_mov_b32_e32 v31, 0x7f800001
	s_and_saveexec_b64 s[16:17], s[2:3]
	s_cbranch_execz .LBB285_101
; %bb.100:                              ;   in Loop: Header=BB285_91 Depth=1
	v_and_b32_e32 v31, 7, v11
	v_ffbh_u32_e32 v33, v31
	v_min_u32_e32 v36, 32, v33
	v_subrev_u32_e32 v33, 28, v36
	v_lshlrev_b64 v[33:34], v33, v[11:12]
	v_lshrrev_b32_e32 v35, 3, v21
	v_sub_u32_e32 v11, 29, v36
	v_and_b32_e32 v33, 7, v33
	v_cmp_gt_u32_e64 s[2:3], 8, v21
	v_cndmask_b32_e64 v11, v35, v11, s[2:3]
	v_cndmask_b32_e64 v21, v31, v33, s[2:3]
	v_lshlrev_b32_e32 v31, 16, v19
	v_lshlrev_b32_e32 v21, 20, v21
	v_and_b32_e32 v31, 0x80000000, v31
	v_lshl_add_u32 v11, v11, 23, v29
	v_or3_b32 v31, v31, v11, v21
.LBB285_101:                            ;   in Loop: Header=BB285_91 Depth=1
	s_or_b64 exec, exec, s[16:17]
.LBB285_102:                            ;   in Loop: Header=BB285_91 Depth=1
	s_or_b64 exec, exec, s[14:15]
.LBB285_103:                            ;   in Loop: Header=BB285_91 Depth=1
	s_or_b64 exec, exec, s[4:5]
	v_lshrrev_b32_e32 v11, 16, v19
	v_cmp_ne_u16_sdwa s[2:3], v11, v12 src0_sel:BYTE_0 src1_sel:DWORD
	s_and_saveexec_b64 s[4:5], s[2:3]
	s_cbranch_execz .LBB285_109
; %bb.104:                              ;   in Loop: Header=BB285_91 Depth=1
	v_cmp_ne_u16_sdwa s[2:3], v11, s28 src0_sel:BYTE_0 src1_sel:DWORD
	v_bfrev_b32_e32 v32, 1
	s_and_saveexec_b64 s[14:15], s[2:3]
	s_cbranch_execz .LBB285_108
; %bb.105:                              ;   in Loop: Header=BB285_91 Depth=1
	v_bfe_u32 v21, v19, 16, 7
	v_cmp_ne_u32_e64 s[2:3], s29, v21
	v_mov_b32_e32 v32, 0x7f800001
	s_and_saveexec_b64 s[16:17], s[2:3]
	s_cbranch_execz .LBB285_107
; %bb.106:                              ;   in Loop: Header=BB285_91 Depth=1
	v_and_b32_e32 v34, 7, v11
	v_ffbh_u32_e32 v32, v34
	v_min_u32_e32 v36, 32, v32
	v_subrev_u32_e32 v32, 28, v36
	v_lshlrev_b64 v[32:33], v32, v[11:12]
	v_lshrrev_b32_e32 v35, 3, v21
	v_sub_u32_e32 v33, 29, v36
	v_and_b32_e32 v32, 7, v32
	v_cmp_gt_u32_e64 s[2:3], 8, v21
	v_cndmask_b32_e64 v21, v35, v33, s[2:3]
	v_cndmask_b32_e64 v32, v34, v32, s[2:3]
	v_lshlrev_b32_e32 v11, 24, v11
	v_lshlrev_b32_e32 v32, 20, v32
	v_and_b32_e32 v11, 0x80000000, v11
	v_lshl_add_u32 v21, v21, 23, v29
	v_or3_b32 v32, v11, v21, v32
.LBB285_107:                            ;   in Loop: Header=BB285_91 Depth=1
	s_or_b64 exec, exec, s[16:17]
.LBB285_108:                            ;   in Loop: Header=BB285_91 Depth=1
	s_or_b64 exec, exec, s[14:15]
.LBB285_109:                            ;   in Loop: Header=BB285_91 Depth=1
	s_or_b64 exec, exec, s[4:5]
	v_cmp_lt_u32_e64 s[2:3], s11, v19
	v_mov_b32_e32 v34, 0
	v_mov_b32_e32 v33, 0
	s_and_saveexec_b64 s[4:5], s[2:3]
	s_cbranch_execz .LBB285_115
; %bb.110:                              ;   in Loop: Header=BB285_91 Depth=1
	v_lshrrev_b32_e32 v11, 24, v19
	v_cmp_ne_u32_e64 s[2:3], s28, v11
	v_bfrev_b32_e32 v33, 1
	s_and_saveexec_b64 s[14:15], s[2:3]
	s_cbranch_execz .LBB285_114
; %bb.111:                              ;   in Loop: Header=BB285_91 Depth=1
	v_bfe_u32 v21, v19, 24, 7
	v_cmp_ne_u32_e64 s[2:3], s29, v21
	v_mov_b32_e32 v33, 0x7f800001
	s_and_saveexec_b64 s[16:17], s[2:3]
	s_cbranch_execz .LBB285_113
; %bb.112:                              ;   in Loop: Header=BB285_91 Depth=1
	v_and_b32_e32 v33, 7, v11
	v_ffbh_u32_e32 v35, v33
	v_min_u32_e32 v38, 32, v35
	v_subrev_u32_e32 v35, 28, v38
	v_lshlrev_b64 v[35:36], v35, v[11:12]
	v_lshrrev_b32_e32 v37, 3, v21
	v_sub_u32_e32 v36, 29, v38
	v_and_b32_e32 v35, 7, v35
	v_cmp_gt_u32_e64 s[2:3], 8, v21
	v_cndmask_b32_e64 v21, v37, v36, s[2:3]
	v_cndmask_b32_e64 v33, v33, v35, s[2:3]
	v_lshlrev_b32_e32 v11, 24, v11
	v_lshlrev_b32_e32 v33, 20, v33
	v_and_b32_e32 v11, 0x80000000, v11
	v_lshl_add_u32 v21, v21, 23, v29
	v_or3_b32 v33, v11, v21, v33
.LBB285_113:                            ;   in Loop: Header=BB285_91 Depth=1
	s_or_b64 exec, exec, s[16:17]
.LBB285_114:                            ;   in Loop: Header=BB285_91 Depth=1
	s_or_b64 exec, exec, s[14:15]
.LBB285_115:                            ;   in Loop: Header=BB285_91 Depth=1
	s_or_b64 exec, exec, s[4:5]
	v_mov_b32_e32 v11, v20
	v_cmp_ne_u16_sdwa s[2:3], v20, v12 src0_sel:BYTE_0 src1_sel:DWORD
	s_and_saveexec_b64 s[4:5], s[2:3]
	s_cbranch_execz .LBB285_121
; %bb.116:                              ;   in Loop: Header=BB285_91 Depth=1
	v_cmp_ne_u16_sdwa s[2:3], v20, s28 src0_sel:BYTE_0 src1_sel:DWORD
	v_bfrev_b32_e32 v34, 1
	s_and_saveexec_b64 s[14:15], s[2:3]
	s_cbranch_execz .LBB285_120
; %bb.117:                              ;   in Loop: Header=BB285_91 Depth=1
	v_and_b32_e32 v21, 0x7f, v20
	v_cmp_ne_u32_e64 s[2:3], s29, v21
	v_mov_b32_e32 v34, 0x7f800001
	s_and_saveexec_b64 s[16:17], s[2:3]
	s_cbranch_execz .LBB285_119
; %bb.118:                              ;   in Loop: Header=BB285_91 Depth=1
	v_and_b32_e32 v34, 7, v20
	v_ffbh_u32_e32 v34, v34
	v_min_u32_e32 v34, 32, v34
	v_lshrrev_b32_e32 v35, 3, v21
	v_subrev_u32_e32 v36, 28, v34
	v_sub_u32_e32 v34, 29, v34
	v_cmp_gt_u32_e64 s[2:3], 8, v21
	v_cndmask_b32_e64 v21, v35, v34, s[2:3]
	v_cndmask_b32_e64 v34, 0, v36, s[2:3]
	v_lshlrev_b64 v[34:35], v34, v[11:12]
	v_lshlrev_b32_e32 v35, 24, v11
	v_lshlrev_b32_e32 v34, 20, v34
	v_and_b32_e32 v34, 0x700000, v34
	v_and_b32_e32 v35, 0x80000000, v35
	v_lshl_add_u32 v21, v21, 23, v29
	v_or3_b32 v34, v35, v21, v34
.LBB285_119:                            ;   in Loop: Header=BB285_91 Depth=1
	s_or_b64 exec, exec, s[16:17]
.LBB285_120:                            ;   in Loop: Header=BB285_91 Depth=1
	s_or_b64 exec, exec, s[14:15]
.LBB285_121:                            ;   in Loop: Header=BB285_91 Depth=1
	s_or_b64 exec, exec, s[4:5]
	v_lshrrev_b16_e32 v21, 8, v11
	v_cmp_ne_u16_e64 s[2:3], 0, v21
	v_mov_b32_e32 v35, 0
	v_mov_b32_e32 v36, 0
	s_and_saveexec_b64 s[4:5], s[2:3]
	s_cbranch_execz .LBB285_127
; %bb.122:                              ;   in Loop: Header=BB285_91 Depth=1
	v_cmp_ne_u16_e64 s[2:3], s28, v21
	v_bfrev_b32_e32 v36, 1
	s_and_saveexec_b64 s[14:15], s[2:3]
	s_cbranch_execz .LBB285_126
; %bb.123:                              ;   in Loop: Header=BB285_91 Depth=1
	v_and_b32_e32 v37, 0x7f, v21
	v_cmp_ne_u32_e64 s[2:3], s29, v37
	v_mov_b32_e32 v36, 0x7f800001
	s_and_saveexec_b64 s[16:17], s[2:3]
	s_cbranch_execz .LBB285_125
; %bb.124:                              ;   in Loop: Header=BB285_91 Depth=1
	v_and_b32_e32 v36, 7, v21
	v_ffbh_u32_e32 v38, v36
	v_min_u32_e32 v41, 32, v38
	v_subrev_u32_e32 v38, 28, v41
	v_lshlrev_b64 v[38:39], v38, v[21:22]
	v_lshrrev_b32_e32 v40, 3, v37
	v_sub_u32_e32 v21, 29, v41
	v_and_b32_e32 v38, 7, v38
	v_cmp_gt_u32_e64 s[2:3], 8, v37
	v_cndmask_b32_e64 v21, v40, v21, s[2:3]
	v_cndmask_b32_e64 v36, v36, v38, s[2:3]
	v_lshlrev_b32_e32 v11, 16, v11
	v_lshlrev_b32_e32 v36, 20, v36
	v_and_b32_e32 v11, 0x80000000, v11
	v_lshl_add_u32 v21, v21, 23, v29
	v_or3_b32 v36, v11, v21, v36
.LBB285_125:                            ;   in Loop: Header=BB285_91 Depth=1
	s_or_b64 exec, exec, s[16:17]
.LBB285_126:                            ;   in Loop: Header=BB285_91 Depth=1
	s_or_b64 exec, exec, s[14:15]
.LBB285_127:                            ;   in Loop: Header=BB285_91 Depth=1
	s_or_b64 exec, exec, s[4:5]
	v_lshrrev_b32_e32 v11, 16, v20
	v_cmp_ne_u16_sdwa s[2:3], v11, v12 src0_sel:BYTE_0 src1_sel:DWORD
	s_and_saveexec_b64 s[4:5], s[2:3]
	s_cbranch_execz .LBB285_133
; %bb.128:                              ;   in Loop: Header=BB285_91 Depth=1
	v_cmp_ne_u16_sdwa s[2:3], v11, s28 src0_sel:BYTE_0 src1_sel:DWORD
	v_bfrev_b32_e32 v35, 1
	s_and_saveexec_b64 s[14:15], s[2:3]
	s_cbranch_execz .LBB285_132
; %bb.129:                              ;   in Loop: Header=BB285_91 Depth=1
	v_bfe_u32 v21, v20, 16, 7
	v_cmp_ne_u32_e64 s[2:3], s29, v21
	v_mov_b32_e32 v35, 0x7f800001
	s_and_saveexec_b64 s[16:17], s[2:3]
	s_cbranch_execz .LBB285_131
; %bb.130:                              ;   in Loop: Header=BB285_91 Depth=1
	v_and_b32_e32 v35, 7, v11
	v_ffbh_u32_e32 v37, v35
	v_min_u32_e32 v40, 32, v37
	v_subrev_u32_e32 v37, 28, v40
	v_lshlrev_b64 v[37:38], v37, v[11:12]
	v_lshrrev_b32_e32 v39, 3, v21
	v_sub_u32_e32 v38, 29, v40
	v_and_b32_e32 v37, 7, v37
	v_cmp_gt_u32_e64 s[2:3], 8, v21
	v_cndmask_b32_e64 v21, v39, v38, s[2:3]
	v_cndmask_b32_e64 v35, v35, v37, s[2:3]
	v_lshlrev_b32_e32 v11, 24, v11
	v_lshlrev_b32_e32 v35, 20, v35
	v_and_b32_e32 v11, 0x80000000, v11
	v_lshl_add_u32 v21, v21, 23, v29
	v_or3_b32 v35, v11, v21, v35
.LBB285_131:                            ;   in Loop: Header=BB285_91 Depth=1
	s_or_b64 exec, exec, s[16:17]
.LBB285_132:                            ;   in Loop: Header=BB285_91 Depth=1
	s_or_b64 exec, exec, s[14:15]
.LBB285_133:                            ;   in Loop: Header=BB285_91 Depth=1
	s_or_b64 exec, exec, s[4:5]
	v_cmp_lt_u64_e64 s[2:3], s[10:11], v[19:20]
	v_mov_b32_e32 v21, 0
	s_and_saveexec_b64 s[4:5], s[2:3]
	s_cbranch_execz .LBB285_139
; %bb.134:                              ;   in Loop: Header=BB285_91 Depth=1
	v_lshrrev_b32_e32 v11, 24, v20
	v_cmp_ne_u32_e64 s[2:3], s28, v11
	v_bfrev_b32_e32 v21, 1
	s_and_saveexec_b64 s[14:15], s[2:3]
	s_cbranch_execz .LBB285_138
; %bb.135:                              ;   in Loop: Header=BB285_91 Depth=1
	v_bfe_u32 v19, v20, 24, 7
	v_cmp_ne_u32_e64 s[2:3], s29, v19
	v_mov_b32_e32 v21, 0x7f800001
	s_and_saveexec_b64 s[16:17], s[2:3]
	s_cbranch_execz .LBB285_137
; %bb.136:                              ;   in Loop: Header=BB285_91 Depth=1
	v_and_b32_e32 v37, 7, v11
	v_ffbh_u32_e32 v20, v37
	v_min_u32_e32 v39, 32, v20
	v_subrev_u32_e32 v20, 28, v39
	v_lshlrev_b64 v[20:21], v20, v[11:12]
	v_lshrrev_b32_e32 v38, 3, v19
	v_sub_u32_e32 v21, 29, v39
	v_and_b32_e32 v20, 7, v20
	v_cmp_gt_u32_e64 s[2:3], 8, v19
	v_cndmask_b32_e64 v19, v38, v21, s[2:3]
	v_cndmask_b32_e64 v20, v37, v20, s[2:3]
	v_lshlrev_b32_e32 v11, 24, v11
	v_lshlrev_b32_e32 v20, 20, v20
	v_and_b32_e32 v11, 0x80000000, v11
	v_lshl_add_u32 v19, v19, 23, v29
	v_or3_b32 v21, v11, v19, v20
.LBB285_137:                            ;   in Loop: Header=BB285_91 Depth=1
	s_or_b64 exec, exec, s[16:17]
.LBB285_138:                            ;   in Loop: Header=BB285_91 Depth=1
	s_or_b64 exec, exec, s[14:15]
.LBB285_139:                            ;   in Loop: Header=BB285_91 Depth=1
	s_or_b64 exec, exec, s[4:5]
	s_waitcnt lgkmcnt(0)
	v_mul_f32_e32 v11, s31, v36
	v_bfe_u32 v20, v11, 16, 1
	v_add3_u32 v20, v20, v11, s35
	v_or_b32_e32 v36, 0x400000, v11
	v_cmp_u_f32_e64 s[4:5], v11, v11
	v_cndmask_b32_e64 v11, v20, v36, s[4:5]
	v_mul_f32_e32 v20, s31, v34
	v_bfe_u32 v34, v20, 16, 1
	v_add3_u32 v34, v34, v20, s35
	v_or_b32_e32 v36, 0x400000, v20
	v_cmp_u_f32_e64 s[4:5], v20, v20
	v_cndmask_b32_e64 v20, v34, v36, s[4:5]
	v_lshrrev_b32_e32 v34, 16, v20
	v_mul_f32_e32 v20, s31, v33
	v_bfe_u32 v33, v20, 16, 1
	v_add3_u32 v33, v33, v20, s35
	v_or_b32_e32 v36, 0x400000, v20
	v_cmp_u_f32_e64 s[4:5], v20, v20
	v_cndmask_b32_e64 v20, v33, v36, s[4:5]
	v_lshrrev_b32_e32 v33, 16, v20
	;; [unrolled: 7-line block ×6, first 2 shown]
	v_mul_f32_e32 v20, s31, v21
	v_bfe_u32 v21, v20, 16, 1
	v_add3_u32 v21, v21, v20, s35
	v_or_b32_e32 v30, 0x400000, v20
	v_cmp_u_f32_e64 s[4:5], v20, v20
	v_cndmask_b32_e64 v20, v21, v30, s[4:5]
	v_add_u32_e32 v19, -7, v27
	v_cmp_eq_u32_e64 s[2:3], s30, v23
	v_lshrrev_b32_e32 v11, 16, v11
	v_lshrrev_b32_e32 v31, 16, v20
	s_and_saveexec_b64 s[14:15], s[2:3]
	s_cbranch_execz .LBB285_141
; %bb.140:                              ;   in Loop: Header=BB285_91 Depth=1
	v_cmp_gt_i32_e64 s[4:5], s21, v19
	v_add_u32_e32 v20, -6, v27
	v_cndmask_b32_e64 v38, 0, v38, s[4:5]
	v_cmp_gt_i32_e64 s[4:5], s21, v20
	v_add_u32_e32 v20, -5, v27
	v_cndmask_b32_e64 v37, 0, v37, s[4:5]
	;; [unrolled: 3-line block ×6, first 2 shown]
	v_cmp_gt_i32_e64 s[4:5], s21, v20
	v_cndmask_b32_e64 v32, 0, v32, s[4:5]
	v_cmp_gt_i32_e64 s[4:5], s21, v27
	v_cndmask_b32_e64 v31, 0, v31, s[4:5]
.LBB285_141:                            ;   in Loop: Header=BB285_91 Depth=1
	s_or_b64 exec, exec, s[14:15]
	v_bfe_u32 v20, v5, 16, 1
	v_add3_u32 v20, v20, v5, s35
	v_or_b32_e32 v21, 0x400000, v5
	v_cmp_u_f32_e64 s[4:5], v5, v5
	v_cndmask_b32_e64 v5, v20, v21, s[4:5]
	v_bfe_u32 v20, v6, 16, 1
	v_add3_u32 v20, v20, v6, s35
	v_or_b32_e32 v21, 0x400000, v6
	v_cmp_u_f32_e64 s[4:5], v6, v6
	v_cndmask_b32_e64 v6, v20, v21, s[4:5]
	;; [unrolled: 5-line block ×4, first 2 shown]
	v_bfe_u32 v20, v1, 16, 1
	v_add3_u32 v20, v20, v1, s35
	v_or_b32_e32 v21, 0x400000, v1
	v_cmp_u_f32_e64 s[4:5], v1, v1
	v_bfe_u32 v1, v2, 16, 1
	v_cndmask_b32_e64 v20, v20, v21, s[4:5]
	v_add3_u32 v1, v1, v2, s35
	v_or_b32_e32 v21, 0x400000, v2
	v_cmp_u_f32_e64 s[4:5], v2, v2
	v_cndmask_b32_e64 v21, v1, v21, s[4:5]
	v_bfe_u32 v1, v3, 16, 1
	v_add3_u32 v1, v1, v3, s35
	v_or_b32_e32 v2, 0x400000, v3
	v_cmp_u_f32_e64 s[4:5], v3, v3
	v_cndmask_b32_e64 v30, v1, v2, s[4:5]
	v_bfe_u32 v1, v4, 16, 1
	v_add3_u32 v1, v1, v4, s35
	v_or_b32_e32 v2, 0x400000, v4
	v_cmp_u_f32_e64 s[4:5], v4, v4
	v_cndmask_b32_e64 v4, v1, v2, s[4:5]
	v_and_b32_e32 v1, 0xffff0000, v5
	v_lshlrev_b32_e32 v2, 16, v38
	v_mul_f32_e32 v1, v1, v2
	v_bfe_u32 v2, v1, 16, 1
	v_add3_u32 v2, v2, v1, s35
	v_or_b32_e32 v3, 0x400000, v1
	v_cmp_u_f32_e64 s[4:5], v1, v1
	v_cndmask_b32_e64 v1, v2, v3, s[4:5]
	v_and_b32_e32 v2, 0xffff0000, v6
	v_lshlrev_b32_e32 v3, 16, v37
	v_mul_f32_e32 v2, v2, v3
	;; [unrolled: 8-line block ×7, first 2 shown]
	v_bfe_u32 v35, v32, 16, 1
	v_add3_u32 v35, v35, v32, s35
	v_or_b32_e32 v36, 0x400000, v32
	v_cmp_u_f32_e64 s[4:5], v32, v32
	v_cndmask_b32_e64 v32, v35, v36, s[4:5]
	v_and_b32_e32 v35, 0xffff0000, v4
	v_lshlrev_b32_e32 v31, 16, v31
	v_and_b32_e32 v2, 0xffff0000, v2
	v_and_b32_e32 v1, 0xffff0000, v1
	v_mul_f32_e32 v31, v35, v31
	v_add_f32_e32 v1, v1, v2
	v_and_b32_e32 v2, 0xffff0000, v33
	v_and_b32_e32 v3, 0xffff0000, v3
	v_bfe_u32 v35, v31, 16, 1
	v_add_f32_e32 v2, v3, v2
	v_add3_u32 v35, v35, v31, s35
	v_or_b32_e32 v36, 0x400000, v31
	v_cmp_u_f32_e64 s[4:5], v31, v31
	v_add_f32_e32 v1, v2, v1
	v_and_b32_e32 v2, 0xffff0000, v11
	v_and_b32_e32 v3, 0xffff0000, v34
	v_cndmask_b32_e64 v31, v35, v36, s[4:5]
	v_add_f32_e32 v2, v3, v2
	v_add_f32_e32 v1, v2, v1
	v_and_b32_e32 v2, 0xffff0000, v31
	v_and_b32_e32 v3, 0xffff0000, v32
	v_add_f32_e32 v2, v3, v2
	v_add_f32_e32 v1, v2, v1
	v_add_f32_e32 v9, v9, v1
	s_and_saveexec_b64 s[14:15], vcc
	s_cbranch_execz .LBB285_90
; %bb.142:                              ;   in Loop: Header=BB285_91 Depth=1
	v_add_co_u32_e64 v1, s[4:5], v17, v26
	v_addc_co_u32_e64 v2, s[4:5], 0, v18, s[4:5]
	global_load_dwordx2 v[1:2], v[1:2], off
	v_mov_b32_e32 v18, 0
	v_mov_b32_e32 v17, 0
	s_waitcnt vmcnt(0)
	v_cmp_ne_u16_sdwa s[4:5], v1, v12 src0_sel:BYTE_0 src1_sel:DWORD
	s_and_saveexec_b64 s[16:17], s[4:5]
	s_cbranch_execz .LBB285_148
; %bb.143:                              ;   in Loop: Header=BB285_91 Depth=1
	v_cmp_ne_u16_sdwa s[4:5], v1, s28 src0_sel:BYTE_0 src1_sel:DWORD
	v_bfrev_b32_e32 v17, 1
	s_and_saveexec_b64 s[18:19], s[4:5]
	s_cbranch_execz .LBB285_147
; %bb.144:                              ;   in Loop: Header=BB285_91 Depth=1
	v_and_b32_e32 v3, 0x7f, v1
	v_cmp_ne_u32_e64 s[4:5], s29, v3
	v_mov_b32_e32 v17, 0x7f800001
	s_and_saveexec_b64 s[26:27], s[4:5]
	s_cbranch_execz .LBB285_146
; %bb.145:                              ;   in Loop: Header=BB285_91 Depth=1
	v_and_b32_e32 v11, 7, v1
	v_ffbh_u32_e32 v11, v11
	v_min_u32_e32 v11, 32, v11
	v_lshrrev_b32_e32 v17, 3, v3
	v_subrev_u32_e32 v31, 28, v11
	v_sub_u32_e32 v11, 29, v11
	v_cmp_gt_u32_e64 s[4:5], 8, v3
	v_cndmask_b32_e64 v3, v17, v11, s[4:5]
	v_cndmask_b32_e64 v11, 0, v31, s[4:5]
	v_lshlrev_b64 v[31:32], v11, v[1:2]
	v_lshlrev_b32_e32 v17, 24, v1
	v_lshlrev_b32_e32 v11, 20, v31
	v_and_b32_e32 v11, 0x700000, v11
	v_and_b32_e32 v17, 0x80000000, v17
	v_lshl_add_u32 v3, v3, 23, v29
	v_or3_b32 v17, v17, v3, v11
.LBB285_146:                            ;   in Loop: Header=BB285_91 Depth=1
	s_or_b64 exec, exec, s[26:27]
.LBB285_147:                            ;   in Loop: Header=BB285_91 Depth=1
	s_or_b64 exec, exec, s[18:19]
.LBB285_148:                            ;   in Loop: Header=BB285_91 Depth=1
	s_or_b64 exec, exec, s[16:17]
	v_lshrrev_b16_e32 v3, 8, v1
	v_cmp_ne_u16_e64 s[4:5], 0, v3
	s_and_saveexec_b64 s[16:17], s[4:5]
	s_cbranch_execz .LBB285_154
; %bb.149:                              ;   in Loop: Header=BB285_91 Depth=1
	v_cmp_ne_u16_e64 s[4:5], s28, v3
	v_bfrev_b32_e32 v18, 1
	s_and_saveexec_b64 s[18:19], s[4:5]
	s_cbranch_execz .LBB285_153
; %bb.150:                              ;   in Loop: Header=BB285_91 Depth=1
	v_and_b32_e32 v11, 0x7f, v3
	v_cmp_ne_u32_e64 s[4:5], s29, v11
	v_mov_b32_e32 v18, 0x7f800001
	s_and_saveexec_b64 s[26:27], s[4:5]
	s_cbranch_execz .LBB285_152
; %bb.151:                              ;   in Loop: Header=BB285_91 Depth=1
	v_and_b32_e32 v18, 7, v3
	v_ffbh_u32_e32 v31, v18
	v_min_u32_e32 v34, 32, v31
	v_subrev_u32_e32 v31, 28, v34
	v_lshlrev_b64 v[31:32], v31, v[3:4]
	v_lshrrev_b32_e32 v33, 3, v11
	v_sub_u32_e32 v3, 29, v34
	v_and_b32_e32 v31, 7, v31
	v_cmp_gt_u32_e64 s[4:5], 8, v11
	v_cndmask_b32_e64 v3, v33, v3, s[4:5]
	v_cndmask_b32_e64 v11, v18, v31, s[4:5]
	v_lshlrev_b32_e32 v18, 16, v1
	v_lshlrev_b32_e32 v11, 20, v11
	v_and_b32_e32 v18, 0x80000000, v18
	v_lshl_add_u32 v3, v3, 23, v29
	v_or3_b32 v18, v18, v3, v11
.LBB285_152:                            ;   in Loop: Header=BB285_91 Depth=1
	s_or_b64 exec, exec, s[26:27]
.LBB285_153:                            ;   in Loop: Header=BB285_91 Depth=1
	s_or_b64 exec, exec, s[18:19]
.LBB285_154:                            ;   in Loop: Header=BB285_91 Depth=1
	s_or_b64 exec, exec, s[16:17]
	v_lshrrev_b32_e32 v3, 16, v1
	v_cmp_ne_u16_sdwa s[4:5], v3, v12 src0_sel:BYTE_0 src1_sel:DWORD
	v_mov_b32_e32 v32, 0
	v_mov_b32_e32 v31, 0
	s_and_saveexec_b64 s[16:17], s[4:5]
	s_cbranch_execz .LBB285_160
; %bb.155:                              ;   in Loop: Header=BB285_91 Depth=1
	v_cmp_ne_u16_sdwa s[4:5], v3, s28 src0_sel:BYTE_0 src1_sel:DWORD
	v_bfrev_b32_e32 v31, 1
	s_and_saveexec_b64 s[18:19], s[4:5]
	s_cbranch_execz .LBB285_159
; %bb.156:                              ;   in Loop: Header=BB285_91 Depth=1
	v_bfe_u32 v11, v1, 16, 7
	v_cmp_ne_u32_e64 s[4:5], s29, v11
	v_mov_b32_e32 v31, 0x7f800001
	s_and_saveexec_b64 s[26:27], s[4:5]
	s_cbranch_execz .LBB285_158
; %bb.157:                              ;   in Loop: Header=BB285_91 Depth=1
	v_and_b32_e32 v31, 7, v3
	v_ffbh_u32_e32 v33, v31
	v_min_u32_e32 v36, 32, v33
	v_subrev_u32_e32 v33, 28, v36
	v_lshlrev_b64 v[33:34], v33, v[3:4]
	v_lshrrev_b32_e32 v35, 3, v11
	v_sub_u32_e32 v34, 29, v36
	v_and_b32_e32 v33, 7, v33
	v_cmp_gt_u32_e64 s[4:5], 8, v11
	v_cndmask_b32_e64 v11, v35, v34, s[4:5]
	v_cndmask_b32_e64 v31, v31, v33, s[4:5]
	v_lshlrev_b32_e32 v3, 24, v3
	v_lshlrev_b32_e32 v31, 20, v31
	v_and_b32_e32 v3, 0x80000000, v3
	v_lshl_add_u32 v11, v11, 23, v29
	v_or3_b32 v31, v3, v11, v31
.LBB285_158:                            ;   in Loop: Header=BB285_91 Depth=1
	s_or_b64 exec, exec, s[26:27]
.LBB285_159:                            ;   in Loop: Header=BB285_91 Depth=1
	s_or_b64 exec, exec, s[18:19]
.LBB285_160:                            ;   in Loop: Header=BB285_91 Depth=1
	s_or_b64 exec, exec, s[16:17]
	v_cmp_lt_u32_e64 s[4:5], s11, v1
	s_and_saveexec_b64 s[16:17], s[4:5]
	s_cbranch_execz .LBB285_166
; %bb.161:                              ;   in Loop: Header=BB285_91 Depth=1
	v_lshrrev_b32_e32 v3, 24, v1
	v_cmp_ne_u32_e64 s[4:5], s28, v3
	v_bfrev_b32_e32 v32, 1
	s_and_saveexec_b64 s[18:19], s[4:5]
	s_cbranch_execz .LBB285_165
; %bb.162:                              ;   in Loop: Header=BB285_91 Depth=1
	v_bfe_u32 v11, v1, 24, 7
	v_cmp_ne_u32_e64 s[4:5], s29, v11
	v_mov_b32_e32 v32, 0x7f800001
	s_and_saveexec_b64 s[26:27], s[4:5]
	s_cbranch_execz .LBB285_164
; %bb.163:                              ;   in Loop: Header=BB285_91 Depth=1
	v_and_b32_e32 v34, 7, v3
	v_ffbh_u32_e32 v32, v34
	v_min_u32_e32 v36, 32, v32
	v_subrev_u32_e32 v32, 28, v36
	v_lshlrev_b64 v[32:33], v32, v[3:4]
	v_lshrrev_b32_e32 v35, 3, v11
	v_sub_u32_e32 v33, 29, v36
	v_and_b32_e32 v32, 7, v32
	v_cmp_gt_u32_e64 s[4:5], 8, v11
	v_cndmask_b32_e64 v11, v35, v33, s[4:5]
	v_cndmask_b32_e64 v32, v34, v32, s[4:5]
	v_lshlrev_b32_e32 v3, 24, v3
	v_lshlrev_b32_e32 v32, 20, v32
	v_and_b32_e32 v3, 0x80000000, v3
	v_lshl_add_u32 v11, v11, 23, v29
	v_or3_b32 v32, v3, v11, v32
.LBB285_164:                            ;   in Loop: Header=BB285_91 Depth=1
	s_or_b64 exec, exec, s[26:27]
.LBB285_165:                            ;   in Loop: Header=BB285_91 Depth=1
	s_or_b64 exec, exec, s[18:19]
.LBB285_166:                            ;   in Loop: Header=BB285_91 Depth=1
	s_or_b64 exec, exec, s[16:17]
	v_mov_b32_e32 v11, v2
	v_cmp_ne_u16_sdwa s[4:5], v2, v12 src0_sel:BYTE_0 src1_sel:DWORD
	v_mov_b32_e32 v34, 0
	v_mov_b32_e32 v33, 0
	s_and_saveexec_b64 s[16:17], s[4:5]
	s_cbranch_execz .LBB285_172
; %bb.167:                              ;   in Loop: Header=BB285_91 Depth=1
	v_cmp_ne_u16_sdwa s[4:5], v2, s28 src0_sel:BYTE_0 src1_sel:DWORD
	v_bfrev_b32_e32 v33, 1
	s_and_saveexec_b64 s[18:19], s[4:5]
	s_cbranch_execz .LBB285_171
; %bb.168:                              ;   in Loop: Header=BB285_91 Depth=1
	v_and_b32_e32 v3, 0x7f, v2
	v_cmp_ne_u32_e64 s[4:5], s29, v3
	v_mov_b32_e32 v33, 0x7f800001
	s_and_saveexec_b64 s[26:27], s[4:5]
	s_cbranch_execz .LBB285_170
; %bb.169:                              ;   in Loop: Header=BB285_91 Depth=1
	v_and_b32_e32 v33, 7, v2
	v_ffbh_u32_e32 v33, v33
	v_min_u32_e32 v33, 32, v33
	v_lshrrev_b32_e32 v35, 3, v3
	v_subrev_u32_e32 v36, 28, v33
	v_sub_u32_e32 v33, 29, v33
	v_cmp_gt_u32_e64 s[4:5], 8, v3
	v_cndmask_b32_e64 v3, v35, v33, s[4:5]
	v_cndmask_b32_e64 v33, 0, v36, s[4:5]
	v_lshlrev_b64 v[35:36], v33, v[11:12]
	v_lshl_add_u32 v3, v3, 23, v29
	v_lshlrev_b32_e32 v33, 20, v35
	v_lshlrev_b32_e32 v35, 24, v11
	v_and_b32_e32 v33, 0x700000, v33
	v_and_b32_e32 v35, 0x80000000, v35
	v_or3_b32 v33, v35, v3, v33
.LBB285_170:                            ;   in Loop: Header=BB285_91 Depth=1
	s_or_b64 exec, exec, s[26:27]
.LBB285_171:                            ;   in Loop: Header=BB285_91 Depth=1
	s_or_b64 exec, exec, s[18:19]
.LBB285_172:                            ;   in Loop: Header=BB285_91 Depth=1
	s_or_b64 exec, exec, s[16:17]
	v_lshrrev_b16_e32 v3, 8, v11
	v_cmp_ne_u16_e64 s[4:5], 0, v3
	s_and_saveexec_b64 s[16:17], s[4:5]
	s_cbranch_execz .LBB285_178
; %bb.173:                              ;   in Loop: Header=BB285_91 Depth=1
	v_cmp_ne_u16_e64 s[4:5], s28, v3
	v_bfrev_b32_e32 v34, 1
	s_and_saveexec_b64 s[18:19], s[4:5]
	s_cbranch_execz .LBB285_177
; %bb.174:                              ;   in Loop: Header=BB285_91 Depth=1
	v_and_b32_e32 v35, 0x7f, v3
	v_cmp_ne_u32_e64 s[4:5], s29, v35
	v_mov_b32_e32 v34, 0x7f800001
	s_and_saveexec_b64 s[26:27], s[4:5]
	s_cbranch_execz .LBB285_176
; %bb.175:                              ;   in Loop: Header=BB285_91 Depth=1
	v_and_b32_e32 v34, 7, v3
	v_ffbh_u32_e32 v36, v34
	v_min_u32_e32 v39, 32, v36
	v_subrev_u32_e32 v36, 28, v39
	v_lshlrev_b64 v[36:37], v36, v[3:4]
	v_lshrrev_b32_e32 v38, 3, v35
	v_sub_u32_e32 v3, 29, v39
	v_and_b32_e32 v36, 7, v36
	v_cmp_gt_u32_e64 s[4:5], 8, v35
	v_cndmask_b32_e64 v3, v38, v3, s[4:5]
	v_cndmask_b32_e64 v34, v34, v36, s[4:5]
	v_lshlrev_b32_e32 v11, 16, v11
	v_lshlrev_b32_e32 v34, 20, v34
	v_and_b32_e32 v11, 0x80000000, v11
	v_lshl_add_u32 v3, v3, 23, v29
	v_or3_b32 v34, v11, v3, v34
.LBB285_176:                            ;   in Loop: Header=BB285_91 Depth=1
	s_or_b64 exec, exec, s[26:27]
.LBB285_177:                            ;   in Loop: Header=BB285_91 Depth=1
	s_or_b64 exec, exec, s[18:19]
.LBB285_178:                            ;   in Loop: Header=BB285_91 Depth=1
	s_or_b64 exec, exec, s[16:17]
	v_lshrrev_b32_e32 v3, 16, v2
	v_cmp_ne_u16_sdwa s[4:5], v3, v12 src0_sel:BYTE_0 src1_sel:DWORD
	v_mov_b32_e32 v11, 0
	v_mov_b32_e32 v35, 0
	s_and_saveexec_b64 s[16:17], s[4:5]
	s_cbranch_execz .LBB285_184
; %bb.179:                              ;   in Loop: Header=BB285_91 Depth=1
	v_cmp_ne_u16_sdwa s[4:5], v3, s28 src0_sel:BYTE_0 src1_sel:DWORD
	v_bfrev_b32_e32 v35, 1
	s_and_saveexec_b64 s[18:19], s[4:5]
	s_cbranch_execz .LBB285_183
; %bb.180:                              ;   in Loop: Header=BB285_91 Depth=1
	v_bfe_u32 v36, v2, 16, 7
	v_cmp_ne_u32_e64 s[4:5], s29, v36
	v_mov_b32_e32 v35, 0x7f800001
	s_and_saveexec_b64 s[26:27], s[4:5]
	s_cbranch_execz .LBB285_182
; %bb.181:                              ;   in Loop: Header=BB285_91 Depth=1
	v_and_b32_e32 v35, 7, v3
	v_ffbh_u32_e32 v37, v35
	v_min_u32_e32 v40, 32, v37
	v_subrev_u32_e32 v37, 28, v40
	v_lshlrev_b64 v[37:38], v37, v[3:4]
	v_lshrrev_b32_e32 v39, 3, v36
	v_sub_u32_e32 v38, 29, v40
	v_and_b32_e32 v37, 7, v37
	v_cmp_gt_u32_e64 s[4:5], 8, v36
	v_cndmask_b32_e64 v36, v39, v38, s[4:5]
	v_cndmask_b32_e64 v35, v35, v37, s[4:5]
	v_lshlrev_b32_e32 v3, 24, v3
	v_lshlrev_b32_e32 v35, 20, v35
	v_and_b32_e32 v3, 0x80000000, v3
	v_lshl_add_u32 v36, v36, 23, v29
	v_or3_b32 v35, v3, v36, v35
.LBB285_182:                            ;   in Loop: Header=BB285_91 Depth=1
	s_or_b64 exec, exec, s[26:27]
.LBB285_183:                            ;   in Loop: Header=BB285_91 Depth=1
	s_or_b64 exec, exec, s[18:19]
.LBB285_184:                            ;   in Loop: Header=BB285_91 Depth=1
	s_or_b64 exec, exec, s[16:17]
	v_cmp_lt_u64_e64 s[4:5], s[10:11], v[1:2]
	s_and_saveexec_b64 s[16:17], s[4:5]
	s_cbranch_execz .LBB285_190
; %bb.185:                              ;   in Loop: Header=BB285_91 Depth=1
	v_lshrrev_b32_e32 v1, 24, v2
	v_cmp_ne_u32_e64 s[4:5], s28, v1
	v_bfrev_b32_e32 v11, 1
	s_and_saveexec_b64 s[18:19], s[4:5]
	s_cbranch_execz .LBB285_189
; %bb.186:                              ;   in Loop: Header=BB285_91 Depth=1
	v_bfe_u32 v2, v2, 24, 7
	v_cmp_ne_u32_e64 s[4:5], s29, v2
	v_mov_b32_e32 v11, 0x7f800001
	s_and_saveexec_b64 s[26:27], s[4:5]
	s_cbranch_execz .LBB285_188
; %bb.187:                              ;   in Loop: Header=BB285_91 Depth=1
	v_and_b32_e32 v3, 7, v1
	v_ffbh_u32_e32 v36, v3
	v_min_u32_e32 v38, 32, v36
	v_subrev_u32_e32 v36, 28, v38
	v_lshlrev_b64 v[36:37], v36, v[1:2]
	v_lshrrev_b32_e32 v11, 3, v2
	v_sub_u32_e32 v37, 29, v38
	v_and_b32_e32 v36, 7, v36
	v_cmp_gt_u32_e64 s[4:5], 8, v2
	v_cndmask_b32_e64 v2, v11, v37, s[4:5]
	v_cndmask_b32_e64 v3, v3, v36, s[4:5]
	v_lshlrev_b32_e32 v1, 24, v1
	v_lshlrev_b32_e32 v3, 20, v3
	v_and_b32_e32 v1, 0x80000000, v1
	v_lshl_add_u32 v2, v2, 23, v29
	v_or3_b32 v11, v1, v2, v3
.LBB285_188:                            ;   in Loop: Header=BB285_91 Depth=1
	s_or_b64 exec, exec, s[26:27]
.LBB285_189:                            ;   in Loop: Header=BB285_91 Depth=1
	s_or_b64 exec, exec, s[18:19]
.LBB285_190:                            ;   in Loop: Header=BB285_91 Depth=1
	s_or_b64 exec, exec, s[16:17]
	v_mul_f32_e32 v1, s31, v34
	v_bfe_u32 v2, v1, 16, 1
	v_add3_u32 v2, v2, v1, s35
	v_or_b32_e32 v3, 0x400000, v1
	v_cmp_u_f32_e64 s[4:5], v1, v1
	v_cndmask_b32_e64 v1, v2, v3, s[4:5]
	v_mul_f32_e32 v2, s31, v33
	v_bfe_u32 v3, v2, 16, 1
	v_add3_u32 v3, v3, v2, s35
	v_or_b32_e32 v33, 0x400000, v2
	v_cmp_u_f32_e64 s[4:5], v2, v2
	v_cndmask_b32_e64 v2, v3, v33, s[4:5]
	v_mul_f32_e32 v3, s31, v32
	v_bfe_u32 v32, v3, 16, 1
	v_add3_u32 v32, v32, v3, s35
	v_or_b32_e32 v33, 0x400000, v3
	v_cmp_u_f32_e64 s[4:5], v3, v3
	v_mul_f32_e32 v31, s31, v31
	v_cndmask_b32_e64 v3, v32, v33, s[4:5]
	v_bfe_u32 v32, v31, 16, 1
	v_add3_u32 v32, v32, v31, s35
	v_or_b32_e32 v33, 0x400000, v31
	v_cmp_u_f32_e64 s[4:5], v31, v31
	v_mul_f32_e32 v18, s31, v18
	v_cndmask_b32_e64 v31, v32, v33, s[4:5]
	;; [unrolled: 6-line block ×3, first 2 shown]
	v_bfe_u32 v32, v17, 16, 1
	v_add3_u32 v32, v32, v17, s35
	v_or_b32_e32 v33, 0x400000, v17
	v_cmp_u_f32_e64 s[4:5], v17, v17
	v_cndmask_b32_e64 v17, v32, v33, s[4:5]
	v_lshrrev_b32_e32 v32, 16, v17
	v_mul_f32_e32 v17, s31, v35
	v_bfe_u32 v33, v17, 16, 1
	v_add3_u32 v33, v33, v17, s35
	v_or_b32_e32 v34, 0x400000, v17
	v_cmp_u_f32_e64 s[4:5], v17, v17
	v_mul_f32_e32 v11, s31, v11
	v_cndmask_b32_e64 v17, v33, v34, s[4:5]
	v_bfe_u32 v33, v11, 16, 1
	v_add3_u32 v33, v33, v11, s35
	v_or_b32_e32 v34, 0x400000, v11
	v_cmp_u_f32_e64 s[4:5], v11, v11
	v_cndmask_b32_e64 v11, v33, v34, s[4:5]
	v_lshrrev_b32_e32 v1, 16, v1
	v_lshrrev_b32_e32 v2, 16, v2
	;; [unrolled: 1-line block ×7, first 2 shown]
	s_and_saveexec_b64 s[4:5], s[2:3]
	s_cbranch_execz .LBB285_89
; %bb.191:                              ;   in Loop: Header=BB285_91 Depth=1
	v_cmp_gt_i32_e64 s[2:3], s21, v19
	v_add_u32_e32 v19, -6, v27
	v_cndmask_b32_e64 v32, 0, v32, s[2:3]
	v_cmp_gt_i32_e64 s[2:3], s21, v19
	v_add_u32_e32 v19, -5, v27
	v_cndmask_b32_e64 v18, 0, v18, s[2:3]
	;; [unrolled: 3-line block ×6, first 2 shown]
	v_cmp_gt_i32_e64 s[2:3], s21, v19
	v_cndmask_b32_e64 v17, 0, v17, s[2:3]
	v_cmp_gt_i32_e64 s[2:3], s21, v27
	v_cndmask_b32_e64 v11, 0, v11, s[2:3]
	s_branch .LBB285_89
.LBB285_192:
	s_or_b64 exec, exec, s[12:13]
.LBB285_193:
	s_or_b64 exec, exec, s[6:7]
	v_and_b32_e32 v1, 0x3c0, v0
	v_cmp_eq_u32_e32 vcc, 64, v1
	s_barrier
	s_and_saveexec_b64 s[2:3], vcc
	s_cbranch_execz .LBB285_196
; %bb.194:
	v_mov_b32_e32 v1, 0xb0
	v_lshl_add_u32 v2, v24, 2, v1
	ds_write_b32 v2, v9
	s_and_b64 exec, exec, s[0:1]
; %bb.195:
	v_lshl_add_u32 v1, v0, 2, v1
	ds_write_b32 v1, v10
.LBB285_196:
	s_or_b64 exec, exec, s[2:3]
	v_cmp_gt_u32_e32 vcc, 64, v0
	v_or_b32_e32 v1, 64, v0
	s_waitcnt lgkmcnt(0)
	s_barrier
	s_and_saveexec_b64 s[2:3], vcc
	s_cbranch_execz .LBB285_200
; %bb.197:
	v_mov_b32_e32 v2, 0xb0
	v_lshl_add_u32 v0, v0, 2, v2
	ds_read_b32 v2, v0
	s_movk_i32 s0, 0x50
	v_cmp_gt_u32_e64 s[0:1], s0, v1
	s_waitcnt lgkmcnt(0)
	v_add_f32_e32 v9, v9, v2
	s_and_saveexec_b64 s[4:5], s[0:1]
	s_cbranch_execz .LBB285_199
; %bb.198:
	ds_read_b32 v0, v0 offset:256
	s_waitcnt lgkmcnt(0)
	v_add_f32_e32 v10, v10, v0
.LBB285_199:
	s_or_b64 exec, exec, s[4:5]
.LBB285_200:
	s_or_b64 exec, exec, s[2:3]
	s_barrier
	s_and_saveexec_b64 s[0:1], vcc
	s_cbranch_execz .LBB285_203
; %bb.201:
	s_mul_i32 s0, s20, s23
	s_mul_i32 s0, s0, s9
	s_mulk_i32 s0, 0x50
	s_ashr_i32 s1, s0, 31
	s_lshl_b64 s[0:1], s[0:1], 1
	s_add_u32 s2, s24, s0
	s_mul_i32 s0, s23, s22
	s_addc_u32 s4, s25, s1
	s_ashr_i32 s1, s0, 31
	s_lshl_b64 s[0:1], s[0:1], 1
	s_add_u32 s2, s2, s0
	s_mul_i32 s0, s8, 0x50
	s_addc_u32 s4, s4, s1
	s_ashr_i32 s1, s0, 31
	s_lshl_b64 s[0:1], s[0:1], 1
	s_add_u32 s0, s2, s0
	v_bfe_u32 v0, v9, 16, 1
	s_movk_i32 s2, 0x7fff
	s_movk_i32 s3, 0x50
	v_add3_u32 v0, v0, v9, s2
	v_or_b32_e32 v2, 0x400000, v9
	v_cmp_u_f32_e32 vcc, v9, v9
	s_addc_u32 s1, s4, s1
	v_cndmask_b32_e32 v0, v0, v2, vcc
	v_cmp_gt_u32_e32 vcc, s3, v1
	global_store_short_d16_hi v22, v0, s[0:1]
	s_and_b64 exec, exec, vcc
	s_cbranch_execz .LBB285_203
; %bb.202:
	v_mov_b32_e32 v1, s1
	v_add_co_u32_e32 v0, vcc, s0, v22
	v_addc_co_u32_e32 v1, vcc, 0, v1, vcc
	v_bfe_u32 v2, v10, 16, 1
	v_add3_u32 v2, v2, v10, s2
	v_or_b32_e32 v3, 0x400000, v10
	v_cmp_u_f32_e32 vcc, v10, v10
	v_cndmask_b32_e32 v2, v2, v3, vcc
	global_store_short_d16_hi v[0:1], v2, off offset:128
.LBB285_203:
	s_endpgm
	.section	.rodata,"a",@progbits
	.p2align	6, 0x0
	.amdhsa_kernel _ZN4vllm25paged_attention_v1_kernelI14__hip_bfloat16hLi80ELi8ELi128ELNS_18Fp8KVCacheDataTypeE1ELb0EEEvPT_PKS3_PKT0_S9_ifPKiSB_iPKfiiiSD_SD_iiiii
		.amdhsa_group_segment_fixed_size 176
		.amdhsa_private_segment_fixed_size 0
		.amdhsa_kernarg_size 384
		.amdhsa_user_sgpr_count 6
		.amdhsa_user_sgpr_private_segment_buffer 1
		.amdhsa_user_sgpr_dispatch_ptr 0
		.amdhsa_user_sgpr_queue_ptr 0
		.amdhsa_user_sgpr_kernarg_segment_ptr 1
		.amdhsa_user_sgpr_dispatch_id 0
		.amdhsa_user_sgpr_flat_scratch_init 0
		.amdhsa_user_sgpr_private_segment_size 0
		.amdhsa_uses_dynamic_stack 0
		.amdhsa_system_sgpr_private_segment_wavefront_offset 0
		.amdhsa_system_sgpr_workgroup_id_x 1
		.amdhsa_system_sgpr_workgroup_id_y 1
		.amdhsa_system_sgpr_workgroup_id_z 1
		.amdhsa_system_sgpr_workgroup_info 0
		.amdhsa_system_vgpr_workitem_id 0
		.amdhsa_next_free_vgpr 47
		.amdhsa_next_free_sgpr 46
		.amdhsa_reserve_vcc 1
		.amdhsa_reserve_flat_scratch 0
		.amdhsa_float_round_mode_32 0
		.amdhsa_float_round_mode_16_64 0
		.amdhsa_float_denorm_mode_32 3
		.amdhsa_float_denorm_mode_16_64 3
		.amdhsa_dx10_clamp 1
		.amdhsa_ieee_mode 1
		.amdhsa_fp16_overflow 0
		.amdhsa_exception_fp_ieee_invalid_op 0
		.amdhsa_exception_fp_denorm_src 0
		.amdhsa_exception_fp_ieee_div_zero 0
		.amdhsa_exception_fp_ieee_overflow 0
		.amdhsa_exception_fp_ieee_underflow 0
		.amdhsa_exception_fp_ieee_inexact 0
		.amdhsa_exception_int_div_zero 0
	.end_amdhsa_kernel
	.section	.text._ZN4vllm25paged_attention_v1_kernelI14__hip_bfloat16hLi80ELi8ELi128ELNS_18Fp8KVCacheDataTypeE1ELb0EEEvPT_PKS3_PKT0_S9_ifPKiSB_iPKfiiiSD_SD_iiiii,"axG",@progbits,_ZN4vllm25paged_attention_v1_kernelI14__hip_bfloat16hLi80ELi8ELi128ELNS_18Fp8KVCacheDataTypeE1ELb0EEEvPT_PKS3_PKT0_S9_ifPKiSB_iPKfiiiSD_SD_iiiii,comdat
.Lfunc_end285:
	.size	_ZN4vllm25paged_attention_v1_kernelI14__hip_bfloat16hLi80ELi8ELi128ELNS_18Fp8KVCacheDataTypeE1ELb0EEEvPT_PKS3_PKT0_S9_ifPKiSB_iPKfiiiSD_SD_iiiii, .Lfunc_end285-_ZN4vllm25paged_attention_v1_kernelI14__hip_bfloat16hLi80ELi8ELi128ELNS_18Fp8KVCacheDataTypeE1ELb0EEEvPT_PKS3_PKT0_S9_ifPKiSB_iPKfiiiSD_SD_iiiii
                                        ; -- End function
	.set _ZN4vllm25paged_attention_v1_kernelI14__hip_bfloat16hLi80ELi8ELi128ELNS_18Fp8KVCacheDataTypeE1ELb0EEEvPT_PKS3_PKT0_S9_ifPKiSB_iPKfiiiSD_SD_iiiii.num_vgpr, 47
	.set _ZN4vllm25paged_attention_v1_kernelI14__hip_bfloat16hLi80ELi8ELi128ELNS_18Fp8KVCacheDataTypeE1ELb0EEEvPT_PKS3_PKT0_S9_ifPKiSB_iPKfiiiSD_SD_iiiii.num_agpr, 0
	.set _ZN4vllm25paged_attention_v1_kernelI14__hip_bfloat16hLi80ELi8ELi128ELNS_18Fp8KVCacheDataTypeE1ELb0EEEvPT_PKS3_PKT0_S9_ifPKiSB_iPKfiiiSD_SD_iiiii.numbered_sgpr, 46
	.set _ZN4vllm25paged_attention_v1_kernelI14__hip_bfloat16hLi80ELi8ELi128ELNS_18Fp8KVCacheDataTypeE1ELb0EEEvPT_PKS3_PKT0_S9_ifPKiSB_iPKfiiiSD_SD_iiiii.num_named_barrier, 0
	.set _ZN4vllm25paged_attention_v1_kernelI14__hip_bfloat16hLi80ELi8ELi128ELNS_18Fp8KVCacheDataTypeE1ELb0EEEvPT_PKS3_PKT0_S9_ifPKiSB_iPKfiiiSD_SD_iiiii.private_seg_size, 0
	.set _ZN4vllm25paged_attention_v1_kernelI14__hip_bfloat16hLi80ELi8ELi128ELNS_18Fp8KVCacheDataTypeE1ELb0EEEvPT_PKS3_PKT0_S9_ifPKiSB_iPKfiiiSD_SD_iiiii.uses_vcc, 1
	.set _ZN4vllm25paged_attention_v1_kernelI14__hip_bfloat16hLi80ELi8ELi128ELNS_18Fp8KVCacheDataTypeE1ELb0EEEvPT_PKS3_PKT0_S9_ifPKiSB_iPKfiiiSD_SD_iiiii.uses_flat_scratch, 0
	.set _ZN4vllm25paged_attention_v1_kernelI14__hip_bfloat16hLi80ELi8ELi128ELNS_18Fp8KVCacheDataTypeE1ELb0EEEvPT_PKS3_PKT0_S9_ifPKiSB_iPKfiiiSD_SD_iiiii.has_dyn_sized_stack, 0
	.set _ZN4vllm25paged_attention_v1_kernelI14__hip_bfloat16hLi80ELi8ELi128ELNS_18Fp8KVCacheDataTypeE1ELb0EEEvPT_PKS3_PKT0_S9_ifPKiSB_iPKfiiiSD_SD_iiiii.has_recursion, 0
	.set _ZN4vllm25paged_attention_v1_kernelI14__hip_bfloat16hLi80ELi8ELi128ELNS_18Fp8KVCacheDataTypeE1ELb0EEEvPT_PKS3_PKT0_S9_ifPKiSB_iPKfiiiSD_SD_iiiii.has_indirect_call, 0
	.section	.AMDGPU.csdata,"",@progbits
; Kernel info:
; codeLenInByte = 10684
; TotalNumSgprs: 50
; NumVgprs: 47
; ScratchSize: 0
; MemoryBound: 0
; FloatMode: 240
; IeeeMode: 1
; LDSByteSize: 176 bytes/workgroup (compile time only)
; SGPRBlocks: 6
; VGPRBlocks: 11
; NumSGPRsForWavesPerEU: 50
; NumVGPRsForWavesPerEU: 47
; Occupancy: 5
; WaveLimiterHint : 1
; COMPUTE_PGM_RSRC2:SCRATCH_EN: 0
; COMPUTE_PGM_RSRC2:USER_SGPR: 6
; COMPUTE_PGM_RSRC2:TRAP_HANDLER: 0
; COMPUTE_PGM_RSRC2:TGID_X_EN: 1
; COMPUTE_PGM_RSRC2:TGID_Y_EN: 1
; COMPUTE_PGM_RSRC2:TGID_Z_EN: 1
; COMPUTE_PGM_RSRC2:TIDIG_COMP_CNT: 0
	.section	.text._ZN4vllm25paged_attention_v1_kernelI14__hip_bfloat16hLi96ELi8ELi128ELNS_18Fp8KVCacheDataTypeE1ELb0EEEvPT_PKS3_PKT0_S9_ifPKiSB_iPKfiiiSD_SD_iiiii,"axG",@progbits,_ZN4vllm25paged_attention_v1_kernelI14__hip_bfloat16hLi96ELi8ELi128ELNS_18Fp8KVCacheDataTypeE1ELb0EEEvPT_PKS3_PKT0_S9_ifPKiSB_iPKfiiiSD_SD_iiiii,comdat
	.protected	_ZN4vllm25paged_attention_v1_kernelI14__hip_bfloat16hLi96ELi8ELi128ELNS_18Fp8KVCacheDataTypeE1ELb0EEEvPT_PKS3_PKT0_S9_ifPKiSB_iPKfiiiSD_SD_iiiii ; -- Begin function _ZN4vllm25paged_attention_v1_kernelI14__hip_bfloat16hLi96ELi8ELi128ELNS_18Fp8KVCacheDataTypeE1ELb0EEEvPT_PKS3_PKT0_S9_ifPKiSB_iPKfiiiSD_SD_iiiii
	.globl	_ZN4vllm25paged_attention_v1_kernelI14__hip_bfloat16hLi96ELi8ELi128ELNS_18Fp8KVCacheDataTypeE1ELb0EEEvPT_PKS3_PKT0_S9_ifPKiSB_iPKfiiiSD_SD_iiiii
	.p2align	8
	.type	_ZN4vllm25paged_attention_v1_kernelI14__hip_bfloat16hLi96ELi8ELi128ELNS_18Fp8KVCacheDataTypeE1ELb0EEEvPT_PKS3_PKT0_S9_ifPKiSB_iPKfiiiSD_SD_iiiii,@function
_ZN4vllm25paged_attention_v1_kernelI14__hip_bfloat16hLi96ELi8ELi128ELNS_18Fp8KVCacheDataTypeE1ELb0EEEvPT_PKS3_PKT0_S9_ifPKiSB_iPKfiiiSD_SD_iiiii: ; @_ZN4vllm25paged_attention_v1_kernelI14__hip_bfloat16hLi96ELi8ELi128ELNS_18Fp8KVCacheDataTypeE1ELb0EEEvPT_PKS3_PKT0_S9_ifPKiSB_iPKfiiiSD_SD_iiiii
; %bb.0:
	s_load_dword s9, s[4:5], 0x80
	s_load_dwordx2 s[0:1], s[4:5], 0x30
	s_load_dwordx2 s[10:11], s[4:5], 0x20
	s_mov_b32 s20, s7
	s_ashr_i32 s21, s7, 31
	s_lshl_b64 s[2:3], s[20:21], 2
	s_waitcnt lgkmcnt(0)
	s_add_u32 s0, s0, s2
	s_addc_u32 s1, s1, s3
	s_abs_i32 s2, s10
	v_cvt_f32_u32_e32 v1, s2
	s_xor_b32 s3, s9, s10
	s_sub_i32 s10, 0, s2
	s_abs_i32 s7, s9
	v_rcp_iflag_f32_e32 v1, v1
	s_ashr_i32 s3, s3, 31
	v_mul_f32_e32 v1, 0x4f7ffffe, v1
	v_cvt_u32_f32_e32 v1, v1
	v_readfirstlane_b32 s12, v1
	s_mul_i32 s10, s10, s12
	s_mul_hi_u32 s10, s12, s10
	s_add_i32 s12, s12, s10
	s_mul_hi_u32 s10, s7, s12
	s_mul_i32 s12, s10, s2
	s_sub_i32 s7, s7, s12
	s_add_i32 s12, s10, 1
	s_sub_i32 s13, s7, s2
	s_cmp_ge_u32 s7, s2
	s_cselect_b32 s10, s12, s10
	s_cselect_b32 s7, s13, s7
	s_add_i32 s12, s10, 1
	s_cmp_ge_u32 s7, s2
	s_cselect_b32 s2, s12, s10
	s_xor_b32 s2, s2, s3
	s_sub_i32 s12, s2, s3
	s_abs_i32 s16, s12
	v_cvt_f32_u32_e32 v1, s16
	s_load_dwordx2 s[2:3], s[4:5], 0x40
	s_sub_i32 s7, 0, s16
	s_abs_i32 s17, s6
	v_rcp_iflag_f32_e32 v1, v1
	s_mov_b32 s10, 0
	v_mul_f32_e32 v1, 0x4f7ffffe, v1
	v_cvt_u32_f32_e32 v1, v1
	v_readfirstlane_b32 s13, v1
	s_mul_i32 s7, s7, s13
	s_mul_hi_u32 s7, s13, s7
	s_add_i32 s13, s13, s7
	s_waitcnt lgkmcnt(0)
	s_cmp_eq_u64 s[2:3], 0
	s_mul_hi_u32 s18, s17, s13
	s_cbranch_scc1 .LBB286_2
; %bb.1:
	s_ashr_i32 s7, s6, 31
	s_lshl_b64 s[14:15], s[6:7], 2
	s_add_u32 s2, s2, s14
	s_addc_u32 s3, s3, s15
	s_load_dword s10, s[2:3], 0x0
.LBB286_2:
	s_load_dword s21, s[0:1], 0x0
	s_ashr_i32 s19, s12, 31
	s_load_dwordx4 s[12:15], s[4:5], 0x48
	s_movk_i32 s0, 0x60
	s_ashr_i32 s7, s6, 31
	v_and_b32_e32 v1, 7, v0
	s_mul_i32 s22, s6, 0x60
	v_cmp_gt_u32_e64 s[0:1], s0, v0
	v_lshlrev_b32_e32 v22, 1, v0
	s_and_saveexec_b64 s[2:3], s[0:1]
	s_cbranch_execz .LBB286_4
; %bb.3:
	s_load_dwordx2 s[24:25], s[4:5], 0x8
	s_waitcnt lgkmcnt(0)
	s_mul_i32 s26, s12, s20
	s_ashr_i32 s27, s26, 31
	s_lshl_b64 s[26:27], s[26:27], 1
	v_lshrrev_b32_e32 v3, 2, v0
	s_add_u32 s6, s24, s26
	s_addc_u32 s12, s25, s27
	s_ashr_i32 s23, s22, 31
	s_lshl_b64 s[24:25], s[22:23], 1
	s_add_u32 s24, s6, s24
	s_addc_u32 s25, s12, s25
	global_load_ushort v2, v22, s[24:25]
	v_and_b32_e32 v3, 0xfe, v3
	v_mad_u32_u24 v3, v1, 24, v3
	s_waitcnt vmcnt(0)
	ds_write_b16 v3, v2
.LBB286_4:
	s_or_b64 exec, exec, s[2:3]
	s_waitcnt lgkmcnt(0)
	s_add_i32 s3, s21, 7
	s_ashr_i32 s6, s3, 31
	s_lshr_b32 s6, s6, 29
	s_add_i32 s3, s3, s6
	s_mul_i32 s6, s18, s16
	s_sub_i32 s6, s17, s6
	s_ashr_i32 s33, s3, 3
	s_xor_b32 s3, s7, s19
	s_add_i32 s7, s18, 1
	s_sub_i32 s12, s6, s16
	s_load_dwordx2 s[26:27], s[4:5], 0x28
	s_load_dword s2, s[4:5], 0x38
	s_cmp_ge_u32 s6, s16
	s_cselect_b32 s7, s7, s18
	s_cselect_b32 s6, s12, s6
	s_add_i32 s12, s7, 1
	s_cmp_ge_u32 s6, s16
	s_cselect_b32 s6, s12, s7
	v_lshrrev_b32_e32 v23, 6, v0
	s_xor_b32 s6, s6, s3
	s_waitcnt lgkmcnt(0)
	s_mul_i32 s28, s2, s20
	s_sub_i32 s12, s6, s3
	s_ashr_i32 s29, s28, 31
	v_cmp_gt_i32_e64 s[2:3], s33, v23
	v_cmp_le_i32_e32 vcc, s33, v23
	v_mbcnt_lo_u32_b32 v5, -1, 0
	s_barrier
                                        ; implicit-def: $vgpr9
                                        ; implicit-def: $vgpr11
                                        ; implicit-def: $vgpr10
	s_and_saveexec_b64 s[6:7], vcc
	s_xor_b64 s[6:7], exec, s[6:7]
; %bb.5:
	v_mbcnt_hi_u32_b32 v9, -1, v5
	v_and_b32_e32 v11, 64, v9
	v_add_u32_e32 v10, 64, v11
                                        ; implicit-def: $vgpr1
                                        ; implicit-def: $vgpr5
; %bb.6:
	s_or_saveexec_b64 s[34:35], s[6:7]
	s_load_dwordx2 s[24:25], s[4:5], 0x0
	s_load_dwordx2 s[30:31], s[4:5], 0x18
	s_load_dword s23, s[4:5], 0x88
	s_load_dwordx4 s[16:19], s[4:5], 0x58
	v_mov_b32_e32 v26, 0xff7fffff
	s_mul_i32 s12, s12, s14
	v_lshrrev_b32_e32 v8, 4, v0
	s_xor_b64 exec, exec, s[34:35]
	s_cbranch_execz .LBB286_84
; %bb.7:
	s_load_dwordx2 s[4:5], s[4:5], 0x10
	v_mul_u32_u24_e32 v2, 24, v1
	ds_read2_b64 v[16:19], v2 offset1:1
	ds_read_b64 v[2:3], v2 offset:16
	s_ashr_i32 s6, s12, 31
	v_bfe_u32 v6, v0, 3, 3
	s_waitcnt lgkmcnt(0)
	s_add_u32 s4, s4, s12
	s_addc_u32 s5, s5, s6
	v_lshlrev_b32_e32 v4, 4, v6
	v_lshlrev_b32_e32 v20, 16, v2
	v_and_b32_e32 v21, 0xffff0000, v2
	v_lshlrev_b32_e32 v24, 16, v3
	v_and_b32_e32 v25, 0xffff0000, v3
	v_mov_b32_e32 v2, s5
	v_add_co_u32_e32 v3, vcc, s4, v4
	v_addc_co_u32_e32 v2, vcc, 0, v2, vcc
	v_cmp_eq_u32_e32 vcc, 0, v1
	v_add_co_u32_e64 v1, s[4:5], v3, v1
	v_addc_co_u32_e64 v2, s[4:5], 0, v2, s[4:5]
	s_sub_i32 s40, 1, s21
	s_lshl_b64 s[4:5], s[28:29], 2
	s_add_u32 s4, s26, s4
	v_and_b32_e32 v3, 60, v8
	s_addc_u32 s5, s27, s5
	v_mbcnt_hi_u32_b32 v9, -1, v5
	v_mov_b32_e32 v4, s5
	v_add_co_u32_e64 v3, s[4:5], s4, v3
	v_and_b32_e32 v11, 64, v9
	v_addc_co_u32_e64 v4, s[4:5], 0, v4, s[4:5]
	v_add_u32_e32 v10, 64, v11
	v_xor_b32_e32 v5, 4, v9
	v_cmp_lt_i32_e64 s[4:5], v5, v10
	v_cndmask_b32_e64 v5, v9, v5, s[4:5]
	v_lshlrev_b32_e32 v27, 2, v5
	v_xor_b32_e32 v5, 2, v9
	v_cmp_lt_i32_e64 s[4:5], v5, v10
	v_cndmask_b32_e64 v5, v9, v5, s[4:5]
	v_lshlrev_b32_e32 v28, 2, v5
	v_xor_b32_e32 v5, 1, v9
	v_cmp_lt_i32_e64 s[4:5], v5, v10
	s_load_dword s42, s[16:17], 0x0
	v_cndmask_b32_e64 v5, v9, v5, s[4:5]
	v_lshlrev_b32_e32 v29, 2, v5
	v_lshlrev_b32_e32 v5, 2, v6
	v_lshl_or_b32 v5, v23, 5, v5
	v_lshlrev_b32_e32 v12, 16, v16
	v_and_b32_e32 v13, 0xffff0000, v16
	v_lshlrev_b32_e32 v14, 16, v17
	v_and_b32_e32 v15, 0xffff0000, v17
	;; [unrolled: 2-line block ×4, first 2 shown]
	s_mov_b32 s41, s13
	v_cmp_neq_f32_e64 s[4:5], s10, 0
	v_lshl_or_b32 v30, v23, 3, v6
	v_add_u32_e32 v31, 0xd0, v5
	s_mov_b64 s[14:15], 0
	s_movk_i32 s43, 0x80
	s_movk_i32 s44, 0x7f
	;; [unrolled: 1-line block ×3, first 2 shown]
	v_mov_b32_e32 v26, 0xff7fffff
	v_bfrev_b32_e32 v32, 60
	v_mov_b32_e32 v33, v23
	s_branch .LBB286_9
.LBB286_8:                              ;   in Loop: Header=BB286_9 Depth=1
	s_or_b64 exec, exec, s[16:17]
	v_add_u32_e32 v33, 2, v33
	v_cmp_le_i32_e64 s[6:7], s33, v33
	s_or_b64 s[14:15], s[6:7], s[14:15]
	v_add_co_u32_e64 v3, s[6:7], 8, v3
	v_add_u32_e32 v30, 16, v30
	v_add_u32_e32 v31, 64, v31
	v_addc_co_u32_e64 v4, s[6:7], 0, v4, s[6:7]
	s_andn2_b64 exec, exec, s[14:15]
	s_cbranch_execz .LBB286_83
.LBB286_9:                              ; =>This Inner Loop Header: Depth=1
	global_load_dword v5, v[3:4], off
	v_mov_b32_e32 v34, 0
	s_waitcnt vmcnt(0) lgkmcnt(0)
	v_mad_i64_i32 v[5:6], s[6:7], v5, s41, v[1:2]
	global_load_ubyte v35, v[5:6], off
	s_waitcnt vmcnt(0)
	v_cmp_ne_u16_e64 s[6:7], 0, v35
	s_and_saveexec_b64 s[16:17], s[6:7]
	s_cbranch_execz .LBB286_15
; %bb.10:                               ;   in Loop: Header=BB286_9 Depth=1
	v_cmp_ne_u16_e64 s[6:7], s43, v35
	v_bfrev_b32_e32 v34, 1
	s_and_saveexec_b64 s[36:37], s[6:7]
	s_cbranch_execz .LBB286_14
; %bb.11:                               ;   in Loop: Header=BB286_9 Depth=1
	v_and_b32_e32 v7, 0xffff, v35
	v_and_b32_e32 v36, 0x7f, v7
	v_cmp_ne_u32_e64 s[6:7], s44, v36
	v_mov_b32_e32 v34, 0x7f800001
	s_and_saveexec_b64 s[38:39], s[6:7]
	s_cbranch_execz .LBB286_13
; %bb.12:                               ;   in Loop: Header=BB286_9 Depth=1
	v_and_b32_e32 v34, 7, v7
	v_ffbh_u32_e32 v37, v34
	v_min_u32_e32 v40, 32, v37
	v_subrev_u32_e32 v37, 28, v40
	v_lshlrev_b64 v[37:38], v37, v[7:8]
	v_lshrrev_b32_e32 v39, 3, v36
	v_sub_u32_e32 v7, 29, v40
	v_and_b32_e32 v37, 7, v37
	v_cmp_gt_u32_e64 s[6:7], 8, v36
	v_cndmask_b32_e64 v7, v39, v7, s[6:7]
	v_cndmask_b32_e64 v34, v34, v37, s[6:7]
	v_lshlrev_b32_e32 v35, 24, v35
	v_lshlrev_b32_e32 v34, 20, v34
	v_and_b32_e32 v35, 0x80000000, v35
	v_lshl_add_u32 v7, v7, 23, v32
	v_or3_b32 v34, v35, v7, v34
.LBB286_13:                             ;   in Loop: Header=BB286_9 Depth=1
	s_or_b64 exec, exec, s[38:39]
.LBB286_14:                             ;   in Loop: Header=BB286_9 Depth=1
	s_or_b64 exec, exec, s[36:37]
.LBB286_15:                             ;   in Loop: Header=BB286_9 Depth=1
	s_or_b64 exec, exec, s[16:17]
	global_load_ubyte v37, v[5:6], off offset:8
	v_mov_b32_e32 v36, 0
	v_mov_b32_e32 v35, 0
	s_waitcnt vmcnt(0)
	v_cmp_ne_u16_e64 s[6:7], 0, v37
	s_and_saveexec_b64 s[16:17], s[6:7]
	s_cbranch_execz .LBB286_21
; %bb.16:                               ;   in Loop: Header=BB286_9 Depth=1
	v_cmp_ne_u16_e64 s[6:7], s43, v37
	v_bfrev_b32_e32 v35, 1
	s_and_saveexec_b64 s[36:37], s[6:7]
	s_cbranch_execz .LBB286_20
; %bb.17:                               ;   in Loop: Header=BB286_9 Depth=1
	v_and_b32_e32 v7, 0xffff, v37
	v_and_b32_e32 v38, 0x7f, v7
	v_cmp_ne_u32_e64 s[6:7], s44, v38
	v_mov_b32_e32 v35, 0x7f800001
	s_and_saveexec_b64 s[38:39], s[6:7]
	s_cbranch_execz .LBB286_19
; %bb.18:                               ;   in Loop: Header=BB286_9 Depth=1
	v_and_b32_e32 v35, 7, v7
	v_ffbh_u32_e32 v39, v35
	v_min_u32_e32 v42, 32, v39
	v_subrev_u32_e32 v39, 28, v42
	v_lshlrev_b64 v[39:40], v39, v[7:8]
	v_lshrrev_b32_e32 v41, 3, v38
	v_sub_u32_e32 v7, 29, v42
	v_and_b32_e32 v39, 7, v39
	v_cmp_gt_u32_e64 s[6:7], 8, v38
	v_cndmask_b32_e64 v7, v41, v7, s[6:7]
	v_cndmask_b32_e64 v35, v35, v39, s[6:7]
	v_lshlrev_b32_e32 v37, 24, v37
	v_lshlrev_b32_e32 v35, 20, v35
	v_and_b32_e32 v37, 0x80000000, v37
	v_lshl_add_u32 v7, v7, 23, v32
	v_or3_b32 v35, v37, v7, v35
.LBB286_19:                             ;   in Loop: Header=BB286_9 Depth=1
	s_or_b64 exec, exec, s[38:39]
.LBB286_20:                             ;   in Loop: Header=BB286_9 Depth=1
	s_or_b64 exec, exec, s[36:37]
.LBB286_21:                             ;   in Loop: Header=BB286_9 Depth=1
	s_or_b64 exec, exec, s[16:17]
	global_load_ubyte v37, v[5:6], off offset:128
	s_waitcnt vmcnt(0)
	v_cmp_ne_u16_e64 s[6:7], 0, v37
	s_and_saveexec_b64 s[16:17], s[6:7]
	s_cbranch_execz .LBB286_27
; %bb.22:                               ;   in Loop: Header=BB286_9 Depth=1
	v_cmp_ne_u16_e64 s[6:7], s43, v37
	v_bfrev_b32_e32 v36, 1
	s_and_saveexec_b64 s[36:37], s[6:7]
	s_cbranch_execz .LBB286_26
; %bb.23:                               ;   in Loop: Header=BB286_9 Depth=1
	v_and_b32_e32 v7, 0xffff, v37
	v_and_b32_e32 v38, 0x7f, v7
	v_cmp_ne_u32_e64 s[6:7], s44, v38
	v_mov_b32_e32 v36, 0x7f800001
	s_and_saveexec_b64 s[38:39], s[6:7]
	s_cbranch_execz .LBB286_25
; %bb.24:                               ;   in Loop: Header=BB286_9 Depth=1
	v_and_b32_e32 v36, 7, v7
	v_ffbh_u32_e32 v39, v36
	v_min_u32_e32 v42, 32, v39
	v_subrev_u32_e32 v39, 28, v42
	v_lshlrev_b64 v[39:40], v39, v[7:8]
	v_lshrrev_b32_e32 v41, 3, v38
	v_sub_u32_e32 v7, 29, v42
	v_and_b32_e32 v39, 7, v39
	v_cmp_gt_u32_e64 s[6:7], 8, v38
	v_cndmask_b32_e64 v7, v41, v7, s[6:7]
	v_cndmask_b32_e64 v36, v36, v39, s[6:7]
	v_lshlrev_b32_e32 v37, 24, v37
	v_lshlrev_b32_e32 v36, 20, v36
	v_and_b32_e32 v37, 0x80000000, v37
	v_lshl_add_u32 v7, v7, 23, v32
	v_or3_b32 v36, v37, v7, v36
.LBB286_25:                             ;   in Loop: Header=BB286_9 Depth=1
	s_or_b64 exec, exec, s[38:39]
.LBB286_26:                             ;   in Loop: Header=BB286_9 Depth=1
	s_or_b64 exec, exec, s[36:37]
.LBB286_27:                             ;   in Loop: Header=BB286_9 Depth=1
	s_or_b64 exec, exec, s[16:17]
	global_load_ubyte v39, v[5:6], off offset:136
	v_mov_b32_e32 v38, 0
	v_mov_b32_e32 v37, 0
	s_waitcnt vmcnt(0)
	v_cmp_ne_u16_e64 s[6:7], 0, v39
	s_and_saveexec_b64 s[16:17], s[6:7]
	s_cbranch_execz .LBB286_33
; %bb.28:                               ;   in Loop: Header=BB286_9 Depth=1
	v_cmp_ne_u16_e64 s[6:7], s43, v39
	v_bfrev_b32_e32 v37, 1
	s_and_saveexec_b64 s[36:37], s[6:7]
	s_cbranch_execz .LBB286_32
; %bb.29:                               ;   in Loop: Header=BB286_9 Depth=1
	v_and_b32_e32 v7, 0xffff, v39
	v_and_b32_e32 v40, 0x7f, v7
	v_cmp_ne_u32_e64 s[6:7], s44, v40
	v_mov_b32_e32 v37, 0x7f800001
	s_and_saveexec_b64 s[38:39], s[6:7]
	s_cbranch_execz .LBB286_31
; %bb.30:                               ;   in Loop: Header=BB286_9 Depth=1
	v_and_b32_e32 v37, 7, v7
	v_ffbh_u32_e32 v41, v37
	v_min_u32_e32 v44, 32, v41
	v_subrev_u32_e32 v41, 28, v44
	v_lshlrev_b64 v[41:42], v41, v[7:8]
	v_lshrrev_b32_e32 v43, 3, v40
	v_sub_u32_e32 v7, 29, v44
	v_and_b32_e32 v41, 7, v41
	v_cmp_gt_u32_e64 s[6:7], 8, v40
	v_cndmask_b32_e64 v7, v43, v7, s[6:7]
	v_cndmask_b32_e64 v37, v37, v41, s[6:7]
	v_lshlrev_b32_e32 v39, 24, v39
	v_lshlrev_b32_e32 v37, 20, v37
	v_and_b32_e32 v39, 0x80000000, v39
	v_lshl_add_u32 v7, v7, 23, v32
	v_or3_b32 v37, v39, v7, v37
.LBB286_31:                             ;   in Loop: Header=BB286_9 Depth=1
	s_or_b64 exec, exec, s[38:39]
.LBB286_32:                             ;   in Loop: Header=BB286_9 Depth=1
	s_or_b64 exec, exec, s[36:37]
.LBB286_33:                             ;   in Loop: Header=BB286_9 Depth=1
	s_or_b64 exec, exec, s[16:17]
	global_load_ubyte v39, v[5:6], off offset:256
	s_waitcnt vmcnt(0)
	v_cmp_ne_u16_e64 s[6:7], 0, v39
	s_and_saveexec_b64 s[16:17], s[6:7]
	s_cbranch_execz .LBB286_39
; %bb.34:                               ;   in Loop: Header=BB286_9 Depth=1
	v_cmp_ne_u16_e64 s[6:7], s43, v39
	v_bfrev_b32_e32 v38, 1
	s_and_saveexec_b64 s[36:37], s[6:7]
	s_cbranch_execz .LBB286_38
; %bb.35:                               ;   in Loop: Header=BB286_9 Depth=1
	v_and_b32_e32 v7, 0xffff, v39
	v_and_b32_e32 v40, 0x7f, v7
	v_cmp_ne_u32_e64 s[6:7], s44, v40
	v_mov_b32_e32 v38, 0x7f800001
	s_and_saveexec_b64 s[38:39], s[6:7]
	s_cbranch_execz .LBB286_37
; %bb.36:                               ;   in Loop: Header=BB286_9 Depth=1
	v_and_b32_e32 v38, 7, v7
	v_ffbh_u32_e32 v41, v38
	v_min_u32_e32 v44, 32, v41
	v_subrev_u32_e32 v41, 28, v44
	v_lshlrev_b64 v[41:42], v41, v[7:8]
	v_lshrrev_b32_e32 v43, 3, v40
	v_sub_u32_e32 v7, 29, v44
	v_and_b32_e32 v41, 7, v41
	v_cmp_gt_u32_e64 s[6:7], 8, v40
	v_cndmask_b32_e64 v7, v43, v7, s[6:7]
	v_cndmask_b32_e64 v38, v38, v41, s[6:7]
	v_lshlrev_b32_e32 v39, 24, v39
	v_lshlrev_b32_e32 v38, 20, v38
	v_and_b32_e32 v39, 0x80000000, v39
	v_lshl_add_u32 v7, v7, 23, v32
	v_or3_b32 v38, v39, v7, v38
.LBB286_37:                             ;   in Loop: Header=BB286_9 Depth=1
	s_or_b64 exec, exec, s[38:39]
.LBB286_38:                             ;   in Loop: Header=BB286_9 Depth=1
	s_or_b64 exec, exec, s[36:37]
.LBB286_39:                             ;   in Loop: Header=BB286_9 Depth=1
	s_or_b64 exec, exec, s[16:17]
	global_load_ubyte v41, v[5:6], off offset:264
	v_mov_b32_e32 v40, 0
	v_mov_b32_e32 v39, 0
	s_waitcnt vmcnt(0)
	v_cmp_ne_u16_e64 s[6:7], 0, v41
	s_and_saveexec_b64 s[16:17], s[6:7]
	s_cbranch_execz .LBB286_45
; %bb.40:                               ;   in Loop: Header=BB286_9 Depth=1
	v_cmp_ne_u16_e64 s[6:7], s43, v41
	v_bfrev_b32_e32 v39, 1
	s_and_saveexec_b64 s[36:37], s[6:7]
	s_cbranch_execz .LBB286_44
; %bb.41:                               ;   in Loop: Header=BB286_9 Depth=1
	v_and_b32_e32 v7, 0xffff, v41
	v_and_b32_e32 v42, 0x7f, v7
	v_cmp_ne_u32_e64 s[6:7], s44, v42
	v_mov_b32_e32 v39, 0x7f800001
	s_and_saveexec_b64 s[38:39], s[6:7]
	s_cbranch_execz .LBB286_43
; %bb.42:                               ;   in Loop: Header=BB286_9 Depth=1
	v_and_b32_e32 v39, 7, v7
	v_ffbh_u32_e32 v43, v39
	v_min_u32_e32 v46, 32, v43
	v_subrev_u32_e32 v43, 28, v46
	v_lshlrev_b64 v[43:44], v43, v[7:8]
	v_lshrrev_b32_e32 v45, 3, v42
	v_sub_u32_e32 v7, 29, v46
	v_and_b32_e32 v43, 7, v43
	v_cmp_gt_u32_e64 s[6:7], 8, v42
	v_cndmask_b32_e64 v7, v45, v7, s[6:7]
	v_cndmask_b32_e64 v39, v39, v43, s[6:7]
	v_lshlrev_b32_e32 v41, 24, v41
	v_lshlrev_b32_e32 v39, 20, v39
	v_and_b32_e32 v41, 0x80000000, v41
	v_lshl_add_u32 v7, v7, 23, v32
	v_or3_b32 v39, v41, v7, v39
.LBB286_43:                             ;   in Loop: Header=BB286_9 Depth=1
	s_or_b64 exec, exec, s[38:39]
.LBB286_44:                             ;   in Loop: Header=BB286_9 Depth=1
	s_or_b64 exec, exec, s[36:37]
.LBB286_45:                             ;   in Loop: Header=BB286_9 Depth=1
	s_or_b64 exec, exec, s[16:17]
	global_load_ubyte v41, v[5:6], off offset:384
	s_waitcnt vmcnt(0)
	v_cmp_ne_u16_e64 s[6:7], 0, v41
	s_and_saveexec_b64 s[16:17], s[6:7]
	s_cbranch_execz .LBB286_51
; %bb.46:                               ;   in Loop: Header=BB286_9 Depth=1
	v_cmp_ne_u16_e64 s[6:7], s43, v41
	v_bfrev_b32_e32 v40, 1
	s_and_saveexec_b64 s[36:37], s[6:7]
	s_cbranch_execz .LBB286_50
; %bb.47:                               ;   in Loop: Header=BB286_9 Depth=1
	v_and_b32_e32 v7, 0xffff, v41
	v_and_b32_e32 v42, 0x7f, v7
	v_cmp_ne_u32_e64 s[6:7], s44, v42
	v_mov_b32_e32 v40, 0x7f800001
	s_and_saveexec_b64 s[38:39], s[6:7]
	s_cbranch_execz .LBB286_49
; %bb.48:                               ;   in Loop: Header=BB286_9 Depth=1
	v_and_b32_e32 v40, 7, v7
	v_ffbh_u32_e32 v43, v40
	v_min_u32_e32 v46, 32, v43
	v_subrev_u32_e32 v43, 28, v46
	v_lshlrev_b64 v[43:44], v43, v[7:8]
	v_lshrrev_b32_e32 v45, 3, v42
	v_sub_u32_e32 v7, 29, v46
	v_and_b32_e32 v43, 7, v43
	v_cmp_gt_u32_e64 s[6:7], 8, v42
	v_cndmask_b32_e64 v7, v45, v7, s[6:7]
	v_cndmask_b32_e64 v40, v40, v43, s[6:7]
	v_lshlrev_b32_e32 v41, 24, v41
	v_lshlrev_b32_e32 v40, 20, v40
	v_and_b32_e32 v41, 0x80000000, v41
	v_lshl_add_u32 v7, v7, 23, v32
	v_or3_b32 v40, v41, v7, v40
.LBB286_49:                             ;   in Loop: Header=BB286_9 Depth=1
	s_or_b64 exec, exec, s[38:39]
.LBB286_50:                             ;   in Loop: Header=BB286_9 Depth=1
	s_or_b64 exec, exec, s[36:37]
.LBB286_51:                             ;   in Loop: Header=BB286_9 Depth=1
	s_or_b64 exec, exec, s[16:17]
	global_load_ubyte v43, v[5:6], off offset:392
	v_mov_b32_e32 v42, 0
	v_mov_b32_e32 v41, 0
	s_waitcnt vmcnt(0)
	v_cmp_ne_u16_e64 s[6:7], 0, v43
	s_and_saveexec_b64 s[16:17], s[6:7]
	s_cbranch_execz .LBB286_57
; %bb.52:                               ;   in Loop: Header=BB286_9 Depth=1
	v_cmp_ne_u16_e64 s[6:7], s43, v43
	v_bfrev_b32_e32 v41, 1
	s_and_saveexec_b64 s[36:37], s[6:7]
	s_cbranch_execz .LBB286_56
; %bb.53:                               ;   in Loop: Header=BB286_9 Depth=1
	v_and_b32_e32 v7, 0xffff, v43
	v_and_b32_e32 v44, 0x7f, v7
	v_cmp_ne_u32_e64 s[6:7], s44, v44
	v_mov_b32_e32 v41, 0x7f800001
	s_and_saveexec_b64 s[38:39], s[6:7]
	s_cbranch_execz .LBB286_55
; %bb.54:                               ;   in Loop: Header=BB286_9 Depth=1
	v_and_b32_e32 v41, 7, v7
	v_ffbh_u32_e32 v45, v41
	v_min_u32_e32 v48, 32, v45
	v_subrev_u32_e32 v45, 28, v48
	v_lshlrev_b64 v[45:46], v45, v[7:8]
	v_lshrrev_b32_e32 v47, 3, v44
	v_sub_u32_e32 v7, 29, v48
	v_and_b32_e32 v45, 7, v45
	v_cmp_gt_u32_e64 s[6:7], 8, v44
	v_cndmask_b32_e64 v7, v47, v7, s[6:7]
	v_cndmask_b32_e64 v41, v41, v45, s[6:7]
	v_lshlrev_b32_e32 v43, 24, v43
	v_lshlrev_b32_e32 v41, 20, v41
	v_and_b32_e32 v43, 0x80000000, v43
	v_lshl_add_u32 v7, v7, 23, v32
	v_or3_b32 v41, v43, v7, v41
.LBB286_55:                             ;   in Loop: Header=BB286_9 Depth=1
	s_or_b64 exec, exec, s[38:39]
.LBB286_56:                             ;   in Loop: Header=BB286_9 Depth=1
	s_or_b64 exec, exec, s[36:37]
.LBB286_57:                             ;   in Loop: Header=BB286_9 Depth=1
	s_or_b64 exec, exec, s[16:17]
	global_load_ubyte v43, v[5:6], off offset:512
	s_waitcnt vmcnt(0)
	v_cmp_ne_u16_e64 s[6:7], 0, v43
	s_and_saveexec_b64 s[16:17], s[6:7]
	s_cbranch_execz .LBB286_63
; %bb.58:                               ;   in Loop: Header=BB286_9 Depth=1
	v_cmp_ne_u16_e64 s[6:7], s43, v43
	v_bfrev_b32_e32 v42, 1
	s_and_saveexec_b64 s[36:37], s[6:7]
	s_cbranch_execz .LBB286_62
; %bb.59:                               ;   in Loop: Header=BB286_9 Depth=1
	v_and_b32_e32 v7, 0xffff, v43
	v_and_b32_e32 v44, 0x7f, v7
	v_cmp_ne_u32_e64 s[6:7], s44, v44
	v_mov_b32_e32 v42, 0x7f800001
	s_and_saveexec_b64 s[38:39], s[6:7]
	s_cbranch_execz .LBB286_61
; %bb.60:                               ;   in Loop: Header=BB286_9 Depth=1
	v_and_b32_e32 v42, 7, v7
	v_ffbh_u32_e32 v45, v42
	v_min_u32_e32 v48, 32, v45
	v_subrev_u32_e32 v45, 28, v48
	v_lshlrev_b64 v[45:46], v45, v[7:8]
	v_lshrrev_b32_e32 v47, 3, v44
	v_sub_u32_e32 v7, 29, v48
	v_and_b32_e32 v45, 7, v45
	v_cmp_gt_u32_e64 s[6:7], 8, v44
	v_cndmask_b32_e64 v7, v47, v7, s[6:7]
	v_cndmask_b32_e64 v42, v42, v45, s[6:7]
	v_lshlrev_b32_e32 v43, 24, v43
	v_lshlrev_b32_e32 v42, 20, v42
	v_and_b32_e32 v43, 0x80000000, v43
	v_lshl_add_u32 v7, v7, 23, v32
	v_or3_b32 v42, v43, v7, v42
.LBB286_61:                             ;   in Loop: Header=BB286_9 Depth=1
	s_or_b64 exec, exec, s[38:39]
.LBB286_62:                             ;   in Loop: Header=BB286_9 Depth=1
	s_or_b64 exec, exec, s[36:37]
.LBB286_63:                             ;   in Loop: Header=BB286_9 Depth=1
	s_or_b64 exec, exec, s[16:17]
	global_load_ubyte v45, v[5:6], off offset:520
	v_mov_b32_e32 v44, 0
	v_mov_b32_e32 v43, 0
	s_waitcnt vmcnt(0)
	v_cmp_ne_u16_e64 s[6:7], 0, v45
	s_and_saveexec_b64 s[16:17], s[6:7]
	s_cbranch_execz .LBB286_69
; %bb.64:                               ;   in Loop: Header=BB286_9 Depth=1
	v_cmp_ne_u16_e64 s[6:7], s43, v45
	v_bfrev_b32_e32 v43, 1
	s_and_saveexec_b64 s[36:37], s[6:7]
	s_cbranch_execz .LBB286_68
; %bb.65:                               ;   in Loop: Header=BB286_9 Depth=1
	v_and_b32_e32 v7, 0xffff, v45
	v_and_b32_e32 v46, 0x7f, v7
	v_cmp_ne_u32_e64 s[6:7], s44, v46
	v_mov_b32_e32 v43, 0x7f800001
	s_and_saveexec_b64 s[38:39], s[6:7]
	s_cbranch_execz .LBB286_67
; %bb.66:                               ;   in Loop: Header=BB286_9 Depth=1
	v_and_b32_e32 v43, 7, v7
	v_ffbh_u32_e32 v47, v43
	v_min_u32_e32 v50, 32, v47
	v_subrev_u32_e32 v47, 28, v50
	v_lshlrev_b64 v[47:48], v47, v[7:8]
	v_lshrrev_b32_e32 v49, 3, v46
	v_sub_u32_e32 v7, 29, v50
	v_and_b32_e32 v47, 7, v47
	v_cmp_gt_u32_e64 s[6:7], 8, v46
	v_cndmask_b32_e64 v7, v49, v7, s[6:7]
	v_cndmask_b32_e64 v43, v43, v47, s[6:7]
	v_lshlrev_b32_e32 v45, 24, v45
	v_lshlrev_b32_e32 v43, 20, v43
	v_and_b32_e32 v45, 0x80000000, v45
	v_lshl_add_u32 v7, v7, 23, v32
	v_or3_b32 v43, v45, v7, v43
.LBB286_67:                             ;   in Loop: Header=BB286_9 Depth=1
	s_or_b64 exec, exec, s[38:39]
.LBB286_68:                             ;   in Loop: Header=BB286_9 Depth=1
	s_or_b64 exec, exec, s[36:37]
.LBB286_69:                             ;   in Loop: Header=BB286_9 Depth=1
	s_or_b64 exec, exec, s[16:17]
	global_load_ubyte v45, v[5:6], off offset:640
	s_waitcnt vmcnt(0)
	v_cmp_ne_u16_e64 s[6:7], 0, v45
	s_and_saveexec_b64 s[16:17], s[6:7]
	s_cbranch_execz .LBB286_75
; %bb.70:                               ;   in Loop: Header=BB286_9 Depth=1
	v_cmp_ne_u16_e64 s[6:7], s43, v45
	v_bfrev_b32_e32 v44, 1
	s_and_saveexec_b64 s[36:37], s[6:7]
	s_cbranch_execz .LBB286_74
; %bb.71:                               ;   in Loop: Header=BB286_9 Depth=1
	v_and_b32_e32 v7, 0xffff, v45
	v_and_b32_e32 v46, 0x7f, v7
	v_cmp_ne_u32_e64 s[6:7], s44, v46
	v_mov_b32_e32 v44, 0x7f800001
	s_and_saveexec_b64 s[38:39], s[6:7]
	s_cbranch_execz .LBB286_73
; %bb.72:                               ;   in Loop: Header=BB286_9 Depth=1
	v_and_b32_e32 v44, 7, v7
	v_ffbh_u32_e32 v47, v44
	v_min_u32_e32 v50, 32, v47
	v_subrev_u32_e32 v47, 28, v50
	v_lshlrev_b64 v[47:48], v47, v[7:8]
	v_lshrrev_b32_e32 v49, 3, v46
	v_sub_u32_e32 v7, 29, v50
	v_and_b32_e32 v47, 7, v47
	v_cmp_gt_u32_e64 s[6:7], 8, v46
	v_cndmask_b32_e64 v7, v49, v7, s[6:7]
	v_cndmask_b32_e64 v44, v44, v47, s[6:7]
	v_lshlrev_b32_e32 v45, 24, v45
	v_lshlrev_b32_e32 v44, 20, v44
	v_and_b32_e32 v45, 0x80000000, v45
	v_lshl_add_u32 v7, v7, 23, v32
	v_or3_b32 v44, v45, v7, v44
.LBB286_73:                             ;   in Loop: Header=BB286_9 Depth=1
	s_or_b64 exec, exec, s[38:39]
.LBB286_74:                             ;   in Loop: Header=BB286_9 Depth=1
	s_or_b64 exec, exec, s[36:37]
.LBB286_75:                             ;   in Loop: Header=BB286_9 Depth=1
	s_or_b64 exec, exec, s[16:17]
	global_load_ubyte v7, v[5:6], off offset:648
	v_mov_b32_e32 v6, 0
	s_waitcnt vmcnt(0)
	v_cmp_ne_u16_e64 s[6:7], 0, v7
	s_and_saveexec_b64 s[16:17], s[6:7]
	s_cbranch_execz .LBB286_81
; %bb.76:                               ;   in Loop: Header=BB286_9 Depth=1
	v_cmp_ne_u16_e64 s[6:7], s43, v7
	v_bfrev_b32_e32 v6, 1
	s_and_saveexec_b64 s[36:37], s[6:7]
	s_cbranch_execz .LBB286_80
; %bb.77:                               ;   in Loop: Header=BB286_9 Depth=1
	v_and_b32_e32 v5, 0xffff, v7
	v_and_b32_e32 v45, 0x7f, v5
	v_cmp_ne_u32_e64 s[6:7], s44, v45
	v_mov_b32_e32 v6, 0x7f800001
	s_and_saveexec_b64 s[38:39], s[6:7]
	s_cbranch_execz .LBB286_79
; %bb.78:                               ;   in Loop: Header=BB286_9 Depth=1
	v_and_b32_e32 v46, 7, v5
	v_ffbh_u32_e32 v6, v46
	v_min_u32_e32 v48, 32, v6
	v_subrev_u32_e32 v6, 28, v48
	v_lshlrev_b64 v[5:6], v6, v[5:6]
	v_lshrrev_b32_e32 v47, 3, v45
	v_sub_u32_e32 v6, 29, v48
	v_and_b32_e32 v5, 7, v5
	v_cmp_gt_u32_e64 s[6:7], 8, v45
	v_cndmask_b32_e64 v6, v47, v6, s[6:7]
	v_cndmask_b32_e64 v5, v46, v5, s[6:7]
	v_lshlrev_b32_e32 v7, 24, v7
	v_lshlrev_b32_e32 v5, 20, v5
	v_and_b32_e32 v7, 0x80000000, v7
	v_lshl_add_u32 v6, v6, 23, v32
	v_or3_b32 v6, v7, v6, v5
.LBB286_79:                             ;   in Loop: Header=BB286_9 Depth=1
	s_or_b64 exec, exec, s[38:39]
.LBB286_80:                             ;   in Loop: Header=BB286_9 Depth=1
	s_or_b64 exec, exec, s[36:37]
.LBB286_81:                             ;   in Loop: Header=BB286_9 Depth=1
	s_or_b64 exec, exec, s[16:17]
	s_waitcnt lgkmcnt(0)
	v_mul_f32_e32 v5, s42, v44
	v_bfe_u32 v7, v5, 16, 1
	v_add3_u32 v7, v7, v5, s45
	v_or_b32_e32 v44, 0x400000, v5
	v_cmp_u_f32_e64 s[6:7], v5, v5
	v_cndmask_b32_e64 v5, v7, v44, s[6:7]
	v_mul_f32_e32 v7, s42, v43
	v_bfe_u32 v43, v7, 16, 1
	v_add3_u32 v43, v43, v7, s45
	v_or_b32_e32 v44, 0x400000, v7
	v_cmp_u_f32_e64 s[6:7], v7, v7
	v_mul_f32_e32 v42, s42, v42
	v_cndmask_b32_e64 v7, v43, v44, s[6:7]
	v_bfe_u32 v43, v42, 16, 1
	v_add3_u32 v43, v43, v42, s45
	v_or_b32_e32 v44, 0x400000, v42
	v_cmp_u_f32_e64 s[6:7], v42, v42
	v_mul_f32_e32 v41, s42, v41
	v_cndmask_b32_e64 v42, v43, v44, s[6:7]
	;; [unrolled: 6-line block ×9, first 2 shown]
	v_bfe_u32 v43, v34, 16, 1
	v_add3_u32 v43, v43, v34, s45
	v_or_b32_e32 v44, 0x400000, v34
	v_cmp_u_f32_e64 s[6:7], v34, v34
	v_cndmask_b32_e64 v34, v43, v44, s[6:7]
	v_and_b32_e32 v35, 0xffff0000, v35
	v_and_b32_e32 v34, 0xffff0000, v34
	v_mul_f32_e32 v35, v13, v35
	v_fmac_f32_e32 v35, v12, v34
	v_and_b32_e32 v34, 0xffff0000, v36
	v_fmac_f32_e32 v35, v14, v34
	v_and_b32_e32 v34, 0xffff0000, v37
	;; [unrolled: 2-line block ×5, first 2 shown]
	v_mul_f32_e32 v6, s42, v6
	v_fmac_f32_e32 v35, v18, v34
	v_and_b32_e32 v34, 0xffff0000, v41
	v_bfe_u32 v43, v6, 16, 1
	v_fmac_f32_e32 v35, v19, v34
	v_and_b32_e32 v34, 0xffff0000, v42
	v_add3_u32 v43, v43, v6, s45
	v_or_b32_e32 v44, 0x400000, v6
	v_cmp_u_f32_e64 s[6:7], v6, v6
	v_fmac_f32_e32 v35, v20, v34
	v_and_b32_e32 v7, 0xffff0000, v7
	v_cndmask_b32_e64 v6, v43, v44, s[6:7]
	v_fmac_f32_e32 v35, v21, v7
	v_and_b32_e32 v5, 0xffff0000, v5
	v_fmac_f32_e32 v35, v24, v5
	v_and_b32_e32 v5, 0xffff0000, v6
	v_fmac_f32_e32 v35, v25, v5
	ds_bpermute_b32 v5, v27, v35
	s_waitcnt lgkmcnt(0)
	v_add_f32_e32 v5, v35, v5
	ds_bpermute_b32 v6, v28, v5
	s_waitcnt lgkmcnt(0)
	v_add_f32_e32 v5, v5, v6
	ds_bpermute_b32 v6, v29, v5
	s_and_saveexec_b64 s[16:17], vcc
	s_cbranch_execz .LBB286_8
; %bb.82:                               ;   in Loop: Header=BB286_9 Depth=1
	v_add_u32_e32 v7, s40, v30
	v_cvt_f32_i32_e32 v7, v7
	s_waitcnt lgkmcnt(0)
	v_add_f32_e32 v5, v5, v6
	v_cmp_gt_i32_e64 s[6:7], s21, v30
	v_max_f32_e32 v6, v26, v26
	v_mul_f32_e32 v7, s10, v7
	v_cndmask_b32_e64 v7, 0, v7, s[4:5]
	v_fmac_f32_e32 v7, s11, v5
	v_cndmask_b32_e64 v5, 0, v7, s[6:7]
	ds_write_b32 v31, v5
	v_max_f32_e32 v5, v6, v7
	v_cndmask_b32_e64 v26, v26, v5, s[6:7]
	s_branch .LBB286_8
.LBB286_83:
	s_or_b64 exec, exec, s[14:15]
.LBB286_84:
	s_or_b64 exec, exec, s[34:35]
	v_xor_b32_e32 v1, 32, v9
	v_cmp_lt_i32_e32 vcc, v1, v10
	v_cndmask_b32_e32 v1, v9, v1, vcc
	v_lshlrev_b32_e32 v2, 2, v1
	ds_bpermute_b32 v1, v2, v26
	v_xor_b32_e32 v4, 16, v9
	v_max_f32_e32 v3, v26, v26
	v_cmp_lt_i32_e32 vcc, v4, v10
	v_xor_b32_e32 v5, 8, v9
	s_waitcnt lgkmcnt(0)
	v_max_f32_e32 v1, v1, v1
	v_max_f32_e32 v1, v3, v1
	v_cndmask_b32_e32 v3, v9, v4, vcc
	v_lshlrev_b32_e32 v4, 2, v3
	ds_bpermute_b32 v3, v4, v1
	v_cmp_lt_i32_e32 vcc, v5, v10
	v_and_b32_e32 v24, 63, v0
	s_waitcnt lgkmcnt(0)
	v_max_f32_e32 v3, v3, v3
	v_max_f32_e32 v3, v1, v3
	v_cndmask_b32_e32 v1, v9, v5, vcc
	v_lshlrev_b32_e32 v6, 2, v1
	ds_bpermute_b32 v5, v6, v3
	v_cmp_eq_u32_e32 vcc, 0, v24
	v_lshlrev_b32_e32 v1, 2, v23
	s_and_saveexec_b64 s[4:5], vcc
	s_cbranch_execz .LBB286_86
; %bb.85:
	s_waitcnt lgkmcnt(0)
	v_max_f32_e32 v5, v5, v5
	v_max_f32_e32 v3, v3, v3
	;; [unrolled: 1-line block ×3, first 2 shown]
	ds_write_b32 v1, v3 offset:192
.LBB286_86:
	s_or_b64 exec, exec, s[4:5]
	v_cmp_gt_u32_e64 s[4:5], 2, v24
	v_mov_b32_e32 v7, 0xff7fffff
	v_lshlrev_b32_e32 v3, 2, v24
	s_waitcnt lgkmcnt(0)
	s_barrier
	s_and_saveexec_b64 s[6:7], s[4:5]
; %bb.87:
	ds_read_b32 v7, v3 offset:192
; %bb.88:
	s_or_b64 exec, exec, s[6:7]
	v_xor_b32_e32 v5, 1, v9
	v_cmp_lt_i32_e64 s[6:7], v5, v10
	v_cndmask_b32_e64 v5, v9, v5, s[6:7]
	v_lshlrev_b32_e32 v5, 2, v5
	s_waitcnt lgkmcnt(0)
	ds_bpermute_b32 v12, v5, v7
	v_max_f32_e32 v7, v7, v7
	v_lshlrev_b32_e32 v11, 2, v11
	s_lshl_b32 s6, s33, 3
	s_min_i32 s34, s6, s21
	s_waitcnt lgkmcnt(0)
	v_max_f32_e32 v12, v12, v12
	v_max_f32_e32 v7, v7, v12
	ds_bpermute_b32 v11, v11, v7
	v_cmp_gt_i32_e64 s[6:7], s34, v0
	v_mov_b32_e32 v7, 0
	s_and_saveexec_b64 s[14:15], s[6:7]
	s_cbranch_execz .LBB286_92
; %bb.89:
	v_mov_b32_e32 v7, 0xd0
	v_lshl_add_u32 v12, v0, 2, v7
	v_mov_b32_e32 v7, 0
	s_mov_b64 s[16:17], 0
	v_mov_b32_e32 v13, v0
.LBB286_90:                             ; =>This Inner Loop Header: Depth=1
	ds_read_b32 v14, v12
	v_add_u32_e32 v13, 0x80, v13
	v_cmp_le_i32_e64 s[10:11], s34, v13
	s_or_b64 s[16:17], s[10:11], s[16:17]
	s_waitcnt lgkmcnt(0)
	v_sub_f32_e32 v14, v14, v11
	v_mul_f32_e32 v14, 0x3fb8aa3b, v14
	v_exp_f32_e32 v14, v14
	ds_write_b32 v12, v14
	v_add_f32_e32 v7, v7, v14
	v_add_u32_e32 v12, 0x200, v12
	s_andn2_b64 exec, exec, s[16:17]
	s_cbranch_execnz .LBB286_90
; %bb.91:
	s_or_b64 exec, exec, s[16:17]
.LBB286_92:
	s_or_b64 exec, exec, s[14:15]
	ds_bpermute_b32 v2, v2, v7
	s_waitcnt lgkmcnt(0)
	v_add_f32_e32 v2, v7, v2
	ds_bpermute_b32 v4, v4, v2
	s_waitcnt lgkmcnt(0)
	v_add_f32_e32 v2, v2, v4
	ds_bpermute_b32 v4, v6, v2
	v_xor_b32_e32 v6, 4, v9
	v_cmp_lt_i32_e64 s[10:11], v6, v10
	v_cndmask_b32_e64 v6, v9, v6, s[10:11]
	v_lshlrev_b32_e32 v6, 2, v6
	s_waitcnt lgkmcnt(0)
	v_add_f32_e32 v2, v2, v4
	ds_bpermute_b32 v4, v6, v2
	v_xor_b32_e32 v6, 2, v9
	v_cmp_lt_i32_e64 s[10:11], v6, v10
	v_cndmask_b32_e64 v6, v9, v6, s[10:11]
	s_waitcnt lgkmcnt(0)
	v_add_f32_e32 v2, v2, v4
	v_lshlrev_b32_e32 v4, 2, v6
	ds_bpermute_b32 v4, v4, v2
	s_waitcnt lgkmcnt(0)
	v_add_f32_e32 v2, v2, v4
	ds_bpermute_b32 v4, v5, v2
	s_waitcnt lgkmcnt(0)
	v_add_f32_e32 v2, v2, v4
	s_and_saveexec_b64 s[10:11], vcc
; %bb.93:
	ds_write_b32 v1, v2 offset:200
; %bb.94:
	s_or_b64 exec, exec, s[10:11]
	s_waitcnt lgkmcnt(0)
	s_barrier
	s_and_saveexec_b64 s[10:11], s[4:5]
; %bb.95:
	ds_read_b32 v2, v3 offset:200
; %bb.96:
	s_or_b64 exec, exec, s[10:11]
	s_waitcnt lgkmcnt(0)
	ds_bpermute_b32 v1, v5, v2
	v_lshlrev_b32_e32 v3, 2, v9
	s_waitcnt lgkmcnt(0)
	v_add_f32_e32 v1, v2, v1
	v_and_b32_e32 v2, 0xffffff00, v3
	ds_bpermute_b32 v1, v2, v1
	s_and_saveexec_b64 s[4:5], s[6:7]
	s_cbranch_execz .LBB286_99
; %bb.97:
	s_waitcnt lgkmcnt(0)
	v_add_f32_e32 v2, 0x358637bd, v1
	v_div_scale_f32 v1, s[6:7], v2, v2, 1.0
	v_div_scale_f32 v3, vcc, 1.0, v2, 1.0
	s_mov_b64 s[6:7], 0
	v_rcp_f32_e32 v4, v1
	v_fma_f32 v5, -v1, v4, 1.0
	v_fmac_f32_e32 v4, v5, v4
	v_mul_f32_e32 v5, v3, v4
	v_fma_f32 v6, -v1, v5, v3
	v_fmac_f32_e32 v5, v6, v4
	v_fma_f32 v1, -v1, v5, v3
	v_div_fmas_f32 v3, v1, v4, v5
	v_mov_b32_e32 v1, 0xd0
	v_lshl_add_u32 v1, v0, 2, v1
	v_div_fixup_f32 v2, v3, v2, 1.0
	v_mov_b32_e32 v3, v0
.LBB286_98:                             ; =>This Inner Loop Header: Depth=1
	ds_read_b32 v4, v1
	v_add_u32_e32 v3, 0x80, v3
	v_cmp_le_i32_e32 vcc, s34, v3
	s_or_b64 s[6:7], vcc, s[6:7]
	s_waitcnt lgkmcnt(0)
	v_mul_f32_e32 v4, v2, v4
	ds_write_b32 v1, v4
	v_add_u32_e32 v1, 0x200, v1
	s_andn2_b64 exec, exec, s[6:7]
	s_cbranch_execnz .LBB286_98
.LBB286_99:
	s_or_b64 exec, exec, s[4:5]
	v_mov_b32_e32 v12, 0
	v_mov_b32_e32 v11, v12
	;; [unrolled: 1-line block ×4, first 2 shown]
	s_waitcnt lgkmcnt(0)
	s_barrier
	s_and_saveexec_b64 s[6:7], s[2:3]
	s_cbranch_execz .LBB286_205
; %bb.100:
	s_ashr_i32 s2, s12, 31
	s_add_u32 s4, s30, s12
	s_addc_u32 s5, s31, s2
	v_or_b32_e32 v1, 64, v24
	s_movk_i32 s2, 0x60
	s_add_i32 s30, s33, -1
	s_load_dword s31, s[18:19], 0x0
	v_cmp_gt_u32_e32 vcc, s2, v1
	s_lshl_b64 s[2:3], s[28:29], 2
	v_lshlrev_b32_e32 v26, 3, v1
	v_mov_b32_e32 v1, 0xd0
	s_add_u32 s2, s26, s2
	v_lshl_add_u32 v28, v23, 5, v1
	v_and_b32_e32 v1, 60, v8
	s_addc_u32 s3, s27, s3
	v_mov_b32_e32 v11, v12
	s_mov_b32 s10, -1
	v_mov_b32_e32 v2, s3
	v_add_co_u32_e64 v13, s[2:3], s2, v1
	v_mov_b32_e32 v16, s5
	v_mov_b32_e32 v9, v11
	s_mov_b32 s34, s13
	s_mov_b32 s11, 0xffffff
	v_lshlrev_b32_e32 v25, 3, v24
	v_lshl_or_b32 v27, v23, 3, 7
	v_addc_co_u32_e64 v14, s[2:3], 0, v2, s[2:3]
	s_mov_b64 s[12:13], 0
	v_mov_b32_e32 v15, s4
	s_movk_i32 s28, 0x80
	s_movk_i32 s29, 0x7f
	;; [unrolled: 1-line block ×3, first 2 shown]
	s_mov_b32 s36, 0x7060302
	v_bfrev_b32_e32 v29, 60
	v_mov_b32_e32 v10, v12
	s_branch .LBB286_103
.LBB286_101:                            ;   in Loop: Header=BB286_103 Depth=1
	s_or_b64 exec, exec, s[4:5]
	v_perm_b32 v5, v6, v5, s36
	v_perm_b32 v6, v8, v7, s36
	v_lshlrev_b32_e32 v8, 16, v5
	v_lshlrev_b32_e32 v19, 16, v32
	v_mul_f32_e32 v8, v8, v19
	v_and_b32_e32 v5, 0xffff0000, v5
	v_lshlrev_b32_e32 v18, 16, v18
	v_bfe_u32 v19, v8, 16, 1
	v_mul_f32_e32 v5, v5, v18
	v_perm_b32 v7, v21, v20, s36
	v_add3_u32 v19, v19, v8, s35
	v_or_b32_e32 v20, 0x400000, v8
	v_cmp_u_f32_e64 s[2:3], v8, v8
	v_bfe_u32 v18, v5, 16, 1
	v_cndmask_b32_e64 v8, v19, v20, s[2:3]
	v_add3_u32 v18, v18, v5, s35
	v_or_b32_e32 v19, 0x400000, v5
	v_cmp_u_f32_e64 s[2:3], v5, v5
	v_cndmask_b32_e64 v5, v18, v19, s[2:3]
	v_lshlrev_b32_e32 v18, 16, v6
	v_lshlrev_b32_e32 v19, 16, v31
	v_mul_f32_e32 v18, v18, v19
	v_and_b32_e32 v6, 0xffff0000, v6
	v_lshlrev_b32_e32 v3, 16, v3
	v_bfe_u32 v19, v18, 16, 1
	v_mul_f32_e32 v3, v6, v3
	v_add3_u32 v19, v19, v18, s35
	v_or_b32_e32 v20, 0x400000, v18
	v_cmp_u_f32_e64 s[2:3], v18, v18
	v_bfe_u32 v6, v3, 16, 1
	v_cndmask_b32_e64 v18, v19, v20, s[2:3]
	v_add3_u32 v6, v6, v3, s35
	v_or_b32_e32 v19, 0x400000, v3
	v_cmp_u_f32_e64 s[2:3], v3, v3
	v_cndmask_b32_e64 v3, v6, v19, s[2:3]
	v_lshlrev_b32_e32 v6, 16, v7
	v_lshlrev_b32_e32 v2, 16, v2
	v_mul_f32_e32 v2, v6, v2
	v_bfe_u32 v6, v2, 16, 1
	v_add3_u32 v6, v6, v2, s35
	v_or_b32_e32 v19, 0x400000, v2
	v_cmp_u_f32_e64 s[2:3], v2, v2
	v_cndmask_b32_e64 v2, v6, v19, s[2:3]
	v_and_b32_e32 v6, 0xffff0000, v7
	v_lshlrev_b32_e32 v1, 16, v1
	v_mul_f32_e32 v1, v6, v1
	v_bfe_u32 v6, v1, 16, 1
	v_perm_b32 v4, v4, v30, s36
	v_add3_u32 v6, v6, v1, s35
	v_or_b32_e32 v7, 0x400000, v1
	v_cmp_u_f32_e64 s[2:3], v1, v1
	v_cndmask_b32_e64 v1, v6, v7, s[2:3]
	v_lshlrev_b32_e32 v6, 16, v4
	v_lshlrev_b32_e32 v7, 16, v17
	v_mul_f32_e32 v6, v6, v7
	v_bfe_u32 v7, v6, 16, 1
	v_add3_u32 v7, v7, v6, s35
	v_or_b32_e32 v17, 0x400000, v6
	v_cmp_u_f32_e64 s[2:3], v6, v6
	v_cndmask_b32_e64 v6, v7, v17, s[2:3]
	v_and_b32_e32 v4, 0xffff0000, v4
	v_lshlrev_b32_e32 v7, 16, v11
	v_mul_f32_e32 v4, v4, v7
	v_bfe_u32 v7, v4, 16, 1
	v_add3_u32 v7, v7, v4, s35
	v_or_b32_e32 v11, 0x400000, v4
	v_cmp_u_f32_e64 s[2:3], v4, v4
	v_cndmask_b32_e64 v4, v7, v11, s[2:3]
	v_and_b32_e32 v5, 0xffff0000, v5
	v_and_b32_e32 v7, 0xffff0000, v8
	v_add_f32_e32 v5, v7, v5
	v_and_b32_e32 v3, 0xffff0000, v3
	v_and_b32_e32 v7, 0xffff0000, v18
	v_add_f32_e32 v3, v7, v3
	v_and_b32_e32 v1, 0xffff0000, v1
	v_and_b32_e32 v2, 0xffff0000, v2
	v_add_f32_e32 v3, v3, v5
	v_add_f32_e32 v1, v2, v1
	v_add_f32_e32 v1, v1, v3
	v_and_b32_e32 v2, 0xffff0000, v4
	v_and_b32_e32 v3, 0xffff0000, v6
	v_add_f32_e32 v2, v3, v2
	v_add_f32_e32 v1, v2, v1
	v_add_f32_e32 v10, v10, v1
.LBB286_102:                            ;   in Loop: Header=BB286_103 Depth=1
	s_or_b64 exec, exec, s[14:15]
	v_add_u32_e32 v23, 2, v23
	v_cmp_le_i32_e64 s[2:3], s33, v23
	s_or_b64 s[12:13], s[2:3], s[12:13]
	v_add_co_u32_e64 v13, s[2:3], 8, v13
	v_add_u32_e32 v27, 16, v27
	v_add_u32_e32 v28, 64, v28
	v_addc_co_u32_e64 v14, s[2:3], 0, v14, s[2:3]
	s_andn2_b64 exec, exec, s[12:13]
	s_cbranch_execz .LBB286_204
.LBB286_103:                            ; =>This Inner Loop Header: Depth=1
	global_load_dword v1, v[13:14], off
	v_mov_b32_e32 v30, 0
	s_waitcnt vmcnt(0)
	v_mad_i64_i32 v[17:18], s[2:3], v1, s34, v[15:16]
	v_add_co_u32_e64 v1, s[2:3], v17, v25
	v_addc_co_u32_e64 v2, s[2:3], 0, v18, s[2:3]
	global_load_dwordx2 v[19:20], v[1:2], off
	ds_read2_b64 v[5:8], v28 offset1:1
	ds_read2_b64 v[1:4], v28 offset0:2 offset1:3
	s_waitcnt vmcnt(0)
	v_cmp_ne_u16_sdwa s[2:3], v19, v12 src0_sel:BYTE_0 src1_sel:DWORD
	s_and_saveexec_b64 s[4:5], s[2:3]
	s_cbranch_execz .LBB286_109
; %bb.104:                              ;   in Loop: Header=BB286_103 Depth=1
	v_cmp_ne_u16_sdwa s[2:3], v19, s28 src0_sel:BYTE_0 src1_sel:DWORD
	v_bfrev_b32_e32 v30, 1
	s_and_saveexec_b64 s[14:15], s[2:3]
	s_cbranch_execz .LBB286_108
; %bb.105:                              ;   in Loop: Header=BB286_103 Depth=1
	v_and_b32_e32 v11, 0x7f, v19
	v_cmp_ne_u32_e64 s[2:3], s29, v11
	v_mov_b32_e32 v30, 0x7f800001
	s_and_saveexec_b64 s[16:17], s[2:3]
	s_cbranch_execz .LBB286_107
; %bb.106:                              ;   in Loop: Header=BB286_103 Depth=1
	v_and_b32_e32 v21, 7, v19
	v_ffbh_u32_e32 v21, v21
	v_min_u32_e32 v21, 32, v21
	v_lshrrev_b32_e32 v30, 3, v11
	v_subrev_u32_e32 v31, 28, v21
	v_sub_u32_e32 v21, 29, v21
	v_cmp_gt_u32_e64 s[2:3], 8, v11
	v_cndmask_b32_e64 v11, v30, v21, s[2:3]
	v_cndmask_b32_e64 v21, 0, v31, s[2:3]
	v_lshlrev_b64 v[30:31], v21, v[19:20]
	v_lshl_add_u32 v11, v11, 23, v29
	v_lshlrev_b32_e32 v21, 20, v30
	v_lshlrev_b32_e32 v30, 24, v19
	v_and_b32_e32 v21, 0x700000, v21
	v_and_b32_e32 v30, 0x80000000, v30
	v_or3_b32 v30, v30, v11, v21
.LBB286_107:                            ;   in Loop: Header=BB286_103 Depth=1
	s_or_b64 exec, exec, s[16:17]
.LBB286_108:                            ;   in Loop: Header=BB286_103 Depth=1
	s_or_b64 exec, exec, s[14:15]
.LBB286_109:                            ;   in Loop: Header=BB286_103 Depth=1
	s_or_b64 exec, exec, s[4:5]
	v_lshrrev_b16_e32 v11, 8, v19
	v_cmp_ne_u16_e64 s[2:3], 0, v11
	v_mov_b32_e32 v32, 0
	v_mov_b32_e32 v31, 0
	s_and_saveexec_b64 s[4:5], s[2:3]
	s_cbranch_execz .LBB286_115
; %bb.110:                              ;   in Loop: Header=BB286_103 Depth=1
	v_cmp_ne_u16_e64 s[2:3], s28, v11
	v_bfrev_b32_e32 v31, 1
	s_and_saveexec_b64 s[14:15], s[2:3]
	s_cbranch_execz .LBB286_114
; %bb.111:                              ;   in Loop: Header=BB286_103 Depth=1
	v_and_b32_e32 v21, 0x7f, v11
	v_cmp_ne_u32_e64 s[2:3], s29, v21
	v_mov_b32_e32 v31, 0x7f800001
	s_and_saveexec_b64 s[16:17], s[2:3]
	s_cbranch_execz .LBB286_113
; %bb.112:                              ;   in Loop: Header=BB286_103 Depth=1
	v_and_b32_e32 v31, 7, v11
	v_ffbh_u32_e32 v33, v31
	v_min_u32_e32 v36, 32, v33
	v_subrev_u32_e32 v33, 28, v36
	v_lshlrev_b64 v[33:34], v33, v[11:12]
	v_lshrrev_b32_e32 v35, 3, v21
	v_sub_u32_e32 v11, 29, v36
	v_and_b32_e32 v33, 7, v33
	v_cmp_gt_u32_e64 s[2:3], 8, v21
	v_cndmask_b32_e64 v11, v35, v11, s[2:3]
	v_cndmask_b32_e64 v21, v31, v33, s[2:3]
	v_lshlrev_b32_e32 v31, 16, v19
	v_lshlrev_b32_e32 v21, 20, v21
	v_and_b32_e32 v31, 0x80000000, v31
	v_lshl_add_u32 v11, v11, 23, v29
	v_or3_b32 v31, v31, v11, v21
.LBB286_113:                            ;   in Loop: Header=BB286_103 Depth=1
	s_or_b64 exec, exec, s[16:17]
.LBB286_114:                            ;   in Loop: Header=BB286_103 Depth=1
	s_or_b64 exec, exec, s[14:15]
.LBB286_115:                            ;   in Loop: Header=BB286_103 Depth=1
	s_or_b64 exec, exec, s[4:5]
	v_lshrrev_b32_e32 v11, 16, v19
	v_cmp_ne_u16_sdwa s[2:3], v11, v12 src0_sel:BYTE_0 src1_sel:DWORD
	s_and_saveexec_b64 s[4:5], s[2:3]
	s_cbranch_execz .LBB286_121
; %bb.116:                              ;   in Loop: Header=BB286_103 Depth=1
	v_cmp_ne_u16_sdwa s[2:3], v11, s28 src0_sel:BYTE_0 src1_sel:DWORD
	v_bfrev_b32_e32 v32, 1
	s_and_saveexec_b64 s[14:15], s[2:3]
	s_cbranch_execz .LBB286_120
; %bb.117:                              ;   in Loop: Header=BB286_103 Depth=1
	v_bfe_u32 v21, v19, 16, 7
	v_cmp_ne_u32_e64 s[2:3], s29, v21
	v_mov_b32_e32 v32, 0x7f800001
	s_and_saveexec_b64 s[16:17], s[2:3]
	s_cbranch_execz .LBB286_119
; %bb.118:                              ;   in Loop: Header=BB286_103 Depth=1
	v_and_b32_e32 v34, 7, v11
	v_ffbh_u32_e32 v32, v34
	v_min_u32_e32 v36, 32, v32
	v_subrev_u32_e32 v32, 28, v36
	v_lshlrev_b64 v[32:33], v32, v[11:12]
	v_lshrrev_b32_e32 v35, 3, v21
	v_sub_u32_e32 v33, 29, v36
	v_and_b32_e32 v32, 7, v32
	v_cmp_gt_u32_e64 s[2:3], 8, v21
	v_cndmask_b32_e64 v21, v35, v33, s[2:3]
	v_cndmask_b32_e64 v32, v34, v32, s[2:3]
	v_lshlrev_b32_e32 v11, 24, v11
	v_lshlrev_b32_e32 v32, 20, v32
	v_and_b32_e32 v11, 0x80000000, v11
	v_lshl_add_u32 v21, v21, 23, v29
	v_or3_b32 v32, v11, v21, v32
.LBB286_119:                            ;   in Loop: Header=BB286_103 Depth=1
	s_or_b64 exec, exec, s[16:17]
.LBB286_120:                            ;   in Loop: Header=BB286_103 Depth=1
	s_or_b64 exec, exec, s[14:15]
.LBB286_121:                            ;   in Loop: Header=BB286_103 Depth=1
	s_or_b64 exec, exec, s[4:5]
	v_cmp_lt_u32_e64 s[2:3], s11, v19
	v_mov_b32_e32 v34, 0
	v_mov_b32_e32 v33, 0
	s_and_saveexec_b64 s[4:5], s[2:3]
	s_cbranch_execz .LBB286_127
; %bb.122:                              ;   in Loop: Header=BB286_103 Depth=1
	v_lshrrev_b32_e32 v11, 24, v19
	v_cmp_ne_u32_e64 s[2:3], s28, v11
	v_bfrev_b32_e32 v33, 1
	s_and_saveexec_b64 s[14:15], s[2:3]
	s_cbranch_execz .LBB286_126
; %bb.123:                              ;   in Loop: Header=BB286_103 Depth=1
	v_bfe_u32 v21, v19, 24, 7
	v_cmp_ne_u32_e64 s[2:3], s29, v21
	v_mov_b32_e32 v33, 0x7f800001
	s_and_saveexec_b64 s[16:17], s[2:3]
	s_cbranch_execz .LBB286_125
; %bb.124:                              ;   in Loop: Header=BB286_103 Depth=1
	v_and_b32_e32 v33, 7, v11
	v_ffbh_u32_e32 v35, v33
	v_min_u32_e32 v38, 32, v35
	v_subrev_u32_e32 v35, 28, v38
	v_lshlrev_b64 v[35:36], v35, v[11:12]
	v_lshrrev_b32_e32 v37, 3, v21
	v_sub_u32_e32 v36, 29, v38
	v_and_b32_e32 v35, 7, v35
	v_cmp_gt_u32_e64 s[2:3], 8, v21
	v_cndmask_b32_e64 v21, v37, v36, s[2:3]
	v_cndmask_b32_e64 v33, v33, v35, s[2:3]
	v_lshlrev_b32_e32 v11, 24, v11
	v_lshlrev_b32_e32 v33, 20, v33
	v_and_b32_e32 v11, 0x80000000, v11
	v_lshl_add_u32 v21, v21, 23, v29
	v_or3_b32 v33, v11, v21, v33
.LBB286_125:                            ;   in Loop: Header=BB286_103 Depth=1
	s_or_b64 exec, exec, s[16:17]
.LBB286_126:                            ;   in Loop: Header=BB286_103 Depth=1
	s_or_b64 exec, exec, s[14:15]
.LBB286_127:                            ;   in Loop: Header=BB286_103 Depth=1
	s_or_b64 exec, exec, s[4:5]
	v_mov_b32_e32 v11, v20
	v_cmp_ne_u16_sdwa s[2:3], v20, v12 src0_sel:BYTE_0 src1_sel:DWORD
	s_and_saveexec_b64 s[4:5], s[2:3]
	s_cbranch_execz .LBB286_133
; %bb.128:                              ;   in Loop: Header=BB286_103 Depth=1
	v_cmp_ne_u16_sdwa s[2:3], v20, s28 src0_sel:BYTE_0 src1_sel:DWORD
	v_bfrev_b32_e32 v34, 1
	s_and_saveexec_b64 s[14:15], s[2:3]
	s_cbranch_execz .LBB286_132
; %bb.129:                              ;   in Loop: Header=BB286_103 Depth=1
	v_and_b32_e32 v21, 0x7f, v20
	v_cmp_ne_u32_e64 s[2:3], s29, v21
	v_mov_b32_e32 v34, 0x7f800001
	s_and_saveexec_b64 s[16:17], s[2:3]
	s_cbranch_execz .LBB286_131
; %bb.130:                              ;   in Loop: Header=BB286_103 Depth=1
	v_and_b32_e32 v34, 7, v20
	v_ffbh_u32_e32 v34, v34
	v_min_u32_e32 v34, 32, v34
	v_lshrrev_b32_e32 v35, 3, v21
	v_subrev_u32_e32 v36, 28, v34
	v_sub_u32_e32 v34, 29, v34
	v_cmp_gt_u32_e64 s[2:3], 8, v21
	v_cndmask_b32_e64 v21, v35, v34, s[2:3]
	v_cndmask_b32_e64 v34, 0, v36, s[2:3]
	v_lshlrev_b64 v[34:35], v34, v[11:12]
	v_lshlrev_b32_e32 v35, 24, v11
	v_lshlrev_b32_e32 v34, 20, v34
	v_and_b32_e32 v34, 0x700000, v34
	v_and_b32_e32 v35, 0x80000000, v35
	v_lshl_add_u32 v21, v21, 23, v29
	v_or3_b32 v34, v35, v21, v34
.LBB286_131:                            ;   in Loop: Header=BB286_103 Depth=1
	s_or_b64 exec, exec, s[16:17]
.LBB286_132:                            ;   in Loop: Header=BB286_103 Depth=1
	s_or_b64 exec, exec, s[14:15]
.LBB286_133:                            ;   in Loop: Header=BB286_103 Depth=1
	s_or_b64 exec, exec, s[4:5]
	v_lshrrev_b16_e32 v21, 8, v11
	v_cmp_ne_u16_e64 s[2:3], 0, v21
	v_mov_b32_e32 v35, 0
	v_mov_b32_e32 v36, 0
	s_and_saveexec_b64 s[4:5], s[2:3]
	s_cbranch_execz .LBB286_139
; %bb.134:                              ;   in Loop: Header=BB286_103 Depth=1
	v_cmp_ne_u16_e64 s[2:3], s28, v21
	v_bfrev_b32_e32 v36, 1
	s_and_saveexec_b64 s[14:15], s[2:3]
	s_cbranch_execz .LBB286_138
; %bb.135:                              ;   in Loop: Header=BB286_103 Depth=1
	v_and_b32_e32 v37, 0x7f, v21
	v_cmp_ne_u32_e64 s[2:3], s29, v37
	v_mov_b32_e32 v36, 0x7f800001
	s_and_saveexec_b64 s[16:17], s[2:3]
	s_cbranch_execz .LBB286_137
; %bb.136:                              ;   in Loop: Header=BB286_103 Depth=1
	v_and_b32_e32 v36, 7, v21
	v_ffbh_u32_e32 v38, v36
	v_min_u32_e32 v41, 32, v38
	v_subrev_u32_e32 v38, 28, v41
	v_lshlrev_b64 v[38:39], v38, v[21:22]
	v_lshrrev_b32_e32 v40, 3, v37
	v_sub_u32_e32 v21, 29, v41
	v_and_b32_e32 v38, 7, v38
	v_cmp_gt_u32_e64 s[2:3], 8, v37
	v_cndmask_b32_e64 v21, v40, v21, s[2:3]
	v_cndmask_b32_e64 v36, v36, v38, s[2:3]
	v_lshlrev_b32_e32 v11, 16, v11
	v_lshlrev_b32_e32 v36, 20, v36
	v_and_b32_e32 v11, 0x80000000, v11
	v_lshl_add_u32 v21, v21, 23, v29
	v_or3_b32 v36, v11, v21, v36
.LBB286_137:                            ;   in Loop: Header=BB286_103 Depth=1
	s_or_b64 exec, exec, s[16:17]
.LBB286_138:                            ;   in Loop: Header=BB286_103 Depth=1
	s_or_b64 exec, exec, s[14:15]
.LBB286_139:                            ;   in Loop: Header=BB286_103 Depth=1
	s_or_b64 exec, exec, s[4:5]
	v_lshrrev_b32_e32 v11, 16, v20
	v_cmp_ne_u16_sdwa s[2:3], v11, v12 src0_sel:BYTE_0 src1_sel:DWORD
	s_and_saveexec_b64 s[4:5], s[2:3]
	s_cbranch_execz .LBB286_145
; %bb.140:                              ;   in Loop: Header=BB286_103 Depth=1
	v_cmp_ne_u16_sdwa s[2:3], v11, s28 src0_sel:BYTE_0 src1_sel:DWORD
	v_bfrev_b32_e32 v35, 1
	s_and_saveexec_b64 s[14:15], s[2:3]
	s_cbranch_execz .LBB286_144
; %bb.141:                              ;   in Loop: Header=BB286_103 Depth=1
	v_bfe_u32 v21, v20, 16, 7
	v_cmp_ne_u32_e64 s[2:3], s29, v21
	v_mov_b32_e32 v35, 0x7f800001
	s_and_saveexec_b64 s[16:17], s[2:3]
	s_cbranch_execz .LBB286_143
; %bb.142:                              ;   in Loop: Header=BB286_103 Depth=1
	v_and_b32_e32 v35, 7, v11
	v_ffbh_u32_e32 v37, v35
	v_min_u32_e32 v40, 32, v37
	v_subrev_u32_e32 v37, 28, v40
	v_lshlrev_b64 v[37:38], v37, v[11:12]
	v_lshrrev_b32_e32 v39, 3, v21
	v_sub_u32_e32 v38, 29, v40
	v_and_b32_e32 v37, 7, v37
	v_cmp_gt_u32_e64 s[2:3], 8, v21
	v_cndmask_b32_e64 v21, v39, v38, s[2:3]
	v_cndmask_b32_e64 v35, v35, v37, s[2:3]
	v_lshlrev_b32_e32 v11, 24, v11
	v_lshlrev_b32_e32 v35, 20, v35
	v_and_b32_e32 v11, 0x80000000, v11
	v_lshl_add_u32 v21, v21, 23, v29
	v_or3_b32 v35, v11, v21, v35
.LBB286_143:                            ;   in Loop: Header=BB286_103 Depth=1
	s_or_b64 exec, exec, s[16:17]
.LBB286_144:                            ;   in Loop: Header=BB286_103 Depth=1
	s_or_b64 exec, exec, s[14:15]
.LBB286_145:                            ;   in Loop: Header=BB286_103 Depth=1
	s_or_b64 exec, exec, s[4:5]
	v_cmp_lt_u64_e64 s[2:3], s[10:11], v[19:20]
	v_mov_b32_e32 v21, 0
	s_and_saveexec_b64 s[4:5], s[2:3]
	s_cbranch_execz .LBB286_151
; %bb.146:                              ;   in Loop: Header=BB286_103 Depth=1
	v_lshrrev_b32_e32 v11, 24, v20
	v_cmp_ne_u32_e64 s[2:3], s28, v11
	v_bfrev_b32_e32 v21, 1
	s_and_saveexec_b64 s[14:15], s[2:3]
	s_cbranch_execz .LBB286_150
; %bb.147:                              ;   in Loop: Header=BB286_103 Depth=1
	v_bfe_u32 v19, v20, 24, 7
	v_cmp_ne_u32_e64 s[2:3], s29, v19
	v_mov_b32_e32 v21, 0x7f800001
	s_and_saveexec_b64 s[16:17], s[2:3]
	s_cbranch_execz .LBB286_149
; %bb.148:                              ;   in Loop: Header=BB286_103 Depth=1
	v_and_b32_e32 v37, 7, v11
	v_ffbh_u32_e32 v20, v37
	v_min_u32_e32 v39, 32, v20
	v_subrev_u32_e32 v20, 28, v39
	v_lshlrev_b64 v[20:21], v20, v[11:12]
	v_lshrrev_b32_e32 v38, 3, v19
	v_sub_u32_e32 v21, 29, v39
	v_and_b32_e32 v20, 7, v20
	v_cmp_gt_u32_e64 s[2:3], 8, v19
	v_cndmask_b32_e64 v19, v38, v21, s[2:3]
	v_cndmask_b32_e64 v20, v37, v20, s[2:3]
	v_lshlrev_b32_e32 v11, 24, v11
	v_lshlrev_b32_e32 v20, 20, v20
	v_and_b32_e32 v11, 0x80000000, v11
	v_lshl_add_u32 v19, v19, 23, v29
	v_or3_b32 v21, v11, v19, v20
.LBB286_149:                            ;   in Loop: Header=BB286_103 Depth=1
	s_or_b64 exec, exec, s[16:17]
.LBB286_150:                            ;   in Loop: Header=BB286_103 Depth=1
	s_or_b64 exec, exec, s[14:15]
.LBB286_151:                            ;   in Loop: Header=BB286_103 Depth=1
	s_or_b64 exec, exec, s[4:5]
	s_waitcnt lgkmcnt(0)
	v_mul_f32_e32 v11, s31, v36
	v_bfe_u32 v20, v11, 16, 1
	v_add3_u32 v20, v20, v11, s35
	v_or_b32_e32 v36, 0x400000, v11
	v_cmp_u_f32_e64 s[4:5], v11, v11
	v_cndmask_b32_e64 v11, v20, v36, s[4:5]
	v_mul_f32_e32 v20, s31, v34
	v_bfe_u32 v34, v20, 16, 1
	v_add3_u32 v34, v34, v20, s35
	v_or_b32_e32 v36, 0x400000, v20
	v_cmp_u_f32_e64 s[4:5], v20, v20
	v_cndmask_b32_e64 v20, v34, v36, s[4:5]
	v_lshrrev_b32_e32 v34, 16, v20
	v_mul_f32_e32 v20, s31, v33
	v_bfe_u32 v33, v20, 16, 1
	v_add3_u32 v33, v33, v20, s35
	v_or_b32_e32 v36, 0x400000, v20
	v_cmp_u_f32_e64 s[4:5], v20, v20
	v_cndmask_b32_e64 v20, v33, v36, s[4:5]
	v_lshrrev_b32_e32 v33, 16, v20
	;; [unrolled: 7-line block ×6, first 2 shown]
	v_mul_f32_e32 v20, s31, v21
	v_bfe_u32 v21, v20, 16, 1
	v_add3_u32 v21, v21, v20, s35
	v_or_b32_e32 v30, 0x400000, v20
	v_cmp_u_f32_e64 s[4:5], v20, v20
	v_cndmask_b32_e64 v20, v21, v30, s[4:5]
	v_add_u32_e32 v19, -7, v27
	v_cmp_eq_u32_e64 s[2:3], s30, v23
	v_lshrrev_b32_e32 v11, 16, v11
	v_lshrrev_b32_e32 v31, 16, v20
	s_and_saveexec_b64 s[14:15], s[2:3]
	s_cbranch_execz .LBB286_153
; %bb.152:                              ;   in Loop: Header=BB286_103 Depth=1
	v_cmp_gt_i32_e64 s[4:5], s21, v19
	v_add_u32_e32 v20, -6, v27
	v_cndmask_b32_e64 v38, 0, v38, s[4:5]
	v_cmp_gt_i32_e64 s[4:5], s21, v20
	v_add_u32_e32 v20, -5, v27
	v_cndmask_b32_e64 v37, 0, v37, s[4:5]
	;; [unrolled: 3-line block ×6, first 2 shown]
	v_cmp_gt_i32_e64 s[4:5], s21, v20
	v_cndmask_b32_e64 v32, 0, v32, s[4:5]
	v_cmp_gt_i32_e64 s[4:5], s21, v27
	v_cndmask_b32_e64 v31, 0, v31, s[4:5]
.LBB286_153:                            ;   in Loop: Header=BB286_103 Depth=1
	s_or_b64 exec, exec, s[14:15]
	v_bfe_u32 v20, v5, 16, 1
	v_add3_u32 v20, v20, v5, s35
	v_or_b32_e32 v21, 0x400000, v5
	v_cmp_u_f32_e64 s[4:5], v5, v5
	v_cndmask_b32_e64 v5, v20, v21, s[4:5]
	v_bfe_u32 v20, v6, 16, 1
	v_add3_u32 v20, v20, v6, s35
	v_or_b32_e32 v21, 0x400000, v6
	v_cmp_u_f32_e64 s[4:5], v6, v6
	v_cndmask_b32_e64 v6, v20, v21, s[4:5]
	v_bfe_u32 v20, v7, 16, 1
	v_add3_u32 v20, v20, v7, s35
	v_or_b32_e32 v21, 0x400000, v7
	v_cmp_u_f32_e64 s[4:5], v7, v7
	v_cndmask_b32_e64 v7, v20, v21, s[4:5]
	v_bfe_u32 v20, v8, 16, 1
	v_add3_u32 v20, v20, v8, s35
	v_or_b32_e32 v21, 0x400000, v8
	v_cmp_u_f32_e64 s[4:5], v8, v8
	v_cndmask_b32_e64 v8, v20, v21, s[4:5]
	v_bfe_u32 v20, v1, 16, 1
	v_add3_u32 v20, v20, v1, s35
	v_or_b32_e32 v21, 0x400000, v1
	v_cmp_u_f32_e64 s[4:5], v1, v1
	v_bfe_u32 v1, v2, 16, 1
	v_cndmask_b32_e64 v20, v20, v21, s[4:5]
	v_add3_u32 v1, v1, v2, s35
	v_or_b32_e32 v21, 0x400000, v2
	v_cmp_u_f32_e64 s[4:5], v2, v2
	v_cndmask_b32_e64 v21, v1, v21, s[4:5]
	v_bfe_u32 v1, v3, 16, 1
	v_add3_u32 v1, v1, v3, s35
	v_or_b32_e32 v2, 0x400000, v3
	v_cmp_u_f32_e64 s[4:5], v3, v3
	v_cndmask_b32_e64 v30, v1, v2, s[4:5]
	v_bfe_u32 v1, v4, 16, 1
	v_add3_u32 v1, v1, v4, s35
	v_or_b32_e32 v2, 0x400000, v4
	v_cmp_u_f32_e64 s[4:5], v4, v4
	v_cndmask_b32_e64 v4, v1, v2, s[4:5]
	v_and_b32_e32 v1, 0xffff0000, v5
	v_lshlrev_b32_e32 v2, 16, v38
	v_mul_f32_e32 v1, v1, v2
	v_bfe_u32 v2, v1, 16, 1
	v_add3_u32 v2, v2, v1, s35
	v_or_b32_e32 v3, 0x400000, v1
	v_cmp_u_f32_e64 s[4:5], v1, v1
	v_cndmask_b32_e64 v1, v2, v3, s[4:5]
	v_and_b32_e32 v2, 0xffff0000, v6
	v_lshlrev_b32_e32 v3, 16, v37
	v_mul_f32_e32 v2, v2, v3
	v_bfe_u32 v3, v2, 16, 1
	v_add3_u32 v3, v3, v2, s35
	v_or_b32_e32 v35, 0x400000, v2
	v_cmp_u_f32_e64 s[4:5], v2, v2
	v_cndmask_b32_e64 v2, v3, v35, s[4:5]
	v_and_b32_e32 v3, 0xffff0000, v7
	v_lshlrev_b32_e32 v35, 16, v36
	v_mul_f32_e32 v3, v3, v35
	v_bfe_u32 v35, v3, 16, 1
	v_add3_u32 v35, v35, v3, s35
	v_or_b32_e32 v36, 0x400000, v3
	v_cmp_u_f32_e64 s[4:5], v3, v3
	v_cndmask_b32_e64 v3, v35, v36, s[4:5]
	v_and_b32_e32 v35, 0xffff0000, v8
	v_lshlrev_b32_e32 v33, 16, v33
	v_mul_f32_e32 v33, v35, v33
	v_bfe_u32 v35, v33, 16, 1
	v_add3_u32 v35, v35, v33, s35
	v_or_b32_e32 v36, 0x400000, v33
	v_cmp_u_f32_e64 s[4:5], v33, v33
	v_cndmask_b32_e64 v33, v35, v36, s[4:5]
	v_and_b32_e32 v35, 0xffff0000, v20
	v_lshlrev_b32_e32 v34, 16, v34
	v_mul_f32_e32 v34, v35, v34
	v_bfe_u32 v35, v34, 16, 1
	v_add3_u32 v35, v35, v34, s35
	v_or_b32_e32 v36, 0x400000, v34
	v_cmp_u_f32_e64 s[4:5], v34, v34
	v_cndmask_b32_e64 v34, v35, v36, s[4:5]
	v_and_b32_e32 v35, 0xffff0000, v21
	v_lshlrev_b32_e32 v11, 16, v11
	v_mul_f32_e32 v11, v35, v11
	v_bfe_u32 v35, v11, 16, 1
	v_add3_u32 v35, v35, v11, s35
	v_or_b32_e32 v36, 0x400000, v11
	v_cmp_u_f32_e64 s[4:5], v11, v11
	v_cndmask_b32_e64 v11, v35, v36, s[4:5]
	v_and_b32_e32 v35, 0xffff0000, v30
	v_lshlrev_b32_e32 v32, 16, v32
	v_mul_f32_e32 v32, v35, v32
	v_bfe_u32 v35, v32, 16, 1
	v_add3_u32 v35, v35, v32, s35
	v_or_b32_e32 v36, 0x400000, v32
	v_cmp_u_f32_e64 s[4:5], v32, v32
	v_cndmask_b32_e64 v32, v35, v36, s[4:5]
	v_and_b32_e32 v35, 0xffff0000, v4
	v_lshlrev_b32_e32 v31, 16, v31
	v_and_b32_e32 v2, 0xffff0000, v2
	v_and_b32_e32 v1, 0xffff0000, v1
	v_mul_f32_e32 v31, v35, v31
	v_add_f32_e32 v1, v1, v2
	v_and_b32_e32 v2, 0xffff0000, v33
	v_and_b32_e32 v3, 0xffff0000, v3
	v_bfe_u32 v35, v31, 16, 1
	v_add_f32_e32 v2, v3, v2
	v_add3_u32 v35, v35, v31, s35
	v_or_b32_e32 v36, 0x400000, v31
	v_cmp_u_f32_e64 s[4:5], v31, v31
	v_add_f32_e32 v1, v2, v1
	v_and_b32_e32 v2, 0xffff0000, v11
	v_and_b32_e32 v3, 0xffff0000, v34
	v_cndmask_b32_e64 v31, v35, v36, s[4:5]
	v_add_f32_e32 v2, v3, v2
	v_add_f32_e32 v1, v2, v1
	v_and_b32_e32 v2, 0xffff0000, v31
	v_and_b32_e32 v3, 0xffff0000, v32
	v_add_f32_e32 v2, v3, v2
	v_add_f32_e32 v1, v2, v1
	;; [unrolled: 1-line block ×3, first 2 shown]
	s_and_saveexec_b64 s[14:15], vcc
	s_cbranch_execz .LBB286_102
; %bb.154:                              ;   in Loop: Header=BB286_103 Depth=1
	v_add_co_u32_e64 v1, s[4:5], v17, v26
	v_addc_co_u32_e64 v2, s[4:5], 0, v18, s[4:5]
	global_load_dwordx2 v[1:2], v[1:2], off
	v_mov_b32_e32 v18, 0
	v_mov_b32_e32 v17, 0
	s_waitcnt vmcnt(0)
	v_cmp_ne_u16_sdwa s[4:5], v1, v12 src0_sel:BYTE_0 src1_sel:DWORD
	s_and_saveexec_b64 s[16:17], s[4:5]
	s_cbranch_execz .LBB286_160
; %bb.155:                              ;   in Loop: Header=BB286_103 Depth=1
	v_cmp_ne_u16_sdwa s[4:5], v1, s28 src0_sel:BYTE_0 src1_sel:DWORD
	v_bfrev_b32_e32 v17, 1
	s_and_saveexec_b64 s[18:19], s[4:5]
	s_cbranch_execz .LBB286_159
; %bb.156:                              ;   in Loop: Header=BB286_103 Depth=1
	v_and_b32_e32 v3, 0x7f, v1
	v_cmp_ne_u32_e64 s[4:5], s29, v3
	v_mov_b32_e32 v17, 0x7f800001
	s_and_saveexec_b64 s[26:27], s[4:5]
	s_cbranch_execz .LBB286_158
; %bb.157:                              ;   in Loop: Header=BB286_103 Depth=1
	v_and_b32_e32 v11, 7, v1
	v_ffbh_u32_e32 v11, v11
	v_min_u32_e32 v11, 32, v11
	v_lshrrev_b32_e32 v17, 3, v3
	v_subrev_u32_e32 v31, 28, v11
	v_sub_u32_e32 v11, 29, v11
	v_cmp_gt_u32_e64 s[4:5], 8, v3
	v_cndmask_b32_e64 v3, v17, v11, s[4:5]
	v_cndmask_b32_e64 v11, 0, v31, s[4:5]
	v_lshlrev_b64 v[31:32], v11, v[1:2]
	v_lshlrev_b32_e32 v17, 24, v1
	v_lshlrev_b32_e32 v11, 20, v31
	v_and_b32_e32 v11, 0x700000, v11
	v_and_b32_e32 v17, 0x80000000, v17
	v_lshl_add_u32 v3, v3, 23, v29
	v_or3_b32 v17, v17, v3, v11
.LBB286_158:                            ;   in Loop: Header=BB286_103 Depth=1
	s_or_b64 exec, exec, s[26:27]
.LBB286_159:                            ;   in Loop: Header=BB286_103 Depth=1
	s_or_b64 exec, exec, s[18:19]
.LBB286_160:                            ;   in Loop: Header=BB286_103 Depth=1
	s_or_b64 exec, exec, s[16:17]
	v_lshrrev_b16_e32 v3, 8, v1
	v_cmp_ne_u16_e64 s[4:5], 0, v3
	s_and_saveexec_b64 s[16:17], s[4:5]
	s_cbranch_execz .LBB286_166
; %bb.161:                              ;   in Loop: Header=BB286_103 Depth=1
	v_cmp_ne_u16_e64 s[4:5], s28, v3
	v_bfrev_b32_e32 v18, 1
	s_and_saveexec_b64 s[18:19], s[4:5]
	s_cbranch_execz .LBB286_165
; %bb.162:                              ;   in Loop: Header=BB286_103 Depth=1
	v_and_b32_e32 v11, 0x7f, v3
	v_cmp_ne_u32_e64 s[4:5], s29, v11
	v_mov_b32_e32 v18, 0x7f800001
	s_and_saveexec_b64 s[26:27], s[4:5]
	s_cbranch_execz .LBB286_164
; %bb.163:                              ;   in Loop: Header=BB286_103 Depth=1
	v_and_b32_e32 v18, 7, v3
	v_ffbh_u32_e32 v31, v18
	v_min_u32_e32 v34, 32, v31
	v_subrev_u32_e32 v31, 28, v34
	v_lshlrev_b64 v[31:32], v31, v[3:4]
	v_lshrrev_b32_e32 v33, 3, v11
	v_sub_u32_e32 v3, 29, v34
	v_and_b32_e32 v31, 7, v31
	v_cmp_gt_u32_e64 s[4:5], 8, v11
	v_cndmask_b32_e64 v3, v33, v3, s[4:5]
	v_cndmask_b32_e64 v11, v18, v31, s[4:5]
	v_lshlrev_b32_e32 v18, 16, v1
	v_lshlrev_b32_e32 v11, 20, v11
	v_and_b32_e32 v18, 0x80000000, v18
	v_lshl_add_u32 v3, v3, 23, v29
	v_or3_b32 v18, v18, v3, v11
.LBB286_164:                            ;   in Loop: Header=BB286_103 Depth=1
	s_or_b64 exec, exec, s[26:27]
.LBB286_165:                            ;   in Loop: Header=BB286_103 Depth=1
	s_or_b64 exec, exec, s[18:19]
.LBB286_166:                            ;   in Loop: Header=BB286_103 Depth=1
	s_or_b64 exec, exec, s[16:17]
	v_lshrrev_b32_e32 v3, 16, v1
	v_cmp_ne_u16_sdwa s[4:5], v3, v12 src0_sel:BYTE_0 src1_sel:DWORD
	v_mov_b32_e32 v32, 0
	v_mov_b32_e32 v31, 0
	s_and_saveexec_b64 s[16:17], s[4:5]
	s_cbranch_execz .LBB286_172
; %bb.167:                              ;   in Loop: Header=BB286_103 Depth=1
	v_cmp_ne_u16_sdwa s[4:5], v3, s28 src0_sel:BYTE_0 src1_sel:DWORD
	v_bfrev_b32_e32 v31, 1
	s_and_saveexec_b64 s[18:19], s[4:5]
	s_cbranch_execz .LBB286_171
; %bb.168:                              ;   in Loop: Header=BB286_103 Depth=1
	v_bfe_u32 v11, v1, 16, 7
	v_cmp_ne_u32_e64 s[4:5], s29, v11
	v_mov_b32_e32 v31, 0x7f800001
	s_and_saveexec_b64 s[26:27], s[4:5]
	s_cbranch_execz .LBB286_170
; %bb.169:                              ;   in Loop: Header=BB286_103 Depth=1
	v_and_b32_e32 v31, 7, v3
	v_ffbh_u32_e32 v33, v31
	v_min_u32_e32 v36, 32, v33
	v_subrev_u32_e32 v33, 28, v36
	v_lshlrev_b64 v[33:34], v33, v[3:4]
	v_lshrrev_b32_e32 v35, 3, v11
	v_sub_u32_e32 v34, 29, v36
	v_and_b32_e32 v33, 7, v33
	v_cmp_gt_u32_e64 s[4:5], 8, v11
	v_cndmask_b32_e64 v11, v35, v34, s[4:5]
	v_cndmask_b32_e64 v31, v31, v33, s[4:5]
	v_lshlrev_b32_e32 v3, 24, v3
	v_lshlrev_b32_e32 v31, 20, v31
	v_and_b32_e32 v3, 0x80000000, v3
	v_lshl_add_u32 v11, v11, 23, v29
	v_or3_b32 v31, v3, v11, v31
.LBB286_170:                            ;   in Loop: Header=BB286_103 Depth=1
	s_or_b64 exec, exec, s[26:27]
.LBB286_171:                            ;   in Loop: Header=BB286_103 Depth=1
	s_or_b64 exec, exec, s[18:19]
.LBB286_172:                            ;   in Loop: Header=BB286_103 Depth=1
	s_or_b64 exec, exec, s[16:17]
	v_cmp_lt_u32_e64 s[4:5], s11, v1
	s_and_saveexec_b64 s[16:17], s[4:5]
	s_cbranch_execz .LBB286_178
; %bb.173:                              ;   in Loop: Header=BB286_103 Depth=1
	v_lshrrev_b32_e32 v3, 24, v1
	v_cmp_ne_u32_e64 s[4:5], s28, v3
	v_bfrev_b32_e32 v32, 1
	s_and_saveexec_b64 s[18:19], s[4:5]
	s_cbranch_execz .LBB286_177
; %bb.174:                              ;   in Loop: Header=BB286_103 Depth=1
	v_bfe_u32 v11, v1, 24, 7
	v_cmp_ne_u32_e64 s[4:5], s29, v11
	v_mov_b32_e32 v32, 0x7f800001
	s_and_saveexec_b64 s[26:27], s[4:5]
	s_cbranch_execz .LBB286_176
; %bb.175:                              ;   in Loop: Header=BB286_103 Depth=1
	v_and_b32_e32 v34, 7, v3
	v_ffbh_u32_e32 v32, v34
	v_min_u32_e32 v36, 32, v32
	v_subrev_u32_e32 v32, 28, v36
	v_lshlrev_b64 v[32:33], v32, v[3:4]
	v_lshrrev_b32_e32 v35, 3, v11
	v_sub_u32_e32 v33, 29, v36
	v_and_b32_e32 v32, 7, v32
	v_cmp_gt_u32_e64 s[4:5], 8, v11
	v_cndmask_b32_e64 v11, v35, v33, s[4:5]
	v_cndmask_b32_e64 v32, v34, v32, s[4:5]
	v_lshlrev_b32_e32 v3, 24, v3
	v_lshlrev_b32_e32 v32, 20, v32
	v_and_b32_e32 v3, 0x80000000, v3
	v_lshl_add_u32 v11, v11, 23, v29
	v_or3_b32 v32, v3, v11, v32
.LBB286_176:                            ;   in Loop: Header=BB286_103 Depth=1
	s_or_b64 exec, exec, s[26:27]
.LBB286_177:                            ;   in Loop: Header=BB286_103 Depth=1
	s_or_b64 exec, exec, s[18:19]
.LBB286_178:                            ;   in Loop: Header=BB286_103 Depth=1
	s_or_b64 exec, exec, s[16:17]
	v_mov_b32_e32 v11, v2
	v_cmp_ne_u16_sdwa s[4:5], v2, v12 src0_sel:BYTE_0 src1_sel:DWORD
	v_mov_b32_e32 v34, 0
	v_mov_b32_e32 v33, 0
	s_and_saveexec_b64 s[16:17], s[4:5]
	s_cbranch_execz .LBB286_184
; %bb.179:                              ;   in Loop: Header=BB286_103 Depth=1
	v_cmp_ne_u16_sdwa s[4:5], v2, s28 src0_sel:BYTE_0 src1_sel:DWORD
	v_bfrev_b32_e32 v33, 1
	s_and_saveexec_b64 s[18:19], s[4:5]
	s_cbranch_execz .LBB286_183
; %bb.180:                              ;   in Loop: Header=BB286_103 Depth=1
	v_and_b32_e32 v3, 0x7f, v2
	v_cmp_ne_u32_e64 s[4:5], s29, v3
	v_mov_b32_e32 v33, 0x7f800001
	s_and_saveexec_b64 s[26:27], s[4:5]
	s_cbranch_execz .LBB286_182
; %bb.181:                              ;   in Loop: Header=BB286_103 Depth=1
	v_and_b32_e32 v33, 7, v2
	v_ffbh_u32_e32 v33, v33
	v_min_u32_e32 v33, 32, v33
	v_lshrrev_b32_e32 v35, 3, v3
	v_subrev_u32_e32 v36, 28, v33
	v_sub_u32_e32 v33, 29, v33
	v_cmp_gt_u32_e64 s[4:5], 8, v3
	v_cndmask_b32_e64 v3, v35, v33, s[4:5]
	v_cndmask_b32_e64 v33, 0, v36, s[4:5]
	v_lshlrev_b64 v[35:36], v33, v[11:12]
	v_lshl_add_u32 v3, v3, 23, v29
	v_lshlrev_b32_e32 v33, 20, v35
	v_lshlrev_b32_e32 v35, 24, v11
	v_and_b32_e32 v33, 0x700000, v33
	v_and_b32_e32 v35, 0x80000000, v35
	v_or3_b32 v33, v35, v3, v33
.LBB286_182:                            ;   in Loop: Header=BB286_103 Depth=1
	s_or_b64 exec, exec, s[26:27]
.LBB286_183:                            ;   in Loop: Header=BB286_103 Depth=1
	s_or_b64 exec, exec, s[18:19]
.LBB286_184:                            ;   in Loop: Header=BB286_103 Depth=1
	s_or_b64 exec, exec, s[16:17]
	v_lshrrev_b16_e32 v3, 8, v11
	v_cmp_ne_u16_e64 s[4:5], 0, v3
	s_and_saveexec_b64 s[16:17], s[4:5]
	s_cbranch_execz .LBB286_190
; %bb.185:                              ;   in Loop: Header=BB286_103 Depth=1
	v_cmp_ne_u16_e64 s[4:5], s28, v3
	v_bfrev_b32_e32 v34, 1
	s_and_saveexec_b64 s[18:19], s[4:5]
	s_cbranch_execz .LBB286_189
; %bb.186:                              ;   in Loop: Header=BB286_103 Depth=1
	v_and_b32_e32 v35, 0x7f, v3
	v_cmp_ne_u32_e64 s[4:5], s29, v35
	v_mov_b32_e32 v34, 0x7f800001
	s_and_saveexec_b64 s[26:27], s[4:5]
	s_cbranch_execz .LBB286_188
; %bb.187:                              ;   in Loop: Header=BB286_103 Depth=1
	v_and_b32_e32 v34, 7, v3
	v_ffbh_u32_e32 v36, v34
	v_min_u32_e32 v39, 32, v36
	v_subrev_u32_e32 v36, 28, v39
	v_lshlrev_b64 v[36:37], v36, v[3:4]
	v_lshrrev_b32_e32 v38, 3, v35
	v_sub_u32_e32 v3, 29, v39
	v_and_b32_e32 v36, 7, v36
	v_cmp_gt_u32_e64 s[4:5], 8, v35
	v_cndmask_b32_e64 v3, v38, v3, s[4:5]
	v_cndmask_b32_e64 v34, v34, v36, s[4:5]
	v_lshlrev_b32_e32 v11, 16, v11
	v_lshlrev_b32_e32 v34, 20, v34
	v_and_b32_e32 v11, 0x80000000, v11
	v_lshl_add_u32 v3, v3, 23, v29
	v_or3_b32 v34, v11, v3, v34
.LBB286_188:                            ;   in Loop: Header=BB286_103 Depth=1
	s_or_b64 exec, exec, s[26:27]
.LBB286_189:                            ;   in Loop: Header=BB286_103 Depth=1
	s_or_b64 exec, exec, s[18:19]
.LBB286_190:                            ;   in Loop: Header=BB286_103 Depth=1
	s_or_b64 exec, exec, s[16:17]
	v_lshrrev_b32_e32 v3, 16, v2
	v_cmp_ne_u16_sdwa s[4:5], v3, v12 src0_sel:BYTE_0 src1_sel:DWORD
	v_mov_b32_e32 v11, 0
	v_mov_b32_e32 v35, 0
	s_and_saveexec_b64 s[16:17], s[4:5]
	s_cbranch_execz .LBB286_196
; %bb.191:                              ;   in Loop: Header=BB286_103 Depth=1
	v_cmp_ne_u16_sdwa s[4:5], v3, s28 src0_sel:BYTE_0 src1_sel:DWORD
	v_bfrev_b32_e32 v35, 1
	s_and_saveexec_b64 s[18:19], s[4:5]
	s_cbranch_execz .LBB286_195
; %bb.192:                              ;   in Loop: Header=BB286_103 Depth=1
	v_bfe_u32 v36, v2, 16, 7
	v_cmp_ne_u32_e64 s[4:5], s29, v36
	v_mov_b32_e32 v35, 0x7f800001
	s_and_saveexec_b64 s[26:27], s[4:5]
	s_cbranch_execz .LBB286_194
; %bb.193:                              ;   in Loop: Header=BB286_103 Depth=1
	v_and_b32_e32 v35, 7, v3
	v_ffbh_u32_e32 v37, v35
	v_min_u32_e32 v40, 32, v37
	v_subrev_u32_e32 v37, 28, v40
	v_lshlrev_b64 v[37:38], v37, v[3:4]
	v_lshrrev_b32_e32 v39, 3, v36
	v_sub_u32_e32 v38, 29, v40
	v_and_b32_e32 v37, 7, v37
	v_cmp_gt_u32_e64 s[4:5], 8, v36
	v_cndmask_b32_e64 v36, v39, v38, s[4:5]
	v_cndmask_b32_e64 v35, v35, v37, s[4:5]
	v_lshlrev_b32_e32 v3, 24, v3
	v_lshlrev_b32_e32 v35, 20, v35
	v_and_b32_e32 v3, 0x80000000, v3
	v_lshl_add_u32 v36, v36, 23, v29
	v_or3_b32 v35, v3, v36, v35
.LBB286_194:                            ;   in Loop: Header=BB286_103 Depth=1
	s_or_b64 exec, exec, s[26:27]
.LBB286_195:                            ;   in Loop: Header=BB286_103 Depth=1
	s_or_b64 exec, exec, s[18:19]
.LBB286_196:                            ;   in Loop: Header=BB286_103 Depth=1
	s_or_b64 exec, exec, s[16:17]
	v_cmp_lt_u64_e64 s[4:5], s[10:11], v[1:2]
	s_and_saveexec_b64 s[16:17], s[4:5]
	s_cbranch_execz .LBB286_202
; %bb.197:                              ;   in Loop: Header=BB286_103 Depth=1
	v_lshrrev_b32_e32 v1, 24, v2
	v_cmp_ne_u32_e64 s[4:5], s28, v1
	v_bfrev_b32_e32 v11, 1
	s_and_saveexec_b64 s[18:19], s[4:5]
	s_cbranch_execz .LBB286_201
; %bb.198:                              ;   in Loop: Header=BB286_103 Depth=1
	v_bfe_u32 v2, v2, 24, 7
	v_cmp_ne_u32_e64 s[4:5], s29, v2
	v_mov_b32_e32 v11, 0x7f800001
	s_and_saveexec_b64 s[26:27], s[4:5]
	s_cbranch_execz .LBB286_200
; %bb.199:                              ;   in Loop: Header=BB286_103 Depth=1
	v_and_b32_e32 v3, 7, v1
	v_ffbh_u32_e32 v36, v3
	v_min_u32_e32 v38, 32, v36
	v_subrev_u32_e32 v36, 28, v38
	v_lshlrev_b64 v[36:37], v36, v[1:2]
	v_lshrrev_b32_e32 v11, 3, v2
	v_sub_u32_e32 v37, 29, v38
	v_and_b32_e32 v36, 7, v36
	v_cmp_gt_u32_e64 s[4:5], 8, v2
	v_cndmask_b32_e64 v2, v11, v37, s[4:5]
	v_cndmask_b32_e64 v3, v3, v36, s[4:5]
	v_lshlrev_b32_e32 v1, 24, v1
	v_lshlrev_b32_e32 v3, 20, v3
	v_and_b32_e32 v1, 0x80000000, v1
	v_lshl_add_u32 v2, v2, 23, v29
	v_or3_b32 v11, v1, v2, v3
.LBB286_200:                            ;   in Loop: Header=BB286_103 Depth=1
	s_or_b64 exec, exec, s[26:27]
.LBB286_201:                            ;   in Loop: Header=BB286_103 Depth=1
	s_or_b64 exec, exec, s[18:19]
.LBB286_202:                            ;   in Loop: Header=BB286_103 Depth=1
	s_or_b64 exec, exec, s[16:17]
	v_mul_f32_e32 v1, s31, v34
	v_bfe_u32 v2, v1, 16, 1
	v_add3_u32 v2, v2, v1, s35
	v_or_b32_e32 v3, 0x400000, v1
	v_cmp_u_f32_e64 s[4:5], v1, v1
	v_cndmask_b32_e64 v1, v2, v3, s[4:5]
	v_mul_f32_e32 v2, s31, v33
	v_bfe_u32 v3, v2, 16, 1
	v_add3_u32 v3, v3, v2, s35
	v_or_b32_e32 v33, 0x400000, v2
	v_cmp_u_f32_e64 s[4:5], v2, v2
	v_cndmask_b32_e64 v2, v3, v33, s[4:5]
	v_mul_f32_e32 v3, s31, v32
	v_bfe_u32 v32, v3, 16, 1
	v_add3_u32 v32, v32, v3, s35
	v_or_b32_e32 v33, 0x400000, v3
	v_cmp_u_f32_e64 s[4:5], v3, v3
	v_mul_f32_e32 v31, s31, v31
	v_cndmask_b32_e64 v3, v32, v33, s[4:5]
	v_bfe_u32 v32, v31, 16, 1
	v_add3_u32 v32, v32, v31, s35
	v_or_b32_e32 v33, 0x400000, v31
	v_cmp_u_f32_e64 s[4:5], v31, v31
	v_mul_f32_e32 v18, s31, v18
	v_cndmask_b32_e64 v31, v32, v33, s[4:5]
	;; [unrolled: 6-line block ×3, first 2 shown]
	v_bfe_u32 v32, v17, 16, 1
	v_add3_u32 v32, v32, v17, s35
	v_or_b32_e32 v33, 0x400000, v17
	v_cmp_u_f32_e64 s[4:5], v17, v17
	v_cndmask_b32_e64 v17, v32, v33, s[4:5]
	v_lshrrev_b32_e32 v32, 16, v17
	v_mul_f32_e32 v17, s31, v35
	v_bfe_u32 v33, v17, 16, 1
	v_add3_u32 v33, v33, v17, s35
	v_or_b32_e32 v34, 0x400000, v17
	v_cmp_u_f32_e64 s[4:5], v17, v17
	v_mul_f32_e32 v11, s31, v11
	v_cndmask_b32_e64 v17, v33, v34, s[4:5]
	v_bfe_u32 v33, v11, 16, 1
	v_add3_u32 v33, v33, v11, s35
	v_or_b32_e32 v34, 0x400000, v11
	v_cmp_u_f32_e64 s[4:5], v11, v11
	v_cndmask_b32_e64 v11, v33, v34, s[4:5]
	v_lshrrev_b32_e32 v1, 16, v1
	v_lshrrev_b32_e32 v2, 16, v2
	;; [unrolled: 1-line block ×7, first 2 shown]
	s_and_saveexec_b64 s[4:5], s[2:3]
	s_cbranch_execz .LBB286_101
; %bb.203:                              ;   in Loop: Header=BB286_103 Depth=1
	v_cmp_gt_i32_e64 s[2:3], s21, v19
	v_add_u32_e32 v19, -6, v27
	v_cndmask_b32_e64 v32, 0, v32, s[2:3]
	v_cmp_gt_i32_e64 s[2:3], s21, v19
	v_add_u32_e32 v19, -5, v27
	v_cndmask_b32_e64 v18, 0, v18, s[2:3]
	;; [unrolled: 3-line block ×6, first 2 shown]
	v_cmp_gt_i32_e64 s[2:3], s21, v19
	v_cndmask_b32_e64 v17, 0, v17, s[2:3]
	v_cmp_gt_i32_e64 s[2:3], s21, v27
	v_cndmask_b32_e64 v11, 0, v11, s[2:3]
	s_branch .LBB286_101
.LBB286_204:
	s_or_b64 exec, exec, s[12:13]
.LBB286_205:
	s_or_b64 exec, exec, s[6:7]
	v_and_b32_e32 v1, 0x3c0, v0
	v_cmp_eq_u32_e32 vcc, 64, v1
	s_barrier
	s_and_saveexec_b64 s[2:3], vcc
	s_cbranch_execz .LBB286_208
; %bb.206:
	v_mov_b32_e32 v1, 0xd0
	v_lshl_add_u32 v2, v24, 2, v1
	ds_write_b32 v2, v9
	s_and_b64 exec, exec, s[0:1]
; %bb.207:
	v_lshl_add_u32 v1, v0, 2, v1
	ds_write_b32 v1, v10
.LBB286_208:
	s_or_b64 exec, exec, s[2:3]
	v_cmp_gt_u32_e32 vcc, 64, v0
	v_or_b32_e32 v1, 64, v0
	s_waitcnt lgkmcnt(0)
	s_barrier
	s_and_saveexec_b64 s[2:3], vcc
	s_cbranch_execz .LBB286_212
; %bb.209:
	v_mov_b32_e32 v2, 0xd0
	v_lshl_add_u32 v0, v0, 2, v2
	ds_read_b32 v2, v0
	s_movk_i32 s0, 0x60
	v_cmp_gt_u32_e64 s[0:1], s0, v1
	s_waitcnt lgkmcnt(0)
	v_add_f32_e32 v9, v9, v2
	s_and_saveexec_b64 s[4:5], s[0:1]
	s_cbranch_execz .LBB286_211
; %bb.210:
	ds_read_b32 v0, v0 offset:256
	s_waitcnt lgkmcnt(0)
	v_add_f32_e32 v10, v10, v0
.LBB286_211:
	s_or_b64 exec, exec, s[4:5]
.LBB286_212:
	s_or_b64 exec, exec, s[2:3]
	s_barrier
	s_and_saveexec_b64 s[0:1], vcc
	s_cbranch_execz .LBB286_215
; %bb.213:
	s_mul_i32 s0, s20, s23
	s_mul_i32 s0, s0, s9
	s_mulk_i32 s0, 0x60
	s_ashr_i32 s1, s0, 31
	s_lshl_b64 s[0:1], s[0:1], 1
	s_add_u32 s2, s24, s0
	s_mul_i32 s0, s23, s22
	s_addc_u32 s4, s25, s1
	s_ashr_i32 s1, s0, 31
	s_lshl_b64 s[0:1], s[0:1], 1
	s_add_u32 s2, s2, s0
	s_mul_i32 s0, s8, 0x60
	s_addc_u32 s4, s4, s1
	s_ashr_i32 s1, s0, 31
	s_lshl_b64 s[0:1], s[0:1], 1
	s_add_u32 s0, s2, s0
	v_bfe_u32 v0, v9, 16, 1
	s_movk_i32 s2, 0x7fff
	s_movk_i32 s3, 0x60
	v_add3_u32 v0, v0, v9, s2
	v_or_b32_e32 v2, 0x400000, v9
	v_cmp_u_f32_e32 vcc, v9, v9
	s_addc_u32 s1, s4, s1
	v_cndmask_b32_e32 v0, v0, v2, vcc
	v_cmp_gt_u32_e32 vcc, s3, v1
	global_store_short_d16_hi v22, v0, s[0:1]
	s_and_b64 exec, exec, vcc
	s_cbranch_execz .LBB286_215
; %bb.214:
	v_mov_b32_e32 v1, s1
	v_add_co_u32_e32 v0, vcc, s0, v22
	v_addc_co_u32_e32 v1, vcc, 0, v1, vcc
	v_bfe_u32 v2, v10, 16, 1
	v_add3_u32 v2, v2, v10, s2
	v_or_b32_e32 v3, 0x400000, v10
	v_cmp_u_f32_e32 vcc, v10, v10
	v_cndmask_b32_e32 v2, v2, v3, vcc
	global_store_short_d16_hi v[0:1], v2, off offset:128
.LBB286_215:
	s_endpgm
	.section	.rodata,"a",@progbits
	.p2align	6, 0x0
	.amdhsa_kernel _ZN4vllm25paged_attention_v1_kernelI14__hip_bfloat16hLi96ELi8ELi128ELNS_18Fp8KVCacheDataTypeE1ELb0EEEvPT_PKS3_PKT0_S9_ifPKiSB_iPKfiiiSD_SD_iiiii
		.amdhsa_group_segment_fixed_size 208
		.amdhsa_private_segment_fixed_size 0
		.amdhsa_kernarg_size 384
		.amdhsa_user_sgpr_count 6
		.amdhsa_user_sgpr_private_segment_buffer 1
		.amdhsa_user_sgpr_dispatch_ptr 0
		.amdhsa_user_sgpr_queue_ptr 0
		.amdhsa_user_sgpr_kernarg_segment_ptr 1
		.amdhsa_user_sgpr_dispatch_id 0
		.amdhsa_user_sgpr_flat_scratch_init 0
		.amdhsa_user_sgpr_private_segment_size 0
		.amdhsa_uses_dynamic_stack 0
		.amdhsa_system_sgpr_private_segment_wavefront_offset 0
		.amdhsa_system_sgpr_workgroup_id_x 1
		.amdhsa_system_sgpr_workgroup_id_y 1
		.amdhsa_system_sgpr_workgroup_id_z 1
		.amdhsa_system_sgpr_workgroup_info 0
		.amdhsa_system_vgpr_workitem_id 0
		.amdhsa_next_free_vgpr 51
		.amdhsa_next_free_sgpr 46
		.amdhsa_reserve_vcc 1
		.amdhsa_reserve_flat_scratch 0
		.amdhsa_float_round_mode_32 0
		.amdhsa_float_round_mode_16_64 0
		.amdhsa_float_denorm_mode_32 3
		.amdhsa_float_denorm_mode_16_64 3
		.amdhsa_dx10_clamp 1
		.amdhsa_ieee_mode 1
		.amdhsa_fp16_overflow 0
		.amdhsa_exception_fp_ieee_invalid_op 0
		.amdhsa_exception_fp_denorm_src 0
		.amdhsa_exception_fp_ieee_div_zero 0
		.amdhsa_exception_fp_ieee_overflow 0
		.amdhsa_exception_fp_ieee_underflow 0
		.amdhsa_exception_fp_ieee_inexact 0
		.amdhsa_exception_int_div_zero 0
	.end_amdhsa_kernel
	.section	.text._ZN4vllm25paged_attention_v1_kernelI14__hip_bfloat16hLi96ELi8ELi128ELNS_18Fp8KVCacheDataTypeE1ELb0EEEvPT_PKS3_PKT0_S9_ifPKiSB_iPKfiiiSD_SD_iiiii,"axG",@progbits,_ZN4vllm25paged_attention_v1_kernelI14__hip_bfloat16hLi96ELi8ELi128ELNS_18Fp8KVCacheDataTypeE1ELb0EEEvPT_PKS3_PKT0_S9_ifPKiSB_iPKfiiiSD_SD_iiiii,comdat
.Lfunc_end286:
	.size	_ZN4vllm25paged_attention_v1_kernelI14__hip_bfloat16hLi96ELi8ELi128ELNS_18Fp8KVCacheDataTypeE1ELb0EEEvPT_PKS3_PKT0_S9_ifPKiSB_iPKfiiiSD_SD_iiiii, .Lfunc_end286-_ZN4vllm25paged_attention_v1_kernelI14__hip_bfloat16hLi96ELi8ELi128ELNS_18Fp8KVCacheDataTypeE1ELb0EEEvPT_PKS3_PKT0_S9_ifPKiSB_iPKfiiiSD_SD_iiiii
                                        ; -- End function
	.set _ZN4vllm25paged_attention_v1_kernelI14__hip_bfloat16hLi96ELi8ELi128ELNS_18Fp8KVCacheDataTypeE1ELb0EEEvPT_PKS3_PKT0_S9_ifPKiSB_iPKfiiiSD_SD_iiiii.num_vgpr, 51
	.set _ZN4vllm25paged_attention_v1_kernelI14__hip_bfloat16hLi96ELi8ELi128ELNS_18Fp8KVCacheDataTypeE1ELb0EEEvPT_PKS3_PKT0_S9_ifPKiSB_iPKfiiiSD_SD_iiiii.num_agpr, 0
	.set _ZN4vllm25paged_attention_v1_kernelI14__hip_bfloat16hLi96ELi8ELi128ELNS_18Fp8KVCacheDataTypeE1ELb0EEEvPT_PKS3_PKT0_S9_ifPKiSB_iPKfiiiSD_SD_iiiii.numbered_sgpr, 46
	.set _ZN4vllm25paged_attention_v1_kernelI14__hip_bfloat16hLi96ELi8ELi128ELNS_18Fp8KVCacheDataTypeE1ELb0EEEvPT_PKS3_PKT0_S9_ifPKiSB_iPKfiiiSD_SD_iiiii.num_named_barrier, 0
	.set _ZN4vllm25paged_attention_v1_kernelI14__hip_bfloat16hLi96ELi8ELi128ELNS_18Fp8KVCacheDataTypeE1ELb0EEEvPT_PKS3_PKT0_S9_ifPKiSB_iPKfiiiSD_SD_iiiii.private_seg_size, 0
	.set _ZN4vllm25paged_attention_v1_kernelI14__hip_bfloat16hLi96ELi8ELi128ELNS_18Fp8KVCacheDataTypeE1ELb0EEEvPT_PKS3_PKT0_S9_ifPKiSB_iPKfiiiSD_SD_iiiii.uses_vcc, 1
	.set _ZN4vllm25paged_attention_v1_kernelI14__hip_bfloat16hLi96ELi8ELi128ELNS_18Fp8KVCacheDataTypeE1ELb0EEEvPT_PKS3_PKT0_S9_ifPKiSB_iPKfiiiSD_SD_iiiii.uses_flat_scratch, 0
	.set _ZN4vllm25paged_attention_v1_kernelI14__hip_bfloat16hLi96ELi8ELi128ELNS_18Fp8KVCacheDataTypeE1ELb0EEEvPT_PKS3_PKT0_S9_ifPKiSB_iPKfiiiSD_SD_iiiii.has_dyn_sized_stack, 0
	.set _ZN4vllm25paged_attention_v1_kernelI14__hip_bfloat16hLi96ELi8ELi128ELNS_18Fp8KVCacheDataTypeE1ELb0EEEvPT_PKS3_PKT0_S9_ifPKiSB_iPKfiiiSD_SD_iiiii.has_recursion, 0
	.set _ZN4vllm25paged_attention_v1_kernelI14__hip_bfloat16hLi96ELi8ELi128ELNS_18Fp8KVCacheDataTypeE1ELb0EEEvPT_PKS3_PKT0_S9_ifPKiSB_iPKfiiiSD_SD_iiiii.has_indirect_call, 0
	.section	.AMDGPU.csdata,"",@progbits
; Kernel info:
; codeLenInByte = 11188
; TotalNumSgprs: 50
; NumVgprs: 51
; ScratchSize: 0
; MemoryBound: 0
; FloatMode: 240
; IeeeMode: 1
; LDSByteSize: 208 bytes/workgroup (compile time only)
; SGPRBlocks: 6
; VGPRBlocks: 12
; NumSGPRsForWavesPerEU: 50
; NumVGPRsForWavesPerEU: 51
; Occupancy: 4
; WaveLimiterHint : 1
; COMPUTE_PGM_RSRC2:SCRATCH_EN: 0
; COMPUTE_PGM_RSRC2:USER_SGPR: 6
; COMPUTE_PGM_RSRC2:TRAP_HANDLER: 0
; COMPUTE_PGM_RSRC2:TGID_X_EN: 1
; COMPUTE_PGM_RSRC2:TGID_Y_EN: 1
; COMPUTE_PGM_RSRC2:TGID_Z_EN: 1
; COMPUTE_PGM_RSRC2:TIDIG_COMP_CNT: 0
	.section	.text._ZN4vllm25paged_attention_v1_kernelI14__hip_bfloat16hLi112ELi8ELi128ELNS_18Fp8KVCacheDataTypeE1ELb0EEEvPT_PKS3_PKT0_S9_ifPKiSB_iPKfiiiSD_SD_iiiii,"axG",@progbits,_ZN4vllm25paged_attention_v1_kernelI14__hip_bfloat16hLi112ELi8ELi128ELNS_18Fp8KVCacheDataTypeE1ELb0EEEvPT_PKS3_PKT0_S9_ifPKiSB_iPKfiiiSD_SD_iiiii,comdat
	.protected	_ZN4vllm25paged_attention_v1_kernelI14__hip_bfloat16hLi112ELi8ELi128ELNS_18Fp8KVCacheDataTypeE1ELb0EEEvPT_PKS3_PKT0_S9_ifPKiSB_iPKfiiiSD_SD_iiiii ; -- Begin function _ZN4vllm25paged_attention_v1_kernelI14__hip_bfloat16hLi112ELi8ELi128ELNS_18Fp8KVCacheDataTypeE1ELb0EEEvPT_PKS3_PKT0_S9_ifPKiSB_iPKfiiiSD_SD_iiiii
	.globl	_ZN4vllm25paged_attention_v1_kernelI14__hip_bfloat16hLi112ELi8ELi128ELNS_18Fp8KVCacheDataTypeE1ELb0EEEvPT_PKS3_PKT0_S9_ifPKiSB_iPKfiiiSD_SD_iiiii
	.p2align	8
	.type	_ZN4vllm25paged_attention_v1_kernelI14__hip_bfloat16hLi112ELi8ELi128ELNS_18Fp8KVCacheDataTypeE1ELb0EEEvPT_PKS3_PKT0_S9_ifPKiSB_iPKfiiiSD_SD_iiiii,@function
_ZN4vllm25paged_attention_v1_kernelI14__hip_bfloat16hLi112ELi8ELi128ELNS_18Fp8KVCacheDataTypeE1ELb0EEEvPT_PKS3_PKT0_S9_ifPKiSB_iPKfiiiSD_SD_iiiii: ; @_ZN4vllm25paged_attention_v1_kernelI14__hip_bfloat16hLi112ELi8ELi128ELNS_18Fp8KVCacheDataTypeE1ELb0EEEvPT_PKS3_PKT0_S9_ifPKiSB_iPKfiiiSD_SD_iiiii
; %bb.0:
	s_load_dword s9, s[4:5], 0x80
	s_load_dwordx2 s[0:1], s[4:5], 0x30
	s_load_dwordx2 s[10:11], s[4:5], 0x20
	s_mov_b32 s20, s7
	s_ashr_i32 s21, s7, 31
	s_lshl_b64 s[2:3], s[20:21], 2
	s_waitcnt lgkmcnt(0)
	s_add_u32 s0, s0, s2
	s_addc_u32 s1, s1, s3
	s_abs_i32 s2, s10
	v_cvt_f32_u32_e32 v1, s2
	s_xor_b32 s3, s9, s10
	s_sub_i32 s10, 0, s2
	s_abs_i32 s7, s9
	v_rcp_iflag_f32_e32 v1, v1
	s_ashr_i32 s3, s3, 31
	v_mul_f32_e32 v1, 0x4f7ffffe, v1
	v_cvt_u32_f32_e32 v1, v1
	v_readfirstlane_b32 s12, v1
	s_mul_i32 s10, s10, s12
	s_mul_hi_u32 s10, s12, s10
	s_add_i32 s12, s12, s10
	s_mul_hi_u32 s10, s7, s12
	s_mul_i32 s12, s10, s2
	s_sub_i32 s7, s7, s12
	s_add_i32 s12, s10, 1
	s_sub_i32 s13, s7, s2
	s_cmp_ge_u32 s7, s2
	s_cselect_b32 s10, s12, s10
	s_cselect_b32 s7, s13, s7
	s_add_i32 s12, s10, 1
	s_cmp_ge_u32 s7, s2
	s_cselect_b32 s2, s12, s10
	s_xor_b32 s2, s2, s3
	s_sub_i32 s12, s2, s3
	s_abs_i32 s16, s12
	v_cvt_f32_u32_e32 v1, s16
	s_load_dwordx2 s[2:3], s[4:5], 0x40
	s_sub_i32 s7, 0, s16
	s_abs_i32 s17, s6
	v_rcp_iflag_f32_e32 v1, v1
	s_mov_b32 s10, 0
	v_mul_f32_e32 v1, 0x4f7ffffe, v1
	v_cvt_u32_f32_e32 v1, v1
	v_readfirstlane_b32 s13, v1
	s_mul_i32 s7, s7, s13
	s_mul_hi_u32 s7, s13, s7
	s_add_i32 s13, s13, s7
	s_waitcnt lgkmcnt(0)
	s_cmp_eq_u64 s[2:3], 0
	s_mul_hi_u32 s18, s17, s13
	s_cbranch_scc1 .LBB287_2
; %bb.1:
	s_ashr_i32 s7, s6, 31
	s_lshl_b64 s[14:15], s[6:7], 2
	s_add_u32 s2, s2, s14
	s_addc_u32 s3, s3, s15
	s_load_dword s10, s[2:3], 0x0
.LBB287_2:
	s_load_dword s21, s[0:1], 0x0
	s_ashr_i32 s19, s12, 31
	s_load_dwordx4 s[12:15], s[4:5], 0x48
	s_movk_i32 s0, 0x70
	s_ashr_i32 s7, s6, 31
	v_and_b32_e32 v1, 7, v0
	s_mul_i32 s22, s6, 0x70
	v_cmp_gt_u32_e64 s[0:1], s0, v0
	v_lshlrev_b32_e32 v22, 1, v0
	s_and_saveexec_b64 s[2:3], s[0:1]
	s_cbranch_execz .LBB287_4
; %bb.3:
	s_load_dwordx2 s[24:25], s[4:5], 0x8
	s_waitcnt lgkmcnt(0)
	s_mul_i32 s26, s12, s20
	s_ashr_i32 s27, s26, 31
	s_lshl_b64 s[26:27], s[26:27], 1
	v_lshrrev_b32_e32 v3, 2, v0
	s_add_u32 s6, s24, s26
	s_addc_u32 s12, s25, s27
	s_ashr_i32 s23, s22, 31
	s_lshl_b64 s[24:25], s[22:23], 1
	s_add_u32 s24, s6, s24
	s_addc_u32 s25, s12, s25
	global_load_ushort v2, v22, s[24:25]
	v_and_b32_e32 v3, 0xfe, v3
	v_mad_u32_u24 v3, v1, 28, v3
	s_waitcnt vmcnt(0)
	ds_write_b16 v3, v2
.LBB287_4:
	s_or_b64 exec, exec, s[2:3]
	s_waitcnt lgkmcnt(0)
	s_add_i32 s3, s21, 7
	s_ashr_i32 s6, s3, 31
	s_lshr_b32 s6, s6, 29
	s_add_i32 s3, s3, s6
	s_mul_i32 s6, s18, s16
	s_sub_i32 s6, s17, s6
	s_ashr_i32 s33, s3, 3
	s_xor_b32 s3, s7, s19
	s_add_i32 s7, s18, 1
	s_sub_i32 s12, s6, s16
	s_load_dwordx2 s[26:27], s[4:5], 0x28
	s_load_dword s2, s[4:5], 0x38
	s_cmp_ge_u32 s6, s16
	s_cselect_b32 s7, s7, s18
	s_cselect_b32 s6, s12, s6
	s_add_i32 s12, s7, 1
	s_cmp_ge_u32 s6, s16
	s_cselect_b32 s6, s12, s7
	v_lshrrev_b32_e32 v23, 6, v0
	s_xor_b32 s6, s6, s3
	s_waitcnt lgkmcnt(0)
	s_mul_i32 s28, s2, s20
	s_sub_i32 s12, s6, s3
	s_ashr_i32 s29, s28, 31
	v_cmp_gt_i32_e64 s[2:3], s33, v23
	v_cmp_le_i32_e32 vcc, s33, v23
	v_mbcnt_lo_u32_b32 v5, -1, 0
	s_barrier
                                        ; implicit-def: $vgpr9
                                        ; implicit-def: $vgpr11
                                        ; implicit-def: $vgpr10
	s_and_saveexec_b64 s[6:7], vcc
	s_xor_b64 s[6:7], exec, s[6:7]
; %bb.5:
	v_mbcnt_hi_u32_b32 v9, -1, v5
	v_and_b32_e32 v11, 64, v9
	v_add_u32_e32 v10, 64, v11
                                        ; implicit-def: $vgpr1
                                        ; implicit-def: $vgpr5
; %bb.6:
	s_or_saveexec_b64 s[34:35], s[6:7]
	s_load_dwordx2 s[24:25], s[4:5], 0x0
	s_load_dwordx2 s[30:31], s[4:5], 0x18
	s_load_dword s23, s[4:5], 0x88
	s_load_dwordx4 s[16:19], s[4:5], 0x58
	v_mov_b32_e32 v26, 0xff7fffff
	s_mul_i32 s12, s12, s14
	v_lshrrev_b32_e32 v8, 4, v0
	s_xor_b64 exec, exec, s[34:35]
	s_cbranch_execz .LBB287_96
; %bb.7:
	s_load_dwordx2 s[4:5], s[4:5], 0x10
	v_mul_u32_u24_e32 v4, 28, v1
	ds_read2_b32 v[2:3], v4 offset1:1
	s_ashr_i32 s6, s12, 31
	v_bfe_u32 v26, v0, 3, 3
	s_waitcnt lgkmcnt(0)
	s_add_u32 s4, s4, s12
	s_addc_u32 s5, s5, s6
	v_lshlrev_b32_e32 v12, 16, v2
	v_and_b32_e32 v13, 0xffff0000, v2
	v_lshlrev_b32_e32 v2, 4, v26
	v_lshlrev_b32_e32 v14, 16, v3
	v_and_b32_e32 v15, 0xffff0000, v3
	v_mov_b32_e32 v3, s5
	v_add_co_u32_e32 v2, vcc, s4, v2
	v_addc_co_u32_e32 v3, vcc, 0, v3, vcc
	ds_read2_b32 v[6:7], v4 offset0:2 offset1:3
	ds_read2_b32 v[9:10], v4 offset0:4 offset1:5
	ds_read_b32 v11, v4 offset:24
	v_cmp_eq_u32_e32 vcc, 0, v1
	v_add_co_u32_e64 v1, s[4:5], v2, v1
	v_addc_co_u32_e64 v2, s[4:5], 0, v3, s[4:5]
	s_sub_i32 s40, 1, s21
	s_lshl_b64 s[4:5], s[28:29], 2
	s_add_u32 s4, s26, s4
	s_waitcnt lgkmcnt(1)
	v_lshlrev_b32_e32 v20, 16, v9
	v_and_b32_e32 v21, 0xffff0000, v9
	s_addc_u32 s5, s27, s5
	v_and_b32_e32 v3, 60, v8
	v_mbcnt_hi_u32_b32 v9, -1, v5
	v_mov_b32_e32 v4, s5
	v_add_co_u32_e64 v3, s[4:5], s4, v3
	s_waitcnt lgkmcnt(0)
	v_lshlrev_b32_e32 v27, 16, v11
	v_and_b32_e32 v28, 0xffff0000, v11
	v_and_b32_e32 v11, 64, v9
	v_lshlrev_b32_e32 v24, 16, v10
	v_and_b32_e32 v25, 0xffff0000, v10
	v_addc_co_u32_e64 v4, s[4:5], 0, v4, s[4:5]
	v_add_u32_e32 v10, 64, v11
	v_xor_b32_e32 v5, 4, v9
	v_cmp_lt_i32_e64 s[4:5], v5, v10
	v_cndmask_b32_e64 v5, v9, v5, s[4:5]
	v_lshlrev_b32_e32 v29, 2, v5
	v_xor_b32_e32 v5, 2, v9
	v_cmp_lt_i32_e64 s[4:5], v5, v10
	v_cndmask_b32_e64 v5, v9, v5, s[4:5]
	v_lshlrev_b32_e32 v30, 2, v5
	v_xor_b32_e32 v5, 1, v9
	v_cmp_lt_i32_e64 s[4:5], v5, v10
	s_load_dword s42, s[16:17], 0x0
	v_cndmask_b32_e64 v5, v9, v5, s[4:5]
	v_lshlrev_b32_e32 v31, 2, v5
	v_lshlrev_b32_e32 v5, 2, v26
	v_lshl_or_b32 v5, v23, 5, v5
	v_lshlrev_b32_e32 v16, 16, v6
	v_and_b32_e32 v17, 0xffff0000, v6
	v_lshlrev_b32_e32 v18, 16, v7
	v_and_b32_e32 v19, 0xffff0000, v7
	s_mov_b32 s41, s13
	v_cmp_neq_f32_e64 s[4:5], s10, 0
	v_lshl_or_b32 v32, v23, 3, v26
	v_add_u32_e32 v33, 0xf0, v5
	s_mov_b64 s[14:15], 0
	s_movk_i32 s43, 0x80
	s_movk_i32 s44, 0x7f
	;; [unrolled: 1-line block ×3, first 2 shown]
	v_mov_b32_e32 v26, 0xff7fffff
	v_bfrev_b32_e32 v34, 60
	v_mov_b32_e32 v35, v23
	s_branch .LBB287_9
.LBB287_8:                              ;   in Loop: Header=BB287_9 Depth=1
	s_or_b64 exec, exec, s[16:17]
	v_add_u32_e32 v35, 2, v35
	v_cmp_le_i32_e64 s[6:7], s33, v35
	s_or_b64 s[14:15], s[6:7], s[14:15]
	v_add_co_u32_e64 v3, s[6:7], 8, v3
	v_add_u32_e32 v32, 16, v32
	v_add_u32_e32 v33, 64, v33
	v_addc_co_u32_e64 v4, s[6:7], 0, v4, s[6:7]
	s_andn2_b64 exec, exec, s[14:15]
	s_cbranch_execz .LBB287_95
.LBB287_9:                              ; =>This Inner Loop Header: Depth=1
	global_load_dword v5, v[3:4], off
	v_mov_b32_e32 v36, 0
	s_waitcnt vmcnt(0) lgkmcnt(0)
	v_mad_i64_i32 v[5:6], s[6:7], v5, s41, v[1:2]
	global_load_ubyte v37, v[5:6], off
	s_waitcnt vmcnt(0)
	v_cmp_ne_u16_e64 s[6:7], 0, v37
	s_and_saveexec_b64 s[16:17], s[6:7]
	s_cbranch_execz .LBB287_15
; %bb.10:                               ;   in Loop: Header=BB287_9 Depth=1
	v_cmp_ne_u16_e64 s[6:7], s43, v37
	v_bfrev_b32_e32 v36, 1
	s_and_saveexec_b64 s[36:37], s[6:7]
	s_cbranch_execz .LBB287_14
; %bb.11:                               ;   in Loop: Header=BB287_9 Depth=1
	v_and_b32_e32 v7, 0xffff, v37
	v_and_b32_e32 v38, 0x7f, v7
	v_cmp_ne_u32_e64 s[6:7], s44, v38
	v_mov_b32_e32 v36, 0x7f800001
	s_and_saveexec_b64 s[38:39], s[6:7]
	s_cbranch_execz .LBB287_13
; %bb.12:                               ;   in Loop: Header=BB287_9 Depth=1
	v_and_b32_e32 v36, 7, v7
	v_ffbh_u32_e32 v39, v36
	v_min_u32_e32 v42, 32, v39
	v_subrev_u32_e32 v39, 28, v42
	v_lshlrev_b64 v[39:40], v39, v[7:8]
	v_lshrrev_b32_e32 v41, 3, v38
	v_sub_u32_e32 v7, 29, v42
	v_and_b32_e32 v39, 7, v39
	v_cmp_gt_u32_e64 s[6:7], 8, v38
	v_cndmask_b32_e64 v7, v41, v7, s[6:7]
	v_cndmask_b32_e64 v36, v36, v39, s[6:7]
	v_lshlrev_b32_e32 v37, 24, v37
	v_lshlrev_b32_e32 v36, 20, v36
	v_and_b32_e32 v37, 0x80000000, v37
	v_lshl_add_u32 v7, v7, 23, v34
	v_or3_b32 v36, v37, v7, v36
.LBB287_13:                             ;   in Loop: Header=BB287_9 Depth=1
	s_or_b64 exec, exec, s[38:39]
.LBB287_14:                             ;   in Loop: Header=BB287_9 Depth=1
	s_or_b64 exec, exec, s[36:37]
.LBB287_15:                             ;   in Loop: Header=BB287_9 Depth=1
	s_or_b64 exec, exec, s[16:17]
	global_load_ubyte v39, v[5:6], off offset:8
	v_mov_b32_e32 v38, 0
	v_mov_b32_e32 v37, 0
	s_waitcnt vmcnt(0)
	v_cmp_ne_u16_e64 s[6:7], 0, v39
	s_and_saveexec_b64 s[16:17], s[6:7]
	s_cbranch_execz .LBB287_21
; %bb.16:                               ;   in Loop: Header=BB287_9 Depth=1
	v_cmp_ne_u16_e64 s[6:7], s43, v39
	v_bfrev_b32_e32 v37, 1
	s_and_saveexec_b64 s[36:37], s[6:7]
	s_cbranch_execz .LBB287_20
; %bb.17:                               ;   in Loop: Header=BB287_9 Depth=1
	v_and_b32_e32 v7, 0xffff, v39
	v_and_b32_e32 v40, 0x7f, v7
	v_cmp_ne_u32_e64 s[6:7], s44, v40
	v_mov_b32_e32 v37, 0x7f800001
	s_and_saveexec_b64 s[38:39], s[6:7]
	s_cbranch_execz .LBB287_19
; %bb.18:                               ;   in Loop: Header=BB287_9 Depth=1
	v_and_b32_e32 v37, 7, v7
	v_ffbh_u32_e32 v41, v37
	v_min_u32_e32 v44, 32, v41
	v_subrev_u32_e32 v41, 28, v44
	v_lshlrev_b64 v[41:42], v41, v[7:8]
	v_lshrrev_b32_e32 v43, 3, v40
	v_sub_u32_e32 v7, 29, v44
	v_and_b32_e32 v41, 7, v41
	v_cmp_gt_u32_e64 s[6:7], 8, v40
	v_cndmask_b32_e64 v7, v43, v7, s[6:7]
	v_cndmask_b32_e64 v37, v37, v41, s[6:7]
	v_lshlrev_b32_e32 v39, 24, v39
	v_lshlrev_b32_e32 v37, 20, v37
	v_and_b32_e32 v39, 0x80000000, v39
	v_lshl_add_u32 v7, v7, 23, v34
	v_or3_b32 v37, v39, v7, v37
.LBB287_19:                             ;   in Loop: Header=BB287_9 Depth=1
	s_or_b64 exec, exec, s[38:39]
.LBB287_20:                             ;   in Loop: Header=BB287_9 Depth=1
	s_or_b64 exec, exec, s[36:37]
.LBB287_21:                             ;   in Loop: Header=BB287_9 Depth=1
	s_or_b64 exec, exec, s[16:17]
	global_load_ubyte v39, v[5:6], off offset:128
	s_waitcnt vmcnt(0)
	v_cmp_ne_u16_e64 s[6:7], 0, v39
	s_and_saveexec_b64 s[16:17], s[6:7]
	s_cbranch_execz .LBB287_27
; %bb.22:                               ;   in Loop: Header=BB287_9 Depth=1
	v_cmp_ne_u16_e64 s[6:7], s43, v39
	v_bfrev_b32_e32 v38, 1
	s_and_saveexec_b64 s[36:37], s[6:7]
	s_cbranch_execz .LBB287_26
; %bb.23:                               ;   in Loop: Header=BB287_9 Depth=1
	v_and_b32_e32 v7, 0xffff, v39
	v_and_b32_e32 v40, 0x7f, v7
	v_cmp_ne_u32_e64 s[6:7], s44, v40
	v_mov_b32_e32 v38, 0x7f800001
	s_and_saveexec_b64 s[38:39], s[6:7]
	s_cbranch_execz .LBB287_25
; %bb.24:                               ;   in Loop: Header=BB287_9 Depth=1
	v_and_b32_e32 v38, 7, v7
	v_ffbh_u32_e32 v41, v38
	v_min_u32_e32 v44, 32, v41
	v_subrev_u32_e32 v41, 28, v44
	v_lshlrev_b64 v[41:42], v41, v[7:8]
	v_lshrrev_b32_e32 v43, 3, v40
	v_sub_u32_e32 v7, 29, v44
	v_and_b32_e32 v41, 7, v41
	v_cmp_gt_u32_e64 s[6:7], 8, v40
	v_cndmask_b32_e64 v7, v43, v7, s[6:7]
	v_cndmask_b32_e64 v38, v38, v41, s[6:7]
	v_lshlrev_b32_e32 v39, 24, v39
	v_lshlrev_b32_e32 v38, 20, v38
	v_and_b32_e32 v39, 0x80000000, v39
	v_lshl_add_u32 v7, v7, 23, v34
	v_or3_b32 v38, v39, v7, v38
.LBB287_25:                             ;   in Loop: Header=BB287_9 Depth=1
	s_or_b64 exec, exec, s[38:39]
.LBB287_26:                             ;   in Loop: Header=BB287_9 Depth=1
	s_or_b64 exec, exec, s[36:37]
.LBB287_27:                             ;   in Loop: Header=BB287_9 Depth=1
	s_or_b64 exec, exec, s[16:17]
	global_load_ubyte v41, v[5:6], off offset:136
	v_mov_b32_e32 v40, 0
	v_mov_b32_e32 v39, 0
	s_waitcnt vmcnt(0)
	v_cmp_ne_u16_e64 s[6:7], 0, v41
	s_and_saveexec_b64 s[16:17], s[6:7]
	s_cbranch_execz .LBB287_33
; %bb.28:                               ;   in Loop: Header=BB287_9 Depth=1
	v_cmp_ne_u16_e64 s[6:7], s43, v41
	v_bfrev_b32_e32 v39, 1
	s_and_saveexec_b64 s[36:37], s[6:7]
	s_cbranch_execz .LBB287_32
; %bb.29:                               ;   in Loop: Header=BB287_9 Depth=1
	v_and_b32_e32 v7, 0xffff, v41
	v_and_b32_e32 v42, 0x7f, v7
	v_cmp_ne_u32_e64 s[6:7], s44, v42
	v_mov_b32_e32 v39, 0x7f800001
	s_and_saveexec_b64 s[38:39], s[6:7]
	s_cbranch_execz .LBB287_31
; %bb.30:                               ;   in Loop: Header=BB287_9 Depth=1
	v_and_b32_e32 v39, 7, v7
	v_ffbh_u32_e32 v43, v39
	v_min_u32_e32 v46, 32, v43
	v_subrev_u32_e32 v43, 28, v46
	v_lshlrev_b64 v[43:44], v43, v[7:8]
	v_lshrrev_b32_e32 v45, 3, v42
	v_sub_u32_e32 v7, 29, v46
	v_and_b32_e32 v43, 7, v43
	v_cmp_gt_u32_e64 s[6:7], 8, v42
	v_cndmask_b32_e64 v7, v45, v7, s[6:7]
	v_cndmask_b32_e64 v39, v39, v43, s[6:7]
	v_lshlrev_b32_e32 v41, 24, v41
	v_lshlrev_b32_e32 v39, 20, v39
	v_and_b32_e32 v41, 0x80000000, v41
	v_lshl_add_u32 v7, v7, 23, v34
	v_or3_b32 v39, v41, v7, v39
.LBB287_31:                             ;   in Loop: Header=BB287_9 Depth=1
	s_or_b64 exec, exec, s[38:39]
.LBB287_32:                             ;   in Loop: Header=BB287_9 Depth=1
	s_or_b64 exec, exec, s[36:37]
.LBB287_33:                             ;   in Loop: Header=BB287_9 Depth=1
	s_or_b64 exec, exec, s[16:17]
	global_load_ubyte v41, v[5:6], off offset:256
	s_waitcnt vmcnt(0)
	v_cmp_ne_u16_e64 s[6:7], 0, v41
	s_and_saveexec_b64 s[16:17], s[6:7]
	s_cbranch_execz .LBB287_39
; %bb.34:                               ;   in Loop: Header=BB287_9 Depth=1
	v_cmp_ne_u16_e64 s[6:7], s43, v41
	v_bfrev_b32_e32 v40, 1
	s_and_saveexec_b64 s[36:37], s[6:7]
	s_cbranch_execz .LBB287_38
; %bb.35:                               ;   in Loop: Header=BB287_9 Depth=1
	v_and_b32_e32 v7, 0xffff, v41
	v_and_b32_e32 v42, 0x7f, v7
	v_cmp_ne_u32_e64 s[6:7], s44, v42
	v_mov_b32_e32 v40, 0x7f800001
	s_and_saveexec_b64 s[38:39], s[6:7]
	s_cbranch_execz .LBB287_37
; %bb.36:                               ;   in Loop: Header=BB287_9 Depth=1
	v_and_b32_e32 v40, 7, v7
	v_ffbh_u32_e32 v43, v40
	v_min_u32_e32 v46, 32, v43
	v_subrev_u32_e32 v43, 28, v46
	v_lshlrev_b64 v[43:44], v43, v[7:8]
	v_lshrrev_b32_e32 v45, 3, v42
	v_sub_u32_e32 v7, 29, v46
	v_and_b32_e32 v43, 7, v43
	v_cmp_gt_u32_e64 s[6:7], 8, v42
	v_cndmask_b32_e64 v7, v45, v7, s[6:7]
	v_cndmask_b32_e64 v40, v40, v43, s[6:7]
	v_lshlrev_b32_e32 v41, 24, v41
	v_lshlrev_b32_e32 v40, 20, v40
	v_and_b32_e32 v41, 0x80000000, v41
	v_lshl_add_u32 v7, v7, 23, v34
	v_or3_b32 v40, v41, v7, v40
.LBB287_37:                             ;   in Loop: Header=BB287_9 Depth=1
	s_or_b64 exec, exec, s[38:39]
.LBB287_38:                             ;   in Loop: Header=BB287_9 Depth=1
	s_or_b64 exec, exec, s[36:37]
.LBB287_39:                             ;   in Loop: Header=BB287_9 Depth=1
	s_or_b64 exec, exec, s[16:17]
	global_load_ubyte v43, v[5:6], off offset:264
	v_mov_b32_e32 v42, 0
	v_mov_b32_e32 v41, 0
	s_waitcnt vmcnt(0)
	v_cmp_ne_u16_e64 s[6:7], 0, v43
	s_and_saveexec_b64 s[16:17], s[6:7]
	s_cbranch_execz .LBB287_45
; %bb.40:                               ;   in Loop: Header=BB287_9 Depth=1
	v_cmp_ne_u16_e64 s[6:7], s43, v43
	v_bfrev_b32_e32 v41, 1
	s_and_saveexec_b64 s[36:37], s[6:7]
	s_cbranch_execz .LBB287_44
; %bb.41:                               ;   in Loop: Header=BB287_9 Depth=1
	v_and_b32_e32 v7, 0xffff, v43
	v_and_b32_e32 v44, 0x7f, v7
	v_cmp_ne_u32_e64 s[6:7], s44, v44
	v_mov_b32_e32 v41, 0x7f800001
	s_and_saveexec_b64 s[38:39], s[6:7]
	s_cbranch_execz .LBB287_43
; %bb.42:                               ;   in Loop: Header=BB287_9 Depth=1
	v_and_b32_e32 v41, 7, v7
	v_ffbh_u32_e32 v45, v41
	v_min_u32_e32 v48, 32, v45
	v_subrev_u32_e32 v45, 28, v48
	v_lshlrev_b64 v[45:46], v45, v[7:8]
	v_lshrrev_b32_e32 v47, 3, v44
	v_sub_u32_e32 v7, 29, v48
	v_and_b32_e32 v45, 7, v45
	v_cmp_gt_u32_e64 s[6:7], 8, v44
	v_cndmask_b32_e64 v7, v47, v7, s[6:7]
	v_cndmask_b32_e64 v41, v41, v45, s[6:7]
	v_lshlrev_b32_e32 v43, 24, v43
	v_lshlrev_b32_e32 v41, 20, v41
	v_and_b32_e32 v43, 0x80000000, v43
	v_lshl_add_u32 v7, v7, 23, v34
	v_or3_b32 v41, v43, v7, v41
.LBB287_43:                             ;   in Loop: Header=BB287_9 Depth=1
	s_or_b64 exec, exec, s[38:39]
.LBB287_44:                             ;   in Loop: Header=BB287_9 Depth=1
	s_or_b64 exec, exec, s[36:37]
.LBB287_45:                             ;   in Loop: Header=BB287_9 Depth=1
	s_or_b64 exec, exec, s[16:17]
	global_load_ubyte v43, v[5:6], off offset:384
	s_waitcnt vmcnt(0)
	v_cmp_ne_u16_e64 s[6:7], 0, v43
	s_and_saveexec_b64 s[16:17], s[6:7]
	s_cbranch_execz .LBB287_51
; %bb.46:                               ;   in Loop: Header=BB287_9 Depth=1
	v_cmp_ne_u16_e64 s[6:7], s43, v43
	v_bfrev_b32_e32 v42, 1
	s_and_saveexec_b64 s[36:37], s[6:7]
	s_cbranch_execz .LBB287_50
; %bb.47:                               ;   in Loop: Header=BB287_9 Depth=1
	v_and_b32_e32 v7, 0xffff, v43
	v_and_b32_e32 v44, 0x7f, v7
	v_cmp_ne_u32_e64 s[6:7], s44, v44
	v_mov_b32_e32 v42, 0x7f800001
	s_and_saveexec_b64 s[38:39], s[6:7]
	s_cbranch_execz .LBB287_49
; %bb.48:                               ;   in Loop: Header=BB287_9 Depth=1
	v_and_b32_e32 v42, 7, v7
	v_ffbh_u32_e32 v45, v42
	v_min_u32_e32 v48, 32, v45
	v_subrev_u32_e32 v45, 28, v48
	v_lshlrev_b64 v[45:46], v45, v[7:8]
	v_lshrrev_b32_e32 v47, 3, v44
	v_sub_u32_e32 v7, 29, v48
	v_and_b32_e32 v45, 7, v45
	v_cmp_gt_u32_e64 s[6:7], 8, v44
	v_cndmask_b32_e64 v7, v47, v7, s[6:7]
	v_cndmask_b32_e64 v42, v42, v45, s[6:7]
	v_lshlrev_b32_e32 v43, 24, v43
	v_lshlrev_b32_e32 v42, 20, v42
	v_and_b32_e32 v43, 0x80000000, v43
	v_lshl_add_u32 v7, v7, 23, v34
	v_or3_b32 v42, v43, v7, v42
.LBB287_49:                             ;   in Loop: Header=BB287_9 Depth=1
	s_or_b64 exec, exec, s[38:39]
.LBB287_50:                             ;   in Loop: Header=BB287_9 Depth=1
	s_or_b64 exec, exec, s[36:37]
.LBB287_51:                             ;   in Loop: Header=BB287_9 Depth=1
	s_or_b64 exec, exec, s[16:17]
	global_load_ubyte v45, v[5:6], off offset:392
	v_mov_b32_e32 v44, 0
	v_mov_b32_e32 v43, 0
	s_waitcnt vmcnt(0)
	v_cmp_ne_u16_e64 s[6:7], 0, v45
	s_and_saveexec_b64 s[16:17], s[6:7]
	s_cbranch_execz .LBB287_57
; %bb.52:                               ;   in Loop: Header=BB287_9 Depth=1
	v_cmp_ne_u16_e64 s[6:7], s43, v45
	v_bfrev_b32_e32 v43, 1
	s_and_saveexec_b64 s[36:37], s[6:7]
	s_cbranch_execz .LBB287_56
; %bb.53:                               ;   in Loop: Header=BB287_9 Depth=1
	v_and_b32_e32 v7, 0xffff, v45
	v_and_b32_e32 v46, 0x7f, v7
	v_cmp_ne_u32_e64 s[6:7], s44, v46
	v_mov_b32_e32 v43, 0x7f800001
	s_and_saveexec_b64 s[38:39], s[6:7]
	s_cbranch_execz .LBB287_55
; %bb.54:                               ;   in Loop: Header=BB287_9 Depth=1
	v_and_b32_e32 v43, 7, v7
	v_ffbh_u32_e32 v47, v43
	v_min_u32_e32 v50, 32, v47
	v_subrev_u32_e32 v47, 28, v50
	v_lshlrev_b64 v[47:48], v47, v[7:8]
	v_lshrrev_b32_e32 v49, 3, v46
	v_sub_u32_e32 v7, 29, v50
	v_and_b32_e32 v47, 7, v47
	v_cmp_gt_u32_e64 s[6:7], 8, v46
	v_cndmask_b32_e64 v7, v49, v7, s[6:7]
	v_cndmask_b32_e64 v43, v43, v47, s[6:7]
	v_lshlrev_b32_e32 v45, 24, v45
	v_lshlrev_b32_e32 v43, 20, v43
	v_and_b32_e32 v45, 0x80000000, v45
	v_lshl_add_u32 v7, v7, 23, v34
	v_or3_b32 v43, v45, v7, v43
.LBB287_55:                             ;   in Loop: Header=BB287_9 Depth=1
	s_or_b64 exec, exec, s[38:39]
.LBB287_56:                             ;   in Loop: Header=BB287_9 Depth=1
	s_or_b64 exec, exec, s[36:37]
.LBB287_57:                             ;   in Loop: Header=BB287_9 Depth=1
	s_or_b64 exec, exec, s[16:17]
	global_load_ubyte v45, v[5:6], off offset:512
	s_waitcnt vmcnt(0)
	v_cmp_ne_u16_e64 s[6:7], 0, v45
	s_and_saveexec_b64 s[16:17], s[6:7]
	s_cbranch_execz .LBB287_63
; %bb.58:                               ;   in Loop: Header=BB287_9 Depth=1
	v_cmp_ne_u16_e64 s[6:7], s43, v45
	v_bfrev_b32_e32 v44, 1
	s_and_saveexec_b64 s[36:37], s[6:7]
	s_cbranch_execz .LBB287_62
; %bb.59:                               ;   in Loop: Header=BB287_9 Depth=1
	v_and_b32_e32 v7, 0xffff, v45
	v_and_b32_e32 v46, 0x7f, v7
	v_cmp_ne_u32_e64 s[6:7], s44, v46
	v_mov_b32_e32 v44, 0x7f800001
	s_and_saveexec_b64 s[38:39], s[6:7]
	s_cbranch_execz .LBB287_61
; %bb.60:                               ;   in Loop: Header=BB287_9 Depth=1
	v_and_b32_e32 v44, 7, v7
	v_ffbh_u32_e32 v47, v44
	v_min_u32_e32 v50, 32, v47
	v_subrev_u32_e32 v47, 28, v50
	v_lshlrev_b64 v[47:48], v47, v[7:8]
	v_lshrrev_b32_e32 v49, 3, v46
	v_sub_u32_e32 v7, 29, v50
	v_and_b32_e32 v47, 7, v47
	v_cmp_gt_u32_e64 s[6:7], 8, v46
	v_cndmask_b32_e64 v7, v49, v7, s[6:7]
	v_cndmask_b32_e64 v44, v44, v47, s[6:7]
	v_lshlrev_b32_e32 v45, 24, v45
	v_lshlrev_b32_e32 v44, 20, v44
	v_and_b32_e32 v45, 0x80000000, v45
	v_lshl_add_u32 v7, v7, 23, v34
	v_or3_b32 v44, v45, v7, v44
.LBB287_61:                             ;   in Loop: Header=BB287_9 Depth=1
	s_or_b64 exec, exec, s[38:39]
.LBB287_62:                             ;   in Loop: Header=BB287_9 Depth=1
	s_or_b64 exec, exec, s[36:37]
.LBB287_63:                             ;   in Loop: Header=BB287_9 Depth=1
	s_or_b64 exec, exec, s[16:17]
	global_load_ubyte v47, v[5:6], off offset:520
	v_mov_b32_e32 v46, 0
	v_mov_b32_e32 v45, 0
	s_waitcnt vmcnt(0)
	v_cmp_ne_u16_e64 s[6:7], 0, v47
	s_and_saveexec_b64 s[16:17], s[6:7]
	s_cbranch_execz .LBB287_69
; %bb.64:                               ;   in Loop: Header=BB287_9 Depth=1
	v_cmp_ne_u16_e64 s[6:7], s43, v47
	v_bfrev_b32_e32 v45, 1
	s_and_saveexec_b64 s[36:37], s[6:7]
	s_cbranch_execz .LBB287_68
; %bb.65:                               ;   in Loop: Header=BB287_9 Depth=1
	v_and_b32_e32 v7, 0xffff, v47
	v_and_b32_e32 v48, 0x7f, v7
	v_cmp_ne_u32_e64 s[6:7], s44, v48
	v_mov_b32_e32 v45, 0x7f800001
	s_and_saveexec_b64 s[38:39], s[6:7]
	s_cbranch_execz .LBB287_67
; %bb.66:                               ;   in Loop: Header=BB287_9 Depth=1
	v_and_b32_e32 v45, 7, v7
	v_ffbh_u32_e32 v49, v45
	v_min_u32_e32 v52, 32, v49
	v_subrev_u32_e32 v49, 28, v52
	v_lshlrev_b64 v[49:50], v49, v[7:8]
	v_lshrrev_b32_e32 v51, 3, v48
	v_sub_u32_e32 v7, 29, v52
	v_and_b32_e32 v49, 7, v49
	v_cmp_gt_u32_e64 s[6:7], 8, v48
	v_cndmask_b32_e64 v7, v51, v7, s[6:7]
	v_cndmask_b32_e64 v45, v45, v49, s[6:7]
	v_lshlrev_b32_e32 v47, 24, v47
	v_lshlrev_b32_e32 v45, 20, v45
	v_and_b32_e32 v47, 0x80000000, v47
	v_lshl_add_u32 v7, v7, 23, v34
	v_or3_b32 v45, v47, v7, v45
.LBB287_67:                             ;   in Loop: Header=BB287_9 Depth=1
	s_or_b64 exec, exec, s[38:39]
.LBB287_68:                             ;   in Loop: Header=BB287_9 Depth=1
	s_or_b64 exec, exec, s[36:37]
.LBB287_69:                             ;   in Loop: Header=BB287_9 Depth=1
	s_or_b64 exec, exec, s[16:17]
	global_load_ubyte v47, v[5:6], off offset:640
	s_waitcnt vmcnt(0)
	v_cmp_ne_u16_e64 s[6:7], 0, v47
	s_and_saveexec_b64 s[16:17], s[6:7]
	s_cbranch_execz .LBB287_75
; %bb.70:                               ;   in Loop: Header=BB287_9 Depth=1
	v_cmp_ne_u16_e64 s[6:7], s43, v47
	v_bfrev_b32_e32 v46, 1
	s_and_saveexec_b64 s[36:37], s[6:7]
	s_cbranch_execz .LBB287_74
; %bb.71:                               ;   in Loop: Header=BB287_9 Depth=1
	v_and_b32_e32 v7, 0xffff, v47
	v_and_b32_e32 v48, 0x7f, v7
	v_cmp_ne_u32_e64 s[6:7], s44, v48
	v_mov_b32_e32 v46, 0x7f800001
	s_and_saveexec_b64 s[38:39], s[6:7]
	s_cbranch_execz .LBB287_73
; %bb.72:                               ;   in Loop: Header=BB287_9 Depth=1
	v_and_b32_e32 v46, 7, v7
	v_ffbh_u32_e32 v49, v46
	v_min_u32_e32 v52, 32, v49
	v_subrev_u32_e32 v49, 28, v52
	v_lshlrev_b64 v[49:50], v49, v[7:8]
	v_lshrrev_b32_e32 v51, 3, v48
	v_sub_u32_e32 v7, 29, v52
	v_and_b32_e32 v49, 7, v49
	v_cmp_gt_u32_e64 s[6:7], 8, v48
	v_cndmask_b32_e64 v7, v51, v7, s[6:7]
	v_cndmask_b32_e64 v46, v46, v49, s[6:7]
	v_lshlrev_b32_e32 v47, 24, v47
	v_lshlrev_b32_e32 v46, 20, v46
	v_and_b32_e32 v47, 0x80000000, v47
	v_lshl_add_u32 v7, v7, 23, v34
	v_or3_b32 v46, v47, v7, v46
.LBB287_73:                             ;   in Loop: Header=BB287_9 Depth=1
	s_or_b64 exec, exec, s[38:39]
.LBB287_74:                             ;   in Loop: Header=BB287_9 Depth=1
	s_or_b64 exec, exec, s[36:37]
.LBB287_75:                             ;   in Loop: Header=BB287_9 Depth=1
	s_or_b64 exec, exec, s[16:17]
	global_load_ubyte v49, v[5:6], off offset:648
	v_mov_b32_e32 v48, 0
	v_mov_b32_e32 v47, 0
	s_waitcnt vmcnt(0)
	v_cmp_ne_u16_e64 s[6:7], 0, v49
	s_and_saveexec_b64 s[16:17], s[6:7]
	s_cbranch_execz .LBB287_81
; %bb.76:                               ;   in Loop: Header=BB287_9 Depth=1
	v_cmp_ne_u16_e64 s[6:7], s43, v49
	v_bfrev_b32_e32 v47, 1
	s_and_saveexec_b64 s[36:37], s[6:7]
	s_cbranch_execz .LBB287_80
; %bb.77:                               ;   in Loop: Header=BB287_9 Depth=1
	v_and_b32_e32 v7, 0xffff, v49
	v_and_b32_e32 v50, 0x7f, v7
	v_cmp_ne_u32_e64 s[6:7], s44, v50
	v_mov_b32_e32 v47, 0x7f800001
	s_and_saveexec_b64 s[38:39], s[6:7]
	s_cbranch_execz .LBB287_79
; %bb.78:                               ;   in Loop: Header=BB287_9 Depth=1
	v_and_b32_e32 v47, 7, v7
	v_ffbh_u32_e32 v51, v47
	v_min_u32_e32 v54, 32, v51
	v_subrev_u32_e32 v51, 28, v54
	v_lshlrev_b64 v[51:52], v51, v[7:8]
	v_lshrrev_b32_e32 v53, 3, v50
	v_sub_u32_e32 v7, 29, v54
	v_and_b32_e32 v51, 7, v51
	v_cmp_gt_u32_e64 s[6:7], 8, v50
	v_cndmask_b32_e64 v7, v53, v7, s[6:7]
	v_cndmask_b32_e64 v47, v47, v51, s[6:7]
	v_lshlrev_b32_e32 v49, 24, v49
	v_lshlrev_b32_e32 v47, 20, v47
	v_and_b32_e32 v49, 0x80000000, v49
	v_lshl_add_u32 v7, v7, 23, v34
	v_or3_b32 v47, v49, v7, v47
.LBB287_79:                             ;   in Loop: Header=BB287_9 Depth=1
	s_or_b64 exec, exec, s[38:39]
.LBB287_80:                             ;   in Loop: Header=BB287_9 Depth=1
	s_or_b64 exec, exec, s[36:37]
.LBB287_81:                             ;   in Loop: Header=BB287_9 Depth=1
	s_or_b64 exec, exec, s[16:17]
	global_load_ubyte v49, v[5:6], off offset:768
	s_waitcnt vmcnt(0)
	v_cmp_ne_u16_e64 s[6:7], 0, v49
	s_and_saveexec_b64 s[16:17], s[6:7]
	s_cbranch_execz .LBB287_87
; %bb.82:                               ;   in Loop: Header=BB287_9 Depth=1
	v_cmp_ne_u16_e64 s[6:7], s43, v49
	v_bfrev_b32_e32 v48, 1
	s_and_saveexec_b64 s[36:37], s[6:7]
	s_cbranch_execz .LBB287_86
; %bb.83:                               ;   in Loop: Header=BB287_9 Depth=1
	v_and_b32_e32 v7, 0xffff, v49
	v_and_b32_e32 v50, 0x7f, v7
	v_cmp_ne_u32_e64 s[6:7], s44, v50
	v_mov_b32_e32 v48, 0x7f800001
	s_and_saveexec_b64 s[38:39], s[6:7]
	s_cbranch_execz .LBB287_85
; %bb.84:                               ;   in Loop: Header=BB287_9 Depth=1
	v_and_b32_e32 v48, 7, v7
	v_ffbh_u32_e32 v51, v48
	v_min_u32_e32 v54, 32, v51
	v_subrev_u32_e32 v51, 28, v54
	v_lshlrev_b64 v[51:52], v51, v[7:8]
	v_lshrrev_b32_e32 v53, 3, v50
	v_sub_u32_e32 v7, 29, v54
	v_and_b32_e32 v51, 7, v51
	v_cmp_gt_u32_e64 s[6:7], 8, v50
	v_cndmask_b32_e64 v7, v53, v7, s[6:7]
	v_cndmask_b32_e64 v48, v48, v51, s[6:7]
	v_lshlrev_b32_e32 v49, 24, v49
	v_lshlrev_b32_e32 v48, 20, v48
	v_and_b32_e32 v49, 0x80000000, v49
	v_lshl_add_u32 v7, v7, 23, v34
	v_or3_b32 v48, v49, v7, v48
.LBB287_85:                             ;   in Loop: Header=BB287_9 Depth=1
	s_or_b64 exec, exec, s[38:39]
.LBB287_86:                             ;   in Loop: Header=BB287_9 Depth=1
	s_or_b64 exec, exec, s[36:37]
.LBB287_87:                             ;   in Loop: Header=BB287_9 Depth=1
	s_or_b64 exec, exec, s[16:17]
	global_load_ubyte v7, v[5:6], off offset:776
	v_mov_b32_e32 v6, 0
	s_waitcnt vmcnt(0)
	v_cmp_ne_u16_e64 s[6:7], 0, v7
	s_and_saveexec_b64 s[16:17], s[6:7]
	s_cbranch_execz .LBB287_93
; %bb.88:                               ;   in Loop: Header=BB287_9 Depth=1
	v_cmp_ne_u16_e64 s[6:7], s43, v7
	v_bfrev_b32_e32 v6, 1
	s_and_saveexec_b64 s[36:37], s[6:7]
	s_cbranch_execz .LBB287_92
; %bb.89:                               ;   in Loop: Header=BB287_9 Depth=1
	v_and_b32_e32 v5, 0xffff, v7
	v_and_b32_e32 v49, 0x7f, v5
	v_cmp_ne_u32_e64 s[6:7], s44, v49
	v_mov_b32_e32 v6, 0x7f800001
	s_and_saveexec_b64 s[38:39], s[6:7]
	s_cbranch_execz .LBB287_91
; %bb.90:                               ;   in Loop: Header=BB287_9 Depth=1
	v_and_b32_e32 v50, 7, v5
	v_ffbh_u32_e32 v6, v50
	v_min_u32_e32 v52, 32, v6
	v_subrev_u32_e32 v6, 28, v52
	v_lshlrev_b64 v[5:6], v6, v[5:6]
	v_lshrrev_b32_e32 v51, 3, v49
	v_sub_u32_e32 v6, 29, v52
	v_and_b32_e32 v5, 7, v5
	v_cmp_gt_u32_e64 s[6:7], 8, v49
	v_cndmask_b32_e64 v6, v51, v6, s[6:7]
	v_cndmask_b32_e64 v5, v50, v5, s[6:7]
	v_lshlrev_b32_e32 v7, 24, v7
	v_lshlrev_b32_e32 v5, 20, v5
	v_and_b32_e32 v7, 0x80000000, v7
	v_lshl_add_u32 v6, v6, 23, v34
	v_or3_b32 v6, v7, v6, v5
.LBB287_91:                             ;   in Loop: Header=BB287_9 Depth=1
	s_or_b64 exec, exec, s[38:39]
.LBB287_92:                             ;   in Loop: Header=BB287_9 Depth=1
	s_or_b64 exec, exec, s[36:37]
.LBB287_93:                             ;   in Loop: Header=BB287_9 Depth=1
	s_or_b64 exec, exec, s[16:17]
	s_waitcnt lgkmcnt(0)
	v_mul_f32_e32 v5, s42, v48
	v_bfe_u32 v7, v5, 16, 1
	v_add3_u32 v7, v7, v5, s45
	v_or_b32_e32 v48, 0x400000, v5
	v_cmp_u_f32_e64 s[6:7], v5, v5
	v_cndmask_b32_e64 v5, v7, v48, s[6:7]
	v_mul_f32_e32 v7, s42, v47
	v_bfe_u32 v47, v7, 16, 1
	v_add3_u32 v47, v47, v7, s45
	v_or_b32_e32 v48, 0x400000, v7
	v_cmp_u_f32_e64 s[6:7], v7, v7
	v_mul_f32_e32 v46, s42, v46
	v_cndmask_b32_e64 v7, v47, v48, s[6:7]
	v_bfe_u32 v47, v46, 16, 1
	v_add3_u32 v47, v47, v46, s45
	v_or_b32_e32 v48, 0x400000, v46
	v_cmp_u_f32_e64 s[6:7], v46, v46
	v_mul_f32_e32 v45, s42, v45
	v_cndmask_b32_e64 v46, v47, v48, s[6:7]
	;; [unrolled: 6-line block ×11, first 2 shown]
	v_bfe_u32 v47, v36, 16, 1
	v_add3_u32 v47, v47, v36, s45
	v_or_b32_e32 v48, 0x400000, v36
	v_cmp_u_f32_e64 s[6:7], v36, v36
	v_cndmask_b32_e64 v36, v47, v48, s[6:7]
	v_and_b32_e32 v37, 0xffff0000, v37
	v_and_b32_e32 v36, 0xffff0000, v36
	v_mul_f32_e32 v37, v13, v37
	v_fmac_f32_e32 v37, v12, v36
	v_and_b32_e32 v36, 0xffff0000, v38
	v_fmac_f32_e32 v37, v14, v36
	v_and_b32_e32 v36, 0xffff0000, v39
	;; [unrolled: 2-line block ×7, first 2 shown]
	v_mul_f32_e32 v6, s42, v6
	v_fmac_f32_e32 v37, v20, v36
	v_and_b32_e32 v36, 0xffff0000, v45
	v_bfe_u32 v47, v6, 16, 1
	v_fmac_f32_e32 v37, v21, v36
	v_and_b32_e32 v36, 0xffff0000, v46
	v_add3_u32 v47, v47, v6, s45
	v_or_b32_e32 v48, 0x400000, v6
	v_cmp_u_f32_e64 s[6:7], v6, v6
	v_fmac_f32_e32 v37, v24, v36
	v_and_b32_e32 v7, 0xffff0000, v7
	v_cndmask_b32_e64 v6, v47, v48, s[6:7]
	v_fmac_f32_e32 v37, v25, v7
	v_and_b32_e32 v5, 0xffff0000, v5
	v_fmac_f32_e32 v37, v27, v5
	v_and_b32_e32 v5, 0xffff0000, v6
	v_fmac_f32_e32 v37, v28, v5
	ds_bpermute_b32 v5, v29, v37
	s_waitcnt lgkmcnt(0)
	v_add_f32_e32 v5, v37, v5
	ds_bpermute_b32 v6, v30, v5
	s_waitcnt lgkmcnt(0)
	v_add_f32_e32 v5, v5, v6
	ds_bpermute_b32 v6, v31, v5
	s_and_saveexec_b64 s[16:17], vcc
	s_cbranch_execz .LBB287_8
; %bb.94:                               ;   in Loop: Header=BB287_9 Depth=1
	v_add_u32_e32 v7, s40, v32
	v_cvt_f32_i32_e32 v7, v7
	s_waitcnt lgkmcnt(0)
	v_add_f32_e32 v5, v5, v6
	v_cmp_gt_i32_e64 s[6:7], s21, v32
	v_max_f32_e32 v6, v26, v26
	v_mul_f32_e32 v7, s10, v7
	v_cndmask_b32_e64 v7, 0, v7, s[4:5]
	v_fmac_f32_e32 v7, s11, v5
	v_cndmask_b32_e64 v5, 0, v7, s[6:7]
	ds_write_b32 v33, v5
	v_max_f32_e32 v5, v6, v7
	v_cndmask_b32_e64 v26, v26, v5, s[6:7]
	s_branch .LBB287_8
.LBB287_95:
	s_or_b64 exec, exec, s[14:15]
.LBB287_96:
	s_or_b64 exec, exec, s[34:35]
	v_xor_b32_e32 v1, 32, v9
	v_cmp_lt_i32_e32 vcc, v1, v10
	v_cndmask_b32_e32 v1, v9, v1, vcc
	v_lshlrev_b32_e32 v2, 2, v1
	ds_bpermute_b32 v1, v2, v26
	v_xor_b32_e32 v4, 16, v9
	v_max_f32_e32 v3, v26, v26
	v_cmp_lt_i32_e32 vcc, v4, v10
	v_xor_b32_e32 v5, 8, v9
	s_waitcnt lgkmcnt(0)
	v_max_f32_e32 v1, v1, v1
	v_max_f32_e32 v1, v3, v1
	v_cndmask_b32_e32 v3, v9, v4, vcc
	v_lshlrev_b32_e32 v4, 2, v3
	ds_bpermute_b32 v3, v4, v1
	v_cmp_lt_i32_e32 vcc, v5, v10
	v_and_b32_e32 v24, 63, v0
	s_waitcnt lgkmcnt(0)
	v_max_f32_e32 v3, v3, v3
	v_max_f32_e32 v3, v1, v3
	v_cndmask_b32_e32 v1, v9, v5, vcc
	v_lshlrev_b32_e32 v6, 2, v1
	ds_bpermute_b32 v5, v6, v3
	v_cmp_eq_u32_e32 vcc, 0, v24
	v_lshlrev_b32_e32 v1, 2, v23
	s_and_saveexec_b64 s[4:5], vcc
	s_cbranch_execz .LBB287_98
; %bb.97:
	s_waitcnt lgkmcnt(0)
	v_max_f32_e32 v5, v5, v5
	v_max_f32_e32 v3, v3, v3
	;; [unrolled: 1-line block ×3, first 2 shown]
	ds_write_b32 v1, v3 offset:224
.LBB287_98:
	s_or_b64 exec, exec, s[4:5]
	v_cmp_gt_u32_e64 s[4:5], 2, v24
	v_mov_b32_e32 v7, 0xff7fffff
	v_lshlrev_b32_e32 v3, 2, v24
	s_waitcnt lgkmcnt(0)
	s_barrier
	s_and_saveexec_b64 s[6:7], s[4:5]
; %bb.99:
	ds_read_b32 v7, v3 offset:224
; %bb.100:
	s_or_b64 exec, exec, s[6:7]
	v_xor_b32_e32 v5, 1, v9
	v_cmp_lt_i32_e64 s[6:7], v5, v10
	v_cndmask_b32_e64 v5, v9, v5, s[6:7]
	v_lshlrev_b32_e32 v5, 2, v5
	s_waitcnt lgkmcnt(0)
	ds_bpermute_b32 v12, v5, v7
	v_max_f32_e32 v7, v7, v7
	v_lshlrev_b32_e32 v11, 2, v11
	s_lshl_b32 s6, s33, 3
	s_min_i32 s34, s6, s21
	s_waitcnt lgkmcnt(0)
	v_max_f32_e32 v12, v12, v12
	v_max_f32_e32 v7, v7, v12
	ds_bpermute_b32 v11, v11, v7
	v_cmp_gt_i32_e64 s[6:7], s34, v0
	v_mov_b32_e32 v7, 0
	s_and_saveexec_b64 s[14:15], s[6:7]
	s_cbranch_execz .LBB287_104
; %bb.101:
	v_mov_b32_e32 v7, 0xf0
	v_lshl_add_u32 v12, v0, 2, v7
	v_mov_b32_e32 v7, 0
	s_mov_b64 s[16:17], 0
	v_mov_b32_e32 v13, v0
.LBB287_102:                            ; =>This Inner Loop Header: Depth=1
	ds_read_b32 v14, v12
	v_add_u32_e32 v13, 0x80, v13
	v_cmp_le_i32_e64 s[10:11], s34, v13
	s_or_b64 s[16:17], s[10:11], s[16:17]
	s_waitcnt lgkmcnt(0)
	v_sub_f32_e32 v14, v14, v11
	v_mul_f32_e32 v14, 0x3fb8aa3b, v14
	v_exp_f32_e32 v14, v14
	ds_write_b32 v12, v14
	v_add_f32_e32 v7, v7, v14
	v_add_u32_e32 v12, 0x200, v12
	s_andn2_b64 exec, exec, s[16:17]
	s_cbranch_execnz .LBB287_102
; %bb.103:
	s_or_b64 exec, exec, s[16:17]
.LBB287_104:
	s_or_b64 exec, exec, s[14:15]
	ds_bpermute_b32 v2, v2, v7
	s_waitcnt lgkmcnt(0)
	v_add_f32_e32 v2, v7, v2
	ds_bpermute_b32 v4, v4, v2
	s_waitcnt lgkmcnt(0)
	v_add_f32_e32 v2, v2, v4
	ds_bpermute_b32 v4, v6, v2
	v_xor_b32_e32 v6, 4, v9
	v_cmp_lt_i32_e64 s[10:11], v6, v10
	v_cndmask_b32_e64 v6, v9, v6, s[10:11]
	v_lshlrev_b32_e32 v6, 2, v6
	s_waitcnt lgkmcnt(0)
	v_add_f32_e32 v2, v2, v4
	ds_bpermute_b32 v4, v6, v2
	v_xor_b32_e32 v6, 2, v9
	v_cmp_lt_i32_e64 s[10:11], v6, v10
	v_cndmask_b32_e64 v6, v9, v6, s[10:11]
	s_waitcnt lgkmcnt(0)
	v_add_f32_e32 v2, v2, v4
	v_lshlrev_b32_e32 v4, 2, v6
	ds_bpermute_b32 v4, v4, v2
	s_waitcnt lgkmcnt(0)
	v_add_f32_e32 v2, v2, v4
	ds_bpermute_b32 v4, v5, v2
	s_waitcnt lgkmcnt(0)
	v_add_f32_e32 v2, v2, v4
	s_and_saveexec_b64 s[10:11], vcc
; %bb.105:
	ds_write_b32 v1, v2 offset:232
; %bb.106:
	s_or_b64 exec, exec, s[10:11]
	s_waitcnt lgkmcnt(0)
	s_barrier
	s_and_saveexec_b64 s[10:11], s[4:5]
; %bb.107:
	ds_read_b32 v2, v3 offset:232
; %bb.108:
	s_or_b64 exec, exec, s[10:11]
	s_waitcnt lgkmcnt(0)
	ds_bpermute_b32 v1, v5, v2
	v_lshlrev_b32_e32 v3, 2, v9
	s_waitcnt lgkmcnt(0)
	v_add_f32_e32 v1, v2, v1
	v_and_b32_e32 v2, 0xffffff00, v3
	ds_bpermute_b32 v1, v2, v1
	s_and_saveexec_b64 s[4:5], s[6:7]
	s_cbranch_execz .LBB287_111
; %bb.109:
	s_waitcnt lgkmcnt(0)
	v_add_f32_e32 v2, 0x358637bd, v1
	v_div_scale_f32 v1, s[6:7], v2, v2, 1.0
	v_div_scale_f32 v3, vcc, 1.0, v2, 1.0
	s_mov_b64 s[6:7], 0
	v_rcp_f32_e32 v4, v1
	v_fma_f32 v5, -v1, v4, 1.0
	v_fmac_f32_e32 v4, v5, v4
	v_mul_f32_e32 v5, v3, v4
	v_fma_f32 v6, -v1, v5, v3
	v_fmac_f32_e32 v5, v6, v4
	v_fma_f32 v1, -v1, v5, v3
	v_div_fmas_f32 v3, v1, v4, v5
	v_mov_b32_e32 v1, 0xf0
	v_lshl_add_u32 v1, v0, 2, v1
	v_div_fixup_f32 v2, v3, v2, 1.0
	v_mov_b32_e32 v3, v0
.LBB287_110:                            ; =>This Inner Loop Header: Depth=1
	ds_read_b32 v4, v1
	v_add_u32_e32 v3, 0x80, v3
	v_cmp_le_i32_e32 vcc, s34, v3
	s_or_b64 s[6:7], vcc, s[6:7]
	s_waitcnt lgkmcnt(0)
	v_mul_f32_e32 v4, v2, v4
	ds_write_b32 v1, v4
	v_add_u32_e32 v1, 0x200, v1
	s_andn2_b64 exec, exec, s[6:7]
	s_cbranch_execnz .LBB287_110
.LBB287_111:
	s_or_b64 exec, exec, s[4:5]
	v_mov_b32_e32 v12, 0
	v_mov_b32_e32 v11, v12
	;; [unrolled: 1-line block ×4, first 2 shown]
	s_waitcnt lgkmcnt(0)
	s_barrier
	s_and_saveexec_b64 s[6:7], s[2:3]
	s_cbranch_execz .LBB287_217
; %bb.112:
	s_ashr_i32 s2, s12, 31
	s_add_u32 s4, s30, s12
	s_addc_u32 s5, s31, s2
	v_or_b32_e32 v1, 64, v24
	s_movk_i32 s2, 0x70
	s_add_i32 s30, s33, -1
	s_load_dword s31, s[18:19], 0x0
	v_cmp_gt_u32_e32 vcc, s2, v1
	s_lshl_b64 s[2:3], s[28:29], 2
	v_lshlrev_b32_e32 v26, 3, v1
	v_mov_b32_e32 v1, 0xf0
	s_add_u32 s2, s26, s2
	v_lshl_add_u32 v28, v23, 5, v1
	v_and_b32_e32 v1, 60, v8
	s_addc_u32 s3, s27, s3
	v_mov_b32_e32 v11, v12
	s_mov_b32 s10, -1
	v_mov_b32_e32 v2, s3
	v_add_co_u32_e64 v13, s[2:3], s2, v1
	v_mov_b32_e32 v16, s5
	v_mov_b32_e32 v9, v11
	s_mov_b32 s34, s13
	s_mov_b32 s11, 0xffffff
	v_lshlrev_b32_e32 v25, 3, v24
	v_lshl_or_b32 v27, v23, 3, 7
	v_addc_co_u32_e64 v14, s[2:3], 0, v2, s[2:3]
	s_mov_b64 s[12:13], 0
	v_mov_b32_e32 v15, s4
	s_movk_i32 s28, 0x80
	s_movk_i32 s29, 0x7f
	s_movk_i32 s35, 0x7fff
	s_mov_b32 s36, 0x7060302
	v_bfrev_b32_e32 v29, 60
	v_mov_b32_e32 v10, v12
	s_branch .LBB287_115
.LBB287_113:                            ;   in Loop: Header=BB287_115 Depth=1
	s_or_b64 exec, exec, s[4:5]
	v_perm_b32 v5, v6, v5, s36
	v_perm_b32 v6, v8, v7, s36
	v_lshlrev_b32_e32 v8, 16, v5
	v_lshlrev_b32_e32 v19, 16, v32
	v_mul_f32_e32 v8, v8, v19
	v_and_b32_e32 v5, 0xffff0000, v5
	v_lshlrev_b32_e32 v18, 16, v18
	v_bfe_u32 v19, v8, 16, 1
	v_mul_f32_e32 v5, v5, v18
	v_perm_b32 v7, v21, v20, s36
	v_add3_u32 v19, v19, v8, s35
	v_or_b32_e32 v20, 0x400000, v8
	v_cmp_u_f32_e64 s[2:3], v8, v8
	v_bfe_u32 v18, v5, 16, 1
	v_cndmask_b32_e64 v8, v19, v20, s[2:3]
	v_add3_u32 v18, v18, v5, s35
	v_or_b32_e32 v19, 0x400000, v5
	v_cmp_u_f32_e64 s[2:3], v5, v5
	v_cndmask_b32_e64 v5, v18, v19, s[2:3]
	v_lshlrev_b32_e32 v18, 16, v6
	v_lshlrev_b32_e32 v19, 16, v31
	v_mul_f32_e32 v18, v18, v19
	v_and_b32_e32 v6, 0xffff0000, v6
	v_lshlrev_b32_e32 v3, 16, v3
	v_bfe_u32 v19, v18, 16, 1
	v_mul_f32_e32 v3, v6, v3
	v_add3_u32 v19, v19, v18, s35
	v_or_b32_e32 v20, 0x400000, v18
	v_cmp_u_f32_e64 s[2:3], v18, v18
	v_bfe_u32 v6, v3, 16, 1
	v_cndmask_b32_e64 v18, v19, v20, s[2:3]
	v_add3_u32 v6, v6, v3, s35
	v_or_b32_e32 v19, 0x400000, v3
	v_cmp_u_f32_e64 s[2:3], v3, v3
	v_cndmask_b32_e64 v3, v6, v19, s[2:3]
	v_lshlrev_b32_e32 v6, 16, v7
	v_lshlrev_b32_e32 v2, 16, v2
	v_mul_f32_e32 v2, v6, v2
	v_bfe_u32 v6, v2, 16, 1
	v_add3_u32 v6, v6, v2, s35
	v_or_b32_e32 v19, 0x400000, v2
	v_cmp_u_f32_e64 s[2:3], v2, v2
	v_cndmask_b32_e64 v2, v6, v19, s[2:3]
	v_and_b32_e32 v6, 0xffff0000, v7
	v_lshlrev_b32_e32 v1, 16, v1
	v_mul_f32_e32 v1, v6, v1
	v_bfe_u32 v6, v1, 16, 1
	v_perm_b32 v4, v4, v30, s36
	v_add3_u32 v6, v6, v1, s35
	v_or_b32_e32 v7, 0x400000, v1
	v_cmp_u_f32_e64 s[2:3], v1, v1
	v_cndmask_b32_e64 v1, v6, v7, s[2:3]
	v_lshlrev_b32_e32 v6, 16, v4
	v_lshlrev_b32_e32 v7, 16, v17
	v_mul_f32_e32 v6, v6, v7
	v_bfe_u32 v7, v6, 16, 1
	v_add3_u32 v7, v7, v6, s35
	v_or_b32_e32 v17, 0x400000, v6
	v_cmp_u_f32_e64 s[2:3], v6, v6
	v_cndmask_b32_e64 v6, v7, v17, s[2:3]
	v_and_b32_e32 v4, 0xffff0000, v4
	v_lshlrev_b32_e32 v7, 16, v11
	v_mul_f32_e32 v4, v4, v7
	v_bfe_u32 v7, v4, 16, 1
	v_add3_u32 v7, v7, v4, s35
	v_or_b32_e32 v11, 0x400000, v4
	v_cmp_u_f32_e64 s[2:3], v4, v4
	v_cndmask_b32_e64 v4, v7, v11, s[2:3]
	v_and_b32_e32 v5, 0xffff0000, v5
	v_and_b32_e32 v7, 0xffff0000, v8
	v_add_f32_e32 v5, v7, v5
	v_and_b32_e32 v3, 0xffff0000, v3
	v_and_b32_e32 v7, 0xffff0000, v18
	v_add_f32_e32 v3, v7, v3
	;; [unrolled: 3-line block ×3, first 2 shown]
	v_add_f32_e32 v1, v2, v1
	v_add_f32_e32 v1, v1, v3
	v_and_b32_e32 v2, 0xffff0000, v4
	v_and_b32_e32 v3, 0xffff0000, v6
	v_add_f32_e32 v2, v3, v2
	v_add_f32_e32 v1, v2, v1
	;; [unrolled: 1-line block ×3, first 2 shown]
.LBB287_114:                            ;   in Loop: Header=BB287_115 Depth=1
	s_or_b64 exec, exec, s[14:15]
	v_add_u32_e32 v23, 2, v23
	v_cmp_le_i32_e64 s[2:3], s33, v23
	s_or_b64 s[12:13], s[2:3], s[12:13]
	v_add_co_u32_e64 v13, s[2:3], 8, v13
	v_add_u32_e32 v27, 16, v27
	v_add_u32_e32 v28, 64, v28
	v_addc_co_u32_e64 v14, s[2:3], 0, v14, s[2:3]
	s_andn2_b64 exec, exec, s[12:13]
	s_cbranch_execz .LBB287_216
.LBB287_115:                            ; =>This Inner Loop Header: Depth=1
	global_load_dword v1, v[13:14], off
	v_mov_b32_e32 v30, 0
	s_waitcnt vmcnt(0)
	v_mad_i64_i32 v[17:18], s[2:3], v1, s34, v[15:16]
	v_add_co_u32_e64 v1, s[2:3], v17, v25
	v_addc_co_u32_e64 v2, s[2:3], 0, v18, s[2:3]
	global_load_dwordx2 v[19:20], v[1:2], off
	ds_read2_b64 v[5:8], v28 offset1:1
	ds_read2_b64 v[1:4], v28 offset0:2 offset1:3
	s_waitcnt vmcnt(0)
	v_cmp_ne_u16_sdwa s[2:3], v19, v12 src0_sel:BYTE_0 src1_sel:DWORD
	s_and_saveexec_b64 s[4:5], s[2:3]
	s_cbranch_execz .LBB287_121
; %bb.116:                              ;   in Loop: Header=BB287_115 Depth=1
	v_cmp_ne_u16_sdwa s[2:3], v19, s28 src0_sel:BYTE_0 src1_sel:DWORD
	v_bfrev_b32_e32 v30, 1
	s_and_saveexec_b64 s[14:15], s[2:3]
	s_cbranch_execz .LBB287_120
; %bb.117:                              ;   in Loop: Header=BB287_115 Depth=1
	v_and_b32_e32 v11, 0x7f, v19
	v_cmp_ne_u32_e64 s[2:3], s29, v11
	v_mov_b32_e32 v30, 0x7f800001
	s_and_saveexec_b64 s[16:17], s[2:3]
	s_cbranch_execz .LBB287_119
; %bb.118:                              ;   in Loop: Header=BB287_115 Depth=1
	v_and_b32_e32 v21, 7, v19
	v_ffbh_u32_e32 v21, v21
	v_min_u32_e32 v21, 32, v21
	v_lshrrev_b32_e32 v30, 3, v11
	v_subrev_u32_e32 v31, 28, v21
	v_sub_u32_e32 v21, 29, v21
	v_cmp_gt_u32_e64 s[2:3], 8, v11
	v_cndmask_b32_e64 v11, v30, v21, s[2:3]
	v_cndmask_b32_e64 v21, 0, v31, s[2:3]
	v_lshlrev_b64 v[30:31], v21, v[19:20]
	v_lshl_add_u32 v11, v11, 23, v29
	v_lshlrev_b32_e32 v21, 20, v30
	v_lshlrev_b32_e32 v30, 24, v19
	v_and_b32_e32 v21, 0x700000, v21
	v_and_b32_e32 v30, 0x80000000, v30
	v_or3_b32 v30, v30, v11, v21
.LBB287_119:                            ;   in Loop: Header=BB287_115 Depth=1
	s_or_b64 exec, exec, s[16:17]
.LBB287_120:                            ;   in Loop: Header=BB287_115 Depth=1
	s_or_b64 exec, exec, s[14:15]
.LBB287_121:                            ;   in Loop: Header=BB287_115 Depth=1
	s_or_b64 exec, exec, s[4:5]
	v_lshrrev_b16_e32 v11, 8, v19
	v_cmp_ne_u16_e64 s[2:3], 0, v11
	v_mov_b32_e32 v32, 0
	v_mov_b32_e32 v31, 0
	s_and_saveexec_b64 s[4:5], s[2:3]
	s_cbranch_execz .LBB287_127
; %bb.122:                              ;   in Loop: Header=BB287_115 Depth=1
	v_cmp_ne_u16_e64 s[2:3], s28, v11
	v_bfrev_b32_e32 v31, 1
	s_and_saveexec_b64 s[14:15], s[2:3]
	s_cbranch_execz .LBB287_126
; %bb.123:                              ;   in Loop: Header=BB287_115 Depth=1
	v_and_b32_e32 v21, 0x7f, v11
	v_cmp_ne_u32_e64 s[2:3], s29, v21
	v_mov_b32_e32 v31, 0x7f800001
	s_and_saveexec_b64 s[16:17], s[2:3]
	s_cbranch_execz .LBB287_125
; %bb.124:                              ;   in Loop: Header=BB287_115 Depth=1
	v_and_b32_e32 v31, 7, v11
	v_ffbh_u32_e32 v33, v31
	v_min_u32_e32 v36, 32, v33
	v_subrev_u32_e32 v33, 28, v36
	v_lshlrev_b64 v[33:34], v33, v[11:12]
	v_lshrrev_b32_e32 v35, 3, v21
	v_sub_u32_e32 v11, 29, v36
	v_and_b32_e32 v33, 7, v33
	v_cmp_gt_u32_e64 s[2:3], 8, v21
	v_cndmask_b32_e64 v11, v35, v11, s[2:3]
	v_cndmask_b32_e64 v21, v31, v33, s[2:3]
	v_lshlrev_b32_e32 v31, 16, v19
	v_lshlrev_b32_e32 v21, 20, v21
	v_and_b32_e32 v31, 0x80000000, v31
	v_lshl_add_u32 v11, v11, 23, v29
	v_or3_b32 v31, v31, v11, v21
.LBB287_125:                            ;   in Loop: Header=BB287_115 Depth=1
	s_or_b64 exec, exec, s[16:17]
.LBB287_126:                            ;   in Loop: Header=BB287_115 Depth=1
	s_or_b64 exec, exec, s[14:15]
.LBB287_127:                            ;   in Loop: Header=BB287_115 Depth=1
	s_or_b64 exec, exec, s[4:5]
	v_lshrrev_b32_e32 v11, 16, v19
	v_cmp_ne_u16_sdwa s[2:3], v11, v12 src0_sel:BYTE_0 src1_sel:DWORD
	s_and_saveexec_b64 s[4:5], s[2:3]
	s_cbranch_execz .LBB287_133
; %bb.128:                              ;   in Loop: Header=BB287_115 Depth=1
	v_cmp_ne_u16_sdwa s[2:3], v11, s28 src0_sel:BYTE_0 src1_sel:DWORD
	v_bfrev_b32_e32 v32, 1
	s_and_saveexec_b64 s[14:15], s[2:3]
	s_cbranch_execz .LBB287_132
; %bb.129:                              ;   in Loop: Header=BB287_115 Depth=1
	v_bfe_u32 v21, v19, 16, 7
	v_cmp_ne_u32_e64 s[2:3], s29, v21
	v_mov_b32_e32 v32, 0x7f800001
	s_and_saveexec_b64 s[16:17], s[2:3]
	s_cbranch_execz .LBB287_131
; %bb.130:                              ;   in Loop: Header=BB287_115 Depth=1
	v_and_b32_e32 v34, 7, v11
	v_ffbh_u32_e32 v32, v34
	v_min_u32_e32 v36, 32, v32
	v_subrev_u32_e32 v32, 28, v36
	v_lshlrev_b64 v[32:33], v32, v[11:12]
	v_lshrrev_b32_e32 v35, 3, v21
	v_sub_u32_e32 v33, 29, v36
	v_and_b32_e32 v32, 7, v32
	v_cmp_gt_u32_e64 s[2:3], 8, v21
	v_cndmask_b32_e64 v21, v35, v33, s[2:3]
	v_cndmask_b32_e64 v32, v34, v32, s[2:3]
	v_lshlrev_b32_e32 v11, 24, v11
	v_lshlrev_b32_e32 v32, 20, v32
	v_and_b32_e32 v11, 0x80000000, v11
	v_lshl_add_u32 v21, v21, 23, v29
	v_or3_b32 v32, v11, v21, v32
.LBB287_131:                            ;   in Loop: Header=BB287_115 Depth=1
	s_or_b64 exec, exec, s[16:17]
.LBB287_132:                            ;   in Loop: Header=BB287_115 Depth=1
	s_or_b64 exec, exec, s[14:15]
.LBB287_133:                            ;   in Loop: Header=BB287_115 Depth=1
	s_or_b64 exec, exec, s[4:5]
	v_cmp_lt_u32_e64 s[2:3], s11, v19
	v_mov_b32_e32 v34, 0
	v_mov_b32_e32 v33, 0
	s_and_saveexec_b64 s[4:5], s[2:3]
	s_cbranch_execz .LBB287_139
; %bb.134:                              ;   in Loop: Header=BB287_115 Depth=1
	v_lshrrev_b32_e32 v11, 24, v19
	v_cmp_ne_u32_e64 s[2:3], s28, v11
	v_bfrev_b32_e32 v33, 1
	s_and_saveexec_b64 s[14:15], s[2:3]
	s_cbranch_execz .LBB287_138
; %bb.135:                              ;   in Loop: Header=BB287_115 Depth=1
	v_bfe_u32 v21, v19, 24, 7
	v_cmp_ne_u32_e64 s[2:3], s29, v21
	v_mov_b32_e32 v33, 0x7f800001
	s_and_saveexec_b64 s[16:17], s[2:3]
	s_cbranch_execz .LBB287_137
; %bb.136:                              ;   in Loop: Header=BB287_115 Depth=1
	v_and_b32_e32 v33, 7, v11
	v_ffbh_u32_e32 v35, v33
	v_min_u32_e32 v38, 32, v35
	v_subrev_u32_e32 v35, 28, v38
	v_lshlrev_b64 v[35:36], v35, v[11:12]
	v_lshrrev_b32_e32 v37, 3, v21
	v_sub_u32_e32 v36, 29, v38
	v_and_b32_e32 v35, 7, v35
	v_cmp_gt_u32_e64 s[2:3], 8, v21
	v_cndmask_b32_e64 v21, v37, v36, s[2:3]
	v_cndmask_b32_e64 v33, v33, v35, s[2:3]
	v_lshlrev_b32_e32 v11, 24, v11
	v_lshlrev_b32_e32 v33, 20, v33
	v_and_b32_e32 v11, 0x80000000, v11
	v_lshl_add_u32 v21, v21, 23, v29
	v_or3_b32 v33, v11, v21, v33
.LBB287_137:                            ;   in Loop: Header=BB287_115 Depth=1
	s_or_b64 exec, exec, s[16:17]
.LBB287_138:                            ;   in Loop: Header=BB287_115 Depth=1
	s_or_b64 exec, exec, s[14:15]
.LBB287_139:                            ;   in Loop: Header=BB287_115 Depth=1
	s_or_b64 exec, exec, s[4:5]
	v_mov_b32_e32 v11, v20
	v_cmp_ne_u16_sdwa s[2:3], v20, v12 src0_sel:BYTE_0 src1_sel:DWORD
	s_and_saveexec_b64 s[4:5], s[2:3]
	s_cbranch_execz .LBB287_145
; %bb.140:                              ;   in Loop: Header=BB287_115 Depth=1
	v_cmp_ne_u16_sdwa s[2:3], v20, s28 src0_sel:BYTE_0 src1_sel:DWORD
	v_bfrev_b32_e32 v34, 1
	s_and_saveexec_b64 s[14:15], s[2:3]
	s_cbranch_execz .LBB287_144
; %bb.141:                              ;   in Loop: Header=BB287_115 Depth=1
	v_and_b32_e32 v21, 0x7f, v20
	v_cmp_ne_u32_e64 s[2:3], s29, v21
	v_mov_b32_e32 v34, 0x7f800001
	s_and_saveexec_b64 s[16:17], s[2:3]
	s_cbranch_execz .LBB287_143
; %bb.142:                              ;   in Loop: Header=BB287_115 Depth=1
	v_and_b32_e32 v34, 7, v20
	v_ffbh_u32_e32 v34, v34
	v_min_u32_e32 v34, 32, v34
	v_lshrrev_b32_e32 v35, 3, v21
	v_subrev_u32_e32 v36, 28, v34
	v_sub_u32_e32 v34, 29, v34
	v_cmp_gt_u32_e64 s[2:3], 8, v21
	v_cndmask_b32_e64 v21, v35, v34, s[2:3]
	v_cndmask_b32_e64 v34, 0, v36, s[2:3]
	v_lshlrev_b64 v[34:35], v34, v[11:12]
	v_lshlrev_b32_e32 v35, 24, v11
	v_lshlrev_b32_e32 v34, 20, v34
	v_and_b32_e32 v34, 0x700000, v34
	v_and_b32_e32 v35, 0x80000000, v35
	v_lshl_add_u32 v21, v21, 23, v29
	v_or3_b32 v34, v35, v21, v34
.LBB287_143:                            ;   in Loop: Header=BB287_115 Depth=1
	s_or_b64 exec, exec, s[16:17]
.LBB287_144:                            ;   in Loop: Header=BB287_115 Depth=1
	s_or_b64 exec, exec, s[14:15]
.LBB287_145:                            ;   in Loop: Header=BB287_115 Depth=1
	s_or_b64 exec, exec, s[4:5]
	v_lshrrev_b16_e32 v21, 8, v11
	v_cmp_ne_u16_e64 s[2:3], 0, v21
	v_mov_b32_e32 v35, 0
	v_mov_b32_e32 v36, 0
	s_and_saveexec_b64 s[4:5], s[2:3]
	s_cbranch_execz .LBB287_151
; %bb.146:                              ;   in Loop: Header=BB287_115 Depth=1
	v_cmp_ne_u16_e64 s[2:3], s28, v21
	v_bfrev_b32_e32 v36, 1
	s_and_saveexec_b64 s[14:15], s[2:3]
	s_cbranch_execz .LBB287_150
; %bb.147:                              ;   in Loop: Header=BB287_115 Depth=1
	v_and_b32_e32 v37, 0x7f, v21
	v_cmp_ne_u32_e64 s[2:3], s29, v37
	v_mov_b32_e32 v36, 0x7f800001
	s_and_saveexec_b64 s[16:17], s[2:3]
	s_cbranch_execz .LBB287_149
; %bb.148:                              ;   in Loop: Header=BB287_115 Depth=1
	v_and_b32_e32 v36, 7, v21
	v_ffbh_u32_e32 v38, v36
	v_min_u32_e32 v41, 32, v38
	v_subrev_u32_e32 v38, 28, v41
	v_lshlrev_b64 v[38:39], v38, v[21:22]
	v_lshrrev_b32_e32 v40, 3, v37
	v_sub_u32_e32 v21, 29, v41
	v_and_b32_e32 v38, 7, v38
	v_cmp_gt_u32_e64 s[2:3], 8, v37
	v_cndmask_b32_e64 v21, v40, v21, s[2:3]
	v_cndmask_b32_e64 v36, v36, v38, s[2:3]
	v_lshlrev_b32_e32 v11, 16, v11
	v_lshlrev_b32_e32 v36, 20, v36
	v_and_b32_e32 v11, 0x80000000, v11
	v_lshl_add_u32 v21, v21, 23, v29
	v_or3_b32 v36, v11, v21, v36
.LBB287_149:                            ;   in Loop: Header=BB287_115 Depth=1
	s_or_b64 exec, exec, s[16:17]
.LBB287_150:                            ;   in Loop: Header=BB287_115 Depth=1
	s_or_b64 exec, exec, s[14:15]
.LBB287_151:                            ;   in Loop: Header=BB287_115 Depth=1
	s_or_b64 exec, exec, s[4:5]
	v_lshrrev_b32_e32 v11, 16, v20
	v_cmp_ne_u16_sdwa s[2:3], v11, v12 src0_sel:BYTE_0 src1_sel:DWORD
	s_and_saveexec_b64 s[4:5], s[2:3]
	s_cbranch_execz .LBB287_157
; %bb.152:                              ;   in Loop: Header=BB287_115 Depth=1
	v_cmp_ne_u16_sdwa s[2:3], v11, s28 src0_sel:BYTE_0 src1_sel:DWORD
	v_bfrev_b32_e32 v35, 1
	s_and_saveexec_b64 s[14:15], s[2:3]
	s_cbranch_execz .LBB287_156
; %bb.153:                              ;   in Loop: Header=BB287_115 Depth=1
	v_bfe_u32 v21, v20, 16, 7
	v_cmp_ne_u32_e64 s[2:3], s29, v21
	v_mov_b32_e32 v35, 0x7f800001
	s_and_saveexec_b64 s[16:17], s[2:3]
	s_cbranch_execz .LBB287_155
; %bb.154:                              ;   in Loop: Header=BB287_115 Depth=1
	v_and_b32_e32 v35, 7, v11
	v_ffbh_u32_e32 v37, v35
	v_min_u32_e32 v40, 32, v37
	v_subrev_u32_e32 v37, 28, v40
	v_lshlrev_b64 v[37:38], v37, v[11:12]
	v_lshrrev_b32_e32 v39, 3, v21
	v_sub_u32_e32 v38, 29, v40
	v_and_b32_e32 v37, 7, v37
	v_cmp_gt_u32_e64 s[2:3], 8, v21
	v_cndmask_b32_e64 v21, v39, v38, s[2:3]
	v_cndmask_b32_e64 v35, v35, v37, s[2:3]
	v_lshlrev_b32_e32 v11, 24, v11
	v_lshlrev_b32_e32 v35, 20, v35
	v_and_b32_e32 v11, 0x80000000, v11
	v_lshl_add_u32 v21, v21, 23, v29
	v_or3_b32 v35, v11, v21, v35
.LBB287_155:                            ;   in Loop: Header=BB287_115 Depth=1
	s_or_b64 exec, exec, s[16:17]
.LBB287_156:                            ;   in Loop: Header=BB287_115 Depth=1
	s_or_b64 exec, exec, s[14:15]
.LBB287_157:                            ;   in Loop: Header=BB287_115 Depth=1
	s_or_b64 exec, exec, s[4:5]
	v_cmp_lt_u64_e64 s[2:3], s[10:11], v[19:20]
	v_mov_b32_e32 v21, 0
	s_and_saveexec_b64 s[4:5], s[2:3]
	s_cbranch_execz .LBB287_163
; %bb.158:                              ;   in Loop: Header=BB287_115 Depth=1
	v_lshrrev_b32_e32 v11, 24, v20
	v_cmp_ne_u32_e64 s[2:3], s28, v11
	v_bfrev_b32_e32 v21, 1
	s_and_saveexec_b64 s[14:15], s[2:3]
	s_cbranch_execz .LBB287_162
; %bb.159:                              ;   in Loop: Header=BB287_115 Depth=1
	v_bfe_u32 v19, v20, 24, 7
	v_cmp_ne_u32_e64 s[2:3], s29, v19
	v_mov_b32_e32 v21, 0x7f800001
	s_and_saveexec_b64 s[16:17], s[2:3]
	s_cbranch_execz .LBB287_161
; %bb.160:                              ;   in Loop: Header=BB287_115 Depth=1
	v_and_b32_e32 v37, 7, v11
	v_ffbh_u32_e32 v20, v37
	v_min_u32_e32 v39, 32, v20
	v_subrev_u32_e32 v20, 28, v39
	v_lshlrev_b64 v[20:21], v20, v[11:12]
	v_lshrrev_b32_e32 v38, 3, v19
	v_sub_u32_e32 v21, 29, v39
	v_and_b32_e32 v20, 7, v20
	v_cmp_gt_u32_e64 s[2:3], 8, v19
	v_cndmask_b32_e64 v19, v38, v21, s[2:3]
	v_cndmask_b32_e64 v20, v37, v20, s[2:3]
	v_lshlrev_b32_e32 v11, 24, v11
	v_lshlrev_b32_e32 v20, 20, v20
	v_and_b32_e32 v11, 0x80000000, v11
	v_lshl_add_u32 v19, v19, 23, v29
	v_or3_b32 v21, v11, v19, v20
.LBB287_161:                            ;   in Loop: Header=BB287_115 Depth=1
	s_or_b64 exec, exec, s[16:17]
.LBB287_162:                            ;   in Loop: Header=BB287_115 Depth=1
	s_or_b64 exec, exec, s[14:15]
.LBB287_163:                            ;   in Loop: Header=BB287_115 Depth=1
	s_or_b64 exec, exec, s[4:5]
	s_waitcnt lgkmcnt(0)
	v_mul_f32_e32 v11, s31, v36
	v_bfe_u32 v20, v11, 16, 1
	v_add3_u32 v20, v20, v11, s35
	v_or_b32_e32 v36, 0x400000, v11
	v_cmp_u_f32_e64 s[4:5], v11, v11
	v_cndmask_b32_e64 v11, v20, v36, s[4:5]
	v_mul_f32_e32 v20, s31, v34
	v_bfe_u32 v34, v20, 16, 1
	v_add3_u32 v34, v34, v20, s35
	v_or_b32_e32 v36, 0x400000, v20
	v_cmp_u_f32_e64 s[4:5], v20, v20
	v_cndmask_b32_e64 v20, v34, v36, s[4:5]
	v_lshrrev_b32_e32 v34, 16, v20
	v_mul_f32_e32 v20, s31, v33
	v_bfe_u32 v33, v20, 16, 1
	v_add3_u32 v33, v33, v20, s35
	v_or_b32_e32 v36, 0x400000, v20
	v_cmp_u_f32_e64 s[4:5], v20, v20
	v_cndmask_b32_e64 v20, v33, v36, s[4:5]
	v_lshrrev_b32_e32 v33, 16, v20
	;; [unrolled: 7-line block ×6, first 2 shown]
	v_mul_f32_e32 v20, s31, v21
	v_bfe_u32 v21, v20, 16, 1
	v_add3_u32 v21, v21, v20, s35
	v_or_b32_e32 v30, 0x400000, v20
	v_cmp_u_f32_e64 s[4:5], v20, v20
	v_cndmask_b32_e64 v20, v21, v30, s[4:5]
	v_add_u32_e32 v19, -7, v27
	v_cmp_eq_u32_e64 s[2:3], s30, v23
	v_lshrrev_b32_e32 v11, 16, v11
	v_lshrrev_b32_e32 v31, 16, v20
	s_and_saveexec_b64 s[14:15], s[2:3]
	s_cbranch_execz .LBB287_165
; %bb.164:                              ;   in Loop: Header=BB287_115 Depth=1
	v_cmp_gt_i32_e64 s[4:5], s21, v19
	v_add_u32_e32 v20, -6, v27
	v_cndmask_b32_e64 v38, 0, v38, s[4:5]
	v_cmp_gt_i32_e64 s[4:5], s21, v20
	v_add_u32_e32 v20, -5, v27
	v_cndmask_b32_e64 v37, 0, v37, s[4:5]
	v_cmp_gt_i32_e64 s[4:5], s21, v20
	v_add_u32_e32 v20, -4, v27
	v_cndmask_b32_e64 v36, 0, v36, s[4:5]
	v_cmp_gt_i32_e64 s[4:5], s21, v20
	v_add_u32_e32 v20, -3, v27
	v_cndmask_b32_e64 v33, 0, v33, s[4:5]
	v_cmp_gt_i32_e64 s[4:5], s21, v20
	v_add_u32_e32 v20, -2, v27
	v_cndmask_b32_e64 v34, 0, v34, s[4:5]
	v_cmp_gt_i32_e64 s[4:5], s21, v20
	v_add_u32_e32 v20, -1, v27
	v_cndmask_b32_e64 v11, 0, v11, s[4:5]
	v_cmp_gt_i32_e64 s[4:5], s21, v20
	v_cndmask_b32_e64 v32, 0, v32, s[4:5]
	v_cmp_gt_i32_e64 s[4:5], s21, v27
	v_cndmask_b32_e64 v31, 0, v31, s[4:5]
.LBB287_165:                            ;   in Loop: Header=BB287_115 Depth=1
	s_or_b64 exec, exec, s[14:15]
	v_bfe_u32 v20, v5, 16, 1
	v_add3_u32 v20, v20, v5, s35
	v_or_b32_e32 v21, 0x400000, v5
	v_cmp_u_f32_e64 s[4:5], v5, v5
	v_cndmask_b32_e64 v5, v20, v21, s[4:5]
	v_bfe_u32 v20, v6, 16, 1
	v_add3_u32 v20, v20, v6, s35
	v_or_b32_e32 v21, 0x400000, v6
	v_cmp_u_f32_e64 s[4:5], v6, v6
	v_cndmask_b32_e64 v6, v20, v21, s[4:5]
	;; [unrolled: 5-line block ×4, first 2 shown]
	v_bfe_u32 v20, v1, 16, 1
	v_add3_u32 v20, v20, v1, s35
	v_or_b32_e32 v21, 0x400000, v1
	v_cmp_u_f32_e64 s[4:5], v1, v1
	v_bfe_u32 v1, v2, 16, 1
	v_cndmask_b32_e64 v20, v20, v21, s[4:5]
	v_add3_u32 v1, v1, v2, s35
	v_or_b32_e32 v21, 0x400000, v2
	v_cmp_u_f32_e64 s[4:5], v2, v2
	v_cndmask_b32_e64 v21, v1, v21, s[4:5]
	v_bfe_u32 v1, v3, 16, 1
	v_add3_u32 v1, v1, v3, s35
	v_or_b32_e32 v2, 0x400000, v3
	v_cmp_u_f32_e64 s[4:5], v3, v3
	v_cndmask_b32_e64 v30, v1, v2, s[4:5]
	v_bfe_u32 v1, v4, 16, 1
	v_add3_u32 v1, v1, v4, s35
	v_or_b32_e32 v2, 0x400000, v4
	v_cmp_u_f32_e64 s[4:5], v4, v4
	v_cndmask_b32_e64 v4, v1, v2, s[4:5]
	v_and_b32_e32 v1, 0xffff0000, v5
	v_lshlrev_b32_e32 v2, 16, v38
	v_mul_f32_e32 v1, v1, v2
	v_bfe_u32 v2, v1, 16, 1
	v_add3_u32 v2, v2, v1, s35
	v_or_b32_e32 v3, 0x400000, v1
	v_cmp_u_f32_e64 s[4:5], v1, v1
	v_cndmask_b32_e64 v1, v2, v3, s[4:5]
	v_and_b32_e32 v2, 0xffff0000, v6
	v_lshlrev_b32_e32 v3, 16, v37
	v_mul_f32_e32 v2, v2, v3
	;; [unrolled: 8-line block ×7, first 2 shown]
	v_bfe_u32 v35, v32, 16, 1
	v_add3_u32 v35, v35, v32, s35
	v_or_b32_e32 v36, 0x400000, v32
	v_cmp_u_f32_e64 s[4:5], v32, v32
	v_cndmask_b32_e64 v32, v35, v36, s[4:5]
	v_and_b32_e32 v35, 0xffff0000, v4
	v_lshlrev_b32_e32 v31, 16, v31
	v_and_b32_e32 v2, 0xffff0000, v2
	v_and_b32_e32 v1, 0xffff0000, v1
	v_mul_f32_e32 v31, v35, v31
	v_add_f32_e32 v1, v1, v2
	v_and_b32_e32 v2, 0xffff0000, v33
	v_and_b32_e32 v3, 0xffff0000, v3
	v_bfe_u32 v35, v31, 16, 1
	v_add_f32_e32 v2, v3, v2
	v_add3_u32 v35, v35, v31, s35
	v_or_b32_e32 v36, 0x400000, v31
	v_cmp_u_f32_e64 s[4:5], v31, v31
	v_add_f32_e32 v1, v2, v1
	v_and_b32_e32 v2, 0xffff0000, v11
	v_and_b32_e32 v3, 0xffff0000, v34
	v_cndmask_b32_e64 v31, v35, v36, s[4:5]
	v_add_f32_e32 v2, v3, v2
	v_add_f32_e32 v1, v2, v1
	v_and_b32_e32 v2, 0xffff0000, v31
	v_and_b32_e32 v3, 0xffff0000, v32
	v_add_f32_e32 v2, v3, v2
	v_add_f32_e32 v1, v2, v1
	;; [unrolled: 1-line block ×3, first 2 shown]
	s_and_saveexec_b64 s[14:15], vcc
	s_cbranch_execz .LBB287_114
; %bb.166:                              ;   in Loop: Header=BB287_115 Depth=1
	v_add_co_u32_e64 v1, s[4:5], v17, v26
	v_addc_co_u32_e64 v2, s[4:5], 0, v18, s[4:5]
	global_load_dwordx2 v[1:2], v[1:2], off
	v_mov_b32_e32 v18, 0
	v_mov_b32_e32 v17, 0
	s_waitcnt vmcnt(0)
	v_cmp_ne_u16_sdwa s[4:5], v1, v12 src0_sel:BYTE_0 src1_sel:DWORD
	s_and_saveexec_b64 s[16:17], s[4:5]
	s_cbranch_execz .LBB287_172
; %bb.167:                              ;   in Loop: Header=BB287_115 Depth=1
	v_cmp_ne_u16_sdwa s[4:5], v1, s28 src0_sel:BYTE_0 src1_sel:DWORD
	v_bfrev_b32_e32 v17, 1
	s_and_saveexec_b64 s[18:19], s[4:5]
	s_cbranch_execz .LBB287_171
; %bb.168:                              ;   in Loop: Header=BB287_115 Depth=1
	v_and_b32_e32 v3, 0x7f, v1
	v_cmp_ne_u32_e64 s[4:5], s29, v3
	v_mov_b32_e32 v17, 0x7f800001
	s_and_saveexec_b64 s[26:27], s[4:5]
	s_cbranch_execz .LBB287_170
; %bb.169:                              ;   in Loop: Header=BB287_115 Depth=1
	v_and_b32_e32 v11, 7, v1
	v_ffbh_u32_e32 v11, v11
	v_min_u32_e32 v11, 32, v11
	v_lshrrev_b32_e32 v17, 3, v3
	v_subrev_u32_e32 v31, 28, v11
	v_sub_u32_e32 v11, 29, v11
	v_cmp_gt_u32_e64 s[4:5], 8, v3
	v_cndmask_b32_e64 v3, v17, v11, s[4:5]
	v_cndmask_b32_e64 v11, 0, v31, s[4:5]
	v_lshlrev_b64 v[31:32], v11, v[1:2]
	v_lshlrev_b32_e32 v17, 24, v1
	v_lshlrev_b32_e32 v11, 20, v31
	v_and_b32_e32 v11, 0x700000, v11
	v_and_b32_e32 v17, 0x80000000, v17
	v_lshl_add_u32 v3, v3, 23, v29
	v_or3_b32 v17, v17, v3, v11
.LBB287_170:                            ;   in Loop: Header=BB287_115 Depth=1
	s_or_b64 exec, exec, s[26:27]
.LBB287_171:                            ;   in Loop: Header=BB287_115 Depth=1
	s_or_b64 exec, exec, s[18:19]
.LBB287_172:                            ;   in Loop: Header=BB287_115 Depth=1
	s_or_b64 exec, exec, s[16:17]
	v_lshrrev_b16_e32 v3, 8, v1
	v_cmp_ne_u16_e64 s[4:5], 0, v3
	s_and_saveexec_b64 s[16:17], s[4:5]
	s_cbranch_execz .LBB287_178
; %bb.173:                              ;   in Loop: Header=BB287_115 Depth=1
	v_cmp_ne_u16_e64 s[4:5], s28, v3
	v_bfrev_b32_e32 v18, 1
	s_and_saveexec_b64 s[18:19], s[4:5]
	s_cbranch_execz .LBB287_177
; %bb.174:                              ;   in Loop: Header=BB287_115 Depth=1
	v_and_b32_e32 v11, 0x7f, v3
	v_cmp_ne_u32_e64 s[4:5], s29, v11
	v_mov_b32_e32 v18, 0x7f800001
	s_and_saveexec_b64 s[26:27], s[4:5]
	s_cbranch_execz .LBB287_176
; %bb.175:                              ;   in Loop: Header=BB287_115 Depth=1
	v_and_b32_e32 v18, 7, v3
	v_ffbh_u32_e32 v31, v18
	v_min_u32_e32 v34, 32, v31
	v_subrev_u32_e32 v31, 28, v34
	v_lshlrev_b64 v[31:32], v31, v[3:4]
	v_lshrrev_b32_e32 v33, 3, v11
	v_sub_u32_e32 v3, 29, v34
	v_and_b32_e32 v31, 7, v31
	v_cmp_gt_u32_e64 s[4:5], 8, v11
	v_cndmask_b32_e64 v3, v33, v3, s[4:5]
	v_cndmask_b32_e64 v11, v18, v31, s[4:5]
	v_lshlrev_b32_e32 v18, 16, v1
	v_lshlrev_b32_e32 v11, 20, v11
	v_and_b32_e32 v18, 0x80000000, v18
	v_lshl_add_u32 v3, v3, 23, v29
	v_or3_b32 v18, v18, v3, v11
.LBB287_176:                            ;   in Loop: Header=BB287_115 Depth=1
	s_or_b64 exec, exec, s[26:27]
.LBB287_177:                            ;   in Loop: Header=BB287_115 Depth=1
	s_or_b64 exec, exec, s[18:19]
.LBB287_178:                            ;   in Loop: Header=BB287_115 Depth=1
	s_or_b64 exec, exec, s[16:17]
	v_lshrrev_b32_e32 v3, 16, v1
	v_cmp_ne_u16_sdwa s[4:5], v3, v12 src0_sel:BYTE_0 src1_sel:DWORD
	v_mov_b32_e32 v32, 0
	v_mov_b32_e32 v31, 0
	s_and_saveexec_b64 s[16:17], s[4:5]
	s_cbranch_execz .LBB287_184
; %bb.179:                              ;   in Loop: Header=BB287_115 Depth=1
	v_cmp_ne_u16_sdwa s[4:5], v3, s28 src0_sel:BYTE_0 src1_sel:DWORD
	v_bfrev_b32_e32 v31, 1
	s_and_saveexec_b64 s[18:19], s[4:5]
	s_cbranch_execz .LBB287_183
; %bb.180:                              ;   in Loop: Header=BB287_115 Depth=1
	v_bfe_u32 v11, v1, 16, 7
	v_cmp_ne_u32_e64 s[4:5], s29, v11
	v_mov_b32_e32 v31, 0x7f800001
	s_and_saveexec_b64 s[26:27], s[4:5]
	s_cbranch_execz .LBB287_182
; %bb.181:                              ;   in Loop: Header=BB287_115 Depth=1
	v_and_b32_e32 v31, 7, v3
	v_ffbh_u32_e32 v33, v31
	v_min_u32_e32 v36, 32, v33
	v_subrev_u32_e32 v33, 28, v36
	v_lshlrev_b64 v[33:34], v33, v[3:4]
	v_lshrrev_b32_e32 v35, 3, v11
	v_sub_u32_e32 v34, 29, v36
	v_and_b32_e32 v33, 7, v33
	v_cmp_gt_u32_e64 s[4:5], 8, v11
	v_cndmask_b32_e64 v11, v35, v34, s[4:5]
	v_cndmask_b32_e64 v31, v31, v33, s[4:5]
	v_lshlrev_b32_e32 v3, 24, v3
	v_lshlrev_b32_e32 v31, 20, v31
	v_and_b32_e32 v3, 0x80000000, v3
	v_lshl_add_u32 v11, v11, 23, v29
	v_or3_b32 v31, v3, v11, v31
.LBB287_182:                            ;   in Loop: Header=BB287_115 Depth=1
	s_or_b64 exec, exec, s[26:27]
.LBB287_183:                            ;   in Loop: Header=BB287_115 Depth=1
	s_or_b64 exec, exec, s[18:19]
.LBB287_184:                            ;   in Loop: Header=BB287_115 Depth=1
	s_or_b64 exec, exec, s[16:17]
	v_cmp_lt_u32_e64 s[4:5], s11, v1
	s_and_saveexec_b64 s[16:17], s[4:5]
	s_cbranch_execz .LBB287_190
; %bb.185:                              ;   in Loop: Header=BB287_115 Depth=1
	v_lshrrev_b32_e32 v3, 24, v1
	v_cmp_ne_u32_e64 s[4:5], s28, v3
	v_bfrev_b32_e32 v32, 1
	s_and_saveexec_b64 s[18:19], s[4:5]
	s_cbranch_execz .LBB287_189
; %bb.186:                              ;   in Loop: Header=BB287_115 Depth=1
	v_bfe_u32 v11, v1, 24, 7
	v_cmp_ne_u32_e64 s[4:5], s29, v11
	v_mov_b32_e32 v32, 0x7f800001
	s_and_saveexec_b64 s[26:27], s[4:5]
	s_cbranch_execz .LBB287_188
; %bb.187:                              ;   in Loop: Header=BB287_115 Depth=1
	v_and_b32_e32 v34, 7, v3
	v_ffbh_u32_e32 v32, v34
	v_min_u32_e32 v36, 32, v32
	v_subrev_u32_e32 v32, 28, v36
	v_lshlrev_b64 v[32:33], v32, v[3:4]
	v_lshrrev_b32_e32 v35, 3, v11
	v_sub_u32_e32 v33, 29, v36
	v_and_b32_e32 v32, 7, v32
	v_cmp_gt_u32_e64 s[4:5], 8, v11
	v_cndmask_b32_e64 v11, v35, v33, s[4:5]
	v_cndmask_b32_e64 v32, v34, v32, s[4:5]
	v_lshlrev_b32_e32 v3, 24, v3
	v_lshlrev_b32_e32 v32, 20, v32
	v_and_b32_e32 v3, 0x80000000, v3
	v_lshl_add_u32 v11, v11, 23, v29
	v_or3_b32 v32, v3, v11, v32
.LBB287_188:                            ;   in Loop: Header=BB287_115 Depth=1
	s_or_b64 exec, exec, s[26:27]
.LBB287_189:                            ;   in Loop: Header=BB287_115 Depth=1
	s_or_b64 exec, exec, s[18:19]
.LBB287_190:                            ;   in Loop: Header=BB287_115 Depth=1
	s_or_b64 exec, exec, s[16:17]
	v_mov_b32_e32 v11, v2
	v_cmp_ne_u16_sdwa s[4:5], v2, v12 src0_sel:BYTE_0 src1_sel:DWORD
	v_mov_b32_e32 v34, 0
	v_mov_b32_e32 v33, 0
	s_and_saveexec_b64 s[16:17], s[4:5]
	s_cbranch_execz .LBB287_196
; %bb.191:                              ;   in Loop: Header=BB287_115 Depth=1
	v_cmp_ne_u16_sdwa s[4:5], v2, s28 src0_sel:BYTE_0 src1_sel:DWORD
	v_bfrev_b32_e32 v33, 1
	s_and_saveexec_b64 s[18:19], s[4:5]
	s_cbranch_execz .LBB287_195
; %bb.192:                              ;   in Loop: Header=BB287_115 Depth=1
	v_and_b32_e32 v3, 0x7f, v2
	v_cmp_ne_u32_e64 s[4:5], s29, v3
	v_mov_b32_e32 v33, 0x7f800001
	s_and_saveexec_b64 s[26:27], s[4:5]
	s_cbranch_execz .LBB287_194
; %bb.193:                              ;   in Loop: Header=BB287_115 Depth=1
	v_and_b32_e32 v33, 7, v2
	v_ffbh_u32_e32 v33, v33
	v_min_u32_e32 v33, 32, v33
	v_lshrrev_b32_e32 v35, 3, v3
	v_subrev_u32_e32 v36, 28, v33
	v_sub_u32_e32 v33, 29, v33
	v_cmp_gt_u32_e64 s[4:5], 8, v3
	v_cndmask_b32_e64 v3, v35, v33, s[4:5]
	v_cndmask_b32_e64 v33, 0, v36, s[4:5]
	v_lshlrev_b64 v[35:36], v33, v[11:12]
	v_lshl_add_u32 v3, v3, 23, v29
	v_lshlrev_b32_e32 v33, 20, v35
	v_lshlrev_b32_e32 v35, 24, v11
	v_and_b32_e32 v33, 0x700000, v33
	v_and_b32_e32 v35, 0x80000000, v35
	v_or3_b32 v33, v35, v3, v33
.LBB287_194:                            ;   in Loop: Header=BB287_115 Depth=1
	s_or_b64 exec, exec, s[26:27]
.LBB287_195:                            ;   in Loop: Header=BB287_115 Depth=1
	s_or_b64 exec, exec, s[18:19]
.LBB287_196:                            ;   in Loop: Header=BB287_115 Depth=1
	s_or_b64 exec, exec, s[16:17]
	v_lshrrev_b16_e32 v3, 8, v11
	v_cmp_ne_u16_e64 s[4:5], 0, v3
	s_and_saveexec_b64 s[16:17], s[4:5]
	s_cbranch_execz .LBB287_202
; %bb.197:                              ;   in Loop: Header=BB287_115 Depth=1
	v_cmp_ne_u16_e64 s[4:5], s28, v3
	v_bfrev_b32_e32 v34, 1
	s_and_saveexec_b64 s[18:19], s[4:5]
	s_cbranch_execz .LBB287_201
; %bb.198:                              ;   in Loop: Header=BB287_115 Depth=1
	v_and_b32_e32 v35, 0x7f, v3
	v_cmp_ne_u32_e64 s[4:5], s29, v35
	v_mov_b32_e32 v34, 0x7f800001
	s_and_saveexec_b64 s[26:27], s[4:5]
	s_cbranch_execz .LBB287_200
; %bb.199:                              ;   in Loop: Header=BB287_115 Depth=1
	v_and_b32_e32 v34, 7, v3
	v_ffbh_u32_e32 v36, v34
	v_min_u32_e32 v39, 32, v36
	v_subrev_u32_e32 v36, 28, v39
	v_lshlrev_b64 v[36:37], v36, v[3:4]
	v_lshrrev_b32_e32 v38, 3, v35
	v_sub_u32_e32 v3, 29, v39
	v_and_b32_e32 v36, 7, v36
	v_cmp_gt_u32_e64 s[4:5], 8, v35
	v_cndmask_b32_e64 v3, v38, v3, s[4:5]
	v_cndmask_b32_e64 v34, v34, v36, s[4:5]
	v_lshlrev_b32_e32 v11, 16, v11
	v_lshlrev_b32_e32 v34, 20, v34
	v_and_b32_e32 v11, 0x80000000, v11
	v_lshl_add_u32 v3, v3, 23, v29
	v_or3_b32 v34, v11, v3, v34
.LBB287_200:                            ;   in Loop: Header=BB287_115 Depth=1
	s_or_b64 exec, exec, s[26:27]
.LBB287_201:                            ;   in Loop: Header=BB287_115 Depth=1
	s_or_b64 exec, exec, s[18:19]
.LBB287_202:                            ;   in Loop: Header=BB287_115 Depth=1
	s_or_b64 exec, exec, s[16:17]
	v_lshrrev_b32_e32 v3, 16, v2
	v_cmp_ne_u16_sdwa s[4:5], v3, v12 src0_sel:BYTE_0 src1_sel:DWORD
	v_mov_b32_e32 v11, 0
	v_mov_b32_e32 v35, 0
	s_and_saveexec_b64 s[16:17], s[4:5]
	s_cbranch_execz .LBB287_208
; %bb.203:                              ;   in Loop: Header=BB287_115 Depth=1
	v_cmp_ne_u16_sdwa s[4:5], v3, s28 src0_sel:BYTE_0 src1_sel:DWORD
	v_bfrev_b32_e32 v35, 1
	s_and_saveexec_b64 s[18:19], s[4:5]
	s_cbranch_execz .LBB287_207
; %bb.204:                              ;   in Loop: Header=BB287_115 Depth=1
	v_bfe_u32 v36, v2, 16, 7
	v_cmp_ne_u32_e64 s[4:5], s29, v36
	v_mov_b32_e32 v35, 0x7f800001
	s_and_saveexec_b64 s[26:27], s[4:5]
	s_cbranch_execz .LBB287_206
; %bb.205:                              ;   in Loop: Header=BB287_115 Depth=1
	v_and_b32_e32 v35, 7, v3
	v_ffbh_u32_e32 v37, v35
	v_min_u32_e32 v40, 32, v37
	v_subrev_u32_e32 v37, 28, v40
	v_lshlrev_b64 v[37:38], v37, v[3:4]
	v_lshrrev_b32_e32 v39, 3, v36
	v_sub_u32_e32 v38, 29, v40
	v_and_b32_e32 v37, 7, v37
	v_cmp_gt_u32_e64 s[4:5], 8, v36
	v_cndmask_b32_e64 v36, v39, v38, s[4:5]
	v_cndmask_b32_e64 v35, v35, v37, s[4:5]
	v_lshlrev_b32_e32 v3, 24, v3
	v_lshlrev_b32_e32 v35, 20, v35
	v_and_b32_e32 v3, 0x80000000, v3
	v_lshl_add_u32 v36, v36, 23, v29
	v_or3_b32 v35, v3, v36, v35
.LBB287_206:                            ;   in Loop: Header=BB287_115 Depth=1
	s_or_b64 exec, exec, s[26:27]
.LBB287_207:                            ;   in Loop: Header=BB287_115 Depth=1
	s_or_b64 exec, exec, s[18:19]
.LBB287_208:                            ;   in Loop: Header=BB287_115 Depth=1
	s_or_b64 exec, exec, s[16:17]
	v_cmp_lt_u64_e64 s[4:5], s[10:11], v[1:2]
	s_and_saveexec_b64 s[16:17], s[4:5]
	s_cbranch_execz .LBB287_214
; %bb.209:                              ;   in Loop: Header=BB287_115 Depth=1
	v_lshrrev_b32_e32 v1, 24, v2
	v_cmp_ne_u32_e64 s[4:5], s28, v1
	v_bfrev_b32_e32 v11, 1
	s_and_saveexec_b64 s[18:19], s[4:5]
	s_cbranch_execz .LBB287_213
; %bb.210:                              ;   in Loop: Header=BB287_115 Depth=1
	v_bfe_u32 v2, v2, 24, 7
	v_cmp_ne_u32_e64 s[4:5], s29, v2
	v_mov_b32_e32 v11, 0x7f800001
	s_and_saveexec_b64 s[26:27], s[4:5]
	s_cbranch_execz .LBB287_212
; %bb.211:                              ;   in Loop: Header=BB287_115 Depth=1
	v_and_b32_e32 v3, 7, v1
	v_ffbh_u32_e32 v36, v3
	v_min_u32_e32 v38, 32, v36
	v_subrev_u32_e32 v36, 28, v38
	v_lshlrev_b64 v[36:37], v36, v[1:2]
	v_lshrrev_b32_e32 v11, 3, v2
	v_sub_u32_e32 v37, 29, v38
	v_and_b32_e32 v36, 7, v36
	v_cmp_gt_u32_e64 s[4:5], 8, v2
	v_cndmask_b32_e64 v2, v11, v37, s[4:5]
	v_cndmask_b32_e64 v3, v3, v36, s[4:5]
	v_lshlrev_b32_e32 v1, 24, v1
	v_lshlrev_b32_e32 v3, 20, v3
	v_and_b32_e32 v1, 0x80000000, v1
	v_lshl_add_u32 v2, v2, 23, v29
	v_or3_b32 v11, v1, v2, v3
.LBB287_212:                            ;   in Loop: Header=BB287_115 Depth=1
	s_or_b64 exec, exec, s[26:27]
.LBB287_213:                            ;   in Loop: Header=BB287_115 Depth=1
	s_or_b64 exec, exec, s[18:19]
.LBB287_214:                            ;   in Loop: Header=BB287_115 Depth=1
	s_or_b64 exec, exec, s[16:17]
	v_mul_f32_e32 v1, s31, v34
	v_bfe_u32 v2, v1, 16, 1
	v_add3_u32 v2, v2, v1, s35
	v_or_b32_e32 v3, 0x400000, v1
	v_cmp_u_f32_e64 s[4:5], v1, v1
	v_cndmask_b32_e64 v1, v2, v3, s[4:5]
	v_mul_f32_e32 v2, s31, v33
	v_bfe_u32 v3, v2, 16, 1
	v_add3_u32 v3, v3, v2, s35
	v_or_b32_e32 v33, 0x400000, v2
	v_cmp_u_f32_e64 s[4:5], v2, v2
	v_cndmask_b32_e64 v2, v3, v33, s[4:5]
	v_mul_f32_e32 v3, s31, v32
	v_bfe_u32 v32, v3, 16, 1
	v_add3_u32 v32, v32, v3, s35
	v_or_b32_e32 v33, 0x400000, v3
	v_cmp_u_f32_e64 s[4:5], v3, v3
	v_mul_f32_e32 v31, s31, v31
	v_cndmask_b32_e64 v3, v32, v33, s[4:5]
	v_bfe_u32 v32, v31, 16, 1
	v_add3_u32 v32, v32, v31, s35
	v_or_b32_e32 v33, 0x400000, v31
	v_cmp_u_f32_e64 s[4:5], v31, v31
	v_mul_f32_e32 v18, s31, v18
	v_cndmask_b32_e64 v31, v32, v33, s[4:5]
	;; [unrolled: 6-line block ×3, first 2 shown]
	v_bfe_u32 v32, v17, 16, 1
	v_add3_u32 v32, v32, v17, s35
	v_or_b32_e32 v33, 0x400000, v17
	v_cmp_u_f32_e64 s[4:5], v17, v17
	v_cndmask_b32_e64 v17, v32, v33, s[4:5]
	v_lshrrev_b32_e32 v32, 16, v17
	v_mul_f32_e32 v17, s31, v35
	v_bfe_u32 v33, v17, 16, 1
	v_add3_u32 v33, v33, v17, s35
	v_or_b32_e32 v34, 0x400000, v17
	v_cmp_u_f32_e64 s[4:5], v17, v17
	v_mul_f32_e32 v11, s31, v11
	v_cndmask_b32_e64 v17, v33, v34, s[4:5]
	v_bfe_u32 v33, v11, 16, 1
	v_add3_u32 v33, v33, v11, s35
	v_or_b32_e32 v34, 0x400000, v11
	v_cmp_u_f32_e64 s[4:5], v11, v11
	v_cndmask_b32_e64 v11, v33, v34, s[4:5]
	v_lshrrev_b32_e32 v1, 16, v1
	v_lshrrev_b32_e32 v2, 16, v2
	;; [unrolled: 1-line block ×7, first 2 shown]
	s_and_saveexec_b64 s[4:5], s[2:3]
	s_cbranch_execz .LBB287_113
; %bb.215:                              ;   in Loop: Header=BB287_115 Depth=1
	v_cmp_gt_i32_e64 s[2:3], s21, v19
	v_add_u32_e32 v19, -6, v27
	v_cndmask_b32_e64 v32, 0, v32, s[2:3]
	v_cmp_gt_i32_e64 s[2:3], s21, v19
	v_add_u32_e32 v19, -5, v27
	v_cndmask_b32_e64 v18, 0, v18, s[2:3]
	;; [unrolled: 3-line block ×6, first 2 shown]
	v_cmp_gt_i32_e64 s[2:3], s21, v19
	v_cndmask_b32_e64 v17, 0, v17, s[2:3]
	v_cmp_gt_i32_e64 s[2:3], s21, v27
	v_cndmask_b32_e64 v11, 0, v11, s[2:3]
	s_branch .LBB287_113
.LBB287_216:
	s_or_b64 exec, exec, s[12:13]
.LBB287_217:
	s_or_b64 exec, exec, s[6:7]
	v_and_b32_e32 v1, 0x3c0, v0
	v_cmp_eq_u32_e32 vcc, 64, v1
	s_barrier
	s_and_saveexec_b64 s[2:3], vcc
	s_cbranch_execz .LBB287_220
; %bb.218:
	v_mov_b32_e32 v1, 0xf0
	v_lshl_add_u32 v2, v24, 2, v1
	ds_write_b32 v2, v9
	s_and_b64 exec, exec, s[0:1]
; %bb.219:
	v_lshl_add_u32 v1, v0, 2, v1
	ds_write_b32 v1, v10
.LBB287_220:
	s_or_b64 exec, exec, s[2:3]
	v_cmp_gt_u32_e32 vcc, 64, v0
	v_or_b32_e32 v1, 64, v0
	s_waitcnt lgkmcnt(0)
	s_barrier
	s_and_saveexec_b64 s[2:3], vcc
	s_cbranch_execz .LBB287_224
; %bb.221:
	v_mov_b32_e32 v2, 0xf0
	v_lshl_add_u32 v0, v0, 2, v2
	ds_read_b32 v2, v0
	s_movk_i32 s0, 0x70
	v_cmp_gt_u32_e64 s[0:1], s0, v1
	s_waitcnt lgkmcnt(0)
	v_add_f32_e32 v9, v9, v2
	s_and_saveexec_b64 s[4:5], s[0:1]
	s_cbranch_execz .LBB287_223
; %bb.222:
	ds_read_b32 v0, v0 offset:256
	s_waitcnt lgkmcnt(0)
	v_add_f32_e32 v10, v10, v0
.LBB287_223:
	s_or_b64 exec, exec, s[4:5]
.LBB287_224:
	s_or_b64 exec, exec, s[2:3]
	s_barrier
	s_and_saveexec_b64 s[0:1], vcc
	s_cbranch_execz .LBB287_227
; %bb.225:
	s_mul_i32 s0, s20, s23
	s_mul_i32 s0, s0, s9
	s_mulk_i32 s0, 0x70
	s_ashr_i32 s1, s0, 31
	s_lshl_b64 s[0:1], s[0:1], 1
	s_add_u32 s2, s24, s0
	s_mul_i32 s0, s23, s22
	s_addc_u32 s4, s25, s1
	s_ashr_i32 s1, s0, 31
	s_lshl_b64 s[0:1], s[0:1], 1
	s_add_u32 s2, s2, s0
	s_mul_i32 s0, s8, 0x70
	s_addc_u32 s4, s4, s1
	s_ashr_i32 s1, s0, 31
	s_lshl_b64 s[0:1], s[0:1], 1
	s_add_u32 s0, s2, s0
	v_bfe_u32 v0, v9, 16, 1
	s_movk_i32 s2, 0x7fff
	s_movk_i32 s3, 0x70
	v_add3_u32 v0, v0, v9, s2
	v_or_b32_e32 v2, 0x400000, v9
	v_cmp_u_f32_e32 vcc, v9, v9
	s_addc_u32 s1, s4, s1
	v_cndmask_b32_e32 v0, v0, v2, vcc
	v_cmp_gt_u32_e32 vcc, s3, v1
	global_store_short_d16_hi v22, v0, s[0:1]
	s_and_b64 exec, exec, vcc
	s_cbranch_execz .LBB287_227
; %bb.226:
	v_mov_b32_e32 v1, s1
	v_add_co_u32_e32 v0, vcc, s0, v22
	v_addc_co_u32_e32 v1, vcc, 0, v1, vcc
	v_bfe_u32 v2, v10, 16, 1
	v_add3_u32 v2, v2, v10, s2
	v_or_b32_e32 v3, 0x400000, v10
	v_cmp_u_f32_e32 vcc, v10, v10
	v_cndmask_b32_e32 v2, v2, v3, vcc
	global_store_short_d16_hi v[0:1], v2, off offset:128
.LBB287_227:
	s_endpgm
	.section	.rodata,"a",@progbits
	.p2align	6, 0x0
	.amdhsa_kernel _ZN4vllm25paged_attention_v1_kernelI14__hip_bfloat16hLi112ELi8ELi128ELNS_18Fp8KVCacheDataTypeE1ELb0EEEvPT_PKS3_PKT0_S9_ifPKiSB_iPKfiiiSD_SD_iiiii
		.amdhsa_group_segment_fixed_size 240
		.amdhsa_private_segment_fixed_size 0
		.amdhsa_kernarg_size 384
		.amdhsa_user_sgpr_count 6
		.amdhsa_user_sgpr_private_segment_buffer 1
		.amdhsa_user_sgpr_dispatch_ptr 0
		.amdhsa_user_sgpr_queue_ptr 0
		.amdhsa_user_sgpr_kernarg_segment_ptr 1
		.amdhsa_user_sgpr_dispatch_id 0
		.amdhsa_user_sgpr_flat_scratch_init 0
		.amdhsa_user_sgpr_private_segment_size 0
		.amdhsa_uses_dynamic_stack 0
		.amdhsa_system_sgpr_private_segment_wavefront_offset 0
		.amdhsa_system_sgpr_workgroup_id_x 1
		.amdhsa_system_sgpr_workgroup_id_y 1
		.amdhsa_system_sgpr_workgroup_id_z 1
		.amdhsa_system_sgpr_workgroup_info 0
		.amdhsa_system_vgpr_workitem_id 0
		.amdhsa_next_free_vgpr 55
		.amdhsa_next_free_sgpr 46
		.amdhsa_reserve_vcc 1
		.amdhsa_reserve_flat_scratch 0
		.amdhsa_float_round_mode_32 0
		.amdhsa_float_round_mode_16_64 0
		.amdhsa_float_denorm_mode_32 3
		.amdhsa_float_denorm_mode_16_64 3
		.amdhsa_dx10_clamp 1
		.amdhsa_ieee_mode 1
		.amdhsa_fp16_overflow 0
		.amdhsa_exception_fp_ieee_invalid_op 0
		.amdhsa_exception_fp_denorm_src 0
		.amdhsa_exception_fp_ieee_div_zero 0
		.amdhsa_exception_fp_ieee_overflow 0
		.amdhsa_exception_fp_ieee_underflow 0
		.amdhsa_exception_fp_ieee_inexact 0
		.amdhsa_exception_int_div_zero 0
	.end_amdhsa_kernel
	.section	.text._ZN4vllm25paged_attention_v1_kernelI14__hip_bfloat16hLi112ELi8ELi128ELNS_18Fp8KVCacheDataTypeE1ELb0EEEvPT_PKS3_PKT0_S9_ifPKiSB_iPKfiiiSD_SD_iiiii,"axG",@progbits,_ZN4vllm25paged_attention_v1_kernelI14__hip_bfloat16hLi112ELi8ELi128ELNS_18Fp8KVCacheDataTypeE1ELb0EEEvPT_PKS3_PKT0_S9_ifPKiSB_iPKfiiiSD_SD_iiiii,comdat
.Lfunc_end287:
	.size	_ZN4vllm25paged_attention_v1_kernelI14__hip_bfloat16hLi112ELi8ELi128ELNS_18Fp8KVCacheDataTypeE1ELb0EEEvPT_PKS3_PKT0_S9_ifPKiSB_iPKfiiiSD_SD_iiiii, .Lfunc_end287-_ZN4vllm25paged_attention_v1_kernelI14__hip_bfloat16hLi112ELi8ELi128ELNS_18Fp8KVCacheDataTypeE1ELb0EEEvPT_PKS3_PKT0_S9_ifPKiSB_iPKfiiiSD_SD_iiiii
                                        ; -- End function
	.set _ZN4vllm25paged_attention_v1_kernelI14__hip_bfloat16hLi112ELi8ELi128ELNS_18Fp8KVCacheDataTypeE1ELb0EEEvPT_PKS3_PKT0_S9_ifPKiSB_iPKfiiiSD_SD_iiiii.num_vgpr, 55
	.set _ZN4vllm25paged_attention_v1_kernelI14__hip_bfloat16hLi112ELi8ELi128ELNS_18Fp8KVCacheDataTypeE1ELb0EEEvPT_PKS3_PKT0_S9_ifPKiSB_iPKfiiiSD_SD_iiiii.num_agpr, 0
	.set _ZN4vllm25paged_attention_v1_kernelI14__hip_bfloat16hLi112ELi8ELi128ELNS_18Fp8KVCacheDataTypeE1ELb0EEEvPT_PKS3_PKT0_S9_ifPKiSB_iPKfiiiSD_SD_iiiii.numbered_sgpr, 46
	.set _ZN4vllm25paged_attention_v1_kernelI14__hip_bfloat16hLi112ELi8ELi128ELNS_18Fp8KVCacheDataTypeE1ELb0EEEvPT_PKS3_PKT0_S9_ifPKiSB_iPKfiiiSD_SD_iiiii.num_named_barrier, 0
	.set _ZN4vllm25paged_attention_v1_kernelI14__hip_bfloat16hLi112ELi8ELi128ELNS_18Fp8KVCacheDataTypeE1ELb0EEEvPT_PKS3_PKT0_S9_ifPKiSB_iPKfiiiSD_SD_iiiii.private_seg_size, 0
	.set _ZN4vllm25paged_attention_v1_kernelI14__hip_bfloat16hLi112ELi8ELi128ELNS_18Fp8KVCacheDataTypeE1ELb0EEEvPT_PKS3_PKT0_S9_ifPKiSB_iPKfiiiSD_SD_iiiii.uses_vcc, 1
	.set _ZN4vllm25paged_attention_v1_kernelI14__hip_bfloat16hLi112ELi8ELi128ELNS_18Fp8KVCacheDataTypeE1ELb0EEEvPT_PKS3_PKT0_S9_ifPKiSB_iPKfiiiSD_SD_iiiii.uses_flat_scratch, 0
	.set _ZN4vllm25paged_attention_v1_kernelI14__hip_bfloat16hLi112ELi8ELi128ELNS_18Fp8KVCacheDataTypeE1ELb0EEEvPT_PKS3_PKT0_S9_ifPKiSB_iPKfiiiSD_SD_iiiii.has_dyn_sized_stack, 0
	.set _ZN4vllm25paged_attention_v1_kernelI14__hip_bfloat16hLi112ELi8ELi128ELNS_18Fp8KVCacheDataTypeE1ELb0EEEvPT_PKS3_PKT0_S9_ifPKiSB_iPKfiiiSD_SD_iiiii.has_recursion, 0
	.set _ZN4vllm25paged_attention_v1_kernelI14__hip_bfloat16hLi112ELi8ELi128ELNS_18Fp8KVCacheDataTypeE1ELb0EEEvPT_PKS3_PKT0_S9_ifPKiSB_iPKfiiiSD_SD_iiiii.has_indirect_call, 0
	.section	.AMDGPU.csdata,"",@progbits
; Kernel info:
; codeLenInByte = 11728
; TotalNumSgprs: 50
; NumVgprs: 55
; ScratchSize: 0
; MemoryBound: 0
; FloatMode: 240
; IeeeMode: 1
; LDSByteSize: 240 bytes/workgroup (compile time only)
; SGPRBlocks: 6
; VGPRBlocks: 13
; NumSGPRsForWavesPerEU: 50
; NumVGPRsForWavesPerEU: 55
; Occupancy: 4
; WaveLimiterHint : 1
; COMPUTE_PGM_RSRC2:SCRATCH_EN: 0
; COMPUTE_PGM_RSRC2:USER_SGPR: 6
; COMPUTE_PGM_RSRC2:TRAP_HANDLER: 0
; COMPUTE_PGM_RSRC2:TGID_X_EN: 1
; COMPUTE_PGM_RSRC2:TGID_Y_EN: 1
; COMPUTE_PGM_RSRC2:TGID_Z_EN: 1
; COMPUTE_PGM_RSRC2:TIDIG_COMP_CNT: 0
	.section	.text._ZN4vllm25paged_attention_v1_kernelI14__hip_bfloat16hLi120ELi8ELi128ELNS_18Fp8KVCacheDataTypeE1ELb0EEEvPT_PKS3_PKT0_S9_ifPKiSB_iPKfiiiSD_SD_iiiii,"axG",@progbits,_ZN4vllm25paged_attention_v1_kernelI14__hip_bfloat16hLi120ELi8ELi128ELNS_18Fp8KVCacheDataTypeE1ELb0EEEvPT_PKS3_PKT0_S9_ifPKiSB_iPKfiiiSD_SD_iiiii,comdat
	.protected	_ZN4vllm25paged_attention_v1_kernelI14__hip_bfloat16hLi120ELi8ELi128ELNS_18Fp8KVCacheDataTypeE1ELb0EEEvPT_PKS3_PKT0_S9_ifPKiSB_iPKfiiiSD_SD_iiiii ; -- Begin function _ZN4vllm25paged_attention_v1_kernelI14__hip_bfloat16hLi120ELi8ELi128ELNS_18Fp8KVCacheDataTypeE1ELb0EEEvPT_PKS3_PKT0_S9_ifPKiSB_iPKfiiiSD_SD_iiiii
	.globl	_ZN4vllm25paged_attention_v1_kernelI14__hip_bfloat16hLi120ELi8ELi128ELNS_18Fp8KVCacheDataTypeE1ELb0EEEvPT_PKS3_PKT0_S9_ifPKiSB_iPKfiiiSD_SD_iiiii
	.p2align	8
	.type	_ZN4vllm25paged_attention_v1_kernelI14__hip_bfloat16hLi120ELi8ELi128ELNS_18Fp8KVCacheDataTypeE1ELb0EEEvPT_PKS3_PKT0_S9_ifPKiSB_iPKfiiiSD_SD_iiiii,@function
_ZN4vllm25paged_attention_v1_kernelI14__hip_bfloat16hLi120ELi8ELi128ELNS_18Fp8KVCacheDataTypeE1ELb0EEEvPT_PKS3_PKT0_S9_ifPKiSB_iPKfiiiSD_SD_iiiii: ; @_ZN4vllm25paged_attention_v1_kernelI14__hip_bfloat16hLi120ELi8ELi128ELNS_18Fp8KVCacheDataTypeE1ELb0EEEvPT_PKS3_PKT0_S9_ifPKiSB_iPKfiiiSD_SD_iiiii
; %bb.0:
	s_load_dword s9, s[4:5], 0x80
	s_load_dwordx2 s[0:1], s[4:5], 0x30
	s_load_dwordx2 s[10:11], s[4:5], 0x20
	s_mov_b32 s20, s7
	s_ashr_i32 s21, s7, 31
	s_lshl_b64 s[2:3], s[20:21], 2
	s_waitcnt lgkmcnt(0)
	s_add_u32 s0, s0, s2
	s_addc_u32 s1, s1, s3
	s_abs_i32 s2, s10
	v_cvt_f32_u32_e32 v1, s2
	s_xor_b32 s3, s9, s10
	s_sub_i32 s10, 0, s2
	s_abs_i32 s7, s9
	v_rcp_iflag_f32_e32 v1, v1
	s_ashr_i32 s3, s3, 31
	v_mul_f32_e32 v1, 0x4f7ffffe, v1
	v_cvt_u32_f32_e32 v1, v1
	v_readfirstlane_b32 s12, v1
	s_mul_i32 s10, s10, s12
	s_mul_hi_u32 s10, s12, s10
	s_add_i32 s12, s12, s10
	s_mul_hi_u32 s10, s7, s12
	s_mul_i32 s12, s10, s2
	s_sub_i32 s7, s7, s12
	s_add_i32 s12, s10, 1
	s_sub_i32 s13, s7, s2
	s_cmp_ge_u32 s7, s2
	s_cselect_b32 s10, s12, s10
	s_cselect_b32 s7, s13, s7
	s_add_i32 s12, s10, 1
	s_cmp_ge_u32 s7, s2
	s_cselect_b32 s2, s12, s10
	s_xor_b32 s2, s2, s3
	s_sub_i32 s12, s2, s3
	s_abs_i32 s16, s12
	v_cvt_f32_u32_e32 v1, s16
	s_load_dwordx2 s[2:3], s[4:5], 0x40
	s_sub_i32 s7, 0, s16
	s_abs_i32 s17, s6
	v_rcp_iflag_f32_e32 v1, v1
	s_mov_b32 s10, 0
	v_mul_f32_e32 v1, 0x4f7ffffe, v1
	v_cvt_u32_f32_e32 v1, v1
	v_readfirstlane_b32 s13, v1
	s_mul_i32 s7, s7, s13
	s_mul_hi_u32 s7, s13, s7
	s_add_i32 s13, s13, s7
	s_waitcnt lgkmcnt(0)
	s_cmp_eq_u64 s[2:3], 0
	s_mul_hi_u32 s18, s17, s13
	s_cbranch_scc1 .LBB288_2
; %bb.1:
	s_ashr_i32 s7, s6, 31
	s_lshl_b64 s[14:15], s[6:7], 2
	s_add_u32 s2, s2, s14
	s_addc_u32 s3, s3, s15
	s_load_dword s10, s[2:3], 0x0
.LBB288_2:
	s_load_dword s21, s[0:1], 0x0
	s_ashr_i32 s19, s12, 31
	s_load_dwordx4 s[12:15], s[4:5], 0x48
	s_movk_i32 s0, 0x78
	s_ashr_i32 s7, s6, 31
	v_and_b32_e32 v1, 7, v0
	s_mul_i32 s22, s6, 0x78
	v_cmp_gt_u32_e64 s[0:1], s0, v0
	v_lshlrev_b32_e32 v22, 1, v0
	s_and_saveexec_b64 s[2:3], s[0:1]
	s_cbranch_execz .LBB288_4
; %bb.3:
	s_load_dwordx2 s[24:25], s[4:5], 0x8
	s_waitcnt lgkmcnt(0)
	s_mul_i32 s26, s12, s20
	s_ashr_i32 s27, s26, 31
	s_lshl_b64 s[26:27], s[26:27], 1
	v_lshrrev_b32_e32 v3, 2, v0
	s_add_u32 s6, s24, s26
	s_addc_u32 s12, s25, s27
	s_ashr_i32 s23, s22, 31
	s_lshl_b64 s[24:25], s[22:23], 1
	s_add_u32 s24, s6, s24
	s_addc_u32 s25, s12, s25
	global_load_ushort v2, v22, s[24:25]
	v_and_b32_e32 v3, 0xfe, v3
	v_mad_u32_u24 v3, v1, 30, v3
	s_waitcnt vmcnt(0)
	ds_write_b16 v3, v2
.LBB288_4:
	s_or_b64 exec, exec, s[2:3]
	s_waitcnt lgkmcnt(0)
	s_add_i32 s3, s21, 7
	s_ashr_i32 s6, s3, 31
	s_lshr_b32 s6, s6, 29
	s_add_i32 s3, s3, s6
	s_mul_i32 s6, s18, s16
	s_sub_i32 s6, s17, s6
	s_ashr_i32 s33, s3, 3
	s_xor_b32 s3, s7, s19
	s_add_i32 s7, s18, 1
	s_sub_i32 s12, s6, s16
	s_load_dwordx2 s[26:27], s[4:5], 0x28
	s_load_dword s2, s[4:5], 0x38
	s_cmp_ge_u32 s6, s16
	s_cselect_b32 s7, s7, s18
	s_cselect_b32 s6, s12, s6
	s_add_i32 s12, s7, 1
	s_cmp_ge_u32 s6, s16
	s_cselect_b32 s6, s12, s7
	v_lshrrev_b32_e32 v23, 6, v0
	s_xor_b32 s6, s6, s3
	s_waitcnt lgkmcnt(0)
	s_mul_i32 s28, s2, s20
	s_sub_i32 s12, s6, s3
	s_ashr_i32 s29, s28, 31
	v_cmp_gt_i32_e64 s[2:3], s33, v23
	v_cmp_le_i32_e32 vcc, s33, v23
	v_mbcnt_lo_u32_b32 v5, -1, 0
	s_barrier
                                        ; implicit-def: $vgpr9
                                        ; implicit-def: $vgpr11
                                        ; implicit-def: $vgpr10
	s_and_saveexec_b64 s[6:7], vcc
	s_xor_b64 s[6:7], exec, s[6:7]
; %bb.5:
	v_mbcnt_hi_u32_b32 v9, -1, v5
	v_and_b32_e32 v11, 64, v9
	v_add_u32_e32 v10, 64, v11
                                        ; implicit-def: $vgpr1
                                        ; implicit-def: $vgpr5
; %bb.6:
	s_or_saveexec_b64 s[34:35], s[6:7]
	s_load_dwordx2 s[24:25], s[4:5], 0x0
	s_load_dwordx2 s[30:31], s[4:5], 0x18
	s_load_dword s23, s[4:5], 0x88
	s_load_dwordx4 s[16:19], s[4:5], 0x58
	v_mov_b32_e32 v28, 0xff7fffff
	s_mul_i32 s12, s12, s14
	v_lshrrev_b32_e32 v8, 4, v0
	s_xor_b64 exec, exec, s[34:35]
	s_cbranch_execz .LBB288_102
; %bb.7:
	v_mul_u32_u24_e32 v6, 30, v1
	s_load_dwordx2 s[4:5], s[4:5], 0x10
	ds_read_b128 v[16:19], v6
	ds_read_b96 v[2:4], v6 offset:16
	s_ashr_i32 s6, s12, 31
	v_bfe_u32 v7, v0, 3, 3
	v_mbcnt_hi_u32_b32 v9, -1, v5
	s_waitcnt lgkmcnt(0)
	s_add_u32 s4, s4, s12
	v_lshlrev_b32_e32 v20, 16, v2
	v_and_b32_e32 v21, 0xffff0000, v2
	s_addc_u32 s5, s5, s6
	v_lshlrev_b32_e32 v2, 4, v7
	v_lshlrev_b32_e32 v24, 16, v3
	v_and_b32_e32 v25, 0xffff0000, v3
	v_mov_b32_e32 v3, s5
	v_add_co_u32_e32 v2, vcc, s4, v2
	v_addc_co_u32_e32 v3, vcc, 0, v3, vcc
	v_cmp_eq_u32_e32 vcc, 0, v1
	v_add_co_u32_e64 v1, s[4:5], v2, v1
	v_addc_co_u32_e64 v2, s[4:5], 0, v3, s[4:5]
	s_sub_i32 s40, 1, s21
	s_lshl_b64 s[4:5], s[28:29], 2
	s_add_u32 s4, s26, s4
	s_addc_u32 s5, s27, s5
	v_and_b32_e32 v3, 60, v8
	v_lshlrev_b32_e32 v26, 16, v4
	v_and_b32_e32 v27, 0xffff0000, v4
	v_mov_b32_e32 v4, s5
	v_add_co_u32_e64 v3, s[4:5], s4, v3
	v_and_b32_e32 v11, 64, v9
	v_addc_co_u32_e64 v4, s[4:5], 0, v4, s[4:5]
	v_add_u32_e32 v10, 64, v11
	v_xor_b32_e32 v5, 4, v9
	v_cmp_lt_i32_e64 s[4:5], v5, v10
	v_cndmask_b32_e64 v5, v9, v5, s[4:5]
	v_lshlrev_b32_e32 v30, 2, v5
	v_xor_b32_e32 v5, 2, v9
	v_cmp_lt_i32_e64 s[4:5], v5, v10
	v_cndmask_b32_e64 v5, v9, v5, s[4:5]
	ds_read_u16 v6, v6 offset:28
	v_lshlrev_b32_e32 v31, 2, v5
	v_xor_b32_e32 v5, 1, v9
	v_cmp_lt_i32_e64 s[4:5], v5, v10
	s_load_dword s42, s[16:17], 0x0
	v_cndmask_b32_e64 v5, v9, v5, s[4:5]
	v_lshlrev_b32_e32 v32, 2, v5
	v_lshlrev_b32_e32 v5, 2, v7
	v_lshl_or_b32 v5, v23, 5, v5
	v_lshlrev_b32_e32 v12, 16, v16
	v_and_b32_e32 v13, 0xffff0000, v16
	v_lshlrev_b32_e32 v14, 16, v17
	v_and_b32_e32 v15, 0xffff0000, v17
	;; [unrolled: 2-line block ×4, first 2 shown]
	s_mov_b32 s41, s13
	s_waitcnt lgkmcnt(0)
	v_lshlrev_b32_e32 v29, 16, v6
	v_cmp_neq_f32_e64 s[4:5], s10, 0
	v_lshl_or_b32 v33, v23, 3, v7
	v_add_u32_e32 v34, 0x100, v5
	s_mov_b64 s[14:15], 0
	s_movk_i32 s43, 0x80
	s_movk_i32 s44, 0x7f
	;; [unrolled: 1-line block ×3, first 2 shown]
	v_mov_b32_e32 v28, 0xff7fffff
	v_bfrev_b32_e32 v35, 60
	v_mov_b32_e32 v36, v23
	s_branch .LBB288_9
.LBB288_8:                              ;   in Loop: Header=BB288_9 Depth=1
	s_or_b64 exec, exec, s[16:17]
	v_add_u32_e32 v36, 2, v36
	v_cmp_le_i32_e64 s[6:7], s33, v36
	s_or_b64 s[14:15], s[6:7], s[14:15]
	v_add_co_u32_e64 v3, s[6:7], 8, v3
	v_add_u32_e32 v33, 16, v33
	v_add_u32_e32 v34, 64, v34
	v_addc_co_u32_e64 v4, s[6:7], 0, v4, s[6:7]
	s_andn2_b64 exec, exec, s[14:15]
	s_cbranch_execz .LBB288_101
.LBB288_9:                              ; =>This Inner Loop Header: Depth=1
	global_load_dword v5, v[3:4], off
	v_mov_b32_e32 v37, 0
	s_waitcnt vmcnt(0) lgkmcnt(0)
	v_mad_i64_i32 v[5:6], s[6:7], v5, s41, v[1:2]
	global_load_ubyte v38, v[5:6], off
	s_waitcnt vmcnt(0)
	v_cmp_ne_u16_e64 s[6:7], 0, v38
	s_and_saveexec_b64 s[16:17], s[6:7]
	s_cbranch_execz .LBB288_15
; %bb.10:                               ;   in Loop: Header=BB288_9 Depth=1
	v_cmp_ne_u16_e64 s[6:7], s43, v38
	v_bfrev_b32_e32 v37, 1
	s_and_saveexec_b64 s[36:37], s[6:7]
	s_cbranch_execz .LBB288_14
; %bb.11:                               ;   in Loop: Header=BB288_9 Depth=1
	v_and_b32_e32 v7, 0xffff, v38
	v_and_b32_e32 v39, 0x7f, v7
	v_cmp_ne_u32_e64 s[6:7], s44, v39
	v_mov_b32_e32 v37, 0x7f800001
	s_and_saveexec_b64 s[38:39], s[6:7]
	s_cbranch_execz .LBB288_13
; %bb.12:                               ;   in Loop: Header=BB288_9 Depth=1
	v_and_b32_e32 v37, 7, v7
	v_ffbh_u32_e32 v40, v37
	v_min_u32_e32 v43, 32, v40
	v_subrev_u32_e32 v40, 28, v43
	v_lshlrev_b64 v[40:41], v40, v[7:8]
	v_lshrrev_b32_e32 v42, 3, v39
	v_sub_u32_e32 v7, 29, v43
	v_and_b32_e32 v40, 7, v40
	v_cmp_gt_u32_e64 s[6:7], 8, v39
	v_cndmask_b32_e64 v7, v42, v7, s[6:7]
	v_cndmask_b32_e64 v37, v37, v40, s[6:7]
	v_lshlrev_b32_e32 v38, 24, v38
	v_lshlrev_b32_e32 v37, 20, v37
	v_and_b32_e32 v38, 0x80000000, v38
	v_lshl_add_u32 v7, v7, 23, v35
	v_or3_b32 v37, v38, v7, v37
.LBB288_13:                             ;   in Loop: Header=BB288_9 Depth=1
	s_or_b64 exec, exec, s[38:39]
.LBB288_14:                             ;   in Loop: Header=BB288_9 Depth=1
	s_or_b64 exec, exec, s[36:37]
.LBB288_15:                             ;   in Loop: Header=BB288_9 Depth=1
	s_or_b64 exec, exec, s[16:17]
	global_load_ubyte v40, v[5:6], off offset:8
	v_mov_b32_e32 v39, 0
	v_mov_b32_e32 v38, 0
	s_waitcnt vmcnt(0)
	v_cmp_ne_u16_e64 s[6:7], 0, v40
	s_and_saveexec_b64 s[16:17], s[6:7]
	s_cbranch_execz .LBB288_21
; %bb.16:                               ;   in Loop: Header=BB288_9 Depth=1
	v_cmp_ne_u16_e64 s[6:7], s43, v40
	v_bfrev_b32_e32 v38, 1
	s_and_saveexec_b64 s[36:37], s[6:7]
	s_cbranch_execz .LBB288_20
; %bb.17:                               ;   in Loop: Header=BB288_9 Depth=1
	v_and_b32_e32 v7, 0xffff, v40
	v_and_b32_e32 v41, 0x7f, v7
	v_cmp_ne_u32_e64 s[6:7], s44, v41
	v_mov_b32_e32 v38, 0x7f800001
	s_and_saveexec_b64 s[38:39], s[6:7]
	s_cbranch_execz .LBB288_19
; %bb.18:                               ;   in Loop: Header=BB288_9 Depth=1
	v_and_b32_e32 v38, 7, v7
	v_ffbh_u32_e32 v42, v38
	v_min_u32_e32 v45, 32, v42
	v_subrev_u32_e32 v42, 28, v45
	v_lshlrev_b64 v[42:43], v42, v[7:8]
	v_lshrrev_b32_e32 v44, 3, v41
	v_sub_u32_e32 v7, 29, v45
	v_and_b32_e32 v42, 7, v42
	v_cmp_gt_u32_e64 s[6:7], 8, v41
	v_cndmask_b32_e64 v7, v44, v7, s[6:7]
	v_cndmask_b32_e64 v38, v38, v42, s[6:7]
	v_lshlrev_b32_e32 v40, 24, v40
	v_lshlrev_b32_e32 v38, 20, v38
	v_and_b32_e32 v40, 0x80000000, v40
	v_lshl_add_u32 v7, v7, 23, v35
	v_or3_b32 v38, v40, v7, v38
.LBB288_19:                             ;   in Loop: Header=BB288_9 Depth=1
	s_or_b64 exec, exec, s[38:39]
.LBB288_20:                             ;   in Loop: Header=BB288_9 Depth=1
	s_or_b64 exec, exec, s[36:37]
.LBB288_21:                             ;   in Loop: Header=BB288_9 Depth=1
	s_or_b64 exec, exec, s[16:17]
	global_load_ubyte v40, v[5:6], off offset:128
	s_waitcnt vmcnt(0)
	v_cmp_ne_u16_e64 s[6:7], 0, v40
	s_and_saveexec_b64 s[16:17], s[6:7]
	s_cbranch_execz .LBB288_27
; %bb.22:                               ;   in Loop: Header=BB288_9 Depth=1
	v_cmp_ne_u16_e64 s[6:7], s43, v40
	v_bfrev_b32_e32 v39, 1
	s_and_saveexec_b64 s[36:37], s[6:7]
	s_cbranch_execz .LBB288_26
; %bb.23:                               ;   in Loop: Header=BB288_9 Depth=1
	v_and_b32_e32 v7, 0xffff, v40
	v_and_b32_e32 v41, 0x7f, v7
	v_cmp_ne_u32_e64 s[6:7], s44, v41
	v_mov_b32_e32 v39, 0x7f800001
	s_and_saveexec_b64 s[38:39], s[6:7]
	s_cbranch_execz .LBB288_25
; %bb.24:                               ;   in Loop: Header=BB288_9 Depth=1
	v_and_b32_e32 v39, 7, v7
	v_ffbh_u32_e32 v42, v39
	v_min_u32_e32 v45, 32, v42
	v_subrev_u32_e32 v42, 28, v45
	v_lshlrev_b64 v[42:43], v42, v[7:8]
	v_lshrrev_b32_e32 v44, 3, v41
	v_sub_u32_e32 v7, 29, v45
	v_and_b32_e32 v42, 7, v42
	v_cmp_gt_u32_e64 s[6:7], 8, v41
	v_cndmask_b32_e64 v7, v44, v7, s[6:7]
	v_cndmask_b32_e64 v39, v39, v42, s[6:7]
	v_lshlrev_b32_e32 v40, 24, v40
	v_lshlrev_b32_e32 v39, 20, v39
	v_and_b32_e32 v40, 0x80000000, v40
	v_lshl_add_u32 v7, v7, 23, v35
	v_or3_b32 v39, v40, v7, v39
.LBB288_25:                             ;   in Loop: Header=BB288_9 Depth=1
	s_or_b64 exec, exec, s[38:39]
.LBB288_26:                             ;   in Loop: Header=BB288_9 Depth=1
	s_or_b64 exec, exec, s[36:37]
.LBB288_27:                             ;   in Loop: Header=BB288_9 Depth=1
	s_or_b64 exec, exec, s[16:17]
	global_load_ubyte v42, v[5:6], off offset:136
	v_mov_b32_e32 v41, 0
	v_mov_b32_e32 v40, 0
	s_waitcnt vmcnt(0)
	v_cmp_ne_u16_e64 s[6:7], 0, v42
	s_and_saveexec_b64 s[16:17], s[6:7]
	s_cbranch_execz .LBB288_33
; %bb.28:                               ;   in Loop: Header=BB288_9 Depth=1
	v_cmp_ne_u16_e64 s[6:7], s43, v42
	v_bfrev_b32_e32 v40, 1
	s_and_saveexec_b64 s[36:37], s[6:7]
	s_cbranch_execz .LBB288_32
; %bb.29:                               ;   in Loop: Header=BB288_9 Depth=1
	v_and_b32_e32 v7, 0xffff, v42
	v_and_b32_e32 v43, 0x7f, v7
	v_cmp_ne_u32_e64 s[6:7], s44, v43
	v_mov_b32_e32 v40, 0x7f800001
	s_and_saveexec_b64 s[38:39], s[6:7]
	s_cbranch_execz .LBB288_31
; %bb.30:                               ;   in Loop: Header=BB288_9 Depth=1
	v_and_b32_e32 v40, 7, v7
	v_ffbh_u32_e32 v44, v40
	v_min_u32_e32 v47, 32, v44
	v_subrev_u32_e32 v44, 28, v47
	v_lshlrev_b64 v[44:45], v44, v[7:8]
	v_lshrrev_b32_e32 v46, 3, v43
	v_sub_u32_e32 v7, 29, v47
	v_and_b32_e32 v44, 7, v44
	v_cmp_gt_u32_e64 s[6:7], 8, v43
	v_cndmask_b32_e64 v7, v46, v7, s[6:7]
	v_cndmask_b32_e64 v40, v40, v44, s[6:7]
	v_lshlrev_b32_e32 v42, 24, v42
	v_lshlrev_b32_e32 v40, 20, v40
	v_and_b32_e32 v42, 0x80000000, v42
	v_lshl_add_u32 v7, v7, 23, v35
	v_or3_b32 v40, v42, v7, v40
.LBB288_31:                             ;   in Loop: Header=BB288_9 Depth=1
	s_or_b64 exec, exec, s[38:39]
.LBB288_32:                             ;   in Loop: Header=BB288_9 Depth=1
	s_or_b64 exec, exec, s[36:37]
.LBB288_33:                             ;   in Loop: Header=BB288_9 Depth=1
	s_or_b64 exec, exec, s[16:17]
	global_load_ubyte v42, v[5:6], off offset:256
	s_waitcnt vmcnt(0)
	v_cmp_ne_u16_e64 s[6:7], 0, v42
	s_and_saveexec_b64 s[16:17], s[6:7]
	s_cbranch_execz .LBB288_39
; %bb.34:                               ;   in Loop: Header=BB288_9 Depth=1
	v_cmp_ne_u16_e64 s[6:7], s43, v42
	v_bfrev_b32_e32 v41, 1
	s_and_saveexec_b64 s[36:37], s[6:7]
	s_cbranch_execz .LBB288_38
; %bb.35:                               ;   in Loop: Header=BB288_9 Depth=1
	v_and_b32_e32 v7, 0xffff, v42
	v_and_b32_e32 v43, 0x7f, v7
	v_cmp_ne_u32_e64 s[6:7], s44, v43
	v_mov_b32_e32 v41, 0x7f800001
	s_and_saveexec_b64 s[38:39], s[6:7]
	s_cbranch_execz .LBB288_37
; %bb.36:                               ;   in Loop: Header=BB288_9 Depth=1
	v_and_b32_e32 v41, 7, v7
	v_ffbh_u32_e32 v44, v41
	v_min_u32_e32 v47, 32, v44
	v_subrev_u32_e32 v44, 28, v47
	v_lshlrev_b64 v[44:45], v44, v[7:8]
	v_lshrrev_b32_e32 v46, 3, v43
	v_sub_u32_e32 v7, 29, v47
	v_and_b32_e32 v44, 7, v44
	v_cmp_gt_u32_e64 s[6:7], 8, v43
	v_cndmask_b32_e64 v7, v46, v7, s[6:7]
	v_cndmask_b32_e64 v41, v41, v44, s[6:7]
	v_lshlrev_b32_e32 v42, 24, v42
	v_lshlrev_b32_e32 v41, 20, v41
	v_and_b32_e32 v42, 0x80000000, v42
	v_lshl_add_u32 v7, v7, 23, v35
	v_or3_b32 v41, v42, v7, v41
.LBB288_37:                             ;   in Loop: Header=BB288_9 Depth=1
	s_or_b64 exec, exec, s[38:39]
.LBB288_38:                             ;   in Loop: Header=BB288_9 Depth=1
	s_or_b64 exec, exec, s[36:37]
.LBB288_39:                             ;   in Loop: Header=BB288_9 Depth=1
	s_or_b64 exec, exec, s[16:17]
	global_load_ubyte v44, v[5:6], off offset:264
	v_mov_b32_e32 v43, 0
	v_mov_b32_e32 v42, 0
	s_waitcnt vmcnt(0)
	v_cmp_ne_u16_e64 s[6:7], 0, v44
	s_and_saveexec_b64 s[16:17], s[6:7]
	s_cbranch_execz .LBB288_45
; %bb.40:                               ;   in Loop: Header=BB288_9 Depth=1
	v_cmp_ne_u16_e64 s[6:7], s43, v44
	v_bfrev_b32_e32 v42, 1
	s_and_saveexec_b64 s[36:37], s[6:7]
	s_cbranch_execz .LBB288_44
; %bb.41:                               ;   in Loop: Header=BB288_9 Depth=1
	v_and_b32_e32 v7, 0xffff, v44
	v_and_b32_e32 v45, 0x7f, v7
	v_cmp_ne_u32_e64 s[6:7], s44, v45
	v_mov_b32_e32 v42, 0x7f800001
	s_and_saveexec_b64 s[38:39], s[6:7]
	s_cbranch_execz .LBB288_43
; %bb.42:                               ;   in Loop: Header=BB288_9 Depth=1
	v_and_b32_e32 v42, 7, v7
	v_ffbh_u32_e32 v46, v42
	v_min_u32_e32 v49, 32, v46
	v_subrev_u32_e32 v46, 28, v49
	v_lshlrev_b64 v[46:47], v46, v[7:8]
	v_lshrrev_b32_e32 v48, 3, v45
	v_sub_u32_e32 v7, 29, v49
	v_and_b32_e32 v46, 7, v46
	v_cmp_gt_u32_e64 s[6:7], 8, v45
	v_cndmask_b32_e64 v7, v48, v7, s[6:7]
	v_cndmask_b32_e64 v42, v42, v46, s[6:7]
	v_lshlrev_b32_e32 v44, 24, v44
	v_lshlrev_b32_e32 v42, 20, v42
	v_and_b32_e32 v44, 0x80000000, v44
	v_lshl_add_u32 v7, v7, 23, v35
	v_or3_b32 v42, v44, v7, v42
.LBB288_43:                             ;   in Loop: Header=BB288_9 Depth=1
	s_or_b64 exec, exec, s[38:39]
.LBB288_44:                             ;   in Loop: Header=BB288_9 Depth=1
	s_or_b64 exec, exec, s[36:37]
.LBB288_45:                             ;   in Loop: Header=BB288_9 Depth=1
	s_or_b64 exec, exec, s[16:17]
	global_load_ubyte v44, v[5:6], off offset:384
	s_waitcnt vmcnt(0)
	v_cmp_ne_u16_e64 s[6:7], 0, v44
	s_and_saveexec_b64 s[16:17], s[6:7]
	s_cbranch_execz .LBB288_51
; %bb.46:                               ;   in Loop: Header=BB288_9 Depth=1
	v_cmp_ne_u16_e64 s[6:7], s43, v44
	v_bfrev_b32_e32 v43, 1
	s_and_saveexec_b64 s[36:37], s[6:7]
	s_cbranch_execz .LBB288_50
; %bb.47:                               ;   in Loop: Header=BB288_9 Depth=1
	v_and_b32_e32 v7, 0xffff, v44
	v_and_b32_e32 v45, 0x7f, v7
	v_cmp_ne_u32_e64 s[6:7], s44, v45
	v_mov_b32_e32 v43, 0x7f800001
	s_and_saveexec_b64 s[38:39], s[6:7]
	s_cbranch_execz .LBB288_49
; %bb.48:                               ;   in Loop: Header=BB288_9 Depth=1
	v_and_b32_e32 v43, 7, v7
	v_ffbh_u32_e32 v46, v43
	v_min_u32_e32 v49, 32, v46
	v_subrev_u32_e32 v46, 28, v49
	v_lshlrev_b64 v[46:47], v46, v[7:8]
	v_lshrrev_b32_e32 v48, 3, v45
	v_sub_u32_e32 v7, 29, v49
	v_and_b32_e32 v46, 7, v46
	v_cmp_gt_u32_e64 s[6:7], 8, v45
	v_cndmask_b32_e64 v7, v48, v7, s[6:7]
	v_cndmask_b32_e64 v43, v43, v46, s[6:7]
	v_lshlrev_b32_e32 v44, 24, v44
	v_lshlrev_b32_e32 v43, 20, v43
	v_and_b32_e32 v44, 0x80000000, v44
	v_lshl_add_u32 v7, v7, 23, v35
	v_or3_b32 v43, v44, v7, v43
.LBB288_49:                             ;   in Loop: Header=BB288_9 Depth=1
	s_or_b64 exec, exec, s[38:39]
.LBB288_50:                             ;   in Loop: Header=BB288_9 Depth=1
	s_or_b64 exec, exec, s[36:37]
.LBB288_51:                             ;   in Loop: Header=BB288_9 Depth=1
	s_or_b64 exec, exec, s[16:17]
	global_load_ubyte v46, v[5:6], off offset:392
	v_mov_b32_e32 v45, 0
	v_mov_b32_e32 v44, 0
	s_waitcnt vmcnt(0)
	v_cmp_ne_u16_e64 s[6:7], 0, v46
	s_and_saveexec_b64 s[16:17], s[6:7]
	s_cbranch_execz .LBB288_57
; %bb.52:                               ;   in Loop: Header=BB288_9 Depth=1
	v_cmp_ne_u16_e64 s[6:7], s43, v46
	v_bfrev_b32_e32 v44, 1
	s_and_saveexec_b64 s[36:37], s[6:7]
	s_cbranch_execz .LBB288_56
; %bb.53:                               ;   in Loop: Header=BB288_9 Depth=1
	v_and_b32_e32 v7, 0xffff, v46
	v_and_b32_e32 v47, 0x7f, v7
	v_cmp_ne_u32_e64 s[6:7], s44, v47
	v_mov_b32_e32 v44, 0x7f800001
	s_and_saveexec_b64 s[38:39], s[6:7]
	s_cbranch_execz .LBB288_55
; %bb.54:                               ;   in Loop: Header=BB288_9 Depth=1
	v_and_b32_e32 v44, 7, v7
	v_ffbh_u32_e32 v48, v44
	v_min_u32_e32 v51, 32, v48
	v_subrev_u32_e32 v48, 28, v51
	v_lshlrev_b64 v[48:49], v48, v[7:8]
	v_lshrrev_b32_e32 v50, 3, v47
	v_sub_u32_e32 v7, 29, v51
	v_and_b32_e32 v48, 7, v48
	v_cmp_gt_u32_e64 s[6:7], 8, v47
	v_cndmask_b32_e64 v7, v50, v7, s[6:7]
	v_cndmask_b32_e64 v44, v44, v48, s[6:7]
	v_lshlrev_b32_e32 v46, 24, v46
	v_lshlrev_b32_e32 v44, 20, v44
	v_and_b32_e32 v46, 0x80000000, v46
	v_lshl_add_u32 v7, v7, 23, v35
	v_or3_b32 v44, v46, v7, v44
.LBB288_55:                             ;   in Loop: Header=BB288_9 Depth=1
	s_or_b64 exec, exec, s[38:39]
.LBB288_56:                             ;   in Loop: Header=BB288_9 Depth=1
	s_or_b64 exec, exec, s[36:37]
.LBB288_57:                             ;   in Loop: Header=BB288_9 Depth=1
	s_or_b64 exec, exec, s[16:17]
	global_load_ubyte v46, v[5:6], off offset:512
	s_waitcnt vmcnt(0)
	v_cmp_ne_u16_e64 s[6:7], 0, v46
	s_and_saveexec_b64 s[16:17], s[6:7]
	s_cbranch_execz .LBB288_63
; %bb.58:                               ;   in Loop: Header=BB288_9 Depth=1
	v_cmp_ne_u16_e64 s[6:7], s43, v46
	v_bfrev_b32_e32 v45, 1
	s_and_saveexec_b64 s[36:37], s[6:7]
	s_cbranch_execz .LBB288_62
; %bb.59:                               ;   in Loop: Header=BB288_9 Depth=1
	v_and_b32_e32 v7, 0xffff, v46
	v_and_b32_e32 v47, 0x7f, v7
	v_cmp_ne_u32_e64 s[6:7], s44, v47
	v_mov_b32_e32 v45, 0x7f800001
	s_and_saveexec_b64 s[38:39], s[6:7]
	s_cbranch_execz .LBB288_61
; %bb.60:                               ;   in Loop: Header=BB288_9 Depth=1
	v_and_b32_e32 v45, 7, v7
	v_ffbh_u32_e32 v48, v45
	v_min_u32_e32 v51, 32, v48
	v_subrev_u32_e32 v48, 28, v51
	v_lshlrev_b64 v[48:49], v48, v[7:8]
	v_lshrrev_b32_e32 v50, 3, v47
	v_sub_u32_e32 v7, 29, v51
	v_and_b32_e32 v48, 7, v48
	v_cmp_gt_u32_e64 s[6:7], 8, v47
	v_cndmask_b32_e64 v7, v50, v7, s[6:7]
	v_cndmask_b32_e64 v45, v45, v48, s[6:7]
	v_lshlrev_b32_e32 v46, 24, v46
	v_lshlrev_b32_e32 v45, 20, v45
	v_and_b32_e32 v46, 0x80000000, v46
	v_lshl_add_u32 v7, v7, 23, v35
	v_or3_b32 v45, v46, v7, v45
.LBB288_61:                             ;   in Loop: Header=BB288_9 Depth=1
	s_or_b64 exec, exec, s[38:39]
.LBB288_62:                             ;   in Loop: Header=BB288_9 Depth=1
	s_or_b64 exec, exec, s[36:37]
.LBB288_63:                             ;   in Loop: Header=BB288_9 Depth=1
	s_or_b64 exec, exec, s[16:17]
	global_load_ubyte v48, v[5:6], off offset:520
	v_mov_b32_e32 v47, 0
	v_mov_b32_e32 v46, 0
	s_waitcnt vmcnt(0)
	v_cmp_ne_u16_e64 s[6:7], 0, v48
	s_and_saveexec_b64 s[16:17], s[6:7]
	s_cbranch_execz .LBB288_69
; %bb.64:                               ;   in Loop: Header=BB288_9 Depth=1
	v_cmp_ne_u16_e64 s[6:7], s43, v48
	v_bfrev_b32_e32 v46, 1
	s_and_saveexec_b64 s[36:37], s[6:7]
	s_cbranch_execz .LBB288_68
; %bb.65:                               ;   in Loop: Header=BB288_9 Depth=1
	v_and_b32_e32 v7, 0xffff, v48
	v_and_b32_e32 v49, 0x7f, v7
	v_cmp_ne_u32_e64 s[6:7], s44, v49
	v_mov_b32_e32 v46, 0x7f800001
	s_and_saveexec_b64 s[38:39], s[6:7]
	s_cbranch_execz .LBB288_67
; %bb.66:                               ;   in Loop: Header=BB288_9 Depth=1
	v_and_b32_e32 v46, 7, v7
	v_ffbh_u32_e32 v50, v46
	v_min_u32_e32 v53, 32, v50
	v_subrev_u32_e32 v50, 28, v53
	v_lshlrev_b64 v[50:51], v50, v[7:8]
	v_lshrrev_b32_e32 v52, 3, v49
	v_sub_u32_e32 v7, 29, v53
	v_and_b32_e32 v50, 7, v50
	v_cmp_gt_u32_e64 s[6:7], 8, v49
	v_cndmask_b32_e64 v7, v52, v7, s[6:7]
	v_cndmask_b32_e64 v46, v46, v50, s[6:7]
	v_lshlrev_b32_e32 v48, 24, v48
	v_lshlrev_b32_e32 v46, 20, v46
	v_and_b32_e32 v48, 0x80000000, v48
	v_lshl_add_u32 v7, v7, 23, v35
	v_or3_b32 v46, v48, v7, v46
.LBB288_67:                             ;   in Loop: Header=BB288_9 Depth=1
	s_or_b64 exec, exec, s[38:39]
.LBB288_68:                             ;   in Loop: Header=BB288_9 Depth=1
	s_or_b64 exec, exec, s[36:37]
.LBB288_69:                             ;   in Loop: Header=BB288_9 Depth=1
	s_or_b64 exec, exec, s[16:17]
	global_load_ubyte v48, v[5:6], off offset:640
	s_waitcnt vmcnt(0)
	v_cmp_ne_u16_e64 s[6:7], 0, v48
	s_and_saveexec_b64 s[16:17], s[6:7]
	s_cbranch_execz .LBB288_75
; %bb.70:                               ;   in Loop: Header=BB288_9 Depth=1
	v_cmp_ne_u16_e64 s[6:7], s43, v48
	v_bfrev_b32_e32 v47, 1
	s_and_saveexec_b64 s[36:37], s[6:7]
	s_cbranch_execz .LBB288_74
; %bb.71:                               ;   in Loop: Header=BB288_9 Depth=1
	v_and_b32_e32 v7, 0xffff, v48
	v_and_b32_e32 v49, 0x7f, v7
	v_cmp_ne_u32_e64 s[6:7], s44, v49
	v_mov_b32_e32 v47, 0x7f800001
	s_and_saveexec_b64 s[38:39], s[6:7]
	s_cbranch_execz .LBB288_73
; %bb.72:                               ;   in Loop: Header=BB288_9 Depth=1
	v_and_b32_e32 v47, 7, v7
	v_ffbh_u32_e32 v50, v47
	v_min_u32_e32 v53, 32, v50
	v_subrev_u32_e32 v50, 28, v53
	v_lshlrev_b64 v[50:51], v50, v[7:8]
	v_lshrrev_b32_e32 v52, 3, v49
	v_sub_u32_e32 v7, 29, v53
	v_and_b32_e32 v50, 7, v50
	v_cmp_gt_u32_e64 s[6:7], 8, v49
	v_cndmask_b32_e64 v7, v52, v7, s[6:7]
	v_cndmask_b32_e64 v47, v47, v50, s[6:7]
	v_lshlrev_b32_e32 v48, 24, v48
	v_lshlrev_b32_e32 v47, 20, v47
	v_and_b32_e32 v48, 0x80000000, v48
	v_lshl_add_u32 v7, v7, 23, v35
	v_or3_b32 v47, v48, v7, v47
.LBB288_73:                             ;   in Loop: Header=BB288_9 Depth=1
	s_or_b64 exec, exec, s[38:39]
.LBB288_74:                             ;   in Loop: Header=BB288_9 Depth=1
	s_or_b64 exec, exec, s[36:37]
.LBB288_75:                             ;   in Loop: Header=BB288_9 Depth=1
	s_or_b64 exec, exec, s[16:17]
	global_load_ubyte v50, v[5:6], off offset:648
	v_mov_b32_e32 v49, 0
	v_mov_b32_e32 v48, 0
	s_waitcnt vmcnt(0)
	v_cmp_ne_u16_e64 s[6:7], 0, v50
	s_and_saveexec_b64 s[16:17], s[6:7]
	s_cbranch_execz .LBB288_81
; %bb.76:                               ;   in Loop: Header=BB288_9 Depth=1
	v_cmp_ne_u16_e64 s[6:7], s43, v50
	v_bfrev_b32_e32 v48, 1
	s_and_saveexec_b64 s[36:37], s[6:7]
	s_cbranch_execz .LBB288_80
; %bb.77:                               ;   in Loop: Header=BB288_9 Depth=1
	v_and_b32_e32 v7, 0xffff, v50
	v_and_b32_e32 v51, 0x7f, v7
	v_cmp_ne_u32_e64 s[6:7], s44, v51
	v_mov_b32_e32 v48, 0x7f800001
	s_and_saveexec_b64 s[38:39], s[6:7]
	s_cbranch_execz .LBB288_79
; %bb.78:                               ;   in Loop: Header=BB288_9 Depth=1
	v_and_b32_e32 v48, 7, v7
	v_ffbh_u32_e32 v52, v48
	v_min_u32_e32 v55, 32, v52
	v_subrev_u32_e32 v52, 28, v55
	v_lshlrev_b64 v[52:53], v52, v[7:8]
	v_lshrrev_b32_e32 v54, 3, v51
	v_sub_u32_e32 v7, 29, v55
	v_and_b32_e32 v52, 7, v52
	v_cmp_gt_u32_e64 s[6:7], 8, v51
	v_cndmask_b32_e64 v7, v54, v7, s[6:7]
	v_cndmask_b32_e64 v48, v48, v52, s[6:7]
	v_lshlrev_b32_e32 v50, 24, v50
	v_lshlrev_b32_e32 v48, 20, v48
	v_and_b32_e32 v50, 0x80000000, v50
	v_lshl_add_u32 v7, v7, 23, v35
	v_or3_b32 v48, v50, v7, v48
.LBB288_79:                             ;   in Loop: Header=BB288_9 Depth=1
	s_or_b64 exec, exec, s[38:39]
.LBB288_80:                             ;   in Loop: Header=BB288_9 Depth=1
	s_or_b64 exec, exec, s[36:37]
.LBB288_81:                             ;   in Loop: Header=BB288_9 Depth=1
	s_or_b64 exec, exec, s[16:17]
	global_load_ubyte v50, v[5:6], off offset:768
	s_waitcnt vmcnt(0)
	v_cmp_ne_u16_e64 s[6:7], 0, v50
	s_and_saveexec_b64 s[16:17], s[6:7]
	s_cbranch_execz .LBB288_87
; %bb.82:                               ;   in Loop: Header=BB288_9 Depth=1
	v_cmp_ne_u16_e64 s[6:7], s43, v50
	v_bfrev_b32_e32 v49, 1
	s_and_saveexec_b64 s[36:37], s[6:7]
	s_cbranch_execz .LBB288_86
; %bb.83:                               ;   in Loop: Header=BB288_9 Depth=1
	v_and_b32_e32 v7, 0xffff, v50
	v_and_b32_e32 v51, 0x7f, v7
	v_cmp_ne_u32_e64 s[6:7], s44, v51
	v_mov_b32_e32 v49, 0x7f800001
	s_and_saveexec_b64 s[38:39], s[6:7]
	s_cbranch_execz .LBB288_85
; %bb.84:                               ;   in Loop: Header=BB288_9 Depth=1
	v_and_b32_e32 v49, 7, v7
	v_ffbh_u32_e32 v52, v49
	v_min_u32_e32 v55, 32, v52
	v_subrev_u32_e32 v52, 28, v55
	v_lshlrev_b64 v[52:53], v52, v[7:8]
	v_lshrrev_b32_e32 v54, 3, v51
	v_sub_u32_e32 v7, 29, v55
	v_and_b32_e32 v52, 7, v52
	v_cmp_gt_u32_e64 s[6:7], 8, v51
	v_cndmask_b32_e64 v7, v54, v7, s[6:7]
	v_cndmask_b32_e64 v49, v49, v52, s[6:7]
	v_lshlrev_b32_e32 v50, 24, v50
	v_lshlrev_b32_e32 v49, 20, v49
	v_and_b32_e32 v50, 0x80000000, v50
	v_lshl_add_u32 v7, v7, 23, v35
	v_or3_b32 v49, v50, v7, v49
.LBB288_85:                             ;   in Loop: Header=BB288_9 Depth=1
	s_or_b64 exec, exec, s[38:39]
.LBB288_86:                             ;   in Loop: Header=BB288_9 Depth=1
	s_or_b64 exec, exec, s[36:37]
.LBB288_87:                             ;   in Loop: Header=BB288_9 Depth=1
	s_or_b64 exec, exec, s[16:17]
	global_load_ubyte v52, v[5:6], off offset:776
	v_mov_b32_e32 v50, 0
	v_mov_b32_e32 v51, 0
	s_waitcnt vmcnt(0)
	v_cmp_ne_u16_e64 s[6:7], 0, v52
	s_and_saveexec_b64 s[16:17], s[6:7]
	s_cbranch_execz .LBB288_93
; %bb.88:                               ;   in Loop: Header=BB288_9 Depth=1
	v_cmp_ne_u16_e64 s[6:7], s43, v52
	v_bfrev_b32_e32 v51, 1
	s_and_saveexec_b64 s[36:37], s[6:7]
	s_cbranch_execz .LBB288_92
; %bb.89:                               ;   in Loop: Header=BB288_9 Depth=1
	v_and_b32_e32 v7, 0xffff, v52
	v_and_b32_e32 v53, 0x7f, v7
	v_cmp_ne_u32_e64 s[6:7], s44, v53
	v_mov_b32_e32 v51, 0x7f800001
	s_and_saveexec_b64 s[38:39], s[6:7]
	s_cbranch_execz .LBB288_91
; %bb.90:                               ;   in Loop: Header=BB288_9 Depth=1
	v_and_b32_e32 v51, 7, v7
	v_ffbh_u32_e32 v54, v51
	v_min_u32_e32 v57, 32, v54
	v_subrev_u32_e32 v54, 28, v57
	v_lshlrev_b64 v[54:55], v54, v[7:8]
	v_lshrrev_b32_e32 v56, 3, v53
	v_sub_u32_e32 v7, 29, v57
	v_and_b32_e32 v54, 7, v54
	v_cmp_gt_u32_e64 s[6:7], 8, v53
	v_cndmask_b32_e64 v7, v56, v7, s[6:7]
	v_cndmask_b32_e64 v51, v51, v54, s[6:7]
	v_lshlrev_b32_e32 v52, 24, v52
	v_lshlrev_b32_e32 v51, 20, v51
	v_and_b32_e32 v52, 0x80000000, v52
	v_lshl_add_u32 v7, v7, 23, v35
	v_or3_b32 v51, v52, v7, v51
.LBB288_91:                             ;   in Loop: Header=BB288_9 Depth=1
	s_or_b64 exec, exec, s[38:39]
.LBB288_92:                             ;   in Loop: Header=BB288_9 Depth=1
	s_or_b64 exec, exec, s[36:37]
.LBB288_93:                             ;   in Loop: Header=BB288_9 Depth=1
	s_or_b64 exec, exec, s[16:17]
	global_load_ubyte v6, v[5:6], off offset:896
	s_waitcnt vmcnt(0)
	v_cmp_ne_u16_e64 s[6:7], 0, v6
	s_and_saveexec_b64 s[16:17], s[6:7]
	s_cbranch_execz .LBB288_99
; %bb.94:                               ;   in Loop: Header=BB288_9 Depth=1
	v_cmp_ne_u16_e64 s[6:7], s43, v6
	v_bfrev_b32_e32 v50, 1
	s_and_saveexec_b64 s[36:37], s[6:7]
	s_cbranch_execz .LBB288_98
; %bb.95:                               ;   in Loop: Header=BB288_9 Depth=1
	v_and_b32_e32 v5, 0xffff, v6
	v_and_b32_e32 v7, 0x7f, v5
	v_cmp_ne_u32_e64 s[6:7], s44, v7
	v_mov_b32_e32 v50, 0x7f800001
	s_and_saveexec_b64 s[38:39], s[6:7]
	s_cbranch_execz .LBB288_97
; %bb.96:                               ;   in Loop: Header=BB288_9 Depth=1
	v_and_b32_e32 v50, 7, v5
	v_ffbh_u32_e32 v52, v50
	v_min_u32_e32 v55, 32, v52
	v_subrev_u32_e32 v52, 28, v55
	v_lshlrev_b64 v[52:53], v52, v[5:6]
	v_lshrrev_b32_e32 v54, 3, v7
	v_sub_u32_e32 v5, 29, v55
	v_and_b32_e32 v52, 7, v52
	v_cmp_gt_u32_e64 s[6:7], 8, v7
	v_cndmask_b32_e64 v5, v54, v5, s[6:7]
	v_cndmask_b32_e64 v7, v50, v52, s[6:7]
	v_lshlrev_b32_e32 v6, 24, v6
	v_lshlrev_b32_e32 v7, 20, v7
	v_and_b32_e32 v6, 0x80000000, v6
	v_lshl_add_u32 v5, v5, 23, v35
	v_or3_b32 v50, v6, v5, v7
.LBB288_97:                             ;   in Loop: Header=BB288_9 Depth=1
	s_or_b64 exec, exec, s[38:39]
.LBB288_98:                             ;   in Loop: Header=BB288_9 Depth=1
	s_or_b64 exec, exec, s[36:37]
.LBB288_99:                             ;   in Loop: Header=BB288_9 Depth=1
	s_or_b64 exec, exec, s[16:17]
	v_mul_f32_e32 v5, s42, v51
	v_bfe_u32 v6, v5, 16, 1
	v_add3_u32 v6, v6, v5, s45
	v_or_b32_e32 v7, 0x400000, v5
	v_cmp_u_f32_e64 s[6:7], v5, v5
	v_cndmask_b32_e64 v5, v6, v7, s[6:7]
	v_mul_f32_e32 v6, s42, v49
	v_bfe_u32 v7, v6, 16, 1
	v_add3_u32 v7, v7, v6, s45
	v_or_b32_e32 v49, 0x400000, v6
	v_cmp_u_f32_e64 s[6:7], v6, v6
	v_cndmask_b32_e64 v6, v7, v49, s[6:7]
	v_mul_f32_e32 v7, s42, v48
	v_bfe_u32 v48, v7, 16, 1
	v_add3_u32 v48, v48, v7, s45
	v_or_b32_e32 v49, 0x400000, v7
	v_cmp_u_f32_e64 s[6:7], v7, v7
	v_mul_f32_e32 v47, s42, v47
	v_cndmask_b32_e64 v7, v48, v49, s[6:7]
	v_bfe_u32 v48, v47, 16, 1
	v_add3_u32 v48, v48, v47, s45
	v_or_b32_e32 v49, 0x400000, v47
	v_cmp_u_f32_e64 s[6:7], v47, v47
	v_mul_f32_e32 v46, s42, v46
	v_cndmask_b32_e64 v47, v48, v49, s[6:7]
	;; [unrolled: 6-line block ×11, first 2 shown]
	v_bfe_u32 v48, v37, 16, 1
	v_add3_u32 v48, v48, v37, s45
	v_or_b32_e32 v49, 0x400000, v37
	v_cmp_u_f32_e64 s[6:7], v37, v37
	v_cndmask_b32_e64 v37, v48, v49, s[6:7]
	v_and_b32_e32 v38, 0xffff0000, v38
	v_and_b32_e32 v37, 0xffff0000, v37
	v_mul_f32_e32 v38, v13, v38
	v_fmac_f32_e32 v38, v12, v37
	v_and_b32_e32 v37, 0xffff0000, v39
	v_fmac_f32_e32 v38, v14, v37
	v_and_b32_e32 v37, 0xffff0000, v40
	;; [unrolled: 2-line block ×8, first 2 shown]
	v_mul_f32_e32 v48, s42, v50
	v_fmac_f32_e32 v38, v21, v37
	v_and_b32_e32 v37, 0xffff0000, v47
	v_bfe_u32 v49, v48, 16, 1
	v_fmac_f32_e32 v38, v24, v37
	v_and_b32_e32 v7, 0xffff0000, v7
	v_add3_u32 v49, v49, v48, s45
	v_or_b32_e32 v50, 0x400000, v48
	v_cmp_u_f32_e64 s[6:7], v48, v48
	v_fmac_f32_e32 v38, v25, v7
	v_and_b32_e32 v6, 0xffff0000, v6
	v_cndmask_b32_e64 v48, v49, v50, s[6:7]
	v_fmac_f32_e32 v38, v26, v6
	v_and_b32_e32 v5, 0xffff0000, v5
	v_fmac_f32_e32 v38, v27, v5
	v_and_b32_e32 v5, 0xffff0000, v48
	v_fmac_f32_e32 v38, v29, v5
	ds_bpermute_b32 v5, v30, v38
	s_waitcnt lgkmcnt(0)
	v_add_f32_e32 v5, v38, v5
	ds_bpermute_b32 v6, v31, v5
	s_waitcnt lgkmcnt(0)
	v_add_f32_e32 v5, v5, v6
	ds_bpermute_b32 v6, v32, v5
	s_and_saveexec_b64 s[16:17], vcc
	s_cbranch_execz .LBB288_8
; %bb.100:                              ;   in Loop: Header=BB288_9 Depth=1
	v_add_u32_e32 v7, s40, v33
	v_cvt_f32_i32_e32 v7, v7
	s_waitcnt lgkmcnt(0)
	v_add_f32_e32 v5, v5, v6
	v_cmp_gt_i32_e64 s[6:7], s21, v33
	v_max_f32_e32 v6, v28, v28
	v_mul_f32_e32 v7, s10, v7
	v_cndmask_b32_e64 v7, 0, v7, s[4:5]
	v_fmac_f32_e32 v7, s11, v5
	v_cndmask_b32_e64 v5, 0, v7, s[6:7]
	ds_write_b32 v34, v5
	v_max_f32_e32 v5, v6, v7
	v_cndmask_b32_e64 v28, v28, v5, s[6:7]
	s_branch .LBB288_8
.LBB288_101:
	s_or_b64 exec, exec, s[14:15]
.LBB288_102:
	s_or_b64 exec, exec, s[34:35]
	v_xor_b32_e32 v1, 32, v9
	v_cmp_lt_i32_e32 vcc, v1, v10
	v_cndmask_b32_e32 v1, v9, v1, vcc
	v_lshlrev_b32_e32 v2, 2, v1
	ds_bpermute_b32 v1, v2, v28
	v_xor_b32_e32 v4, 16, v9
	v_max_f32_e32 v3, v28, v28
	v_cmp_lt_i32_e32 vcc, v4, v10
	v_xor_b32_e32 v5, 8, v9
	s_waitcnt lgkmcnt(0)
	v_max_f32_e32 v1, v1, v1
	v_max_f32_e32 v1, v3, v1
	v_cndmask_b32_e32 v3, v9, v4, vcc
	v_lshlrev_b32_e32 v4, 2, v3
	ds_bpermute_b32 v3, v4, v1
	v_cmp_lt_i32_e32 vcc, v5, v10
	v_and_b32_e32 v24, 63, v0
	s_waitcnt lgkmcnt(0)
	v_max_f32_e32 v3, v3, v3
	v_max_f32_e32 v3, v1, v3
	v_cndmask_b32_e32 v1, v9, v5, vcc
	v_lshlrev_b32_e32 v6, 2, v1
	ds_bpermute_b32 v5, v6, v3
	v_cmp_eq_u32_e32 vcc, 0, v24
	v_lshlrev_b32_e32 v1, 2, v23
	s_and_saveexec_b64 s[4:5], vcc
	s_cbranch_execz .LBB288_104
; %bb.103:
	s_waitcnt lgkmcnt(0)
	v_max_f32_e32 v5, v5, v5
	v_max_f32_e32 v3, v3, v3
	;; [unrolled: 1-line block ×3, first 2 shown]
	ds_write_b32 v1, v3 offset:240
.LBB288_104:
	s_or_b64 exec, exec, s[4:5]
	v_cmp_gt_u32_e64 s[4:5], 2, v24
	v_mov_b32_e32 v7, 0xff7fffff
	v_lshlrev_b32_e32 v3, 2, v24
	s_waitcnt lgkmcnt(0)
	s_barrier
	s_and_saveexec_b64 s[6:7], s[4:5]
; %bb.105:
	ds_read_b32 v7, v3 offset:240
; %bb.106:
	s_or_b64 exec, exec, s[6:7]
	v_xor_b32_e32 v5, 1, v9
	v_cmp_lt_i32_e64 s[6:7], v5, v10
	v_cndmask_b32_e64 v5, v9, v5, s[6:7]
	v_lshlrev_b32_e32 v5, 2, v5
	s_waitcnt lgkmcnt(0)
	ds_bpermute_b32 v12, v5, v7
	v_max_f32_e32 v7, v7, v7
	v_lshlrev_b32_e32 v11, 2, v11
	s_lshl_b32 s6, s33, 3
	s_min_i32 s34, s6, s21
	s_waitcnt lgkmcnt(0)
	v_max_f32_e32 v12, v12, v12
	v_max_f32_e32 v7, v7, v12
	ds_bpermute_b32 v11, v11, v7
	v_cmp_gt_i32_e64 s[6:7], s34, v0
	v_mov_b32_e32 v7, 0
	s_and_saveexec_b64 s[14:15], s[6:7]
	s_cbranch_execz .LBB288_110
; %bb.107:
	v_mov_b32_e32 v7, 0x100
	v_lshl_add_u32 v12, v0, 2, v7
	v_mov_b32_e32 v7, 0
	s_mov_b64 s[16:17], 0
	v_mov_b32_e32 v13, v0
.LBB288_108:                            ; =>This Inner Loop Header: Depth=1
	ds_read_b32 v14, v12
	v_add_u32_e32 v13, 0x80, v13
	v_cmp_le_i32_e64 s[10:11], s34, v13
	s_or_b64 s[16:17], s[10:11], s[16:17]
	s_waitcnt lgkmcnt(0)
	v_sub_f32_e32 v14, v14, v11
	v_mul_f32_e32 v14, 0x3fb8aa3b, v14
	v_exp_f32_e32 v14, v14
	ds_write_b32 v12, v14
	v_add_f32_e32 v7, v7, v14
	v_add_u32_e32 v12, 0x200, v12
	s_andn2_b64 exec, exec, s[16:17]
	s_cbranch_execnz .LBB288_108
; %bb.109:
	s_or_b64 exec, exec, s[16:17]
.LBB288_110:
	s_or_b64 exec, exec, s[14:15]
	ds_bpermute_b32 v2, v2, v7
	s_waitcnt lgkmcnt(0)
	v_add_f32_e32 v2, v7, v2
	ds_bpermute_b32 v4, v4, v2
	s_waitcnt lgkmcnt(0)
	v_add_f32_e32 v2, v2, v4
	ds_bpermute_b32 v4, v6, v2
	v_xor_b32_e32 v6, 4, v9
	v_cmp_lt_i32_e64 s[10:11], v6, v10
	v_cndmask_b32_e64 v6, v9, v6, s[10:11]
	v_lshlrev_b32_e32 v6, 2, v6
	s_waitcnt lgkmcnt(0)
	v_add_f32_e32 v2, v2, v4
	ds_bpermute_b32 v4, v6, v2
	v_xor_b32_e32 v6, 2, v9
	v_cmp_lt_i32_e64 s[10:11], v6, v10
	v_cndmask_b32_e64 v6, v9, v6, s[10:11]
	s_waitcnt lgkmcnt(0)
	v_add_f32_e32 v2, v2, v4
	v_lshlrev_b32_e32 v4, 2, v6
	ds_bpermute_b32 v4, v4, v2
	s_waitcnt lgkmcnt(0)
	v_add_f32_e32 v2, v2, v4
	ds_bpermute_b32 v4, v5, v2
	s_waitcnt lgkmcnt(0)
	v_add_f32_e32 v2, v2, v4
	s_and_saveexec_b64 s[10:11], vcc
; %bb.111:
	ds_write_b32 v1, v2 offset:248
; %bb.112:
	s_or_b64 exec, exec, s[10:11]
	s_waitcnt lgkmcnt(0)
	s_barrier
	s_and_saveexec_b64 s[10:11], s[4:5]
; %bb.113:
	ds_read_b32 v2, v3 offset:248
; %bb.114:
	s_or_b64 exec, exec, s[10:11]
	s_waitcnt lgkmcnt(0)
	ds_bpermute_b32 v1, v5, v2
	v_lshlrev_b32_e32 v3, 2, v9
	s_waitcnt lgkmcnt(0)
	v_add_f32_e32 v1, v2, v1
	v_and_b32_e32 v2, 0xffffff00, v3
	ds_bpermute_b32 v1, v2, v1
	s_and_saveexec_b64 s[4:5], s[6:7]
	s_cbranch_execz .LBB288_117
; %bb.115:
	s_waitcnt lgkmcnt(0)
	v_add_f32_e32 v2, 0x358637bd, v1
	v_div_scale_f32 v1, s[6:7], v2, v2, 1.0
	v_div_scale_f32 v3, vcc, 1.0, v2, 1.0
	s_mov_b64 s[6:7], 0
	v_rcp_f32_e32 v4, v1
	v_fma_f32 v5, -v1, v4, 1.0
	v_fmac_f32_e32 v4, v5, v4
	v_mul_f32_e32 v5, v3, v4
	v_fma_f32 v6, -v1, v5, v3
	v_fmac_f32_e32 v5, v6, v4
	v_fma_f32 v1, -v1, v5, v3
	v_div_fmas_f32 v3, v1, v4, v5
	v_mov_b32_e32 v1, 0x100
	v_lshl_add_u32 v1, v0, 2, v1
	v_div_fixup_f32 v2, v3, v2, 1.0
	v_mov_b32_e32 v3, v0
.LBB288_116:                            ; =>This Inner Loop Header: Depth=1
	ds_read_b32 v4, v1
	v_add_u32_e32 v3, 0x80, v3
	v_cmp_le_i32_e32 vcc, s34, v3
	s_or_b64 s[6:7], vcc, s[6:7]
	s_waitcnt lgkmcnt(0)
	v_mul_f32_e32 v4, v2, v4
	ds_write_b32 v1, v4
	v_add_u32_e32 v1, 0x200, v1
	s_andn2_b64 exec, exec, s[6:7]
	s_cbranch_execnz .LBB288_116
.LBB288_117:
	s_or_b64 exec, exec, s[4:5]
	v_mov_b32_e32 v12, 0
	v_mov_b32_e32 v11, v12
	;; [unrolled: 1-line block ×4, first 2 shown]
	s_waitcnt lgkmcnt(0)
	s_barrier
	s_and_saveexec_b64 s[6:7], s[2:3]
	s_cbranch_execz .LBB288_223
; %bb.118:
	s_ashr_i32 s2, s12, 31
	s_add_u32 s4, s30, s12
	s_addc_u32 s5, s31, s2
	v_or_b32_e32 v1, 64, v24
	s_movk_i32 s2, 0x78
	s_add_i32 s30, s33, -1
	s_load_dword s31, s[18:19], 0x0
	v_cmp_gt_u32_e32 vcc, s2, v1
	s_lshl_b64 s[2:3], s[28:29], 2
	v_lshlrev_b32_e32 v26, 3, v1
	v_mov_b32_e32 v1, 0x100
	s_add_u32 s2, s26, s2
	v_lshl_add_u32 v28, v23, 5, v1
	v_and_b32_e32 v1, 60, v8
	s_addc_u32 s3, s27, s3
	v_mov_b32_e32 v11, v12
	s_mov_b32 s10, -1
	v_mov_b32_e32 v2, s3
	v_add_co_u32_e64 v13, s[2:3], s2, v1
	v_mov_b32_e32 v16, s5
	v_mov_b32_e32 v9, v11
	s_mov_b32 s34, s13
	s_mov_b32 s11, 0xffffff
	v_lshlrev_b32_e32 v25, 3, v24
	v_lshl_or_b32 v27, v23, 3, 7
	v_addc_co_u32_e64 v14, s[2:3], 0, v2, s[2:3]
	s_mov_b64 s[12:13], 0
	v_mov_b32_e32 v15, s4
	s_movk_i32 s28, 0x80
	s_movk_i32 s29, 0x7f
	;; [unrolled: 1-line block ×3, first 2 shown]
	s_mov_b32 s36, 0x7060302
	v_bfrev_b32_e32 v29, 60
	v_mov_b32_e32 v10, v12
	s_branch .LBB288_121
.LBB288_119:                            ;   in Loop: Header=BB288_121 Depth=1
	s_or_b64 exec, exec, s[4:5]
	v_perm_b32 v5, v6, v5, s36
	v_perm_b32 v6, v8, v7, s36
	v_lshlrev_b32_e32 v8, 16, v5
	v_lshlrev_b32_e32 v19, 16, v32
	v_mul_f32_e32 v8, v8, v19
	v_and_b32_e32 v5, 0xffff0000, v5
	v_lshlrev_b32_e32 v18, 16, v18
	v_bfe_u32 v19, v8, 16, 1
	v_mul_f32_e32 v5, v5, v18
	v_perm_b32 v7, v21, v20, s36
	v_add3_u32 v19, v19, v8, s35
	v_or_b32_e32 v20, 0x400000, v8
	v_cmp_u_f32_e64 s[2:3], v8, v8
	v_bfe_u32 v18, v5, 16, 1
	v_cndmask_b32_e64 v8, v19, v20, s[2:3]
	v_add3_u32 v18, v18, v5, s35
	v_or_b32_e32 v19, 0x400000, v5
	v_cmp_u_f32_e64 s[2:3], v5, v5
	v_cndmask_b32_e64 v5, v18, v19, s[2:3]
	v_lshlrev_b32_e32 v18, 16, v6
	v_lshlrev_b32_e32 v19, 16, v31
	v_mul_f32_e32 v18, v18, v19
	v_and_b32_e32 v6, 0xffff0000, v6
	v_lshlrev_b32_e32 v3, 16, v3
	v_bfe_u32 v19, v18, 16, 1
	v_mul_f32_e32 v3, v6, v3
	v_add3_u32 v19, v19, v18, s35
	v_or_b32_e32 v20, 0x400000, v18
	v_cmp_u_f32_e64 s[2:3], v18, v18
	v_bfe_u32 v6, v3, 16, 1
	v_cndmask_b32_e64 v18, v19, v20, s[2:3]
	v_add3_u32 v6, v6, v3, s35
	v_or_b32_e32 v19, 0x400000, v3
	v_cmp_u_f32_e64 s[2:3], v3, v3
	v_cndmask_b32_e64 v3, v6, v19, s[2:3]
	v_lshlrev_b32_e32 v6, 16, v7
	v_lshlrev_b32_e32 v2, 16, v2
	v_mul_f32_e32 v2, v6, v2
	v_bfe_u32 v6, v2, 16, 1
	v_add3_u32 v6, v6, v2, s35
	v_or_b32_e32 v19, 0x400000, v2
	v_cmp_u_f32_e64 s[2:3], v2, v2
	v_cndmask_b32_e64 v2, v6, v19, s[2:3]
	v_and_b32_e32 v6, 0xffff0000, v7
	v_lshlrev_b32_e32 v1, 16, v1
	v_mul_f32_e32 v1, v6, v1
	v_bfe_u32 v6, v1, 16, 1
	v_perm_b32 v4, v4, v30, s36
	v_add3_u32 v6, v6, v1, s35
	v_or_b32_e32 v7, 0x400000, v1
	v_cmp_u_f32_e64 s[2:3], v1, v1
	v_cndmask_b32_e64 v1, v6, v7, s[2:3]
	v_lshlrev_b32_e32 v6, 16, v4
	v_lshlrev_b32_e32 v7, 16, v17
	v_mul_f32_e32 v6, v6, v7
	v_bfe_u32 v7, v6, 16, 1
	v_add3_u32 v7, v7, v6, s35
	v_or_b32_e32 v17, 0x400000, v6
	v_cmp_u_f32_e64 s[2:3], v6, v6
	v_cndmask_b32_e64 v6, v7, v17, s[2:3]
	v_and_b32_e32 v4, 0xffff0000, v4
	v_lshlrev_b32_e32 v7, 16, v11
	v_mul_f32_e32 v4, v4, v7
	v_bfe_u32 v7, v4, 16, 1
	v_add3_u32 v7, v7, v4, s35
	v_or_b32_e32 v11, 0x400000, v4
	v_cmp_u_f32_e64 s[2:3], v4, v4
	v_cndmask_b32_e64 v4, v7, v11, s[2:3]
	v_and_b32_e32 v5, 0xffff0000, v5
	v_and_b32_e32 v7, 0xffff0000, v8
	v_add_f32_e32 v5, v7, v5
	v_and_b32_e32 v3, 0xffff0000, v3
	v_and_b32_e32 v7, 0xffff0000, v18
	v_add_f32_e32 v3, v7, v3
	;; [unrolled: 3-line block ×3, first 2 shown]
	v_add_f32_e32 v1, v2, v1
	v_add_f32_e32 v1, v1, v3
	v_and_b32_e32 v2, 0xffff0000, v4
	v_and_b32_e32 v3, 0xffff0000, v6
	v_add_f32_e32 v2, v3, v2
	v_add_f32_e32 v1, v2, v1
	;; [unrolled: 1-line block ×3, first 2 shown]
.LBB288_120:                            ;   in Loop: Header=BB288_121 Depth=1
	s_or_b64 exec, exec, s[14:15]
	v_add_u32_e32 v23, 2, v23
	v_cmp_le_i32_e64 s[2:3], s33, v23
	s_or_b64 s[12:13], s[2:3], s[12:13]
	v_add_co_u32_e64 v13, s[2:3], 8, v13
	v_add_u32_e32 v27, 16, v27
	v_add_u32_e32 v28, 64, v28
	v_addc_co_u32_e64 v14, s[2:3], 0, v14, s[2:3]
	s_andn2_b64 exec, exec, s[12:13]
	s_cbranch_execz .LBB288_222
.LBB288_121:                            ; =>This Inner Loop Header: Depth=1
	global_load_dword v1, v[13:14], off
	v_mov_b32_e32 v30, 0
	s_waitcnt vmcnt(0)
	v_mad_i64_i32 v[17:18], s[2:3], v1, s34, v[15:16]
	v_add_co_u32_e64 v1, s[2:3], v17, v25
	v_addc_co_u32_e64 v2, s[2:3], 0, v18, s[2:3]
	global_load_dwordx2 v[19:20], v[1:2], off
	ds_read2_b64 v[5:8], v28 offset1:1
	ds_read2_b64 v[1:4], v28 offset0:2 offset1:3
	s_waitcnt vmcnt(0)
	v_cmp_ne_u16_sdwa s[2:3], v19, v12 src0_sel:BYTE_0 src1_sel:DWORD
	s_and_saveexec_b64 s[4:5], s[2:3]
	s_cbranch_execz .LBB288_127
; %bb.122:                              ;   in Loop: Header=BB288_121 Depth=1
	v_cmp_ne_u16_sdwa s[2:3], v19, s28 src0_sel:BYTE_0 src1_sel:DWORD
	v_bfrev_b32_e32 v30, 1
	s_and_saveexec_b64 s[14:15], s[2:3]
	s_cbranch_execz .LBB288_126
; %bb.123:                              ;   in Loop: Header=BB288_121 Depth=1
	v_and_b32_e32 v11, 0x7f, v19
	v_cmp_ne_u32_e64 s[2:3], s29, v11
	v_mov_b32_e32 v30, 0x7f800001
	s_and_saveexec_b64 s[16:17], s[2:3]
	s_cbranch_execz .LBB288_125
; %bb.124:                              ;   in Loop: Header=BB288_121 Depth=1
	v_and_b32_e32 v21, 7, v19
	v_ffbh_u32_e32 v21, v21
	v_min_u32_e32 v21, 32, v21
	v_lshrrev_b32_e32 v30, 3, v11
	v_subrev_u32_e32 v31, 28, v21
	v_sub_u32_e32 v21, 29, v21
	v_cmp_gt_u32_e64 s[2:3], 8, v11
	v_cndmask_b32_e64 v11, v30, v21, s[2:3]
	v_cndmask_b32_e64 v21, 0, v31, s[2:3]
	v_lshlrev_b64 v[30:31], v21, v[19:20]
	v_lshl_add_u32 v11, v11, 23, v29
	v_lshlrev_b32_e32 v21, 20, v30
	v_lshlrev_b32_e32 v30, 24, v19
	v_and_b32_e32 v21, 0x700000, v21
	v_and_b32_e32 v30, 0x80000000, v30
	v_or3_b32 v30, v30, v11, v21
.LBB288_125:                            ;   in Loop: Header=BB288_121 Depth=1
	s_or_b64 exec, exec, s[16:17]
.LBB288_126:                            ;   in Loop: Header=BB288_121 Depth=1
	s_or_b64 exec, exec, s[14:15]
.LBB288_127:                            ;   in Loop: Header=BB288_121 Depth=1
	s_or_b64 exec, exec, s[4:5]
	v_lshrrev_b16_e32 v11, 8, v19
	v_cmp_ne_u16_e64 s[2:3], 0, v11
	v_mov_b32_e32 v32, 0
	v_mov_b32_e32 v31, 0
	s_and_saveexec_b64 s[4:5], s[2:3]
	s_cbranch_execz .LBB288_133
; %bb.128:                              ;   in Loop: Header=BB288_121 Depth=1
	v_cmp_ne_u16_e64 s[2:3], s28, v11
	v_bfrev_b32_e32 v31, 1
	s_and_saveexec_b64 s[14:15], s[2:3]
	s_cbranch_execz .LBB288_132
; %bb.129:                              ;   in Loop: Header=BB288_121 Depth=1
	v_and_b32_e32 v21, 0x7f, v11
	v_cmp_ne_u32_e64 s[2:3], s29, v21
	v_mov_b32_e32 v31, 0x7f800001
	s_and_saveexec_b64 s[16:17], s[2:3]
	s_cbranch_execz .LBB288_131
; %bb.130:                              ;   in Loop: Header=BB288_121 Depth=1
	v_and_b32_e32 v31, 7, v11
	v_ffbh_u32_e32 v33, v31
	v_min_u32_e32 v36, 32, v33
	v_subrev_u32_e32 v33, 28, v36
	v_lshlrev_b64 v[33:34], v33, v[11:12]
	v_lshrrev_b32_e32 v35, 3, v21
	v_sub_u32_e32 v11, 29, v36
	v_and_b32_e32 v33, 7, v33
	v_cmp_gt_u32_e64 s[2:3], 8, v21
	v_cndmask_b32_e64 v11, v35, v11, s[2:3]
	v_cndmask_b32_e64 v21, v31, v33, s[2:3]
	v_lshlrev_b32_e32 v31, 16, v19
	v_lshlrev_b32_e32 v21, 20, v21
	v_and_b32_e32 v31, 0x80000000, v31
	v_lshl_add_u32 v11, v11, 23, v29
	v_or3_b32 v31, v31, v11, v21
.LBB288_131:                            ;   in Loop: Header=BB288_121 Depth=1
	s_or_b64 exec, exec, s[16:17]
.LBB288_132:                            ;   in Loop: Header=BB288_121 Depth=1
	s_or_b64 exec, exec, s[14:15]
.LBB288_133:                            ;   in Loop: Header=BB288_121 Depth=1
	s_or_b64 exec, exec, s[4:5]
	v_lshrrev_b32_e32 v11, 16, v19
	v_cmp_ne_u16_sdwa s[2:3], v11, v12 src0_sel:BYTE_0 src1_sel:DWORD
	s_and_saveexec_b64 s[4:5], s[2:3]
	s_cbranch_execz .LBB288_139
; %bb.134:                              ;   in Loop: Header=BB288_121 Depth=1
	v_cmp_ne_u16_sdwa s[2:3], v11, s28 src0_sel:BYTE_0 src1_sel:DWORD
	v_bfrev_b32_e32 v32, 1
	s_and_saveexec_b64 s[14:15], s[2:3]
	s_cbranch_execz .LBB288_138
; %bb.135:                              ;   in Loop: Header=BB288_121 Depth=1
	v_bfe_u32 v21, v19, 16, 7
	v_cmp_ne_u32_e64 s[2:3], s29, v21
	v_mov_b32_e32 v32, 0x7f800001
	s_and_saveexec_b64 s[16:17], s[2:3]
	s_cbranch_execz .LBB288_137
; %bb.136:                              ;   in Loop: Header=BB288_121 Depth=1
	v_and_b32_e32 v34, 7, v11
	v_ffbh_u32_e32 v32, v34
	v_min_u32_e32 v36, 32, v32
	v_subrev_u32_e32 v32, 28, v36
	v_lshlrev_b64 v[32:33], v32, v[11:12]
	v_lshrrev_b32_e32 v35, 3, v21
	v_sub_u32_e32 v33, 29, v36
	v_and_b32_e32 v32, 7, v32
	v_cmp_gt_u32_e64 s[2:3], 8, v21
	v_cndmask_b32_e64 v21, v35, v33, s[2:3]
	v_cndmask_b32_e64 v32, v34, v32, s[2:3]
	v_lshlrev_b32_e32 v11, 24, v11
	v_lshlrev_b32_e32 v32, 20, v32
	v_and_b32_e32 v11, 0x80000000, v11
	v_lshl_add_u32 v21, v21, 23, v29
	v_or3_b32 v32, v11, v21, v32
.LBB288_137:                            ;   in Loop: Header=BB288_121 Depth=1
	s_or_b64 exec, exec, s[16:17]
.LBB288_138:                            ;   in Loop: Header=BB288_121 Depth=1
	s_or_b64 exec, exec, s[14:15]
.LBB288_139:                            ;   in Loop: Header=BB288_121 Depth=1
	s_or_b64 exec, exec, s[4:5]
	v_cmp_lt_u32_e64 s[2:3], s11, v19
	v_mov_b32_e32 v34, 0
	v_mov_b32_e32 v33, 0
	s_and_saveexec_b64 s[4:5], s[2:3]
	s_cbranch_execz .LBB288_145
; %bb.140:                              ;   in Loop: Header=BB288_121 Depth=1
	v_lshrrev_b32_e32 v11, 24, v19
	v_cmp_ne_u32_e64 s[2:3], s28, v11
	v_bfrev_b32_e32 v33, 1
	s_and_saveexec_b64 s[14:15], s[2:3]
	s_cbranch_execz .LBB288_144
; %bb.141:                              ;   in Loop: Header=BB288_121 Depth=1
	v_bfe_u32 v21, v19, 24, 7
	v_cmp_ne_u32_e64 s[2:3], s29, v21
	v_mov_b32_e32 v33, 0x7f800001
	s_and_saveexec_b64 s[16:17], s[2:3]
	s_cbranch_execz .LBB288_143
; %bb.142:                              ;   in Loop: Header=BB288_121 Depth=1
	v_and_b32_e32 v33, 7, v11
	v_ffbh_u32_e32 v35, v33
	v_min_u32_e32 v38, 32, v35
	v_subrev_u32_e32 v35, 28, v38
	v_lshlrev_b64 v[35:36], v35, v[11:12]
	v_lshrrev_b32_e32 v37, 3, v21
	v_sub_u32_e32 v36, 29, v38
	v_and_b32_e32 v35, 7, v35
	v_cmp_gt_u32_e64 s[2:3], 8, v21
	v_cndmask_b32_e64 v21, v37, v36, s[2:3]
	v_cndmask_b32_e64 v33, v33, v35, s[2:3]
	v_lshlrev_b32_e32 v11, 24, v11
	v_lshlrev_b32_e32 v33, 20, v33
	v_and_b32_e32 v11, 0x80000000, v11
	v_lshl_add_u32 v21, v21, 23, v29
	v_or3_b32 v33, v11, v21, v33
.LBB288_143:                            ;   in Loop: Header=BB288_121 Depth=1
	s_or_b64 exec, exec, s[16:17]
.LBB288_144:                            ;   in Loop: Header=BB288_121 Depth=1
	s_or_b64 exec, exec, s[14:15]
.LBB288_145:                            ;   in Loop: Header=BB288_121 Depth=1
	s_or_b64 exec, exec, s[4:5]
	v_mov_b32_e32 v11, v20
	v_cmp_ne_u16_sdwa s[2:3], v20, v12 src0_sel:BYTE_0 src1_sel:DWORD
	s_and_saveexec_b64 s[4:5], s[2:3]
	s_cbranch_execz .LBB288_151
; %bb.146:                              ;   in Loop: Header=BB288_121 Depth=1
	v_cmp_ne_u16_sdwa s[2:3], v20, s28 src0_sel:BYTE_0 src1_sel:DWORD
	v_bfrev_b32_e32 v34, 1
	s_and_saveexec_b64 s[14:15], s[2:3]
	s_cbranch_execz .LBB288_150
; %bb.147:                              ;   in Loop: Header=BB288_121 Depth=1
	v_and_b32_e32 v21, 0x7f, v20
	v_cmp_ne_u32_e64 s[2:3], s29, v21
	v_mov_b32_e32 v34, 0x7f800001
	s_and_saveexec_b64 s[16:17], s[2:3]
	s_cbranch_execz .LBB288_149
; %bb.148:                              ;   in Loop: Header=BB288_121 Depth=1
	v_and_b32_e32 v34, 7, v20
	v_ffbh_u32_e32 v34, v34
	v_min_u32_e32 v34, 32, v34
	v_lshrrev_b32_e32 v35, 3, v21
	v_subrev_u32_e32 v36, 28, v34
	v_sub_u32_e32 v34, 29, v34
	v_cmp_gt_u32_e64 s[2:3], 8, v21
	v_cndmask_b32_e64 v21, v35, v34, s[2:3]
	v_cndmask_b32_e64 v34, 0, v36, s[2:3]
	v_lshlrev_b64 v[34:35], v34, v[11:12]
	v_lshlrev_b32_e32 v35, 24, v11
	v_lshlrev_b32_e32 v34, 20, v34
	v_and_b32_e32 v34, 0x700000, v34
	v_and_b32_e32 v35, 0x80000000, v35
	v_lshl_add_u32 v21, v21, 23, v29
	v_or3_b32 v34, v35, v21, v34
.LBB288_149:                            ;   in Loop: Header=BB288_121 Depth=1
	s_or_b64 exec, exec, s[16:17]
.LBB288_150:                            ;   in Loop: Header=BB288_121 Depth=1
	s_or_b64 exec, exec, s[14:15]
.LBB288_151:                            ;   in Loop: Header=BB288_121 Depth=1
	s_or_b64 exec, exec, s[4:5]
	v_lshrrev_b16_e32 v21, 8, v11
	v_cmp_ne_u16_e64 s[2:3], 0, v21
	v_mov_b32_e32 v35, 0
	v_mov_b32_e32 v36, 0
	s_and_saveexec_b64 s[4:5], s[2:3]
	s_cbranch_execz .LBB288_157
; %bb.152:                              ;   in Loop: Header=BB288_121 Depth=1
	v_cmp_ne_u16_e64 s[2:3], s28, v21
	v_bfrev_b32_e32 v36, 1
	s_and_saveexec_b64 s[14:15], s[2:3]
	s_cbranch_execz .LBB288_156
; %bb.153:                              ;   in Loop: Header=BB288_121 Depth=1
	v_and_b32_e32 v37, 0x7f, v21
	v_cmp_ne_u32_e64 s[2:3], s29, v37
	v_mov_b32_e32 v36, 0x7f800001
	s_and_saveexec_b64 s[16:17], s[2:3]
	s_cbranch_execz .LBB288_155
; %bb.154:                              ;   in Loop: Header=BB288_121 Depth=1
	v_and_b32_e32 v36, 7, v21
	v_ffbh_u32_e32 v38, v36
	v_min_u32_e32 v41, 32, v38
	v_subrev_u32_e32 v38, 28, v41
	v_lshlrev_b64 v[38:39], v38, v[21:22]
	v_lshrrev_b32_e32 v40, 3, v37
	v_sub_u32_e32 v21, 29, v41
	v_and_b32_e32 v38, 7, v38
	v_cmp_gt_u32_e64 s[2:3], 8, v37
	v_cndmask_b32_e64 v21, v40, v21, s[2:3]
	v_cndmask_b32_e64 v36, v36, v38, s[2:3]
	v_lshlrev_b32_e32 v11, 16, v11
	v_lshlrev_b32_e32 v36, 20, v36
	v_and_b32_e32 v11, 0x80000000, v11
	v_lshl_add_u32 v21, v21, 23, v29
	v_or3_b32 v36, v11, v21, v36
.LBB288_155:                            ;   in Loop: Header=BB288_121 Depth=1
	s_or_b64 exec, exec, s[16:17]
.LBB288_156:                            ;   in Loop: Header=BB288_121 Depth=1
	s_or_b64 exec, exec, s[14:15]
.LBB288_157:                            ;   in Loop: Header=BB288_121 Depth=1
	s_or_b64 exec, exec, s[4:5]
	v_lshrrev_b32_e32 v11, 16, v20
	v_cmp_ne_u16_sdwa s[2:3], v11, v12 src0_sel:BYTE_0 src1_sel:DWORD
	s_and_saveexec_b64 s[4:5], s[2:3]
	s_cbranch_execz .LBB288_163
; %bb.158:                              ;   in Loop: Header=BB288_121 Depth=1
	v_cmp_ne_u16_sdwa s[2:3], v11, s28 src0_sel:BYTE_0 src1_sel:DWORD
	v_bfrev_b32_e32 v35, 1
	s_and_saveexec_b64 s[14:15], s[2:3]
	s_cbranch_execz .LBB288_162
; %bb.159:                              ;   in Loop: Header=BB288_121 Depth=1
	v_bfe_u32 v21, v20, 16, 7
	v_cmp_ne_u32_e64 s[2:3], s29, v21
	v_mov_b32_e32 v35, 0x7f800001
	s_and_saveexec_b64 s[16:17], s[2:3]
	s_cbranch_execz .LBB288_161
; %bb.160:                              ;   in Loop: Header=BB288_121 Depth=1
	v_and_b32_e32 v35, 7, v11
	v_ffbh_u32_e32 v37, v35
	v_min_u32_e32 v40, 32, v37
	v_subrev_u32_e32 v37, 28, v40
	v_lshlrev_b64 v[37:38], v37, v[11:12]
	v_lshrrev_b32_e32 v39, 3, v21
	v_sub_u32_e32 v38, 29, v40
	v_and_b32_e32 v37, 7, v37
	v_cmp_gt_u32_e64 s[2:3], 8, v21
	v_cndmask_b32_e64 v21, v39, v38, s[2:3]
	v_cndmask_b32_e64 v35, v35, v37, s[2:3]
	v_lshlrev_b32_e32 v11, 24, v11
	v_lshlrev_b32_e32 v35, 20, v35
	v_and_b32_e32 v11, 0x80000000, v11
	v_lshl_add_u32 v21, v21, 23, v29
	v_or3_b32 v35, v11, v21, v35
.LBB288_161:                            ;   in Loop: Header=BB288_121 Depth=1
	s_or_b64 exec, exec, s[16:17]
.LBB288_162:                            ;   in Loop: Header=BB288_121 Depth=1
	s_or_b64 exec, exec, s[14:15]
.LBB288_163:                            ;   in Loop: Header=BB288_121 Depth=1
	s_or_b64 exec, exec, s[4:5]
	v_cmp_lt_u64_e64 s[2:3], s[10:11], v[19:20]
	v_mov_b32_e32 v21, 0
	s_and_saveexec_b64 s[4:5], s[2:3]
	s_cbranch_execz .LBB288_169
; %bb.164:                              ;   in Loop: Header=BB288_121 Depth=1
	v_lshrrev_b32_e32 v11, 24, v20
	v_cmp_ne_u32_e64 s[2:3], s28, v11
	v_bfrev_b32_e32 v21, 1
	s_and_saveexec_b64 s[14:15], s[2:3]
	s_cbranch_execz .LBB288_168
; %bb.165:                              ;   in Loop: Header=BB288_121 Depth=1
	v_bfe_u32 v19, v20, 24, 7
	v_cmp_ne_u32_e64 s[2:3], s29, v19
	v_mov_b32_e32 v21, 0x7f800001
	s_and_saveexec_b64 s[16:17], s[2:3]
	s_cbranch_execz .LBB288_167
; %bb.166:                              ;   in Loop: Header=BB288_121 Depth=1
	v_and_b32_e32 v37, 7, v11
	v_ffbh_u32_e32 v20, v37
	v_min_u32_e32 v39, 32, v20
	v_subrev_u32_e32 v20, 28, v39
	v_lshlrev_b64 v[20:21], v20, v[11:12]
	v_lshrrev_b32_e32 v38, 3, v19
	v_sub_u32_e32 v21, 29, v39
	v_and_b32_e32 v20, 7, v20
	v_cmp_gt_u32_e64 s[2:3], 8, v19
	v_cndmask_b32_e64 v19, v38, v21, s[2:3]
	v_cndmask_b32_e64 v20, v37, v20, s[2:3]
	v_lshlrev_b32_e32 v11, 24, v11
	v_lshlrev_b32_e32 v20, 20, v20
	v_and_b32_e32 v11, 0x80000000, v11
	v_lshl_add_u32 v19, v19, 23, v29
	v_or3_b32 v21, v11, v19, v20
.LBB288_167:                            ;   in Loop: Header=BB288_121 Depth=1
	s_or_b64 exec, exec, s[16:17]
.LBB288_168:                            ;   in Loop: Header=BB288_121 Depth=1
	s_or_b64 exec, exec, s[14:15]
.LBB288_169:                            ;   in Loop: Header=BB288_121 Depth=1
	s_or_b64 exec, exec, s[4:5]
	s_waitcnt lgkmcnt(0)
	v_mul_f32_e32 v11, s31, v36
	v_bfe_u32 v20, v11, 16, 1
	v_add3_u32 v20, v20, v11, s35
	v_or_b32_e32 v36, 0x400000, v11
	v_cmp_u_f32_e64 s[4:5], v11, v11
	v_cndmask_b32_e64 v11, v20, v36, s[4:5]
	v_mul_f32_e32 v20, s31, v34
	v_bfe_u32 v34, v20, 16, 1
	v_add3_u32 v34, v34, v20, s35
	v_or_b32_e32 v36, 0x400000, v20
	v_cmp_u_f32_e64 s[4:5], v20, v20
	v_cndmask_b32_e64 v20, v34, v36, s[4:5]
	v_lshrrev_b32_e32 v34, 16, v20
	v_mul_f32_e32 v20, s31, v33
	v_bfe_u32 v33, v20, 16, 1
	v_add3_u32 v33, v33, v20, s35
	v_or_b32_e32 v36, 0x400000, v20
	v_cmp_u_f32_e64 s[4:5], v20, v20
	v_cndmask_b32_e64 v20, v33, v36, s[4:5]
	v_lshrrev_b32_e32 v33, 16, v20
	v_mul_f32_e32 v20, s31, v32
	v_bfe_u32 v32, v20, 16, 1
	v_add3_u32 v32, v32, v20, s35
	v_or_b32_e32 v36, 0x400000, v20
	v_cmp_u_f32_e64 s[4:5], v20, v20
	v_cndmask_b32_e64 v20, v32, v36, s[4:5]
	v_lshrrev_b32_e32 v36, 16, v20
	v_mul_f32_e32 v20, s31, v31
	v_bfe_u32 v31, v20, 16, 1
	v_add3_u32 v31, v31, v20, s35
	v_or_b32_e32 v32, 0x400000, v20
	v_cmp_u_f32_e64 s[4:5], v20, v20
	v_cndmask_b32_e64 v20, v31, v32, s[4:5]
	v_lshrrev_b32_e32 v37, 16, v20
	v_mul_f32_e32 v20, s31, v30
	v_bfe_u32 v30, v20, 16, 1
	v_add3_u32 v30, v30, v20, s35
	v_or_b32_e32 v31, 0x400000, v20
	v_cmp_u_f32_e64 s[4:5], v20, v20
	v_cndmask_b32_e64 v20, v30, v31, s[4:5]
	v_lshrrev_b32_e32 v38, 16, v20
	v_mul_f32_e32 v20, s31, v35
	v_bfe_u32 v30, v20, 16, 1
	v_add3_u32 v30, v30, v20, s35
	v_or_b32_e32 v31, 0x400000, v20
	v_cmp_u_f32_e64 s[4:5], v20, v20
	v_cndmask_b32_e64 v20, v30, v31, s[4:5]
	v_lshrrev_b32_e32 v32, 16, v20
	v_mul_f32_e32 v20, s31, v21
	v_bfe_u32 v21, v20, 16, 1
	v_add3_u32 v21, v21, v20, s35
	v_or_b32_e32 v30, 0x400000, v20
	v_cmp_u_f32_e64 s[4:5], v20, v20
	v_cndmask_b32_e64 v20, v21, v30, s[4:5]
	v_add_u32_e32 v19, -7, v27
	v_cmp_eq_u32_e64 s[2:3], s30, v23
	v_lshrrev_b32_e32 v11, 16, v11
	v_lshrrev_b32_e32 v31, 16, v20
	s_and_saveexec_b64 s[14:15], s[2:3]
	s_cbranch_execz .LBB288_171
; %bb.170:                              ;   in Loop: Header=BB288_121 Depth=1
	v_cmp_gt_i32_e64 s[4:5], s21, v19
	v_add_u32_e32 v20, -6, v27
	v_cndmask_b32_e64 v38, 0, v38, s[4:5]
	v_cmp_gt_i32_e64 s[4:5], s21, v20
	v_add_u32_e32 v20, -5, v27
	v_cndmask_b32_e64 v37, 0, v37, s[4:5]
	;; [unrolled: 3-line block ×6, first 2 shown]
	v_cmp_gt_i32_e64 s[4:5], s21, v20
	v_cndmask_b32_e64 v32, 0, v32, s[4:5]
	v_cmp_gt_i32_e64 s[4:5], s21, v27
	v_cndmask_b32_e64 v31, 0, v31, s[4:5]
.LBB288_171:                            ;   in Loop: Header=BB288_121 Depth=1
	s_or_b64 exec, exec, s[14:15]
	v_bfe_u32 v20, v5, 16, 1
	v_add3_u32 v20, v20, v5, s35
	v_or_b32_e32 v21, 0x400000, v5
	v_cmp_u_f32_e64 s[4:5], v5, v5
	v_cndmask_b32_e64 v5, v20, v21, s[4:5]
	v_bfe_u32 v20, v6, 16, 1
	v_add3_u32 v20, v20, v6, s35
	v_or_b32_e32 v21, 0x400000, v6
	v_cmp_u_f32_e64 s[4:5], v6, v6
	v_cndmask_b32_e64 v6, v20, v21, s[4:5]
	;; [unrolled: 5-line block ×4, first 2 shown]
	v_bfe_u32 v20, v1, 16, 1
	v_add3_u32 v20, v20, v1, s35
	v_or_b32_e32 v21, 0x400000, v1
	v_cmp_u_f32_e64 s[4:5], v1, v1
	v_bfe_u32 v1, v2, 16, 1
	v_cndmask_b32_e64 v20, v20, v21, s[4:5]
	v_add3_u32 v1, v1, v2, s35
	v_or_b32_e32 v21, 0x400000, v2
	v_cmp_u_f32_e64 s[4:5], v2, v2
	v_cndmask_b32_e64 v21, v1, v21, s[4:5]
	v_bfe_u32 v1, v3, 16, 1
	v_add3_u32 v1, v1, v3, s35
	v_or_b32_e32 v2, 0x400000, v3
	v_cmp_u_f32_e64 s[4:5], v3, v3
	v_cndmask_b32_e64 v30, v1, v2, s[4:5]
	v_bfe_u32 v1, v4, 16, 1
	v_add3_u32 v1, v1, v4, s35
	v_or_b32_e32 v2, 0x400000, v4
	v_cmp_u_f32_e64 s[4:5], v4, v4
	v_cndmask_b32_e64 v4, v1, v2, s[4:5]
	v_and_b32_e32 v1, 0xffff0000, v5
	v_lshlrev_b32_e32 v2, 16, v38
	v_mul_f32_e32 v1, v1, v2
	v_bfe_u32 v2, v1, 16, 1
	v_add3_u32 v2, v2, v1, s35
	v_or_b32_e32 v3, 0x400000, v1
	v_cmp_u_f32_e64 s[4:5], v1, v1
	v_cndmask_b32_e64 v1, v2, v3, s[4:5]
	v_and_b32_e32 v2, 0xffff0000, v6
	v_lshlrev_b32_e32 v3, 16, v37
	v_mul_f32_e32 v2, v2, v3
	;; [unrolled: 8-line block ×7, first 2 shown]
	v_bfe_u32 v35, v32, 16, 1
	v_add3_u32 v35, v35, v32, s35
	v_or_b32_e32 v36, 0x400000, v32
	v_cmp_u_f32_e64 s[4:5], v32, v32
	v_cndmask_b32_e64 v32, v35, v36, s[4:5]
	v_and_b32_e32 v35, 0xffff0000, v4
	v_lshlrev_b32_e32 v31, 16, v31
	v_and_b32_e32 v2, 0xffff0000, v2
	v_and_b32_e32 v1, 0xffff0000, v1
	v_mul_f32_e32 v31, v35, v31
	v_add_f32_e32 v1, v1, v2
	v_and_b32_e32 v2, 0xffff0000, v33
	v_and_b32_e32 v3, 0xffff0000, v3
	v_bfe_u32 v35, v31, 16, 1
	v_add_f32_e32 v2, v3, v2
	v_add3_u32 v35, v35, v31, s35
	v_or_b32_e32 v36, 0x400000, v31
	v_cmp_u_f32_e64 s[4:5], v31, v31
	v_add_f32_e32 v1, v2, v1
	v_and_b32_e32 v2, 0xffff0000, v11
	v_and_b32_e32 v3, 0xffff0000, v34
	v_cndmask_b32_e64 v31, v35, v36, s[4:5]
	v_add_f32_e32 v2, v3, v2
	v_add_f32_e32 v1, v2, v1
	v_and_b32_e32 v2, 0xffff0000, v31
	v_and_b32_e32 v3, 0xffff0000, v32
	v_add_f32_e32 v2, v3, v2
	v_add_f32_e32 v1, v2, v1
	;; [unrolled: 1-line block ×3, first 2 shown]
	s_and_saveexec_b64 s[14:15], vcc
	s_cbranch_execz .LBB288_120
; %bb.172:                              ;   in Loop: Header=BB288_121 Depth=1
	v_add_co_u32_e64 v1, s[4:5], v17, v26
	v_addc_co_u32_e64 v2, s[4:5], 0, v18, s[4:5]
	global_load_dwordx2 v[1:2], v[1:2], off
	v_mov_b32_e32 v18, 0
	v_mov_b32_e32 v17, 0
	s_waitcnt vmcnt(0)
	v_cmp_ne_u16_sdwa s[4:5], v1, v12 src0_sel:BYTE_0 src1_sel:DWORD
	s_and_saveexec_b64 s[16:17], s[4:5]
	s_cbranch_execz .LBB288_178
; %bb.173:                              ;   in Loop: Header=BB288_121 Depth=1
	v_cmp_ne_u16_sdwa s[4:5], v1, s28 src0_sel:BYTE_0 src1_sel:DWORD
	v_bfrev_b32_e32 v17, 1
	s_and_saveexec_b64 s[18:19], s[4:5]
	s_cbranch_execz .LBB288_177
; %bb.174:                              ;   in Loop: Header=BB288_121 Depth=1
	v_and_b32_e32 v3, 0x7f, v1
	v_cmp_ne_u32_e64 s[4:5], s29, v3
	v_mov_b32_e32 v17, 0x7f800001
	s_and_saveexec_b64 s[26:27], s[4:5]
	s_cbranch_execz .LBB288_176
; %bb.175:                              ;   in Loop: Header=BB288_121 Depth=1
	v_and_b32_e32 v11, 7, v1
	v_ffbh_u32_e32 v11, v11
	v_min_u32_e32 v11, 32, v11
	v_lshrrev_b32_e32 v17, 3, v3
	v_subrev_u32_e32 v31, 28, v11
	v_sub_u32_e32 v11, 29, v11
	v_cmp_gt_u32_e64 s[4:5], 8, v3
	v_cndmask_b32_e64 v3, v17, v11, s[4:5]
	v_cndmask_b32_e64 v11, 0, v31, s[4:5]
	v_lshlrev_b64 v[31:32], v11, v[1:2]
	v_lshlrev_b32_e32 v17, 24, v1
	v_lshlrev_b32_e32 v11, 20, v31
	v_and_b32_e32 v11, 0x700000, v11
	v_and_b32_e32 v17, 0x80000000, v17
	v_lshl_add_u32 v3, v3, 23, v29
	v_or3_b32 v17, v17, v3, v11
.LBB288_176:                            ;   in Loop: Header=BB288_121 Depth=1
	s_or_b64 exec, exec, s[26:27]
.LBB288_177:                            ;   in Loop: Header=BB288_121 Depth=1
	s_or_b64 exec, exec, s[18:19]
.LBB288_178:                            ;   in Loop: Header=BB288_121 Depth=1
	s_or_b64 exec, exec, s[16:17]
	v_lshrrev_b16_e32 v3, 8, v1
	v_cmp_ne_u16_e64 s[4:5], 0, v3
	s_and_saveexec_b64 s[16:17], s[4:5]
	s_cbranch_execz .LBB288_184
; %bb.179:                              ;   in Loop: Header=BB288_121 Depth=1
	v_cmp_ne_u16_e64 s[4:5], s28, v3
	v_bfrev_b32_e32 v18, 1
	s_and_saveexec_b64 s[18:19], s[4:5]
	s_cbranch_execz .LBB288_183
; %bb.180:                              ;   in Loop: Header=BB288_121 Depth=1
	v_and_b32_e32 v11, 0x7f, v3
	v_cmp_ne_u32_e64 s[4:5], s29, v11
	v_mov_b32_e32 v18, 0x7f800001
	s_and_saveexec_b64 s[26:27], s[4:5]
	s_cbranch_execz .LBB288_182
; %bb.181:                              ;   in Loop: Header=BB288_121 Depth=1
	v_and_b32_e32 v18, 7, v3
	v_ffbh_u32_e32 v31, v18
	v_min_u32_e32 v34, 32, v31
	v_subrev_u32_e32 v31, 28, v34
	v_lshlrev_b64 v[31:32], v31, v[3:4]
	v_lshrrev_b32_e32 v33, 3, v11
	v_sub_u32_e32 v3, 29, v34
	v_and_b32_e32 v31, 7, v31
	v_cmp_gt_u32_e64 s[4:5], 8, v11
	v_cndmask_b32_e64 v3, v33, v3, s[4:5]
	v_cndmask_b32_e64 v11, v18, v31, s[4:5]
	v_lshlrev_b32_e32 v18, 16, v1
	v_lshlrev_b32_e32 v11, 20, v11
	v_and_b32_e32 v18, 0x80000000, v18
	v_lshl_add_u32 v3, v3, 23, v29
	v_or3_b32 v18, v18, v3, v11
.LBB288_182:                            ;   in Loop: Header=BB288_121 Depth=1
	s_or_b64 exec, exec, s[26:27]
.LBB288_183:                            ;   in Loop: Header=BB288_121 Depth=1
	s_or_b64 exec, exec, s[18:19]
.LBB288_184:                            ;   in Loop: Header=BB288_121 Depth=1
	s_or_b64 exec, exec, s[16:17]
	v_lshrrev_b32_e32 v3, 16, v1
	v_cmp_ne_u16_sdwa s[4:5], v3, v12 src0_sel:BYTE_0 src1_sel:DWORD
	v_mov_b32_e32 v32, 0
	v_mov_b32_e32 v31, 0
	s_and_saveexec_b64 s[16:17], s[4:5]
	s_cbranch_execz .LBB288_190
; %bb.185:                              ;   in Loop: Header=BB288_121 Depth=1
	v_cmp_ne_u16_sdwa s[4:5], v3, s28 src0_sel:BYTE_0 src1_sel:DWORD
	v_bfrev_b32_e32 v31, 1
	s_and_saveexec_b64 s[18:19], s[4:5]
	s_cbranch_execz .LBB288_189
; %bb.186:                              ;   in Loop: Header=BB288_121 Depth=1
	v_bfe_u32 v11, v1, 16, 7
	v_cmp_ne_u32_e64 s[4:5], s29, v11
	v_mov_b32_e32 v31, 0x7f800001
	s_and_saveexec_b64 s[26:27], s[4:5]
	s_cbranch_execz .LBB288_188
; %bb.187:                              ;   in Loop: Header=BB288_121 Depth=1
	v_and_b32_e32 v31, 7, v3
	v_ffbh_u32_e32 v33, v31
	v_min_u32_e32 v36, 32, v33
	v_subrev_u32_e32 v33, 28, v36
	v_lshlrev_b64 v[33:34], v33, v[3:4]
	v_lshrrev_b32_e32 v35, 3, v11
	v_sub_u32_e32 v34, 29, v36
	v_and_b32_e32 v33, 7, v33
	v_cmp_gt_u32_e64 s[4:5], 8, v11
	v_cndmask_b32_e64 v11, v35, v34, s[4:5]
	v_cndmask_b32_e64 v31, v31, v33, s[4:5]
	v_lshlrev_b32_e32 v3, 24, v3
	v_lshlrev_b32_e32 v31, 20, v31
	v_and_b32_e32 v3, 0x80000000, v3
	v_lshl_add_u32 v11, v11, 23, v29
	v_or3_b32 v31, v3, v11, v31
.LBB288_188:                            ;   in Loop: Header=BB288_121 Depth=1
	s_or_b64 exec, exec, s[26:27]
.LBB288_189:                            ;   in Loop: Header=BB288_121 Depth=1
	s_or_b64 exec, exec, s[18:19]
.LBB288_190:                            ;   in Loop: Header=BB288_121 Depth=1
	s_or_b64 exec, exec, s[16:17]
	v_cmp_lt_u32_e64 s[4:5], s11, v1
	s_and_saveexec_b64 s[16:17], s[4:5]
	s_cbranch_execz .LBB288_196
; %bb.191:                              ;   in Loop: Header=BB288_121 Depth=1
	v_lshrrev_b32_e32 v3, 24, v1
	v_cmp_ne_u32_e64 s[4:5], s28, v3
	v_bfrev_b32_e32 v32, 1
	s_and_saveexec_b64 s[18:19], s[4:5]
	s_cbranch_execz .LBB288_195
; %bb.192:                              ;   in Loop: Header=BB288_121 Depth=1
	v_bfe_u32 v11, v1, 24, 7
	v_cmp_ne_u32_e64 s[4:5], s29, v11
	v_mov_b32_e32 v32, 0x7f800001
	s_and_saveexec_b64 s[26:27], s[4:5]
	s_cbranch_execz .LBB288_194
; %bb.193:                              ;   in Loop: Header=BB288_121 Depth=1
	v_and_b32_e32 v34, 7, v3
	v_ffbh_u32_e32 v32, v34
	v_min_u32_e32 v36, 32, v32
	v_subrev_u32_e32 v32, 28, v36
	v_lshlrev_b64 v[32:33], v32, v[3:4]
	v_lshrrev_b32_e32 v35, 3, v11
	v_sub_u32_e32 v33, 29, v36
	v_and_b32_e32 v32, 7, v32
	v_cmp_gt_u32_e64 s[4:5], 8, v11
	v_cndmask_b32_e64 v11, v35, v33, s[4:5]
	v_cndmask_b32_e64 v32, v34, v32, s[4:5]
	v_lshlrev_b32_e32 v3, 24, v3
	v_lshlrev_b32_e32 v32, 20, v32
	v_and_b32_e32 v3, 0x80000000, v3
	v_lshl_add_u32 v11, v11, 23, v29
	v_or3_b32 v32, v3, v11, v32
.LBB288_194:                            ;   in Loop: Header=BB288_121 Depth=1
	s_or_b64 exec, exec, s[26:27]
.LBB288_195:                            ;   in Loop: Header=BB288_121 Depth=1
	s_or_b64 exec, exec, s[18:19]
.LBB288_196:                            ;   in Loop: Header=BB288_121 Depth=1
	s_or_b64 exec, exec, s[16:17]
	v_mov_b32_e32 v11, v2
	v_cmp_ne_u16_sdwa s[4:5], v2, v12 src0_sel:BYTE_0 src1_sel:DWORD
	v_mov_b32_e32 v34, 0
	v_mov_b32_e32 v33, 0
	s_and_saveexec_b64 s[16:17], s[4:5]
	s_cbranch_execz .LBB288_202
; %bb.197:                              ;   in Loop: Header=BB288_121 Depth=1
	v_cmp_ne_u16_sdwa s[4:5], v2, s28 src0_sel:BYTE_0 src1_sel:DWORD
	v_bfrev_b32_e32 v33, 1
	s_and_saveexec_b64 s[18:19], s[4:5]
	s_cbranch_execz .LBB288_201
; %bb.198:                              ;   in Loop: Header=BB288_121 Depth=1
	v_and_b32_e32 v3, 0x7f, v2
	v_cmp_ne_u32_e64 s[4:5], s29, v3
	v_mov_b32_e32 v33, 0x7f800001
	s_and_saveexec_b64 s[26:27], s[4:5]
	s_cbranch_execz .LBB288_200
; %bb.199:                              ;   in Loop: Header=BB288_121 Depth=1
	v_and_b32_e32 v33, 7, v2
	v_ffbh_u32_e32 v33, v33
	v_min_u32_e32 v33, 32, v33
	v_lshrrev_b32_e32 v35, 3, v3
	v_subrev_u32_e32 v36, 28, v33
	v_sub_u32_e32 v33, 29, v33
	v_cmp_gt_u32_e64 s[4:5], 8, v3
	v_cndmask_b32_e64 v3, v35, v33, s[4:5]
	v_cndmask_b32_e64 v33, 0, v36, s[4:5]
	v_lshlrev_b64 v[35:36], v33, v[11:12]
	v_lshl_add_u32 v3, v3, 23, v29
	v_lshlrev_b32_e32 v33, 20, v35
	v_lshlrev_b32_e32 v35, 24, v11
	v_and_b32_e32 v33, 0x700000, v33
	v_and_b32_e32 v35, 0x80000000, v35
	v_or3_b32 v33, v35, v3, v33
.LBB288_200:                            ;   in Loop: Header=BB288_121 Depth=1
	s_or_b64 exec, exec, s[26:27]
.LBB288_201:                            ;   in Loop: Header=BB288_121 Depth=1
	s_or_b64 exec, exec, s[18:19]
.LBB288_202:                            ;   in Loop: Header=BB288_121 Depth=1
	s_or_b64 exec, exec, s[16:17]
	v_lshrrev_b16_e32 v3, 8, v11
	v_cmp_ne_u16_e64 s[4:5], 0, v3
	s_and_saveexec_b64 s[16:17], s[4:5]
	s_cbranch_execz .LBB288_208
; %bb.203:                              ;   in Loop: Header=BB288_121 Depth=1
	v_cmp_ne_u16_e64 s[4:5], s28, v3
	v_bfrev_b32_e32 v34, 1
	s_and_saveexec_b64 s[18:19], s[4:5]
	s_cbranch_execz .LBB288_207
; %bb.204:                              ;   in Loop: Header=BB288_121 Depth=1
	v_and_b32_e32 v35, 0x7f, v3
	v_cmp_ne_u32_e64 s[4:5], s29, v35
	v_mov_b32_e32 v34, 0x7f800001
	s_and_saveexec_b64 s[26:27], s[4:5]
	s_cbranch_execz .LBB288_206
; %bb.205:                              ;   in Loop: Header=BB288_121 Depth=1
	v_and_b32_e32 v34, 7, v3
	v_ffbh_u32_e32 v36, v34
	v_min_u32_e32 v39, 32, v36
	v_subrev_u32_e32 v36, 28, v39
	v_lshlrev_b64 v[36:37], v36, v[3:4]
	v_lshrrev_b32_e32 v38, 3, v35
	v_sub_u32_e32 v3, 29, v39
	v_and_b32_e32 v36, 7, v36
	v_cmp_gt_u32_e64 s[4:5], 8, v35
	v_cndmask_b32_e64 v3, v38, v3, s[4:5]
	v_cndmask_b32_e64 v34, v34, v36, s[4:5]
	v_lshlrev_b32_e32 v11, 16, v11
	v_lshlrev_b32_e32 v34, 20, v34
	v_and_b32_e32 v11, 0x80000000, v11
	v_lshl_add_u32 v3, v3, 23, v29
	v_or3_b32 v34, v11, v3, v34
.LBB288_206:                            ;   in Loop: Header=BB288_121 Depth=1
	s_or_b64 exec, exec, s[26:27]
.LBB288_207:                            ;   in Loop: Header=BB288_121 Depth=1
	s_or_b64 exec, exec, s[18:19]
.LBB288_208:                            ;   in Loop: Header=BB288_121 Depth=1
	s_or_b64 exec, exec, s[16:17]
	v_lshrrev_b32_e32 v3, 16, v2
	v_cmp_ne_u16_sdwa s[4:5], v3, v12 src0_sel:BYTE_0 src1_sel:DWORD
	v_mov_b32_e32 v11, 0
	v_mov_b32_e32 v35, 0
	s_and_saveexec_b64 s[16:17], s[4:5]
	s_cbranch_execz .LBB288_214
; %bb.209:                              ;   in Loop: Header=BB288_121 Depth=1
	v_cmp_ne_u16_sdwa s[4:5], v3, s28 src0_sel:BYTE_0 src1_sel:DWORD
	v_bfrev_b32_e32 v35, 1
	s_and_saveexec_b64 s[18:19], s[4:5]
	s_cbranch_execz .LBB288_213
; %bb.210:                              ;   in Loop: Header=BB288_121 Depth=1
	v_bfe_u32 v36, v2, 16, 7
	v_cmp_ne_u32_e64 s[4:5], s29, v36
	v_mov_b32_e32 v35, 0x7f800001
	s_and_saveexec_b64 s[26:27], s[4:5]
	s_cbranch_execz .LBB288_212
; %bb.211:                              ;   in Loop: Header=BB288_121 Depth=1
	v_and_b32_e32 v35, 7, v3
	v_ffbh_u32_e32 v37, v35
	v_min_u32_e32 v40, 32, v37
	v_subrev_u32_e32 v37, 28, v40
	v_lshlrev_b64 v[37:38], v37, v[3:4]
	v_lshrrev_b32_e32 v39, 3, v36
	v_sub_u32_e32 v38, 29, v40
	v_and_b32_e32 v37, 7, v37
	v_cmp_gt_u32_e64 s[4:5], 8, v36
	v_cndmask_b32_e64 v36, v39, v38, s[4:5]
	v_cndmask_b32_e64 v35, v35, v37, s[4:5]
	v_lshlrev_b32_e32 v3, 24, v3
	v_lshlrev_b32_e32 v35, 20, v35
	v_and_b32_e32 v3, 0x80000000, v3
	v_lshl_add_u32 v36, v36, 23, v29
	v_or3_b32 v35, v3, v36, v35
.LBB288_212:                            ;   in Loop: Header=BB288_121 Depth=1
	s_or_b64 exec, exec, s[26:27]
.LBB288_213:                            ;   in Loop: Header=BB288_121 Depth=1
	s_or_b64 exec, exec, s[18:19]
.LBB288_214:                            ;   in Loop: Header=BB288_121 Depth=1
	s_or_b64 exec, exec, s[16:17]
	v_cmp_lt_u64_e64 s[4:5], s[10:11], v[1:2]
	s_and_saveexec_b64 s[16:17], s[4:5]
	s_cbranch_execz .LBB288_220
; %bb.215:                              ;   in Loop: Header=BB288_121 Depth=1
	v_lshrrev_b32_e32 v1, 24, v2
	v_cmp_ne_u32_e64 s[4:5], s28, v1
	v_bfrev_b32_e32 v11, 1
	s_and_saveexec_b64 s[18:19], s[4:5]
	s_cbranch_execz .LBB288_219
; %bb.216:                              ;   in Loop: Header=BB288_121 Depth=1
	v_bfe_u32 v2, v2, 24, 7
	v_cmp_ne_u32_e64 s[4:5], s29, v2
	v_mov_b32_e32 v11, 0x7f800001
	s_and_saveexec_b64 s[26:27], s[4:5]
	s_cbranch_execz .LBB288_218
; %bb.217:                              ;   in Loop: Header=BB288_121 Depth=1
	v_and_b32_e32 v3, 7, v1
	v_ffbh_u32_e32 v36, v3
	v_min_u32_e32 v38, 32, v36
	v_subrev_u32_e32 v36, 28, v38
	v_lshlrev_b64 v[36:37], v36, v[1:2]
	v_lshrrev_b32_e32 v11, 3, v2
	v_sub_u32_e32 v37, 29, v38
	v_and_b32_e32 v36, 7, v36
	v_cmp_gt_u32_e64 s[4:5], 8, v2
	v_cndmask_b32_e64 v2, v11, v37, s[4:5]
	v_cndmask_b32_e64 v3, v3, v36, s[4:5]
	v_lshlrev_b32_e32 v1, 24, v1
	v_lshlrev_b32_e32 v3, 20, v3
	v_and_b32_e32 v1, 0x80000000, v1
	v_lshl_add_u32 v2, v2, 23, v29
	v_or3_b32 v11, v1, v2, v3
.LBB288_218:                            ;   in Loop: Header=BB288_121 Depth=1
	s_or_b64 exec, exec, s[26:27]
.LBB288_219:                            ;   in Loop: Header=BB288_121 Depth=1
	s_or_b64 exec, exec, s[18:19]
.LBB288_220:                            ;   in Loop: Header=BB288_121 Depth=1
	s_or_b64 exec, exec, s[16:17]
	v_mul_f32_e32 v1, s31, v34
	v_bfe_u32 v2, v1, 16, 1
	v_add3_u32 v2, v2, v1, s35
	v_or_b32_e32 v3, 0x400000, v1
	v_cmp_u_f32_e64 s[4:5], v1, v1
	v_cndmask_b32_e64 v1, v2, v3, s[4:5]
	v_mul_f32_e32 v2, s31, v33
	v_bfe_u32 v3, v2, 16, 1
	v_add3_u32 v3, v3, v2, s35
	v_or_b32_e32 v33, 0x400000, v2
	v_cmp_u_f32_e64 s[4:5], v2, v2
	v_cndmask_b32_e64 v2, v3, v33, s[4:5]
	v_mul_f32_e32 v3, s31, v32
	v_bfe_u32 v32, v3, 16, 1
	v_add3_u32 v32, v32, v3, s35
	v_or_b32_e32 v33, 0x400000, v3
	v_cmp_u_f32_e64 s[4:5], v3, v3
	v_mul_f32_e32 v31, s31, v31
	v_cndmask_b32_e64 v3, v32, v33, s[4:5]
	v_bfe_u32 v32, v31, 16, 1
	v_add3_u32 v32, v32, v31, s35
	v_or_b32_e32 v33, 0x400000, v31
	v_cmp_u_f32_e64 s[4:5], v31, v31
	v_mul_f32_e32 v18, s31, v18
	v_cndmask_b32_e64 v31, v32, v33, s[4:5]
	;; [unrolled: 6-line block ×3, first 2 shown]
	v_bfe_u32 v32, v17, 16, 1
	v_add3_u32 v32, v32, v17, s35
	v_or_b32_e32 v33, 0x400000, v17
	v_cmp_u_f32_e64 s[4:5], v17, v17
	v_cndmask_b32_e64 v17, v32, v33, s[4:5]
	v_lshrrev_b32_e32 v32, 16, v17
	v_mul_f32_e32 v17, s31, v35
	v_bfe_u32 v33, v17, 16, 1
	v_add3_u32 v33, v33, v17, s35
	v_or_b32_e32 v34, 0x400000, v17
	v_cmp_u_f32_e64 s[4:5], v17, v17
	v_mul_f32_e32 v11, s31, v11
	v_cndmask_b32_e64 v17, v33, v34, s[4:5]
	v_bfe_u32 v33, v11, 16, 1
	v_add3_u32 v33, v33, v11, s35
	v_or_b32_e32 v34, 0x400000, v11
	v_cmp_u_f32_e64 s[4:5], v11, v11
	v_cndmask_b32_e64 v11, v33, v34, s[4:5]
	v_lshrrev_b32_e32 v1, 16, v1
	v_lshrrev_b32_e32 v2, 16, v2
	;; [unrolled: 1-line block ×7, first 2 shown]
	s_and_saveexec_b64 s[4:5], s[2:3]
	s_cbranch_execz .LBB288_119
; %bb.221:                              ;   in Loop: Header=BB288_121 Depth=1
	v_cmp_gt_i32_e64 s[2:3], s21, v19
	v_add_u32_e32 v19, -6, v27
	v_cndmask_b32_e64 v32, 0, v32, s[2:3]
	v_cmp_gt_i32_e64 s[2:3], s21, v19
	v_add_u32_e32 v19, -5, v27
	v_cndmask_b32_e64 v18, 0, v18, s[2:3]
	;; [unrolled: 3-line block ×6, first 2 shown]
	v_cmp_gt_i32_e64 s[2:3], s21, v19
	v_cndmask_b32_e64 v17, 0, v17, s[2:3]
	v_cmp_gt_i32_e64 s[2:3], s21, v27
	v_cndmask_b32_e64 v11, 0, v11, s[2:3]
	s_branch .LBB288_119
.LBB288_222:
	s_or_b64 exec, exec, s[12:13]
.LBB288_223:
	s_or_b64 exec, exec, s[6:7]
	v_and_b32_e32 v1, 0x3c0, v0
	v_cmp_eq_u32_e32 vcc, 64, v1
	s_barrier
	s_and_saveexec_b64 s[2:3], vcc
	s_cbranch_execz .LBB288_226
; %bb.224:
	v_mov_b32_e32 v1, 0x100
	v_lshl_add_u32 v2, v24, 2, v1
	ds_write_b32 v2, v9
	s_and_b64 exec, exec, s[0:1]
; %bb.225:
	v_lshl_add_u32 v1, v0, 2, v1
	ds_write_b32 v1, v10
.LBB288_226:
	s_or_b64 exec, exec, s[2:3]
	v_cmp_gt_u32_e32 vcc, 64, v0
	v_or_b32_e32 v1, 64, v0
	s_waitcnt lgkmcnt(0)
	s_barrier
	s_and_saveexec_b64 s[2:3], vcc
	s_cbranch_execz .LBB288_230
; %bb.227:
	v_mov_b32_e32 v2, 0x100
	v_lshl_add_u32 v0, v0, 2, v2
	ds_read_b32 v2, v0
	s_movk_i32 s0, 0x78
	v_cmp_gt_u32_e64 s[0:1], s0, v1
	s_waitcnt lgkmcnt(0)
	v_add_f32_e32 v9, v9, v2
	s_and_saveexec_b64 s[4:5], s[0:1]
	s_cbranch_execz .LBB288_229
; %bb.228:
	ds_read_b32 v0, v0 offset:256
	s_waitcnt lgkmcnt(0)
	v_add_f32_e32 v10, v10, v0
.LBB288_229:
	s_or_b64 exec, exec, s[4:5]
.LBB288_230:
	s_or_b64 exec, exec, s[2:3]
	s_barrier
	s_and_saveexec_b64 s[0:1], vcc
	s_cbranch_execz .LBB288_233
; %bb.231:
	s_mul_i32 s0, s20, s23
	s_mul_i32 s0, s0, s9
	s_mulk_i32 s0, 0x78
	s_ashr_i32 s1, s0, 31
	s_lshl_b64 s[0:1], s[0:1], 1
	s_add_u32 s2, s24, s0
	s_mul_i32 s0, s23, s22
	s_addc_u32 s4, s25, s1
	s_ashr_i32 s1, s0, 31
	s_lshl_b64 s[0:1], s[0:1], 1
	s_add_u32 s2, s2, s0
	s_mul_i32 s0, s8, 0x78
	s_addc_u32 s4, s4, s1
	s_ashr_i32 s1, s0, 31
	s_lshl_b64 s[0:1], s[0:1], 1
	s_add_u32 s0, s2, s0
	v_bfe_u32 v0, v9, 16, 1
	s_movk_i32 s2, 0x7fff
	s_movk_i32 s3, 0x78
	v_add3_u32 v0, v0, v9, s2
	v_or_b32_e32 v2, 0x400000, v9
	v_cmp_u_f32_e32 vcc, v9, v9
	s_addc_u32 s1, s4, s1
	v_cndmask_b32_e32 v0, v0, v2, vcc
	v_cmp_gt_u32_e32 vcc, s3, v1
	global_store_short_d16_hi v22, v0, s[0:1]
	s_and_b64 exec, exec, vcc
	s_cbranch_execz .LBB288_233
; %bb.232:
	v_mov_b32_e32 v1, s1
	v_add_co_u32_e32 v0, vcc, s0, v22
	v_addc_co_u32_e32 v1, vcc, 0, v1, vcc
	v_bfe_u32 v2, v10, 16, 1
	v_add3_u32 v2, v2, v10, s2
	v_or_b32_e32 v3, 0x400000, v10
	v_cmp_u_f32_e32 vcc, v10, v10
	v_cndmask_b32_e32 v2, v2, v3, vcc
	global_store_short_d16_hi v[0:1], v2, off offset:128
.LBB288_233:
	s_endpgm
	.section	.rodata,"a",@progbits
	.p2align	6, 0x0
	.amdhsa_kernel _ZN4vllm25paged_attention_v1_kernelI14__hip_bfloat16hLi120ELi8ELi128ELNS_18Fp8KVCacheDataTypeE1ELb0EEEvPT_PKS3_PKT0_S9_ifPKiSB_iPKfiiiSD_SD_iiiii
		.amdhsa_group_segment_fixed_size 256
		.amdhsa_private_segment_fixed_size 0
		.amdhsa_kernarg_size 384
		.amdhsa_user_sgpr_count 6
		.amdhsa_user_sgpr_private_segment_buffer 1
		.amdhsa_user_sgpr_dispatch_ptr 0
		.amdhsa_user_sgpr_queue_ptr 0
		.amdhsa_user_sgpr_kernarg_segment_ptr 1
		.amdhsa_user_sgpr_dispatch_id 0
		.amdhsa_user_sgpr_flat_scratch_init 0
		.amdhsa_user_sgpr_private_segment_size 0
		.amdhsa_uses_dynamic_stack 0
		.amdhsa_system_sgpr_private_segment_wavefront_offset 0
		.amdhsa_system_sgpr_workgroup_id_x 1
		.amdhsa_system_sgpr_workgroup_id_y 1
		.amdhsa_system_sgpr_workgroup_id_z 1
		.amdhsa_system_sgpr_workgroup_info 0
		.amdhsa_system_vgpr_workitem_id 0
		.amdhsa_next_free_vgpr 58
		.amdhsa_next_free_sgpr 46
		.amdhsa_reserve_vcc 1
		.amdhsa_reserve_flat_scratch 0
		.amdhsa_float_round_mode_32 0
		.amdhsa_float_round_mode_16_64 0
		.amdhsa_float_denorm_mode_32 3
		.amdhsa_float_denorm_mode_16_64 3
		.amdhsa_dx10_clamp 1
		.amdhsa_ieee_mode 1
		.amdhsa_fp16_overflow 0
		.amdhsa_exception_fp_ieee_invalid_op 0
		.amdhsa_exception_fp_denorm_src 0
		.amdhsa_exception_fp_ieee_div_zero 0
		.amdhsa_exception_fp_ieee_overflow 0
		.amdhsa_exception_fp_ieee_underflow 0
		.amdhsa_exception_fp_ieee_inexact 0
		.amdhsa_exception_int_div_zero 0
	.end_amdhsa_kernel
	.section	.text._ZN4vllm25paged_attention_v1_kernelI14__hip_bfloat16hLi120ELi8ELi128ELNS_18Fp8KVCacheDataTypeE1ELb0EEEvPT_PKS3_PKT0_S9_ifPKiSB_iPKfiiiSD_SD_iiiii,"axG",@progbits,_ZN4vllm25paged_attention_v1_kernelI14__hip_bfloat16hLi120ELi8ELi128ELNS_18Fp8KVCacheDataTypeE1ELb0EEEvPT_PKS3_PKT0_S9_ifPKiSB_iPKfiiiSD_SD_iiiii,comdat
.Lfunc_end288:
	.size	_ZN4vllm25paged_attention_v1_kernelI14__hip_bfloat16hLi120ELi8ELi128ELNS_18Fp8KVCacheDataTypeE1ELb0EEEvPT_PKS3_PKT0_S9_ifPKiSB_iPKfiiiSD_SD_iiiii, .Lfunc_end288-_ZN4vllm25paged_attention_v1_kernelI14__hip_bfloat16hLi120ELi8ELi128ELNS_18Fp8KVCacheDataTypeE1ELb0EEEvPT_PKS3_PKT0_S9_ifPKiSB_iPKfiiiSD_SD_iiiii
                                        ; -- End function
	.set _ZN4vllm25paged_attention_v1_kernelI14__hip_bfloat16hLi120ELi8ELi128ELNS_18Fp8KVCacheDataTypeE1ELb0EEEvPT_PKS3_PKT0_S9_ifPKiSB_iPKfiiiSD_SD_iiiii.num_vgpr, 58
	.set _ZN4vllm25paged_attention_v1_kernelI14__hip_bfloat16hLi120ELi8ELi128ELNS_18Fp8KVCacheDataTypeE1ELb0EEEvPT_PKS3_PKT0_S9_ifPKiSB_iPKfiiiSD_SD_iiiii.num_agpr, 0
	.set _ZN4vllm25paged_attention_v1_kernelI14__hip_bfloat16hLi120ELi8ELi128ELNS_18Fp8KVCacheDataTypeE1ELb0EEEvPT_PKS3_PKT0_S9_ifPKiSB_iPKfiiiSD_SD_iiiii.numbered_sgpr, 46
	.set _ZN4vllm25paged_attention_v1_kernelI14__hip_bfloat16hLi120ELi8ELi128ELNS_18Fp8KVCacheDataTypeE1ELb0EEEvPT_PKS3_PKT0_S9_ifPKiSB_iPKfiiiSD_SD_iiiii.num_named_barrier, 0
	.set _ZN4vllm25paged_attention_v1_kernelI14__hip_bfloat16hLi120ELi8ELi128ELNS_18Fp8KVCacheDataTypeE1ELb0EEEvPT_PKS3_PKT0_S9_ifPKiSB_iPKfiiiSD_SD_iiiii.private_seg_size, 0
	.set _ZN4vllm25paged_attention_v1_kernelI14__hip_bfloat16hLi120ELi8ELi128ELNS_18Fp8KVCacheDataTypeE1ELb0EEEvPT_PKS3_PKT0_S9_ifPKiSB_iPKfiiiSD_SD_iiiii.uses_vcc, 1
	.set _ZN4vllm25paged_attention_v1_kernelI14__hip_bfloat16hLi120ELi8ELi128ELNS_18Fp8KVCacheDataTypeE1ELb0EEEvPT_PKS3_PKT0_S9_ifPKiSB_iPKfiiiSD_SD_iiiii.uses_flat_scratch, 0
	.set _ZN4vllm25paged_attention_v1_kernelI14__hip_bfloat16hLi120ELi8ELi128ELNS_18Fp8KVCacheDataTypeE1ELb0EEEvPT_PKS3_PKT0_S9_ifPKiSB_iPKfiiiSD_SD_iiiii.has_dyn_sized_stack, 0
	.set _ZN4vllm25paged_attention_v1_kernelI14__hip_bfloat16hLi120ELi8ELi128ELNS_18Fp8KVCacheDataTypeE1ELb0EEEvPT_PKS3_PKT0_S9_ifPKiSB_iPKfiiiSD_SD_iiiii.has_recursion, 0
	.set _ZN4vllm25paged_attention_v1_kernelI14__hip_bfloat16hLi120ELi8ELi128ELNS_18Fp8KVCacheDataTypeE1ELb0EEEvPT_PKS3_PKT0_S9_ifPKiSB_iPKfiiiSD_SD_iiiii.has_indirect_call, 0
	.section	.AMDGPU.csdata,"",@progbits
; Kernel info:
; codeLenInByte = 11968
; TotalNumSgprs: 50
; NumVgprs: 58
; ScratchSize: 0
; MemoryBound: 0
; FloatMode: 240
; IeeeMode: 1
; LDSByteSize: 256 bytes/workgroup (compile time only)
; SGPRBlocks: 6
; VGPRBlocks: 14
; NumSGPRsForWavesPerEU: 50
; NumVGPRsForWavesPerEU: 58
; Occupancy: 4
; WaveLimiterHint : 1
; COMPUTE_PGM_RSRC2:SCRATCH_EN: 0
; COMPUTE_PGM_RSRC2:USER_SGPR: 6
; COMPUTE_PGM_RSRC2:TRAP_HANDLER: 0
; COMPUTE_PGM_RSRC2:TGID_X_EN: 1
; COMPUTE_PGM_RSRC2:TGID_Y_EN: 1
; COMPUTE_PGM_RSRC2:TGID_Z_EN: 1
; COMPUTE_PGM_RSRC2:TIDIG_COMP_CNT: 0
	.section	.text._ZN4vllm25paged_attention_v1_kernelI14__hip_bfloat16hLi128ELi8ELi128ELNS_18Fp8KVCacheDataTypeE1ELb0EEEvPT_PKS3_PKT0_S9_ifPKiSB_iPKfiiiSD_SD_iiiii,"axG",@progbits,_ZN4vllm25paged_attention_v1_kernelI14__hip_bfloat16hLi128ELi8ELi128ELNS_18Fp8KVCacheDataTypeE1ELb0EEEvPT_PKS3_PKT0_S9_ifPKiSB_iPKfiiiSD_SD_iiiii,comdat
	.protected	_ZN4vllm25paged_attention_v1_kernelI14__hip_bfloat16hLi128ELi8ELi128ELNS_18Fp8KVCacheDataTypeE1ELb0EEEvPT_PKS3_PKT0_S9_ifPKiSB_iPKfiiiSD_SD_iiiii ; -- Begin function _ZN4vllm25paged_attention_v1_kernelI14__hip_bfloat16hLi128ELi8ELi128ELNS_18Fp8KVCacheDataTypeE1ELb0EEEvPT_PKS3_PKT0_S9_ifPKiSB_iPKfiiiSD_SD_iiiii
	.globl	_ZN4vllm25paged_attention_v1_kernelI14__hip_bfloat16hLi128ELi8ELi128ELNS_18Fp8KVCacheDataTypeE1ELb0EEEvPT_PKS3_PKT0_S9_ifPKiSB_iPKfiiiSD_SD_iiiii
	.p2align	8
	.type	_ZN4vllm25paged_attention_v1_kernelI14__hip_bfloat16hLi128ELi8ELi128ELNS_18Fp8KVCacheDataTypeE1ELb0EEEvPT_PKS3_PKT0_S9_ifPKiSB_iPKfiiiSD_SD_iiiii,@function
_ZN4vllm25paged_attention_v1_kernelI14__hip_bfloat16hLi128ELi8ELi128ELNS_18Fp8KVCacheDataTypeE1ELb0EEEvPT_PKS3_PKT0_S9_ifPKiSB_iPKfiiiSD_SD_iiiii: ; @_ZN4vllm25paged_attention_v1_kernelI14__hip_bfloat16hLi128ELi8ELi128ELNS_18Fp8KVCacheDataTypeE1ELb0EEEvPT_PKS3_PKT0_S9_ifPKiSB_iPKfiiiSD_SD_iiiii
; %bb.0:
	s_load_dword s9, s[4:5], 0x80
	s_load_dwordx2 s[0:1], s[4:5], 0x30
	s_load_dwordx2 s[30:31], s[4:5], 0x20
	s_mov_b32 s10, s7
	s_ashr_i32 s11, s7, 31
	s_lshl_b64 s[2:3], s[10:11], 2
	s_waitcnt lgkmcnt(0)
	s_add_u32 s0, s0, s2
	s_addc_u32 s1, s1, s3
	s_abs_i32 s2, s30
	v_cvt_f32_u32_e32 v1, s2
	s_sub_i32 s11, 0, s2
	s_abs_i32 s7, s9
	s_xor_b32 s3, s9, s30
	v_rcp_iflag_f32_e32 v1, v1
	s_ashr_i32 s3, s3, 31
	s_mov_b32 s33, 0
	v_mul_f32_e32 v1, 0x4f7ffffe, v1
	v_cvt_u32_f32_e32 v1, v1
	v_readfirstlane_b32 s12, v1
	s_mul_i32 s11, s11, s12
	s_mul_hi_u32 s11, s12, s11
	s_add_i32 s12, s12, s11
	s_mul_hi_u32 s11, s7, s12
	s_mul_i32 s12, s11, s2
	s_sub_i32 s7, s7, s12
	s_add_i32 s12, s11, 1
	s_sub_i32 s13, s7, s2
	s_cmp_ge_u32 s7, s2
	s_cselect_b32 s11, s12, s11
	s_cselect_b32 s7, s13, s7
	s_add_i32 s12, s11, 1
	s_cmp_ge_u32 s7, s2
	s_cselect_b32 s2, s12, s11
	s_xor_b32 s2, s2, s3
	s_sub_i32 s12, s2, s3
	s_abs_i32 s16, s12
	v_cvt_f32_u32_e32 v1, s16
	s_load_dwordx2 s[2:3], s[4:5], 0x40
	s_sub_i32 s7, 0, s16
	s_abs_i32 s17, s6
	v_rcp_iflag_f32_e32 v1, v1
	v_mul_f32_e32 v1, 0x4f7ffffe, v1
	v_cvt_u32_f32_e32 v1, v1
	v_readfirstlane_b32 s11, v1
	s_mul_i32 s7, s7, s11
	s_mul_hi_u32 s7, s11, s7
	s_add_i32 s11, s11, s7
	s_waitcnt lgkmcnt(0)
	s_cmp_eq_u64 s[2:3], 0
	s_mul_hi_u32 s18, s17, s11
	s_cbranch_scc1 .LBB289_2
; %bb.1:
	s_ashr_i32 s7, s6, 31
	s_lshl_b64 s[14:15], s[6:7], 2
	s_add_u32 s2, s2, s14
	s_addc_u32 s3, s3, s15
	s_load_dword s33, s[2:3], 0x0
.LBB289_2:
	s_load_dword s11, s[0:1], 0x0
	s_ashr_i32 s3, s12, 31
	s_load_dwordx4 s[12:15], s[4:5], 0x48
	s_movk_i32 s0, 0x80
	s_ashr_i32 s2, s6, 31
	v_and_b32_e32 v1, 7, v0
	s_lshl_b32 s20, s6, 7
	v_cmp_gt_u32_e32 vcc, s0, v0
	v_lshlrev_b32_e32 v20, 1, v0
	s_and_saveexec_b64 s[0:1], vcc
	s_cbranch_execz .LBB289_4
; %bb.3:
	s_load_dwordx2 s[6:7], s[4:5], 0x8
	s_waitcnt lgkmcnt(0)
	s_mul_i32 s22, s12, s10
	s_ashr_i32 s23, s22, 31
	s_lshl_b64 s[22:23], s[22:23], 1
	v_lshrrev_b32_e32 v3, 2, v0
	s_add_u32 s12, s6, s22
	s_addc_u32 s15, s7, s23
	s_ashr_i32 s21, s20, 31
	s_lshl_b64 s[6:7], s[20:21], 1
	s_add_u32 s6, s12, s6
	s_addc_u32 s7, s15, s7
	global_load_ushort v2, v20, s[6:7]
	v_and_b32_e32 v3, 0xfe, v3
	v_lshl_add_u32 v3, v1, 5, v3
	s_waitcnt vmcnt(0)
	ds_write_b16 v3, v2
.LBB289_4:
	s_or_b64 exec, exec, s[0:1]
	s_waitcnt lgkmcnt(0)
	s_add_i32 s1, s11, 7
	s_ashr_i32 s6, s1, 31
	s_lshr_b32 s6, s6, 29
	s_add_i32 s1, s1, s6
	s_ashr_i32 s30, s1, 3
	s_xor_b32 s1, s2, s3
	s_mul_i32 s2, s18, s16
	s_sub_i32 s2, s17, s2
	s_add_i32 s3, s18, 1
	s_sub_i32 s6, s2, s16
	s_load_dwordx2 s[24:25], s[4:5], 0x28
	s_load_dword s0, s[4:5], 0x38
	s_cmp_ge_u32 s2, s16
	s_cselect_b32 s3, s3, s18
	s_cselect_b32 s2, s6, s2
	s_add_i32 s6, s3, 1
	s_cmp_ge_u32 s2, s16
	s_cselect_b32 s2, s6, s3
	v_lshrrev_b32_e32 v21, 6, v0
	s_xor_b32 s2, s2, s1
	s_waitcnt lgkmcnt(0)
	s_mul_i32 s26, s0, s10
	s_sub_i32 s12, s2, s1
	s_ashr_i32 s27, s26, 31
	v_cmp_gt_i32_e64 s[0:1], s30, v21
	v_cmp_le_i32_e32 vcc, s30, v21
	v_mbcnt_lo_u32_b32 v5, -1, 0
	s_barrier
                                        ; implicit-def: $vgpr9
                                        ; implicit-def: $vgpr11
                                        ; implicit-def: $vgpr10
	s_and_saveexec_b64 s[2:3], vcc
	s_xor_b64 s[2:3], exec, s[2:3]
; %bb.5:
	v_mbcnt_hi_u32_b32 v9, -1, v5
	v_and_b32_e32 v11, 64, v9
	v_add_u32_e32 v10, 64, v11
                                        ; implicit-def: $vgpr1
                                        ; implicit-def: $vgpr5
; %bb.6:
	s_or_saveexec_b64 s[6:7], s[2:3]
	s_load_dwordx2 s[22:23], s[4:5], 0x0
	s_load_dwordx2 s[28:29], s[4:5], 0x18
	s_load_dword s21, s[4:5], 0x88
	s_load_dwordx4 s[16:19], s[4:5], 0x58
	v_mov_b32_e32 v30, 0xff7fffff
	s_mul_i32 s12, s12, s14
	v_lshrrev_b32_e32 v8, 4, v0
	s_xor_b64 exec, exec, s[6:7]
	s_cbranch_execz .LBB289_108
; %bb.7:
	s_load_dwordx2 s[2:3], s[4:5], 0x10
	s_ashr_i32 s4, s12, 31
	v_lshlrev_b32_e32 v2, 5, v1
	v_bfe_u32 v6, v0, 3, 3
	ds_read_b128 v[16:19], v2
	ds_read_b128 v[26:29], v2 offset:16
	s_waitcnt lgkmcnt(0)
	s_add_u32 s2, s2, s12
	s_addc_u32 s3, s3, s4
	v_lshlrev_b32_e32 v2, 4, v6
	v_mov_b32_e32 v3, s3
	v_add_co_u32_e32 v2, vcc, s2, v2
	v_addc_co_u32_e32 v3, vcc, 0, v3, vcc
	v_cmp_eq_u32_e32 vcc, 0, v1
	v_add_co_u32_e64 v1, s[2:3], v2, v1
	v_addc_co_u32_e64 v2, s[2:3], 0, v3, s[2:3]
	s_sub_i32 s38, 1, s11
	s_lshl_b64 s[2:3], s[26:27], 2
	s_add_u32 s2, s24, s2
	s_addc_u32 s3, s25, s3
	v_and_b32_e32 v3, 60, v8
	v_mbcnt_hi_u32_b32 v9, -1, v5
	v_mov_b32_e32 v4, s3
	v_add_co_u32_e64 v3, s[2:3], s2, v3
	v_and_b32_e32 v11, 64, v9
	v_addc_co_u32_e64 v4, s[2:3], 0, v4, s[2:3]
	v_add_u32_e32 v10, 64, v11
	v_xor_b32_e32 v5, 4, v9
	v_cmp_lt_i32_e64 s[2:3], v5, v10
	v_cndmask_b32_e64 v5, v9, v5, s[2:3]
	v_lshlrev_b32_e32 v31, 2, v5
	v_xor_b32_e32 v5, 2, v9
	v_cmp_lt_i32_e64 s[2:3], v5, v10
	v_cndmask_b32_e64 v5, v9, v5, s[2:3]
	v_lshlrev_b32_e32 v32, 2, v5
	v_xor_b32_e32 v5, 1, v9
	v_cmp_lt_i32_e64 s[2:3], v5, v10
	s_load_dword s40, s[16:17], 0x0
	v_cndmask_b32_e64 v5, v9, v5, s[2:3]
	v_lshlrev_b32_e32 v33, 2, v5
	v_lshlrev_b32_e32 v5, 2, v6
	v_lshl_or_b32 v5, v21, 5, v5
	v_lshlrev_b32_e32 v12, 16, v16
	v_and_b32_e32 v13, 0xffff0000, v16
	v_lshlrev_b32_e32 v14, 16, v17
	v_and_b32_e32 v15, 0xffff0000, v17
	;; [unrolled: 2-line block ×8, first 2 shown]
	s_mov_b32 s39, s13
	v_cmp_neq_f32_e64 s[2:3], s33, 0
	v_lshl_or_b32 v34, v21, 3, v6
	v_add_u32_e32 v35, 0x110, v5
	s_mov_b64 s[14:15], 0
	s_movk_i32 s41, 0x80
	s_movk_i32 s42, 0x7f
	;; [unrolled: 1-line block ×3, first 2 shown]
	v_mov_b32_e32 v30, 0xff7fffff
	v_bfrev_b32_e32 v36, 60
	v_mov_b32_e32 v37, v21
	s_branch .LBB289_9
.LBB289_8:                              ;   in Loop: Header=BB289_9 Depth=1
	s_or_b64 exec, exec, s[16:17]
	v_add_u32_e32 v37, 2, v37
	v_cmp_le_i32_e64 s[4:5], s30, v37
	s_or_b64 s[14:15], s[4:5], s[14:15]
	v_add_co_u32_e64 v3, s[4:5], 8, v3
	v_add_u32_e32 v34, 16, v34
	v_add_u32_e32 v35, 64, v35
	v_addc_co_u32_e64 v4, s[4:5], 0, v4, s[4:5]
	s_andn2_b64 exec, exec, s[14:15]
	s_cbranch_execz .LBB289_107
.LBB289_9:                              ; =>This Inner Loop Header: Depth=1
	global_load_dword v5, v[3:4], off
	v_mov_b32_e32 v38, 0
	s_waitcnt vmcnt(0) lgkmcnt(0)
	v_mad_i64_i32 v[5:6], s[4:5], v5, s39, v[1:2]
	global_load_ubyte v39, v[5:6], off
	s_waitcnt vmcnt(0)
	v_cmp_ne_u16_e64 s[4:5], 0, v39
	s_and_saveexec_b64 s[16:17], s[4:5]
	s_cbranch_execz .LBB289_15
; %bb.10:                               ;   in Loop: Header=BB289_9 Depth=1
	v_cmp_ne_u16_e64 s[4:5], s41, v39
	v_bfrev_b32_e32 v38, 1
	s_and_saveexec_b64 s[34:35], s[4:5]
	s_cbranch_execz .LBB289_14
; %bb.11:                               ;   in Loop: Header=BB289_9 Depth=1
	v_and_b32_e32 v7, 0xffff, v39
	v_and_b32_e32 v40, 0x7f, v7
	v_cmp_ne_u32_e64 s[4:5], s42, v40
	v_mov_b32_e32 v38, 0x7f800001
	s_and_saveexec_b64 s[36:37], s[4:5]
	s_cbranch_execz .LBB289_13
; %bb.12:                               ;   in Loop: Header=BB289_9 Depth=1
	v_and_b32_e32 v38, 7, v7
	v_ffbh_u32_e32 v41, v38
	v_min_u32_e32 v44, 32, v41
	v_subrev_u32_e32 v41, 28, v44
	v_lshlrev_b64 v[41:42], v41, v[7:8]
	v_lshrrev_b32_e32 v43, 3, v40
	v_sub_u32_e32 v7, 29, v44
	v_and_b32_e32 v41, 7, v41
	v_cmp_gt_u32_e64 s[4:5], 8, v40
	v_cndmask_b32_e64 v7, v43, v7, s[4:5]
	v_cndmask_b32_e64 v38, v38, v41, s[4:5]
	v_lshlrev_b32_e32 v39, 24, v39
	v_lshlrev_b32_e32 v38, 20, v38
	v_and_b32_e32 v39, 0x80000000, v39
	v_lshl_add_u32 v7, v7, 23, v36
	v_or3_b32 v38, v39, v7, v38
.LBB289_13:                             ;   in Loop: Header=BB289_9 Depth=1
	s_or_b64 exec, exec, s[36:37]
.LBB289_14:                             ;   in Loop: Header=BB289_9 Depth=1
	s_or_b64 exec, exec, s[34:35]
.LBB289_15:                             ;   in Loop: Header=BB289_9 Depth=1
	s_or_b64 exec, exec, s[16:17]
	global_load_ubyte v41, v[5:6], off offset:8
	v_mov_b32_e32 v40, 0
	v_mov_b32_e32 v39, 0
	s_waitcnt vmcnt(0)
	v_cmp_ne_u16_e64 s[4:5], 0, v41
	s_and_saveexec_b64 s[16:17], s[4:5]
	s_cbranch_execz .LBB289_21
; %bb.16:                               ;   in Loop: Header=BB289_9 Depth=1
	v_cmp_ne_u16_e64 s[4:5], s41, v41
	v_bfrev_b32_e32 v39, 1
	s_and_saveexec_b64 s[34:35], s[4:5]
	s_cbranch_execz .LBB289_20
; %bb.17:                               ;   in Loop: Header=BB289_9 Depth=1
	v_and_b32_e32 v7, 0xffff, v41
	v_and_b32_e32 v42, 0x7f, v7
	v_cmp_ne_u32_e64 s[4:5], s42, v42
	v_mov_b32_e32 v39, 0x7f800001
	s_and_saveexec_b64 s[36:37], s[4:5]
	s_cbranch_execz .LBB289_19
; %bb.18:                               ;   in Loop: Header=BB289_9 Depth=1
	v_and_b32_e32 v39, 7, v7
	v_ffbh_u32_e32 v43, v39
	v_min_u32_e32 v46, 32, v43
	v_subrev_u32_e32 v43, 28, v46
	v_lshlrev_b64 v[43:44], v43, v[7:8]
	v_lshrrev_b32_e32 v45, 3, v42
	v_sub_u32_e32 v7, 29, v46
	v_and_b32_e32 v43, 7, v43
	v_cmp_gt_u32_e64 s[4:5], 8, v42
	v_cndmask_b32_e64 v7, v45, v7, s[4:5]
	v_cndmask_b32_e64 v39, v39, v43, s[4:5]
	v_lshlrev_b32_e32 v41, 24, v41
	v_lshlrev_b32_e32 v39, 20, v39
	v_and_b32_e32 v41, 0x80000000, v41
	v_lshl_add_u32 v7, v7, 23, v36
	v_or3_b32 v39, v41, v7, v39
.LBB289_19:                             ;   in Loop: Header=BB289_9 Depth=1
	s_or_b64 exec, exec, s[36:37]
.LBB289_20:                             ;   in Loop: Header=BB289_9 Depth=1
	s_or_b64 exec, exec, s[34:35]
.LBB289_21:                             ;   in Loop: Header=BB289_9 Depth=1
	s_or_b64 exec, exec, s[16:17]
	global_load_ubyte v41, v[5:6], off offset:128
	s_waitcnt vmcnt(0)
	v_cmp_ne_u16_e64 s[4:5], 0, v41
	s_and_saveexec_b64 s[16:17], s[4:5]
	s_cbranch_execz .LBB289_27
; %bb.22:                               ;   in Loop: Header=BB289_9 Depth=1
	v_cmp_ne_u16_e64 s[4:5], s41, v41
	v_bfrev_b32_e32 v40, 1
	s_and_saveexec_b64 s[34:35], s[4:5]
	s_cbranch_execz .LBB289_26
; %bb.23:                               ;   in Loop: Header=BB289_9 Depth=1
	v_and_b32_e32 v7, 0xffff, v41
	v_and_b32_e32 v42, 0x7f, v7
	v_cmp_ne_u32_e64 s[4:5], s42, v42
	v_mov_b32_e32 v40, 0x7f800001
	s_and_saveexec_b64 s[36:37], s[4:5]
	s_cbranch_execz .LBB289_25
; %bb.24:                               ;   in Loop: Header=BB289_9 Depth=1
	v_and_b32_e32 v40, 7, v7
	v_ffbh_u32_e32 v43, v40
	v_min_u32_e32 v46, 32, v43
	v_subrev_u32_e32 v43, 28, v46
	v_lshlrev_b64 v[43:44], v43, v[7:8]
	v_lshrrev_b32_e32 v45, 3, v42
	v_sub_u32_e32 v7, 29, v46
	v_and_b32_e32 v43, 7, v43
	v_cmp_gt_u32_e64 s[4:5], 8, v42
	v_cndmask_b32_e64 v7, v45, v7, s[4:5]
	v_cndmask_b32_e64 v40, v40, v43, s[4:5]
	v_lshlrev_b32_e32 v41, 24, v41
	v_lshlrev_b32_e32 v40, 20, v40
	v_and_b32_e32 v41, 0x80000000, v41
	v_lshl_add_u32 v7, v7, 23, v36
	v_or3_b32 v40, v41, v7, v40
.LBB289_25:                             ;   in Loop: Header=BB289_9 Depth=1
	s_or_b64 exec, exec, s[36:37]
.LBB289_26:                             ;   in Loop: Header=BB289_9 Depth=1
	s_or_b64 exec, exec, s[34:35]
.LBB289_27:                             ;   in Loop: Header=BB289_9 Depth=1
	s_or_b64 exec, exec, s[16:17]
	global_load_ubyte v43, v[5:6], off offset:136
	v_mov_b32_e32 v42, 0
	v_mov_b32_e32 v41, 0
	s_waitcnt vmcnt(0)
	v_cmp_ne_u16_e64 s[4:5], 0, v43
	s_and_saveexec_b64 s[16:17], s[4:5]
	s_cbranch_execz .LBB289_33
; %bb.28:                               ;   in Loop: Header=BB289_9 Depth=1
	v_cmp_ne_u16_e64 s[4:5], s41, v43
	v_bfrev_b32_e32 v41, 1
	s_and_saveexec_b64 s[34:35], s[4:5]
	s_cbranch_execz .LBB289_32
; %bb.29:                               ;   in Loop: Header=BB289_9 Depth=1
	v_and_b32_e32 v7, 0xffff, v43
	v_and_b32_e32 v44, 0x7f, v7
	v_cmp_ne_u32_e64 s[4:5], s42, v44
	v_mov_b32_e32 v41, 0x7f800001
	s_and_saveexec_b64 s[36:37], s[4:5]
	s_cbranch_execz .LBB289_31
; %bb.30:                               ;   in Loop: Header=BB289_9 Depth=1
	v_and_b32_e32 v41, 7, v7
	v_ffbh_u32_e32 v45, v41
	v_min_u32_e32 v48, 32, v45
	v_subrev_u32_e32 v45, 28, v48
	v_lshlrev_b64 v[45:46], v45, v[7:8]
	v_lshrrev_b32_e32 v47, 3, v44
	v_sub_u32_e32 v7, 29, v48
	v_and_b32_e32 v45, 7, v45
	v_cmp_gt_u32_e64 s[4:5], 8, v44
	v_cndmask_b32_e64 v7, v47, v7, s[4:5]
	v_cndmask_b32_e64 v41, v41, v45, s[4:5]
	v_lshlrev_b32_e32 v43, 24, v43
	v_lshlrev_b32_e32 v41, 20, v41
	v_and_b32_e32 v43, 0x80000000, v43
	v_lshl_add_u32 v7, v7, 23, v36
	v_or3_b32 v41, v43, v7, v41
.LBB289_31:                             ;   in Loop: Header=BB289_9 Depth=1
	s_or_b64 exec, exec, s[36:37]
.LBB289_32:                             ;   in Loop: Header=BB289_9 Depth=1
	s_or_b64 exec, exec, s[34:35]
.LBB289_33:                             ;   in Loop: Header=BB289_9 Depth=1
	s_or_b64 exec, exec, s[16:17]
	global_load_ubyte v43, v[5:6], off offset:256
	s_waitcnt vmcnt(0)
	v_cmp_ne_u16_e64 s[4:5], 0, v43
	s_and_saveexec_b64 s[16:17], s[4:5]
	s_cbranch_execz .LBB289_39
; %bb.34:                               ;   in Loop: Header=BB289_9 Depth=1
	v_cmp_ne_u16_e64 s[4:5], s41, v43
	v_bfrev_b32_e32 v42, 1
	s_and_saveexec_b64 s[34:35], s[4:5]
	s_cbranch_execz .LBB289_38
; %bb.35:                               ;   in Loop: Header=BB289_9 Depth=1
	v_and_b32_e32 v7, 0xffff, v43
	v_and_b32_e32 v44, 0x7f, v7
	v_cmp_ne_u32_e64 s[4:5], s42, v44
	v_mov_b32_e32 v42, 0x7f800001
	s_and_saveexec_b64 s[36:37], s[4:5]
	s_cbranch_execz .LBB289_37
; %bb.36:                               ;   in Loop: Header=BB289_9 Depth=1
	v_and_b32_e32 v42, 7, v7
	v_ffbh_u32_e32 v45, v42
	v_min_u32_e32 v48, 32, v45
	v_subrev_u32_e32 v45, 28, v48
	v_lshlrev_b64 v[45:46], v45, v[7:8]
	v_lshrrev_b32_e32 v47, 3, v44
	v_sub_u32_e32 v7, 29, v48
	v_and_b32_e32 v45, 7, v45
	v_cmp_gt_u32_e64 s[4:5], 8, v44
	v_cndmask_b32_e64 v7, v47, v7, s[4:5]
	v_cndmask_b32_e64 v42, v42, v45, s[4:5]
	v_lshlrev_b32_e32 v43, 24, v43
	v_lshlrev_b32_e32 v42, 20, v42
	v_and_b32_e32 v43, 0x80000000, v43
	v_lshl_add_u32 v7, v7, 23, v36
	v_or3_b32 v42, v43, v7, v42
.LBB289_37:                             ;   in Loop: Header=BB289_9 Depth=1
	s_or_b64 exec, exec, s[36:37]
.LBB289_38:                             ;   in Loop: Header=BB289_9 Depth=1
	s_or_b64 exec, exec, s[34:35]
.LBB289_39:                             ;   in Loop: Header=BB289_9 Depth=1
	s_or_b64 exec, exec, s[16:17]
	global_load_ubyte v45, v[5:6], off offset:264
	v_mov_b32_e32 v44, 0
	v_mov_b32_e32 v43, 0
	s_waitcnt vmcnt(0)
	v_cmp_ne_u16_e64 s[4:5], 0, v45
	s_and_saveexec_b64 s[16:17], s[4:5]
	s_cbranch_execz .LBB289_45
; %bb.40:                               ;   in Loop: Header=BB289_9 Depth=1
	v_cmp_ne_u16_e64 s[4:5], s41, v45
	v_bfrev_b32_e32 v43, 1
	s_and_saveexec_b64 s[34:35], s[4:5]
	s_cbranch_execz .LBB289_44
; %bb.41:                               ;   in Loop: Header=BB289_9 Depth=1
	v_and_b32_e32 v7, 0xffff, v45
	v_and_b32_e32 v46, 0x7f, v7
	v_cmp_ne_u32_e64 s[4:5], s42, v46
	v_mov_b32_e32 v43, 0x7f800001
	s_and_saveexec_b64 s[36:37], s[4:5]
	s_cbranch_execz .LBB289_43
; %bb.42:                               ;   in Loop: Header=BB289_9 Depth=1
	v_and_b32_e32 v43, 7, v7
	v_ffbh_u32_e32 v47, v43
	v_min_u32_e32 v50, 32, v47
	v_subrev_u32_e32 v47, 28, v50
	v_lshlrev_b64 v[47:48], v47, v[7:8]
	v_lshrrev_b32_e32 v49, 3, v46
	v_sub_u32_e32 v7, 29, v50
	v_and_b32_e32 v47, 7, v47
	v_cmp_gt_u32_e64 s[4:5], 8, v46
	v_cndmask_b32_e64 v7, v49, v7, s[4:5]
	v_cndmask_b32_e64 v43, v43, v47, s[4:5]
	v_lshlrev_b32_e32 v45, 24, v45
	v_lshlrev_b32_e32 v43, 20, v43
	v_and_b32_e32 v45, 0x80000000, v45
	v_lshl_add_u32 v7, v7, 23, v36
	v_or3_b32 v43, v45, v7, v43
.LBB289_43:                             ;   in Loop: Header=BB289_9 Depth=1
	s_or_b64 exec, exec, s[36:37]
.LBB289_44:                             ;   in Loop: Header=BB289_9 Depth=1
	s_or_b64 exec, exec, s[34:35]
.LBB289_45:                             ;   in Loop: Header=BB289_9 Depth=1
	s_or_b64 exec, exec, s[16:17]
	global_load_ubyte v45, v[5:6], off offset:384
	s_waitcnt vmcnt(0)
	v_cmp_ne_u16_e64 s[4:5], 0, v45
	s_and_saveexec_b64 s[16:17], s[4:5]
	s_cbranch_execz .LBB289_51
; %bb.46:                               ;   in Loop: Header=BB289_9 Depth=1
	v_cmp_ne_u16_e64 s[4:5], s41, v45
	v_bfrev_b32_e32 v44, 1
	s_and_saveexec_b64 s[34:35], s[4:5]
	s_cbranch_execz .LBB289_50
; %bb.47:                               ;   in Loop: Header=BB289_9 Depth=1
	v_and_b32_e32 v7, 0xffff, v45
	v_and_b32_e32 v46, 0x7f, v7
	v_cmp_ne_u32_e64 s[4:5], s42, v46
	v_mov_b32_e32 v44, 0x7f800001
	s_and_saveexec_b64 s[36:37], s[4:5]
	s_cbranch_execz .LBB289_49
; %bb.48:                               ;   in Loop: Header=BB289_9 Depth=1
	v_and_b32_e32 v44, 7, v7
	v_ffbh_u32_e32 v47, v44
	v_min_u32_e32 v50, 32, v47
	v_subrev_u32_e32 v47, 28, v50
	v_lshlrev_b64 v[47:48], v47, v[7:8]
	v_lshrrev_b32_e32 v49, 3, v46
	v_sub_u32_e32 v7, 29, v50
	v_and_b32_e32 v47, 7, v47
	v_cmp_gt_u32_e64 s[4:5], 8, v46
	v_cndmask_b32_e64 v7, v49, v7, s[4:5]
	v_cndmask_b32_e64 v44, v44, v47, s[4:5]
	v_lshlrev_b32_e32 v45, 24, v45
	v_lshlrev_b32_e32 v44, 20, v44
	v_and_b32_e32 v45, 0x80000000, v45
	v_lshl_add_u32 v7, v7, 23, v36
	v_or3_b32 v44, v45, v7, v44
.LBB289_49:                             ;   in Loop: Header=BB289_9 Depth=1
	s_or_b64 exec, exec, s[36:37]
.LBB289_50:                             ;   in Loop: Header=BB289_9 Depth=1
	s_or_b64 exec, exec, s[34:35]
.LBB289_51:                             ;   in Loop: Header=BB289_9 Depth=1
	s_or_b64 exec, exec, s[16:17]
	global_load_ubyte v47, v[5:6], off offset:392
	v_mov_b32_e32 v46, 0
	v_mov_b32_e32 v45, 0
	s_waitcnt vmcnt(0)
	v_cmp_ne_u16_e64 s[4:5], 0, v47
	s_and_saveexec_b64 s[16:17], s[4:5]
	s_cbranch_execz .LBB289_57
; %bb.52:                               ;   in Loop: Header=BB289_9 Depth=1
	v_cmp_ne_u16_e64 s[4:5], s41, v47
	v_bfrev_b32_e32 v45, 1
	s_and_saveexec_b64 s[34:35], s[4:5]
	s_cbranch_execz .LBB289_56
; %bb.53:                               ;   in Loop: Header=BB289_9 Depth=1
	v_and_b32_e32 v7, 0xffff, v47
	v_and_b32_e32 v48, 0x7f, v7
	v_cmp_ne_u32_e64 s[4:5], s42, v48
	v_mov_b32_e32 v45, 0x7f800001
	s_and_saveexec_b64 s[36:37], s[4:5]
	s_cbranch_execz .LBB289_55
; %bb.54:                               ;   in Loop: Header=BB289_9 Depth=1
	v_and_b32_e32 v45, 7, v7
	v_ffbh_u32_e32 v49, v45
	v_min_u32_e32 v52, 32, v49
	v_subrev_u32_e32 v49, 28, v52
	v_lshlrev_b64 v[49:50], v49, v[7:8]
	v_lshrrev_b32_e32 v51, 3, v48
	v_sub_u32_e32 v7, 29, v52
	v_and_b32_e32 v49, 7, v49
	v_cmp_gt_u32_e64 s[4:5], 8, v48
	v_cndmask_b32_e64 v7, v51, v7, s[4:5]
	v_cndmask_b32_e64 v45, v45, v49, s[4:5]
	v_lshlrev_b32_e32 v47, 24, v47
	v_lshlrev_b32_e32 v45, 20, v45
	v_and_b32_e32 v47, 0x80000000, v47
	v_lshl_add_u32 v7, v7, 23, v36
	v_or3_b32 v45, v47, v7, v45
.LBB289_55:                             ;   in Loop: Header=BB289_9 Depth=1
	s_or_b64 exec, exec, s[36:37]
.LBB289_56:                             ;   in Loop: Header=BB289_9 Depth=1
	s_or_b64 exec, exec, s[34:35]
.LBB289_57:                             ;   in Loop: Header=BB289_9 Depth=1
	s_or_b64 exec, exec, s[16:17]
	global_load_ubyte v47, v[5:6], off offset:512
	s_waitcnt vmcnt(0)
	v_cmp_ne_u16_e64 s[4:5], 0, v47
	s_and_saveexec_b64 s[16:17], s[4:5]
	s_cbranch_execz .LBB289_63
; %bb.58:                               ;   in Loop: Header=BB289_9 Depth=1
	v_cmp_ne_u16_e64 s[4:5], s41, v47
	v_bfrev_b32_e32 v46, 1
	s_and_saveexec_b64 s[34:35], s[4:5]
	s_cbranch_execz .LBB289_62
; %bb.59:                               ;   in Loop: Header=BB289_9 Depth=1
	v_and_b32_e32 v7, 0xffff, v47
	v_and_b32_e32 v48, 0x7f, v7
	v_cmp_ne_u32_e64 s[4:5], s42, v48
	v_mov_b32_e32 v46, 0x7f800001
	s_and_saveexec_b64 s[36:37], s[4:5]
	s_cbranch_execz .LBB289_61
; %bb.60:                               ;   in Loop: Header=BB289_9 Depth=1
	v_and_b32_e32 v46, 7, v7
	v_ffbh_u32_e32 v49, v46
	v_min_u32_e32 v52, 32, v49
	v_subrev_u32_e32 v49, 28, v52
	v_lshlrev_b64 v[49:50], v49, v[7:8]
	v_lshrrev_b32_e32 v51, 3, v48
	v_sub_u32_e32 v7, 29, v52
	v_and_b32_e32 v49, 7, v49
	v_cmp_gt_u32_e64 s[4:5], 8, v48
	v_cndmask_b32_e64 v7, v51, v7, s[4:5]
	v_cndmask_b32_e64 v46, v46, v49, s[4:5]
	v_lshlrev_b32_e32 v47, 24, v47
	v_lshlrev_b32_e32 v46, 20, v46
	v_and_b32_e32 v47, 0x80000000, v47
	v_lshl_add_u32 v7, v7, 23, v36
	v_or3_b32 v46, v47, v7, v46
.LBB289_61:                             ;   in Loop: Header=BB289_9 Depth=1
	s_or_b64 exec, exec, s[36:37]
.LBB289_62:                             ;   in Loop: Header=BB289_9 Depth=1
	s_or_b64 exec, exec, s[34:35]
.LBB289_63:                             ;   in Loop: Header=BB289_9 Depth=1
	s_or_b64 exec, exec, s[16:17]
	global_load_ubyte v49, v[5:6], off offset:520
	v_mov_b32_e32 v48, 0
	v_mov_b32_e32 v47, 0
	s_waitcnt vmcnt(0)
	v_cmp_ne_u16_e64 s[4:5], 0, v49
	s_and_saveexec_b64 s[16:17], s[4:5]
	s_cbranch_execz .LBB289_69
; %bb.64:                               ;   in Loop: Header=BB289_9 Depth=1
	v_cmp_ne_u16_e64 s[4:5], s41, v49
	v_bfrev_b32_e32 v47, 1
	s_and_saveexec_b64 s[34:35], s[4:5]
	s_cbranch_execz .LBB289_68
; %bb.65:                               ;   in Loop: Header=BB289_9 Depth=1
	v_and_b32_e32 v7, 0xffff, v49
	v_and_b32_e32 v50, 0x7f, v7
	v_cmp_ne_u32_e64 s[4:5], s42, v50
	v_mov_b32_e32 v47, 0x7f800001
	s_and_saveexec_b64 s[36:37], s[4:5]
	s_cbranch_execz .LBB289_67
; %bb.66:                               ;   in Loop: Header=BB289_9 Depth=1
	v_and_b32_e32 v47, 7, v7
	v_ffbh_u32_e32 v51, v47
	v_min_u32_e32 v54, 32, v51
	v_subrev_u32_e32 v51, 28, v54
	v_lshlrev_b64 v[51:52], v51, v[7:8]
	v_lshrrev_b32_e32 v53, 3, v50
	v_sub_u32_e32 v7, 29, v54
	v_and_b32_e32 v51, 7, v51
	v_cmp_gt_u32_e64 s[4:5], 8, v50
	v_cndmask_b32_e64 v7, v53, v7, s[4:5]
	v_cndmask_b32_e64 v47, v47, v51, s[4:5]
	v_lshlrev_b32_e32 v49, 24, v49
	v_lshlrev_b32_e32 v47, 20, v47
	v_and_b32_e32 v49, 0x80000000, v49
	v_lshl_add_u32 v7, v7, 23, v36
	v_or3_b32 v47, v49, v7, v47
.LBB289_67:                             ;   in Loop: Header=BB289_9 Depth=1
	s_or_b64 exec, exec, s[36:37]
.LBB289_68:                             ;   in Loop: Header=BB289_9 Depth=1
	s_or_b64 exec, exec, s[34:35]
.LBB289_69:                             ;   in Loop: Header=BB289_9 Depth=1
	s_or_b64 exec, exec, s[16:17]
	global_load_ubyte v49, v[5:6], off offset:640
	s_waitcnt vmcnt(0)
	v_cmp_ne_u16_e64 s[4:5], 0, v49
	s_and_saveexec_b64 s[16:17], s[4:5]
	s_cbranch_execz .LBB289_75
; %bb.70:                               ;   in Loop: Header=BB289_9 Depth=1
	v_cmp_ne_u16_e64 s[4:5], s41, v49
	v_bfrev_b32_e32 v48, 1
	s_and_saveexec_b64 s[34:35], s[4:5]
	s_cbranch_execz .LBB289_74
; %bb.71:                               ;   in Loop: Header=BB289_9 Depth=1
	v_and_b32_e32 v7, 0xffff, v49
	v_and_b32_e32 v50, 0x7f, v7
	v_cmp_ne_u32_e64 s[4:5], s42, v50
	v_mov_b32_e32 v48, 0x7f800001
	s_and_saveexec_b64 s[36:37], s[4:5]
	s_cbranch_execz .LBB289_73
; %bb.72:                               ;   in Loop: Header=BB289_9 Depth=1
	v_and_b32_e32 v48, 7, v7
	v_ffbh_u32_e32 v51, v48
	v_min_u32_e32 v54, 32, v51
	v_subrev_u32_e32 v51, 28, v54
	v_lshlrev_b64 v[51:52], v51, v[7:8]
	v_lshrrev_b32_e32 v53, 3, v50
	v_sub_u32_e32 v7, 29, v54
	v_and_b32_e32 v51, 7, v51
	v_cmp_gt_u32_e64 s[4:5], 8, v50
	v_cndmask_b32_e64 v7, v53, v7, s[4:5]
	v_cndmask_b32_e64 v48, v48, v51, s[4:5]
	v_lshlrev_b32_e32 v49, 24, v49
	v_lshlrev_b32_e32 v48, 20, v48
	v_and_b32_e32 v49, 0x80000000, v49
	v_lshl_add_u32 v7, v7, 23, v36
	v_or3_b32 v48, v49, v7, v48
.LBB289_73:                             ;   in Loop: Header=BB289_9 Depth=1
	s_or_b64 exec, exec, s[36:37]
.LBB289_74:                             ;   in Loop: Header=BB289_9 Depth=1
	s_or_b64 exec, exec, s[34:35]
.LBB289_75:                             ;   in Loop: Header=BB289_9 Depth=1
	s_or_b64 exec, exec, s[16:17]
	global_load_ubyte v51, v[5:6], off offset:648
	v_mov_b32_e32 v50, 0
	v_mov_b32_e32 v49, 0
	s_waitcnt vmcnt(0)
	v_cmp_ne_u16_e64 s[4:5], 0, v51
	s_and_saveexec_b64 s[16:17], s[4:5]
	s_cbranch_execz .LBB289_81
; %bb.76:                               ;   in Loop: Header=BB289_9 Depth=1
	v_cmp_ne_u16_e64 s[4:5], s41, v51
	v_bfrev_b32_e32 v49, 1
	s_and_saveexec_b64 s[34:35], s[4:5]
	s_cbranch_execz .LBB289_80
; %bb.77:                               ;   in Loop: Header=BB289_9 Depth=1
	v_and_b32_e32 v7, 0xffff, v51
	v_and_b32_e32 v52, 0x7f, v7
	v_cmp_ne_u32_e64 s[4:5], s42, v52
	v_mov_b32_e32 v49, 0x7f800001
	s_and_saveexec_b64 s[36:37], s[4:5]
	s_cbranch_execz .LBB289_79
; %bb.78:                               ;   in Loop: Header=BB289_9 Depth=1
	v_and_b32_e32 v49, 7, v7
	v_ffbh_u32_e32 v53, v49
	v_min_u32_e32 v56, 32, v53
	v_subrev_u32_e32 v53, 28, v56
	v_lshlrev_b64 v[53:54], v53, v[7:8]
	v_lshrrev_b32_e32 v55, 3, v52
	v_sub_u32_e32 v7, 29, v56
	v_and_b32_e32 v53, 7, v53
	v_cmp_gt_u32_e64 s[4:5], 8, v52
	v_cndmask_b32_e64 v7, v55, v7, s[4:5]
	v_cndmask_b32_e64 v49, v49, v53, s[4:5]
	v_lshlrev_b32_e32 v51, 24, v51
	v_lshlrev_b32_e32 v49, 20, v49
	v_and_b32_e32 v51, 0x80000000, v51
	v_lshl_add_u32 v7, v7, 23, v36
	v_or3_b32 v49, v51, v7, v49
.LBB289_79:                             ;   in Loop: Header=BB289_9 Depth=1
	s_or_b64 exec, exec, s[36:37]
.LBB289_80:                             ;   in Loop: Header=BB289_9 Depth=1
	s_or_b64 exec, exec, s[34:35]
.LBB289_81:                             ;   in Loop: Header=BB289_9 Depth=1
	s_or_b64 exec, exec, s[16:17]
	global_load_ubyte v51, v[5:6], off offset:768
	s_waitcnt vmcnt(0)
	v_cmp_ne_u16_e64 s[4:5], 0, v51
	s_and_saveexec_b64 s[16:17], s[4:5]
	s_cbranch_execz .LBB289_87
; %bb.82:                               ;   in Loop: Header=BB289_9 Depth=1
	v_cmp_ne_u16_e64 s[4:5], s41, v51
	v_bfrev_b32_e32 v50, 1
	s_and_saveexec_b64 s[34:35], s[4:5]
	s_cbranch_execz .LBB289_86
; %bb.83:                               ;   in Loop: Header=BB289_9 Depth=1
	v_and_b32_e32 v7, 0xffff, v51
	v_and_b32_e32 v52, 0x7f, v7
	v_cmp_ne_u32_e64 s[4:5], s42, v52
	v_mov_b32_e32 v50, 0x7f800001
	s_and_saveexec_b64 s[36:37], s[4:5]
	s_cbranch_execz .LBB289_85
; %bb.84:                               ;   in Loop: Header=BB289_9 Depth=1
	v_and_b32_e32 v50, 7, v7
	v_ffbh_u32_e32 v53, v50
	v_min_u32_e32 v56, 32, v53
	v_subrev_u32_e32 v53, 28, v56
	v_lshlrev_b64 v[53:54], v53, v[7:8]
	v_lshrrev_b32_e32 v55, 3, v52
	v_sub_u32_e32 v7, 29, v56
	v_and_b32_e32 v53, 7, v53
	v_cmp_gt_u32_e64 s[4:5], 8, v52
	v_cndmask_b32_e64 v7, v55, v7, s[4:5]
	v_cndmask_b32_e64 v50, v50, v53, s[4:5]
	v_lshlrev_b32_e32 v51, 24, v51
	v_lshlrev_b32_e32 v50, 20, v50
	v_and_b32_e32 v51, 0x80000000, v51
	v_lshl_add_u32 v7, v7, 23, v36
	v_or3_b32 v50, v51, v7, v50
.LBB289_85:                             ;   in Loop: Header=BB289_9 Depth=1
	s_or_b64 exec, exec, s[36:37]
.LBB289_86:                             ;   in Loop: Header=BB289_9 Depth=1
	s_or_b64 exec, exec, s[34:35]
.LBB289_87:                             ;   in Loop: Header=BB289_9 Depth=1
	s_or_b64 exec, exec, s[16:17]
	global_load_ubyte v53, v[5:6], off offset:776
	v_mov_b32_e32 v52, 0
	v_mov_b32_e32 v51, 0
	s_waitcnt vmcnt(0)
	v_cmp_ne_u16_e64 s[4:5], 0, v53
	s_and_saveexec_b64 s[16:17], s[4:5]
	s_cbranch_execz .LBB289_93
; %bb.88:                               ;   in Loop: Header=BB289_9 Depth=1
	v_cmp_ne_u16_e64 s[4:5], s41, v53
	v_bfrev_b32_e32 v51, 1
	s_and_saveexec_b64 s[34:35], s[4:5]
	s_cbranch_execz .LBB289_92
; %bb.89:                               ;   in Loop: Header=BB289_9 Depth=1
	v_and_b32_e32 v7, 0xffff, v53
	v_and_b32_e32 v54, 0x7f, v7
	v_cmp_ne_u32_e64 s[4:5], s42, v54
	v_mov_b32_e32 v51, 0x7f800001
	s_and_saveexec_b64 s[36:37], s[4:5]
	s_cbranch_execz .LBB289_91
; %bb.90:                               ;   in Loop: Header=BB289_9 Depth=1
	v_and_b32_e32 v51, 7, v7
	v_ffbh_u32_e32 v55, v51
	v_min_u32_e32 v58, 32, v55
	v_subrev_u32_e32 v55, 28, v58
	v_lshlrev_b64 v[55:56], v55, v[7:8]
	v_lshrrev_b32_e32 v57, 3, v54
	v_sub_u32_e32 v7, 29, v58
	v_and_b32_e32 v55, 7, v55
	v_cmp_gt_u32_e64 s[4:5], 8, v54
	v_cndmask_b32_e64 v7, v57, v7, s[4:5]
	v_cndmask_b32_e64 v51, v51, v55, s[4:5]
	v_lshlrev_b32_e32 v53, 24, v53
	v_lshlrev_b32_e32 v51, 20, v51
	v_and_b32_e32 v53, 0x80000000, v53
	v_lshl_add_u32 v7, v7, 23, v36
	v_or3_b32 v51, v53, v7, v51
.LBB289_91:                             ;   in Loop: Header=BB289_9 Depth=1
	s_or_b64 exec, exec, s[36:37]
.LBB289_92:                             ;   in Loop: Header=BB289_9 Depth=1
	s_or_b64 exec, exec, s[34:35]
.LBB289_93:                             ;   in Loop: Header=BB289_9 Depth=1
	s_or_b64 exec, exec, s[16:17]
	global_load_ubyte v53, v[5:6], off offset:896
	s_waitcnt vmcnt(0)
	v_cmp_ne_u16_e64 s[4:5], 0, v53
	s_and_saveexec_b64 s[16:17], s[4:5]
	s_cbranch_execz .LBB289_99
; %bb.94:                               ;   in Loop: Header=BB289_9 Depth=1
	v_cmp_ne_u16_e64 s[4:5], s41, v53
	v_bfrev_b32_e32 v52, 1
	s_and_saveexec_b64 s[34:35], s[4:5]
	s_cbranch_execz .LBB289_98
; %bb.95:                               ;   in Loop: Header=BB289_9 Depth=1
	v_and_b32_e32 v7, 0xffff, v53
	v_and_b32_e32 v54, 0x7f, v7
	v_cmp_ne_u32_e64 s[4:5], s42, v54
	v_mov_b32_e32 v52, 0x7f800001
	s_and_saveexec_b64 s[36:37], s[4:5]
	s_cbranch_execz .LBB289_97
; %bb.96:                               ;   in Loop: Header=BB289_9 Depth=1
	v_and_b32_e32 v52, 7, v7
	v_ffbh_u32_e32 v55, v52
	v_min_u32_e32 v58, 32, v55
	v_subrev_u32_e32 v55, 28, v58
	v_lshlrev_b64 v[55:56], v55, v[7:8]
	v_lshrrev_b32_e32 v57, 3, v54
	v_sub_u32_e32 v7, 29, v58
	v_and_b32_e32 v55, 7, v55
	v_cmp_gt_u32_e64 s[4:5], 8, v54
	v_cndmask_b32_e64 v7, v57, v7, s[4:5]
	v_cndmask_b32_e64 v52, v52, v55, s[4:5]
	v_lshlrev_b32_e32 v53, 24, v53
	v_lshlrev_b32_e32 v52, 20, v52
	v_and_b32_e32 v53, 0x80000000, v53
	v_lshl_add_u32 v7, v7, 23, v36
	v_or3_b32 v52, v53, v7, v52
.LBB289_97:                             ;   in Loop: Header=BB289_9 Depth=1
	s_or_b64 exec, exec, s[36:37]
.LBB289_98:                             ;   in Loop: Header=BB289_9 Depth=1
	s_or_b64 exec, exec, s[34:35]
.LBB289_99:                             ;   in Loop: Header=BB289_9 Depth=1
	s_or_b64 exec, exec, s[16:17]
	global_load_ubyte v7, v[5:6], off offset:904
	v_mov_b32_e32 v6, 0
	s_waitcnt vmcnt(0)
	v_cmp_ne_u16_e64 s[4:5], 0, v7
	s_and_saveexec_b64 s[16:17], s[4:5]
	s_cbranch_execz .LBB289_105
; %bb.100:                              ;   in Loop: Header=BB289_9 Depth=1
	v_cmp_ne_u16_e64 s[4:5], s41, v7
	v_bfrev_b32_e32 v6, 1
	s_and_saveexec_b64 s[34:35], s[4:5]
	s_cbranch_execz .LBB289_104
; %bb.101:                              ;   in Loop: Header=BB289_9 Depth=1
	v_and_b32_e32 v5, 0xffff, v7
	v_and_b32_e32 v53, 0x7f, v5
	v_cmp_ne_u32_e64 s[4:5], s42, v53
	v_mov_b32_e32 v6, 0x7f800001
	s_and_saveexec_b64 s[36:37], s[4:5]
	s_cbranch_execz .LBB289_103
; %bb.102:                              ;   in Loop: Header=BB289_9 Depth=1
	v_and_b32_e32 v54, 7, v5
	v_ffbh_u32_e32 v6, v54
	v_min_u32_e32 v56, 32, v6
	v_subrev_u32_e32 v6, 28, v56
	v_lshlrev_b64 v[5:6], v6, v[5:6]
	v_lshrrev_b32_e32 v55, 3, v53
	v_sub_u32_e32 v6, 29, v56
	v_and_b32_e32 v5, 7, v5
	v_cmp_gt_u32_e64 s[4:5], 8, v53
	v_cndmask_b32_e64 v6, v55, v6, s[4:5]
	v_cndmask_b32_e64 v5, v54, v5, s[4:5]
	v_lshlrev_b32_e32 v7, 24, v7
	v_lshlrev_b32_e32 v5, 20, v5
	v_and_b32_e32 v7, 0x80000000, v7
	v_lshl_add_u32 v6, v6, 23, v36
	v_or3_b32 v6, v7, v6, v5
.LBB289_103:                            ;   in Loop: Header=BB289_9 Depth=1
	s_or_b64 exec, exec, s[36:37]
.LBB289_104:                            ;   in Loop: Header=BB289_9 Depth=1
	s_or_b64 exec, exec, s[34:35]
.LBB289_105:                            ;   in Loop: Header=BB289_9 Depth=1
	s_or_b64 exec, exec, s[16:17]
	s_waitcnt lgkmcnt(0)
	v_mul_f32_e32 v5, s40, v52
	v_bfe_u32 v7, v5, 16, 1
	v_add3_u32 v7, v7, v5, s43
	v_or_b32_e32 v52, 0x400000, v5
	v_cmp_u_f32_e64 s[4:5], v5, v5
	v_cndmask_b32_e64 v5, v7, v52, s[4:5]
	v_mul_f32_e32 v7, s40, v51
	v_bfe_u32 v51, v7, 16, 1
	v_add3_u32 v51, v51, v7, s43
	v_or_b32_e32 v52, 0x400000, v7
	v_cmp_u_f32_e64 s[4:5], v7, v7
	v_mul_f32_e32 v50, s40, v50
	v_cndmask_b32_e64 v7, v51, v52, s[4:5]
	v_bfe_u32 v51, v50, 16, 1
	v_add3_u32 v51, v51, v50, s43
	v_or_b32_e32 v52, 0x400000, v50
	v_cmp_u_f32_e64 s[4:5], v50, v50
	v_mul_f32_e32 v49, s40, v49
	v_cndmask_b32_e64 v50, v51, v52, s[4:5]
	;; [unrolled: 6-line block ×13, first 2 shown]
	v_bfe_u32 v51, v38, 16, 1
	v_add3_u32 v51, v51, v38, s43
	v_or_b32_e32 v52, 0x400000, v38
	v_cmp_u_f32_e64 s[4:5], v38, v38
	v_cndmask_b32_e64 v38, v51, v52, s[4:5]
	v_and_b32_e32 v39, 0xffff0000, v39
	v_and_b32_e32 v38, 0xffff0000, v38
	v_mul_f32_e32 v39, v13, v39
	v_fmac_f32_e32 v39, v12, v38
	v_and_b32_e32 v38, 0xffff0000, v40
	v_fmac_f32_e32 v39, v14, v38
	v_and_b32_e32 v38, 0xffff0000, v41
	;; [unrolled: 2-line block ×9, first 2 shown]
	v_mul_f32_e32 v6, s40, v6
	v_fmac_f32_e32 v39, v24, v38
	v_and_b32_e32 v38, 0xffff0000, v49
	v_bfe_u32 v51, v6, 16, 1
	v_fmac_f32_e32 v39, v25, v38
	v_and_b32_e32 v38, 0xffff0000, v50
	v_add3_u32 v51, v51, v6, s43
	v_or_b32_e32 v52, 0x400000, v6
	v_cmp_u_f32_e64 s[4:5], v6, v6
	v_fmac_f32_e32 v39, v26, v38
	v_and_b32_e32 v7, 0xffff0000, v7
	v_cndmask_b32_e64 v6, v51, v52, s[4:5]
	v_fmac_f32_e32 v39, v27, v7
	v_and_b32_e32 v5, 0xffff0000, v5
	v_fmac_f32_e32 v39, v28, v5
	v_and_b32_e32 v5, 0xffff0000, v6
	v_fmac_f32_e32 v39, v29, v5
	ds_bpermute_b32 v5, v31, v39
	s_waitcnt lgkmcnt(0)
	v_add_f32_e32 v5, v39, v5
	ds_bpermute_b32 v6, v32, v5
	s_waitcnt lgkmcnt(0)
	v_add_f32_e32 v5, v5, v6
	ds_bpermute_b32 v6, v33, v5
	s_and_saveexec_b64 s[16:17], vcc
	s_cbranch_execz .LBB289_8
; %bb.106:                              ;   in Loop: Header=BB289_9 Depth=1
	v_add_u32_e32 v7, s38, v34
	v_cvt_f32_i32_e32 v7, v7
	s_waitcnt lgkmcnt(0)
	v_add_f32_e32 v5, v5, v6
	v_cmp_gt_i32_e64 s[4:5], s11, v34
	v_max_f32_e32 v6, v30, v30
	v_mul_f32_e32 v7, s33, v7
	v_cndmask_b32_e64 v7, 0, v7, s[2:3]
	v_fmac_f32_e32 v7, s31, v5
	v_cndmask_b32_e64 v5, 0, v7, s[4:5]
	ds_write_b32 v35, v5
	v_max_f32_e32 v5, v6, v7
	v_cndmask_b32_e64 v30, v30, v5, s[4:5]
	s_branch .LBB289_8
.LBB289_107:
	s_or_b64 exec, exec, s[14:15]
.LBB289_108:
	s_or_b64 exec, exec, s[6:7]
	v_xor_b32_e32 v1, 32, v9
	v_cmp_lt_i32_e32 vcc, v1, v10
	v_cndmask_b32_e32 v1, v9, v1, vcc
	v_lshlrev_b32_e32 v2, 2, v1
	ds_bpermute_b32 v1, v2, v30
	v_xor_b32_e32 v4, 16, v9
	v_max_f32_e32 v3, v30, v30
	v_cmp_lt_i32_e32 vcc, v4, v10
	v_xor_b32_e32 v5, 8, v9
	s_waitcnt lgkmcnt(0)
	v_max_f32_e32 v1, v1, v1
	v_max_f32_e32 v1, v3, v1
	v_cndmask_b32_e32 v3, v9, v4, vcc
	v_lshlrev_b32_e32 v4, 2, v3
	ds_bpermute_b32 v3, v4, v1
	v_cmp_lt_i32_e32 vcc, v5, v10
	v_and_b32_e32 v22, 63, v0
	s_waitcnt lgkmcnt(0)
	v_max_f32_e32 v3, v3, v3
	v_max_f32_e32 v3, v1, v3
	v_cndmask_b32_e32 v1, v9, v5, vcc
	v_lshlrev_b32_e32 v6, 2, v1
	ds_bpermute_b32 v5, v6, v3
	v_cmp_eq_u32_e32 vcc, 0, v22
	v_lshlrev_b32_e32 v1, 2, v21
	s_and_saveexec_b64 s[2:3], vcc
	s_cbranch_execz .LBB289_110
; %bb.109:
	s_waitcnt lgkmcnt(0)
	v_max_f32_e32 v5, v5, v5
	v_max_f32_e32 v3, v3, v3
	;; [unrolled: 1-line block ×3, first 2 shown]
	ds_write_b32 v1, v3 offset:256
.LBB289_110:
	s_or_b64 exec, exec, s[2:3]
	v_cmp_gt_u32_e64 s[2:3], 2, v22
	v_mov_b32_e32 v7, 0xff7fffff
	v_lshlrev_b32_e32 v3, 2, v22
	s_waitcnt lgkmcnt(0)
	s_barrier
	s_and_saveexec_b64 s[4:5], s[2:3]
; %bb.111:
	ds_read_b32 v7, v3 offset:256
; %bb.112:
	s_or_b64 exec, exec, s[4:5]
	v_xor_b32_e32 v5, 1, v9
	v_cmp_lt_i32_e64 s[4:5], v5, v10
	v_cndmask_b32_e64 v5, v9, v5, s[4:5]
	v_lshlrev_b32_e32 v5, 2, v5
	s_waitcnt lgkmcnt(0)
	ds_bpermute_b32 v12, v5, v7
	v_max_f32_e32 v7, v7, v7
	v_lshlrev_b32_e32 v11, 2, v11
	s_lshl_b32 s4, s30, 3
	s_min_i32 s31, s4, s11
	s_waitcnt lgkmcnt(0)
	v_max_f32_e32 v12, v12, v12
	v_max_f32_e32 v7, v7, v12
	ds_bpermute_b32 v11, v11, v7
	v_cmp_gt_i32_e64 s[4:5], s31, v0
	v_mov_b32_e32 v7, 0
	s_and_saveexec_b64 s[14:15], s[4:5]
	s_cbranch_execz .LBB289_116
; %bb.113:
	v_mov_b32_e32 v7, 0x110
	v_lshl_add_u32 v12, v0, 2, v7
	v_mov_b32_e32 v7, 0
	s_mov_b64 s[16:17], 0
	v_mov_b32_e32 v13, v0
.LBB289_114:                            ; =>This Inner Loop Header: Depth=1
	ds_read_b32 v14, v12
	v_add_u32_e32 v13, 0x80, v13
	v_cmp_le_i32_e64 s[6:7], s31, v13
	s_or_b64 s[16:17], s[6:7], s[16:17]
	s_waitcnt lgkmcnt(0)
	v_sub_f32_e32 v14, v14, v11
	v_mul_f32_e32 v14, 0x3fb8aa3b, v14
	v_exp_f32_e32 v14, v14
	ds_write_b32 v12, v14
	v_add_f32_e32 v7, v7, v14
	v_add_u32_e32 v12, 0x200, v12
	s_andn2_b64 exec, exec, s[16:17]
	s_cbranch_execnz .LBB289_114
; %bb.115:
	s_or_b64 exec, exec, s[16:17]
.LBB289_116:
	s_or_b64 exec, exec, s[14:15]
	ds_bpermute_b32 v2, v2, v7
	s_waitcnt lgkmcnt(0)
	v_add_f32_e32 v2, v7, v2
	ds_bpermute_b32 v4, v4, v2
	s_waitcnt lgkmcnt(0)
	v_add_f32_e32 v2, v2, v4
	ds_bpermute_b32 v4, v6, v2
	v_xor_b32_e32 v6, 4, v9
	v_cmp_lt_i32_e64 s[6:7], v6, v10
	v_cndmask_b32_e64 v6, v9, v6, s[6:7]
	v_lshlrev_b32_e32 v6, 2, v6
	s_waitcnt lgkmcnt(0)
	v_add_f32_e32 v2, v2, v4
	ds_bpermute_b32 v4, v6, v2
	v_xor_b32_e32 v6, 2, v9
	v_cmp_lt_i32_e64 s[6:7], v6, v10
	v_cndmask_b32_e64 v6, v9, v6, s[6:7]
	s_waitcnt lgkmcnt(0)
	v_add_f32_e32 v2, v2, v4
	v_lshlrev_b32_e32 v4, 2, v6
	ds_bpermute_b32 v4, v4, v2
	s_waitcnt lgkmcnt(0)
	v_add_f32_e32 v2, v2, v4
	ds_bpermute_b32 v4, v5, v2
	s_waitcnt lgkmcnt(0)
	v_add_f32_e32 v2, v2, v4
	s_and_saveexec_b64 s[6:7], vcc
; %bb.117:
	ds_write_b32 v1, v2 offset:264
; %bb.118:
	s_or_b64 exec, exec, s[6:7]
	s_waitcnt lgkmcnt(0)
	s_barrier
	s_and_saveexec_b64 s[6:7], s[2:3]
; %bb.119:
	ds_read_b32 v2, v3 offset:264
; %bb.120:
	s_or_b64 exec, exec, s[6:7]
	s_waitcnt lgkmcnt(0)
	ds_bpermute_b32 v1, v5, v2
	v_lshlrev_b32_e32 v3, 2, v9
	s_waitcnt lgkmcnt(0)
	v_add_f32_e32 v1, v2, v1
	v_and_b32_e32 v2, 0xffffff00, v3
	ds_bpermute_b32 v1, v2, v1
	s_and_saveexec_b64 s[2:3], s[4:5]
	s_cbranch_execz .LBB289_123
; %bb.121:
	s_waitcnt lgkmcnt(0)
	v_add_f32_e32 v2, 0x358637bd, v1
	v_div_scale_f32 v1, s[4:5], v2, v2, 1.0
	v_div_scale_f32 v3, vcc, 1.0, v2, 1.0
	s_mov_b64 s[4:5], 0
	v_rcp_f32_e32 v4, v1
	v_fma_f32 v5, -v1, v4, 1.0
	v_fmac_f32_e32 v4, v5, v4
	v_mul_f32_e32 v5, v3, v4
	v_fma_f32 v6, -v1, v5, v3
	v_fmac_f32_e32 v5, v6, v4
	v_fma_f32 v1, -v1, v5, v3
	v_div_fmas_f32 v3, v1, v4, v5
	v_mov_b32_e32 v1, 0x110
	v_lshl_add_u32 v1, v0, 2, v1
	v_div_fixup_f32 v2, v3, v2, 1.0
	v_mov_b32_e32 v3, v0
.LBB289_122:                            ; =>This Inner Loop Header: Depth=1
	ds_read_b32 v4, v1
	v_add_u32_e32 v3, 0x80, v3
	v_cmp_le_i32_e32 vcc, s31, v3
	s_or_b64 s[4:5], vcc, s[4:5]
	s_waitcnt lgkmcnt(0)
	v_mul_f32_e32 v4, v2, v4
	ds_write_b32 v1, v4
	v_add_u32_e32 v1, 0x200, v1
	s_andn2_b64 exec, exec, s[4:5]
	s_cbranch_execnz .LBB289_122
.LBB289_123:
	s_or_b64 exec, exec, s[2:3]
	v_mov_b32_e32 v23, 0
	v_mov_b32_e32 v24, 0
	s_waitcnt lgkmcnt(0)
	s_barrier
	s_and_saveexec_b64 s[2:3], s[0:1]
	s_cbranch_execz .LBB289_227
; %bb.124:
	s_ashr_i32 s0, s12, 31
	s_add_u32 s1, s28, s12
	s_addc_u32 s0, s29, s0
	v_lshlrev_b32_e32 v1, 3, v22
	s_load_dword s18, s[18:19], 0x0
	s_add_i32 s19, s30, -1
	v_mov_b32_e32 v2, s0
	v_add_co_u32_e32 v11, vcc, s1, v1
	s_lshl_b64 s[0:1], s[26:27], 2
	v_mov_b32_e32 v1, 0x110
	s_add_u32 s0, s24, s0
	v_addc_co_u32_e32 v12, vcc, 0, v2, vcc
	v_lshl_add_u32 v26, v21, 5, v1
	v_and_b32_e32 v1, 60, v8
	s_addc_u32 s1, s25, s1
	s_mov_b32 s4, -1
	v_mov_b32_e32 v2, s1
	v_add_co_u32_e32 v13, vcc, s0, v1
	s_mov_b32 s31, s13
	s_mov_b32 s5, 0xffffff
	v_mov_b32_e32 v10, 0
	v_lshl_or_b32 v25, v21, 3, 7
	v_addc_co_u32_e32 v14, vcc, 0, v2, vcc
	s_mov_b64 s[6:7], 0
	s_movk_i32 s24, 0x80
	s_movk_i32 s25, 0x7f
	;; [unrolled: 1-line block ×3, first 2 shown]
	v_bfrev_b32_e32 v27, 60
	v_mov_b32_e32 v24, 0
	v_mov_b32_e32 v23, 0
	s_branch .LBB289_126
.LBB289_125:                            ;   in Loop: Header=BB289_126 Depth=1
	s_or_b64 exec, exec, s[0:1]
	v_bfe_u32 v34, v5, 16, 1
	v_add3_u32 v34, v34, v5, s26
	v_or_b32_e32 v35, 0x400000, v5
	v_cmp_u_f32_e32 vcc, v5, v5
	v_cndmask_b32_e32 v5, v34, v35, vcc
	v_bfe_u32 v34, v6, 16, 1
	v_add3_u32 v34, v34, v6, s26
	v_or_b32_e32 v35, 0x400000, v6
	v_cmp_u_f32_e32 vcc, v6, v6
	v_cndmask_b32_e32 v6, v34, v35, vcc
	;; [unrolled: 5-line block ×7, first 2 shown]
	v_bfe_u32 v34, v4, 16, 1
	v_and_b32_e32 v5, 0xffff0000, v5
	v_lshlrev_b32_e32 v33, 16, v33
	v_add3_u32 v34, v34, v4, s26
	v_or_b32_e32 v35, 0x400000, v4
	v_cmp_u_f32_e32 vcc, v4, v4
	v_mul_f32_e32 v33, v5, v33
	v_cndmask_b32_e32 v4, v34, v35, vcc
	v_bfe_u32 v34, v33, 16, 1
	v_and_b32_e32 v6, 0xffff0000, v6
	v_lshlrev_b32_e32 v32, 16, v32
	v_add3_u32 v34, v34, v33, s26
	v_or_b32_e32 v35, 0x400000, v33
	v_cmp_u_f32_e32 vcc, v33, v33
	v_mul_f32_e32 v32, v6, v32
	v_cndmask_b32_e32 v33, v34, v35, vcc
	;; [unrolled: 8-line block ×8, first 2 shown]
	v_bfe_u32 v34, v29, 16, 1
	v_and_b32_e32 v32, 0xffff0000, v32
	v_and_b32_e32 v33, 0xffff0000, v33
	;; [unrolled: 1-line block ×4, first 2 shown]
	v_add3_u32 v34, v34, v29, s26
	v_or_b32_e32 v35, 0x400000, v29
	v_cmp_u_f32_e32 vcc, v29, v29
	v_add_f32_e32 v32, v33, v32
	v_add_f32_e32 v28, v31, v28
	v_and_b32_e32 v18, 0xffff0000, v18
	v_and_b32_e32 v19, 0xffff0000, v19
	v_cndmask_b32_e32 v29, v34, v35, vcc
	v_add_f32_e32 v28, v28, v32
	v_add_f32_e32 v18, v19, v18
	;; [unrolled: 1-line block ×3, first 2 shown]
	v_and_b32_e32 v19, 0xffff0000, v29
	v_and_b32_e32 v28, 0xffff0000, v30
	v_add_f32_e32 v19, v28, v19
	v_add_f32_e32 v18, v19, v18
	;; [unrolled: 1-line block ×3, first 2 shown]
	v_lshlrev_b32_e32 v18, 16, v44
	v_mul_f32_e32 v5, v5, v18
	v_bfe_u32 v18, v5, 16, 1
	v_add3_u32 v18, v18, v5, s26
	v_or_b32_e32 v19, 0x400000, v5
	v_cmp_u_f32_e32 vcc, v5, v5
	v_cndmask_b32_e32 v5, v18, v19, vcc
	v_lshlrev_b32_e32 v18, 16, v42
	v_mul_f32_e32 v6, v6, v18
	v_bfe_u32 v18, v6, 16, 1
	v_add3_u32 v18, v18, v6, s26
	v_or_b32_e32 v19, 0x400000, v6
	v_cmp_u_f32_e32 vcc, v6, v6
	v_cndmask_b32_e32 v6, v18, v19, vcc
	v_lshlrev_b32_e32 v18, 16, v43
	v_mul_f32_e32 v7, v7, v18
	v_lshlrev_b32_e32 v16, 16, v16
	v_bfe_u32 v18, v7, 16, 1
	v_mul_f32_e32 v8, v8, v16
	v_lshlrev_b32_e32 v15, 16, v15
	v_add3_u32 v18, v18, v7, s26
	v_or_b32_e32 v19, 0x400000, v7
	v_cmp_u_f32_e32 vcc, v7, v7
	v_bfe_u32 v16, v8, 16, 1
	v_mul_f32_e32 v1, v1, v15
	v_lshlrev_b32_e32 v9, 16, v9
	v_cndmask_b32_e32 v7, v18, v19, vcc
	v_add3_u32 v16, v16, v8, s26
	v_or_b32_e32 v18, 0x400000, v8
	v_cmp_u_f32_e32 vcc, v8, v8
	v_bfe_u32 v15, v1, 16, 1
	v_mul_f32_e32 v2, v2, v9
	v_cndmask_b32_e32 v8, v16, v18, vcc
	v_add3_u32 v15, v15, v1, s26
	v_or_b32_e32 v16, 0x400000, v1
	v_cmp_u_f32_e32 vcc, v1, v1
	v_bfe_u32 v9, v2, 16, 1
	v_cndmask_b32_e32 v1, v15, v16, vcc
	v_add3_u32 v9, v9, v2, s26
	v_or_b32_e32 v15, 0x400000, v2
	v_cmp_u_f32_e32 vcc, v2, v2
	v_cndmask_b32_e32 v2, v9, v15, vcc
	v_lshlrev_b32_e32 v9, 16, v17
	v_mul_f32_e32 v3, v3, v9
	v_bfe_u32 v9, v3, 16, 1
	v_add3_u32 v9, v9, v3, s26
	v_or_b32_e32 v15, 0x400000, v3
	v_cmp_u_f32_e32 vcc, v3, v3
	v_cndmask_b32_e32 v3, v9, v15, vcc
	v_lshlrev_b32_e32 v9, 16, v41
	v_mul_f32_e32 v4, v4, v9
	v_bfe_u32 v9, v4, 16, 1
	v_and_b32_e32 v6, 0xffff0000, v6
	v_and_b32_e32 v5, 0xffff0000, v5
	v_add3_u32 v9, v9, v4, s26
	v_or_b32_e32 v15, 0x400000, v4
	v_cmp_u_f32_e32 vcc, v4, v4
	v_add_f32_e32 v5, v5, v6
	v_and_b32_e32 v6, 0xffff0000, v8
	v_and_b32_e32 v7, 0xffff0000, v7
	v_cndmask_b32_e32 v4, v9, v15, vcc
	v_add_f32_e32 v6, v7, v6
	v_and_b32_e32 v2, 0xffff0000, v2
	v_and_b32_e32 v1, 0xffff0000, v1
	v_add_f32_e32 v5, v6, v5
	v_add_f32_e32 v1, v1, v2
	v_and_b32_e32 v2, 0xffff0000, v4
	v_and_b32_e32 v3, 0xffff0000, v3
	v_add_u32_e32 v21, 2, v21
	v_add_f32_e32 v1, v1, v5
	v_add_f32_e32 v2, v3, v2
	v_cmp_le_i32_e32 vcc, s30, v21
	v_add_f32_e32 v1, v2, v1
	s_or_b64 s[6:7], vcc, s[6:7]
	v_add_co_u32_e32 v13, vcc, 8, v13
	v_add_f32_e32 v23, v23, v1
	v_add_u32_e32 v25, 16, v25
	v_add_u32_e32 v26, 64, v26
	v_addc_co_u32_e32 v14, vcc, 0, v14, vcc
	s_andn2_b64 exec, exec, s[6:7]
	s_cbranch_execz .LBB289_226
.LBB289_126:                            ; =>This Inner Loop Header: Depth=1
	global_load_dword v1, v[13:14], off
	v_mov_b32_e32 v29, 0
	s_waitcnt vmcnt(0)
	v_mad_i64_i32 v[15:16], s[0:1], v1, s31, v[11:12]
	global_load_dwordx2 v[17:18], v[15:16], off
	ds_read2_b64 v[5:8], v26 offset1:1
	ds_read2_b64 v[1:4], v26 offset0:2 offset1:3
	s_waitcnt vmcnt(0)
	v_cmp_ne_u16_sdwa s[12:13], v17, v10 src0_sel:BYTE_0 src1_sel:DWORD
	s_and_saveexec_b64 s[0:1], s[12:13]
	s_cbranch_execz .LBB289_132
; %bb.127:                              ;   in Loop: Header=BB289_126 Depth=1
	v_cmp_ne_u16_sdwa s[14:15], v17, s24 src0_sel:BYTE_0 src1_sel:DWORD
	v_bfrev_b32_e32 v29, 1
	s_and_saveexec_b64 s[12:13], s[14:15]
	s_cbranch_execz .LBB289_131
; %bb.128:                              ;   in Loop: Header=BB289_126 Depth=1
	v_and_b32_e32 v9, 0x7f, v17
	v_cmp_ne_u32_e32 vcc, s25, v9
	v_mov_b32_e32 v29, 0x7f800001
	s_and_saveexec_b64 s[14:15], vcc
	s_cbranch_execz .LBB289_130
; %bb.129:                              ;   in Loop: Header=BB289_126 Depth=1
	v_and_b32_e32 v19, 7, v17
	v_ffbh_u32_e32 v19, v19
	v_min_u32_e32 v19, 32, v19
	v_lshrrev_b32_e32 v28, 3, v9
	v_subrev_u32_e32 v29, 28, v19
	v_sub_u32_e32 v19, 29, v19
	v_cmp_gt_u32_e32 vcc, 8, v9
	v_cndmask_b32_e32 v9, v28, v19, vcc
	v_cndmask_b32_e32 v19, 0, v29, vcc
	v_lshlrev_b64 v[28:29], v19, v[17:18]
	v_lshl_add_u32 v9, v9, 23, v27
	v_lshlrev_b32_e32 v19, 20, v28
	v_lshlrev_b32_e32 v28, 24, v17
	v_and_b32_e32 v19, 0x700000, v19
	v_and_b32_e32 v28, 0x80000000, v28
	v_or3_b32 v29, v28, v9, v19
.LBB289_130:                            ;   in Loop: Header=BB289_126 Depth=1
	s_or_b64 exec, exec, s[14:15]
.LBB289_131:                            ;   in Loop: Header=BB289_126 Depth=1
	s_or_b64 exec, exec, s[12:13]
.LBB289_132:                            ;   in Loop: Header=BB289_126 Depth=1
	s_or_b64 exec, exec, s[0:1]
	v_lshrrev_b16_e32 v9, 8, v17
	v_cmp_ne_u16_e32 vcc, 0, v9
	v_mov_b32_e32 v31, 0
	v_mov_b32_e32 v30, 0
	s_and_saveexec_b64 s[0:1], vcc
	s_cbranch_execz .LBB289_138
; %bb.133:                              ;   in Loop: Header=BB289_126 Depth=1
	v_cmp_ne_u16_e32 vcc, s24, v9
	v_bfrev_b32_e32 v30, 1
	s_and_saveexec_b64 s[12:13], vcc
	s_cbranch_execz .LBB289_137
; %bb.134:                              ;   in Loop: Header=BB289_126 Depth=1
	v_and_b32_e32 v19, 0x7f, v9
	v_cmp_ne_u32_e32 vcc, s25, v19
	v_mov_b32_e32 v30, 0x7f800001
	s_and_saveexec_b64 s[14:15], vcc
	s_cbranch_execz .LBB289_136
; %bb.135:                              ;   in Loop: Header=BB289_126 Depth=1
	v_and_b32_e32 v28, 7, v9
	v_ffbh_u32_e32 v32, v28
	v_min_u32_e32 v34, 32, v32
	v_subrev_u32_e32 v32, 28, v34
	v_lshlrev_b64 v[32:33], v32, v[9:10]
	v_lshrrev_b32_e32 v30, 3, v19
	v_sub_u32_e32 v9, 29, v34
	v_and_b32_e32 v32, 7, v32
	v_cmp_gt_u32_e32 vcc, 8, v19
	v_cndmask_b32_e32 v9, v30, v9, vcc
	v_cndmask_b32_e32 v19, v28, v32, vcc
	v_lshlrev_b32_e32 v28, 16, v17
	v_lshlrev_b32_e32 v19, 20, v19
	v_and_b32_e32 v28, 0x80000000, v28
	v_lshl_add_u32 v9, v9, 23, v27
	v_or3_b32 v30, v28, v9, v19
.LBB289_136:                            ;   in Loop: Header=BB289_126 Depth=1
	s_or_b64 exec, exec, s[14:15]
.LBB289_137:                            ;   in Loop: Header=BB289_126 Depth=1
	s_or_b64 exec, exec, s[12:13]
.LBB289_138:                            ;   in Loop: Header=BB289_126 Depth=1
	s_or_b64 exec, exec, s[0:1]
	v_lshrrev_b32_e32 v9, 16, v17
	v_cmp_ne_u16_sdwa s[12:13], v9, v10 src0_sel:BYTE_0 src1_sel:DWORD
	s_and_saveexec_b64 s[0:1], s[12:13]
	s_cbranch_execz .LBB289_144
; %bb.139:                              ;   in Loop: Header=BB289_126 Depth=1
	v_cmp_ne_u16_sdwa s[14:15], v9, s24 src0_sel:BYTE_0 src1_sel:DWORD
	v_bfrev_b32_e32 v31, 1
	s_and_saveexec_b64 s[12:13], s[14:15]
	s_cbranch_execz .LBB289_143
; %bb.140:                              ;   in Loop: Header=BB289_126 Depth=1
	v_bfe_u32 v19, v17, 16, 7
	v_cmp_ne_u32_e32 vcc, s25, v19
	v_mov_b32_e32 v31, 0x7f800001
	s_and_saveexec_b64 s[14:15], vcc
	s_cbranch_execz .LBB289_142
; %bb.141:                              ;   in Loop: Header=BB289_126 Depth=1
	v_and_b32_e32 v28, 7, v9
	v_ffbh_u32_e32 v31, v28
	v_min_u32_e32 v34, 32, v31
	v_subrev_u32_e32 v31, 28, v34
	v_lshlrev_b64 v[31:32], v31, v[9:10]
	v_lshrrev_b32_e32 v33, 3, v19
	v_sub_u32_e32 v32, 29, v34
	v_and_b32_e32 v31, 7, v31
	v_cmp_gt_u32_e32 vcc, 8, v19
	v_cndmask_b32_e32 v19, v33, v32, vcc
	v_cndmask_b32_e32 v28, v28, v31, vcc
	v_lshlrev_b32_e32 v9, 24, v9
	v_lshlrev_b32_e32 v28, 20, v28
	v_and_b32_e32 v9, 0x80000000, v9
	v_lshl_add_u32 v19, v19, 23, v27
	v_or3_b32 v31, v9, v19, v28
.LBB289_142:                            ;   in Loop: Header=BB289_126 Depth=1
	s_or_b64 exec, exec, s[14:15]
.LBB289_143:                            ;   in Loop: Header=BB289_126 Depth=1
	s_or_b64 exec, exec, s[12:13]
.LBB289_144:                            ;   in Loop: Header=BB289_126 Depth=1
	s_or_b64 exec, exec, s[0:1]
	v_cmp_lt_u32_e32 vcc, s5, v17
	v_mov_b32_e32 v32, 0
	v_mov_b32_e32 v28, 0
	s_and_saveexec_b64 s[0:1], vcc
	s_cbranch_execz .LBB289_150
; %bb.145:                              ;   in Loop: Header=BB289_126 Depth=1
	v_lshrrev_b32_e32 v9, 24, v17
	v_cmp_ne_u32_e32 vcc, s24, v9
	v_bfrev_b32_e32 v28, 1
	s_and_saveexec_b64 s[12:13], vcc
	s_cbranch_execz .LBB289_149
; %bb.146:                              ;   in Loop: Header=BB289_126 Depth=1
	v_bfe_u32 v19, v17, 24, 7
	v_cmp_ne_u32_e32 vcc, s25, v19
	v_mov_b32_e32 v28, 0x7f800001
	s_and_saveexec_b64 s[14:15], vcc
	s_cbranch_execz .LBB289_148
; %bb.147:                              ;   in Loop: Header=BB289_126 Depth=1
	v_and_b32_e32 v28, 7, v9
	v_ffbh_u32_e32 v33, v28
	v_min_u32_e32 v36, 32, v33
	v_subrev_u32_e32 v33, 28, v36
	v_lshlrev_b64 v[33:34], v33, v[9:10]
	v_lshrrev_b32_e32 v35, 3, v19
	v_sub_u32_e32 v34, 29, v36
	v_and_b32_e32 v33, 7, v33
	v_cmp_gt_u32_e32 vcc, 8, v19
	v_cndmask_b32_e32 v19, v35, v34, vcc
	v_cndmask_b32_e32 v28, v28, v33, vcc
	v_lshlrev_b32_e32 v9, 24, v9
	v_lshlrev_b32_e32 v28, 20, v28
	v_and_b32_e32 v9, 0x80000000, v9
	v_lshl_add_u32 v19, v19, 23, v27
	v_or3_b32 v28, v9, v19, v28
.LBB289_148:                            ;   in Loop: Header=BB289_126 Depth=1
	s_or_b64 exec, exec, s[14:15]
.LBB289_149:                            ;   in Loop: Header=BB289_126 Depth=1
	s_or_b64 exec, exec, s[12:13]
.LBB289_150:                            ;   in Loop: Header=BB289_126 Depth=1
	s_or_b64 exec, exec, s[0:1]
	v_mov_b32_e32 v9, v18
	v_cmp_ne_u16_sdwa s[12:13], v18, v10 src0_sel:BYTE_0 src1_sel:DWORD
	s_and_saveexec_b64 s[0:1], s[12:13]
	s_cbranch_execz .LBB289_156
; %bb.151:                              ;   in Loop: Header=BB289_126 Depth=1
	v_cmp_ne_u16_sdwa s[14:15], v18, s24 src0_sel:BYTE_0 src1_sel:DWORD
	v_bfrev_b32_e32 v32, 1
	s_and_saveexec_b64 s[12:13], s[14:15]
	s_cbranch_execz .LBB289_155
; %bb.152:                              ;   in Loop: Header=BB289_126 Depth=1
	v_and_b32_e32 v19, 0x7f, v18
	v_cmp_ne_u32_e32 vcc, s25, v19
	v_mov_b32_e32 v32, 0x7f800001
	s_and_saveexec_b64 s[14:15], vcc
	s_cbranch_execz .LBB289_154
; %bb.153:                              ;   in Loop: Header=BB289_126 Depth=1
	v_and_b32_e32 v32, 7, v18
	v_ffbh_u32_e32 v32, v32
	v_min_u32_e32 v32, 32, v32
	v_lshrrev_b32_e32 v33, 3, v19
	v_subrev_u32_e32 v34, 28, v32
	v_sub_u32_e32 v32, 29, v32
	v_cmp_gt_u32_e32 vcc, 8, v19
	v_cndmask_b32_e32 v19, v33, v32, vcc
	v_cndmask_b32_e32 v32, 0, v34, vcc
	v_lshlrev_b64 v[32:33], v32, v[9:10]
	v_lshlrev_b32_e32 v33, 24, v9
	v_lshlrev_b32_e32 v32, 20, v32
	v_and_b32_e32 v32, 0x700000, v32
	v_and_b32_e32 v33, 0x80000000, v33
	v_lshl_add_u32 v19, v19, 23, v27
	v_or3_b32 v32, v33, v19, v32
.LBB289_154:                            ;   in Loop: Header=BB289_126 Depth=1
	s_or_b64 exec, exec, s[14:15]
.LBB289_155:                            ;   in Loop: Header=BB289_126 Depth=1
	s_or_b64 exec, exec, s[12:13]
.LBB289_156:                            ;   in Loop: Header=BB289_126 Depth=1
	s_or_b64 exec, exec, s[0:1]
	v_lshrrev_b16_e32 v19, 8, v9
	v_cmp_ne_u16_e32 vcc, 0, v19
	v_mov_b32_e32 v35, 0
	v_mov_b32_e32 v33, 0
	s_and_saveexec_b64 s[0:1], vcc
	s_cbranch_execz .LBB289_162
; %bb.157:                              ;   in Loop: Header=BB289_126 Depth=1
	v_cmp_ne_u16_e32 vcc, s24, v19
	v_bfrev_b32_e32 v33, 1
	s_and_saveexec_b64 s[12:13], vcc
	s_cbranch_execz .LBB289_161
; %bb.158:                              ;   in Loop: Header=BB289_126 Depth=1
	v_and_b32_e32 v34, 0x7f, v19
	v_cmp_ne_u32_e32 vcc, s25, v34
	v_mov_b32_e32 v33, 0x7f800001
	s_and_saveexec_b64 s[14:15], vcc
	s_cbranch_execz .LBB289_160
; %bb.159:                              ;   in Loop: Header=BB289_126 Depth=1
	v_and_b32_e32 v33, 7, v19
	v_ffbh_u32_e32 v36, v33
	v_min_u32_e32 v39, 32, v36
	v_subrev_u32_e32 v36, 28, v39
	v_lshlrev_b64 v[36:37], v36, v[19:20]
	v_lshrrev_b32_e32 v38, 3, v34
	v_sub_u32_e32 v19, 29, v39
	v_and_b32_e32 v36, 7, v36
	v_cmp_gt_u32_e32 vcc, 8, v34
	v_cndmask_b32_e32 v19, v38, v19, vcc
	v_cndmask_b32_e32 v33, v33, v36, vcc
	v_lshlrev_b32_e32 v9, 16, v9
	v_lshlrev_b32_e32 v33, 20, v33
	v_and_b32_e32 v9, 0x80000000, v9
	v_lshl_add_u32 v19, v19, 23, v27
	v_or3_b32 v33, v9, v19, v33
.LBB289_160:                            ;   in Loop: Header=BB289_126 Depth=1
	s_or_b64 exec, exec, s[14:15]
.LBB289_161:                            ;   in Loop: Header=BB289_126 Depth=1
	s_or_b64 exec, exec, s[12:13]
.LBB289_162:                            ;   in Loop: Header=BB289_126 Depth=1
	s_or_b64 exec, exec, s[0:1]
	v_lshrrev_b32_e32 v9, 16, v18
	v_cmp_ne_u16_sdwa s[12:13], v9, v10 src0_sel:BYTE_0 src1_sel:DWORD
	s_and_saveexec_b64 s[0:1], s[12:13]
	s_cbranch_execz .LBB289_168
; %bb.163:                              ;   in Loop: Header=BB289_126 Depth=1
	v_cmp_ne_u16_sdwa s[14:15], v9, s24 src0_sel:BYTE_0 src1_sel:DWORD
	v_bfrev_b32_e32 v35, 1
	s_and_saveexec_b64 s[12:13], s[14:15]
	s_cbranch_execz .LBB289_167
; %bb.164:                              ;   in Loop: Header=BB289_126 Depth=1
	v_bfe_u32 v19, v18, 16, 7
	v_cmp_ne_u32_e32 vcc, s25, v19
	v_mov_b32_e32 v35, 0x7f800001
	s_and_saveexec_b64 s[14:15], vcc
	s_cbranch_execz .LBB289_166
; %bb.165:                              ;   in Loop: Header=BB289_126 Depth=1
	v_and_b32_e32 v36, 7, v9
	v_ffbh_u32_e32 v34, v36
	v_min_u32_e32 v38, 32, v34
	v_subrev_u32_e32 v34, 28, v38
	v_lshlrev_b64 v[34:35], v34, v[9:10]
	v_lshrrev_b32_e32 v37, 3, v19
	v_sub_u32_e32 v35, 29, v38
	v_and_b32_e32 v34, 7, v34
	v_cmp_gt_u32_e32 vcc, 8, v19
	v_cndmask_b32_e32 v19, v37, v35, vcc
	v_cndmask_b32_e32 v34, v36, v34, vcc
	v_lshlrev_b32_e32 v9, 24, v9
	v_lshlrev_b32_e32 v34, 20, v34
	v_and_b32_e32 v9, 0x80000000, v9
	v_lshl_add_u32 v19, v19, 23, v27
	v_or3_b32 v35, v9, v19, v34
.LBB289_166:                            ;   in Loop: Header=BB289_126 Depth=1
	s_or_b64 exec, exec, s[14:15]
.LBB289_167:                            ;   in Loop: Header=BB289_126 Depth=1
	s_or_b64 exec, exec, s[12:13]
.LBB289_168:                            ;   in Loop: Header=BB289_126 Depth=1
	s_or_b64 exec, exec, s[0:1]
	v_cmp_lt_u64_e32 vcc, s[4:5], v[17:18]
	v_mov_b32_e32 v17, 0
	s_and_saveexec_b64 s[0:1], vcc
	s_cbranch_execz .LBB289_174
; %bb.169:                              ;   in Loop: Header=BB289_126 Depth=1
	v_lshrrev_b32_e32 v9, 24, v18
	v_cmp_ne_u32_e32 vcc, s24, v9
	v_bfrev_b32_e32 v17, 1
	s_and_saveexec_b64 s[12:13], vcc
	s_cbranch_execz .LBB289_173
; %bb.170:                              ;   in Loop: Header=BB289_126 Depth=1
	v_bfe_u32 v18, v18, 24, 7
	v_cmp_ne_u32_e32 vcc, s25, v18
	v_mov_b32_e32 v17, 0x7f800001
	s_and_saveexec_b64 s[14:15], vcc
	s_cbranch_execz .LBB289_172
; %bb.171:                              ;   in Loop: Header=BB289_126 Depth=1
	v_and_b32_e32 v17, 7, v9
	v_ffbh_u32_e32 v34, v17
	v_min_u32_e32 v34, 32, v34
	v_subrev_u32_e32 v36, 28, v34
	v_lshlrev_b64 v[36:37], v36, v[9:10]
	v_lshrrev_b32_e32 v19, 3, v18
	v_sub_u32_e32 v34, 29, v34
	v_and_b32_e32 v36, 7, v36
	v_cmp_gt_u32_e32 vcc, 8, v18
	v_cndmask_b32_e32 v18, v19, v34, vcc
	v_cndmask_b32_e32 v17, v17, v36, vcc
	v_lshlrev_b32_e32 v9, 24, v9
	v_lshlrev_b32_e32 v17, 20, v17
	v_and_b32_e32 v9, 0x80000000, v9
	v_lshl_add_u32 v18, v18, 23, v27
	v_or3_b32 v17, v9, v18, v17
.LBB289_172:                            ;   in Loop: Header=BB289_126 Depth=1
	s_or_b64 exec, exec, s[14:15]
.LBB289_173:                            ;   in Loop: Header=BB289_126 Depth=1
	s_or_b64 exec, exec, s[12:13]
.LBB289_174:                            ;   in Loop: Header=BB289_126 Depth=1
	s_or_b64 exec, exec, s[0:1]
	s_waitcnt lgkmcnt(0)
	v_mul_f32_e32 v9, s18, v33
	v_bfe_u32 v18, v9, 16, 1
	v_add3_u32 v18, v18, v9, s26
	v_or_b32_e32 v19, 0x400000, v9
	v_cmp_u_f32_e64 s[0:1], v9, v9
	v_cndmask_b32_e64 v9, v18, v19, s[0:1]
	v_lshrrev_b32_e32 v18, 16, v9
	v_mul_f32_e32 v9, s18, v32
	v_bfe_u32 v19, v9, 16, 1
	v_add3_u32 v19, v19, v9, s26
	v_or_b32_e32 v32, 0x400000, v9
	v_cmp_u_f32_e64 s[0:1], v9, v9
	v_cndmask_b32_e64 v9, v19, v32, s[0:1]
	v_lshrrev_b32_e32 v19, 16, v9
	;; [unrolled: 7-line block ×7, first 2 shown]
	v_mul_f32_e32 v9, s18, v17
	v_bfe_u32 v17, v9, 16, 1
	v_add3_u32 v17, v17, v9, s26
	v_or_b32_e32 v29, 0x400000, v9
	v_cmp_u_f32_e64 s[0:1], v9, v9
	v_cndmask_b32_e64 v9, v17, v29, s[0:1]
	v_add_u32_e32 v34, -7, v25
	v_cmp_eq_u32_e32 vcc, s19, v21
	v_lshrrev_b32_e32 v29, 16, v9
	v_add_u32_e32 v40, -6, v25
	v_add_u32_e32 v39, -5, v25
	;; [unrolled: 1-line block ×6, first 2 shown]
	s_and_saveexec_b64 s[12:13], vcc
	s_cbranch_execz .LBB289_176
; %bb.175:                              ;   in Loop: Header=BB289_126 Depth=1
	v_cmp_gt_i32_e64 s[0:1], s11, v34
	v_cndmask_b32_e64 v33, 0, v33, s[0:1]
	v_cmp_gt_i32_e64 s[0:1], s11, v40
	v_cndmask_b32_e64 v32, 0, v32, s[0:1]
	;; [unrolled: 2-line block ×8, first 2 shown]
.LBB289_176:                            ;   in Loop: Header=BB289_126 Depth=1
	s_or_b64 exec, exec, s[12:13]
	global_load_dwordx2 v[15:16], v[15:16], off offset:512
	v_mov_b32_e32 v42, 0
	v_mov_b32_e32 v41, 0
	s_waitcnt vmcnt(0)
	v_cmp_ne_u16_sdwa s[0:1], v15, v10 src0_sel:BYTE_0 src1_sel:DWORD
	s_and_saveexec_b64 s[12:13], s[0:1]
	s_cbranch_execz .LBB289_182
; %bb.177:                              ;   in Loop: Header=BB289_126 Depth=1
	v_cmp_ne_u16_sdwa s[0:1], v15, s24 src0_sel:BYTE_0 src1_sel:DWORD
	v_bfrev_b32_e32 v41, 1
	s_and_saveexec_b64 s[14:15], s[0:1]
	s_cbranch_execz .LBB289_181
; %bb.178:                              ;   in Loop: Header=BB289_126 Depth=1
	v_and_b32_e32 v9, 0x7f, v15
	v_cmp_ne_u32_e64 s[0:1], s25, v9
	v_mov_b32_e32 v41, 0x7f800001
	s_and_saveexec_b64 s[16:17], s[0:1]
	s_cbranch_execz .LBB289_180
; %bb.179:                              ;   in Loop: Header=BB289_126 Depth=1
	v_and_b32_e32 v17, 7, v15
	v_ffbh_u32_e32 v17, v17
	v_min_u32_e32 v17, 32, v17
	v_lshrrev_b32_e32 v41, 3, v9
	v_subrev_u32_e32 v43, 28, v17
	v_sub_u32_e32 v17, 29, v17
	v_cmp_gt_u32_e64 s[0:1], 8, v9
	v_cndmask_b32_e64 v9, v41, v17, s[0:1]
	v_cndmask_b32_e64 v17, 0, v43, s[0:1]
	v_lshlrev_b64 v[43:44], v17, v[15:16]
	v_lshlrev_b32_e32 v41, 24, v15
	v_lshlrev_b32_e32 v17, 20, v43
	v_and_b32_e32 v17, 0x700000, v17
	v_and_b32_e32 v41, 0x80000000, v41
	v_lshl_add_u32 v9, v9, 23, v27
	v_or3_b32 v41, v41, v9, v17
.LBB289_180:                            ;   in Loop: Header=BB289_126 Depth=1
	s_or_b64 exec, exec, s[16:17]
.LBB289_181:                            ;   in Loop: Header=BB289_126 Depth=1
	s_or_b64 exec, exec, s[14:15]
.LBB289_182:                            ;   in Loop: Header=BB289_126 Depth=1
	s_or_b64 exec, exec, s[12:13]
	v_lshrrev_b16_e32 v9, 8, v15
	v_cmp_ne_u16_e64 s[0:1], 0, v9
	s_and_saveexec_b64 s[12:13], s[0:1]
	s_cbranch_execz .LBB289_188
; %bb.183:                              ;   in Loop: Header=BB289_126 Depth=1
	v_cmp_ne_u16_e64 s[0:1], s24, v9
	v_bfrev_b32_e32 v42, 1
	s_and_saveexec_b64 s[14:15], s[0:1]
	s_cbranch_execz .LBB289_187
; %bb.184:                              ;   in Loop: Header=BB289_126 Depth=1
	v_and_b32_e32 v17, 0x7f, v9
	v_cmp_ne_u32_e64 s[0:1], s25, v17
	v_mov_b32_e32 v42, 0x7f800001
	s_and_saveexec_b64 s[16:17], s[0:1]
	s_cbranch_execz .LBB289_186
; %bb.185:                              ;   in Loop: Header=BB289_126 Depth=1
	v_and_b32_e32 v44, 7, v9
	v_ffbh_u32_e32 v42, v44
	v_min_u32_e32 v46, 32, v42
	v_subrev_u32_e32 v42, 28, v46
	v_lshlrev_b64 v[42:43], v42, v[9:10]
	v_lshrrev_b32_e32 v45, 3, v17
	v_sub_u32_e32 v9, 29, v46
	v_and_b32_e32 v42, 7, v42
	v_cmp_gt_u32_e64 s[0:1], 8, v17
	v_cndmask_b32_e64 v9, v45, v9, s[0:1]
	v_cndmask_b32_e64 v17, v44, v42, s[0:1]
	v_lshlrev_b32_e32 v42, 16, v15
	v_lshlrev_b32_e32 v17, 20, v17
	v_and_b32_e32 v42, 0x80000000, v42
	v_lshl_add_u32 v9, v9, 23, v27
	v_or3_b32 v42, v42, v9, v17
.LBB289_186:                            ;   in Loop: Header=BB289_126 Depth=1
	s_or_b64 exec, exec, s[16:17]
.LBB289_187:                            ;   in Loop: Header=BB289_126 Depth=1
	s_or_b64 exec, exec, s[14:15]
.LBB289_188:                            ;   in Loop: Header=BB289_126 Depth=1
	s_or_b64 exec, exec, s[12:13]
	v_lshrrev_b32_e32 v9, 16, v15
	v_cmp_ne_u16_sdwa s[0:1], v9, v10 src0_sel:BYTE_0 src1_sel:DWORD
	v_mov_b32_e32 v44, 0
	v_mov_b32_e32 v43, 0
	s_and_saveexec_b64 s[12:13], s[0:1]
	s_cbranch_execz .LBB289_194
; %bb.189:                              ;   in Loop: Header=BB289_126 Depth=1
	v_cmp_ne_u16_sdwa s[0:1], v9, s24 src0_sel:BYTE_0 src1_sel:DWORD
	v_bfrev_b32_e32 v43, 1
	s_and_saveexec_b64 s[14:15], s[0:1]
	s_cbranch_execz .LBB289_193
; %bb.190:                              ;   in Loop: Header=BB289_126 Depth=1
	v_bfe_u32 v17, v15, 16, 7
	v_cmp_ne_u32_e64 s[0:1], s25, v17
	v_mov_b32_e32 v43, 0x7f800001
	s_and_saveexec_b64 s[16:17], s[0:1]
	s_cbranch_execz .LBB289_192
; %bb.191:                              ;   in Loop: Header=BB289_126 Depth=1
	v_and_b32_e32 v43, 7, v9
	v_ffbh_u32_e32 v45, v43
	v_min_u32_e32 v48, 32, v45
	v_subrev_u32_e32 v45, 28, v48
	v_lshlrev_b64 v[45:46], v45, v[9:10]
	v_lshrrev_b32_e32 v47, 3, v17
	v_sub_u32_e32 v46, 29, v48
	v_and_b32_e32 v45, 7, v45
	v_cmp_gt_u32_e64 s[0:1], 8, v17
	v_cndmask_b32_e64 v17, v47, v46, s[0:1]
	v_cndmask_b32_e64 v43, v43, v45, s[0:1]
	v_lshlrev_b32_e32 v9, 24, v9
	v_lshlrev_b32_e32 v43, 20, v43
	v_and_b32_e32 v9, 0x80000000, v9
	v_lshl_add_u32 v17, v17, 23, v27
	v_or3_b32 v43, v9, v17, v43
.LBB289_192:                            ;   in Loop: Header=BB289_126 Depth=1
	s_or_b64 exec, exec, s[16:17]
.LBB289_193:                            ;   in Loop: Header=BB289_126 Depth=1
	s_or_b64 exec, exec, s[14:15]
.LBB289_194:                            ;   in Loop: Header=BB289_126 Depth=1
	s_or_b64 exec, exec, s[12:13]
	v_cmp_lt_u32_e64 s[0:1], s5, v15
	s_and_saveexec_b64 s[12:13], s[0:1]
	s_cbranch_execz .LBB289_200
; %bb.195:                              ;   in Loop: Header=BB289_126 Depth=1
	v_lshrrev_b32_e32 v9, 24, v15
	v_cmp_ne_u32_e64 s[0:1], s24, v9
	v_bfrev_b32_e32 v44, 1
	s_and_saveexec_b64 s[14:15], s[0:1]
	s_cbranch_execz .LBB289_199
; %bb.196:                              ;   in Loop: Header=BB289_126 Depth=1
	v_bfe_u32 v17, v15, 24, 7
	v_cmp_ne_u32_e64 s[0:1], s25, v17
	v_mov_b32_e32 v44, 0x7f800001
	s_and_saveexec_b64 s[16:17], s[0:1]
	s_cbranch_execz .LBB289_198
; %bb.197:                              ;   in Loop: Header=BB289_126 Depth=1
	v_and_b32_e32 v46, 7, v9
	v_ffbh_u32_e32 v44, v46
	v_min_u32_e32 v48, 32, v44
	v_subrev_u32_e32 v44, 28, v48
	v_lshlrev_b64 v[44:45], v44, v[9:10]
	v_lshrrev_b32_e32 v47, 3, v17
	v_sub_u32_e32 v45, 29, v48
	v_and_b32_e32 v44, 7, v44
	v_cmp_gt_u32_e64 s[0:1], 8, v17
	v_cndmask_b32_e64 v17, v47, v45, s[0:1]
	v_cndmask_b32_e64 v44, v46, v44, s[0:1]
	v_lshlrev_b32_e32 v9, 24, v9
	v_lshlrev_b32_e32 v44, 20, v44
	v_and_b32_e32 v9, 0x80000000, v9
	v_lshl_add_u32 v17, v17, 23, v27
	v_or3_b32 v44, v9, v17, v44
.LBB289_198:                            ;   in Loop: Header=BB289_126 Depth=1
	s_or_b64 exec, exec, s[16:17]
.LBB289_199:                            ;   in Loop: Header=BB289_126 Depth=1
	s_or_b64 exec, exec, s[14:15]
.LBB289_200:                            ;   in Loop: Header=BB289_126 Depth=1
	s_or_b64 exec, exec, s[12:13]
	v_mov_b32_e32 v9, v16
	v_cmp_ne_u16_sdwa s[0:1], v16, v10 src0_sel:BYTE_0 src1_sel:DWORD
	v_mov_b32_e32 v46, 0
	v_mov_b32_e32 v45, 0
	s_and_saveexec_b64 s[12:13], s[0:1]
	s_cbranch_execz .LBB289_206
; %bb.201:                              ;   in Loop: Header=BB289_126 Depth=1
	v_cmp_ne_u16_sdwa s[0:1], v16, s24 src0_sel:BYTE_0 src1_sel:DWORD
	v_bfrev_b32_e32 v45, 1
	s_and_saveexec_b64 s[14:15], s[0:1]
	s_cbranch_execz .LBB289_205
; %bb.202:                              ;   in Loop: Header=BB289_126 Depth=1
	v_and_b32_e32 v17, 0x7f, v16
	v_cmp_ne_u32_e64 s[0:1], s25, v17
	v_mov_b32_e32 v45, 0x7f800001
	s_and_saveexec_b64 s[16:17], s[0:1]
	s_cbranch_execz .LBB289_204
; %bb.203:                              ;   in Loop: Header=BB289_126 Depth=1
	v_and_b32_e32 v45, 7, v16
	v_ffbh_u32_e32 v45, v45
	v_min_u32_e32 v45, 32, v45
	v_lshrrev_b32_e32 v47, 3, v17
	v_subrev_u32_e32 v48, 28, v45
	v_sub_u32_e32 v45, 29, v45
	v_cmp_gt_u32_e64 s[0:1], 8, v17
	v_cndmask_b32_e64 v17, v47, v45, s[0:1]
	v_cndmask_b32_e64 v45, 0, v48, s[0:1]
	v_lshlrev_b64 v[47:48], v45, v[9:10]
	v_lshl_add_u32 v17, v17, 23, v27
	v_lshlrev_b32_e32 v45, 20, v47
	v_lshlrev_b32_e32 v47, 24, v9
	v_and_b32_e32 v45, 0x700000, v45
	v_and_b32_e32 v47, 0x80000000, v47
	v_or3_b32 v45, v47, v17, v45
.LBB289_204:                            ;   in Loop: Header=BB289_126 Depth=1
	s_or_b64 exec, exec, s[16:17]
.LBB289_205:                            ;   in Loop: Header=BB289_126 Depth=1
	s_or_b64 exec, exec, s[14:15]
.LBB289_206:                            ;   in Loop: Header=BB289_126 Depth=1
	s_or_b64 exec, exec, s[12:13]
	v_lshrrev_b16_e32 v17, 8, v9
	v_cmp_ne_u16_e64 s[0:1], 0, v17
	s_and_saveexec_b64 s[12:13], s[0:1]
	s_cbranch_execz .LBB289_212
; %bb.207:                              ;   in Loop: Header=BB289_126 Depth=1
	v_cmp_ne_u16_e64 s[0:1], s24, v17
	v_bfrev_b32_e32 v46, 1
	s_and_saveexec_b64 s[14:15], s[0:1]
	s_cbranch_execz .LBB289_211
; %bb.208:                              ;   in Loop: Header=BB289_126 Depth=1
	v_and_b32_e32 v47, 0x7f, v17
	v_cmp_ne_u32_e64 s[0:1], s25, v47
	v_mov_b32_e32 v46, 0x7f800001
	s_and_saveexec_b64 s[16:17], s[0:1]
	s_cbranch_execz .LBB289_210
; %bb.209:                              ;   in Loop: Header=BB289_126 Depth=1
	v_and_b32_e32 v46, 7, v17
	v_ffbh_u32_e32 v48, v46
	v_min_u32_e32 v51, 32, v48
	v_subrev_u32_e32 v48, 28, v51
	v_lshlrev_b64 v[48:49], v48, v[17:18]
	v_lshrrev_b32_e32 v50, 3, v47
	v_sub_u32_e32 v17, 29, v51
	v_and_b32_e32 v48, 7, v48
	v_cmp_gt_u32_e64 s[0:1], 8, v47
	v_cndmask_b32_e64 v17, v50, v17, s[0:1]
	v_cndmask_b32_e64 v46, v46, v48, s[0:1]
	v_lshlrev_b32_e32 v9, 16, v9
	v_lshlrev_b32_e32 v46, 20, v46
	v_and_b32_e32 v9, 0x80000000, v9
	v_lshl_add_u32 v17, v17, 23, v27
	v_or3_b32 v46, v9, v17, v46
.LBB289_210:                            ;   in Loop: Header=BB289_126 Depth=1
	s_or_b64 exec, exec, s[16:17]
.LBB289_211:                            ;   in Loop: Header=BB289_126 Depth=1
	s_or_b64 exec, exec, s[14:15]
.LBB289_212:                            ;   in Loop: Header=BB289_126 Depth=1
	s_or_b64 exec, exec, s[12:13]
	v_lshrrev_b32_e32 v9, 16, v16
	v_cmp_ne_u16_sdwa s[0:1], v9, v10 src0_sel:BYTE_0 src1_sel:DWORD
	v_mov_b32_e32 v47, 0
	v_mov_b32_e32 v17, 0
	s_and_saveexec_b64 s[12:13], s[0:1]
	s_cbranch_execz .LBB289_218
; %bb.213:                              ;   in Loop: Header=BB289_126 Depth=1
	v_cmp_ne_u16_sdwa s[0:1], v9, s24 src0_sel:BYTE_0 src1_sel:DWORD
	v_bfrev_b32_e32 v17, 1
	s_and_saveexec_b64 s[14:15], s[0:1]
	s_cbranch_execz .LBB289_217
; %bb.214:                              ;   in Loop: Header=BB289_126 Depth=1
	v_bfe_u32 v48, v16, 16, 7
	v_cmp_ne_u32_e64 s[0:1], s25, v48
	v_mov_b32_e32 v17, 0x7f800001
	s_and_saveexec_b64 s[16:17], s[0:1]
	s_cbranch_execz .LBB289_216
; %bb.215:                              ;   in Loop: Header=BB289_126 Depth=1
	v_and_b32_e32 v17, 7, v9
	v_ffbh_u32_e32 v49, v17
	v_min_u32_e32 v52, 32, v49
	v_subrev_u32_e32 v49, 28, v52
	v_lshlrev_b64 v[49:50], v49, v[9:10]
	v_lshrrev_b32_e32 v51, 3, v48
	v_sub_u32_e32 v50, 29, v52
	v_and_b32_e32 v49, 7, v49
	v_cmp_gt_u32_e64 s[0:1], 8, v48
	v_cndmask_b32_e64 v48, v51, v50, s[0:1]
	v_cndmask_b32_e64 v17, v17, v49, s[0:1]
	v_lshlrev_b32_e32 v9, 24, v9
	v_lshlrev_b32_e32 v17, 20, v17
	v_and_b32_e32 v9, 0x80000000, v9
	v_lshl_add_u32 v48, v48, 23, v27
	v_or3_b32 v17, v9, v48, v17
.LBB289_216:                            ;   in Loop: Header=BB289_126 Depth=1
	s_or_b64 exec, exec, s[16:17]
.LBB289_217:                            ;   in Loop: Header=BB289_126 Depth=1
	s_or_b64 exec, exec, s[14:15]
.LBB289_218:                            ;   in Loop: Header=BB289_126 Depth=1
	s_or_b64 exec, exec, s[12:13]
	v_cmp_lt_u64_e64 s[0:1], s[4:5], v[15:16]
	s_and_saveexec_b64 s[12:13], s[0:1]
	s_cbranch_execz .LBB289_224
; %bb.219:                              ;   in Loop: Header=BB289_126 Depth=1
	v_lshrrev_b32_e32 v9, 24, v16
	v_cmp_ne_u32_e64 s[0:1], s24, v9
	v_bfrev_b32_e32 v47, 1
	s_and_saveexec_b64 s[14:15], s[0:1]
	s_cbranch_execz .LBB289_223
; %bb.220:                              ;   in Loop: Header=BB289_126 Depth=1
	v_bfe_u32 v15, v16, 24, 7
	v_cmp_ne_u32_e64 s[0:1], s25, v15
	v_mov_b32_e32 v47, 0x7f800001
	s_and_saveexec_b64 s[16:17], s[0:1]
	s_cbranch_execz .LBB289_222
; %bb.221:                              ;   in Loop: Header=BB289_126 Depth=1
	v_and_b32_e32 v16, 7, v9
	v_ffbh_u32_e32 v47, v16
	v_min_u32_e32 v50, 32, v47
	v_subrev_u32_e32 v47, 28, v50
	v_lshlrev_b64 v[47:48], v47, v[9:10]
	v_lshrrev_b32_e32 v49, 3, v15
	v_sub_u32_e32 v48, 29, v50
	v_and_b32_e32 v47, 7, v47
	v_cmp_gt_u32_e64 s[0:1], 8, v15
	v_cndmask_b32_e64 v15, v49, v48, s[0:1]
	v_cndmask_b32_e64 v16, v16, v47, s[0:1]
	v_lshlrev_b32_e32 v9, 24, v9
	v_lshlrev_b32_e32 v16, 20, v16
	v_and_b32_e32 v9, 0x80000000, v9
	v_lshl_add_u32 v15, v15, 23, v27
	v_or3_b32 v47, v9, v15, v16
.LBB289_222:                            ;   in Loop: Header=BB289_126 Depth=1
	s_or_b64 exec, exec, s[16:17]
.LBB289_223:                            ;   in Loop: Header=BB289_126 Depth=1
	s_or_b64 exec, exec, s[14:15]
.LBB289_224:                            ;   in Loop: Header=BB289_126 Depth=1
	s_or_b64 exec, exec, s[12:13]
	v_mul_f32_e32 v9, s18, v46
	v_bfe_u32 v15, v9, 16, 1
	v_add3_u32 v15, v15, v9, s26
	v_or_b32_e32 v16, 0x400000, v9
	v_cmp_u_f32_e64 s[0:1], v9, v9
	v_cndmask_b32_e64 v9, v15, v16, s[0:1]
	v_mul_f32_e32 v15, s18, v45
	v_bfe_u32 v16, v15, 16, 1
	v_add3_u32 v16, v16, v15, s26
	v_or_b32_e32 v45, 0x400000, v15
	v_cmp_u_f32_e64 s[0:1], v15, v15
	v_cndmask_b32_e64 v15, v16, v45, s[0:1]
	v_mul_f32_e32 v16, s18, v44
	v_bfe_u32 v44, v16, 16, 1
	v_add3_u32 v44, v44, v16, s26
	v_or_b32_e32 v45, 0x400000, v16
	v_cmp_u_f32_e64 s[0:1], v16, v16
	v_mul_f32_e32 v43, s18, v43
	v_cndmask_b32_e64 v16, v44, v45, s[0:1]
	v_bfe_u32 v44, v43, 16, 1
	v_add3_u32 v44, v44, v43, s26
	v_or_b32_e32 v45, 0x400000, v43
	v_cmp_u_f32_e64 s[0:1], v43, v43
	v_mul_f32_e32 v42, s18, v42
	v_cndmask_b32_e64 v43, v44, v45, s[0:1]
	;; [unrolled: 6-line block ×3, first 2 shown]
	v_bfe_u32 v44, v41, 16, 1
	v_add3_u32 v44, v44, v41, s26
	v_or_b32_e32 v45, 0x400000, v41
	v_cmp_u_f32_e64 s[0:1], v41, v41
	v_cndmask_b32_e64 v41, v44, v45, s[0:1]
	v_mul_f32_e32 v17, s18, v17
	v_lshrrev_b32_e32 v44, 16, v41
	v_bfe_u32 v41, v17, 16, 1
	v_add3_u32 v41, v41, v17, s26
	v_or_b32_e32 v45, 0x400000, v17
	v_cmp_u_f32_e64 s[0:1], v17, v17
	v_cndmask_b32_e64 v17, v41, v45, s[0:1]
	v_mul_f32_e32 v41, s18, v47
	v_bfe_u32 v45, v41, 16, 1
	v_add3_u32 v45, v45, v41, s26
	v_or_b32_e32 v46, 0x400000, v41
	v_cmp_u_f32_e64 s[0:1], v41, v41
	v_cndmask_b32_e64 v41, v45, v46, s[0:1]
	v_lshrrev_b32_e32 v9, 16, v9
	v_lshrrev_b32_e32 v15, 16, v15
	;; [unrolled: 1-line block ×7, first 2 shown]
	s_and_saveexec_b64 s[0:1], vcc
	s_cbranch_execz .LBB289_125
; %bb.225:                              ;   in Loop: Header=BB289_126 Depth=1
	v_cmp_gt_i32_e32 vcc, s11, v34
	v_cndmask_b32_e32 v44, 0, v44, vcc
	v_cmp_gt_i32_e32 vcc, s11, v40
	v_cndmask_b32_e32 v42, 0, v42, vcc
	;; [unrolled: 2-line block ×8, first 2 shown]
	s_branch .LBB289_125
.LBB289_226:
	s_or_b64 exec, exec, s[6:7]
.LBB289_227:
	s_or_b64 exec, exec, s[2:3]
	v_and_b32_e32 v1, 0x3c0, v0
	v_cmp_eq_u32_e32 vcc, 64, v1
	s_barrier
	s_and_saveexec_b64 s[0:1], vcc
; %bb.228:
	v_mov_b32_e32 v1, 0x110
	v_lshl_add_u32 v1, v22, 2, v1
	ds_write2st64_b32 v1, v24, v23 offset1:1
; %bb.229:
	s_or_b64 exec, exec, s[0:1]
	v_cmp_gt_u32_e32 vcc, 64, v0
	s_waitcnt lgkmcnt(0)
	s_barrier
	s_and_saveexec_b64 s[0:1], vcc
	s_cbranch_execz .LBB289_231
; %bb.230:
	v_mov_b32_e32 v1, 0x110
	v_lshl_add_u32 v0, v0, 2, v1
	ds_read2st64_b32 v[0:1], v0 offset1:1
	s_waitcnt lgkmcnt(0)
	v_add_f32_e32 v24, v24, v0
	v_add_f32_e32 v23, v23, v1
.LBB289_231:
	s_or_b64 exec, exec, s[0:1]
	s_barrier
	s_and_saveexec_b64 s[0:1], vcc
	s_cbranch_execz .LBB289_233
; %bb.232:
	s_mul_i32 s0, s10, s21
	s_mul_i32 s0, s0, s9
	s_lshl_b32 s0, s0, 7
	s_ashr_i32 s1, s0, 31
	s_lshl_b64 s[0:1], s[0:1], 1
	s_add_u32 s2, s22, s0
	s_mul_i32 s0, s21, s20
	s_addc_u32 s3, s23, s1
	s_ashr_i32 s1, s0, 31
	s_lshl_b64 s[0:1], s[0:1], 1
	s_add_u32 s2, s2, s0
	s_addc_u32 s3, s3, s1
	s_lshl_b32 s0, s8, 7
	s_ashr_i32 s1, s0, 31
	s_lshl_b64 s[0:1], s[0:1], 1
	s_add_u32 s0, s2, s0
	v_bfe_u32 v0, v24, 16, 1
	s_movk_i32 s2, 0x7fff
	v_add3_u32 v0, v0, v24, s2
	v_or_b32_e32 v1, 0x400000, v24
	v_cmp_u_f32_e32 vcc, v24, v24
	s_addc_u32 s1, s3, s1
	v_cndmask_b32_e32 v0, v0, v1, vcc
	global_store_short_d16_hi v20, v0, s[0:1]
	v_bfe_u32 v0, v23, 16, 1
	v_add3_u32 v0, v0, v23, s2
	v_or_b32_e32 v1, 0x400000, v23
	v_cmp_u_f32_e32 vcc, v23, v23
	v_cndmask_b32_e32 v0, v0, v1, vcc
	global_store_short_d16_hi v20, v0, s[0:1] offset:128
.LBB289_233:
	s_endpgm
	.section	.rodata,"a",@progbits
	.p2align	6, 0x0
	.amdhsa_kernel _ZN4vllm25paged_attention_v1_kernelI14__hip_bfloat16hLi128ELi8ELi128ELNS_18Fp8KVCacheDataTypeE1ELb0EEEvPT_PKS3_PKT0_S9_ifPKiSB_iPKfiiiSD_SD_iiiii
		.amdhsa_group_segment_fixed_size 272
		.amdhsa_private_segment_fixed_size 0
		.amdhsa_kernarg_size 384
		.amdhsa_user_sgpr_count 6
		.amdhsa_user_sgpr_private_segment_buffer 1
		.amdhsa_user_sgpr_dispatch_ptr 0
		.amdhsa_user_sgpr_queue_ptr 0
		.amdhsa_user_sgpr_kernarg_segment_ptr 1
		.amdhsa_user_sgpr_dispatch_id 0
		.amdhsa_user_sgpr_flat_scratch_init 0
		.amdhsa_user_sgpr_private_segment_size 0
		.amdhsa_uses_dynamic_stack 0
		.amdhsa_system_sgpr_private_segment_wavefront_offset 0
		.amdhsa_system_sgpr_workgroup_id_x 1
		.amdhsa_system_sgpr_workgroup_id_y 1
		.amdhsa_system_sgpr_workgroup_id_z 1
		.amdhsa_system_sgpr_workgroup_info 0
		.amdhsa_system_vgpr_workitem_id 0
		.amdhsa_next_free_vgpr 59
		.amdhsa_next_free_sgpr 44
		.amdhsa_reserve_vcc 1
		.amdhsa_reserve_flat_scratch 0
		.amdhsa_float_round_mode_32 0
		.amdhsa_float_round_mode_16_64 0
		.amdhsa_float_denorm_mode_32 3
		.amdhsa_float_denorm_mode_16_64 3
		.amdhsa_dx10_clamp 1
		.amdhsa_ieee_mode 1
		.amdhsa_fp16_overflow 0
		.amdhsa_exception_fp_ieee_invalid_op 0
		.amdhsa_exception_fp_denorm_src 0
		.amdhsa_exception_fp_ieee_div_zero 0
		.amdhsa_exception_fp_ieee_overflow 0
		.amdhsa_exception_fp_ieee_underflow 0
		.amdhsa_exception_fp_ieee_inexact 0
		.amdhsa_exception_int_div_zero 0
	.end_amdhsa_kernel
	.section	.text._ZN4vllm25paged_attention_v1_kernelI14__hip_bfloat16hLi128ELi8ELi128ELNS_18Fp8KVCacheDataTypeE1ELb0EEEvPT_PKS3_PKT0_S9_ifPKiSB_iPKfiiiSD_SD_iiiii,"axG",@progbits,_ZN4vllm25paged_attention_v1_kernelI14__hip_bfloat16hLi128ELi8ELi128ELNS_18Fp8KVCacheDataTypeE1ELb0EEEvPT_PKS3_PKT0_S9_ifPKiSB_iPKfiiiSD_SD_iiiii,comdat
.Lfunc_end289:
	.size	_ZN4vllm25paged_attention_v1_kernelI14__hip_bfloat16hLi128ELi8ELi128ELNS_18Fp8KVCacheDataTypeE1ELb0EEEvPT_PKS3_PKT0_S9_ifPKiSB_iPKfiiiSD_SD_iiiii, .Lfunc_end289-_ZN4vllm25paged_attention_v1_kernelI14__hip_bfloat16hLi128ELi8ELi128ELNS_18Fp8KVCacheDataTypeE1ELb0EEEvPT_PKS3_PKT0_S9_ifPKiSB_iPKfiiiSD_SD_iiiii
                                        ; -- End function
	.set _ZN4vllm25paged_attention_v1_kernelI14__hip_bfloat16hLi128ELi8ELi128ELNS_18Fp8KVCacheDataTypeE1ELb0EEEvPT_PKS3_PKT0_S9_ifPKiSB_iPKfiiiSD_SD_iiiii.num_vgpr, 59
	.set _ZN4vllm25paged_attention_v1_kernelI14__hip_bfloat16hLi128ELi8ELi128ELNS_18Fp8KVCacheDataTypeE1ELb0EEEvPT_PKS3_PKT0_S9_ifPKiSB_iPKfiiiSD_SD_iiiii.num_agpr, 0
	.set _ZN4vllm25paged_attention_v1_kernelI14__hip_bfloat16hLi128ELi8ELi128ELNS_18Fp8KVCacheDataTypeE1ELb0EEEvPT_PKS3_PKT0_S9_ifPKiSB_iPKfiiiSD_SD_iiiii.numbered_sgpr, 44
	.set _ZN4vllm25paged_attention_v1_kernelI14__hip_bfloat16hLi128ELi8ELi128ELNS_18Fp8KVCacheDataTypeE1ELb0EEEvPT_PKS3_PKT0_S9_ifPKiSB_iPKfiiiSD_SD_iiiii.num_named_barrier, 0
	.set _ZN4vllm25paged_attention_v1_kernelI14__hip_bfloat16hLi128ELi8ELi128ELNS_18Fp8KVCacheDataTypeE1ELb0EEEvPT_PKS3_PKT0_S9_ifPKiSB_iPKfiiiSD_SD_iiiii.private_seg_size, 0
	.set _ZN4vllm25paged_attention_v1_kernelI14__hip_bfloat16hLi128ELi8ELi128ELNS_18Fp8KVCacheDataTypeE1ELb0EEEvPT_PKS3_PKT0_S9_ifPKiSB_iPKfiiiSD_SD_iiiii.uses_vcc, 1
	.set _ZN4vllm25paged_attention_v1_kernelI14__hip_bfloat16hLi128ELi8ELi128ELNS_18Fp8KVCacheDataTypeE1ELb0EEEvPT_PKS3_PKT0_S9_ifPKiSB_iPKfiiiSD_SD_iiiii.uses_flat_scratch, 0
	.set _ZN4vllm25paged_attention_v1_kernelI14__hip_bfloat16hLi128ELi8ELi128ELNS_18Fp8KVCacheDataTypeE1ELb0EEEvPT_PKS3_PKT0_S9_ifPKiSB_iPKfiiiSD_SD_iiiii.has_dyn_sized_stack, 0
	.set _ZN4vllm25paged_attention_v1_kernelI14__hip_bfloat16hLi128ELi8ELi128ELNS_18Fp8KVCacheDataTypeE1ELb0EEEvPT_PKS3_PKT0_S9_ifPKiSB_iPKfiiiSD_SD_iiiii.has_recursion, 0
	.set _ZN4vllm25paged_attention_v1_kernelI14__hip_bfloat16hLi128ELi8ELi128ELNS_18Fp8KVCacheDataTypeE1ELb0EEEvPT_PKS3_PKT0_S9_ifPKiSB_iPKfiiiSD_SD_iiiii.has_indirect_call, 0
	.section	.AMDGPU.csdata,"",@progbits
; Kernel info:
; codeLenInByte = 11500
; TotalNumSgprs: 48
; NumVgprs: 59
; ScratchSize: 0
; MemoryBound: 0
; FloatMode: 240
; IeeeMode: 1
; LDSByteSize: 272 bytes/workgroup (compile time only)
; SGPRBlocks: 5
; VGPRBlocks: 14
; NumSGPRsForWavesPerEU: 48
; NumVGPRsForWavesPerEU: 59
; Occupancy: 4
; WaveLimiterHint : 1
; COMPUTE_PGM_RSRC2:SCRATCH_EN: 0
; COMPUTE_PGM_RSRC2:USER_SGPR: 6
; COMPUTE_PGM_RSRC2:TRAP_HANDLER: 0
; COMPUTE_PGM_RSRC2:TGID_X_EN: 1
; COMPUTE_PGM_RSRC2:TGID_Y_EN: 1
; COMPUTE_PGM_RSRC2:TGID_Z_EN: 1
; COMPUTE_PGM_RSRC2:TIDIG_COMP_CNT: 0
	.section	.text._ZN4vllm25paged_attention_v1_kernelI14__hip_bfloat16hLi192ELi8ELi128ELNS_18Fp8KVCacheDataTypeE1ELb0EEEvPT_PKS3_PKT0_S9_ifPKiSB_iPKfiiiSD_SD_iiiii,"axG",@progbits,_ZN4vllm25paged_attention_v1_kernelI14__hip_bfloat16hLi192ELi8ELi128ELNS_18Fp8KVCacheDataTypeE1ELb0EEEvPT_PKS3_PKT0_S9_ifPKiSB_iPKfiiiSD_SD_iiiii,comdat
	.protected	_ZN4vllm25paged_attention_v1_kernelI14__hip_bfloat16hLi192ELi8ELi128ELNS_18Fp8KVCacheDataTypeE1ELb0EEEvPT_PKS3_PKT0_S9_ifPKiSB_iPKfiiiSD_SD_iiiii ; -- Begin function _ZN4vllm25paged_attention_v1_kernelI14__hip_bfloat16hLi192ELi8ELi128ELNS_18Fp8KVCacheDataTypeE1ELb0EEEvPT_PKS3_PKT0_S9_ifPKiSB_iPKfiiiSD_SD_iiiii
	.globl	_ZN4vllm25paged_attention_v1_kernelI14__hip_bfloat16hLi192ELi8ELi128ELNS_18Fp8KVCacheDataTypeE1ELb0EEEvPT_PKS3_PKT0_S9_ifPKiSB_iPKfiiiSD_SD_iiiii
	.p2align	8
	.type	_ZN4vllm25paged_attention_v1_kernelI14__hip_bfloat16hLi192ELi8ELi128ELNS_18Fp8KVCacheDataTypeE1ELb0EEEvPT_PKS3_PKT0_S9_ifPKiSB_iPKfiiiSD_SD_iiiii,@function
_ZN4vllm25paged_attention_v1_kernelI14__hip_bfloat16hLi192ELi8ELi128ELNS_18Fp8KVCacheDataTypeE1ELb0EEEvPT_PKS3_PKT0_S9_ifPKiSB_iPKfiiiSD_SD_iiiii: ; @_ZN4vllm25paged_attention_v1_kernelI14__hip_bfloat16hLi192ELi8ELi128ELNS_18Fp8KVCacheDataTypeE1ELb0EEEvPT_PKS3_PKT0_S9_ifPKiSB_iPKfiiiSD_SD_iiiii
; %bb.0:
	s_mov_b64 s[46:47], s[2:3]
	s_mov_b64 s[44:45], s[0:1]
	s_add_u32 s44, s44, s9
	s_load_dword s9, s[4:5], 0x80
	s_load_dwordx2 s[0:1], s[4:5], 0x30
	s_load_dwordx2 s[30:31], s[4:5], 0x20
	s_addc_u32 s45, s45, 0
	s_mov_b32 s10, s7
	s_ashr_i32 s11, s7, 31
	s_lshl_b64 s[2:3], s[10:11], 2
	s_waitcnt lgkmcnt(0)
	s_add_u32 s0, s0, s2
	s_addc_u32 s1, s1, s3
	s_abs_i32 s2, s30
	v_mov_b32_e32 v12, v0
	v_cvt_f32_u32_e32 v0, s2
	s_sub_i32 s11, 0, s2
	s_abs_i32 s7, s9
	s_xor_b32 s3, s9, s30
	v_rcp_iflag_f32_e32 v0, v0
	s_ashr_i32 s3, s3, 31
	s_mov_b32 s33, 0
	v_mul_f32_e32 v0, 0x4f7ffffe, v0
	v_cvt_u32_f32_e32 v0, v0
	v_readfirstlane_b32 s12, v0
	s_mul_i32 s11, s11, s12
	s_mul_hi_u32 s11, s12, s11
	s_add_i32 s12, s12, s11
	s_mul_hi_u32 s11, s7, s12
	s_mul_i32 s12, s11, s2
	s_sub_i32 s7, s7, s12
	s_add_i32 s12, s11, 1
	s_sub_i32 s13, s7, s2
	s_cmp_ge_u32 s7, s2
	s_cselect_b32 s11, s12, s11
	s_cselect_b32 s7, s13, s7
	s_add_i32 s12, s11, 1
	s_cmp_ge_u32 s7, s2
	s_cselect_b32 s2, s12, s11
	s_xor_b32 s2, s2, s3
	s_sub_i32 s11, s2, s3
	s_abs_i32 s16, s11
	v_cvt_f32_u32_e32 v0, s16
	s_load_dwordx2 s[2:3], s[4:5], 0x40
	s_sub_i32 s7, 0, s16
	s_abs_i32 s17, s6
	v_rcp_iflag_f32_e32 v0, v0
	v_mul_f32_e32 v0, 0x4f7ffffe, v0
	v_cvt_u32_f32_e32 v0, v0
	v_readfirstlane_b32 s12, v0
	s_mul_i32 s7, s7, s12
	s_mul_hi_u32 s7, s12, s7
	s_add_i32 s12, s12, s7
	s_waitcnt lgkmcnt(0)
	s_cmp_eq_u64 s[2:3], 0
	s_mul_hi_u32 s18, s17, s12
	s_cbranch_scc1 .LBB290_2
; %bb.1:
	s_ashr_i32 s7, s6, 31
	s_lshl_b64 s[12:13], s[6:7], 2
	s_add_u32 s2, s2, s12
	s_addc_u32 s3, s3, s13
	s_load_dword s33, s[2:3], 0x0
.LBB290_2:
	s_load_dword s30, s[0:1], 0x0
	s_ashr_i32 s19, s11, 31
	s_load_dword s11, s[4:5], 0x88
	s_load_dwordx4 s[12:15], s[4:5], 0x48
	s_movk_i32 s0, 0xc0
	s_ashr_i32 s7, s6, 31
	v_and_b32_e32 v1, 7, v12
	s_mul_i32 s20, s6, 0xc0
	v_cmp_gt_u32_e32 vcc, s0, v12
	v_lshlrev_b32_e32 v0, 1, v12
	buffer_store_dword v0, off, s[44:47], 0 offset:20 ; 4-byte Folded Spill
	s_and_saveexec_b64 s[0:1], vcc
	s_cbranch_execz .LBB290_5
; %bb.3:
	s_load_dwordx2 s[2:3], s[4:5], 0x8
	s_waitcnt lgkmcnt(0)
	s_mul_i32 s22, s12, s10
	s_ashr_i32 s23, s22, 31
	s_lshl_b64 s[22:23], s[22:23], 1
	v_lshlrev_b32_e32 v0, 1, v12
	s_add_u32 s6, s2, s22
	s_addc_u32 s12, s3, s23
	s_ashr_i32 s21, s20, 31
	s_lshl_b64 s[2:3], s[20:21], 1
	s_add_u32 s2, s6, s2
	s_addc_u32 s3, s12, s3
	global_load_ushort v3, v0, s[2:3]
	v_lshrrev_b32_e32 v2, 3, v12
	v_lshlrev_b32_e32 v0, 1, v2
	v_mad_u32_u24 v0, v1, 48, v0
	v_cmp_gt_u32_e32 vcc, 64, v12
	s_waitcnt vmcnt(0)
	ds_write_b16 v0, v3
	s_and_b64 exec, exec, vcc
	s_cbranch_execz .LBB290_5
; %bb.4:
	v_lshlrev_b32_e32 v2, 4, v2
	v_lshlrev_b32_e32 v3, 1, v1
	s_movk_i32 s6, 0x100
	v_or3_b32 v2, v2, v3, s6
	global_load_ushort v2, v2, s[2:3]
	s_waitcnt vmcnt(0)
	ds_write_b16 v0, v2 offset:32
.LBB290_5:
	s_or_b64 exec, exec, s[0:1]
	s_waitcnt lgkmcnt(0)
	s_add_i32 s1, s30, 7
	s_ashr_i32 s2, s1, 31
	s_lshr_b32 s2, s2, 29
	s_add_i32 s1, s1, s2
	s_mul_i32 s2, s18, s16
	s_sub_i32 s2, s17, s2
	s_ashr_i32 s21, s1, 3
	s_xor_b32 s1, s7, s19
	s_add_i32 s3, s18, 1
	s_sub_i32 s6, s2, s16
	s_load_dwordx2 s[24:25], s[4:5], 0x28
	s_load_dword s0, s[4:5], 0x38
	s_cmp_ge_u32 s2, s16
	s_cselect_b32 s3, s3, s18
	s_cselect_b32 s2, s6, s2
	s_add_i32 s6, s3, 1
	s_cmp_ge_u32 s2, s16
	s_cselect_b32 s2, s6, s3
	v_lshrrev_b32_e32 v21, 6, v12
	s_xor_b32 s2, s2, s1
	s_waitcnt lgkmcnt(0)
	s_mul_i32 s26, s0, s10
	s_sub_i32 s12, s2, s1
	s_ashr_i32 s27, s26, 31
	v_cmp_gt_i32_e64 s[0:1], s21, v21
	v_cmp_le_i32_e32 vcc, s21, v21
	v_mbcnt_lo_u32_b32 v0, -1, 0
	s_waitcnt vmcnt(0)
	s_barrier
                                        ; implicit-def: $vgpr9
                                        ; implicit-def: $vgpr8
                                        ; implicit-def: $vgpr14
	s_and_saveexec_b64 s[2:3], vcc
	s_xor_b64 s[2:3], exec, s[2:3]
; %bb.6:
	v_mbcnt_hi_u32_b32 v9, -1, v0
	v_and_b32_e32 v8, 64, v9
	v_add_u32_e32 v14, 64, v8
                                        ; implicit-def: $vgpr1
                                        ; implicit-def: $vgpr0
; %bb.7:
	s_or_saveexec_b64 s[6:7], s[2:3]
	s_load_dwordx2 s[22:23], s[4:5], 0x0
	s_load_dwordx2 s[28:29], s[4:5], 0x18
	s_load_dwordx4 s[16:19], s[4:5], 0x58
	v_mov_b32_e32 v38, 0xff7fffff
	s_mul_i32 s12, s12, s14
	v_lshrrev_b32_e32 v13, 4, v12
	s_xor_b64 exec, exec, s[6:7]
	s_cbranch_execz .LBB290_157
; %bb.8:
	v_mul_u32_u24_e32 v10, 48, v1
	ds_read_b128 v[2:5], v10
	ds_read_b128 v[6:9], v10 offset:16
	s_load_dwordx2 s[2:3], s[4:5], 0x10
	s_ashr_i32 s4, s12, 31
	s_waitcnt lgkmcnt(0)
	s_load_dword s40, s[16:17], 0x0
	v_lshlrev_b32_e32 v11, 16, v2
	v_and_b32_e32 v2, 0xffff0000, v2
	buffer_store_dword v2, off, s[44:47], 0 offset:4 ; 4-byte Folded Spill
	v_lshlrev_b32_e32 v2, 16, v3
	buffer_store_dword v2, off, s[44:47], 0 offset:8 ; 4-byte Folded Spill
	v_and_b32_e32 v2, 0xffff0000, v3
	buffer_store_dword v2, off, s[44:47], 0 offset:12 ; 4-byte Folded Spill
	v_lshlrev_b32_e32 v2, 16, v4
	buffer_store_dword v2, off, s[44:47], 0 offset:16 ; 4-byte Folded Spill
	v_and_b32_e32 v17, 0xffff0000, v4
	v_lshlrev_b32_e32 v18, 16, v5
	v_and_b32_e32 v19, 0xffff0000, v5
	ds_read_b128 v[2:5], v10 offset:32
	s_add_u32 s2, s2, s12
	s_addc_u32 s3, s3, s4
	s_sub_i32 s38, 1, s30
	v_lshlrev_b32_e32 v28, 16, v9
	s_waitcnt lgkmcnt(0)
	v_lshlrev_b32_e32 v36, 16, v5
	v_and_b32_e32 v37, 0xffff0000, v5
	v_bfe_u32 v5, v12, 3, 3
	v_lshlrev_b32_e32 v30, 16, v2
	v_and_b32_e32 v31, 0xffff0000, v2
	v_lshlrev_b32_e32 v2, 4, v5
	v_lshlrev_b32_e32 v32, 16, v3
	v_and_b32_e32 v33, 0xffff0000, v3
	v_mov_b32_e32 v3, s3
	v_add_co_u32_e32 v2, vcc, s2, v2
	v_addc_co_u32_e32 v3, vcc, 0, v3, vcc
	v_cmp_eq_u32_e32 vcc, 0, v1
	v_add_co_u32_e64 v1, s[2:3], v2, v1
	v_addc_co_u32_e64 v2, s[2:3], 0, v3, s[2:3]
	s_lshl_b64 s[2:3], s[26:27], 2
	s_add_u32 s2, s24, s2
	v_and_b32_e32 v29, 0xffff0000, v9
	s_addc_u32 s3, s25, s3
	v_and_b32_e32 v3, 60, v13
	v_mbcnt_hi_u32_b32 v9, -1, v0
	v_lshlrev_b32_e32 v34, 16, v4
	v_and_b32_e32 v35, 0xffff0000, v4
	v_mov_b32_e32 v4, s3
	v_add_co_u32_e64 v3, s[2:3], s2, v3
	v_and_b32_e32 v0, 64, v9
	v_lshlrev_b32_e32 v22, 16, v6
	v_and_b32_e32 v23, 0xffff0000, v6
	v_addc_co_u32_e64 v4, s[2:3], 0, v4, s[2:3]
	v_add_u32_e32 v6, 64, v0
	v_xor_b32_e32 v0, 4, v9
	v_cmp_lt_i32_e64 s[2:3], v0, v6
	v_cndmask_b32_e64 v0, v9, v0, s[2:3]
	v_lshlrev_b32_e32 v39, 2, v0
	v_xor_b32_e32 v0, 2, v9
	v_cmp_lt_i32_e64 s[2:3], v0, v6
	v_cndmask_b32_e64 v0, v9, v0, s[2:3]
	v_lshlrev_b32_e32 v40, 2, v0
	;; [unrolled: 4-line block ×3, first 2 shown]
	v_lshlrev_b32_e32 v0, 2, v5
	v_lshl_or_b32 v0, v21, 5, v0
	v_lshlrev_b32_e32 v24, 16, v7
	v_and_b32_e32 v25, 0xffff0000, v7
	v_lshlrev_b32_e32 v26, 16, v8
	v_and_b32_e32 v27, 0xffff0000, v8
	s_mov_b32 s39, s13
	v_cmp_neq_f32_e64 s[2:3], s33, 0
	v_lshl_or_b32 v42, v21, 3, v5
	v_add_u32_e32 v43, 0x190, v0
	s_mov_b64 s[14:15], 0
	s_movk_i32 s41, 0x80
	s_movk_i32 s42, 0x7f
	;; [unrolled: 1-line block ×3, first 2 shown]
	v_mov_b32_e32 v38, 0xff7fffff
	v_bfrev_b32_e32 v44, 60
	v_mov_b32_e32 v45, v21
	buffer_store_dword v11, off, s[44:47], 0 ; 4-byte Folded Spill
	buffer_store_dword v12, off, s[44:47], 0 offset:24 ; 4-byte Folded Spill
	buffer_store_dword v13, off, s[44:47], 0 offset:28 ; 4-byte Folded Spill
	s_branch .LBB290_10
.LBB290_9:                              ;   in Loop: Header=BB290_10 Depth=1
	s_or_b64 exec, exec, s[16:17]
	v_add_u32_e32 v45, 2, v45
	v_cmp_le_i32_e64 s[4:5], s21, v45
	s_or_b64 s[14:15], s[4:5], s[14:15]
	v_add_co_u32_e64 v3, s[4:5], 8, v3
	v_add_u32_e32 v42, 16, v42
	v_add_u32_e32 v43, 64, v43
	v_addc_co_u32_e64 v4, s[4:5], 0, v4, s[4:5]
	s_andn2_b64 exec, exec, s[14:15]
	s_cbranch_execz .LBB290_156
.LBB290_10:                             ; =>This Inner Loop Header: Depth=1
	global_load_dword v0, v[3:4], off
	v_mov_b32_e32 v46, 0
	s_waitcnt vmcnt(0) lgkmcnt(0)
	v_mad_i64_i32 v[5:6], s[4:5], v0, s39, v[1:2]
	global_load_ubyte v0, v[5:6], off
	s_waitcnt vmcnt(0)
	v_cmp_ne_u16_e64 s[4:5], 0, v0
	s_and_saveexec_b64 s[16:17], s[4:5]
	s_cbranch_execz .LBB290_16
; %bb.11:                               ;   in Loop: Header=BB290_10 Depth=1
	v_cmp_ne_u16_e64 s[4:5], s41, v0
	v_bfrev_b32_e32 v46, 1
	s_and_saveexec_b64 s[34:35], s[4:5]
	s_cbranch_execz .LBB290_15
; %bb.12:                               ;   in Loop: Header=BB290_10 Depth=1
	v_and_b32_e32 v7, 0xffff, v0
	v_and_b32_e32 v8, 0x7f, v7
	v_cmp_ne_u32_e64 s[4:5], s42, v8
	v_mov_b32_e32 v46, 0x7f800001
	s_and_saveexec_b64 s[36:37], s[4:5]
	s_cbranch_execz .LBB290_14
; %bb.13:                               ;   in Loop: Header=BB290_10 Depth=1
	v_and_b32_e32 v12, 7, v7
	v_ffbh_u32_e32 v10, v12
	v_min_u32_e32 v14, 32, v10
	v_subrev_u32_e32 v10, 28, v14
	v_lshlrev_b64 v[10:11], v10, v[7:8]
	v_lshrrev_b32_e32 v13, 3, v8
	v_sub_u32_e32 v7, 29, v14
	v_and_b32_e32 v10, 7, v10
	v_cmp_gt_u32_e64 s[4:5], 8, v8
	v_cndmask_b32_e64 v7, v13, v7, s[4:5]
	v_cndmask_b32_e64 v8, v12, v10, s[4:5]
	v_lshlrev_b32_e32 v0, 24, v0
	v_lshlrev_b32_e32 v8, 20, v8
	v_and_b32_e32 v0, 0x80000000, v0
	v_lshl_add_u32 v7, v7, 23, v44
	v_or3_b32 v46, v0, v7, v8
.LBB290_14:                             ;   in Loop: Header=BB290_10 Depth=1
	s_or_b64 exec, exec, s[36:37]
.LBB290_15:                             ;   in Loop: Header=BB290_10 Depth=1
	s_or_b64 exec, exec, s[34:35]
.LBB290_16:                             ;   in Loop: Header=BB290_10 Depth=1
	s_or_b64 exec, exec, s[16:17]
	global_load_ubyte v0, v[5:6], off offset:8
	v_mov_b32_e32 v48, 0
	v_mov_b32_e32 v47, 0
	s_waitcnt vmcnt(0)
	v_cmp_ne_u16_e64 s[4:5], 0, v0
	s_and_saveexec_b64 s[16:17], s[4:5]
	s_cbranch_execz .LBB290_22
; %bb.17:                               ;   in Loop: Header=BB290_10 Depth=1
	v_cmp_ne_u16_e64 s[4:5], s41, v0
	v_bfrev_b32_e32 v47, 1
	s_and_saveexec_b64 s[34:35], s[4:5]
	s_cbranch_execz .LBB290_21
; %bb.18:                               ;   in Loop: Header=BB290_10 Depth=1
	v_and_b32_e32 v7, 0xffff, v0
	v_and_b32_e32 v8, 0x7f, v7
	v_cmp_ne_u32_e64 s[4:5], s42, v8
	v_mov_b32_e32 v47, 0x7f800001
	s_and_saveexec_b64 s[36:37], s[4:5]
	s_cbranch_execz .LBB290_20
; %bb.19:                               ;   in Loop: Header=BB290_10 Depth=1
	v_and_b32_e32 v12, 7, v7
	v_ffbh_u32_e32 v10, v12
	v_min_u32_e32 v14, 32, v10
	v_subrev_u32_e32 v10, 28, v14
	v_lshlrev_b64 v[10:11], v10, v[7:8]
	v_lshrrev_b32_e32 v13, 3, v8
	v_sub_u32_e32 v7, 29, v14
	v_and_b32_e32 v10, 7, v10
	v_cmp_gt_u32_e64 s[4:5], 8, v8
	v_cndmask_b32_e64 v7, v13, v7, s[4:5]
	v_cndmask_b32_e64 v8, v12, v10, s[4:5]
	v_lshlrev_b32_e32 v0, 24, v0
	v_lshlrev_b32_e32 v8, 20, v8
	v_and_b32_e32 v0, 0x80000000, v0
	v_lshl_add_u32 v7, v7, 23, v44
	v_or3_b32 v47, v0, v7, v8
.LBB290_20:                             ;   in Loop: Header=BB290_10 Depth=1
	s_or_b64 exec, exec, s[36:37]
.LBB290_21:                             ;   in Loop: Header=BB290_10 Depth=1
	s_or_b64 exec, exec, s[34:35]
.LBB290_22:                             ;   in Loop: Header=BB290_10 Depth=1
	s_or_b64 exec, exec, s[16:17]
	global_load_ubyte v0, v[5:6], off offset:128
	s_waitcnt vmcnt(0)
	v_cmp_ne_u16_e64 s[4:5], 0, v0
	s_and_saveexec_b64 s[16:17], s[4:5]
	s_cbranch_execz .LBB290_28
; %bb.23:                               ;   in Loop: Header=BB290_10 Depth=1
	v_cmp_ne_u16_e64 s[4:5], s41, v0
	v_bfrev_b32_e32 v48, 1
	s_and_saveexec_b64 s[34:35], s[4:5]
	s_cbranch_execz .LBB290_27
; %bb.24:                               ;   in Loop: Header=BB290_10 Depth=1
	v_and_b32_e32 v7, 0xffff, v0
	v_and_b32_e32 v8, 0x7f, v7
	v_cmp_ne_u32_e64 s[4:5], s42, v8
	v_mov_b32_e32 v48, 0x7f800001
	s_and_saveexec_b64 s[36:37], s[4:5]
	s_cbranch_execz .LBB290_26
; %bb.25:                               ;   in Loop: Header=BB290_10 Depth=1
	v_and_b32_e32 v12, 7, v7
	v_ffbh_u32_e32 v10, v12
	v_min_u32_e32 v14, 32, v10
	v_subrev_u32_e32 v10, 28, v14
	v_lshlrev_b64 v[10:11], v10, v[7:8]
	v_lshrrev_b32_e32 v13, 3, v8
	v_sub_u32_e32 v7, 29, v14
	v_and_b32_e32 v10, 7, v10
	v_cmp_gt_u32_e64 s[4:5], 8, v8
	v_cndmask_b32_e64 v7, v13, v7, s[4:5]
	v_cndmask_b32_e64 v8, v12, v10, s[4:5]
	v_lshlrev_b32_e32 v0, 24, v0
	v_lshlrev_b32_e32 v8, 20, v8
	v_and_b32_e32 v0, 0x80000000, v0
	v_lshl_add_u32 v7, v7, 23, v44
	v_or3_b32 v48, v0, v7, v8
.LBB290_26:                             ;   in Loop: Header=BB290_10 Depth=1
	s_or_b64 exec, exec, s[36:37]
.LBB290_27:                             ;   in Loop: Header=BB290_10 Depth=1
	s_or_b64 exec, exec, s[34:35]
.LBB290_28:                             ;   in Loop: Header=BB290_10 Depth=1
	s_or_b64 exec, exec, s[16:17]
	global_load_ubyte v0, v[5:6], off offset:136
	v_mov_b32_e32 v50, 0
	v_mov_b32_e32 v49, 0
	s_waitcnt vmcnt(0)
	v_cmp_ne_u16_e64 s[4:5], 0, v0
	s_and_saveexec_b64 s[16:17], s[4:5]
	s_cbranch_execz .LBB290_34
; %bb.29:                               ;   in Loop: Header=BB290_10 Depth=1
	v_cmp_ne_u16_e64 s[4:5], s41, v0
	v_bfrev_b32_e32 v49, 1
	s_and_saveexec_b64 s[34:35], s[4:5]
	s_cbranch_execz .LBB290_33
; %bb.30:                               ;   in Loop: Header=BB290_10 Depth=1
	v_and_b32_e32 v7, 0xffff, v0
	v_and_b32_e32 v8, 0x7f, v7
	v_cmp_ne_u32_e64 s[4:5], s42, v8
	v_mov_b32_e32 v49, 0x7f800001
	s_and_saveexec_b64 s[36:37], s[4:5]
	s_cbranch_execz .LBB290_32
; %bb.31:                               ;   in Loop: Header=BB290_10 Depth=1
	v_and_b32_e32 v12, 7, v7
	v_ffbh_u32_e32 v10, v12
	v_min_u32_e32 v14, 32, v10
	v_subrev_u32_e32 v10, 28, v14
	v_lshlrev_b64 v[10:11], v10, v[7:8]
	v_lshrrev_b32_e32 v13, 3, v8
	v_sub_u32_e32 v7, 29, v14
	v_and_b32_e32 v10, 7, v10
	v_cmp_gt_u32_e64 s[4:5], 8, v8
	v_cndmask_b32_e64 v7, v13, v7, s[4:5]
	v_cndmask_b32_e64 v8, v12, v10, s[4:5]
	v_lshlrev_b32_e32 v0, 24, v0
	v_lshlrev_b32_e32 v8, 20, v8
	v_and_b32_e32 v0, 0x80000000, v0
	v_lshl_add_u32 v7, v7, 23, v44
	v_or3_b32 v49, v0, v7, v8
.LBB290_32:                             ;   in Loop: Header=BB290_10 Depth=1
	s_or_b64 exec, exec, s[36:37]
.LBB290_33:                             ;   in Loop: Header=BB290_10 Depth=1
	s_or_b64 exec, exec, s[34:35]
.LBB290_34:                             ;   in Loop: Header=BB290_10 Depth=1
	s_or_b64 exec, exec, s[16:17]
	global_load_ubyte v0, v[5:6], off offset:256
	s_waitcnt vmcnt(0)
	v_cmp_ne_u16_e64 s[4:5], 0, v0
	s_and_saveexec_b64 s[16:17], s[4:5]
	s_cbranch_execz .LBB290_40
; %bb.35:                               ;   in Loop: Header=BB290_10 Depth=1
	v_cmp_ne_u16_e64 s[4:5], s41, v0
	v_bfrev_b32_e32 v50, 1
	s_and_saveexec_b64 s[34:35], s[4:5]
	s_cbranch_execz .LBB290_39
; %bb.36:                               ;   in Loop: Header=BB290_10 Depth=1
	v_and_b32_e32 v7, 0xffff, v0
	v_and_b32_e32 v8, 0x7f, v7
	v_cmp_ne_u32_e64 s[4:5], s42, v8
	v_mov_b32_e32 v50, 0x7f800001
	s_and_saveexec_b64 s[36:37], s[4:5]
	s_cbranch_execz .LBB290_38
; %bb.37:                               ;   in Loop: Header=BB290_10 Depth=1
	v_and_b32_e32 v12, 7, v7
	v_ffbh_u32_e32 v10, v12
	v_min_u32_e32 v14, 32, v10
	v_subrev_u32_e32 v10, 28, v14
	v_lshlrev_b64 v[10:11], v10, v[7:8]
	v_lshrrev_b32_e32 v13, 3, v8
	v_sub_u32_e32 v7, 29, v14
	v_and_b32_e32 v10, 7, v10
	v_cmp_gt_u32_e64 s[4:5], 8, v8
	v_cndmask_b32_e64 v7, v13, v7, s[4:5]
	v_cndmask_b32_e64 v8, v12, v10, s[4:5]
	v_lshlrev_b32_e32 v0, 24, v0
	v_lshlrev_b32_e32 v8, 20, v8
	v_and_b32_e32 v0, 0x80000000, v0
	v_lshl_add_u32 v7, v7, 23, v44
	v_or3_b32 v50, v0, v7, v8
.LBB290_38:                             ;   in Loop: Header=BB290_10 Depth=1
	s_or_b64 exec, exec, s[36:37]
.LBB290_39:                             ;   in Loop: Header=BB290_10 Depth=1
	s_or_b64 exec, exec, s[34:35]
.LBB290_40:                             ;   in Loop: Header=BB290_10 Depth=1
	s_or_b64 exec, exec, s[16:17]
	global_load_ubyte v0, v[5:6], off offset:264
	v_mov_b32_e32 v52, 0
	v_mov_b32_e32 v51, 0
	s_waitcnt vmcnt(0)
	v_cmp_ne_u16_e64 s[4:5], 0, v0
	s_and_saveexec_b64 s[16:17], s[4:5]
	s_cbranch_execz .LBB290_46
; %bb.41:                               ;   in Loop: Header=BB290_10 Depth=1
	v_cmp_ne_u16_e64 s[4:5], s41, v0
	v_bfrev_b32_e32 v51, 1
	s_and_saveexec_b64 s[34:35], s[4:5]
	s_cbranch_execz .LBB290_45
; %bb.42:                               ;   in Loop: Header=BB290_10 Depth=1
	v_and_b32_e32 v7, 0xffff, v0
	v_and_b32_e32 v8, 0x7f, v7
	v_cmp_ne_u32_e64 s[4:5], s42, v8
	v_mov_b32_e32 v51, 0x7f800001
	s_and_saveexec_b64 s[36:37], s[4:5]
	s_cbranch_execz .LBB290_44
; %bb.43:                               ;   in Loop: Header=BB290_10 Depth=1
	v_and_b32_e32 v12, 7, v7
	v_ffbh_u32_e32 v10, v12
	v_min_u32_e32 v14, 32, v10
	v_subrev_u32_e32 v10, 28, v14
	v_lshlrev_b64 v[10:11], v10, v[7:8]
	v_lshrrev_b32_e32 v13, 3, v8
	v_sub_u32_e32 v7, 29, v14
	v_and_b32_e32 v10, 7, v10
	v_cmp_gt_u32_e64 s[4:5], 8, v8
	v_cndmask_b32_e64 v7, v13, v7, s[4:5]
	v_cndmask_b32_e64 v8, v12, v10, s[4:5]
	v_lshlrev_b32_e32 v0, 24, v0
	v_lshlrev_b32_e32 v8, 20, v8
	v_and_b32_e32 v0, 0x80000000, v0
	v_lshl_add_u32 v7, v7, 23, v44
	v_or3_b32 v51, v0, v7, v8
.LBB290_44:                             ;   in Loop: Header=BB290_10 Depth=1
	s_or_b64 exec, exec, s[36:37]
.LBB290_45:                             ;   in Loop: Header=BB290_10 Depth=1
	s_or_b64 exec, exec, s[34:35]
.LBB290_46:                             ;   in Loop: Header=BB290_10 Depth=1
	s_or_b64 exec, exec, s[16:17]
	global_load_ubyte v0, v[5:6], off offset:384
	s_waitcnt vmcnt(0)
	v_cmp_ne_u16_e64 s[4:5], 0, v0
	s_and_saveexec_b64 s[16:17], s[4:5]
	s_cbranch_execz .LBB290_52
; %bb.47:                               ;   in Loop: Header=BB290_10 Depth=1
	v_cmp_ne_u16_e64 s[4:5], s41, v0
	v_bfrev_b32_e32 v52, 1
	s_and_saveexec_b64 s[34:35], s[4:5]
	s_cbranch_execz .LBB290_51
; %bb.48:                               ;   in Loop: Header=BB290_10 Depth=1
	v_and_b32_e32 v7, 0xffff, v0
	v_and_b32_e32 v8, 0x7f, v7
	v_cmp_ne_u32_e64 s[4:5], s42, v8
	v_mov_b32_e32 v52, 0x7f800001
	s_and_saveexec_b64 s[36:37], s[4:5]
	s_cbranch_execz .LBB290_50
; %bb.49:                               ;   in Loop: Header=BB290_10 Depth=1
	v_and_b32_e32 v12, 7, v7
	v_ffbh_u32_e32 v10, v12
	v_min_u32_e32 v14, 32, v10
	v_subrev_u32_e32 v10, 28, v14
	v_lshlrev_b64 v[10:11], v10, v[7:8]
	v_lshrrev_b32_e32 v13, 3, v8
	v_sub_u32_e32 v7, 29, v14
	v_and_b32_e32 v10, 7, v10
	v_cmp_gt_u32_e64 s[4:5], 8, v8
	v_cndmask_b32_e64 v7, v13, v7, s[4:5]
	v_cndmask_b32_e64 v8, v12, v10, s[4:5]
	v_lshlrev_b32_e32 v0, 24, v0
	v_lshlrev_b32_e32 v8, 20, v8
	v_and_b32_e32 v0, 0x80000000, v0
	v_lshl_add_u32 v7, v7, 23, v44
	v_or3_b32 v52, v0, v7, v8
.LBB290_50:                             ;   in Loop: Header=BB290_10 Depth=1
	s_or_b64 exec, exec, s[36:37]
.LBB290_51:                             ;   in Loop: Header=BB290_10 Depth=1
	s_or_b64 exec, exec, s[34:35]
.LBB290_52:                             ;   in Loop: Header=BB290_10 Depth=1
	s_or_b64 exec, exec, s[16:17]
	global_load_ubyte v0, v[5:6], off offset:392
	v_mov_b32_e32 v54, 0
	v_mov_b32_e32 v53, 0
	s_waitcnt vmcnt(0)
	v_cmp_ne_u16_e64 s[4:5], 0, v0
	s_and_saveexec_b64 s[16:17], s[4:5]
	s_cbranch_execz .LBB290_58
; %bb.53:                               ;   in Loop: Header=BB290_10 Depth=1
	v_cmp_ne_u16_e64 s[4:5], s41, v0
	v_bfrev_b32_e32 v53, 1
	s_and_saveexec_b64 s[34:35], s[4:5]
	s_cbranch_execz .LBB290_57
; %bb.54:                               ;   in Loop: Header=BB290_10 Depth=1
	v_and_b32_e32 v7, 0xffff, v0
	v_and_b32_e32 v8, 0x7f, v7
	v_cmp_ne_u32_e64 s[4:5], s42, v8
	v_mov_b32_e32 v53, 0x7f800001
	s_and_saveexec_b64 s[36:37], s[4:5]
	s_cbranch_execz .LBB290_56
; %bb.55:                               ;   in Loop: Header=BB290_10 Depth=1
	v_and_b32_e32 v12, 7, v7
	v_ffbh_u32_e32 v10, v12
	v_min_u32_e32 v14, 32, v10
	v_subrev_u32_e32 v10, 28, v14
	v_lshlrev_b64 v[10:11], v10, v[7:8]
	v_lshrrev_b32_e32 v13, 3, v8
	v_sub_u32_e32 v7, 29, v14
	v_and_b32_e32 v10, 7, v10
	v_cmp_gt_u32_e64 s[4:5], 8, v8
	v_cndmask_b32_e64 v7, v13, v7, s[4:5]
	v_cndmask_b32_e64 v8, v12, v10, s[4:5]
	v_lshlrev_b32_e32 v0, 24, v0
	v_lshlrev_b32_e32 v8, 20, v8
	v_and_b32_e32 v0, 0x80000000, v0
	v_lshl_add_u32 v7, v7, 23, v44
	v_or3_b32 v53, v0, v7, v8
.LBB290_56:                             ;   in Loop: Header=BB290_10 Depth=1
	s_or_b64 exec, exec, s[36:37]
.LBB290_57:                             ;   in Loop: Header=BB290_10 Depth=1
	s_or_b64 exec, exec, s[34:35]
.LBB290_58:                             ;   in Loop: Header=BB290_10 Depth=1
	s_or_b64 exec, exec, s[16:17]
	global_load_ubyte v0, v[5:6], off offset:512
	s_waitcnt vmcnt(0)
	v_cmp_ne_u16_e64 s[4:5], 0, v0
	s_and_saveexec_b64 s[16:17], s[4:5]
	s_cbranch_execz .LBB290_64
; %bb.59:                               ;   in Loop: Header=BB290_10 Depth=1
	v_cmp_ne_u16_e64 s[4:5], s41, v0
	v_bfrev_b32_e32 v54, 1
	s_and_saveexec_b64 s[34:35], s[4:5]
	s_cbranch_execz .LBB290_63
; %bb.60:                               ;   in Loop: Header=BB290_10 Depth=1
	v_and_b32_e32 v7, 0xffff, v0
	v_and_b32_e32 v8, 0x7f, v7
	v_cmp_ne_u32_e64 s[4:5], s42, v8
	v_mov_b32_e32 v54, 0x7f800001
	s_and_saveexec_b64 s[36:37], s[4:5]
	s_cbranch_execz .LBB290_62
; %bb.61:                               ;   in Loop: Header=BB290_10 Depth=1
	v_and_b32_e32 v12, 7, v7
	v_ffbh_u32_e32 v10, v12
	v_min_u32_e32 v14, 32, v10
	v_subrev_u32_e32 v10, 28, v14
	v_lshlrev_b64 v[10:11], v10, v[7:8]
	v_lshrrev_b32_e32 v13, 3, v8
	v_sub_u32_e32 v7, 29, v14
	v_and_b32_e32 v10, 7, v10
	v_cmp_gt_u32_e64 s[4:5], 8, v8
	v_cndmask_b32_e64 v7, v13, v7, s[4:5]
	v_cndmask_b32_e64 v8, v12, v10, s[4:5]
	v_lshlrev_b32_e32 v0, 24, v0
	v_lshlrev_b32_e32 v8, 20, v8
	v_and_b32_e32 v0, 0x80000000, v0
	v_lshl_add_u32 v7, v7, 23, v44
	v_or3_b32 v54, v0, v7, v8
.LBB290_62:                             ;   in Loop: Header=BB290_10 Depth=1
	s_or_b64 exec, exec, s[36:37]
.LBB290_63:                             ;   in Loop: Header=BB290_10 Depth=1
	s_or_b64 exec, exec, s[34:35]
.LBB290_64:                             ;   in Loop: Header=BB290_10 Depth=1
	s_or_b64 exec, exec, s[16:17]
	global_load_ubyte v0, v[5:6], off offset:520
	v_mov_b32_e32 v56, 0
	v_mov_b32_e32 v55, 0
	s_waitcnt vmcnt(0)
	v_cmp_ne_u16_e64 s[4:5], 0, v0
	s_and_saveexec_b64 s[16:17], s[4:5]
	s_cbranch_execz .LBB290_70
; %bb.65:                               ;   in Loop: Header=BB290_10 Depth=1
	v_cmp_ne_u16_e64 s[4:5], s41, v0
	v_bfrev_b32_e32 v55, 1
	s_and_saveexec_b64 s[34:35], s[4:5]
	s_cbranch_execz .LBB290_69
; %bb.66:                               ;   in Loop: Header=BB290_10 Depth=1
	v_and_b32_e32 v7, 0xffff, v0
	v_and_b32_e32 v8, 0x7f, v7
	v_cmp_ne_u32_e64 s[4:5], s42, v8
	v_mov_b32_e32 v55, 0x7f800001
	s_and_saveexec_b64 s[36:37], s[4:5]
	s_cbranch_execz .LBB290_68
; %bb.67:                               ;   in Loop: Header=BB290_10 Depth=1
	v_and_b32_e32 v12, 7, v7
	v_ffbh_u32_e32 v10, v12
	v_min_u32_e32 v14, 32, v10
	v_subrev_u32_e32 v10, 28, v14
	v_lshlrev_b64 v[10:11], v10, v[7:8]
	v_lshrrev_b32_e32 v13, 3, v8
	v_sub_u32_e32 v7, 29, v14
	v_and_b32_e32 v10, 7, v10
	v_cmp_gt_u32_e64 s[4:5], 8, v8
	v_cndmask_b32_e64 v7, v13, v7, s[4:5]
	v_cndmask_b32_e64 v8, v12, v10, s[4:5]
	v_lshlrev_b32_e32 v0, 24, v0
	v_lshlrev_b32_e32 v8, 20, v8
	v_and_b32_e32 v0, 0x80000000, v0
	v_lshl_add_u32 v7, v7, 23, v44
	v_or3_b32 v55, v0, v7, v8
.LBB290_68:                             ;   in Loop: Header=BB290_10 Depth=1
	s_or_b64 exec, exec, s[36:37]
.LBB290_69:                             ;   in Loop: Header=BB290_10 Depth=1
	s_or_b64 exec, exec, s[34:35]
.LBB290_70:                             ;   in Loop: Header=BB290_10 Depth=1
	s_or_b64 exec, exec, s[16:17]
	global_load_ubyte v0, v[5:6], off offset:640
	s_waitcnt vmcnt(0)
	v_cmp_ne_u16_e64 s[4:5], 0, v0
	s_and_saveexec_b64 s[16:17], s[4:5]
	s_cbranch_execz .LBB290_76
; %bb.71:                               ;   in Loop: Header=BB290_10 Depth=1
	v_cmp_ne_u16_e64 s[4:5], s41, v0
	v_bfrev_b32_e32 v56, 1
	s_and_saveexec_b64 s[34:35], s[4:5]
	s_cbranch_execz .LBB290_75
; %bb.72:                               ;   in Loop: Header=BB290_10 Depth=1
	v_and_b32_e32 v7, 0xffff, v0
	v_and_b32_e32 v8, 0x7f, v7
	v_cmp_ne_u32_e64 s[4:5], s42, v8
	v_mov_b32_e32 v56, 0x7f800001
	s_and_saveexec_b64 s[36:37], s[4:5]
	s_cbranch_execz .LBB290_74
; %bb.73:                               ;   in Loop: Header=BB290_10 Depth=1
	v_and_b32_e32 v12, 7, v7
	v_ffbh_u32_e32 v10, v12
	v_min_u32_e32 v14, 32, v10
	v_subrev_u32_e32 v10, 28, v14
	v_lshlrev_b64 v[10:11], v10, v[7:8]
	v_lshrrev_b32_e32 v13, 3, v8
	v_sub_u32_e32 v7, 29, v14
	v_and_b32_e32 v10, 7, v10
	v_cmp_gt_u32_e64 s[4:5], 8, v8
	v_cndmask_b32_e64 v7, v13, v7, s[4:5]
	v_cndmask_b32_e64 v8, v12, v10, s[4:5]
	v_lshlrev_b32_e32 v0, 24, v0
	v_lshlrev_b32_e32 v8, 20, v8
	v_and_b32_e32 v0, 0x80000000, v0
	v_lshl_add_u32 v7, v7, 23, v44
	v_or3_b32 v56, v0, v7, v8
.LBB290_74:                             ;   in Loop: Header=BB290_10 Depth=1
	s_or_b64 exec, exec, s[36:37]
.LBB290_75:                             ;   in Loop: Header=BB290_10 Depth=1
	s_or_b64 exec, exec, s[34:35]
.LBB290_76:                             ;   in Loop: Header=BB290_10 Depth=1
	s_or_b64 exec, exec, s[16:17]
	global_load_ubyte v0, v[5:6], off offset:648
	v_mov_b32_e32 v58, 0
	v_mov_b32_e32 v57, 0
	s_waitcnt vmcnt(0)
	v_cmp_ne_u16_e64 s[4:5], 0, v0
	s_and_saveexec_b64 s[16:17], s[4:5]
	s_cbranch_execz .LBB290_82
; %bb.77:                               ;   in Loop: Header=BB290_10 Depth=1
	v_cmp_ne_u16_e64 s[4:5], s41, v0
	v_bfrev_b32_e32 v57, 1
	s_and_saveexec_b64 s[34:35], s[4:5]
	s_cbranch_execz .LBB290_81
; %bb.78:                               ;   in Loop: Header=BB290_10 Depth=1
	v_and_b32_e32 v7, 0xffff, v0
	v_and_b32_e32 v8, 0x7f, v7
	v_cmp_ne_u32_e64 s[4:5], s42, v8
	v_mov_b32_e32 v57, 0x7f800001
	s_and_saveexec_b64 s[36:37], s[4:5]
	s_cbranch_execz .LBB290_80
; %bb.79:                               ;   in Loop: Header=BB290_10 Depth=1
	v_and_b32_e32 v10, 7, v7
	v_lshrrev_b32_e32 v11, 3, v8
	v_cmp_gt_u32_e64 s[4:5], 8, v8
	v_ffbh_u32_e32 v8, v10
	v_min_u32_e32 v12, 32, v8
	v_subrev_u32_e32 v8, 28, v12
	v_lshlrev_b64 v[7:8], v8, v[7:8]
	v_sub_u32_e32 v8, 29, v12
	v_and_b32_e32 v7, 7, v7
	v_cndmask_b32_e64 v8, v11, v8, s[4:5]
	v_cndmask_b32_e64 v7, v10, v7, s[4:5]
	v_lshlrev_b32_e32 v0, 24, v0
	v_lshlrev_b32_e32 v7, 20, v7
	v_and_b32_e32 v0, 0x80000000, v0
	v_lshl_add_u32 v8, v8, 23, v44
	v_or3_b32 v57, v0, v8, v7
.LBB290_80:                             ;   in Loop: Header=BB290_10 Depth=1
	s_or_b64 exec, exec, s[36:37]
.LBB290_81:                             ;   in Loop: Header=BB290_10 Depth=1
	s_or_b64 exec, exec, s[34:35]
.LBB290_82:                             ;   in Loop: Header=BB290_10 Depth=1
	s_or_b64 exec, exec, s[16:17]
	global_load_ubyte v0, v[5:6], off offset:768
	s_waitcnt vmcnt(0)
	v_cmp_ne_u16_e64 s[4:5], 0, v0
	s_and_saveexec_b64 s[16:17], s[4:5]
	s_cbranch_execz .LBB290_88
; %bb.83:                               ;   in Loop: Header=BB290_10 Depth=1
	v_cmp_ne_u16_e64 s[4:5], s41, v0
	v_bfrev_b32_e32 v58, 1
	s_and_saveexec_b64 s[34:35], s[4:5]
	s_cbranch_execz .LBB290_87
; %bb.84:                               ;   in Loop: Header=BB290_10 Depth=1
	v_and_b32_e32 v7, 0xffff, v0
	v_and_b32_e32 v8, 0x7f, v7
	v_cmp_ne_u32_e64 s[4:5], s42, v8
	v_mov_b32_e32 v58, 0x7f800001
	s_and_saveexec_b64 s[36:37], s[4:5]
	s_cbranch_execz .LBB290_86
; %bb.85:                               ;   in Loop: Header=BB290_10 Depth=1
	v_and_b32_e32 v10, 7, v7
	v_lshrrev_b32_e32 v11, 3, v8
	v_cmp_gt_u32_e64 s[4:5], 8, v8
	v_ffbh_u32_e32 v8, v10
	v_min_u32_e32 v12, 32, v8
	v_subrev_u32_e32 v8, 28, v12
	v_lshlrev_b64 v[7:8], v8, v[7:8]
	v_sub_u32_e32 v8, 29, v12
	v_and_b32_e32 v7, 7, v7
	v_cndmask_b32_e64 v8, v11, v8, s[4:5]
	v_cndmask_b32_e64 v7, v10, v7, s[4:5]
	v_lshlrev_b32_e32 v0, 24, v0
	v_lshlrev_b32_e32 v7, 20, v7
	v_and_b32_e32 v0, 0x80000000, v0
	v_lshl_add_u32 v8, v8, 23, v44
	v_or3_b32 v58, v0, v8, v7
.LBB290_86:                             ;   in Loop: Header=BB290_10 Depth=1
	s_or_b64 exec, exec, s[36:37]
.LBB290_87:                             ;   in Loop: Header=BB290_10 Depth=1
	s_or_b64 exec, exec, s[34:35]
.LBB290_88:                             ;   in Loop: Header=BB290_10 Depth=1
	s_or_b64 exec, exec, s[16:17]
	global_load_ubyte v0, v[5:6], off offset:776
	v_mov_b32_e32 v60, 0
	v_mov_b32_e32 v59, 0
	s_waitcnt vmcnt(0)
	v_cmp_ne_u16_e64 s[4:5], 0, v0
	s_and_saveexec_b64 s[16:17], s[4:5]
	s_cbranch_execz .LBB290_94
; %bb.89:                               ;   in Loop: Header=BB290_10 Depth=1
	v_cmp_ne_u16_e64 s[4:5], s41, v0
	v_bfrev_b32_e32 v59, 1
	s_and_saveexec_b64 s[34:35], s[4:5]
	s_cbranch_execz .LBB290_93
; %bb.90:                               ;   in Loop: Header=BB290_10 Depth=1
	v_and_b32_e32 v7, 0xffff, v0
	v_and_b32_e32 v8, 0x7f, v7
	v_cmp_ne_u32_e64 s[4:5], s42, v8
	v_mov_b32_e32 v59, 0x7f800001
	s_and_saveexec_b64 s[36:37], s[4:5]
	s_cbranch_execz .LBB290_92
; %bb.91:                               ;   in Loop: Header=BB290_10 Depth=1
	v_and_b32_e32 v10, 7, v7
	v_lshrrev_b32_e32 v11, 3, v8
	v_cmp_gt_u32_e64 s[4:5], 8, v8
	v_ffbh_u32_e32 v8, v10
	v_min_u32_e32 v12, 32, v8
	v_subrev_u32_e32 v8, 28, v12
	v_lshlrev_b64 v[7:8], v8, v[7:8]
	v_sub_u32_e32 v8, 29, v12
	v_and_b32_e32 v7, 7, v7
	v_cndmask_b32_e64 v8, v11, v8, s[4:5]
	v_cndmask_b32_e64 v7, v10, v7, s[4:5]
	v_lshlrev_b32_e32 v0, 24, v0
	v_lshlrev_b32_e32 v7, 20, v7
	v_and_b32_e32 v0, 0x80000000, v0
	v_lshl_add_u32 v8, v8, 23, v44
	v_or3_b32 v59, v0, v8, v7
.LBB290_92:                             ;   in Loop: Header=BB290_10 Depth=1
	s_or_b64 exec, exec, s[36:37]
.LBB290_93:                             ;   in Loop: Header=BB290_10 Depth=1
	s_or_b64 exec, exec, s[34:35]
.LBB290_94:                             ;   in Loop: Header=BB290_10 Depth=1
	s_or_b64 exec, exec, s[16:17]
	global_load_ubyte v0, v[5:6], off offset:896
	s_waitcnt vmcnt(0)
	v_cmp_ne_u16_e64 s[4:5], 0, v0
	s_and_saveexec_b64 s[16:17], s[4:5]
	s_cbranch_execz .LBB290_100
; %bb.95:                               ;   in Loop: Header=BB290_10 Depth=1
	v_cmp_ne_u16_e64 s[4:5], s41, v0
	v_bfrev_b32_e32 v60, 1
	s_and_saveexec_b64 s[34:35], s[4:5]
	s_cbranch_execz .LBB290_99
; %bb.96:                               ;   in Loop: Header=BB290_10 Depth=1
	v_and_b32_e32 v7, 0xffff, v0
	v_and_b32_e32 v8, 0x7f, v7
	v_cmp_ne_u32_e64 s[4:5], s42, v8
	v_mov_b32_e32 v60, 0x7f800001
	s_and_saveexec_b64 s[36:37], s[4:5]
	s_cbranch_execz .LBB290_98
; %bb.97:                               ;   in Loop: Header=BB290_10 Depth=1
	v_and_b32_e32 v10, 7, v7
	v_lshrrev_b32_e32 v11, 3, v8
	v_cmp_gt_u32_e64 s[4:5], 8, v8
	v_ffbh_u32_e32 v8, v10
	v_min_u32_e32 v12, 32, v8
	v_subrev_u32_e32 v8, 28, v12
	v_lshlrev_b64 v[7:8], v8, v[7:8]
	v_sub_u32_e32 v8, 29, v12
	v_and_b32_e32 v7, 7, v7
	v_cndmask_b32_e64 v8, v11, v8, s[4:5]
	v_cndmask_b32_e64 v7, v10, v7, s[4:5]
	v_lshlrev_b32_e32 v0, 24, v0
	v_lshlrev_b32_e32 v7, 20, v7
	v_and_b32_e32 v0, 0x80000000, v0
	v_lshl_add_u32 v8, v8, 23, v44
	v_or3_b32 v60, v0, v8, v7
.LBB290_98:                             ;   in Loop: Header=BB290_10 Depth=1
	s_or_b64 exec, exec, s[36:37]
.LBB290_99:                             ;   in Loop: Header=BB290_10 Depth=1
	s_or_b64 exec, exec, s[34:35]
.LBB290_100:                            ;   in Loop: Header=BB290_10 Depth=1
	s_or_b64 exec, exec, s[16:17]
	global_load_ubyte v0, v[5:6], off offset:904
	v_mov_b32_e32 v62, 0
	v_mov_b32_e32 v61, 0
	s_waitcnt vmcnt(0)
	v_cmp_ne_u16_e64 s[4:5], 0, v0
	s_and_saveexec_b64 s[16:17], s[4:5]
	s_cbranch_execz .LBB290_106
; %bb.101:                              ;   in Loop: Header=BB290_10 Depth=1
	v_cmp_ne_u16_e64 s[4:5], s41, v0
	v_bfrev_b32_e32 v61, 1
	s_and_saveexec_b64 s[34:35], s[4:5]
	s_cbranch_execz .LBB290_105
; %bb.102:                              ;   in Loop: Header=BB290_10 Depth=1
	v_and_b32_e32 v7, 0xffff, v0
	v_and_b32_e32 v8, 0x7f, v7
	v_cmp_ne_u32_e64 s[4:5], s42, v8
	v_mov_b32_e32 v61, 0x7f800001
	s_and_saveexec_b64 s[36:37], s[4:5]
	s_cbranch_execz .LBB290_104
; %bb.103:                              ;   in Loop: Header=BB290_10 Depth=1
	v_and_b32_e32 v10, 7, v7
	v_lshrrev_b32_e32 v11, 3, v8
	v_cmp_gt_u32_e64 s[4:5], 8, v8
	v_ffbh_u32_e32 v8, v10
	v_min_u32_e32 v12, 32, v8
	v_subrev_u32_e32 v8, 28, v12
	v_lshlrev_b64 v[7:8], v8, v[7:8]
	v_sub_u32_e32 v8, 29, v12
	v_and_b32_e32 v7, 7, v7
	v_cndmask_b32_e64 v8, v11, v8, s[4:5]
	v_cndmask_b32_e64 v7, v10, v7, s[4:5]
	v_lshlrev_b32_e32 v0, 24, v0
	v_lshlrev_b32_e32 v7, 20, v7
	v_and_b32_e32 v0, 0x80000000, v0
	v_lshl_add_u32 v8, v8, 23, v44
	v_or3_b32 v61, v0, v8, v7
.LBB290_104:                            ;   in Loop: Header=BB290_10 Depth=1
	s_or_b64 exec, exec, s[36:37]
.LBB290_105:                            ;   in Loop: Header=BB290_10 Depth=1
	s_or_b64 exec, exec, s[34:35]
.LBB290_106:                            ;   in Loop: Header=BB290_10 Depth=1
	s_or_b64 exec, exec, s[16:17]
	global_load_ubyte v0, v[5:6], off offset:1024
	s_waitcnt vmcnt(0)
	v_cmp_ne_u16_e64 s[4:5], 0, v0
	s_and_saveexec_b64 s[16:17], s[4:5]
	s_cbranch_execz .LBB290_112
; %bb.107:                              ;   in Loop: Header=BB290_10 Depth=1
	v_cmp_ne_u16_e64 s[4:5], s41, v0
	v_bfrev_b32_e32 v62, 1
	s_and_saveexec_b64 s[34:35], s[4:5]
	s_cbranch_execz .LBB290_111
; %bb.108:                              ;   in Loop: Header=BB290_10 Depth=1
	v_and_b32_e32 v7, 0xffff, v0
	v_and_b32_e32 v8, 0x7f, v7
	v_cmp_ne_u32_e64 s[4:5], s42, v8
	v_mov_b32_e32 v62, 0x7f800001
	s_and_saveexec_b64 s[36:37], s[4:5]
	s_cbranch_execz .LBB290_110
; %bb.109:                              ;   in Loop: Header=BB290_10 Depth=1
	v_and_b32_e32 v10, 7, v7
	v_lshrrev_b32_e32 v11, 3, v8
	v_cmp_gt_u32_e64 s[4:5], 8, v8
	v_ffbh_u32_e32 v8, v10
	v_min_u32_e32 v12, 32, v8
	v_subrev_u32_e32 v8, 28, v12
	v_lshlrev_b64 v[7:8], v8, v[7:8]
	v_sub_u32_e32 v8, 29, v12
	v_and_b32_e32 v7, 7, v7
	v_cndmask_b32_e64 v8, v11, v8, s[4:5]
	v_cndmask_b32_e64 v7, v10, v7, s[4:5]
	v_lshlrev_b32_e32 v0, 24, v0
	v_lshlrev_b32_e32 v7, 20, v7
	v_and_b32_e32 v0, 0x80000000, v0
	v_lshl_add_u32 v8, v8, 23, v44
	v_or3_b32 v62, v0, v8, v7
.LBB290_110:                            ;   in Loop: Header=BB290_10 Depth=1
	s_or_b64 exec, exec, s[36:37]
.LBB290_111:                            ;   in Loop: Header=BB290_10 Depth=1
	s_or_b64 exec, exec, s[34:35]
.LBB290_112:                            ;   in Loop: Header=BB290_10 Depth=1
	s_or_b64 exec, exec, s[16:17]
	global_load_ubyte v0, v[5:6], off offset:1032
	v_mov_b32_e32 v8, 0
	v_mov_b32_e32 v63, 0
	s_waitcnt vmcnt(0)
	v_cmp_ne_u16_e64 s[4:5], 0, v0
	s_and_saveexec_b64 s[16:17], s[4:5]
	s_cbranch_execz .LBB290_118
; %bb.113:                              ;   in Loop: Header=BB290_10 Depth=1
	v_cmp_ne_u16_e64 s[4:5], s41, v0
	v_bfrev_b32_e32 v63, 1
	s_and_saveexec_b64 s[34:35], s[4:5]
	s_cbranch_execz .LBB290_117
; %bb.114:                              ;   in Loop: Header=BB290_10 Depth=1
	v_and_b32_e32 v7, 0xffff, v0
	v_and_b32_e32 v10, 0x7f, v7
	v_cmp_ne_u32_e64 s[4:5], s42, v10
	v_mov_b32_e32 v63, 0x7f800001
	s_and_saveexec_b64 s[36:37], s[4:5]
	s_cbranch_execz .LBB290_116
; %bb.115:                              ;   in Loop: Header=BB290_10 Depth=1
	v_and_b32_e32 v12, 7, v7
	v_lshrrev_b32_e32 v13, 3, v10
	v_cmp_gt_u32_e64 s[4:5], 8, v10
	v_ffbh_u32_e32 v10, v12
	v_min_u32_e32 v14, 32, v10
	v_subrev_u32_e32 v10, 28, v14
	v_lshlrev_b64 v[10:11], v10, v[7:8]
	v_sub_u32_e32 v7, 29, v14
	v_and_b32_e32 v10, 7, v10
	v_cndmask_b32_e64 v7, v13, v7, s[4:5]
	v_cndmask_b32_e64 v10, v12, v10, s[4:5]
	v_lshlrev_b32_e32 v0, 24, v0
	v_lshlrev_b32_e32 v10, 20, v10
	v_and_b32_e32 v0, 0x80000000, v0
	v_lshl_add_u32 v7, v7, 23, v44
	v_or3_b32 v63, v0, v7, v10
.LBB290_116:                            ;   in Loop: Header=BB290_10 Depth=1
	s_or_b64 exec, exec, s[36:37]
.LBB290_117:                            ;   in Loop: Header=BB290_10 Depth=1
	s_or_b64 exec, exec, s[34:35]
.LBB290_118:                            ;   in Loop: Header=BB290_10 Depth=1
	s_or_b64 exec, exec, s[16:17]
	global_load_ubyte v0, v[5:6], off offset:1152
	s_waitcnt vmcnt(0)
	v_cmp_ne_u16_e64 s[4:5], 0, v0
	s_and_saveexec_b64 s[16:17], s[4:5]
	s_cbranch_execz .LBB290_124
; %bb.119:                              ;   in Loop: Header=BB290_10 Depth=1
	v_cmp_ne_u16_e64 s[4:5], s41, v0
	v_bfrev_b32_e32 v8, 1
	s_and_saveexec_b64 s[34:35], s[4:5]
	s_cbranch_execz .LBB290_123
; %bb.120:                              ;   in Loop: Header=BB290_10 Depth=1
	v_and_b32_e32 v7, 0xffff, v0
	v_and_b32_e32 v10, 0x7f, v7
	v_cmp_ne_u32_e64 s[4:5], s42, v10
	v_mov_b32_e32 v8, 0x7f800001
	s_and_saveexec_b64 s[36:37], s[4:5]
	s_cbranch_execz .LBB290_122
; %bb.121:                              ;   in Loop: Header=BB290_10 Depth=1
	v_and_b32_e32 v11, 7, v7
	v_ffbh_u32_e32 v8, v11
	v_lshrrev_b32_e32 v12, 3, v10
	v_cmp_gt_u32_e64 s[4:5], 8, v10
	v_min_u32_e32 v10, 32, v8
	v_subrev_u32_e32 v8, 28, v10
	v_lshlrev_b64 v[7:8], v8, v[7:8]
	v_sub_u32_e32 v8, 29, v10
	v_and_b32_e32 v7, 7, v7
	v_cndmask_b32_e64 v8, v12, v8, s[4:5]
	v_cndmask_b32_e64 v7, v11, v7, s[4:5]
	v_lshlrev_b32_e32 v0, 24, v0
	v_lshlrev_b32_e32 v7, 20, v7
	v_and_b32_e32 v0, 0x80000000, v0
	v_lshl_add_u32 v8, v8, 23, v44
	v_or3_b32 v8, v0, v8, v7
.LBB290_122:                            ;   in Loop: Header=BB290_10 Depth=1
	s_or_b64 exec, exec, s[36:37]
.LBB290_123:                            ;   in Loop: Header=BB290_10 Depth=1
	s_or_b64 exec, exec, s[34:35]
.LBB290_124:                            ;   in Loop: Header=BB290_10 Depth=1
	s_or_b64 exec, exec, s[16:17]
	global_load_ubyte v0, v[5:6], off offset:1160
	v_mov_b32_e32 v11, 0
	v_mov_b32_e32 v20, 0
	s_waitcnt vmcnt(0)
	v_cmp_ne_u16_e64 s[4:5], 0, v0
	s_and_saveexec_b64 s[16:17], s[4:5]
	s_cbranch_execz .LBB290_130
; %bb.125:                              ;   in Loop: Header=BB290_10 Depth=1
	v_cmp_ne_u16_e64 s[4:5], s41, v0
	v_bfrev_b32_e32 v20, 1
	s_and_saveexec_b64 s[34:35], s[4:5]
	s_cbranch_execz .LBB290_129
; %bb.126:                              ;   in Loop: Header=BB290_10 Depth=1
	v_and_b32_e32 v7, 0xffff, v0
	v_and_b32_e32 v10, 0x7f, v7
	v_cmp_ne_u32_e64 s[4:5], s42, v10
	v_mov_b32_e32 v20, 0x7f800001
	s_and_saveexec_b64 s[36:37], s[4:5]
	s_cbranch_execz .LBB290_128
; %bb.127:                              ;   in Loop: Header=BB290_10 Depth=1
	v_and_b32_e32 v14, 7, v7
	v_lshrrev_b32_e32 v20, 3, v10
	v_cmp_gt_u32_e64 s[4:5], 8, v10
	v_ffbh_u32_e32 v10, v14
	v_min_u32_e32 v10, 32, v10
	v_subrev_u32_e32 v12, 28, v10
	v_lshlrev_b64 v[12:13], v12, v[7:8]
	v_sub_u32_e32 v7, 29, v10
	v_and_b32_e32 v10, 7, v12
	v_cndmask_b32_e64 v7, v20, v7, s[4:5]
	v_cndmask_b32_e64 v10, v14, v10, s[4:5]
	v_lshlrev_b32_e32 v0, 24, v0
	v_lshlrev_b32_e32 v10, 20, v10
	v_and_b32_e32 v0, 0x80000000, v0
	v_lshl_add_u32 v7, v7, 23, v44
	v_or3_b32 v20, v0, v7, v10
.LBB290_128:                            ;   in Loop: Header=BB290_10 Depth=1
	s_or_b64 exec, exec, s[36:37]
.LBB290_129:                            ;   in Loop: Header=BB290_10 Depth=1
	s_or_b64 exec, exec, s[34:35]
.LBB290_130:                            ;   in Loop: Header=BB290_10 Depth=1
	s_or_b64 exec, exec, s[16:17]
	global_load_ubyte v0, v[5:6], off offset:1280
	s_waitcnt vmcnt(0)
	v_cmp_ne_u16_e64 s[4:5], 0, v0
	s_and_saveexec_b64 s[16:17], s[4:5]
	s_cbranch_execz .LBB290_136
; %bb.131:                              ;   in Loop: Header=BB290_10 Depth=1
	v_cmp_ne_u16_e64 s[4:5], s41, v0
	v_bfrev_b32_e32 v11, 1
	s_and_saveexec_b64 s[34:35], s[4:5]
	s_cbranch_execz .LBB290_135
; %bb.132:                              ;   in Loop: Header=BB290_10 Depth=1
	v_and_b32_e32 v7, 0xffff, v0
	v_and_b32_e32 v10, 0x7f, v7
	v_cmp_ne_u32_e64 s[4:5], s42, v10
	v_mov_b32_e32 v11, 0x7f800001
	s_and_saveexec_b64 s[36:37], s[4:5]
	s_cbranch_execz .LBB290_134
; %bb.133:                              ;   in Loop: Header=BB290_10 Depth=1
	v_and_b32_e32 v12, 7, v7
	v_lshrrev_b32_e32 v13, 3, v10
	v_cmp_gt_u32_e64 s[4:5], 8, v10
	v_ffbh_u32_e32 v10, v12
	v_min_u32_e32 v14, 32, v10
	v_subrev_u32_e32 v10, 28, v14
	v_lshlrev_b64 v[10:11], v10, v[7:8]
	v_sub_u32_e32 v7, 29, v14
	v_and_b32_e32 v10, 7, v10
	v_cndmask_b32_e64 v7, v13, v7, s[4:5]
	v_cndmask_b32_e64 v10, v12, v10, s[4:5]
	v_lshlrev_b32_e32 v0, 24, v0
	v_lshlrev_b32_e32 v10, 20, v10
	v_and_b32_e32 v0, 0x80000000, v0
	v_lshl_add_u32 v7, v7, 23, v44
	v_or3_b32 v11, v0, v7, v10
.LBB290_134:                            ;   in Loop: Header=BB290_10 Depth=1
	s_or_b64 exec, exec, s[36:37]
.LBB290_135:                            ;   in Loop: Header=BB290_10 Depth=1
	s_or_b64 exec, exec, s[34:35]
.LBB290_136:                            ;   in Loop: Header=BB290_10 Depth=1
	s_or_b64 exec, exec, s[16:17]
	global_load_ubyte v10, v[5:6], off offset:1288
	v_mov_b32_e32 v12, 0
	v_mov_b32_e32 v0, 0
	s_waitcnt vmcnt(0)
	v_cmp_ne_u16_e64 s[4:5], 0, v10
	s_and_saveexec_b64 s[16:17], s[4:5]
	s_cbranch_execz .LBB290_142
; %bb.137:                              ;   in Loop: Header=BB290_10 Depth=1
	v_cmp_ne_u16_e64 s[4:5], s41, v10
	v_bfrev_b32_e32 v0, 1
	s_and_saveexec_b64 s[34:35], s[4:5]
	s_cbranch_execz .LBB290_141
; %bb.138:                              ;   in Loop: Header=BB290_10 Depth=1
	v_and_b32_e32 v7, 0xffff, v10
	v_and_b32_e32 v13, 0x7f, v7
	v_cmp_ne_u32_e64 s[4:5], s42, v13
	v_mov_b32_e32 v0, 0x7f800001
	s_and_saveexec_b64 s[36:37], s[4:5]
	s_cbranch_execz .LBB290_140
; %bb.139:                              ;   in Loop: Header=BB290_10 Depth=1
	v_and_b32_e32 v0, 7, v7
	v_lshrrev_b32_e32 v15, 3, v13
	v_cmp_gt_u32_e64 s[4:5], 8, v13
	v_ffbh_u32_e32 v13, v0
	v_min_u32_e32 v16, 32, v13
	v_subrev_u32_e32 v13, 28, v16
	v_lshlrev_b64 v[13:14], v13, v[7:8]
	v_sub_u32_e32 v7, 29, v16
	v_and_b32_e32 v13, 7, v13
	v_cndmask_b32_e64 v7, v15, v7, s[4:5]
	v_cndmask_b32_e64 v0, v0, v13, s[4:5]
	v_lshlrev_b32_e32 v10, 24, v10
	v_lshlrev_b32_e32 v0, 20, v0
	v_and_b32_e32 v10, 0x80000000, v10
	v_lshl_add_u32 v7, v7, 23, v44
	v_or3_b32 v0, v10, v7, v0
.LBB290_140:                            ;   in Loop: Header=BB290_10 Depth=1
	s_or_b64 exec, exec, s[36:37]
.LBB290_141:                            ;   in Loop: Header=BB290_10 Depth=1
	s_or_b64 exec, exec, s[34:35]
.LBB290_142:                            ;   in Loop: Header=BB290_10 Depth=1
	s_or_b64 exec, exec, s[16:17]
	global_load_ubyte v10, v[5:6], off offset:1408
	s_waitcnt vmcnt(0)
	v_cmp_ne_u16_e64 s[4:5], 0, v10
	s_and_saveexec_b64 s[16:17], s[4:5]
	s_cbranch_execz .LBB290_148
; %bb.143:                              ;   in Loop: Header=BB290_10 Depth=1
	v_cmp_ne_u16_e64 s[4:5], s41, v10
	v_bfrev_b32_e32 v12, 1
	s_and_saveexec_b64 s[34:35], s[4:5]
	s_cbranch_execz .LBB290_147
; %bb.144:                              ;   in Loop: Header=BB290_10 Depth=1
	v_and_b32_e32 v7, 0xffff, v10
	v_and_b32_e32 v13, 0x7f, v7
	v_cmp_ne_u32_e64 s[4:5], s42, v13
	v_mov_b32_e32 v12, 0x7f800001
	s_and_saveexec_b64 s[36:37], s[4:5]
	s_cbranch_execz .LBB290_146
; %bb.145:                              ;   in Loop: Header=BB290_10 Depth=1
	v_and_b32_e32 v14, 7, v7
	v_ffbh_u32_e32 v12, v14
	v_min_u32_e32 v16, 32, v12
	v_subrev_u32_e32 v12, 28, v16
	v_lshrrev_b32_e32 v15, 3, v13
	v_cmp_gt_u32_e64 s[4:5], 8, v13
	v_lshlrev_b64 v[12:13], v12, v[7:8]
	v_sub_u32_e32 v7, 29, v16
	v_and_b32_e32 v12, 7, v12
	v_cndmask_b32_e64 v7, v15, v7, s[4:5]
	v_cndmask_b32_e64 v12, v14, v12, s[4:5]
	v_lshlrev_b32_e32 v10, 24, v10
	v_lshlrev_b32_e32 v12, 20, v12
	v_and_b32_e32 v10, 0x80000000, v10
	v_lshl_add_u32 v7, v7, 23, v44
	v_or3_b32 v12, v10, v7, v12
.LBB290_146:                            ;   in Loop: Header=BB290_10 Depth=1
	s_or_b64 exec, exec, s[36:37]
.LBB290_147:                            ;   in Loop: Header=BB290_10 Depth=1
	s_or_b64 exec, exec, s[34:35]
.LBB290_148:                            ;   in Loop: Header=BB290_10 Depth=1
	s_or_b64 exec, exec, s[16:17]
	global_load_ubyte v6, v[5:6], off offset:1416
	v_mov_b32_e32 v10, 0
	s_waitcnt vmcnt(0)
	v_cmp_ne_u16_e64 s[4:5], 0, v6
	s_and_saveexec_b64 s[16:17], s[4:5]
	s_cbranch_execz .LBB290_154
; %bb.149:                              ;   in Loop: Header=BB290_10 Depth=1
	v_cmp_ne_u16_e64 s[4:5], s41, v6
	v_bfrev_b32_e32 v10, 1
	s_and_saveexec_b64 s[34:35], s[4:5]
	s_cbranch_execz .LBB290_153
; %bb.150:                              ;   in Loop: Header=BB290_10 Depth=1
	v_and_b32_e32 v5, 0xffff, v6
	v_and_b32_e32 v7, 0x7f, v5
	v_cmp_ne_u32_e64 s[4:5], s42, v7
	v_mov_b32_e32 v10, 0x7f800001
	s_and_saveexec_b64 s[36:37], s[4:5]
	s_cbranch_execz .LBB290_152
; %bb.151:                              ;   in Loop: Header=BB290_10 Depth=1
	v_and_b32_e32 v10, 7, v5
	v_lshrrev_b32_e32 v15, 3, v7
	v_cmp_gt_u32_e64 s[4:5], 8, v7
	v_ffbh_u32_e32 v7, v10
	v_min_u32_e32 v7, 32, v7
	v_subrev_u32_e32 v13, 28, v7
	v_lshlrev_b64 v[13:14], v13, v[5:6]
	v_sub_u32_e32 v5, 29, v7
	v_and_b32_e32 v7, 7, v13
	v_cndmask_b32_e64 v5, v15, v5, s[4:5]
	v_cndmask_b32_e64 v7, v10, v7, s[4:5]
	v_lshlrev_b32_e32 v6, 24, v6
	v_lshlrev_b32_e32 v7, 20, v7
	v_and_b32_e32 v6, 0x80000000, v6
	v_lshl_add_u32 v5, v5, 23, v44
	v_or3_b32 v10, v6, v5, v7
.LBB290_152:                            ;   in Loop: Header=BB290_10 Depth=1
	s_or_b64 exec, exec, s[36:37]
.LBB290_153:                            ;   in Loop: Header=BB290_10 Depth=1
	s_or_b64 exec, exec, s[34:35]
.LBB290_154:                            ;   in Loop: Header=BB290_10 Depth=1
	s_or_b64 exec, exec, s[16:17]
	v_mul_f32_e32 v5, s40, v12
	v_bfe_u32 v6, v5, 16, 1
	v_add3_u32 v6, v6, v5, s43
	v_or_b32_e32 v7, 0x400000, v5
	v_cmp_u_f32_e64 s[4:5], v5, v5
	v_mul_f32_e32 v0, s40, v0
	v_cndmask_b32_e64 v5, v6, v7, s[4:5]
	v_bfe_u32 v6, v0, 16, 1
	v_add3_u32 v6, v6, v0, s43
	v_or_b32_e32 v7, 0x400000, v0
	v_cmp_u_f32_e64 s[4:5], v0, v0
	v_mul_f32_e32 v0, s40, v11
	v_cndmask_b32_e64 v6, v6, v7, s[4:5]
	;; [unrolled: 6-line block ×3, first 2 shown]
	v_bfe_u32 v11, v0, 16, 1
	v_add3_u32 v11, v11, v0, s43
	v_or_b32_e32 v12, 0x400000, v0
	v_cmp_u_f32_e64 s[4:5], v0, v0
	v_mul_f32_e32 v0, s40, v8
	v_bfe_u32 v8, v0, 16, 1
	v_cndmask_b32_e64 v11, v11, v12, s[4:5]
	v_add3_u32 v8, v8, v0, s43
	v_or_b32_e32 v12, 0x400000, v0
	v_cmp_u_f32_e64 s[4:5], v0, v0
	v_mul_f32_e32 v0, s40, v63
	v_cndmask_b32_e64 v8, v8, v12, s[4:5]
	v_bfe_u32 v12, v0, 16, 1
	v_add3_u32 v12, v12, v0, s43
	v_or_b32_e32 v13, 0x400000, v0
	v_cmp_u_f32_e64 s[4:5], v0, v0
	v_cndmask_b32_e64 v0, v12, v13, s[4:5]
	v_mul_f32_e32 v12, s40, v62
	v_bfe_u32 v13, v12, 16, 1
	v_add3_u32 v13, v13, v12, s43
	v_or_b32_e32 v14, 0x400000, v12
	v_cmp_u_f32_e64 s[4:5], v12, v12
	v_cndmask_b32_e64 v12, v13, v14, s[4:5]
	v_mul_f32_e32 v13, s40, v61
	v_bfe_u32 v14, v13, 16, 1
	v_add3_u32 v14, v14, v13, s43
	v_or_b32_e32 v15, 0x400000, v13
	v_cmp_u_f32_e64 s[4:5], v13, v13
	v_mul_f32_e32 v13, s40, v60
	v_cndmask_b32_e64 v20, v14, v15, s[4:5]
	v_bfe_u32 v14, v13, 16, 1
	v_add3_u32 v14, v14, v13, s43
	v_or_b32_e32 v15, 0x400000, v13
	v_cmp_u_f32_e64 s[4:5], v13, v13
	v_mul_f32_e32 v13, s40, v59
	v_cndmask_b32_e64 v60, v14, v15, s[4:5]
	v_bfe_u32 v14, v13, 16, 1
	v_add3_u32 v14, v14, v13, s43
	v_or_b32_e32 v15, 0x400000, v13
	v_cmp_u_f32_e64 s[4:5], v13, v13
	v_cndmask_b32_e64 v13, v14, v15, s[4:5]
	v_mul_f32_e32 v14, s40, v58
	v_bfe_u32 v15, v14, 16, 1
	v_add3_u32 v15, v15, v14, s43
	v_or_b32_e32 v16, 0x400000, v14
	v_cmp_u_f32_e64 s[4:5], v14, v14
	v_cndmask_b32_e64 v14, v15, v16, s[4:5]
	v_mul_f32_e32 v15, s40, v57
	;; [unrolled: 6-line block ×3, first 2 shown]
	v_bfe_u32 v56, v16, 16, 1
	v_add3_u32 v56, v56, v16, s43
	v_or_b32_e32 v57, 0x400000, v16
	v_cmp_u_f32_e64 s[4:5], v16, v16
	v_mul_f32_e32 v55, s40, v55
	v_cndmask_b32_e64 v16, v56, v57, s[4:5]
	v_bfe_u32 v56, v55, 16, 1
	v_add3_u32 v56, v56, v55, s43
	v_or_b32_e32 v57, 0x400000, v55
	v_cmp_u_f32_e64 s[4:5], v55, v55
	v_mul_f32_e32 v54, s40, v54
	v_cndmask_b32_e64 v55, v56, v57, s[4:5]
	;; [unrolled: 6-line block ×11, first 2 shown]
	v_bfe_u32 v56, v10, 16, 1
	v_add3_u32 v56, v56, v10, s43
	v_or_b32_e32 v57, 0x400000, v10
	v_cmp_u_f32_e64 s[4:5], v10, v10
	v_cndmask_b32_e64 v10, v56, v57, s[4:5]
	buffer_load_dword v56, off, s[44:47], 0 offset:4 ; 4-byte Folded Reload
	v_and_b32_e32 v47, 0xffff0000, v47
	v_and_b32_e32 v46, 0xffff0000, v46
	;; [unrolled: 1-line block ×8, first 2 shown]
	s_waitcnt vmcnt(0)
	v_mul_f32_e32 v47, v56, v47
	buffer_load_dword v56, off, s[44:47], 0 ; 4-byte Folded Reload
	s_waitcnt vmcnt(0)
	v_fmac_f32_e32 v47, v56, v46
	v_and_b32_e32 v46, 0xffff0000, v48
	buffer_load_dword v48, off, s[44:47], 0 offset:8 ; 4-byte Folded Reload
	s_waitcnt vmcnt(0)
	v_fmac_f32_e32 v47, v48, v46
	buffer_load_dword v48, off, s[44:47], 0 offset:12 ; 4-byte Folded Reload
	v_and_b32_e32 v46, 0xffff0000, v49
	s_waitcnt vmcnt(0)
	v_fmac_f32_e32 v47, v48, v46
	buffer_load_dword v48, off, s[44:47], 0 offset:16 ; 4-byte Folded Reload
	v_and_b32_e32 v46, 0xffff0000, v50
	s_waitcnt vmcnt(0)
	v_fmac_f32_e32 v47, v48, v46
	v_and_b32_e32 v46, 0xffff0000, v51
	v_fmac_f32_e32 v47, v17, v46
	v_and_b32_e32 v46, 0xffff0000, v52
	;; [unrolled: 2-line block ×5, first 2 shown]
	v_fmac_f32_e32 v47, v23, v46
	v_fmac_f32_e32 v47, v24, v16
	;; [unrolled: 1-line block ×5, first 2 shown]
	v_and_b32_e32 v13, 0xffff0000, v60
	v_fmac_f32_e32 v47, v28, v13
	v_and_b32_e32 v13, 0xffff0000, v20
	v_fmac_f32_e32 v47, v29, v13
	v_fmac_f32_e32 v47, v30, v12
	;; [unrolled: 1-line block ×3, first 2 shown]
	v_and_b32_e32 v0, 0xffff0000, v8
	v_fmac_f32_e32 v47, v32, v0
	v_and_b32_e32 v0, 0xffff0000, v11
	v_fmac_f32_e32 v47, v33, v0
	v_and_b32_e32 v0, 0xffff0000, v7
	v_fmac_f32_e32 v47, v34, v0
	v_and_b32_e32 v0, 0xffff0000, v6
	v_fmac_f32_e32 v47, v35, v0
	v_and_b32_e32 v0, 0xffff0000, v5
	v_fmac_f32_e32 v47, v36, v0
	v_and_b32_e32 v0, 0xffff0000, v10
	v_fmac_f32_e32 v47, v37, v0
	ds_bpermute_b32 v0, v39, v47
	s_waitcnt lgkmcnt(0)
	v_add_f32_e32 v0, v47, v0
	ds_bpermute_b32 v5, v40, v0
	s_waitcnt lgkmcnt(0)
	v_add_f32_e32 v0, v0, v5
	ds_bpermute_b32 v5, v41, v0
	s_and_saveexec_b64 s[16:17], vcc
	s_cbranch_execz .LBB290_9
; %bb.155:                              ;   in Loop: Header=BB290_10 Depth=1
	v_add_u32_e32 v6, s38, v42
	v_cvt_f32_i32_e32 v6, v6
	s_waitcnt lgkmcnt(0)
	v_add_f32_e32 v0, v0, v5
	v_cmp_gt_i32_e64 s[4:5], s30, v42
	v_max_f32_e32 v5, v38, v38
	v_mul_f32_e32 v6, s33, v6
	v_cndmask_b32_e64 v6, 0, v6, s[2:3]
	v_fmac_f32_e32 v6, s31, v0
	v_cndmask_b32_e64 v0, 0, v6, s[4:5]
	ds_write_b32 v43, v0
	v_max_f32_e32 v0, v5, v6
	v_cndmask_b32_e64 v38, v38, v0, s[4:5]
	s_branch .LBB290_9
.LBB290_156:
	s_or_b64 exec, exec, s[14:15]
	buffer_load_dword v12, off, s[44:47], 0 offset:24 ; 4-byte Folded Reload
	buffer_load_dword v13, off, s[44:47], 0 offset:28 ; 4-byte Folded Reload
	v_and_b32_e32 v8, 64, v9
	v_add_u32_e32 v14, 64, v8
.LBB290_157:
	s_or_b64 exec, exec, s[6:7]
	v_xor_b32_e32 v0, 32, v9
	v_cmp_lt_i32_e32 vcc, v0, v14
	v_cndmask_b32_e32 v0, v9, v0, vcc
	v_lshlrev_b32_e32 v1, 2, v0
	ds_bpermute_b32 v0, v1, v38
	v_xor_b32_e32 v3, 16, v9
	v_max_f32_e32 v2, v38, v38
	v_cmp_lt_i32_e32 vcc, v3, v14
	v_xor_b32_e32 v4, 8, v9
	s_waitcnt lgkmcnt(0)
	v_max_f32_e32 v0, v0, v0
	v_max_f32_e32 v0, v2, v0
	v_cndmask_b32_e32 v2, v9, v3, vcc
	v_lshlrev_b32_e32 v3, 2, v2
	ds_bpermute_b32 v2, v3, v0
	v_cmp_lt_i32_e32 vcc, v4, v14
	s_waitcnt vmcnt(1)
	v_and_b32_e32 v22, 63, v12
	s_waitcnt lgkmcnt(0)
	v_max_f32_e32 v2, v2, v2
	v_max_f32_e32 v2, v0, v2
	v_cndmask_b32_e32 v0, v9, v4, vcc
	v_lshlrev_b32_e32 v5, 2, v0
	ds_bpermute_b32 v4, v5, v2
	v_cmp_eq_u32_e32 vcc, 0, v22
	v_lshlrev_b32_e32 v0, 2, v21
	s_and_saveexec_b64 s[2:3], vcc
	s_cbranch_execz .LBB290_159
; %bb.158:
	s_waitcnt lgkmcnt(0)
	v_max_f32_e32 v4, v4, v4
	v_max_f32_e32 v2, v2, v2
	;; [unrolled: 1-line block ×3, first 2 shown]
	ds_write_b32 v0, v2 offset:384
.LBB290_159:
	s_or_b64 exec, exec, s[2:3]
	v_cmp_gt_u32_e64 s[2:3], 2, v22
	v_mov_b32_e32 v6, 0xff7fffff
	v_lshlrev_b32_e32 v2, 2, v22
	s_waitcnt vmcnt(0) lgkmcnt(0)
	s_barrier
	s_and_saveexec_b64 s[4:5], s[2:3]
; %bb.160:
	ds_read_b32 v6, v2 offset:384
; %bb.161:
	s_or_b64 exec, exec, s[4:5]
	v_xor_b32_e32 v4, 1, v9
	v_cmp_lt_i32_e64 s[4:5], v4, v14
	v_cndmask_b32_e64 v4, v9, v4, s[4:5]
	v_lshlrev_b32_e32 v4, 2, v4
	s_waitcnt lgkmcnt(0)
	ds_bpermute_b32 v7, v4, v6
	v_max_f32_e32 v6, v6, v6
	s_lshl_b32 s4, s21, 3
	s_min_i32 s31, s4, s30
	v_cmp_gt_i32_e64 s[4:5], s31, v12
	s_waitcnt lgkmcnt(0)
	v_max_f32_e32 v7, v7, v7
	v_max_f32_e32 v6, v6, v7
	v_lshlrev_b32_e32 v7, 2, v8
	ds_bpermute_b32 v7, v7, v6
	v_mov_b32_e32 v6, 0
	s_and_saveexec_b64 s[14:15], s[4:5]
	s_cbranch_execz .LBB290_165
; %bb.162:
	v_mov_b32_e32 v6, 0x190
	v_lshl_add_u32 v8, v12, 2, v6
	v_mov_b32_e32 v6, 0
	s_mov_b64 s[16:17], 0
	v_mov_b32_e32 v10, v12
.LBB290_163:                            ; =>This Inner Loop Header: Depth=1
	ds_read_b32 v11, v8
	v_add_u32_e32 v10, 0x80, v10
	v_cmp_le_i32_e64 s[6:7], s31, v10
	s_or_b64 s[16:17], s[6:7], s[16:17]
	s_waitcnt lgkmcnt(0)
	v_sub_f32_e32 v11, v11, v7
	v_mul_f32_e32 v11, 0x3fb8aa3b, v11
	v_exp_f32_e32 v11, v11
	ds_write_b32 v8, v11
	v_add_f32_e32 v6, v6, v11
	v_add_u32_e32 v8, 0x200, v8
	s_andn2_b64 exec, exec, s[16:17]
	s_cbranch_execnz .LBB290_163
; %bb.164:
	s_or_b64 exec, exec, s[16:17]
.LBB290_165:
	s_or_b64 exec, exec, s[14:15]
	ds_bpermute_b32 v1, v1, v6
	s_waitcnt lgkmcnt(0)
	v_add_f32_e32 v1, v6, v1
	ds_bpermute_b32 v3, v3, v1
	s_waitcnt lgkmcnt(0)
	v_add_f32_e32 v1, v1, v3
	ds_bpermute_b32 v3, v5, v1
	v_xor_b32_e32 v5, 4, v9
	v_cmp_lt_i32_e64 s[6:7], v5, v14
	v_cndmask_b32_e64 v5, v9, v5, s[6:7]
	v_lshlrev_b32_e32 v5, 2, v5
	s_waitcnt lgkmcnt(0)
	v_add_f32_e32 v1, v1, v3
	ds_bpermute_b32 v3, v5, v1
	v_xor_b32_e32 v5, 2, v9
	v_cmp_lt_i32_e64 s[6:7], v5, v14
	v_cndmask_b32_e64 v5, v9, v5, s[6:7]
	s_waitcnt lgkmcnt(0)
	v_add_f32_e32 v1, v1, v3
	v_lshlrev_b32_e32 v3, 2, v5
	ds_bpermute_b32 v3, v3, v1
	s_waitcnt lgkmcnt(0)
	v_add_f32_e32 v1, v1, v3
	ds_bpermute_b32 v3, v4, v1
	s_waitcnt lgkmcnt(0)
	v_add_f32_e32 v1, v1, v3
	s_and_saveexec_b64 s[6:7], vcc
; %bb.166:
	ds_write_b32 v0, v1 offset:392
; %bb.167:
	s_or_b64 exec, exec, s[6:7]
	s_waitcnt lgkmcnt(0)
	s_barrier
	s_and_saveexec_b64 s[6:7], s[2:3]
; %bb.168:
	ds_read_b32 v1, v2 offset:392
; %bb.169:
	s_or_b64 exec, exec, s[6:7]
	s_waitcnt lgkmcnt(0)
	ds_bpermute_b32 v0, v4, v1
	v_lshlrev_b32_e32 v2, 2, v9
	s_waitcnt lgkmcnt(0)
	v_add_f32_e32 v0, v1, v0
	v_and_b32_e32 v1, 0xffffff00, v2
	ds_bpermute_b32 v0, v1, v0
	s_and_saveexec_b64 s[2:3], s[4:5]
	s_cbranch_execz .LBB290_172
; %bb.170:
	s_waitcnt lgkmcnt(0)
	v_add_f32_e32 v1, 0x358637bd, v0
	v_div_scale_f32 v0, s[4:5], v1, v1, 1.0
	v_div_scale_f32 v2, vcc, 1.0, v1, 1.0
	s_mov_b64 s[4:5], 0
	v_rcp_f32_e32 v3, v0
	v_fma_f32 v4, -v0, v3, 1.0
	v_fmac_f32_e32 v3, v4, v3
	v_mul_f32_e32 v4, v2, v3
	v_fma_f32 v5, -v0, v4, v2
	v_fmac_f32_e32 v4, v5, v3
	v_fma_f32 v0, -v0, v4, v2
	v_div_fmas_f32 v2, v0, v3, v4
	v_mov_b32_e32 v0, 0x190
	v_lshl_add_u32 v0, v12, 2, v0
	v_div_fixup_f32 v1, v2, v1, 1.0
	v_mov_b32_e32 v2, v12
.LBB290_171:                            ; =>This Inner Loop Header: Depth=1
	ds_read_b32 v3, v0
	v_add_u32_e32 v2, 0x80, v2
	v_cmp_le_i32_e32 vcc, s31, v2
	s_or_b64 s[4:5], vcc, s[4:5]
	s_waitcnt lgkmcnt(0)
	v_mul_f32_e32 v3, v1, v3
	ds_write_b32 v0, v3
	v_add_u32_e32 v0, 0x200, v0
	s_andn2_b64 exec, exec, s[4:5]
	s_cbranch_execnz .LBB290_171
.LBB290_172:
	s_or_b64 exec, exec, s[2:3]
	v_mov_b32_e32 v25, 0
	v_mov_b32_e32 v24, 0
	;; [unrolled: 1-line block ×3, first 2 shown]
	s_waitcnt lgkmcnt(0)
	s_barrier
	s_and_saveexec_b64 s[2:3], s[0:1]
	s_cbranch_execz .LBB290_326
; %bb.173:
	s_ashr_i32 s0, s12, 31
	s_add_u32 s1, s28, s12
	s_addc_u32 s0, s29, s0
	v_lshlrev_b32_e32 v0, 3, v22
	s_load_dword s18, s[18:19], 0x0
	s_add_i32 s19, s21, -1
	v_mov_b32_e32 v1, s0
	v_add_co_u32_e32 v11, vcc, s1, v0
	s_lshl_b64 s[0:1], s[26:27], 2
	v_mov_b32_e32 v0, 0x190
	s_add_u32 s0, s24, s0
	v_mov_b32_e32 v60, v12
	v_addc_co_u32_e32 v12, vcc, 0, v1, vcc
	v_lshl_add_u32 v27, v21, 5, v0
	v_and_b32_e32 v0, 60, v13
	s_addc_u32 s1, s25, s1
	s_mov_b32 s4, -1
	v_mov_b32_e32 v1, s1
	v_add_co_u32_e32 v13, vcc, s0, v0
	s_mov_b32 s31, s13
	s_mov_b32 s5, 0xffffff
	v_mov_b32_e32 v10, 0
	v_lshl_or_b32 v26, v21, 3, 7
	v_addc_co_u32_e32 v14, vcc, 0, v1, vcc
	s_mov_b64 s[6:7], 0
	s_movk_i32 s24, 0x80
	s_movk_i32 s25, 0x7f
	;; [unrolled: 1-line block ×3, first 2 shown]
	v_bfrev_b32_e32 v28, 60
	v_mov_b32_e32 v23, 0
	v_mov_b32_e32 v24, 0
	;; [unrolled: 1-line block ×3, first 2 shown]
	s_branch .LBB290_175
.LBB290_174:                            ;   in Loop: Header=BB290_175 Depth=1
	s_or_b64 exec, exec, s[0:1]
	v_bfe_u32 v0, v5, 16, 1
	v_add3_u32 v0, v0, v5, s26
	v_or_b32_e32 v37, 0x400000, v5
	v_cmp_u_f32_e32 vcc, v5, v5
	v_cndmask_b32_e32 v5, v0, v37, vcc
	v_bfe_u32 v0, v6, 16, 1
	v_add3_u32 v0, v0, v6, s26
	v_or_b32_e32 v37, 0x400000, v6
	v_cmp_u_f32_e32 vcc, v6, v6
	v_bfe_u32 v6, v7, 16, 1
	v_cndmask_b32_e32 v0, v0, v37, vcc
	v_add3_u32 v6, v6, v7, s26
	v_or_b32_e32 v37, 0x400000, v7
	v_cmp_u_f32_e32 vcc, v7, v7
	v_bfe_u32 v7, v8, 16, 1
	v_cndmask_b32_e32 v6, v6, v37, vcc
	;; [unrolled: 5-line block ×4, first 2 shown]
	v_add3_u32 v1, v1, v2, s26
	v_or_b32_e32 v37, 0x400000, v2
	v_cmp_u_f32_e32 vcc, v2, v2
	v_cndmask_b32_e32 v2, v1, v37, vcc
	v_bfe_u32 v1, v3, 16, 1
	v_add3_u32 v1, v1, v3, s26
	v_or_b32_e32 v37, 0x400000, v3
	v_cmp_u_f32_e32 vcc, v3, v3
	v_cndmask_b32_e32 v37, v1, v37, vcc
	v_bfe_u32 v1, v4, 16, 1
	v_add3_u32 v1, v1, v4, s26
	v_or_b32_e32 v3, 0x400000, v4
	v_cmp_u_f32_e32 vcc, v4, v4
	v_cndmask_b32_e32 v3, v1, v3, vcc
	v_and_b32_e32 v0, 0xffff0000, v0
	v_lshlrev_b32_e32 v1, 16, v48
	v_mul_f32_e32 v1, v0, v1
	v_bfe_u32 v4, v1, 16, 1
	v_add3_u32 v4, v4, v1, s26
	v_or_b32_e32 v38, 0x400000, v1
	v_cmp_u_f32_e32 vcc, v1, v1
	v_cndmask_b32_e32 v38, v4, v38, vcc
	v_and_b32_e32 v4, 0xffff0000, v5
	v_lshlrev_b32_e32 v1, 16, v49
	v_mul_f32_e32 v1, v4, v1
	;; [unrolled: 8-line block ×3, first 2 shown]
	v_bfe_u32 v7, v5, 16, 1
	v_add3_u32 v7, v7, v5, s26
	v_or_b32_e32 v40, 0x400000, v5
	v_cmp_u_f32_e32 vcc, v5, v5
	v_and_b32_e32 v5, 0xffff0000, v6
	v_lshlrev_b32_e32 v6, 16, v46
	v_mul_f32_e32 v6, v5, v6
	v_cndmask_b32_e32 v40, v7, v40, vcc
	v_bfe_u32 v7, v6, 16, 1
	v_add3_u32 v7, v7, v6, s26
	v_or_b32_e32 v41, 0x400000, v6
	v_cmp_u_f32_e32 vcc, v6, v6
	v_and_b32_e32 v2, 0xffff0000, v2
	v_lshlrev_b32_e32 v6, 16, v18
	v_mul_f32_e32 v6, v2, v6
	v_cndmask_b32_e32 v41, v7, v41, vcc
	v_bfe_u32 v7, v6, 16, 1
	v_add3_u32 v7, v7, v6, s26
	v_or_b32_e32 v18, 0x400000, v6
	v_cmp_u_f32_e32 vcc, v6, v6
	v_cndmask_b32_e32 v18, v7, v18, vcc
	v_and_b32_e32 v6, 0xffff0000, v8
	v_lshlrev_b32_e32 v7, 16, v19
	v_mul_f32_e32 v7, v6, v7
	v_bfe_u32 v8, v7, 16, 1
	v_add3_u32 v8, v8, v7, s26
	v_or_b32_e32 v19, 0x400000, v7
	v_cmp_u_f32_e32 vcc, v7, v7
	v_and_b32_e32 v3, 0xffff0000, v3
	v_lshlrev_b32_e32 v7, 16, v47
	v_mul_f32_e32 v7, v3, v7
	v_cndmask_b32_e32 v8, v8, v19, vcc
	v_bfe_u32 v19, v7, 16, 1
	v_add3_u32 v19, v19, v7, s26
	v_or_b32_e32 v42, 0x400000, v7
	v_cmp_u_f32_e32 vcc, v7, v7
	v_and_b32_e32 v7, 0xffff0000, v37
	v_lshlrev_b32_e32 v37, 16, v44
	v_mul_f32_e32 v37, v7, v37
	v_cndmask_b32_e32 v19, v19, v42, vcc
	v_bfe_u32 v42, v37, 16, 1
	v_and_b32_e32 v39, 0xffff0000, v39
	v_and_b32_e32 v38, 0xffff0000, v38
	v_add3_u32 v42, v42, v37, s26
	v_or_b32_e32 v43, 0x400000, v37
	v_cmp_u_f32_e32 vcc, v37, v37
	v_add_f32_e32 v38, v39, v38
	v_and_b32_e32 v39, 0xffff0000, v41
	v_and_b32_e32 v40, 0xffff0000, v40
	v_cndmask_b32_e32 v37, v42, v43, vcc
	v_add_f32_e32 v39, v39, v40
	v_and_b32_e32 v8, 0xffff0000, v8
	v_and_b32_e32 v18, 0xffff0000, v18
	v_add_f32_e32 v38, v39, v38
	v_add_f32_e32 v8, v8, v18
	v_and_b32_e32 v18, 0xffff0000, v37
	v_and_b32_e32 v19, 0xffff0000, v19
	v_add_f32_e32 v8, v8, v38
	v_add_f32_e32 v18, v18, v19
	;; [unrolled: 1-line block ×4, first 2 shown]
	v_lshlrev_b32_e32 v8, 16, v35
	v_mul_f32_e32 v8, v0, v8
	v_bfe_u32 v18, v8, 16, 1
	v_add3_u32 v18, v18, v8, s26
	v_or_b32_e32 v19, 0x400000, v8
	v_cmp_u_f32_e32 vcc, v8, v8
	v_cndmask_b32_e32 v8, v18, v19, vcc
	v_lshlrev_b32_e32 v18, 16, v36
	v_mul_f32_e32 v18, v4, v18
	v_bfe_u32 v19, v18, 16, 1
	v_add3_u32 v19, v19, v18, s26
	v_or_b32_e32 v35, 0x400000, v18
	v_cmp_u_f32_e32 vcc, v18, v18
	v_cndmask_b32_e32 v18, v19, v35, vcc
	;; [unrolled: 7-line block ×3, first 2 shown]
	v_lshlrev_b32_e32 v32, 16, v33
	v_mul_f32_e32 v32, v5, v32
	v_bfe_u32 v33, v32, 16, 1
	v_lshlrev_b32_e32 v29, 16, v29
	v_add3_u32 v33, v33, v32, s26
	v_or_b32_e32 v35, 0x400000, v32
	v_cmp_u_f32_e32 vcc, v32, v32
	v_mul_f32_e32 v29, v2, v29
	v_cndmask_b32_e32 v32, v33, v35, vcc
	v_bfe_u32 v33, v29, 16, 1
	v_lshlrev_b32_e32 v30, 16, v30
	v_add3_u32 v33, v33, v29, s26
	v_or_b32_e32 v35, 0x400000, v29
	v_cmp_u_f32_e32 vcc, v29, v29
	v_mul_f32_e32 v30, v6, v30
	v_cndmask_b32_e32 v29, v33, v35, vcc
	v_bfe_u32 v33, v30, 16, 1
	v_add3_u32 v33, v33, v30, s26
	v_or_b32_e32 v35, 0x400000, v30
	v_cmp_u_f32_e32 vcc, v30, v30
	v_cndmask_b32_e32 v30, v33, v35, vcc
	v_lshlrev_b32_e32 v33, 16, v34
	v_mul_f32_e32 v33, v3, v33
	v_bfe_u32 v34, v33, 16, 1
	v_lshlrev_b32_e32 v31, 16, v31
	v_and_b32_e32 v18, 0xffff0000, v18
	v_and_b32_e32 v8, 0xffff0000, v8
	v_add3_u32 v34, v34, v33, s26
	v_or_b32_e32 v35, 0x400000, v33
	v_cmp_u_f32_e32 vcc, v33, v33
	v_mul_f32_e32 v31, v7, v31
	v_add_f32_e32 v8, v18, v8
	v_and_b32_e32 v18, 0xffff0000, v32
	v_and_b32_e32 v19, 0xffff0000, v19
	v_cndmask_b32_e32 v33, v34, v35, vcc
	v_bfe_u32 v34, v31, 16, 1
	v_add_f32_e32 v18, v18, v19
	v_add3_u32 v34, v34, v31, s26
	v_or_b32_e32 v35, 0x400000, v31
	v_cmp_u_f32_e32 vcc, v31, v31
	v_add_f32_e32 v8, v18, v8
	v_and_b32_e32 v18, 0xffff0000, v30
	v_and_b32_e32 v19, 0xffff0000, v29
	v_cndmask_b32_e32 v31, v34, v35, vcc
	v_add_f32_e32 v18, v18, v19
	v_add_f32_e32 v8, v18, v8
	v_and_b32_e32 v18, 0xffff0000, v31
	v_and_b32_e32 v19, 0xffff0000, v33
	v_add_f32_e32 v18, v18, v19
	v_add_f32_e32 v8, v18, v8
	v_add_f32_e32 v25, v25, v8
	v_lshlrev_b32_e32 v8, 16, v50
	v_mul_f32_e32 v4, v4, v8
	v_bfe_u32 v8, v4, 16, 1
	v_add3_u32 v8, v8, v4, s26
	v_or_b32_e32 v18, 0x400000, v4
	v_cmp_u_f32_e32 vcc, v4, v4
	v_cndmask_b32_e32 v4, v8, v18, vcc
	v_lshlrev_b32_e32 v8, 16, v51
	v_mul_f32_e32 v0, v0, v8
	v_bfe_u32 v8, v0, 16, 1
	v_add3_u32 v8, v8, v0, s26
	v_or_b32_e32 v18, 0x400000, v0
	v_cmp_u_f32_e32 vcc, v0, v0
	v_cndmask_b32_e32 v0, v8, v18, vcc
	;; [unrolled: 7-line block ×7, first 2 shown]
	v_lshlrev_b32_e32 v8, 16, v20
	v_and_b32_e32 v0, 0xffff0000, v0
	v_and_b32_e32 v4, 0xffff0000, v4
	v_mul_f32_e32 v3, v3, v8
	v_add_f32_e32 v0, v4, v0
	v_and_b32_e32 v1, 0xffff0000, v1
	v_and_b32_e32 v4, 0xffff0000, v5
	v_bfe_u32 v8, v3, 16, 1
	v_add_f32_e32 v1, v4, v1
	v_add3_u32 v8, v8, v3, s26
	v_or_b32_e32 v9, 0x400000, v3
	v_cmp_u_f32_e32 vcc, v3, v3
	v_add_f32_e32 v0, v1, v0
	v_and_b32_e32 v1, 0xffff0000, v2
	v_and_b32_e32 v2, 0xffff0000, v6
	v_cndmask_b32_e32 v3, v8, v9, vcc
	v_add_f32_e32 v1, v2, v1
	v_add_f32_e32 v0, v1, v0
	v_and_b32_e32 v1, 0xffff0000, v3
	v_and_b32_e32 v2, 0xffff0000, v7
	v_add_u32_e32 v21, 2, v21
	v_add_f32_e32 v1, v2, v1
	v_cmp_le_i32_e32 vcc, s21, v21
	v_add_f32_e32 v0, v1, v0
	s_or_b64 s[6:7], vcc, s[6:7]
	v_add_co_u32_e32 v13, vcc, 8, v13
	v_add_f32_e32 v23, v23, v0
	v_add_u32_e32 v26, 16, v26
	v_add_u32_e32 v27, 64, v27
	v_addc_co_u32_e32 v14, vcc, 0, v14, vcc
	s_andn2_b64 exec, exec, s[6:7]
	s_cbranch_execz .LBB290_325
.LBB290_175:                            ; =>This Inner Loop Header: Depth=1
	global_load_dword v0, v[13:14], off
	v_mov_b32_e32 v31, 0
	s_waitcnt vmcnt(0)
	v_mad_i64_i32 v[15:16], s[0:1], v0, s31, v[11:12]
	global_load_dwordx2 v[17:18], v[15:16], off
	ds_read2_b64 v[5:8], v27 offset1:1
	ds_read2_b64 v[1:4], v27 offset0:2 offset1:3
	s_waitcnt vmcnt(0)
	v_cmp_ne_u16_sdwa s[12:13], v17, v10 src0_sel:BYTE_0 src1_sel:DWORD
	s_and_saveexec_b64 s[0:1], s[12:13]
	s_cbranch_execz .LBB290_181
; %bb.176:                              ;   in Loop: Header=BB290_175 Depth=1
	v_cmp_ne_u16_sdwa s[14:15], v17, s24 src0_sel:BYTE_0 src1_sel:DWORD
	v_bfrev_b32_e32 v31, 1
	s_and_saveexec_b64 s[12:13], s[14:15]
	s_cbranch_execz .LBB290_180
; %bb.177:                              ;   in Loop: Header=BB290_175 Depth=1
	v_and_b32_e32 v0, 0x7f, v17
	v_cmp_ne_u32_e32 vcc, s25, v0
	v_mov_b32_e32 v31, 0x7f800001
	s_and_saveexec_b64 s[14:15], vcc
	s_cbranch_execz .LBB290_179
; %bb.178:                              ;   in Loop: Header=BB290_175 Depth=1
	v_and_b32_e32 v9, 7, v17
	v_ffbh_u32_e32 v9, v9
	v_min_u32_e32 v9, 32, v9
	v_lshrrev_b32_e32 v19, 3, v0
	v_subrev_u32_e32 v20, 28, v9
	v_sub_u32_e32 v9, 29, v9
	v_cmp_gt_u32_e32 vcc, 8, v0
	v_cndmask_b32_e32 v0, v19, v9, vcc
	v_cndmask_b32_e32 v9, 0, v20, vcc
	v_lshlrev_b64 v[19:20], v9, v[17:18]
	v_lshl_add_u32 v0, v0, 23, v28
	v_lshlrev_b32_e32 v9, 20, v19
	v_lshlrev_b32_e32 v19, 24, v17
	v_and_b32_e32 v9, 0x700000, v9
	v_and_b32_e32 v19, 0x80000000, v19
	v_or3_b32 v31, v19, v0, v9
.LBB290_179:                            ;   in Loop: Header=BB290_175 Depth=1
	s_or_b64 exec, exec, s[14:15]
.LBB290_180:                            ;   in Loop: Header=BB290_175 Depth=1
	s_or_b64 exec, exec, s[12:13]
.LBB290_181:                            ;   in Loop: Header=BB290_175 Depth=1
	s_or_b64 exec, exec, s[0:1]
	v_lshrrev_b16_e32 v9, 8, v17
	v_cmp_ne_u16_e32 vcc, 0, v9
	v_mov_b32_e32 v33, 0
	v_mov_b32_e32 v34, 0
	s_and_saveexec_b64 s[0:1], vcc
	s_cbranch_execz .LBB290_187
; %bb.182:                              ;   in Loop: Header=BB290_175 Depth=1
	v_cmp_ne_u16_e32 vcc, s24, v9
	v_bfrev_b32_e32 v34, 1
	s_and_saveexec_b64 s[12:13], vcc
	s_cbranch_execz .LBB290_186
; %bb.183:                              ;   in Loop: Header=BB290_175 Depth=1
	v_and_b32_e32 v0, 0x7f, v9
	v_cmp_ne_u32_e32 vcc, s25, v0
	v_mov_b32_e32 v34, 0x7f800001
	s_and_saveexec_b64 s[14:15], vcc
	s_cbranch_execz .LBB290_185
; %bb.184:                              ;   in Loop: Header=BB290_175 Depth=1
	v_and_b32_e32 v29, 7, v9
	v_ffbh_u32_e32 v19, v29
	v_min_u32_e32 v32, 32, v19
	v_subrev_u32_e32 v19, 28, v32
	v_lshlrev_b64 v[19:20], v19, v[9:10]
	v_lshrrev_b32_e32 v30, 3, v0
	v_sub_u32_e32 v9, 29, v32
	v_and_b32_e32 v19, 7, v19
	v_cmp_gt_u32_e32 vcc, 8, v0
	v_cndmask_b32_e32 v0, v30, v9, vcc
	v_cndmask_b32_e32 v9, v29, v19, vcc
	v_lshlrev_b32_e32 v19, 16, v17
	v_lshlrev_b32_e32 v9, 20, v9
	v_and_b32_e32 v19, 0x80000000, v19
	v_lshl_add_u32 v0, v0, 23, v28
	v_or3_b32 v34, v19, v0, v9
.LBB290_185:                            ;   in Loop: Header=BB290_175 Depth=1
	s_or_b64 exec, exec, s[14:15]
.LBB290_186:                            ;   in Loop: Header=BB290_175 Depth=1
	s_or_b64 exec, exec, s[12:13]
.LBB290_187:                            ;   in Loop: Header=BB290_175 Depth=1
	s_or_b64 exec, exec, s[0:1]
	v_lshrrev_b32_e32 v9, 16, v17
	v_cmp_ne_u16_sdwa s[12:13], v9, v10 src0_sel:BYTE_0 src1_sel:DWORD
	s_and_saveexec_b64 s[0:1], s[12:13]
	s_cbranch_execz .LBB290_193
; %bb.188:                              ;   in Loop: Header=BB290_175 Depth=1
	v_cmp_ne_u16_sdwa s[14:15], v9, s24 src0_sel:BYTE_0 src1_sel:DWORD
	v_bfrev_b32_e32 v33, 1
	s_and_saveexec_b64 s[12:13], s[14:15]
	s_cbranch_execz .LBB290_192
; %bb.189:                              ;   in Loop: Header=BB290_175 Depth=1
	v_bfe_u32 v0, v17, 16, 7
	v_cmp_ne_u32_e32 vcc, s25, v0
	v_mov_b32_e32 v33, 0x7f800001
	s_and_saveexec_b64 s[14:15], vcc
	s_cbranch_execz .LBB290_191
; %bb.190:                              ;   in Loop: Header=BB290_175 Depth=1
	v_and_b32_e32 v29, 7, v9
	v_ffbh_u32_e32 v19, v29
	v_min_u32_e32 v32, 32, v19
	v_subrev_u32_e32 v19, 28, v32
	v_lshlrev_b64 v[19:20], v19, v[9:10]
	v_lshrrev_b32_e32 v30, 3, v0
	v_sub_u32_e32 v20, 29, v32
	v_and_b32_e32 v19, 7, v19
	v_cmp_gt_u32_e32 vcc, 8, v0
	v_cndmask_b32_e32 v0, v30, v20, vcc
	v_cndmask_b32_e32 v19, v29, v19, vcc
	v_lshlrev_b32_e32 v9, 24, v9
	v_lshlrev_b32_e32 v19, 20, v19
	v_and_b32_e32 v9, 0x80000000, v9
	v_lshl_add_u32 v0, v0, 23, v28
	v_or3_b32 v33, v9, v0, v19
.LBB290_191:                            ;   in Loop: Header=BB290_175 Depth=1
	s_or_b64 exec, exec, s[14:15]
.LBB290_192:                            ;   in Loop: Header=BB290_175 Depth=1
	s_or_b64 exec, exec, s[12:13]
.LBB290_193:                            ;   in Loop: Header=BB290_175 Depth=1
	s_or_b64 exec, exec, s[0:1]
	v_cmp_lt_u32_e32 vcc, s5, v17
	v_mov_b32_e32 v30, 0
	v_mov_b32_e32 v20, 0
	s_and_saveexec_b64 s[0:1], vcc
	s_cbranch_execz .LBB290_199
; %bb.194:                              ;   in Loop: Header=BB290_175 Depth=1
	v_lshrrev_b32_e32 v9, 24, v17
	v_cmp_ne_u32_e32 vcc, s24, v9
	v_bfrev_b32_e32 v20, 1
	s_and_saveexec_b64 s[12:13], vcc
	s_cbranch_execz .LBB290_198
; %bb.195:                              ;   in Loop: Header=BB290_175 Depth=1
	v_bfe_u32 v0, v17, 24, 7
	v_cmp_ne_u32_e32 vcc, s25, v0
	v_mov_b32_e32 v20, 0x7f800001
	s_and_saveexec_b64 s[14:15], vcc
	s_cbranch_execz .LBB290_197
; %bb.196:                              ;   in Loop: Header=BB290_175 Depth=1
	v_and_b32_e32 v29, 7, v9
	v_ffbh_u32_e32 v19, v29
	v_min_u32_e32 v35, 32, v19
	v_subrev_u32_e32 v19, 28, v35
	v_lshlrev_b64 v[19:20], v19, v[9:10]
	v_lshrrev_b32_e32 v32, 3, v0
	v_sub_u32_e32 v20, 29, v35
	v_and_b32_e32 v19, 7, v19
	v_cmp_gt_u32_e32 vcc, 8, v0
	v_cndmask_b32_e32 v0, v32, v20, vcc
	v_cndmask_b32_e32 v19, v29, v19, vcc
	v_lshlrev_b32_e32 v9, 24, v9
	v_lshlrev_b32_e32 v19, 20, v19
	v_and_b32_e32 v9, 0x80000000, v9
	v_lshl_add_u32 v0, v0, 23, v28
	v_or3_b32 v20, v9, v0, v19
.LBB290_197:                            ;   in Loop: Header=BB290_175 Depth=1
	s_or_b64 exec, exec, s[14:15]
.LBB290_198:                            ;   in Loop: Header=BB290_175 Depth=1
	s_or_b64 exec, exec, s[12:13]
.LBB290_199:                            ;   in Loop: Header=BB290_175 Depth=1
	s_or_b64 exec, exec, s[0:1]
	v_mov_b32_e32 v9, v18
	v_cmp_ne_u16_sdwa s[12:13], v18, v10 src0_sel:BYTE_0 src1_sel:DWORD
	s_and_saveexec_b64 s[0:1], s[12:13]
	s_cbranch_execz .LBB290_205
; %bb.200:                              ;   in Loop: Header=BB290_175 Depth=1
	v_cmp_ne_u16_sdwa s[14:15], v18, s24 src0_sel:BYTE_0 src1_sel:DWORD
	v_bfrev_b32_e32 v30, 1
	s_and_saveexec_b64 s[12:13], s[14:15]
	s_cbranch_execz .LBB290_204
; %bb.201:                              ;   in Loop: Header=BB290_175 Depth=1
	v_and_b32_e32 v0, 0x7f, v18
	v_cmp_ne_u32_e32 vcc, s25, v0
	v_mov_b32_e32 v30, 0x7f800001
	s_and_saveexec_b64 s[14:15], vcc
	s_cbranch_execz .LBB290_203
; %bb.202:                              ;   in Loop: Header=BB290_175 Depth=1
	v_and_b32_e32 v19, 7, v18
	v_ffbh_u32_e32 v19, v19
	v_min_u32_e32 v19, 32, v19
	v_lshrrev_b32_e32 v29, 3, v0
	v_subrev_u32_e32 v30, 28, v19
	v_sub_u32_e32 v19, 29, v19
	v_cmp_gt_u32_e32 vcc, 8, v0
	v_cndmask_b32_e32 v0, v29, v19, vcc
	v_cndmask_b32_e32 v19, 0, v30, vcc
	v_lshlrev_b64 v[29:30], v19, v[9:10]
	v_lshl_add_u32 v0, v0, 23, v28
	v_lshlrev_b32_e32 v19, 20, v29
	v_lshlrev_b32_e32 v29, 24, v9
	v_and_b32_e32 v19, 0x700000, v19
	v_and_b32_e32 v29, 0x80000000, v29
	v_or3_b32 v30, v29, v0, v19
.LBB290_203:                            ;   in Loop: Header=BB290_175 Depth=1
	s_or_b64 exec, exec, s[14:15]
.LBB290_204:                            ;   in Loop: Header=BB290_175 Depth=1
	s_or_b64 exec, exec, s[12:13]
.LBB290_205:                            ;   in Loop: Header=BB290_175 Depth=1
	s_or_b64 exec, exec, s[0:1]
	v_lshrrev_b16_e32 v19, 8, v9
	v_cmp_ne_u16_e32 vcc, 0, v19
	v_mov_b32_e32 v38, 0
	v_mov_b32_e32 v0, 0
	s_and_saveexec_b64 s[0:1], vcc
	s_cbranch_execz .LBB290_211
; %bb.206:                              ;   in Loop: Header=BB290_175 Depth=1
	v_cmp_ne_u16_e32 vcc, s24, v19
	v_bfrev_b32_e32 v0, 1
	s_and_saveexec_b64 s[12:13], vcc
	s_cbranch_execz .LBB290_210
; %bb.207:                              ;   in Loop: Header=BB290_175 Depth=1
	v_and_b32_e32 v29, 0x7f, v19
	v_cmp_ne_u32_e32 vcc, s25, v29
	v_mov_b32_e32 v0, 0x7f800001
	s_and_saveexec_b64 s[14:15], vcc
	s_cbranch_execz .LBB290_209
; %bb.208:                              ;   in Loop: Header=BB290_175 Depth=1
	v_and_b32_e32 v0, 7, v19
	v_ffbh_u32_e32 v35, v0
	v_min_u32_e32 v37, 32, v35
	v_subrev_u32_e32 v35, 28, v37
	v_lshlrev_b64 v[35:36], v35, v[19:20]
	v_lshrrev_b32_e32 v32, 3, v29
	v_sub_u32_e32 v19, 29, v37
	v_and_b32_e32 v35, 7, v35
	v_cmp_gt_u32_e32 vcc, 8, v29
	v_cndmask_b32_e32 v19, v32, v19, vcc
	v_cndmask_b32_e32 v0, v0, v35, vcc
	v_lshlrev_b32_e32 v9, 16, v9
	v_lshlrev_b32_e32 v0, 20, v0
	v_and_b32_e32 v9, 0x80000000, v9
	v_lshl_add_u32 v19, v19, 23, v28
	v_or3_b32 v0, v9, v19, v0
.LBB290_209:                            ;   in Loop: Header=BB290_175 Depth=1
	s_or_b64 exec, exec, s[14:15]
.LBB290_210:                            ;   in Loop: Header=BB290_175 Depth=1
	s_or_b64 exec, exec, s[12:13]
.LBB290_211:                            ;   in Loop: Header=BB290_175 Depth=1
	s_or_b64 exec, exec, s[0:1]
	v_lshrrev_b32_e32 v9, 16, v18
	v_cmp_ne_u16_sdwa s[12:13], v9, v10 src0_sel:BYTE_0 src1_sel:DWORD
	s_and_saveexec_b64 s[0:1], s[12:13]
	s_cbranch_execz .LBB290_217
; %bb.212:                              ;   in Loop: Header=BB290_175 Depth=1
	v_cmp_ne_u16_sdwa s[14:15], v9, s24 src0_sel:BYTE_0 src1_sel:DWORD
	v_bfrev_b32_e32 v38, 1
	s_and_saveexec_b64 s[12:13], s[14:15]
	s_cbranch_execz .LBB290_216
; %bb.213:                              ;   in Loop: Header=BB290_175 Depth=1
	v_bfe_u32 v19, v18, 16, 7
	v_cmp_ne_u32_e32 vcc, s25, v19
	v_mov_b32_e32 v38, 0x7f800001
	s_and_saveexec_b64 s[14:15], vcc
	s_cbranch_execz .LBB290_215
; %bb.214:                              ;   in Loop: Header=BB290_175 Depth=1
	v_and_b32_e32 v29, 7, v9
	v_ffbh_u32_e32 v35, v29
	v_min_u32_e32 v37, 32, v35
	v_subrev_u32_e32 v35, 28, v37
	v_lshlrev_b64 v[35:36], v35, v[9:10]
	v_lshrrev_b32_e32 v32, 3, v19
	v_sub_u32_e32 v36, 29, v37
	v_and_b32_e32 v35, 7, v35
	v_cmp_gt_u32_e32 vcc, 8, v19
	v_cndmask_b32_e32 v19, v32, v36, vcc
	v_cndmask_b32_e32 v29, v29, v35, vcc
	v_lshlrev_b32_e32 v9, 24, v9
	v_lshlrev_b32_e32 v29, 20, v29
	v_and_b32_e32 v9, 0x80000000, v9
	v_lshl_add_u32 v19, v19, 23, v28
	v_or3_b32 v38, v9, v19, v29
.LBB290_215:                            ;   in Loop: Header=BB290_175 Depth=1
	s_or_b64 exec, exec, s[14:15]
.LBB290_216:                            ;   in Loop: Header=BB290_175 Depth=1
	s_or_b64 exec, exec, s[12:13]
.LBB290_217:                            ;   in Loop: Header=BB290_175 Depth=1
	s_or_b64 exec, exec, s[0:1]
	v_cmp_lt_u64_e32 vcc, s[4:5], v[17:18]
	v_mov_b32_e32 v17, 0
	s_and_saveexec_b64 s[0:1], vcc
	s_cbranch_execz .LBB290_223
; %bb.218:                              ;   in Loop: Header=BB290_175 Depth=1
	v_lshrrev_b32_e32 v9, 24, v18
	v_cmp_ne_u32_e32 vcc, s24, v9
	v_bfrev_b32_e32 v17, 1
	s_and_saveexec_b64 s[12:13], vcc
	s_cbranch_execz .LBB290_222
; %bb.219:                              ;   in Loop: Header=BB290_175 Depth=1
	v_bfe_u32 v18, v18, 24, 7
	v_cmp_ne_u32_e32 vcc, s25, v18
	v_mov_b32_e32 v17, 0x7f800001
	s_and_saveexec_b64 s[14:15], vcc
	s_cbranch_execz .LBB290_221
; %bb.220:                              ;   in Loop: Header=BB290_175 Depth=1
	v_and_b32_e32 v17, 7, v9
	v_ffbh_u32_e32 v29, v17
	v_min_u32_e32 v29, 32, v29
	v_subrev_u32_e32 v32, 28, v29
	v_lshlrev_b64 v[35:36], v32, v[9:10]
	v_lshrrev_b32_e32 v19, 3, v18
	v_sub_u32_e32 v29, 29, v29
	v_and_b32_e32 v32, 7, v35
	v_cmp_gt_u32_e32 vcc, 8, v18
	v_cndmask_b32_e32 v18, v19, v29, vcc
	v_cndmask_b32_e32 v17, v17, v32, vcc
	v_lshlrev_b32_e32 v9, 24, v9
	v_lshlrev_b32_e32 v17, 20, v17
	v_and_b32_e32 v9, 0x80000000, v9
	v_lshl_add_u32 v18, v18, 23, v28
	v_or3_b32 v17, v9, v18, v17
.LBB290_221:                            ;   in Loop: Header=BB290_175 Depth=1
	s_or_b64 exec, exec, s[14:15]
.LBB290_222:                            ;   in Loop: Header=BB290_175 Depth=1
	s_or_b64 exec, exec, s[12:13]
.LBB290_223:                            ;   in Loop: Header=BB290_175 Depth=1
	s_or_b64 exec, exec, s[0:1]
	s_waitcnt lgkmcnt(0)
	v_mul_f32_e32 v0, s18, v0
	v_bfe_u32 v9, v0, 16, 1
	v_add3_u32 v9, v9, v0, s26
	v_or_b32_e32 v18, 0x400000, v0
	v_cmp_u_f32_e64 s[0:1], v0, v0
	v_cndmask_b32_e64 v0, v9, v18, s[0:1]
	v_lshrrev_b32_e32 v29, 16, v0
	v_mul_f32_e32 v0, s18, v30
	v_bfe_u32 v9, v0, 16, 1
	v_add3_u32 v9, v9, v0, s26
	v_or_b32_e32 v18, 0x400000, v0
	v_cmp_u_f32_e64 s[0:1], v0, v0
	v_cndmask_b32_e64 v0, v9, v18, s[0:1]
	v_lshrrev_b32_e32 v30, 16, v0
	;; [unrolled: 7-line block ×7, first 2 shown]
	v_mul_f32_e32 v0, s18, v17
	v_bfe_u32 v9, v0, 16, 1
	v_add3_u32 v9, v9, v0, s26
	v_or_b32_e32 v17, 0x400000, v0
	v_cmp_u_f32_e64 s[0:1], v0, v0
	v_cndmask_b32_e64 v0, v9, v17, s[0:1]
	v_add_u32_e32 v37, -7, v26
	v_cmp_eq_u32_e32 vcc, s19, v21
	v_lshrrev_b32_e32 v34, 16, v0
	v_add_u32_e32 v43, -6, v26
	v_add_u32_e32 v42, -5, v26
	v_add_u32_e32 v41, -4, v26
	v_add_u32_e32 v40, -3, v26
	v_add_u32_e32 v39, -2, v26
	v_add_u32_e32 v38, -1, v26
	s_and_saveexec_b64 s[12:13], vcc
	s_cbranch_execz .LBB290_225
; %bb.224:                              ;   in Loop: Header=BB290_175 Depth=1
	v_cmp_gt_i32_e64 s[0:1], s30, v37
	v_cndmask_b32_e64 v36, 0, v36, s[0:1]
	v_cmp_gt_i32_e64 s[0:1], s30, v43
	v_cndmask_b32_e64 v35, 0, v35, s[0:1]
	;; [unrolled: 2-line block ×8, first 2 shown]
.LBB290_225:                            ;   in Loop: Header=BB290_175 Depth=1
	s_or_b64 exec, exec, s[12:13]
	global_load_dwordx2 v[17:18], v[15:16], off offset:512
	v_mov_b32_e32 v47, 0
	v_mov_b32_e32 v44, 0
	s_waitcnt vmcnt(0)
	v_cmp_ne_u16_sdwa s[0:1], v17, v10 src0_sel:BYTE_0 src1_sel:DWORD
	s_and_saveexec_b64 s[12:13], s[0:1]
	s_cbranch_execz .LBB290_231
; %bb.226:                              ;   in Loop: Header=BB290_175 Depth=1
	v_cmp_ne_u16_sdwa s[0:1], v17, s24 src0_sel:BYTE_0 src1_sel:DWORD
	v_bfrev_b32_e32 v44, 1
	s_and_saveexec_b64 s[14:15], s[0:1]
	s_cbranch_execz .LBB290_230
; %bb.227:                              ;   in Loop: Header=BB290_175 Depth=1
	v_and_b32_e32 v0, 0x7f, v17
	v_cmp_ne_u32_e64 s[0:1], s25, v0
	v_mov_b32_e32 v44, 0x7f800001
	s_and_saveexec_b64 s[16:17], s[0:1]
	s_cbranch_execz .LBB290_229
; %bb.228:                              ;   in Loop: Header=BB290_175 Depth=1
	v_and_b32_e32 v9, 7, v17
	v_ffbh_u32_e32 v9, v9
	v_min_u32_e32 v9, 32, v9
	v_lshrrev_b32_e32 v19, 3, v0
	v_subrev_u32_e32 v20, 28, v9
	v_sub_u32_e32 v9, 29, v9
	v_cmp_gt_u32_e64 s[0:1], 8, v0
	v_cndmask_b32_e64 v0, v19, v9, s[0:1]
	v_cndmask_b32_e64 v9, 0, v20, s[0:1]
	v_lshlrev_b64 v[19:20], v9, v[17:18]
	v_lshl_add_u32 v0, v0, 23, v28
	v_lshlrev_b32_e32 v9, 20, v19
	v_lshlrev_b32_e32 v19, 24, v17
	v_and_b32_e32 v9, 0x700000, v9
	v_and_b32_e32 v19, 0x80000000, v19
	v_or3_b32 v44, v19, v0, v9
.LBB290_229:                            ;   in Loop: Header=BB290_175 Depth=1
	s_or_b64 exec, exec, s[16:17]
.LBB290_230:                            ;   in Loop: Header=BB290_175 Depth=1
	s_or_b64 exec, exec, s[14:15]
.LBB290_231:                            ;   in Loop: Header=BB290_175 Depth=1
	s_or_b64 exec, exec, s[12:13]
	v_lshrrev_b16_e32 v9, 8, v17
	v_cmp_ne_u16_e64 s[0:1], 0, v9
	s_and_saveexec_b64 s[12:13], s[0:1]
	s_cbranch_execz .LBB290_237
; %bb.232:                              ;   in Loop: Header=BB290_175 Depth=1
	v_cmp_ne_u16_e64 s[0:1], s24, v9
	v_bfrev_b32_e32 v47, 1
	s_and_saveexec_b64 s[14:15], s[0:1]
	s_cbranch_execz .LBB290_236
; %bb.233:                              ;   in Loop: Header=BB290_175 Depth=1
	v_and_b32_e32 v0, 0x7f, v9
	v_cmp_ne_u32_e64 s[0:1], s25, v0
	v_mov_b32_e32 v47, 0x7f800001
	s_and_saveexec_b64 s[16:17], s[0:1]
	s_cbranch_execz .LBB290_235
; %bb.234:                              ;   in Loop: Header=BB290_175 Depth=1
	v_and_b32_e32 v45, 7, v9
	v_ffbh_u32_e32 v19, v45
	v_min_u32_e32 v47, 32, v19
	v_subrev_u32_e32 v19, 28, v47
	v_lshlrev_b64 v[19:20], v19, v[9:10]
	v_lshrrev_b32_e32 v46, 3, v0
	v_sub_u32_e32 v9, 29, v47
	v_and_b32_e32 v19, 7, v19
	v_cmp_gt_u32_e64 s[0:1], 8, v0
	v_cndmask_b32_e64 v0, v46, v9, s[0:1]
	v_cndmask_b32_e64 v9, v45, v19, s[0:1]
	v_lshlrev_b32_e32 v19, 16, v17
	v_lshlrev_b32_e32 v9, 20, v9
	v_and_b32_e32 v19, 0x80000000, v19
	v_lshl_add_u32 v0, v0, 23, v28
	v_or3_b32 v47, v19, v0, v9
.LBB290_235:                            ;   in Loop: Header=BB290_175 Depth=1
	s_or_b64 exec, exec, s[16:17]
.LBB290_236:                            ;   in Loop: Header=BB290_175 Depth=1
	s_or_b64 exec, exec, s[14:15]
.LBB290_237:                            ;   in Loop: Header=BB290_175 Depth=1
	s_or_b64 exec, exec, s[12:13]
	v_lshrrev_b32_e32 v9, 16, v17
	v_cmp_ne_u16_sdwa s[0:1], v9, v10 src0_sel:BYTE_0 src1_sel:DWORD
	v_mov_b32_e32 v45, 0
	v_mov_b32_e32 v46, 0
	s_and_saveexec_b64 s[12:13], s[0:1]
	s_cbranch_execz .LBB290_243
; %bb.238:                              ;   in Loop: Header=BB290_175 Depth=1
	v_cmp_ne_u16_sdwa s[0:1], v9, s24 src0_sel:BYTE_0 src1_sel:DWORD
	v_bfrev_b32_e32 v46, 1
	s_and_saveexec_b64 s[14:15], s[0:1]
	s_cbranch_execz .LBB290_242
; %bb.239:                              ;   in Loop: Header=BB290_175 Depth=1
	v_bfe_u32 v0, v17, 16, 7
	v_cmp_ne_u32_e64 s[0:1], s25, v0
	v_mov_b32_e32 v46, 0x7f800001
	s_and_saveexec_b64 s[16:17], s[0:1]
	s_cbranch_execz .LBB290_241
; %bb.240:                              ;   in Loop: Header=BB290_175 Depth=1
	v_and_b32_e32 v46, 7, v9
	v_ffbh_u32_e32 v19, v46
	v_min_u32_e32 v49, 32, v19
	v_subrev_u32_e32 v19, 28, v49
	v_lshlrev_b64 v[19:20], v19, v[9:10]
	v_lshrrev_b32_e32 v48, 3, v0
	v_sub_u32_e32 v20, 29, v49
	v_and_b32_e32 v19, 7, v19
	v_cmp_gt_u32_e64 s[0:1], 8, v0
	v_cndmask_b32_e64 v0, v48, v20, s[0:1]
	v_cndmask_b32_e64 v19, v46, v19, s[0:1]
	v_lshlrev_b32_e32 v9, 24, v9
	v_lshlrev_b32_e32 v19, 20, v19
	v_and_b32_e32 v9, 0x80000000, v9
	v_lshl_add_u32 v0, v0, 23, v28
	v_or3_b32 v46, v9, v0, v19
.LBB290_241:                            ;   in Loop: Header=BB290_175 Depth=1
	s_or_b64 exec, exec, s[16:17]
.LBB290_242:                            ;   in Loop: Header=BB290_175 Depth=1
	s_or_b64 exec, exec, s[14:15]
.LBB290_243:                            ;   in Loop: Header=BB290_175 Depth=1
	s_or_b64 exec, exec, s[12:13]
	v_cmp_lt_u32_e64 s[0:1], s5, v17
	s_and_saveexec_b64 s[12:13], s[0:1]
	s_cbranch_execz .LBB290_249
; %bb.244:                              ;   in Loop: Header=BB290_175 Depth=1
	v_lshrrev_b32_e32 v9, 24, v17
	v_cmp_ne_u32_e64 s[0:1], s24, v9
	v_bfrev_b32_e32 v45, 1
	s_and_saveexec_b64 s[14:15], s[0:1]
	s_cbranch_execz .LBB290_248
; %bb.245:                              ;   in Loop: Header=BB290_175 Depth=1
	v_bfe_u32 v0, v17, 24, 7
	v_cmp_ne_u32_e64 s[0:1], s25, v0
	v_mov_b32_e32 v45, 0x7f800001
	s_and_saveexec_b64 s[16:17], s[0:1]
	s_cbranch_execz .LBB290_247
; %bb.246:                              ;   in Loop: Header=BB290_175 Depth=1
	v_and_b32_e32 v45, 7, v9
	v_ffbh_u32_e32 v19, v45
	v_min_u32_e32 v49, 32, v19
	v_subrev_u32_e32 v19, 28, v49
	v_lshlrev_b64 v[19:20], v19, v[9:10]
	v_lshrrev_b32_e32 v48, 3, v0
	v_sub_u32_e32 v20, 29, v49
	v_and_b32_e32 v19, 7, v19
	v_cmp_gt_u32_e64 s[0:1], 8, v0
	v_cndmask_b32_e64 v0, v48, v20, s[0:1]
	v_cndmask_b32_e64 v19, v45, v19, s[0:1]
	v_lshlrev_b32_e32 v9, 24, v9
	v_lshlrev_b32_e32 v19, 20, v19
	v_and_b32_e32 v9, 0x80000000, v9
	v_lshl_add_u32 v0, v0, 23, v28
	v_or3_b32 v45, v9, v0, v19
.LBB290_247:                            ;   in Loop: Header=BB290_175 Depth=1
	s_or_b64 exec, exec, s[16:17]
.LBB290_248:                            ;   in Loop: Header=BB290_175 Depth=1
	s_or_b64 exec, exec, s[14:15]
.LBB290_249:                            ;   in Loop: Header=BB290_175 Depth=1
	s_or_b64 exec, exec, s[12:13]
	v_mov_b32_e32 v9, v18
	v_cmp_ne_u16_sdwa s[0:1], v18, v10 src0_sel:BYTE_0 src1_sel:DWORD
	v_mov_b32_e32 v48, 0
	v_mov_b32_e32 v20, 0
	s_and_saveexec_b64 s[12:13], s[0:1]
	s_cbranch_execz .LBB290_255
; %bb.250:                              ;   in Loop: Header=BB290_175 Depth=1
	v_cmp_ne_u16_sdwa s[0:1], v18, s24 src0_sel:BYTE_0 src1_sel:DWORD
	v_bfrev_b32_e32 v20, 1
	s_and_saveexec_b64 s[14:15], s[0:1]
	s_cbranch_execz .LBB290_254
; %bb.251:                              ;   in Loop: Header=BB290_175 Depth=1
	v_and_b32_e32 v0, 0x7f, v18
	v_cmp_ne_u32_e64 s[0:1], s25, v0
	v_mov_b32_e32 v20, 0x7f800001
	s_and_saveexec_b64 s[16:17], s[0:1]
	s_cbranch_execz .LBB290_253
; %bb.252:                              ;   in Loop: Header=BB290_175 Depth=1
	v_and_b32_e32 v19, 7, v18
	v_ffbh_u32_e32 v19, v19
	v_min_u32_e32 v19, 32, v19
	v_lshrrev_b32_e32 v20, 3, v0
	v_subrev_u32_e32 v49, 28, v19
	v_sub_u32_e32 v19, 29, v19
	v_cmp_gt_u32_e64 s[0:1], 8, v0
	v_cndmask_b32_e64 v0, v20, v19, s[0:1]
	v_cndmask_b32_e64 v19, 0, v49, s[0:1]
	v_lshlrev_b64 v[19:20], v19, v[9:10]
	v_lshlrev_b32_e32 v20, 24, v9
	v_lshlrev_b32_e32 v19, 20, v19
	v_and_b32_e32 v19, 0x700000, v19
	v_and_b32_e32 v20, 0x80000000, v20
	v_lshl_add_u32 v0, v0, 23, v28
	v_or3_b32 v20, v20, v0, v19
.LBB290_253:                            ;   in Loop: Header=BB290_175 Depth=1
	s_or_b64 exec, exec, s[16:17]
.LBB290_254:                            ;   in Loop: Header=BB290_175 Depth=1
	s_or_b64 exec, exec, s[14:15]
.LBB290_255:                            ;   in Loop: Header=BB290_175 Depth=1
	s_or_b64 exec, exec, s[12:13]
	v_lshrrev_b16_e32 v19, 8, v9
	v_cmp_ne_u16_e64 s[0:1], 0, v19
	s_and_saveexec_b64 s[12:13], s[0:1]
	s_cbranch_execz .LBB290_261
; %bb.256:                              ;   in Loop: Header=BB290_175 Depth=1
	v_cmp_ne_u16_e64 s[0:1], s24, v19
	v_bfrev_b32_e32 v48, 1
	s_and_saveexec_b64 s[14:15], s[0:1]
	s_cbranch_execz .LBB290_260
; %bb.257:                              ;   in Loop: Header=BB290_175 Depth=1
	v_and_b32_e32 v0, 0x7f, v19
	v_cmp_ne_u32_e64 s[0:1], s25, v0
	v_mov_b32_e32 v48, 0x7f800001
	s_and_saveexec_b64 s[16:17], s[0:1]
	s_cbranch_execz .LBB290_259
; %bb.258:                              ;   in Loop: Header=BB290_175 Depth=1
	v_and_b32_e32 v50, 7, v19
	v_ffbh_u32_e32 v48, v50
	v_min_u32_e32 v52, 32, v48
	v_subrev_u32_e32 v48, 28, v52
	v_lshlrev_b64 v[48:49], v48, v[19:20]
	v_lshrrev_b32_e32 v51, 3, v0
	v_sub_u32_e32 v19, 29, v52
	v_and_b32_e32 v48, 7, v48
	v_cmp_gt_u32_e64 s[0:1], 8, v0
	v_cndmask_b32_e64 v0, v51, v19, s[0:1]
	v_cndmask_b32_e64 v19, v50, v48, s[0:1]
	v_lshlrev_b32_e32 v9, 16, v9
	v_lshlrev_b32_e32 v19, 20, v19
	v_and_b32_e32 v9, 0x80000000, v9
	v_lshl_add_u32 v0, v0, 23, v28
	v_or3_b32 v48, v9, v0, v19
.LBB290_259:                            ;   in Loop: Header=BB290_175 Depth=1
	s_or_b64 exec, exec, s[16:17]
.LBB290_260:                            ;   in Loop: Header=BB290_175 Depth=1
	s_or_b64 exec, exec, s[14:15]
.LBB290_261:                            ;   in Loop: Header=BB290_175 Depth=1
	s_or_b64 exec, exec, s[12:13]
	v_lshrrev_b32_e32 v9, 16, v18
	v_cmp_ne_u16_sdwa s[0:1], v9, v10 src0_sel:BYTE_0 src1_sel:DWORD
	v_mov_b32_e32 v0, 0
	v_mov_b32_e32 v50, 0
	s_and_saveexec_b64 s[12:13], s[0:1]
	s_cbranch_execz .LBB290_267
; %bb.262:                              ;   in Loop: Header=BB290_175 Depth=1
	v_cmp_ne_u16_sdwa s[0:1], v9, s24 src0_sel:BYTE_0 src1_sel:DWORD
	v_bfrev_b32_e32 v50, 1
	s_and_saveexec_b64 s[14:15], s[0:1]
	s_cbranch_execz .LBB290_266
; %bb.263:                              ;   in Loop: Header=BB290_175 Depth=1
	v_bfe_u32 v19, v18, 16, 7
	v_cmp_ne_u32_e64 s[0:1], s25, v19
	v_mov_b32_e32 v50, 0x7f800001
	s_and_saveexec_b64 s[16:17], s[0:1]
	s_cbranch_execz .LBB290_265
; %bb.264:                              ;   in Loop: Header=BB290_175 Depth=1
	v_and_b32_e32 v51, 7, v9
	v_ffbh_u32_e32 v49, v51
	v_min_u32_e32 v53, 32, v49
	v_subrev_u32_e32 v49, 28, v53
	v_lshlrev_b64 v[49:50], v49, v[9:10]
	v_lshrrev_b32_e32 v52, 3, v19
	v_sub_u32_e32 v50, 29, v53
	v_and_b32_e32 v49, 7, v49
	v_cmp_gt_u32_e64 s[0:1], 8, v19
	v_cndmask_b32_e64 v19, v52, v50, s[0:1]
	v_cndmask_b32_e64 v49, v51, v49, s[0:1]
	v_lshlrev_b32_e32 v9, 24, v9
	v_lshlrev_b32_e32 v49, 20, v49
	v_and_b32_e32 v9, 0x80000000, v9
	v_lshl_add_u32 v19, v19, 23, v28
	v_or3_b32 v50, v9, v19, v49
.LBB290_265:                            ;   in Loop: Header=BB290_175 Depth=1
	s_or_b64 exec, exec, s[16:17]
.LBB290_266:                            ;   in Loop: Header=BB290_175 Depth=1
	s_or_b64 exec, exec, s[14:15]
.LBB290_267:                            ;   in Loop: Header=BB290_175 Depth=1
	s_or_b64 exec, exec, s[12:13]
	v_cmp_lt_u64_e64 s[0:1], s[4:5], v[17:18]
	s_and_saveexec_b64 s[12:13], s[0:1]
	s_cbranch_execz .LBB290_273
; %bb.268:                              ;   in Loop: Header=BB290_175 Depth=1
	v_lshrrev_b32_e32 v9, 24, v18
	v_cmp_ne_u32_e64 s[0:1], s24, v9
	v_bfrev_b32_e32 v0, 1
	s_and_saveexec_b64 s[14:15], s[0:1]
	s_cbranch_execz .LBB290_272
; %bb.269:                              ;   in Loop: Header=BB290_175 Depth=1
	v_bfe_u32 v17, v18, 24, 7
	v_cmp_ne_u32_e64 s[0:1], s25, v17
	v_mov_b32_e32 v0, 0x7f800001
	s_and_saveexec_b64 s[16:17], s[0:1]
	s_cbranch_execz .LBB290_271
; %bb.270:                              ;   in Loop: Header=BB290_175 Depth=1
	v_and_b32_e32 v0, 7, v9
	v_ffbh_u32_e32 v18, v0
	v_min_u32_e32 v51, 32, v18
	v_subrev_u32_e32 v18, 28, v51
	v_lshlrev_b64 v[18:19], v18, v[9:10]
	v_lshrrev_b32_e32 v49, 3, v17
	v_sub_u32_e32 v19, 29, v51
	v_and_b32_e32 v18, 7, v18
	v_cmp_gt_u32_e64 s[0:1], 8, v17
	v_cndmask_b32_e64 v17, v49, v19, s[0:1]
	v_cndmask_b32_e64 v0, v0, v18, s[0:1]
	v_lshlrev_b32_e32 v9, 24, v9
	v_lshlrev_b32_e32 v0, 20, v0
	v_and_b32_e32 v9, 0x80000000, v9
	v_lshl_add_u32 v17, v17, 23, v28
	v_or3_b32 v0, v9, v17, v0
.LBB290_271:                            ;   in Loop: Header=BB290_175 Depth=1
	s_or_b64 exec, exec, s[16:17]
.LBB290_272:                            ;   in Loop: Header=BB290_175 Depth=1
	s_or_b64 exec, exec, s[14:15]
.LBB290_273:                            ;   in Loop: Header=BB290_175 Depth=1
	s_or_b64 exec, exec, s[12:13]
	v_mul_f32_e32 v9, s18, v48
	v_bfe_u32 v17, v9, 16, 1
	v_add3_u32 v17, v17, v9, s26
	v_or_b32_e32 v18, 0x400000, v9
	v_cmp_u_f32_e64 s[0:1], v9, v9
	v_cndmask_b32_e64 v9, v17, v18, s[0:1]
	v_lshrrev_b32_e32 v18, 16, v9
	v_mul_f32_e32 v9, s18, v20
	v_bfe_u32 v17, v9, 16, 1
	v_add3_u32 v17, v17, v9, s26
	v_or_b32_e32 v19, 0x400000, v9
	v_cmp_u_f32_e64 s[0:1], v9, v9
	v_cndmask_b32_e64 v9, v17, v19, s[0:1]
	v_lshrrev_b32_e32 v19, 16, v9
	;; [unrolled: 7-line block ×6, first 2 shown]
	v_mul_f32_e32 v9, s18, v50
	v_bfe_u32 v17, v9, 16, 1
	v_add3_u32 v17, v17, v9, s26
	v_or_b32_e32 v20, 0x400000, v9
	v_cmp_u_f32_e64 s[0:1], v9, v9
	v_cndmask_b32_e64 v9, v17, v20, s[0:1]
	v_mul_f32_e32 v0, s18, v0
	v_lshrrev_b32_e32 v44, 16, v9
	v_bfe_u32 v9, v0, 16, 1
	v_add3_u32 v9, v9, v0, s26
	v_or_b32_e32 v17, 0x400000, v0
	v_cmp_u_f32_e64 s[0:1], v0, v0
	v_cndmask_b32_e64 v0, v9, v17, s[0:1]
	v_lshrrev_b32_e32 v47, 16, v0
	s_and_saveexec_b64 s[12:13], vcc
	s_cbranch_execz .LBB290_275
; %bb.274:                              ;   in Loop: Header=BB290_175 Depth=1
	v_cmp_gt_i32_e64 s[0:1], s30, v37
	v_cndmask_b32_e64 v49, 0, v49, s[0:1]
	v_cmp_gt_i32_e64 s[0:1], s30, v43
	v_cndmask_b32_e64 v48, 0, v48, s[0:1]
	v_cmp_gt_i32_e64 s[0:1], s30, v42
	v_cndmask_b32_e64 v46, 0, v46, s[0:1]
	v_cmp_gt_i32_e64 s[0:1], s30, v41
	v_cndmask_b32_e64 v45, 0, v45, s[0:1]
	v_cmp_gt_i32_e64 s[0:1], s30, v40
	v_cndmask_b32_e64 v19, 0, v19, s[0:1]
	v_cmp_gt_i32_e64 s[0:1], s30, v39
	v_cndmask_b32_e64 v18, 0, v18, s[0:1]
	v_cmp_gt_i32_e64 s[0:1], s30, v38
	v_cndmask_b32_e64 v44, 0, v44, s[0:1]
	v_cmp_gt_i32_e64 s[0:1], s30, v26
	v_cndmask_b32_e64 v47, 0, v47, s[0:1]
.LBB290_275:                            ;   in Loop: Header=BB290_175 Depth=1
	s_or_b64 exec, exec, s[12:13]
	global_load_dwordx2 v[15:16], v[15:16], off offset:1024
	v_mov_b32_e32 v51, 0
	v_mov_b32_e32 v50, 0
	s_waitcnt vmcnt(0)
	v_cmp_ne_u16_sdwa s[0:1], v15, v10 src0_sel:BYTE_0 src1_sel:DWORD
	s_and_saveexec_b64 s[12:13], s[0:1]
	s_cbranch_execz .LBB290_281
; %bb.276:                              ;   in Loop: Header=BB290_175 Depth=1
	v_cmp_ne_u16_sdwa s[0:1], v15, s24 src0_sel:BYTE_0 src1_sel:DWORD
	v_bfrev_b32_e32 v50, 1
	s_and_saveexec_b64 s[14:15], s[0:1]
	s_cbranch_execz .LBB290_280
; %bb.277:                              ;   in Loop: Header=BB290_175 Depth=1
	v_and_b32_e32 v0, 0x7f, v15
	v_cmp_ne_u32_e64 s[0:1], s25, v0
	v_mov_b32_e32 v50, 0x7f800001
	s_and_saveexec_b64 s[16:17], s[0:1]
	s_cbranch_execz .LBB290_279
; %bb.278:                              ;   in Loop: Header=BB290_175 Depth=1
	v_and_b32_e32 v9, 7, v15
	v_ffbh_u32_e32 v9, v9
	v_min_u32_e32 v9, 32, v9
	v_lshrrev_b32_e32 v17, 3, v0
	v_subrev_u32_e32 v20, 28, v9
	v_sub_u32_e32 v9, 29, v9
	v_cmp_gt_u32_e64 s[0:1], 8, v0
	v_cndmask_b32_e64 v0, v17, v9, s[0:1]
	v_cndmask_b32_e64 v9, 0, v20, s[0:1]
	v_lshlrev_b64 v[52:53], v9, v[15:16]
	v_lshlrev_b32_e32 v17, 24, v15
	v_lshlrev_b32_e32 v9, 20, v52
	v_and_b32_e32 v9, 0x700000, v9
	v_and_b32_e32 v17, 0x80000000, v17
	v_lshl_add_u32 v0, v0, 23, v28
	v_or3_b32 v50, v17, v0, v9
.LBB290_279:                            ;   in Loop: Header=BB290_175 Depth=1
	s_or_b64 exec, exec, s[16:17]
.LBB290_280:                            ;   in Loop: Header=BB290_175 Depth=1
	s_or_b64 exec, exec, s[14:15]
.LBB290_281:                            ;   in Loop: Header=BB290_175 Depth=1
	s_or_b64 exec, exec, s[12:13]
	v_lshrrev_b16_e32 v9, 8, v15
	v_cmp_ne_u16_e64 s[0:1], 0, v9
	s_and_saveexec_b64 s[12:13], s[0:1]
	s_cbranch_execz .LBB290_287
; %bb.282:                              ;   in Loop: Header=BB290_175 Depth=1
	v_cmp_ne_u16_e64 s[0:1], s24, v9
	v_bfrev_b32_e32 v51, 1
	s_and_saveexec_b64 s[14:15], s[0:1]
	s_cbranch_execz .LBB290_286
; %bb.283:                              ;   in Loop: Header=BB290_175 Depth=1
	v_and_b32_e32 v0, 0x7f, v9
	v_cmp_ne_u32_e64 s[0:1], s25, v0
	v_mov_b32_e32 v51, 0x7f800001
	s_and_saveexec_b64 s[16:17], s[0:1]
	s_cbranch_execz .LBB290_285
; %bb.284:                              ;   in Loop: Header=BB290_175 Depth=1
	v_and_b32_e32 v17, 7, v9
	v_ffbh_u32_e32 v51, v17
	v_min_u32_e32 v53, 32, v51
	v_subrev_u32_e32 v51, 28, v53
	v_lshlrev_b64 v[51:52], v51, v[9:10]
	v_lshrrev_b32_e32 v20, 3, v0
	v_sub_u32_e32 v9, 29, v53
	v_and_b32_e32 v51, 7, v51
	v_cmp_gt_u32_e64 s[0:1], 8, v0
	v_cndmask_b32_e64 v0, v20, v9, s[0:1]
	v_cndmask_b32_e64 v9, v17, v51, s[0:1]
	v_lshlrev_b32_e32 v17, 16, v15
	v_lshlrev_b32_e32 v9, 20, v9
	v_and_b32_e32 v17, 0x80000000, v17
	v_lshl_add_u32 v0, v0, 23, v28
	v_or3_b32 v51, v17, v0, v9
.LBB290_285:                            ;   in Loop: Header=BB290_175 Depth=1
	s_or_b64 exec, exec, s[16:17]
.LBB290_286:                            ;   in Loop: Header=BB290_175 Depth=1
	s_or_b64 exec, exec, s[14:15]
.LBB290_287:                            ;   in Loop: Header=BB290_175 Depth=1
	s_or_b64 exec, exec, s[12:13]
	v_lshrrev_b32_e32 v9, 16, v15
	v_cmp_ne_u16_sdwa s[0:1], v9, v10 src0_sel:BYTE_0 src1_sel:DWORD
	v_mov_b32_e32 v53, 0
	v_mov_b32_e32 v52, 0
	s_and_saveexec_b64 s[12:13], s[0:1]
	s_cbranch_execz .LBB290_293
; %bb.288:                              ;   in Loop: Header=BB290_175 Depth=1
	v_cmp_ne_u16_sdwa s[0:1], v9, s24 src0_sel:BYTE_0 src1_sel:DWORD
	v_bfrev_b32_e32 v52, 1
	s_and_saveexec_b64 s[14:15], s[0:1]
	s_cbranch_execz .LBB290_292
; %bb.289:                              ;   in Loop: Header=BB290_175 Depth=1
	v_bfe_u32 v0, v15, 16, 7
	v_cmp_ne_u32_e64 s[0:1], s25, v0
	v_mov_b32_e32 v52, 0x7f800001
	s_and_saveexec_b64 s[16:17], s[0:1]
	s_cbranch_execz .LBB290_291
; %bb.290:                              ;   in Loop: Header=BB290_175 Depth=1
	v_and_b32_e32 v17, 7, v9
	v_ffbh_u32_e32 v52, v17
	v_min_u32_e32 v52, 32, v52
	v_subrev_u32_e32 v54, 28, v52
	v_lshlrev_b64 v[54:55], v54, v[9:10]
	v_lshrrev_b32_e32 v20, 3, v0
	v_sub_u32_e32 v52, 29, v52
	v_and_b32_e32 v54, 7, v54
	v_cmp_gt_u32_e64 s[0:1], 8, v0
	v_cndmask_b32_e64 v0, v20, v52, s[0:1]
	v_cndmask_b32_e64 v17, v17, v54, s[0:1]
	v_lshlrev_b32_e32 v9, 24, v9
	v_lshlrev_b32_e32 v17, 20, v17
	v_and_b32_e32 v9, 0x80000000, v9
	v_lshl_add_u32 v0, v0, 23, v28
	v_or3_b32 v52, v9, v0, v17
.LBB290_291:                            ;   in Loop: Header=BB290_175 Depth=1
	s_or_b64 exec, exec, s[16:17]
.LBB290_292:                            ;   in Loop: Header=BB290_175 Depth=1
	s_or_b64 exec, exec, s[14:15]
.LBB290_293:                            ;   in Loop: Header=BB290_175 Depth=1
	s_or_b64 exec, exec, s[12:13]
	v_cmp_lt_u32_e64 s[0:1], s5, v15
	s_and_saveexec_b64 s[12:13], s[0:1]
	s_cbranch_execz .LBB290_299
; %bb.294:                              ;   in Loop: Header=BB290_175 Depth=1
	v_lshrrev_b32_e32 v9, 24, v15
	v_cmp_ne_u32_e64 s[0:1], s24, v9
	v_bfrev_b32_e32 v53, 1
	s_and_saveexec_b64 s[14:15], s[0:1]
	s_cbranch_execz .LBB290_298
; %bb.295:                              ;   in Loop: Header=BB290_175 Depth=1
	v_bfe_u32 v0, v15, 24, 7
	v_cmp_ne_u32_e64 s[0:1], s25, v0
	v_mov_b32_e32 v53, 0x7f800001
	s_and_saveexec_b64 s[16:17], s[0:1]
	s_cbranch_execz .LBB290_297
; %bb.296:                              ;   in Loop: Header=BB290_175 Depth=1
	v_and_b32_e32 v17, 7, v9
	v_ffbh_u32_e32 v53, v17
	v_min_u32_e32 v55, 32, v53
	v_subrev_u32_e32 v53, 28, v55
	v_lshlrev_b64 v[53:54], v53, v[9:10]
	v_lshrrev_b32_e32 v20, 3, v0
	v_sub_u32_e32 v54, 29, v55
	v_and_b32_e32 v53, 7, v53
	v_cmp_gt_u32_e64 s[0:1], 8, v0
	v_cndmask_b32_e64 v0, v20, v54, s[0:1]
	v_cndmask_b32_e64 v17, v17, v53, s[0:1]
	v_lshlrev_b32_e32 v9, 24, v9
	v_lshlrev_b32_e32 v17, 20, v17
	v_and_b32_e32 v9, 0x80000000, v9
	v_lshl_add_u32 v0, v0, 23, v28
	v_or3_b32 v53, v9, v0, v17
.LBB290_297:                            ;   in Loop: Header=BB290_175 Depth=1
	s_or_b64 exec, exec, s[16:17]
.LBB290_298:                            ;   in Loop: Header=BB290_175 Depth=1
	s_or_b64 exec, exec, s[14:15]
.LBB290_299:                            ;   in Loop: Header=BB290_175 Depth=1
	s_or_b64 exec, exec, s[12:13]
	v_mov_b32_e32 v9, v16
	v_cmp_ne_u16_sdwa s[0:1], v16, v10 src0_sel:BYTE_0 src1_sel:DWORD
	v_mov_b32_e32 v54, 0
	v_mov_b32_e32 v20, 0
	s_and_saveexec_b64 s[12:13], s[0:1]
	s_cbranch_execz .LBB290_305
; %bb.300:                              ;   in Loop: Header=BB290_175 Depth=1
	v_cmp_ne_u16_sdwa s[0:1], v16, s24 src0_sel:BYTE_0 src1_sel:DWORD
	v_bfrev_b32_e32 v20, 1
	s_and_saveexec_b64 s[14:15], s[0:1]
	s_cbranch_execz .LBB290_304
; %bb.301:                              ;   in Loop: Header=BB290_175 Depth=1
	v_and_b32_e32 v0, 0x7f, v16
	v_cmp_ne_u32_e64 s[0:1], s25, v0
	v_mov_b32_e32 v20, 0x7f800001
	s_and_saveexec_b64 s[16:17], s[0:1]
	s_cbranch_execz .LBB290_303
; %bb.302:                              ;   in Loop: Header=BB290_175 Depth=1
	v_and_b32_e32 v17, 7, v16
	v_ffbh_u32_e32 v17, v17
	v_min_u32_e32 v17, 32, v17
	v_lshrrev_b32_e32 v20, 3, v0
	v_subrev_u32_e32 v55, 28, v17
	v_sub_u32_e32 v17, 29, v17
	v_cmp_gt_u32_e64 s[0:1], 8, v0
	v_cndmask_b32_e64 v0, v20, v17, s[0:1]
	v_cndmask_b32_e64 v17, 0, v55, s[0:1]
	v_lshlrev_b64 v[55:56], v17, v[9:10]
	v_lshlrev_b32_e32 v20, 24, v9
	v_lshlrev_b32_e32 v17, 20, v55
	v_and_b32_e32 v17, 0x700000, v17
	v_and_b32_e32 v20, 0x80000000, v20
	v_lshl_add_u32 v0, v0, 23, v28
	v_or3_b32 v20, v20, v0, v17
.LBB290_303:                            ;   in Loop: Header=BB290_175 Depth=1
	s_or_b64 exec, exec, s[16:17]
.LBB290_304:                            ;   in Loop: Header=BB290_175 Depth=1
	s_or_b64 exec, exec, s[14:15]
.LBB290_305:                            ;   in Loop: Header=BB290_175 Depth=1
	s_or_b64 exec, exec, s[12:13]
	v_lshrrev_b16_e32 v17, 8, v9
	v_cmp_ne_u16_e64 s[0:1], 0, v17
	s_and_saveexec_b64 s[12:13], s[0:1]
	s_cbranch_execz .LBB290_311
; %bb.306:                              ;   in Loop: Header=BB290_175 Depth=1
	v_cmp_ne_u16_e64 s[0:1], s24, v17
	v_bfrev_b32_e32 v54, 1
	s_and_saveexec_b64 s[14:15], s[0:1]
	s_cbranch_execz .LBB290_310
; %bb.307:                              ;   in Loop: Header=BB290_175 Depth=1
	v_and_b32_e32 v0, 0x7f, v17
	v_cmp_ne_u32_e64 s[0:1], s25, v0
	v_mov_b32_e32 v54, 0x7f800001
	s_and_saveexec_b64 s[16:17], s[0:1]
	s_cbranch_execz .LBB290_309
; %bb.308:                              ;   in Loop: Header=BB290_175 Depth=1
	v_and_b32_e32 v56, 7, v17
	v_ffbh_u32_e32 v54, v56
	v_min_u32_e32 v58, 32, v54
	v_subrev_u32_e32 v54, 28, v58
	v_lshlrev_b64 v[54:55], v54, v[17:18]
	v_lshrrev_b32_e32 v57, 3, v0
	v_sub_u32_e32 v17, 29, v58
	v_and_b32_e32 v54, 7, v54
	v_cmp_gt_u32_e64 s[0:1], 8, v0
	v_cndmask_b32_e64 v0, v57, v17, s[0:1]
	v_cndmask_b32_e64 v17, v56, v54, s[0:1]
	v_lshlrev_b32_e32 v9, 16, v9
	v_lshlrev_b32_e32 v17, 20, v17
	v_and_b32_e32 v9, 0x80000000, v9
	v_lshl_add_u32 v0, v0, 23, v28
	v_or3_b32 v54, v9, v0, v17
.LBB290_309:                            ;   in Loop: Header=BB290_175 Depth=1
	s_or_b64 exec, exec, s[16:17]
.LBB290_310:                            ;   in Loop: Header=BB290_175 Depth=1
	s_or_b64 exec, exec, s[14:15]
.LBB290_311:                            ;   in Loop: Header=BB290_175 Depth=1
	s_or_b64 exec, exec, s[12:13]
	v_lshrrev_b32_e32 v9, 16, v16
	v_cmp_ne_u16_sdwa s[0:1], v9, v10 src0_sel:BYTE_0 src1_sel:DWORD
	v_mov_b32_e32 v0, 0
	v_mov_b32_e32 v17, 0
	s_and_saveexec_b64 s[12:13], s[0:1]
	s_cbranch_execz .LBB290_317
; %bb.312:                              ;   in Loop: Header=BB290_175 Depth=1
	v_cmp_ne_u16_sdwa s[0:1], v9, s24 src0_sel:BYTE_0 src1_sel:DWORD
	v_bfrev_b32_e32 v17, 1
	s_and_saveexec_b64 s[14:15], s[0:1]
	s_cbranch_execz .LBB290_316
; %bb.313:                              ;   in Loop: Header=BB290_175 Depth=1
	v_bfe_u32 v55, v16, 16, 7
	v_cmp_ne_u32_e64 s[0:1], s25, v55
	v_mov_b32_e32 v17, 0x7f800001
	s_and_saveexec_b64 s[16:17], s[0:1]
	s_cbranch_execz .LBB290_315
; %bb.314:                              ;   in Loop: Header=BB290_175 Depth=1
	v_and_b32_e32 v17, 7, v9
	v_ffbh_u32_e32 v56, v17
	v_min_u32_e32 v59, 32, v56
	v_subrev_u32_e32 v56, 28, v59
	v_lshlrev_b64 v[56:57], v56, v[9:10]
	v_lshrrev_b32_e32 v58, 3, v55
	v_sub_u32_e32 v57, 29, v59
	v_and_b32_e32 v56, 7, v56
	v_cmp_gt_u32_e64 s[0:1], 8, v55
	v_cndmask_b32_e64 v55, v58, v57, s[0:1]
	v_cndmask_b32_e64 v17, v17, v56, s[0:1]
	v_lshlrev_b32_e32 v9, 24, v9
	v_lshlrev_b32_e32 v17, 20, v17
	v_and_b32_e32 v9, 0x80000000, v9
	v_lshl_add_u32 v55, v55, 23, v28
	v_or3_b32 v17, v9, v55, v17
.LBB290_315:                            ;   in Loop: Header=BB290_175 Depth=1
	s_or_b64 exec, exec, s[16:17]
.LBB290_316:                            ;   in Loop: Header=BB290_175 Depth=1
	s_or_b64 exec, exec, s[14:15]
.LBB290_317:                            ;   in Loop: Header=BB290_175 Depth=1
	s_or_b64 exec, exec, s[12:13]
	v_cmp_lt_u64_e64 s[0:1], s[4:5], v[15:16]
	s_and_saveexec_b64 s[12:13], s[0:1]
	s_cbranch_execz .LBB290_323
; %bb.318:                              ;   in Loop: Header=BB290_175 Depth=1
	v_lshrrev_b32_e32 v9, 24, v16
	v_cmp_ne_u32_e64 s[0:1], s24, v9
	v_bfrev_b32_e32 v0, 1
	s_and_saveexec_b64 s[14:15], s[0:1]
	s_cbranch_execz .LBB290_322
; %bb.319:                              ;   in Loop: Header=BB290_175 Depth=1
	v_bfe_u32 v15, v16, 24, 7
	v_cmp_ne_u32_e64 s[0:1], s25, v15
	v_mov_b32_e32 v0, 0x7f800001
	s_and_saveexec_b64 s[16:17], s[0:1]
	s_cbranch_execz .LBB290_321
; %bb.320:                              ;   in Loop: Header=BB290_175 Depth=1
	v_and_b32_e32 v0, 7, v9
	v_ffbh_u32_e32 v55, v0
	v_min_u32_e32 v57, 32, v55
	v_subrev_u32_e32 v55, 28, v57
	v_lshlrev_b64 v[55:56], v55, v[9:10]
	v_lshrrev_b32_e32 v16, 3, v15
	v_sub_u32_e32 v56, 29, v57
	v_and_b32_e32 v55, 7, v55
	v_cmp_gt_u32_e64 s[0:1], 8, v15
	v_cndmask_b32_e64 v15, v16, v56, s[0:1]
	v_cndmask_b32_e64 v0, v0, v55, s[0:1]
	v_lshlrev_b32_e32 v9, 24, v9
	v_lshlrev_b32_e32 v0, 20, v0
	v_and_b32_e32 v9, 0x80000000, v9
	v_lshl_add_u32 v15, v15, 23, v28
	v_or3_b32 v0, v9, v15, v0
.LBB290_321:                            ;   in Loop: Header=BB290_175 Depth=1
	s_or_b64 exec, exec, s[16:17]
.LBB290_322:                            ;   in Loop: Header=BB290_175 Depth=1
	s_or_b64 exec, exec, s[14:15]
.LBB290_323:                            ;   in Loop: Header=BB290_175 Depth=1
	s_or_b64 exec, exec, s[12:13]
	v_mul_f32_e32 v9, s18, v54
	v_bfe_u32 v15, v9, 16, 1
	v_add3_u32 v15, v15, v9, s26
	v_or_b32_e32 v16, 0x400000, v9
	v_cmp_u_f32_e64 s[0:1], v9, v9
	v_cndmask_b32_e64 v9, v15, v16, s[0:1]
	v_mul_f32_e32 v15, s18, v20
	v_bfe_u32 v16, v15, 16, 1
	v_add3_u32 v16, v16, v15, s26
	v_or_b32_e32 v20, 0x400000, v15
	v_cmp_u_f32_e64 s[0:1], v15, v15
	v_cndmask_b32_e64 v15, v16, v20, s[0:1]
	;; [unrolled: 6-line block ×4, first 2 shown]
	v_lshrrev_b32_e32 v52, 16, v20
	v_mul_f32_e32 v20, s18, v51
	v_bfe_u32 v51, v20, 16, 1
	v_add3_u32 v51, v51, v20, s26
	v_or_b32_e32 v53, 0x400000, v20
	v_cmp_u_f32_e64 s[0:1], v20, v20
	v_cndmask_b32_e64 v20, v51, v53, s[0:1]
	v_lshrrev_b32_e32 v51, 16, v20
	v_mul_f32_e32 v20, s18, v50
	v_bfe_u32 v50, v20, 16, 1
	v_add3_u32 v50, v50, v20, s26
	v_or_b32_e32 v53, 0x400000, v20
	v_cmp_u_f32_e64 s[0:1], v20, v20
	v_cndmask_b32_e64 v20, v50, v53, s[0:1]
	v_mul_f32_e32 v17, s18, v17
	v_lshrrev_b32_e32 v50, 16, v20
	v_bfe_u32 v20, v17, 16, 1
	v_add3_u32 v20, v20, v17, s26
	v_or_b32_e32 v53, 0x400000, v17
	v_cmp_u_f32_e64 s[0:1], v17, v17
	v_mul_f32_e32 v0, s18, v0
	v_cndmask_b32_e64 v17, v20, v53, s[0:1]
	v_bfe_u32 v20, v0, 16, 1
	v_add3_u32 v20, v20, v0, s26
	v_or_b32_e32 v53, 0x400000, v0
	v_cmp_u_f32_e64 s[0:1], v0, v0
	v_cndmask_b32_e64 v0, v20, v53, s[0:1]
	v_lshrrev_b32_e32 v9, 16, v9
	v_lshrrev_b32_e32 v15, 16, v15
	;; [unrolled: 1-line block ×5, first 2 shown]
	s_and_saveexec_b64 s[0:1], vcc
	s_cbranch_execz .LBB290_174
; %bb.324:                              ;   in Loop: Header=BB290_175 Depth=1
	v_cmp_gt_i32_e32 vcc, s30, v37
	v_cndmask_b32_e32 v50, 0, v50, vcc
	v_cmp_gt_i32_e32 vcc, s30, v43
	v_cndmask_b32_e32 v51, 0, v51, vcc
	;; [unrolled: 2-line block ×8, first 2 shown]
	s_branch .LBB290_174
.LBB290_325:
	s_or_b64 exec, exec, s[6:7]
	v_mov_b32_e32 v12, v60
.LBB290_326:
	s_or_b64 exec, exec, s[2:3]
	v_and_b32_e32 v0, 0x3c0, v12
	v_cmp_eq_u32_e32 vcc, 64, v0
	s_barrier
	s_and_saveexec_b64 s[0:1], vcc
	s_cbranch_execz .LBB290_328
; %bb.327:
	v_mov_b32_e32 v0, 0x190
	v_lshl_add_u32 v0, v22, 2, v0
	ds_write2st64_b32 v0, v25, v24 offset1:1
	ds_write_b32 v0, v23 offset:512
.LBB290_328:
	s_or_b64 exec, exec, s[0:1]
	v_cmp_gt_u32_e32 vcc, 64, v12
	s_waitcnt lgkmcnt(0)
	s_barrier
	s_and_saveexec_b64 s[0:1], vcc
	s_cbranch_execz .LBB290_330
; %bb.329:
	v_mov_b32_e32 v0, 0x190
	v_lshl_add_u32 v2, v12, 2, v0
	ds_read2st64_b32 v[0:1], v2 offset1:1
	ds_read_b32 v2, v2 offset:512
	s_waitcnt lgkmcnt(1)
	v_add_f32_e32 v25, v25, v0
	v_add_f32_e32 v24, v24, v1
	s_waitcnt lgkmcnt(0)
	v_add_f32_e32 v23, v23, v2
.LBB290_330:
	s_or_b64 exec, exec, s[0:1]
	s_barrier
	s_and_saveexec_b64 s[0:1], vcc
	s_cbranch_execz .LBB290_332
; %bb.331:
	buffer_load_dword v2, off, s[44:47], 0 offset:20 ; 4-byte Folded Reload
	s_mul_i32 s0, s10, s11
	s_mul_i32 s0, s0, s9
	s_mulk_i32 s0, 0xc0
	s_ashr_i32 s1, s0, 31
	s_lshl_b64 s[0:1], s[0:1], 1
	s_add_u32 s2, s22, s0
	s_mul_i32 s0, s11, s20
	s_addc_u32 s3, s23, s1
	s_ashr_i32 s1, s0, 31
	s_lshl_b64 s[0:1], s[0:1], 1
	s_add_u32 s2, s2, s0
	s_mul_i32 s0, s8, 0xc0
	s_addc_u32 s3, s3, s1
	s_ashr_i32 s1, s0, 31
	s_lshl_b64 s[0:1], s[0:1], 1
	s_add_u32 s0, s2, s0
	v_bfe_u32 v0, v25, 16, 1
	s_movk_i32 s2, 0x7fff
	v_add3_u32 v0, v0, v25, s2
	v_or_b32_e32 v1, 0x400000, v25
	v_cmp_u_f32_e32 vcc, v25, v25
	s_addc_u32 s1, s3, s1
	v_cndmask_b32_e32 v0, v0, v1, vcc
	v_or_b32_e32 v1, 0x400000, v24
	v_cmp_u_f32_e32 vcc, v24, v24
	s_waitcnt vmcnt(0)
	global_store_short_d16_hi v2, v0, s[0:1]
	v_bfe_u32 v0, v24, 16, 1
	v_add3_u32 v0, v0, v24, s2
	v_cndmask_b32_e32 v0, v0, v1, vcc
	global_store_short_d16_hi v2, v0, s[0:1] offset:128
	v_bfe_u32 v0, v23, 16, 1
	v_add3_u32 v0, v0, v23, s2
	v_or_b32_e32 v1, 0x400000, v23
	v_cmp_u_f32_e32 vcc, v23, v23
	v_cndmask_b32_e32 v0, v0, v1, vcc
	global_store_short_d16_hi v2, v0, s[0:1] offset:256
.LBB290_332:
	s_endpgm
	.section	.rodata,"a",@progbits
	.p2align	6, 0x0
	.amdhsa_kernel _ZN4vllm25paged_attention_v1_kernelI14__hip_bfloat16hLi192ELi8ELi128ELNS_18Fp8KVCacheDataTypeE1ELb0EEEvPT_PKS3_PKT0_S9_ifPKiSB_iPKfiiiSD_SD_iiiii
		.amdhsa_group_segment_fixed_size 400
		.amdhsa_private_segment_fixed_size 36
		.amdhsa_kernarg_size 384
		.amdhsa_user_sgpr_count 6
		.amdhsa_user_sgpr_private_segment_buffer 1
		.amdhsa_user_sgpr_dispatch_ptr 0
		.amdhsa_user_sgpr_queue_ptr 0
		.amdhsa_user_sgpr_kernarg_segment_ptr 1
		.amdhsa_user_sgpr_dispatch_id 0
		.amdhsa_user_sgpr_flat_scratch_init 0
		.amdhsa_user_sgpr_private_segment_size 0
		.amdhsa_uses_dynamic_stack 0
		.amdhsa_system_sgpr_private_segment_wavefront_offset 1
		.amdhsa_system_sgpr_workgroup_id_x 1
		.amdhsa_system_sgpr_workgroup_id_y 1
		.amdhsa_system_sgpr_workgroup_id_z 1
		.amdhsa_system_sgpr_workgroup_info 0
		.amdhsa_system_vgpr_workitem_id 0
		.amdhsa_next_free_vgpr 64
		.amdhsa_next_free_sgpr 48
		.amdhsa_reserve_vcc 1
		.amdhsa_reserve_flat_scratch 0
		.amdhsa_float_round_mode_32 0
		.amdhsa_float_round_mode_16_64 0
		.amdhsa_float_denorm_mode_32 3
		.amdhsa_float_denorm_mode_16_64 3
		.amdhsa_dx10_clamp 1
		.amdhsa_ieee_mode 1
		.amdhsa_fp16_overflow 0
		.amdhsa_exception_fp_ieee_invalid_op 0
		.amdhsa_exception_fp_denorm_src 0
		.amdhsa_exception_fp_ieee_div_zero 0
		.amdhsa_exception_fp_ieee_overflow 0
		.amdhsa_exception_fp_ieee_underflow 0
		.amdhsa_exception_fp_ieee_inexact 0
		.amdhsa_exception_int_div_zero 0
	.end_amdhsa_kernel
	.section	.text._ZN4vllm25paged_attention_v1_kernelI14__hip_bfloat16hLi192ELi8ELi128ELNS_18Fp8KVCacheDataTypeE1ELb0EEEvPT_PKS3_PKT0_S9_ifPKiSB_iPKfiiiSD_SD_iiiii,"axG",@progbits,_ZN4vllm25paged_attention_v1_kernelI14__hip_bfloat16hLi192ELi8ELi128ELNS_18Fp8KVCacheDataTypeE1ELb0EEEvPT_PKS3_PKT0_S9_ifPKiSB_iPKfiiiSD_SD_iiiii,comdat
.Lfunc_end290:
	.size	_ZN4vllm25paged_attention_v1_kernelI14__hip_bfloat16hLi192ELi8ELi128ELNS_18Fp8KVCacheDataTypeE1ELb0EEEvPT_PKS3_PKT0_S9_ifPKiSB_iPKfiiiSD_SD_iiiii, .Lfunc_end290-_ZN4vllm25paged_attention_v1_kernelI14__hip_bfloat16hLi192ELi8ELi128ELNS_18Fp8KVCacheDataTypeE1ELb0EEEvPT_PKS3_PKT0_S9_ifPKiSB_iPKfiiiSD_SD_iiiii
                                        ; -- End function
	.set _ZN4vllm25paged_attention_v1_kernelI14__hip_bfloat16hLi192ELi8ELi128ELNS_18Fp8KVCacheDataTypeE1ELb0EEEvPT_PKS3_PKT0_S9_ifPKiSB_iPKfiiiSD_SD_iiiii.num_vgpr, 64
	.set _ZN4vllm25paged_attention_v1_kernelI14__hip_bfloat16hLi192ELi8ELi128ELNS_18Fp8KVCacheDataTypeE1ELb0EEEvPT_PKS3_PKT0_S9_ifPKiSB_iPKfiiiSD_SD_iiiii.num_agpr, 0
	.set _ZN4vllm25paged_attention_v1_kernelI14__hip_bfloat16hLi192ELi8ELi128ELNS_18Fp8KVCacheDataTypeE1ELb0EEEvPT_PKS3_PKT0_S9_ifPKiSB_iPKfiiiSD_SD_iiiii.numbered_sgpr, 48
	.set _ZN4vllm25paged_attention_v1_kernelI14__hip_bfloat16hLi192ELi8ELi128ELNS_18Fp8KVCacheDataTypeE1ELb0EEEvPT_PKS3_PKT0_S9_ifPKiSB_iPKfiiiSD_SD_iiiii.num_named_barrier, 0
	.set _ZN4vllm25paged_attention_v1_kernelI14__hip_bfloat16hLi192ELi8ELi128ELNS_18Fp8KVCacheDataTypeE1ELb0EEEvPT_PKS3_PKT0_S9_ifPKiSB_iPKfiiiSD_SD_iiiii.private_seg_size, 36
	.set _ZN4vllm25paged_attention_v1_kernelI14__hip_bfloat16hLi192ELi8ELi128ELNS_18Fp8KVCacheDataTypeE1ELb0EEEvPT_PKS3_PKT0_S9_ifPKiSB_iPKfiiiSD_SD_iiiii.uses_vcc, 1
	.set _ZN4vllm25paged_attention_v1_kernelI14__hip_bfloat16hLi192ELi8ELi128ELNS_18Fp8KVCacheDataTypeE1ELb0EEEvPT_PKS3_PKT0_S9_ifPKiSB_iPKfiiiSD_SD_iiiii.uses_flat_scratch, 0
	.set _ZN4vllm25paged_attention_v1_kernelI14__hip_bfloat16hLi192ELi8ELi128ELNS_18Fp8KVCacheDataTypeE1ELb0EEEvPT_PKS3_PKT0_S9_ifPKiSB_iPKfiiiSD_SD_iiiii.has_dyn_sized_stack, 0
	.set _ZN4vllm25paged_attention_v1_kernelI14__hip_bfloat16hLi192ELi8ELi128ELNS_18Fp8KVCacheDataTypeE1ELb0EEEvPT_PKS3_PKT0_S9_ifPKiSB_iPKfiiiSD_SD_iiiii.has_recursion, 0
	.set _ZN4vllm25paged_attention_v1_kernelI14__hip_bfloat16hLi192ELi8ELi128ELNS_18Fp8KVCacheDataTypeE1ELb0EEEvPT_PKS3_PKT0_S9_ifPKiSB_iPKfiiiSD_SD_iiiii.has_indirect_call, 0
	.section	.AMDGPU.csdata,"",@progbits
; Kernel info:
; codeLenInByte = 16300
; TotalNumSgprs: 52
; NumVgprs: 64
; ScratchSize: 36
; MemoryBound: 0
; FloatMode: 240
; IeeeMode: 1
; LDSByteSize: 400 bytes/workgroup (compile time only)
; SGPRBlocks: 6
; VGPRBlocks: 15
; NumSGPRsForWavesPerEU: 52
; NumVGPRsForWavesPerEU: 64
; Occupancy: 4
; WaveLimiterHint : 1
; COMPUTE_PGM_RSRC2:SCRATCH_EN: 1
; COMPUTE_PGM_RSRC2:USER_SGPR: 6
; COMPUTE_PGM_RSRC2:TRAP_HANDLER: 0
; COMPUTE_PGM_RSRC2:TGID_X_EN: 1
; COMPUTE_PGM_RSRC2:TGID_Y_EN: 1
; COMPUTE_PGM_RSRC2:TGID_Z_EN: 1
; COMPUTE_PGM_RSRC2:TIDIG_COMP_CNT: 0
	.section	.text._ZN4vllm25paged_attention_v1_kernelI14__hip_bfloat16hLi256ELi8ELi128ELNS_18Fp8KVCacheDataTypeE1ELb0EEEvPT_PKS3_PKT0_S9_ifPKiSB_iPKfiiiSD_SD_iiiii,"axG",@progbits,_ZN4vllm25paged_attention_v1_kernelI14__hip_bfloat16hLi256ELi8ELi128ELNS_18Fp8KVCacheDataTypeE1ELb0EEEvPT_PKS3_PKT0_S9_ifPKiSB_iPKfiiiSD_SD_iiiii,comdat
	.protected	_ZN4vllm25paged_attention_v1_kernelI14__hip_bfloat16hLi256ELi8ELi128ELNS_18Fp8KVCacheDataTypeE1ELb0EEEvPT_PKS3_PKT0_S9_ifPKiSB_iPKfiiiSD_SD_iiiii ; -- Begin function _ZN4vllm25paged_attention_v1_kernelI14__hip_bfloat16hLi256ELi8ELi128ELNS_18Fp8KVCacheDataTypeE1ELb0EEEvPT_PKS3_PKT0_S9_ifPKiSB_iPKfiiiSD_SD_iiiii
	.globl	_ZN4vllm25paged_attention_v1_kernelI14__hip_bfloat16hLi256ELi8ELi128ELNS_18Fp8KVCacheDataTypeE1ELb0EEEvPT_PKS3_PKT0_S9_ifPKiSB_iPKfiiiSD_SD_iiiii
	.p2align	8
	.type	_ZN4vllm25paged_attention_v1_kernelI14__hip_bfloat16hLi256ELi8ELi128ELNS_18Fp8KVCacheDataTypeE1ELb0EEEvPT_PKS3_PKT0_S9_ifPKiSB_iPKfiiiSD_SD_iiiii,@function
_ZN4vllm25paged_attention_v1_kernelI14__hip_bfloat16hLi256ELi8ELi128ELNS_18Fp8KVCacheDataTypeE1ELb0EEEvPT_PKS3_PKT0_S9_ifPKiSB_iPKfiiiSD_SD_iiiii: ; @_ZN4vllm25paged_attention_v1_kernelI14__hip_bfloat16hLi256ELi8ELi128ELNS_18Fp8KVCacheDataTypeE1ELb0EEEvPT_PKS3_PKT0_S9_ifPKiSB_iPKfiiiSD_SD_iiiii
; %bb.0:
	s_mov_b64 s[46:47], s[2:3]
	s_mov_b64 s[44:45], s[0:1]
	s_add_u32 s44, s44, s9
	s_load_dword s9, s[4:5], 0x80
	s_load_dwordx2 s[0:1], s[4:5], 0x30
	s_load_dwordx2 s[30:31], s[4:5], 0x20
	s_addc_u32 s45, s45, 0
	s_mov_b32 s10, s7
	s_ashr_i32 s11, s7, 31
	s_lshl_b64 s[2:3], s[10:11], 2
	s_waitcnt lgkmcnt(0)
	s_add_u32 s0, s0, s2
	s_addc_u32 s1, s1, s3
	s_abs_i32 s2, s30
	v_cvt_f32_u32_e32 v1, s2
	s_sub_i32 s11, 0, s2
	s_abs_i32 s7, s9
	s_xor_b32 s3, s9, s30
	v_rcp_iflag_f32_e32 v1, v1
	s_ashr_i32 s3, s3, 31
	s_mov_b32 s33, 0
	v_mul_f32_e32 v1, 0x4f7ffffe, v1
	v_cvt_u32_f32_e32 v1, v1
	v_readfirstlane_b32 s12, v1
	s_mul_i32 s11, s11, s12
	s_mul_hi_u32 s11, s12, s11
	s_add_i32 s12, s12, s11
	s_mul_hi_u32 s11, s7, s12
	s_mul_i32 s12, s11, s2
	s_sub_i32 s7, s7, s12
	s_add_i32 s12, s11, 1
	s_sub_i32 s13, s7, s2
	s_cmp_ge_u32 s7, s2
	s_cselect_b32 s11, s12, s11
	s_cselect_b32 s7, s13, s7
	s_add_i32 s12, s11, 1
	s_cmp_ge_u32 s7, s2
	s_cselect_b32 s2, s12, s11
	s_xor_b32 s2, s2, s3
	s_sub_i32 s11, s2, s3
	s_abs_i32 s16, s11
	v_cvt_f32_u32_e32 v1, s16
	s_load_dwordx2 s[2:3], s[4:5], 0x40
	s_sub_i32 s7, 0, s16
	s_abs_i32 s17, s6
	v_rcp_iflag_f32_e32 v1, v1
	v_mul_f32_e32 v1, 0x4f7ffffe, v1
	v_cvt_u32_f32_e32 v1, v1
	v_readfirstlane_b32 s12, v1
	s_mul_i32 s7, s7, s12
	s_mul_hi_u32 s7, s12, s7
	s_add_i32 s12, s12, s7
	s_waitcnt lgkmcnt(0)
	s_cmp_eq_u64 s[2:3], 0
	s_mul_hi_u32 s18, s17, s12
	s_cbranch_scc1 .LBB291_2
; %bb.1:
	s_ashr_i32 s7, s6, 31
	s_lshl_b64 s[12:13], s[6:7], 2
	s_add_u32 s2, s2, s12
	s_addc_u32 s3, s3, s13
	s_load_dword s33, s[2:3], 0x0
.LBB291_2:
	s_load_dword s30, s[0:1], 0x0
	s_ashr_i32 s19, s11, 31
	s_load_dword s11, s[4:5], 0x88
	s_load_dwordx4 s[12:15], s[4:5], 0x48
	s_movk_i32 s0, 0x100
	s_ashr_i32 s7, s6, 31
	v_and_b32_e32 v11, 7, v0
	s_lshl_b32 s20, s6, 8
	v_cmp_gt_u32_e32 vcc, s0, v0
	v_lshlrev_b32_e32 v1, 1, v0
	buffer_store_dword v1, off, s[44:47], 0 offset:92 ; 4-byte Folded Spill
	s_and_saveexec_b64 s[0:1], vcc
	s_cbranch_execz .LBB291_5
; %bb.3:
	s_load_dwordx2 s[2:3], s[4:5], 0x8
	s_waitcnt lgkmcnt(0)
	s_mul_i32 s22, s12, s10
	s_ashr_i32 s23, s22, 31
	s_lshl_b64 s[22:23], s[22:23], 1
	v_lshlrev_b32_e32 v1, 1, v0
	s_add_u32 s6, s2, s22
	s_addc_u32 s12, s3, s23
	s_ashr_i32 s21, s20, 31
	s_lshl_b64 s[2:3], s[20:21], 1
	s_add_u32 s2, s6, s2
	s_addc_u32 s3, s12, s3
	global_load_ushort v3, v1, s[2:3]
	v_lshrrev_b32_e32 v2, 3, v0
	s_movk_i32 s6, 0x80
	v_lshlrev_b32_e32 v1, 1, v2
	v_lshl_add_u32 v1, v11, 6, v1
	v_cmp_gt_u32_e32 vcc, s6, v0
	s_waitcnt vmcnt(0)
	ds_write_b16 v1, v3
	s_and_b64 exec, exec, vcc
	s_cbranch_execz .LBB291_5
; %bb.4:
	v_lshlrev_b32_e32 v2, 4, v2
	v_lshlrev_b32_e32 v3, 1, v11
	s_movk_i32 s6, 0x100
	v_or3_b32 v2, v2, v3, s6
	global_load_ushort v2, v2, s[2:3]
	s_waitcnt vmcnt(0)
	ds_write_b16 v1, v2 offset:32
.LBB291_5:
	s_or_b64 exec, exec, s[0:1]
	s_waitcnt lgkmcnt(0)
	s_add_i32 s1, s30, 7
	s_ashr_i32 s2, s1, 31
	s_lshr_b32 s2, s2, 29
	s_add_i32 s1, s1, s2
	s_mul_i32 s2, s18, s16
	s_sub_i32 s2, s17, s2
	s_ashr_i32 s21, s1, 3
	s_xor_b32 s1, s7, s19
	s_add_i32 s3, s18, 1
	s_sub_i32 s6, s2, s16
	s_load_dwordx2 s[24:25], s[4:5], 0x28
	s_load_dword s0, s[4:5], 0x38
	s_cmp_ge_u32 s2, s16
	s_cselect_b32 s3, s3, s18
	s_cselect_b32 s2, s6, s2
	s_add_i32 s6, s3, 1
	s_cmp_ge_u32 s2, s16
	s_cselect_b32 s2, s6, s3
	v_lshrrev_b32_e32 v21, 6, v0
	s_xor_b32 s2, s2, s1
	s_waitcnt lgkmcnt(0)
	s_mul_i32 s26, s0, s10
	s_sub_i32 s12, s2, s1
	s_ashr_i32 s27, s26, 31
	v_cmp_gt_i32_e64 s[0:1], s21, v21
	v_cmp_le_i32_e32 vcc, s21, v21
	v_mbcnt_lo_u32_b32 v5, -1, 0
	buffer_store_dword v0, off, s[44:47], 0 offset:88 ; 4-byte Folded Spill
	s_waitcnt vmcnt(0)
	s_barrier
                                        ; implicit-def: $vgpr9
                                        ; implicit-def: $vgpr8
                                        ; implicit-def: $vgpr14
	s_and_saveexec_b64 s[2:3], vcc
	s_xor_b64 s[2:3], exec, s[2:3]
; %bb.6:
	v_mbcnt_hi_u32_b32 v9, -1, v5
	v_and_b32_e32 v8, 64, v9
	v_add_u32_e32 v14, 64, v8
                                        ; implicit-def: $vgpr11
                                        ; implicit-def: $vgpr5
; %bb.7:
	s_or_saveexec_b64 s[6:7], s[2:3]
	s_load_dwordx2 s[22:23], s[4:5], 0x0
	s_load_dwordx2 s[28:29], s[4:5], 0x18
	s_load_dwordx4 s[16:19], s[4:5], 0x58
	buffer_load_dword v0, off, s[44:47], 0 offset:88 ; 4-byte Folded Reload
	v_mov_b32_e32 v46, 0xff7fffff
	s_mul_i32 s12, s12, s14
	s_waitcnt vmcnt(0)
	v_lshrrev_b32_e32 v13, 4, v0
	s_xor_b64 exec, exec, s[6:7]
	s_cbranch_execz .LBB291_205
; %bb.8:
	v_lshlrev_b32_e32 v10, 6, v11
	ds_read_b128 v[1:4], v10
	ds_read_b128 v[6:9], v10 offset:16
	s_load_dwordx2 s[2:3], s[4:5], 0x10
	s_ashr_i32 s4, s12, 31
	s_waitcnt lgkmcnt(0)
	s_load_dword s40, s[16:17], 0x0
	v_lshlrev_b32_e32 v0, 16, v1
	buffer_store_dword v0, off, s[44:47], 0 ; 4-byte Folded Spill
	v_and_b32_e32 v0, 0xffff0000, v1
	buffer_store_dword v0, off, s[44:47], 0 offset:8 ; 4-byte Folded Spill
	v_lshlrev_b32_e32 v0, 16, v2
	buffer_store_dword v0, off, s[44:47], 0 offset:12 ; 4-byte Folded Spill
	v_and_b32_e32 v0, 0xffff0000, v2
	buffer_store_dword v0, off, s[44:47], 0 offset:16 ; 4-byte Folded Spill
	v_lshlrev_b32_e32 v0, 16, v3
	buffer_store_dword v0, off, s[44:47], 0 offset:20 ; 4-byte Folded Spill
	v_and_b32_e32 v0, 0xffff0000, v3
	buffer_store_dword v0, off, s[44:47], 0 offset:24 ; 4-byte Folded Spill
	v_lshlrev_b32_e32 v0, 16, v4
	buffer_store_dword v0, off, s[44:47], 0 offset:28 ; 4-byte Folded Spill
	v_and_b32_e32 v0, 0xffff0000, v4
	buffer_store_dword v0, off, s[44:47], 0 offset:32 ; 4-byte Folded Spill
	v_lshlrev_b32_e32 v0, 16, v6
	buffer_store_dword v0, off, s[44:47], 0 offset:36 ; 4-byte Folded Spill
	v_and_b32_e32 v0, 0xffff0000, v6
	buffer_store_dword v0, off, s[44:47], 0 offset:40 ; 4-byte Folded Spill
	v_lshlrev_b32_e32 v0, 16, v7
	buffer_store_dword v0, off, s[44:47], 0 offset:44 ; 4-byte Folded Spill
	v_and_b32_e32 v0, 0xffff0000, v7
	ds_read_b128 v[1:4], v10 offset:32
	buffer_store_dword v0, off, s[44:47], 0 offset:48 ; 4-byte Folded Spill
	v_lshlrev_b32_e32 v0, 16, v8
	buffer_store_dword v0, off, s[44:47], 0 offset:52 ; 4-byte Folded Spill
	v_and_b32_e32 v0, 0xffff0000, v8
	buffer_store_dword v0, off, s[44:47], 0 offset:56 ; 4-byte Folded Spill
	v_lshlrev_b32_e32 v0, 16, v9
	buffer_store_dword v0, off, s[44:47], 0 offset:60 ; 4-byte Folded Spill
	v_and_b32_e32 v0, 0xffff0000, v9
	buffer_store_dword v0, off, s[44:47], 0 offset:64 ; 4-byte Folded Spill
	ds_read_b128 v[6:9], v10 offset:48
	s_waitcnt lgkmcnt(0)
	v_lshlrev_b32_e32 v0, 16, v1
	buffer_store_dword v0, off, s[44:47], 0 offset:68 ; 4-byte Folded Spill
	v_and_b32_e32 v0, 0xffff0000, v1
	buffer_store_dword v0, off, s[44:47], 0 offset:72 ; 4-byte Folded Spill
	v_lshlrev_b32_e32 v0, 16, v2
	buffer_store_dword v0, off, s[44:47], 0 offset:76 ; 4-byte Folded Spill
	v_and_b32_e32 v0, 0xffff0000, v2
	buffer_store_dword v0, off, s[44:47], 0 offset:80 ; 4-byte Folded Spill
	v_lshlrev_b32_e32 v0, 16, v3
	buffer_store_dword v0, off, s[44:47], 0 offset:84 ; 4-byte Folded Spill
	buffer_load_dword v0, off, s[44:47], 0 offset:88 ; 4-byte Folded Reload
	v_lshlrev_b32_e32 v38, 16, v6
	v_and_b32_e32 v39, 0xffff0000, v6
	s_add_u32 s2, s2, s12
	s_addc_u32 s3, s3, s4
	v_mov_b32_e32 v2, s3
	s_sub_i32 s38, 1, s30
	v_lshlrev_b32_e32 v44, 16, v9
	v_and_b32_e32 v45, 0xffff0000, v9
	v_mbcnt_hi_u32_b32 v9, -1, v5
	v_and_b32_e32 v35, 0xffff0000, v3
	v_lshlrev_b32_e32 v36, 16, v4
	v_and_b32_e32 v37, 0xffff0000, v4
	v_lshlrev_b32_e32 v40, 16, v7
	;; [unrolled: 2-line block ×3, first 2 shown]
	v_and_b32_e32 v43, 0xffff0000, v8
	s_mov_b32 s39, s13
	s_mov_b64 s[14:15], 0
	s_movk_i32 s41, 0x80
	s_movk_i32 s42, 0x7f
	;; [unrolled: 1-line block ×3, first 2 shown]
	v_mov_b32_e32 v46, 0xff7fffff
	v_bfrev_b32_e32 v52, 60
	v_mov_b32_e32 v53, v21
	buffer_store_dword v13, off, s[44:47], 0 offset:96 ; 4-byte Folded Spill
	s_waitcnt vmcnt(1)
	v_bfe_u32 v6, v0, 3, 3
	v_lshlrev_b32_e32 v1, 4, v6
	v_add_co_u32_e32 v1, vcc, s2, v1
	v_addc_co_u32_e32 v2, vcc, 0, v2, vcc
	v_add_co_u32_e64 v1, s[2:3], v1, v11
	v_addc_co_u32_e64 v2, s[2:3], 0, v2, s[2:3]
	s_lshl_b64 s[2:3], s[26:27], 2
	s_add_u32 s2, s24, s2
	s_addc_u32 s3, s25, s3
	v_and_b32_e32 v0, 60, v13
	v_mov_b32_e32 v4, s3
	v_add_co_u32_e64 v3, s[2:3], s2, v0
	v_and_b32_e32 v0, 64, v9
	v_addc_co_u32_e64 v4, s[2:3], 0, v4, s[2:3]
	v_add_u32_e32 v5, 64, v0
	v_xor_b32_e32 v0, 4, v9
	v_cmp_lt_i32_e64 s[2:3], v0, v5
	v_cndmask_b32_e64 v0, v9, v0, s[2:3]
	v_lshlrev_b32_e32 v47, 2, v0
	v_xor_b32_e32 v0, 2, v9
	v_cmp_lt_i32_e64 s[2:3], v0, v5
	v_cndmask_b32_e64 v0, v9, v0, s[2:3]
	v_lshlrev_b32_e32 v48, 2, v0
	;; [unrolled: 4-line block ×3, first 2 shown]
	v_lshlrev_b32_e32 v0, 2, v6
	v_lshl_or_b32 v0, v21, 5, v0
	v_cmp_eq_u32_e32 vcc, 0, v11
	v_cmp_neq_f32_e64 s[2:3], s33, 0
	v_lshl_or_b32 v50, v21, 3, v6
	v_add_u32_e32 v51, 0x210, v0
	s_branch .LBB291_10
.LBB291_9:                              ;   in Loop: Header=BB291_10 Depth=1
	s_or_b64 exec, exec, s[16:17]
	v_add_u32_e32 v53, 2, v53
	v_cmp_le_i32_e64 s[4:5], s21, v53
	s_or_b64 s[14:15], s[4:5], s[14:15]
	v_add_co_u32_e64 v3, s[4:5], 8, v3
	v_add_u32_e32 v50, 16, v50
	v_add_u32_e32 v51, 64, v51
	v_addc_co_u32_e64 v4, s[4:5], 0, v4, s[4:5]
	s_andn2_b64 exec, exec, s[14:15]
	s_cbranch_execz .LBB291_204
.LBB291_10:                             ; =>This Inner Loop Header: Depth=1
	global_load_dword v0, v[3:4], off
	v_mov_b32_e32 v54, 0
	s_waitcnt vmcnt(0) lgkmcnt(0)
	v_mad_i64_i32 v[5:6], s[4:5], v0, s39, v[1:2]
	global_load_ubyte v0, v[5:6], off
	s_waitcnt vmcnt(0)
	v_cmp_ne_u16_e64 s[4:5], 0, v0
	s_and_saveexec_b64 s[16:17], s[4:5]
	s_cbranch_execz .LBB291_16
; %bb.11:                               ;   in Loop: Header=BB291_10 Depth=1
	v_cmp_ne_u16_e64 s[4:5], s41, v0
	v_bfrev_b32_e32 v54, 1
	s_and_saveexec_b64 s[34:35], s[4:5]
	s_cbranch_execz .LBB291_15
; %bb.12:                               ;   in Loop: Header=BB291_10 Depth=1
	v_and_b32_e32 v7, 0xffff, v0
	v_and_b32_e32 v8, 0x7f, v7
	v_cmp_ne_u32_e64 s[4:5], s42, v8
	v_mov_b32_e32 v54, 0x7f800001
	s_and_saveexec_b64 s[36:37], s[4:5]
	s_cbranch_execz .LBB291_14
; %bb.13:                               ;   in Loop: Header=BB291_10 Depth=1
	v_and_b32_e32 v12, 7, v7
	v_ffbh_u32_e32 v10, v12
	v_min_u32_e32 v14, 32, v10
	v_subrev_u32_e32 v10, 28, v14
	v_lshlrev_b64 v[10:11], v10, v[7:8]
	v_lshrrev_b32_e32 v13, 3, v8
	v_sub_u32_e32 v7, 29, v14
	v_and_b32_e32 v10, 7, v10
	v_cmp_gt_u32_e64 s[4:5], 8, v8
	v_cndmask_b32_e64 v7, v13, v7, s[4:5]
	v_cndmask_b32_e64 v8, v12, v10, s[4:5]
	v_lshlrev_b32_e32 v0, 24, v0
	v_lshlrev_b32_e32 v8, 20, v8
	v_and_b32_e32 v0, 0x80000000, v0
	v_lshl_add_u32 v7, v7, 23, v52
	v_or3_b32 v54, v0, v7, v8
.LBB291_14:                             ;   in Loop: Header=BB291_10 Depth=1
	s_or_b64 exec, exec, s[36:37]
.LBB291_15:                             ;   in Loop: Header=BB291_10 Depth=1
	s_or_b64 exec, exec, s[34:35]
.LBB291_16:                             ;   in Loop: Header=BB291_10 Depth=1
	s_or_b64 exec, exec, s[16:17]
	global_load_ubyte v0, v[5:6], off offset:8
	v_mov_b32_e32 v56, 0
	v_mov_b32_e32 v55, 0
	s_waitcnt vmcnt(0)
	v_cmp_ne_u16_e64 s[4:5], 0, v0
	s_and_saveexec_b64 s[16:17], s[4:5]
	s_cbranch_execz .LBB291_22
; %bb.17:                               ;   in Loop: Header=BB291_10 Depth=1
	v_cmp_ne_u16_e64 s[4:5], s41, v0
	v_bfrev_b32_e32 v55, 1
	s_and_saveexec_b64 s[34:35], s[4:5]
	s_cbranch_execz .LBB291_21
; %bb.18:                               ;   in Loop: Header=BB291_10 Depth=1
	v_and_b32_e32 v7, 0xffff, v0
	v_and_b32_e32 v8, 0x7f, v7
	v_cmp_ne_u32_e64 s[4:5], s42, v8
	v_mov_b32_e32 v55, 0x7f800001
	s_and_saveexec_b64 s[36:37], s[4:5]
	s_cbranch_execz .LBB291_20
; %bb.19:                               ;   in Loop: Header=BB291_10 Depth=1
	v_and_b32_e32 v12, 7, v7
	v_ffbh_u32_e32 v10, v12
	v_min_u32_e32 v14, 32, v10
	v_subrev_u32_e32 v10, 28, v14
	v_lshlrev_b64 v[10:11], v10, v[7:8]
	v_lshrrev_b32_e32 v13, 3, v8
	v_sub_u32_e32 v7, 29, v14
	v_and_b32_e32 v10, 7, v10
	v_cmp_gt_u32_e64 s[4:5], 8, v8
	v_cndmask_b32_e64 v7, v13, v7, s[4:5]
	v_cndmask_b32_e64 v8, v12, v10, s[4:5]
	v_lshlrev_b32_e32 v0, 24, v0
	v_lshlrev_b32_e32 v8, 20, v8
	v_and_b32_e32 v0, 0x80000000, v0
	v_lshl_add_u32 v7, v7, 23, v52
	v_or3_b32 v55, v0, v7, v8
.LBB291_20:                             ;   in Loop: Header=BB291_10 Depth=1
	s_or_b64 exec, exec, s[36:37]
.LBB291_21:                             ;   in Loop: Header=BB291_10 Depth=1
	s_or_b64 exec, exec, s[34:35]
.LBB291_22:                             ;   in Loop: Header=BB291_10 Depth=1
	s_or_b64 exec, exec, s[16:17]
	global_load_ubyte v0, v[5:6], off offset:128
	s_waitcnt vmcnt(0)
	v_cmp_ne_u16_e64 s[4:5], 0, v0
	s_and_saveexec_b64 s[16:17], s[4:5]
	s_cbranch_execz .LBB291_28
; %bb.23:                               ;   in Loop: Header=BB291_10 Depth=1
	v_cmp_ne_u16_e64 s[4:5], s41, v0
	v_bfrev_b32_e32 v56, 1
	s_and_saveexec_b64 s[34:35], s[4:5]
	s_cbranch_execz .LBB291_27
; %bb.24:                               ;   in Loop: Header=BB291_10 Depth=1
	v_and_b32_e32 v7, 0xffff, v0
	v_and_b32_e32 v8, 0x7f, v7
	v_cmp_ne_u32_e64 s[4:5], s42, v8
	v_mov_b32_e32 v56, 0x7f800001
	s_and_saveexec_b64 s[36:37], s[4:5]
	s_cbranch_execz .LBB291_26
; %bb.25:                               ;   in Loop: Header=BB291_10 Depth=1
	v_and_b32_e32 v12, 7, v7
	v_ffbh_u32_e32 v10, v12
	v_min_u32_e32 v14, 32, v10
	v_subrev_u32_e32 v10, 28, v14
	v_lshlrev_b64 v[10:11], v10, v[7:8]
	v_lshrrev_b32_e32 v13, 3, v8
	v_sub_u32_e32 v7, 29, v14
	v_and_b32_e32 v10, 7, v10
	v_cmp_gt_u32_e64 s[4:5], 8, v8
	v_cndmask_b32_e64 v7, v13, v7, s[4:5]
	v_cndmask_b32_e64 v8, v12, v10, s[4:5]
	v_lshlrev_b32_e32 v0, 24, v0
	v_lshlrev_b32_e32 v8, 20, v8
	v_and_b32_e32 v0, 0x80000000, v0
	v_lshl_add_u32 v7, v7, 23, v52
	v_or3_b32 v56, v0, v7, v8
.LBB291_26:                             ;   in Loop: Header=BB291_10 Depth=1
	s_or_b64 exec, exec, s[36:37]
.LBB291_27:                             ;   in Loop: Header=BB291_10 Depth=1
	s_or_b64 exec, exec, s[34:35]
.LBB291_28:                             ;   in Loop: Header=BB291_10 Depth=1
	s_or_b64 exec, exec, s[16:17]
	global_load_ubyte v0, v[5:6], off offset:136
	v_mov_b32_e32 v58, 0
	v_mov_b32_e32 v57, 0
	s_waitcnt vmcnt(0)
	v_cmp_ne_u16_e64 s[4:5], 0, v0
	s_and_saveexec_b64 s[16:17], s[4:5]
	s_cbranch_execz .LBB291_34
; %bb.29:                               ;   in Loop: Header=BB291_10 Depth=1
	v_cmp_ne_u16_e64 s[4:5], s41, v0
	v_bfrev_b32_e32 v57, 1
	s_and_saveexec_b64 s[34:35], s[4:5]
	s_cbranch_execz .LBB291_33
; %bb.30:                               ;   in Loop: Header=BB291_10 Depth=1
	v_and_b32_e32 v7, 0xffff, v0
	v_and_b32_e32 v8, 0x7f, v7
	v_cmp_ne_u32_e64 s[4:5], s42, v8
	v_mov_b32_e32 v57, 0x7f800001
	s_and_saveexec_b64 s[36:37], s[4:5]
	s_cbranch_execz .LBB291_32
; %bb.31:                               ;   in Loop: Header=BB291_10 Depth=1
	v_and_b32_e32 v10, 7, v7
	v_lshrrev_b32_e32 v11, 3, v8
	v_cmp_gt_u32_e64 s[4:5], 8, v8
	v_ffbh_u32_e32 v8, v10
	v_min_u32_e32 v12, 32, v8
	v_subrev_u32_e32 v8, 28, v12
	v_lshlrev_b64 v[7:8], v8, v[7:8]
	v_sub_u32_e32 v8, 29, v12
	v_and_b32_e32 v7, 7, v7
	v_cndmask_b32_e64 v8, v11, v8, s[4:5]
	v_cndmask_b32_e64 v7, v10, v7, s[4:5]
	v_lshlrev_b32_e32 v0, 24, v0
	v_lshlrev_b32_e32 v7, 20, v7
	v_and_b32_e32 v0, 0x80000000, v0
	v_lshl_add_u32 v8, v8, 23, v52
	v_or3_b32 v57, v0, v8, v7
.LBB291_32:                             ;   in Loop: Header=BB291_10 Depth=1
	s_or_b64 exec, exec, s[36:37]
.LBB291_33:                             ;   in Loop: Header=BB291_10 Depth=1
	s_or_b64 exec, exec, s[34:35]
.LBB291_34:                             ;   in Loop: Header=BB291_10 Depth=1
	s_or_b64 exec, exec, s[16:17]
	global_load_ubyte v0, v[5:6], off offset:256
	s_waitcnt vmcnt(0)
	v_cmp_ne_u16_e64 s[4:5], 0, v0
	s_and_saveexec_b64 s[16:17], s[4:5]
	s_cbranch_execz .LBB291_40
; %bb.35:                               ;   in Loop: Header=BB291_10 Depth=1
	v_cmp_ne_u16_e64 s[4:5], s41, v0
	v_bfrev_b32_e32 v58, 1
	s_and_saveexec_b64 s[34:35], s[4:5]
	s_cbranch_execz .LBB291_39
; %bb.36:                               ;   in Loop: Header=BB291_10 Depth=1
	v_and_b32_e32 v7, 0xffff, v0
	v_and_b32_e32 v8, 0x7f, v7
	v_cmp_ne_u32_e64 s[4:5], s42, v8
	v_mov_b32_e32 v58, 0x7f800001
	s_and_saveexec_b64 s[36:37], s[4:5]
	s_cbranch_execz .LBB291_38
; %bb.37:                               ;   in Loop: Header=BB291_10 Depth=1
	v_and_b32_e32 v10, 7, v7
	v_lshrrev_b32_e32 v11, 3, v8
	v_cmp_gt_u32_e64 s[4:5], 8, v8
	v_ffbh_u32_e32 v8, v10
	v_min_u32_e32 v12, 32, v8
	v_subrev_u32_e32 v8, 28, v12
	v_lshlrev_b64 v[7:8], v8, v[7:8]
	v_sub_u32_e32 v8, 29, v12
	v_and_b32_e32 v7, 7, v7
	v_cndmask_b32_e64 v8, v11, v8, s[4:5]
	v_cndmask_b32_e64 v7, v10, v7, s[4:5]
	v_lshlrev_b32_e32 v0, 24, v0
	v_lshlrev_b32_e32 v7, 20, v7
	v_and_b32_e32 v0, 0x80000000, v0
	v_lshl_add_u32 v8, v8, 23, v52
	v_or3_b32 v58, v0, v8, v7
.LBB291_38:                             ;   in Loop: Header=BB291_10 Depth=1
	s_or_b64 exec, exec, s[36:37]
.LBB291_39:                             ;   in Loop: Header=BB291_10 Depth=1
	s_or_b64 exec, exec, s[34:35]
.LBB291_40:                             ;   in Loop: Header=BB291_10 Depth=1
	s_or_b64 exec, exec, s[16:17]
	global_load_ubyte v0, v[5:6], off offset:264
	v_mov_b32_e32 v60, 0
	v_mov_b32_e32 v59, 0
	s_waitcnt vmcnt(0)
	v_cmp_ne_u16_e64 s[4:5], 0, v0
	s_and_saveexec_b64 s[16:17], s[4:5]
	s_cbranch_execz .LBB291_46
; %bb.41:                               ;   in Loop: Header=BB291_10 Depth=1
	v_cmp_ne_u16_e64 s[4:5], s41, v0
	v_bfrev_b32_e32 v59, 1
	s_and_saveexec_b64 s[34:35], s[4:5]
	s_cbranch_execz .LBB291_45
; %bb.42:                               ;   in Loop: Header=BB291_10 Depth=1
	v_and_b32_e32 v7, 0xffff, v0
	v_and_b32_e32 v8, 0x7f, v7
	v_cmp_ne_u32_e64 s[4:5], s42, v8
	v_mov_b32_e32 v59, 0x7f800001
	s_and_saveexec_b64 s[36:37], s[4:5]
	s_cbranch_execz .LBB291_44
; %bb.43:                               ;   in Loop: Header=BB291_10 Depth=1
	v_and_b32_e32 v10, 7, v7
	v_lshrrev_b32_e32 v11, 3, v8
	v_cmp_gt_u32_e64 s[4:5], 8, v8
	v_ffbh_u32_e32 v8, v10
	v_min_u32_e32 v12, 32, v8
	v_subrev_u32_e32 v8, 28, v12
	v_lshlrev_b64 v[7:8], v8, v[7:8]
	v_sub_u32_e32 v8, 29, v12
	v_and_b32_e32 v7, 7, v7
	v_cndmask_b32_e64 v8, v11, v8, s[4:5]
	v_cndmask_b32_e64 v7, v10, v7, s[4:5]
	v_lshlrev_b32_e32 v0, 24, v0
	v_lshlrev_b32_e32 v7, 20, v7
	v_and_b32_e32 v0, 0x80000000, v0
	v_lshl_add_u32 v8, v8, 23, v52
	v_or3_b32 v59, v0, v8, v7
.LBB291_44:                             ;   in Loop: Header=BB291_10 Depth=1
	s_or_b64 exec, exec, s[36:37]
.LBB291_45:                             ;   in Loop: Header=BB291_10 Depth=1
	s_or_b64 exec, exec, s[34:35]
.LBB291_46:                             ;   in Loop: Header=BB291_10 Depth=1
	s_or_b64 exec, exec, s[16:17]
	global_load_ubyte v0, v[5:6], off offset:384
	s_waitcnt vmcnt(0)
	v_cmp_ne_u16_e64 s[4:5], 0, v0
	s_and_saveexec_b64 s[16:17], s[4:5]
	s_cbranch_execz .LBB291_52
; %bb.47:                               ;   in Loop: Header=BB291_10 Depth=1
	v_cmp_ne_u16_e64 s[4:5], s41, v0
	v_bfrev_b32_e32 v60, 1
	s_and_saveexec_b64 s[34:35], s[4:5]
	s_cbranch_execz .LBB291_51
; %bb.48:                               ;   in Loop: Header=BB291_10 Depth=1
	v_and_b32_e32 v7, 0xffff, v0
	v_and_b32_e32 v8, 0x7f, v7
	v_cmp_ne_u32_e64 s[4:5], s42, v8
	v_mov_b32_e32 v60, 0x7f800001
	s_and_saveexec_b64 s[36:37], s[4:5]
	s_cbranch_execz .LBB291_50
; %bb.49:                               ;   in Loop: Header=BB291_10 Depth=1
	v_and_b32_e32 v10, 7, v7
	v_lshrrev_b32_e32 v11, 3, v8
	v_cmp_gt_u32_e64 s[4:5], 8, v8
	v_ffbh_u32_e32 v8, v10
	v_min_u32_e32 v12, 32, v8
	v_subrev_u32_e32 v8, 28, v12
	v_lshlrev_b64 v[7:8], v8, v[7:8]
	v_sub_u32_e32 v8, 29, v12
	v_and_b32_e32 v7, 7, v7
	v_cndmask_b32_e64 v8, v11, v8, s[4:5]
	v_cndmask_b32_e64 v7, v10, v7, s[4:5]
	v_lshlrev_b32_e32 v0, 24, v0
	v_lshlrev_b32_e32 v7, 20, v7
	v_and_b32_e32 v0, 0x80000000, v0
	v_lshl_add_u32 v8, v8, 23, v52
	v_or3_b32 v60, v0, v8, v7
.LBB291_50:                             ;   in Loop: Header=BB291_10 Depth=1
	s_or_b64 exec, exec, s[36:37]
.LBB291_51:                             ;   in Loop: Header=BB291_10 Depth=1
	s_or_b64 exec, exec, s[34:35]
.LBB291_52:                             ;   in Loop: Header=BB291_10 Depth=1
	s_or_b64 exec, exec, s[16:17]
	global_load_ubyte v0, v[5:6], off offset:392
	v_mov_b32_e32 v62, 0
	v_mov_b32_e32 v61, 0
	s_waitcnt vmcnt(0)
	v_cmp_ne_u16_e64 s[4:5], 0, v0
	s_and_saveexec_b64 s[16:17], s[4:5]
	s_cbranch_execz .LBB291_58
; %bb.53:                               ;   in Loop: Header=BB291_10 Depth=1
	v_cmp_ne_u16_e64 s[4:5], s41, v0
	v_bfrev_b32_e32 v61, 1
	s_and_saveexec_b64 s[34:35], s[4:5]
	s_cbranch_execz .LBB291_57
; %bb.54:                               ;   in Loop: Header=BB291_10 Depth=1
	v_and_b32_e32 v7, 0xffff, v0
	v_and_b32_e32 v8, 0x7f, v7
	v_cmp_ne_u32_e64 s[4:5], s42, v8
	v_mov_b32_e32 v61, 0x7f800001
	s_and_saveexec_b64 s[36:37], s[4:5]
	s_cbranch_execz .LBB291_56
; %bb.55:                               ;   in Loop: Header=BB291_10 Depth=1
	v_and_b32_e32 v10, 7, v7
	v_lshrrev_b32_e32 v11, 3, v8
	v_cmp_gt_u32_e64 s[4:5], 8, v8
	v_ffbh_u32_e32 v8, v10
	v_min_u32_e32 v12, 32, v8
	v_subrev_u32_e32 v8, 28, v12
	v_lshlrev_b64 v[7:8], v8, v[7:8]
	v_sub_u32_e32 v8, 29, v12
	v_and_b32_e32 v7, 7, v7
	v_cndmask_b32_e64 v8, v11, v8, s[4:5]
	v_cndmask_b32_e64 v7, v10, v7, s[4:5]
	v_lshlrev_b32_e32 v0, 24, v0
	v_lshlrev_b32_e32 v7, 20, v7
	v_and_b32_e32 v0, 0x80000000, v0
	v_lshl_add_u32 v8, v8, 23, v52
	v_or3_b32 v61, v0, v8, v7
.LBB291_56:                             ;   in Loop: Header=BB291_10 Depth=1
	s_or_b64 exec, exec, s[36:37]
.LBB291_57:                             ;   in Loop: Header=BB291_10 Depth=1
	s_or_b64 exec, exec, s[34:35]
.LBB291_58:                             ;   in Loop: Header=BB291_10 Depth=1
	s_or_b64 exec, exec, s[16:17]
	global_load_ubyte v0, v[5:6], off offset:512
	s_waitcnt vmcnt(0)
	v_cmp_ne_u16_e64 s[4:5], 0, v0
	s_and_saveexec_b64 s[16:17], s[4:5]
	s_cbranch_execz .LBB291_64
; %bb.59:                               ;   in Loop: Header=BB291_10 Depth=1
	v_cmp_ne_u16_e64 s[4:5], s41, v0
	v_bfrev_b32_e32 v62, 1
	s_and_saveexec_b64 s[34:35], s[4:5]
	s_cbranch_execz .LBB291_63
; %bb.60:                               ;   in Loop: Header=BB291_10 Depth=1
	v_and_b32_e32 v7, 0xffff, v0
	v_and_b32_e32 v8, 0x7f, v7
	v_cmp_ne_u32_e64 s[4:5], s42, v8
	v_mov_b32_e32 v62, 0x7f800001
	s_and_saveexec_b64 s[36:37], s[4:5]
	s_cbranch_execz .LBB291_62
; %bb.61:                               ;   in Loop: Header=BB291_10 Depth=1
	v_and_b32_e32 v10, 7, v7
	v_lshrrev_b32_e32 v11, 3, v8
	v_cmp_gt_u32_e64 s[4:5], 8, v8
	v_ffbh_u32_e32 v8, v10
	v_min_u32_e32 v12, 32, v8
	v_subrev_u32_e32 v8, 28, v12
	v_lshlrev_b64 v[7:8], v8, v[7:8]
	v_sub_u32_e32 v8, 29, v12
	v_and_b32_e32 v7, 7, v7
	v_cndmask_b32_e64 v8, v11, v8, s[4:5]
	v_cndmask_b32_e64 v7, v10, v7, s[4:5]
	v_lshlrev_b32_e32 v0, 24, v0
	v_lshlrev_b32_e32 v7, 20, v7
	v_and_b32_e32 v0, 0x80000000, v0
	v_lshl_add_u32 v8, v8, 23, v52
	v_or3_b32 v62, v0, v8, v7
.LBB291_62:                             ;   in Loop: Header=BB291_10 Depth=1
	s_or_b64 exec, exec, s[36:37]
.LBB291_63:                             ;   in Loop: Header=BB291_10 Depth=1
	s_or_b64 exec, exec, s[34:35]
.LBB291_64:                             ;   in Loop: Header=BB291_10 Depth=1
	s_or_b64 exec, exec, s[16:17]
	global_load_ubyte v0, v[5:6], off offset:520
	v_mov_b32_e32 v8, 0
	v_mov_b32_e32 v63, 0
	s_waitcnt vmcnt(0)
	v_cmp_ne_u16_e64 s[4:5], 0, v0
	s_and_saveexec_b64 s[16:17], s[4:5]
	s_cbranch_execz .LBB291_70
; %bb.65:                               ;   in Loop: Header=BB291_10 Depth=1
	v_cmp_ne_u16_e64 s[4:5], s41, v0
	v_bfrev_b32_e32 v63, 1
	s_and_saveexec_b64 s[34:35], s[4:5]
	s_cbranch_execz .LBB291_69
; %bb.66:                               ;   in Loop: Header=BB291_10 Depth=1
	v_and_b32_e32 v7, 0xffff, v0
	v_and_b32_e32 v10, 0x7f, v7
	v_cmp_ne_u32_e64 s[4:5], s42, v10
	v_mov_b32_e32 v63, 0x7f800001
	s_and_saveexec_b64 s[36:37], s[4:5]
	s_cbranch_execz .LBB291_68
; %bb.67:                               ;   in Loop: Header=BB291_10 Depth=1
	v_and_b32_e32 v12, 7, v7
	v_lshrrev_b32_e32 v13, 3, v10
	v_cmp_gt_u32_e64 s[4:5], 8, v10
	v_ffbh_u32_e32 v10, v12
	v_min_u32_e32 v14, 32, v10
	v_subrev_u32_e32 v10, 28, v14
	v_lshlrev_b64 v[10:11], v10, v[7:8]
	v_sub_u32_e32 v7, 29, v14
	v_and_b32_e32 v10, 7, v10
	v_cndmask_b32_e64 v7, v13, v7, s[4:5]
	v_cndmask_b32_e64 v10, v12, v10, s[4:5]
	v_lshlrev_b32_e32 v0, 24, v0
	v_lshlrev_b32_e32 v10, 20, v10
	v_and_b32_e32 v0, 0x80000000, v0
	v_lshl_add_u32 v7, v7, 23, v52
	v_or3_b32 v63, v0, v7, v10
.LBB291_68:                             ;   in Loop: Header=BB291_10 Depth=1
	s_or_b64 exec, exec, s[36:37]
.LBB291_69:                             ;   in Loop: Header=BB291_10 Depth=1
	s_or_b64 exec, exec, s[34:35]
.LBB291_70:                             ;   in Loop: Header=BB291_10 Depth=1
	s_or_b64 exec, exec, s[16:17]
	global_load_ubyte v0, v[5:6], off offset:640
	s_waitcnt vmcnt(0)
	v_cmp_ne_u16_e64 s[4:5], 0, v0
	s_and_saveexec_b64 s[16:17], s[4:5]
	s_cbranch_execz .LBB291_76
; %bb.71:                               ;   in Loop: Header=BB291_10 Depth=1
	v_cmp_ne_u16_e64 s[4:5], s41, v0
	v_bfrev_b32_e32 v8, 1
	s_and_saveexec_b64 s[34:35], s[4:5]
	s_cbranch_execz .LBB291_75
; %bb.72:                               ;   in Loop: Header=BB291_10 Depth=1
	v_and_b32_e32 v7, 0xffff, v0
	v_and_b32_e32 v10, 0x7f, v7
	v_cmp_ne_u32_e64 s[4:5], s42, v10
	v_mov_b32_e32 v8, 0x7f800001
	s_and_saveexec_b64 s[36:37], s[4:5]
	s_cbranch_execz .LBB291_74
; %bb.73:                               ;   in Loop: Header=BB291_10 Depth=1
	v_and_b32_e32 v11, 7, v7
	v_ffbh_u32_e32 v8, v11
	v_lshrrev_b32_e32 v12, 3, v10
	v_cmp_gt_u32_e64 s[4:5], 8, v10
	v_min_u32_e32 v10, 32, v8
	v_subrev_u32_e32 v8, 28, v10
	v_lshlrev_b64 v[7:8], v8, v[7:8]
	v_sub_u32_e32 v8, 29, v10
	v_and_b32_e32 v7, 7, v7
	v_cndmask_b32_e64 v8, v12, v8, s[4:5]
	v_cndmask_b32_e64 v7, v11, v7, s[4:5]
	v_lshlrev_b32_e32 v0, 24, v0
	v_lshlrev_b32_e32 v7, 20, v7
	v_and_b32_e32 v0, 0x80000000, v0
	v_lshl_add_u32 v8, v8, 23, v52
	v_or3_b32 v8, v0, v8, v7
.LBB291_74:                             ;   in Loop: Header=BB291_10 Depth=1
	s_or_b64 exec, exec, s[36:37]
.LBB291_75:                             ;   in Loop: Header=BB291_10 Depth=1
	s_or_b64 exec, exec, s[34:35]
.LBB291_76:                             ;   in Loop: Header=BB291_10 Depth=1
	s_or_b64 exec, exec, s[16:17]
	global_load_ubyte v0, v[5:6], off offset:648
	v_mov_b32_e32 v11, 0
	v_mov_b32_e32 v20, 0
	s_waitcnt vmcnt(0)
	v_cmp_ne_u16_e64 s[4:5], 0, v0
	s_and_saveexec_b64 s[16:17], s[4:5]
	s_cbranch_execz .LBB291_82
; %bb.77:                               ;   in Loop: Header=BB291_10 Depth=1
	v_cmp_ne_u16_e64 s[4:5], s41, v0
	v_bfrev_b32_e32 v20, 1
	s_and_saveexec_b64 s[34:35], s[4:5]
	s_cbranch_execz .LBB291_81
; %bb.78:                               ;   in Loop: Header=BB291_10 Depth=1
	v_and_b32_e32 v7, 0xffff, v0
	v_and_b32_e32 v10, 0x7f, v7
	v_cmp_ne_u32_e64 s[4:5], s42, v10
	v_mov_b32_e32 v20, 0x7f800001
	s_and_saveexec_b64 s[36:37], s[4:5]
	s_cbranch_execz .LBB291_80
; %bb.79:                               ;   in Loop: Header=BB291_10 Depth=1
	v_and_b32_e32 v14, 7, v7
	v_lshrrev_b32_e32 v15, 3, v10
	v_cmp_gt_u32_e64 s[4:5], 8, v10
	v_ffbh_u32_e32 v10, v14
	v_min_u32_e32 v10, 32, v10
	v_subrev_u32_e32 v12, 28, v10
	v_lshlrev_b64 v[12:13], v12, v[7:8]
	v_sub_u32_e32 v7, 29, v10
	v_and_b32_e32 v10, 7, v12
	v_cndmask_b32_e64 v7, v15, v7, s[4:5]
	v_cndmask_b32_e64 v10, v14, v10, s[4:5]
	v_lshlrev_b32_e32 v0, 24, v0
	v_lshlrev_b32_e32 v10, 20, v10
	v_and_b32_e32 v0, 0x80000000, v0
	v_lshl_add_u32 v7, v7, 23, v52
	v_or3_b32 v20, v0, v7, v10
.LBB291_80:                             ;   in Loop: Header=BB291_10 Depth=1
	s_or_b64 exec, exec, s[36:37]
.LBB291_81:                             ;   in Loop: Header=BB291_10 Depth=1
	s_or_b64 exec, exec, s[34:35]
.LBB291_82:                             ;   in Loop: Header=BB291_10 Depth=1
	s_or_b64 exec, exec, s[16:17]
	global_load_ubyte v0, v[5:6], off offset:768
	s_waitcnt vmcnt(0)
	v_cmp_ne_u16_e64 s[4:5], 0, v0
	s_and_saveexec_b64 s[16:17], s[4:5]
	s_cbranch_execz .LBB291_88
; %bb.83:                               ;   in Loop: Header=BB291_10 Depth=1
	v_cmp_ne_u16_e64 s[4:5], s41, v0
	v_bfrev_b32_e32 v11, 1
	s_and_saveexec_b64 s[34:35], s[4:5]
	s_cbranch_execz .LBB291_87
; %bb.84:                               ;   in Loop: Header=BB291_10 Depth=1
	v_and_b32_e32 v7, 0xffff, v0
	v_and_b32_e32 v10, 0x7f, v7
	v_cmp_ne_u32_e64 s[4:5], s42, v10
	v_mov_b32_e32 v11, 0x7f800001
	s_and_saveexec_b64 s[36:37], s[4:5]
	s_cbranch_execz .LBB291_86
; %bb.85:                               ;   in Loop: Header=BB291_10 Depth=1
	v_and_b32_e32 v12, 7, v7
	v_lshrrev_b32_e32 v13, 3, v10
	v_cmp_gt_u32_e64 s[4:5], 8, v10
	v_ffbh_u32_e32 v10, v12
	v_min_u32_e32 v14, 32, v10
	v_subrev_u32_e32 v10, 28, v14
	v_lshlrev_b64 v[10:11], v10, v[7:8]
	v_sub_u32_e32 v7, 29, v14
	v_and_b32_e32 v10, 7, v10
	v_cndmask_b32_e64 v7, v13, v7, s[4:5]
	v_cndmask_b32_e64 v10, v12, v10, s[4:5]
	v_lshlrev_b32_e32 v0, 24, v0
	v_lshlrev_b32_e32 v10, 20, v10
	v_and_b32_e32 v0, 0x80000000, v0
	v_lshl_add_u32 v7, v7, 23, v52
	v_or3_b32 v11, v0, v7, v10
.LBB291_86:                             ;   in Loop: Header=BB291_10 Depth=1
	s_or_b64 exec, exec, s[36:37]
.LBB291_87:                             ;   in Loop: Header=BB291_10 Depth=1
	s_or_b64 exec, exec, s[34:35]
.LBB291_88:                             ;   in Loop: Header=BB291_10 Depth=1
	s_or_b64 exec, exec, s[16:17]
	global_load_ubyte v12, v[5:6], off offset:776
	v_mov_b32_e32 v0, 0
	v_mov_b32_e32 v10, 0
	s_waitcnt vmcnt(0)
	v_cmp_ne_u16_e64 s[4:5], 0, v12
	s_and_saveexec_b64 s[16:17], s[4:5]
	s_cbranch_execz .LBB291_94
; %bb.89:                               ;   in Loop: Header=BB291_10 Depth=1
	v_cmp_ne_u16_e64 s[4:5], s41, v12
	v_bfrev_b32_e32 v10, 1
	s_and_saveexec_b64 s[34:35], s[4:5]
	s_cbranch_execz .LBB291_93
; %bb.90:                               ;   in Loop: Header=BB291_10 Depth=1
	v_and_b32_e32 v7, 0xffff, v12
	v_and_b32_e32 v13, 0x7f, v7
	v_cmp_ne_u32_e64 s[4:5], s42, v13
	v_mov_b32_e32 v10, 0x7f800001
	s_and_saveexec_b64 s[36:37], s[4:5]
	s_cbranch_execz .LBB291_92
; %bb.91:                               ;   in Loop: Header=BB291_10 Depth=1
	v_and_b32_e32 v10, 7, v7
	v_lshrrev_b32_e32 v15, 3, v13
	v_cmp_gt_u32_e64 s[4:5], 8, v13
	v_ffbh_u32_e32 v13, v10
	v_min_u32_e32 v16, 32, v13
	v_subrev_u32_e32 v13, 28, v16
	v_lshlrev_b64 v[13:14], v13, v[7:8]
	v_sub_u32_e32 v7, 29, v16
	v_and_b32_e32 v13, 7, v13
	v_cndmask_b32_e64 v7, v15, v7, s[4:5]
	v_cndmask_b32_e64 v10, v10, v13, s[4:5]
	v_lshlrev_b32_e32 v12, 24, v12
	v_lshlrev_b32_e32 v10, 20, v10
	v_and_b32_e32 v12, 0x80000000, v12
	v_lshl_add_u32 v7, v7, 23, v52
	v_or3_b32 v10, v12, v7, v10
.LBB291_92:                             ;   in Loop: Header=BB291_10 Depth=1
	s_or_b64 exec, exec, s[36:37]
.LBB291_93:                             ;   in Loop: Header=BB291_10 Depth=1
	s_or_b64 exec, exec, s[34:35]
.LBB291_94:                             ;   in Loop: Header=BB291_10 Depth=1
	s_or_b64 exec, exec, s[16:17]
	global_load_ubyte v12, v[5:6], off offset:896
	s_waitcnt vmcnt(0)
	v_cmp_ne_u16_e64 s[4:5], 0, v12
	s_and_saveexec_b64 s[16:17], s[4:5]
	s_cbranch_execz .LBB291_100
; %bb.95:                               ;   in Loop: Header=BB291_10 Depth=1
	v_cmp_ne_u16_e64 s[4:5], s41, v12
	v_bfrev_b32_e32 v0, 1
	s_and_saveexec_b64 s[34:35], s[4:5]
	s_cbranch_execz .LBB291_99
; %bb.96:                               ;   in Loop: Header=BB291_10 Depth=1
	v_and_b32_e32 v7, 0xffff, v12
	v_and_b32_e32 v13, 0x7f, v7
	v_cmp_ne_u32_e64 s[4:5], s42, v13
	v_mov_b32_e32 v0, 0x7f800001
	s_and_saveexec_b64 s[36:37], s[4:5]
	s_cbranch_execz .LBB291_98
; %bb.97:                               ;   in Loop: Header=BB291_10 Depth=1
	v_and_b32_e32 v0, 7, v7
	v_lshrrev_b32_e32 v15, 3, v13
	v_cmp_gt_u32_e64 s[4:5], 8, v13
	v_ffbh_u32_e32 v13, v0
	v_min_u32_e32 v16, 32, v13
	v_subrev_u32_e32 v13, 28, v16
	v_lshlrev_b64 v[13:14], v13, v[7:8]
	v_sub_u32_e32 v7, 29, v16
	v_and_b32_e32 v13, 7, v13
	v_cndmask_b32_e64 v7, v15, v7, s[4:5]
	v_cndmask_b32_e64 v0, v0, v13, s[4:5]
	v_lshlrev_b32_e32 v12, 24, v12
	v_lshlrev_b32_e32 v0, 20, v0
	v_and_b32_e32 v12, 0x80000000, v12
	v_lshl_add_u32 v7, v7, 23, v52
	v_or3_b32 v0, v12, v7, v0
.LBB291_98:                             ;   in Loop: Header=BB291_10 Depth=1
	s_or_b64 exec, exec, s[36:37]
.LBB291_99:                             ;   in Loop: Header=BB291_10 Depth=1
	s_or_b64 exec, exec, s[34:35]
.LBB291_100:                            ;   in Loop: Header=BB291_10 Depth=1
	s_or_b64 exec, exec, s[16:17]
	global_load_ubyte v14, v[5:6], off offset:904
	v_mov_b32_e32 v13, 0
	v_mov_b32_e32 v12, 0
	s_waitcnt vmcnt(0)
	v_cmp_ne_u16_e64 s[4:5], 0, v14
	s_and_saveexec_b64 s[16:17], s[4:5]
	s_cbranch_execz .LBB291_106
; %bb.101:                              ;   in Loop: Header=BB291_10 Depth=1
	v_cmp_ne_u16_e64 s[4:5], s41, v14
	v_bfrev_b32_e32 v12, 1
	s_and_saveexec_b64 s[34:35], s[4:5]
	s_cbranch_execz .LBB291_105
; %bb.102:                              ;   in Loop: Header=BB291_10 Depth=1
	v_and_b32_e32 v7, 0xffff, v14
	v_and_b32_e32 v15, 0x7f, v7
	v_cmp_ne_u32_e64 s[4:5], s42, v15
	v_mov_b32_e32 v12, 0x7f800001
	s_and_saveexec_b64 s[36:37], s[4:5]
	s_cbranch_execz .LBB291_104
; %bb.103:                              ;   in Loop: Header=BB291_10 Depth=1
	v_and_b32_e32 v12, 7, v7
	v_lshrrev_b32_e32 v17, 3, v15
	v_cmp_gt_u32_e64 s[4:5], 8, v15
	v_ffbh_u32_e32 v15, v12
	v_min_u32_e32 v18, 32, v15
	v_subrev_u32_e32 v15, 28, v18
	v_lshlrev_b64 v[15:16], v15, v[7:8]
	v_sub_u32_e32 v7, 29, v18
	v_and_b32_e32 v15, 7, v15
	v_cndmask_b32_e64 v7, v17, v7, s[4:5]
	v_cndmask_b32_e64 v12, v12, v15, s[4:5]
	v_lshlrev_b32_e32 v14, 24, v14
	v_lshlrev_b32_e32 v12, 20, v12
	v_and_b32_e32 v14, 0x80000000, v14
	v_lshl_add_u32 v7, v7, 23, v52
	v_or3_b32 v12, v14, v7, v12
.LBB291_104:                            ;   in Loop: Header=BB291_10 Depth=1
	s_or_b64 exec, exec, s[36:37]
.LBB291_105:                            ;   in Loop: Header=BB291_10 Depth=1
	s_or_b64 exec, exec, s[34:35]
.LBB291_106:                            ;   in Loop: Header=BB291_10 Depth=1
	s_or_b64 exec, exec, s[16:17]
	global_load_ubyte v14, v[5:6], off offset:1024
	s_waitcnt vmcnt(0)
	v_cmp_ne_u16_e64 s[4:5], 0, v14
	s_and_saveexec_b64 s[16:17], s[4:5]
	s_cbranch_execz .LBB291_112
; %bb.107:                              ;   in Loop: Header=BB291_10 Depth=1
	v_cmp_ne_u16_e64 s[4:5], s41, v14
	v_bfrev_b32_e32 v13, 1
	s_and_saveexec_b64 s[34:35], s[4:5]
	s_cbranch_execz .LBB291_111
; %bb.108:                              ;   in Loop: Header=BB291_10 Depth=1
	v_and_b32_e32 v7, 0xffff, v14
	v_and_b32_e32 v15, 0x7f, v7
	v_cmp_ne_u32_e64 s[4:5], s42, v15
	v_mov_b32_e32 v13, 0x7f800001
	s_and_saveexec_b64 s[36:37], s[4:5]
	s_cbranch_execz .LBB291_110
; %bb.109:                              ;   in Loop: Header=BB291_10 Depth=1
	v_and_b32_e32 v13, 7, v7
	v_lshrrev_b32_e32 v17, 3, v15
	v_cmp_gt_u32_e64 s[4:5], 8, v15
	v_ffbh_u32_e32 v15, v13
	v_min_u32_e32 v18, 32, v15
	v_subrev_u32_e32 v15, 28, v18
	v_lshlrev_b64 v[15:16], v15, v[7:8]
	v_sub_u32_e32 v7, 29, v18
	v_and_b32_e32 v15, 7, v15
	v_cndmask_b32_e64 v7, v17, v7, s[4:5]
	v_cndmask_b32_e64 v13, v13, v15, s[4:5]
	v_lshlrev_b32_e32 v14, 24, v14
	v_lshlrev_b32_e32 v13, 20, v13
	v_and_b32_e32 v14, 0x80000000, v14
	v_lshl_add_u32 v7, v7, 23, v52
	v_or3_b32 v13, v14, v7, v13
.LBB291_110:                            ;   in Loop: Header=BB291_10 Depth=1
	s_or_b64 exec, exec, s[36:37]
.LBB291_111:                            ;   in Loop: Header=BB291_10 Depth=1
	s_or_b64 exec, exec, s[34:35]
.LBB291_112:                            ;   in Loop: Header=BB291_10 Depth=1
	s_or_b64 exec, exec, s[16:17]
	global_load_ubyte v16, v[5:6], off offset:1032
	v_mov_b32_e32 v15, 0
	v_mov_b32_e32 v14, 0
	s_waitcnt vmcnt(0)
	v_cmp_ne_u16_e64 s[4:5], 0, v16
	s_and_saveexec_b64 s[16:17], s[4:5]
	s_cbranch_execz .LBB291_118
; %bb.113:                              ;   in Loop: Header=BB291_10 Depth=1
	v_cmp_ne_u16_e64 s[4:5], s41, v16
	v_bfrev_b32_e32 v14, 1
	s_and_saveexec_b64 s[34:35], s[4:5]
	s_cbranch_execz .LBB291_117
; %bb.114:                              ;   in Loop: Header=BB291_10 Depth=1
	v_and_b32_e32 v7, 0xffff, v16
	v_and_b32_e32 v17, 0x7f, v7
	v_cmp_ne_u32_e64 s[4:5], s42, v17
	v_mov_b32_e32 v14, 0x7f800001
	s_and_saveexec_b64 s[36:37], s[4:5]
	s_cbranch_execz .LBB291_116
; %bb.115:                              ;   in Loop: Header=BB291_10 Depth=1
	v_and_b32_e32 v14, 7, v7
	v_lshrrev_b32_e32 v19, 3, v17
	v_cmp_gt_u32_e64 s[4:5], 8, v17
	v_ffbh_u32_e32 v17, v14
	v_min_u32_e32 v22, 32, v17
	v_subrev_u32_e32 v17, 28, v22
	v_lshlrev_b64 v[17:18], v17, v[7:8]
	v_sub_u32_e32 v7, 29, v22
	v_and_b32_e32 v17, 7, v17
	v_cndmask_b32_e64 v7, v19, v7, s[4:5]
	v_cndmask_b32_e64 v14, v14, v17, s[4:5]
	v_lshlrev_b32_e32 v16, 24, v16
	v_lshlrev_b32_e32 v14, 20, v14
	v_and_b32_e32 v16, 0x80000000, v16
	v_lshl_add_u32 v7, v7, 23, v52
	v_or3_b32 v14, v16, v7, v14
.LBB291_116:                            ;   in Loop: Header=BB291_10 Depth=1
	s_or_b64 exec, exec, s[36:37]
.LBB291_117:                            ;   in Loop: Header=BB291_10 Depth=1
	s_or_b64 exec, exec, s[34:35]
.LBB291_118:                            ;   in Loop: Header=BB291_10 Depth=1
	s_or_b64 exec, exec, s[16:17]
	global_load_ubyte v16, v[5:6], off offset:1152
	s_waitcnt vmcnt(0)
	v_cmp_ne_u16_e64 s[4:5], 0, v16
	s_and_saveexec_b64 s[16:17], s[4:5]
	s_cbranch_execz .LBB291_124
; %bb.119:                              ;   in Loop: Header=BB291_10 Depth=1
	v_cmp_ne_u16_e64 s[4:5], s41, v16
	v_bfrev_b32_e32 v15, 1
	s_and_saveexec_b64 s[34:35], s[4:5]
	s_cbranch_execz .LBB291_123
; %bb.120:                              ;   in Loop: Header=BB291_10 Depth=1
	v_and_b32_e32 v7, 0xffff, v16
	v_and_b32_e32 v17, 0x7f, v7
	v_cmp_ne_u32_e64 s[4:5], s42, v17
	v_mov_b32_e32 v15, 0x7f800001
	s_and_saveexec_b64 s[36:37], s[4:5]
	s_cbranch_execz .LBB291_122
; %bb.121:                              ;   in Loop: Header=BB291_10 Depth=1
	v_and_b32_e32 v15, 7, v7
	v_lshrrev_b32_e32 v19, 3, v17
	v_cmp_gt_u32_e64 s[4:5], 8, v17
	v_ffbh_u32_e32 v17, v15
	v_min_u32_e32 v22, 32, v17
	v_subrev_u32_e32 v17, 28, v22
	v_lshlrev_b64 v[17:18], v17, v[7:8]
	v_sub_u32_e32 v7, 29, v22
	v_and_b32_e32 v17, 7, v17
	v_cndmask_b32_e64 v7, v19, v7, s[4:5]
	v_cndmask_b32_e64 v15, v15, v17, s[4:5]
	v_lshlrev_b32_e32 v16, 24, v16
	v_lshlrev_b32_e32 v15, 20, v15
	v_and_b32_e32 v16, 0x80000000, v16
	v_lshl_add_u32 v7, v7, 23, v52
	v_or3_b32 v15, v16, v7, v15
.LBB291_122:                            ;   in Loop: Header=BB291_10 Depth=1
	s_or_b64 exec, exec, s[36:37]
.LBB291_123:                            ;   in Loop: Header=BB291_10 Depth=1
	s_or_b64 exec, exec, s[34:35]
.LBB291_124:                            ;   in Loop: Header=BB291_10 Depth=1
	s_or_b64 exec, exec, s[16:17]
	global_load_ubyte v18, v[5:6], off offset:1160
	v_mov_b32_e32 v17, 0
	v_mov_b32_e32 v16, 0
	s_waitcnt vmcnt(0)
	v_cmp_ne_u16_e64 s[4:5], 0, v18
	s_and_saveexec_b64 s[16:17], s[4:5]
	s_cbranch_execz .LBB291_130
; %bb.125:                              ;   in Loop: Header=BB291_10 Depth=1
	v_cmp_ne_u16_e64 s[4:5], s41, v18
	v_bfrev_b32_e32 v16, 1
	s_and_saveexec_b64 s[34:35], s[4:5]
	s_cbranch_execz .LBB291_129
; %bb.126:                              ;   in Loop: Header=BB291_10 Depth=1
	v_and_b32_e32 v7, 0xffff, v18
	v_and_b32_e32 v19, 0x7f, v7
	v_cmp_ne_u32_e64 s[4:5], s42, v19
	v_mov_b32_e32 v16, 0x7f800001
	s_and_saveexec_b64 s[36:37], s[4:5]
	s_cbranch_execz .LBB291_128
; %bb.127:                              ;   in Loop: Header=BB291_10 Depth=1
	v_and_b32_e32 v16, 7, v7
	v_lshrrev_b32_e32 v24, 3, v19
	v_cmp_gt_u32_e64 s[4:5], 8, v19
	v_ffbh_u32_e32 v19, v16
	v_min_u32_e32 v19, 32, v19
	v_subrev_u32_e32 v22, 28, v19
	v_lshlrev_b64 v[22:23], v22, v[7:8]
	v_sub_u32_e32 v7, 29, v19
	v_and_b32_e32 v19, 7, v22
	v_cndmask_b32_e64 v7, v24, v7, s[4:5]
	v_cndmask_b32_e64 v16, v16, v19, s[4:5]
	v_lshlrev_b32_e32 v18, 24, v18
	v_lshlrev_b32_e32 v16, 20, v16
	v_and_b32_e32 v18, 0x80000000, v18
	v_lshl_add_u32 v7, v7, 23, v52
	v_or3_b32 v16, v18, v7, v16
.LBB291_128:                            ;   in Loop: Header=BB291_10 Depth=1
	s_or_b64 exec, exec, s[36:37]
.LBB291_129:                            ;   in Loop: Header=BB291_10 Depth=1
	s_or_b64 exec, exec, s[34:35]
.LBB291_130:                            ;   in Loop: Header=BB291_10 Depth=1
	s_or_b64 exec, exec, s[16:17]
	global_load_ubyte v18, v[5:6], off offset:1280
	s_waitcnt vmcnt(0)
	v_cmp_ne_u16_e64 s[4:5], 0, v18
	s_and_saveexec_b64 s[16:17], s[4:5]
	s_cbranch_execz .LBB291_136
; %bb.131:                              ;   in Loop: Header=BB291_10 Depth=1
	v_cmp_ne_u16_e64 s[4:5], s41, v18
	v_bfrev_b32_e32 v17, 1
	s_and_saveexec_b64 s[34:35], s[4:5]
	s_cbranch_execz .LBB291_135
; %bb.132:                              ;   in Loop: Header=BB291_10 Depth=1
	v_and_b32_e32 v7, 0xffff, v18
	v_and_b32_e32 v19, 0x7f, v7
	v_cmp_ne_u32_e64 s[4:5], s42, v19
	v_mov_b32_e32 v17, 0x7f800001
	s_and_saveexec_b64 s[36:37], s[4:5]
	s_cbranch_execz .LBB291_134
; %bb.133:                              ;   in Loop: Header=BB291_10 Depth=1
	v_and_b32_e32 v17, 7, v7
	v_lshrrev_b32_e32 v24, 3, v19
	v_cmp_gt_u32_e64 s[4:5], 8, v19
	v_ffbh_u32_e32 v19, v17
	v_min_u32_e32 v19, 32, v19
	v_subrev_u32_e32 v22, 28, v19
	v_lshlrev_b64 v[22:23], v22, v[7:8]
	v_sub_u32_e32 v7, 29, v19
	v_and_b32_e32 v19, 7, v22
	v_cndmask_b32_e64 v7, v24, v7, s[4:5]
	v_cndmask_b32_e64 v17, v17, v19, s[4:5]
	v_lshlrev_b32_e32 v18, 24, v18
	v_lshlrev_b32_e32 v17, 20, v17
	v_and_b32_e32 v18, 0x80000000, v18
	v_lshl_add_u32 v7, v7, 23, v52
	v_or3_b32 v17, v18, v7, v17
.LBB291_134:                            ;   in Loop: Header=BB291_10 Depth=1
	s_or_b64 exec, exec, s[36:37]
.LBB291_135:                            ;   in Loop: Header=BB291_10 Depth=1
	s_or_b64 exec, exec, s[34:35]
.LBB291_136:                            ;   in Loop: Header=BB291_10 Depth=1
	s_or_b64 exec, exec, s[16:17]
	global_load_ubyte v22, v[5:6], off offset:1288
	v_mov_b32_e32 v19, 0
	v_mov_b32_e32 v18, 0
	s_waitcnt vmcnt(0)
	v_cmp_ne_u16_e64 s[4:5], 0, v22
	s_and_saveexec_b64 s[16:17], s[4:5]
	s_cbranch_execz .LBB291_142
; %bb.137:                              ;   in Loop: Header=BB291_10 Depth=1
	v_cmp_ne_u16_e64 s[4:5], s41, v22
	v_bfrev_b32_e32 v18, 1
	s_and_saveexec_b64 s[34:35], s[4:5]
	s_cbranch_execz .LBB291_141
; %bb.138:                              ;   in Loop: Header=BB291_10 Depth=1
	v_and_b32_e32 v7, 0xffff, v22
	v_and_b32_e32 v23, 0x7f, v7
	v_cmp_ne_u32_e64 s[4:5], s42, v23
	v_mov_b32_e32 v18, 0x7f800001
	s_and_saveexec_b64 s[36:37], s[4:5]
	s_cbranch_execz .LBB291_140
; %bb.139:                              ;   in Loop: Header=BB291_10 Depth=1
	v_and_b32_e32 v18, 7, v7
	v_lshrrev_b32_e32 v25, 3, v23
	v_cmp_gt_u32_e64 s[4:5], 8, v23
	v_ffbh_u32_e32 v23, v18
	v_min_u32_e32 v26, 32, v23
	v_subrev_u32_e32 v23, 28, v26
	v_lshlrev_b64 v[23:24], v23, v[7:8]
	v_sub_u32_e32 v7, 29, v26
	v_and_b32_e32 v23, 7, v23
	v_cndmask_b32_e64 v7, v25, v7, s[4:5]
	v_cndmask_b32_e64 v18, v18, v23, s[4:5]
	v_lshlrev_b32_e32 v22, 24, v22
	v_lshlrev_b32_e32 v18, 20, v18
	v_and_b32_e32 v22, 0x80000000, v22
	v_lshl_add_u32 v7, v7, 23, v52
	v_or3_b32 v18, v22, v7, v18
.LBB291_140:                            ;   in Loop: Header=BB291_10 Depth=1
	s_or_b64 exec, exec, s[36:37]
.LBB291_141:                            ;   in Loop: Header=BB291_10 Depth=1
	s_or_b64 exec, exec, s[34:35]
.LBB291_142:                            ;   in Loop: Header=BB291_10 Depth=1
	s_or_b64 exec, exec, s[16:17]
	global_load_ubyte v22, v[5:6], off offset:1408
	s_waitcnt vmcnt(0)
	v_cmp_ne_u16_e64 s[4:5], 0, v22
	s_and_saveexec_b64 s[16:17], s[4:5]
	s_cbranch_execz .LBB291_148
; %bb.143:                              ;   in Loop: Header=BB291_10 Depth=1
	v_cmp_ne_u16_e64 s[4:5], s41, v22
	v_bfrev_b32_e32 v19, 1
	s_and_saveexec_b64 s[34:35], s[4:5]
	s_cbranch_execz .LBB291_147
; %bb.144:                              ;   in Loop: Header=BB291_10 Depth=1
	v_and_b32_e32 v7, 0xffff, v22
	v_and_b32_e32 v23, 0x7f, v7
	v_cmp_ne_u32_e64 s[4:5], s42, v23
	v_mov_b32_e32 v19, 0x7f800001
	s_and_saveexec_b64 s[36:37], s[4:5]
	s_cbranch_execz .LBB291_146
; %bb.145:                              ;   in Loop: Header=BB291_10 Depth=1
	v_and_b32_e32 v19, 7, v7
	v_lshrrev_b32_e32 v25, 3, v23
	v_cmp_gt_u32_e64 s[4:5], 8, v23
	v_ffbh_u32_e32 v23, v19
	v_min_u32_e32 v26, 32, v23
	v_subrev_u32_e32 v23, 28, v26
	v_lshlrev_b64 v[23:24], v23, v[7:8]
	v_sub_u32_e32 v7, 29, v26
	v_and_b32_e32 v23, 7, v23
	v_cndmask_b32_e64 v7, v25, v7, s[4:5]
	v_cndmask_b32_e64 v19, v19, v23, s[4:5]
	v_lshlrev_b32_e32 v22, 24, v22
	v_lshlrev_b32_e32 v19, 20, v19
	v_and_b32_e32 v22, 0x80000000, v22
	v_lshl_add_u32 v7, v7, 23, v52
	v_or3_b32 v19, v22, v7, v19
.LBB291_146:                            ;   in Loop: Header=BB291_10 Depth=1
	s_or_b64 exec, exec, s[36:37]
.LBB291_147:                            ;   in Loop: Header=BB291_10 Depth=1
	s_or_b64 exec, exec, s[34:35]
.LBB291_148:                            ;   in Loop: Header=BB291_10 Depth=1
	s_or_b64 exec, exec, s[16:17]
	global_load_ubyte v24, v[5:6], off offset:1416
	v_mov_b32_e32 v23, 0
	v_mov_b32_e32 v22, 0
	s_waitcnt vmcnt(0)
	v_cmp_ne_u16_e64 s[4:5], 0, v24
	s_and_saveexec_b64 s[16:17], s[4:5]
	s_cbranch_execz .LBB291_154
; %bb.149:                              ;   in Loop: Header=BB291_10 Depth=1
	v_cmp_ne_u16_e64 s[4:5], s41, v24
	v_bfrev_b32_e32 v22, 1
	s_and_saveexec_b64 s[34:35], s[4:5]
	s_cbranch_execz .LBB291_153
; %bb.150:                              ;   in Loop: Header=BB291_10 Depth=1
	v_and_b32_e32 v7, 0xffff, v24
	v_and_b32_e32 v25, 0x7f, v7
	v_cmp_ne_u32_e64 s[4:5], s42, v25
	v_mov_b32_e32 v22, 0x7f800001
	s_and_saveexec_b64 s[36:37], s[4:5]
	s_cbranch_execz .LBB291_152
; %bb.151:                              ;   in Loop: Header=BB291_10 Depth=1
	v_and_b32_e32 v22, 7, v7
	v_lshrrev_b32_e32 v27, 3, v25
	v_cmp_gt_u32_e64 s[4:5], 8, v25
	v_ffbh_u32_e32 v25, v22
	v_min_u32_e32 v28, 32, v25
	v_subrev_u32_e32 v25, 28, v28
	v_lshlrev_b64 v[25:26], v25, v[7:8]
	v_sub_u32_e32 v7, 29, v28
	v_and_b32_e32 v25, 7, v25
	v_cndmask_b32_e64 v7, v27, v7, s[4:5]
	v_cndmask_b32_e64 v22, v22, v25, s[4:5]
	v_lshlrev_b32_e32 v24, 24, v24
	v_lshlrev_b32_e32 v22, 20, v22
	v_and_b32_e32 v24, 0x80000000, v24
	v_lshl_add_u32 v7, v7, 23, v52
	v_or3_b32 v22, v24, v7, v22
.LBB291_152:                            ;   in Loop: Header=BB291_10 Depth=1
	s_or_b64 exec, exec, s[36:37]
.LBB291_153:                            ;   in Loop: Header=BB291_10 Depth=1
	s_or_b64 exec, exec, s[34:35]
.LBB291_154:                            ;   in Loop: Header=BB291_10 Depth=1
	s_or_b64 exec, exec, s[16:17]
	global_load_ubyte v24, v[5:6], off offset:1536
	s_waitcnt vmcnt(0)
	v_cmp_ne_u16_e64 s[4:5], 0, v24
	s_and_saveexec_b64 s[16:17], s[4:5]
	s_cbranch_execz .LBB291_160
; %bb.155:                              ;   in Loop: Header=BB291_10 Depth=1
	v_cmp_ne_u16_e64 s[4:5], s41, v24
	v_bfrev_b32_e32 v23, 1
	s_and_saveexec_b64 s[34:35], s[4:5]
	s_cbranch_execz .LBB291_159
; %bb.156:                              ;   in Loop: Header=BB291_10 Depth=1
	v_and_b32_e32 v7, 0xffff, v24
	v_and_b32_e32 v25, 0x7f, v7
	v_cmp_ne_u32_e64 s[4:5], s42, v25
	v_mov_b32_e32 v23, 0x7f800001
	s_and_saveexec_b64 s[36:37], s[4:5]
	s_cbranch_execz .LBB291_158
; %bb.157:                              ;   in Loop: Header=BB291_10 Depth=1
	v_and_b32_e32 v23, 7, v7
	v_lshrrev_b32_e32 v27, 3, v25
	v_cmp_gt_u32_e64 s[4:5], 8, v25
	v_ffbh_u32_e32 v25, v23
	v_min_u32_e32 v28, 32, v25
	v_subrev_u32_e32 v25, 28, v28
	v_lshlrev_b64 v[25:26], v25, v[7:8]
	v_sub_u32_e32 v7, 29, v28
	v_and_b32_e32 v25, 7, v25
	v_cndmask_b32_e64 v7, v27, v7, s[4:5]
	v_cndmask_b32_e64 v23, v23, v25, s[4:5]
	v_lshlrev_b32_e32 v24, 24, v24
	v_lshlrev_b32_e32 v23, 20, v23
	v_and_b32_e32 v24, 0x80000000, v24
	v_lshl_add_u32 v7, v7, 23, v52
	v_or3_b32 v23, v24, v7, v23
.LBB291_158:                            ;   in Loop: Header=BB291_10 Depth=1
	s_or_b64 exec, exec, s[36:37]
.LBB291_159:                            ;   in Loop: Header=BB291_10 Depth=1
	s_or_b64 exec, exec, s[34:35]
.LBB291_160:                            ;   in Loop: Header=BB291_10 Depth=1
	s_or_b64 exec, exec, s[16:17]
	global_load_ubyte v26, v[5:6], off offset:1544
	v_mov_b32_e32 v25, 0
	v_mov_b32_e32 v24, 0
	s_waitcnt vmcnt(0)
	v_cmp_ne_u16_e64 s[4:5], 0, v26
	s_and_saveexec_b64 s[16:17], s[4:5]
	s_cbranch_execz .LBB291_166
; %bb.161:                              ;   in Loop: Header=BB291_10 Depth=1
	v_cmp_ne_u16_e64 s[4:5], s41, v26
	v_bfrev_b32_e32 v24, 1
	s_and_saveexec_b64 s[34:35], s[4:5]
	s_cbranch_execz .LBB291_165
; %bb.162:                              ;   in Loop: Header=BB291_10 Depth=1
	v_and_b32_e32 v7, 0xffff, v26
	v_and_b32_e32 v27, 0x7f, v7
	v_cmp_ne_u32_e64 s[4:5], s42, v27
	v_mov_b32_e32 v24, 0x7f800001
	s_and_saveexec_b64 s[36:37], s[4:5]
	s_cbranch_execz .LBB291_164
; %bb.163:                              ;   in Loop: Header=BB291_10 Depth=1
	v_and_b32_e32 v24, 7, v7
	v_lshrrev_b32_e32 v29, 3, v27
	v_cmp_gt_u32_e64 s[4:5], 8, v27
	v_ffbh_u32_e32 v27, v24
	v_min_u32_e32 v30, 32, v27
	v_subrev_u32_e32 v27, 28, v30
	v_lshlrev_b64 v[27:28], v27, v[7:8]
	v_sub_u32_e32 v7, 29, v30
	v_and_b32_e32 v27, 7, v27
	v_cndmask_b32_e64 v7, v29, v7, s[4:5]
	v_cndmask_b32_e64 v24, v24, v27, s[4:5]
	v_lshlrev_b32_e32 v26, 24, v26
	v_lshlrev_b32_e32 v24, 20, v24
	v_and_b32_e32 v26, 0x80000000, v26
	v_lshl_add_u32 v7, v7, 23, v52
	v_or3_b32 v24, v26, v7, v24
.LBB291_164:                            ;   in Loop: Header=BB291_10 Depth=1
	s_or_b64 exec, exec, s[36:37]
.LBB291_165:                            ;   in Loop: Header=BB291_10 Depth=1
	s_or_b64 exec, exec, s[34:35]
.LBB291_166:                            ;   in Loop: Header=BB291_10 Depth=1
	s_or_b64 exec, exec, s[16:17]
	global_load_ubyte v26, v[5:6], off offset:1664
	s_waitcnt vmcnt(0)
	v_cmp_ne_u16_e64 s[4:5], 0, v26
	s_and_saveexec_b64 s[16:17], s[4:5]
	s_cbranch_execz .LBB291_172
; %bb.167:                              ;   in Loop: Header=BB291_10 Depth=1
	v_cmp_ne_u16_e64 s[4:5], s41, v26
	v_bfrev_b32_e32 v25, 1
	s_and_saveexec_b64 s[34:35], s[4:5]
	s_cbranch_execz .LBB291_171
; %bb.168:                              ;   in Loop: Header=BB291_10 Depth=1
	v_and_b32_e32 v7, 0xffff, v26
	v_and_b32_e32 v27, 0x7f, v7
	v_cmp_ne_u32_e64 s[4:5], s42, v27
	v_mov_b32_e32 v25, 0x7f800001
	s_and_saveexec_b64 s[36:37], s[4:5]
	s_cbranch_execz .LBB291_170
; %bb.169:                              ;   in Loop: Header=BB291_10 Depth=1
	v_and_b32_e32 v25, 7, v7
	v_lshrrev_b32_e32 v29, 3, v27
	v_cmp_gt_u32_e64 s[4:5], 8, v27
	v_ffbh_u32_e32 v27, v25
	v_min_u32_e32 v30, 32, v27
	v_subrev_u32_e32 v27, 28, v30
	v_lshlrev_b64 v[27:28], v27, v[7:8]
	v_sub_u32_e32 v7, 29, v30
	v_and_b32_e32 v27, 7, v27
	v_cndmask_b32_e64 v7, v29, v7, s[4:5]
	v_cndmask_b32_e64 v25, v25, v27, s[4:5]
	v_lshlrev_b32_e32 v26, 24, v26
	v_lshlrev_b32_e32 v25, 20, v25
	v_and_b32_e32 v26, 0x80000000, v26
	v_lshl_add_u32 v7, v7, 23, v52
	v_or3_b32 v25, v26, v7, v25
.LBB291_170:                            ;   in Loop: Header=BB291_10 Depth=1
	s_or_b64 exec, exec, s[36:37]
.LBB291_171:                            ;   in Loop: Header=BB291_10 Depth=1
	s_or_b64 exec, exec, s[34:35]
.LBB291_172:                            ;   in Loop: Header=BB291_10 Depth=1
	s_or_b64 exec, exec, s[16:17]
	global_load_ubyte v28, v[5:6], off offset:1672
	v_mov_b32_e32 v27, 0
	v_mov_b32_e32 v26, 0
	s_waitcnt vmcnt(0)
	v_cmp_ne_u16_e64 s[4:5], 0, v28
	s_and_saveexec_b64 s[16:17], s[4:5]
	s_cbranch_execz .LBB291_178
; %bb.173:                              ;   in Loop: Header=BB291_10 Depth=1
	v_cmp_ne_u16_e64 s[4:5], s41, v28
	v_bfrev_b32_e32 v26, 1
	s_and_saveexec_b64 s[34:35], s[4:5]
	s_cbranch_execz .LBB291_177
; %bb.174:                              ;   in Loop: Header=BB291_10 Depth=1
	v_and_b32_e32 v7, 0xffff, v28
	v_and_b32_e32 v29, 0x7f, v7
	v_cmp_ne_u32_e64 s[4:5], s42, v29
	v_mov_b32_e32 v26, 0x7f800001
	s_and_saveexec_b64 s[36:37], s[4:5]
	s_cbranch_execz .LBB291_176
; %bb.175:                              ;   in Loop: Header=BB291_10 Depth=1
	v_and_b32_e32 v26, 7, v7
	v_lshrrev_b32_e32 v31, 3, v29
	v_cmp_gt_u32_e64 s[4:5], 8, v29
	v_ffbh_u32_e32 v29, v26
	v_min_u32_e32 v32, 32, v29
	v_subrev_u32_e32 v29, 28, v32
	v_lshlrev_b64 v[29:30], v29, v[7:8]
	v_sub_u32_e32 v7, 29, v32
	v_and_b32_e32 v29, 7, v29
	v_cndmask_b32_e64 v7, v31, v7, s[4:5]
	v_cndmask_b32_e64 v26, v26, v29, s[4:5]
	v_lshlrev_b32_e32 v28, 24, v28
	v_lshlrev_b32_e32 v26, 20, v26
	v_and_b32_e32 v28, 0x80000000, v28
	v_lshl_add_u32 v7, v7, 23, v52
	v_or3_b32 v26, v28, v7, v26
.LBB291_176:                            ;   in Loop: Header=BB291_10 Depth=1
	s_or_b64 exec, exec, s[36:37]
.LBB291_177:                            ;   in Loop: Header=BB291_10 Depth=1
	s_or_b64 exec, exec, s[34:35]
.LBB291_178:                            ;   in Loop: Header=BB291_10 Depth=1
	s_or_b64 exec, exec, s[16:17]
	global_load_ubyte v28, v[5:6], off offset:1792
	s_waitcnt vmcnt(0)
	v_cmp_ne_u16_e64 s[4:5], 0, v28
	s_and_saveexec_b64 s[16:17], s[4:5]
	s_cbranch_execz .LBB291_184
; %bb.179:                              ;   in Loop: Header=BB291_10 Depth=1
	v_cmp_ne_u16_e64 s[4:5], s41, v28
	v_bfrev_b32_e32 v27, 1
	s_and_saveexec_b64 s[34:35], s[4:5]
	s_cbranch_execz .LBB291_183
; %bb.180:                              ;   in Loop: Header=BB291_10 Depth=1
	v_and_b32_e32 v7, 0xffff, v28
	v_and_b32_e32 v29, 0x7f, v7
	v_cmp_ne_u32_e64 s[4:5], s42, v29
	v_mov_b32_e32 v27, 0x7f800001
	s_and_saveexec_b64 s[36:37], s[4:5]
	s_cbranch_execz .LBB291_182
; %bb.181:                              ;   in Loop: Header=BB291_10 Depth=1
	v_and_b32_e32 v27, 7, v7
	v_lshrrev_b32_e32 v31, 3, v29
	v_cmp_gt_u32_e64 s[4:5], 8, v29
	v_ffbh_u32_e32 v29, v27
	v_min_u32_e32 v32, 32, v29
	v_subrev_u32_e32 v29, 28, v32
	v_lshlrev_b64 v[29:30], v29, v[7:8]
	v_sub_u32_e32 v7, 29, v32
	v_and_b32_e32 v29, 7, v29
	v_cndmask_b32_e64 v7, v31, v7, s[4:5]
	v_cndmask_b32_e64 v27, v27, v29, s[4:5]
	v_lshlrev_b32_e32 v28, 24, v28
	v_lshlrev_b32_e32 v27, 20, v27
	v_and_b32_e32 v28, 0x80000000, v28
	v_lshl_add_u32 v7, v7, 23, v52
	v_or3_b32 v27, v28, v7, v27
.LBB291_182:                            ;   in Loop: Header=BB291_10 Depth=1
	s_or_b64 exec, exec, s[36:37]
.LBB291_183:                            ;   in Loop: Header=BB291_10 Depth=1
	s_or_b64 exec, exec, s[34:35]
.LBB291_184:                            ;   in Loop: Header=BB291_10 Depth=1
	s_or_b64 exec, exec, s[16:17]
	global_load_ubyte v28, v[5:6], off offset:1800
	v_mov_b32_e32 v30, 0
	v_mov_b32_e32 v29, 0
	s_waitcnt vmcnt(0)
	v_cmp_ne_u16_e64 s[4:5], 0, v28
	s_and_saveexec_b64 s[16:17], s[4:5]
	s_cbranch_execz .LBB291_190
; %bb.185:                              ;   in Loop: Header=BB291_10 Depth=1
	v_cmp_ne_u16_e64 s[4:5], s41, v28
	v_bfrev_b32_e32 v29, 1
	s_and_saveexec_b64 s[34:35], s[4:5]
	s_cbranch_execz .LBB291_189
; %bb.186:                              ;   in Loop: Header=BB291_10 Depth=1
	v_and_b32_e32 v7, 0xffff, v28
	v_and_b32_e32 v31, 0x7f, v7
	v_cmp_ne_u32_e64 s[4:5], s42, v31
	v_mov_b32_e32 v29, 0x7f800001
	s_and_saveexec_b64 s[36:37], s[4:5]
	s_cbranch_execz .LBB291_188
; %bb.187:                              ;   in Loop: Header=BB291_10 Depth=1
	v_and_b32_e32 v29, 7, v7
	v_lshrrev_b32_e32 v33, 3, v31
	v_cmp_gt_u32_e64 s[4:5], 8, v31
	v_ffbh_u32_e32 v31, v29
	v_min_u32_e32 v34, 32, v31
	v_subrev_u32_e32 v31, 28, v34
	v_lshlrev_b64 v[31:32], v31, v[7:8]
	v_sub_u32_e32 v7, 29, v34
	v_and_b32_e32 v31, 7, v31
	v_cndmask_b32_e64 v7, v33, v7, s[4:5]
	v_cndmask_b32_e64 v29, v29, v31, s[4:5]
	v_lshlrev_b32_e32 v28, 24, v28
	v_lshlrev_b32_e32 v29, 20, v29
	v_and_b32_e32 v28, 0x80000000, v28
	v_lshl_add_u32 v7, v7, 23, v52
	v_or3_b32 v29, v28, v7, v29
.LBB291_188:                            ;   in Loop: Header=BB291_10 Depth=1
	s_or_b64 exec, exec, s[36:37]
.LBB291_189:                            ;   in Loop: Header=BB291_10 Depth=1
	s_or_b64 exec, exec, s[34:35]
.LBB291_190:                            ;   in Loop: Header=BB291_10 Depth=1
	s_or_b64 exec, exec, s[16:17]
	global_load_ubyte v28, v[5:6], off offset:1920
	s_waitcnt vmcnt(0)
	v_cmp_ne_u16_e64 s[4:5], 0, v28
	s_and_saveexec_b64 s[16:17], s[4:5]
	s_cbranch_execz .LBB291_196
; %bb.191:                              ;   in Loop: Header=BB291_10 Depth=1
	v_cmp_ne_u16_e64 s[4:5], s41, v28
	v_bfrev_b32_e32 v30, 1
	s_and_saveexec_b64 s[34:35], s[4:5]
	s_cbranch_execz .LBB291_195
; %bb.192:                              ;   in Loop: Header=BB291_10 Depth=1
	v_and_b32_e32 v7, 0xffff, v28
	v_and_b32_e32 v31, 0x7f, v7
	v_cmp_ne_u32_e64 s[4:5], s42, v31
	v_mov_b32_e32 v30, 0x7f800001
	s_and_saveexec_b64 s[36:37], s[4:5]
	s_cbranch_execz .LBB291_194
; %bb.193:                              ;   in Loop: Header=BB291_10 Depth=1
	v_and_b32_e32 v32, 7, v7
	v_ffbh_u32_e32 v30, v32
	v_min_u32_e32 v34, 32, v30
	v_subrev_u32_e32 v30, 28, v34
	v_lshrrev_b32_e32 v33, 3, v31
	v_cmp_gt_u32_e64 s[4:5], 8, v31
	v_lshlrev_b64 v[30:31], v30, v[7:8]
	v_sub_u32_e32 v7, 29, v34
	v_and_b32_e32 v30, 7, v30
	v_cndmask_b32_e64 v7, v33, v7, s[4:5]
	v_cndmask_b32_e64 v30, v32, v30, s[4:5]
	v_lshlrev_b32_e32 v28, 24, v28
	v_lshlrev_b32_e32 v30, 20, v30
	v_and_b32_e32 v28, 0x80000000, v28
	v_lshl_add_u32 v7, v7, 23, v52
	v_or3_b32 v30, v28, v7, v30
.LBB291_194:                            ;   in Loop: Header=BB291_10 Depth=1
	s_or_b64 exec, exec, s[36:37]
.LBB291_195:                            ;   in Loop: Header=BB291_10 Depth=1
	s_or_b64 exec, exec, s[34:35]
.LBB291_196:                            ;   in Loop: Header=BB291_10 Depth=1
	s_or_b64 exec, exec, s[16:17]
	global_load_ubyte v6, v[5:6], off offset:1928
	v_mov_b32_e32 v28, 0
	s_waitcnt vmcnt(0)
	v_cmp_ne_u16_e64 s[4:5], 0, v6
	s_and_saveexec_b64 s[16:17], s[4:5]
	s_cbranch_execz .LBB291_202
; %bb.197:                              ;   in Loop: Header=BB291_10 Depth=1
	v_cmp_ne_u16_e64 s[4:5], s41, v6
	v_bfrev_b32_e32 v28, 1
	s_and_saveexec_b64 s[34:35], s[4:5]
	s_cbranch_execz .LBB291_201
; %bb.198:                              ;   in Loop: Header=BB291_10 Depth=1
	v_and_b32_e32 v5, 0xffff, v6
	v_and_b32_e32 v7, 0x7f, v5
	v_cmp_ne_u32_e64 s[4:5], s42, v7
	v_mov_b32_e32 v28, 0x7f800001
	s_and_saveexec_b64 s[36:37], s[4:5]
	s_cbranch_execz .LBB291_200
; %bb.199:                              ;   in Loop: Header=BB291_10 Depth=1
	v_and_b32_e32 v28, 7, v5
	v_lshrrev_b32_e32 v33, 3, v7
	v_cmp_gt_u32_e64 s[4:5], 8, v7
	v_ffbh_u32_e32 v7, v28
	v_min_u32_e32 v7, 32, v7
	v_subrev_u32_e32 v31, 28, v7
	v_lshlrev_b64 v[31:32], v31, v[5:6]
	v_sub_u32_e32 v5, 29, v7
	v_and_b32_e32 v7, 7, v31
	v_cndmask_b32_e64 v5, v33, v5, s[4:5]
	v_cndmask_b32_e64 v7, v28, v7, s[4:5]
	v_lshlrev_b32_e32 v6, 24, v6
	v_lshlrev_b32_e32 v7, 20, v7
	v_and_b32_e32 v6, 0x80000000, v6
	v_lshl_add_u32 v5, v5, 23, v52
	v_or3_b32 v28, v6, v5, v7
.LBB291_200:                            ;   in Loop: Header=BB291_10 Depth=1
	s_or_b64 exec, exec, s[36:37]
.LBB291_201:                            ;   in Loop: Header=BB291_10 Depth=1
	s_or_b64 exec, exec, s[34:35]
.LBB291_202:                            ;   in Loop: Header=BB291_10 Depth=1
	s_or_b64 exec, exec, s[16:17]
	v_mul_f32_e32 v5, s40, v30
	v_bfe_u32 v6, v5, 16, 1
	v_add3_u32 v6, v6, v5, s43
	v_or_b32_e32 v7, 0x400000, v5
	v_cmp_u_f32_e64 s[4:5], v5, v5
	v_cndmask_b32_e64 v5, v6, v7, s[4:5]
	v_mul_f32_e32 v6, s40, v29
	v_bfe_u32 v7, v6, 16, 1
	v_add3_u32 v7, v7, v6, s43
	v_or_b32_e32 v29, 0x400000, v6
	v_cmp_u_f32_e64 s[4:5], v6, v6
	v_cndmask_b32_e64 v6, v7, v29, s[4:5]
	v_mul_f32_e32 v7, s40, v27
	v_bfe_u32 v27, v7, 16, 1
	v_add3_u32 v27, v27, v7, s43
	v_or_b32_e32 v29, 0x400000, v7
	v_cmp_u_f32_e64 s[4:5], v7, v7
	v_mul_f32_e32 v26, s40, v26
	v_cndmask_b32_e64 v7, v27, v29, s[4:5]
	v_bfe_u32 v27, v26, 16, 1
	v_add3_u32 v27, v27, v26, s43
	v_or_b32_e32 v29, 0x400000, v26
	v_cmp_u_f32_e64 s[4:5], v26, v26
	v_mul_f32_e32 v25, s40, v25
	v_cndmask_b32_e64 v26, v27, v29, s[4:5]
	;; [unrolled: 6-line block ×18, first 2 shown]
	v_bfe_u32 v27, v8, 16, 1
	v_add3_u32 v27, v27, v8, s43
	v_or_b32_e32 v29, 0x400000, v8
	v_cmp_u_f32_e64 s[4:5], v8, v8
	v_cndmask_b32_e64 v8, v27, v29, s[4:5]
	v_mul_f32_e32 v27, s40, v63
	v_bfe_u32 v29, v27, 16, 1
	v_add3_u32 v29, v29, v27, s43
	v_or_b32_e32 v30, 0x400000, v27
	v_cmp_u_f32_e64 s[4:5], v27, v27
	v_cndmask_b32_e64 v27, v29, v30, s[4:5]
	v_mul_f32_e32 v29, s40, v62
	;; [unrolled: 6-line block ×7, first 2 shown]
	v_bfe_u32 v57, v34, 16, 1
	v_add3_u32 v57, v57, v34, s43
	v_or_b32_e32 v58, 0x400000, v34
	v_cmp_u_f32_e64 s[4:5], v34, v34
	v_mul_f32_e32 v56, s40, v56
	v_cndmask_b32_e64 v34, v57, v58, s[4:5]
	v_bfe_u32 v57, v56, 16, 1
	v_add3_u32 v57, v57, v56, s43
	v_or_b32_e32 v58, 0x400000, v56
	v_cmp_u_f32_e64 s[4:5], v56, v56
	v_mul_f32_e32 v55, s40, v55
	v_cndmask_b32_e64 v56, v57, v58, s[4:5]
	;; [unrolled: 6-line block ×4, first 2 shown]
	v_bfe_u32 v57, v28, 16, 1
	v_add3_u32 v57, v57, v28, s43
	v_or_b32_e32 v58, 0x400000, v28
	v_cmp_u_f32_e64 s[4:5], v28, v28
	v_cndmask_b32_e64 v28, v57, v58, s[4:5]
	buffer_load_dword v57, off, s[44:47], 0 offset:8 ; 4-byte Folded Reload
	v_and_b32_e32 v55, 0xffff0000, v55
	v_and_b32_e32 v54, 0xffff0000, v54
	;; [unrolled: 1-line block ×11, first 2 shown]
	s_waitcnt vmcnt(0)
	v_mul_f32_e32 v55, v57, v55
	buffer_load_dword v57, off, s[44:47], 0 ; 4-byte Folded Reload
	s_waitcnt vmcnt(0)
	v_fmac_f32_e32 v55, v57, v54
	v_and_b32_e32 v54, 0xffff0000, v56
	buffer_load_dword v56, off, s[44:47], 0 offset:12 ; 4-byte Folded Reload
	s_waitcnt vmcnt(0)
	v_fmac_f32_e32 v55, v56, v54
	buffer_load_dword v54, off, s[44:47], 0 offset:16 ; 4-byte Folded Reload
	s_waitcnt vmcnt(0)
	v_fmac_f32_e32 v55, v54, v34
	;; [unrolled: 3-line block ×9, first 2 shown]
	v_and_b32_e32 v8, 0xffff0000, v20
	buffer_load_dword v20, off, s[44:47], 0 offset:48 ; 4-byte Folded Reload
	s_waitcnt vmcnt(0)
	v_fmac_f32_e32 v55, v20, v8
	v_and_b32_e32 v8, 0xffff0000, v11
	buffer_load_dword v11, off, s[44:47], 0 offset:52 ; 4-byte Folded Reload
	s_waitcnt vmcnt(0)
	v_fmac_f32_e32 v55, v11, v8
	;; [unrolled: 4-line block ×3, first 2 shown]
	buffer_load_dword v8, off, s[44:47], 0 offset:60 ; 4-byte Folded Reload
	s_waitcnt vmcnt(0)
	v_fmac_f32_e32 v55, v8, v0
	buffer_load_dword v8, off, s[44:47], 0 offset:64 ; 4-byte Folded Reload
	v_and_b32_e32 v0, 0xffff0000, v12
	s_waitcnt vmcnt(0)
	v_fmac_f32_e32 v55, v8, v0
	buffer_load_dword v8, off, s[44:47], 0 offset:68 ; 4-byte Folded Reload
	v_and_b32_e32 v0, 0xffff0000, v13
	;; [unrolled: 4-line block ×6, first 2 shown]
	s_waitcnt vmcnt(0)
	v_fmac_f32_e32 v55, v8, v0
	v_and_b32_e32 v0, 0xffff0000, v18
	v_fmac_f32_e32 v55, v35, v0
	v_and_b32_e32 v0, 0xffff0000, v19
	;; [unrolled: 2-line block ×11, first 2 shown]
	v_fmac_f32_e32 v55, v45, v0
	ds_bpermute_b32 v0, v47, v55
	s_waitcnt lgkmcnt(0)
	v_add_f32_e32 v0, v55, v0
	ds_bpermute_b32 v5, v48, v0
	s_waitcnt lgkmcnt(0)
	v_add_f32_e32 v0, v0, v5
	ds_bpermute_b32 v5, v49, v0
	s_and_saveexec_b64 s[16:17], vcc
	s_cbranch_execz .LBB291_9
; %bb.203:                              ;   in Loop: Header=BB291_10 Depth=1
	v_add_u32_e32 v6, s38, v50
	v_cvt_f32_i32_e32 v6, v6
	s_waitcnt lgkmcnt(0)
	v_add_f32_e32 v0, v0, v5
	v_cmp_gt_i32_e64 s[4:5], s30, v50
	v_max_f32_e32 v5, v46, v46
	v_mul_f32_e32 v6, s33, v6
	v_cndmask_b32_e64 v6, 0, v6, s[2:3]
	v_fmac_f32_e32 v6, s31, v0
	v_cndmask_b32_e64 v0, 0, v6, s[4:5]
	ds_write_b32 v51, v0
	v_max_f32_e32 v0, v5, v6
	v_cndmask_b32_e64 v46, v46, v0, s[4:5]
	s_branch .LBB291_9
.LBB291_204:
	s_or_b64 exec, exec, s[14:15]
	buffer_load_dword v13, off, s[44:47], 0 offset:96 ; 4-byte Folded Reload
	v_and_b32_e32 v8, 64, v9
	v_add_u32_e32 v14, 64, v8
.LBB291_205:
	s_or_b64 exec, exec, s[6:7]
	v_xor_b32_e32 v0, 32, v9
	v_cmp_lt_i32_e32 vcc, v0, v14
	v_cndmask_b32_e32 v0, v9, v0, vcc
	v_lshlrev_b32_e32 v1, 2, v0
	ds_bpermute_b32 v0, v1, v46
	v_xor_b32_e32 v3, 16, v9
	v_max_f32_e32 v2, v46, v46
	v_cmp_lt_i32_e32 vcc, v3, v14
	v_xor_b32_e32 v4, 8, v9
	s_waitcnt lgkmcnt(0)
	v_max_f32_e32 v0, v0, v0
	v_max_f32_e32 v0, v2, v0
	v_cndmask_b32_e32 v2, v9, v3, vcc
	v_lshlrev_b32_e32 v3, 2, v2
	ds_bpermute_b32 v2, v3, v0
	v_cmp_lt_i32_e32 vcc, v4, v14
	s_waitcnt lgkmcnt(0)
	v_max_f32_e32 v2, v2, v2
	v_max_f32_e32 v2, v0, v2
	v_cndmask_b32_e32 v0, v9, v4, vcc
	v_lshlrev_b32_e32 v5, 2, v0
	buffer_load_dword v0, off, s[44:47], 0 offset:88 ; 4-byte Folded Reload
	ds_bpermute_b32 v4, v5, v2
	s_waitcnt vmcnt(0)
	v_and_b32_e32 v12, 63, v0
	v_cmp_eq_u32_e32 vcc, 0, v12
	v_lshlrev_b32_e32 v0, 2, v21
	s_and_saveexec_b64 s[2:3], vcc
	s_cbranch_execz .LBB291_207
; %bb.206:
	s_waitcnt lgkmcnt(0)
	v_max_f32_e32 v4, v4, v4
	v_max_f32_e32 v2, v2, v2
	;; [unrolled: 1-line block ×3, first 2 shown]
	ds_write_b32 v0, v2 offset:512
.LBB291_207:
	s_or_b64 exec, exec, s[2:3]
	v_cmp_gt_u32_e64 s[2:3], 2, v12
	v_mov_b32_e32 v6, 0xff7fffff
	v_lshlrev_b32_e32 v2, 2, v12
	s_waitcnt lgkmcnt(0)
	s_barrier
	s_and_saveexec_b64 s[4:5], s[2:3]
; %bb.208:
	ds_read_b32 v6, v2 offset:512
; %bb.209:
	s_or_b64 exec, exec, s[4:5]
	v_xor_b32_e32 v4, 1, v9
	v_cmp_lt_i32_e64 s[4:5], v4, v14
	v_cndmask_b32_e64 v4, v9, v4, s[4:5]
	v_lshlrev_b32_e32 v4, 2, v4
	s_waitcnt lgkmcnt(0)
	ds_bpermute_b32 v7, v4, v6
	v_max_f32_e32 v6, v6, v6
	s_lshl_b32 s4, s21, 3
	s_min_i32 s31, s4, s30
	s_waitcnt lgkmcnt(0)
	v_max_f32_e32 v7, v7, v7
	v_max_f32_e32 v6, v6, v7
	v_lshlrev_b32_e32 v7, 2, v8
	ds_bpermute_b32 v7, v7, v6
	buffer_load_dword v6, off, s[44:47], 0 offset:88 ; 4-byte Folded Reload
	s_waitcnt vmcnt(0)
	v_cmp_gt_i32_e64 s[4:5], s31, v6
	v_mov_b32_e32 v6, 0
	s_and_saveexec_b64 s[14:15], s[4:5]
	s_cbranch_execz .LBB291_213
; %bb.210:
	buffer_load_dword v10, off, s[44:47], 0 offset:88 ; 4-byte Folded Reload
	v_mov_b32_e32 v6, 0x210
	s_mov_b64 s[16:17], 0
	s_waitcnt vmcnt(0)
	v_lshl_add_u32 v8, v10, 2, v6
	v_mov_b32_e32 v6, 0
.LBB291_211:                            ; =>This Inner Loop Header: Depth=1
	ds_read_b32 v11, v8
	v_add_u32_e32 v10, 0x80, v10
	v_cmp_le_i32_e64 s[6:7], s31, v10
	s_or_b64 s[16:17], s[6:7], s[16:17]
	s_waitcnt lgkmcnt(0)
	v_sub_f32_e32 v11, v11, v7
	v_mul_f32_e32 v11, 0x3fb8aa3b, v11
	v_exp_f32_e32 v11, v11
	ds_write_b32 v8, v11
	v_add_f32_e32 v6, v6, v11
	v_add_u32_e32 v8, 0x200, v8
	s_andn2_b64 exec, exec, s[16:17]
	s_cbranch_execnz .LBB291_211
; %bb.212:
	s_or_b64 exec, exec, s[16:17]
.LBB291_213:
	s_or_b64 exec, exec, s[14:15]
	ds_bpermute_b32 v1, v1, v6
	s_waitcnt lgkmcnt(0)
	v_add_f32_e32 v1, v6, v1
	ds_bpermute_b32 v3, v3, v1
	s_waitcnt lgkmcnt(0)
	v_add_f32_e32 v1, v1, v3
	ds_bpermute_b32 v3, v5, v1
	v_xor_b32_e32 v5, 4, v9
	v_cmp_lt_i32_e64 s[6:7], v5, v14
	v_cndmask_b32_e64 v5, v9, v5, s[6:7]
	v_lshlrev_b32_e32 v5, 2, v5
	s_waitcnt lgkmcnt(0)
	v_add_f32_e32 v1, v1, v3
	ds_bpermute_b32 v3, v5, v1
	v_xor_b32_e32 v5, 2, v9
	v_cmp_lt_i32_e64 s[6:7], v5, v14
	v_cndmask_b32_e64 v5, v9, v5, s[6:7]
	s_waitcnt lgkmcnt(0)
	v_add_f32_e32 v1, v1, v3
	v_lshlrev_b32_e32 v3, 2, v5
	ds_bpermute_b32 v3, v3, v1
	s_waitcnt lgkmcnt(0)
	v_add_f32_e32 v1, v1, v3
	ds_bpermute_b32 v3, v4, v1
	s_waitcnt lgkmcnt(0)
	v_add_f32_e32 v1, v1, v3
	s_and_saveexec_b64 s[6:7], vcc
; %bb.214:
	ds_write_b32 v0, v1 offset:520
; %bb.215:
	s_or_b64 exec, exec, s[6:7]
	s_waitcnt lgkmcnt(0)
	s_barrier
	s_and_saveexec_b64 s[6:7], s[2:3]
; %bb.216:
	ds_read_b32 v1, v2 offset:520
; %bb.217:
	s_or_b64 exec, exec, s[6:7]
	s_waitcnt lgkmcnt(0)
	ds_bpermute_b32 v0, v4, v1
	v_lshlrev_b32_e32 v2, 2, v9
	s_waitcnt lgkmcnt(0)
	v_add_f32_e32 v0, v1, v0
	v_and_b32_e32 v1, 0xffffff00, v2
	ds_bpermute_b32 v0, v1, v0
	s_and_saveexec_b64 s[2:3], s[4:5]
	s_cbranch_execz .LBB291_220
; %bb.218:
	s_waitcnt lgkmcnt(0)
	v_add_f32_e32 v1, 0x358637bd, v0
	v_div_scale_f32 v0, s[4:5], v1, v1, 1.0
	v_div_scale_f32 v2, vcc, 1.0, v1, 1.0
	s_mov_b64 s[4:5], 0
	v_rcp_f32_e32 v3, v0
	v_fma_f32 v4, -v0, v3, 1.0
	v_fmac_f32_e32 v3, v4, v3
	v_mul_f32_e32 v4, v2, v3
	v_fma_f32 v5, -v0, v4, v2
	v_fmac_f32_e32 v4, v5, v3
	v_fma_f32 v0, -v0, v4, v2
	v_div_fmas_f32 v2, v0, v3, v4
	buffer_load_dword v3, off, s[44:47], 0 offset:88 ; 4-byte Folded Reload
	v_mov_b32_e32 v0, 0x210
	v_div_fixup_f32 v1, v2, v1, 1.0
	s_waitcnt vmcnt(0)
	v_lshl_add_u32 v0, v3, 2, v0
	v_mov_b32_e32 v2, v3
.LBB291_219:                            ; =>This Inner Loop Header: Depth=1
	ds_read_b32 v3, v0
	v_add_u32_e32 v2, 0x80, v2
	v_cmp_le_i32_e32 vcc, s31, v2
	s_or_b64 s[4:5], vcc, s[4:5]
	s_waitcnt lgkmcnt(0)
	v_mul_f32_e32 v3, v1, v3
	ds_write_b32 v0, v3
	v_add_u32_e32 v0, 0x200, v0
	s_andn2_b64 exec, exec, s[4:5]
	s_cbranch_execnz .LBB291_219
.LBB291_220:
	s_or_b64 exec, exec, s[2:3]
	v_mov_b32_e32 v26, 0
	v_mov_b32_e32 v25, 0
	;; [unrolled: 1-line block ×4, first 2 shown]
	s_waitcnt lgkmcnt(0)
	s_barrier
	s_and_saveexec_b64 s[2:3], s[0:1]
	s_cbranch_execz .LBB291_424
; %bb.221:
	s_ashr_i32 s0, s12, 31
	s_add_u32 s1, s28, s12
	s_addc_u32 s0, s29, s0
	v_lshlrev_b32_e32 v0, 3, v12
	v_mov_b32_e32 v1, s0
	v_add_co_u32_e32 v0, vcc, s1, v0
	v_addc_co_u32_e32 v1, vcc, 0, v1, vcc
	buffer_store_dword v12, off, s[44:47], 0 offset:8 ; 4-byte Folded Spill
	s_load_dword s18, s[18:19], 0x0
	s_add_i32 s19, s21, -1
	buffer_store_dword v0, off, s[44:47], 0 ; 4-byte Folded Spill
	s_nop 0
	buffer_store_dword v1, off, s[44:47], 0 offset:4 ; 4-byte Folded Spill
	s_lshl_b64 s[0:1], s[26:27], 2
	v_mov_b32_e32 v0, 0x210
	s_add_u32 s0, s24, s0
	v_lshl_add_u32 v28, v21, 5, v0
	v_and_b32_e32 v0, 60, v13
	s_addc_u32 s1, s25, s1
	s_mov_b32 s4, -1
	v_mov_b32_e32 v1, s1
	v_add_co_u32_e32 v13, vcc, s0, v0
	s_mov_b32 s31, s13
	s_mov_b32 s5, 0xffffff
	v_mov_b32_e32 v10, 0
	v_lshl_or_b32 v27, v21, 3, 7
	v_addc_co_u32_e32 v14, vcc, 0, v1, vcc
	s_mov_b64 s[6:7], 0
	s_movk_i32 s24, 0x80
	s_movk_i32 s25, 0x7f
	;; [unrolled: 1-line block ×3, first 2 shown]
	v_mov_b32_e32 v23, 0
	v_mov_b32_e32 v24, 0
	;; [unrolled: 1-line block ×4, first 2 shown]
	s_branch .LBB291_223
.LBB291_222:                            ;   in Loop: Header=BB291_223 Depth=1
	s_or_b64 exec, exec, s[0:1]
	v_bfe_u32 v11, v5, 16, 1
	v_add3_u32 v11, v11, v5, s26
	v_or_b32_e32 v12, 0x400000, v5
	v_cmp_u_f32_e32 vcc, v5, v5
	v_cndmask_b32_e32 v5, v11, v12, vcc
	v_bfe_u32 v11, v6, 16, 1
	v_add3_u32 v11, v11, v6, s26
	v_or_b32_e32 v12, 0x400000, v6
	v_cmp_u_f32_e32 vcc, v6, v6
	v_cndmask_b32_e32 v6, v11, v12, vcc
	;; [unrolled: 5-line block ×4, first 2 shown]
	v_bfe_u32 v11, v1, 16, 1
	v_add3_u32 v11, v11, v1, s26
	v_or_b32_e32 v12, 0x400000, v1
	v_cmp_u_f32_e32 vcc, v1, v1
	v_bfe_u32 v1, v2, 16, 1
	v_cndmask_b32_e32 v11, v11, v12, vcc
	v_add3_u32 v1, v1, v2, s26
	v_or_b32_e32 v12, 0x400000, v2
	v_cmp_u_f32_e32 vcc, v2, v2
	v_cndmask_b32_e32 v12, v1, v12, vcc
	v_bfe_u32 v1, v3, 16, 1
	v_add3_u32 v1, v1, v3, s26
	v_or_b32_e32 v2, 0x400000, v3
	v_cmp_u_f32_e32 vcc, v3, v3
	v_cndmask_b32_e32 v22, v1, v2, vcc
	v_bfe_u32 v1, v4, 16, 1
	v_add3_u32 v1, v1, v4, s26
	v_or_b32_e32 v2, 0x400000, v4
	v_cmp_u_f32_e32 vcc, v4, v4
	v_cndmask_b32_e32 v29, v1, v2, vcc
	v_and_b32_e32 v1, 0xffff0000, v6
	v_lshlrev_b32_e32 v2, 16, v55
	v_mul_f32_e32 v2, v1, v2
	v_bfe_u32 v3, v2, 16, 1
	v_add3_u32 v3, v3, v2, s26
	v_or_b32_e32 v4, 0x400000, v2
	v_cmp_u_f32_e32 vcc, v2, v2
	v_cndmask_b32_e32 v38, v3, v4, vcc
	v_and_b32_e32 v4, 0xffff0000, v5
	v_lshlrev_b32_e32 v2, 16, v56
	v_mul_f32_e32 v2, v4, v2
	;; [unrolled: 8-line block ×4, first 2 shown]
	v_bfe_u32 v6, v3, 16, 1
	v_add3_u32 v6, v6, v3, s26
	v_or_b32_e32 v7, 0x400000, v3
	v_cmp_u_f32_e32 vcc, v3, v3
	v_and_b32_e32 v3, 0xffff0000, v12
	v_lshlrev_b32_e32 v0, 16, v0
	v_mul_f32_e32 v0, v3, v0
	v_cndmask_b32_e32 v40, v6, v7, vcc
	v_bfe_u32 v6, v0, 16, 1
	v_add3_u32 v6, v6, v0, s26
	v_or_b32_e32 v7, 0x400000, v0
	v_cmp_u_f32_e32 vcc, v0, v0
	v_cndmask_b32_e32 v12, v6, v7, vcc
	v_and_b32_e32 v6, 0xffff0000, v11
	v_lshlrev_b32_e32 v0, 16, v18
	v_mul_f32_e32 v0, v6, v0
	v_bfe_u32 v7, v0, 16, 1
	v_add3_u32 v7, v7, v0, s26
	v_or_b32_e32 v11, 0x400000, v0
	v_cmp_u_f32_e32 vcc, v0, v0
	v_cndmask_b32_e32 v11, v7, v11, vcc
	v_and_b32_e32 v0, 0xffff0000, v29
	v_lshlrev_b32_e32 v7, 16, v54
	v_mul_f32_e32 v7, v0, v7
	v_bfe_u32 v18, v7, 16, 1
	v_add3_u32 v18, v18, v7, s26
	v_or_b32_e32 v29, 0x400000, v7
	v_cmp_u_f32_e32 vcc, v7, v7
	v_and_b32_e32 v7, 0xffff0000, v22
	v_lshlrev_b32_e32 v19, 16, v19
	v_mul_f32_e32 v19, v7, v19
	v_bfe_u32 v22, v19, 16, 1
	v_cndmask_b32_e32 v18, v18, v29, vcc
	v_add3_u32 v22, v22, v19, s26
	v_or_b32_e32 v29, 0x400000, v19
	v_cmp_u_f32_e32 vcc, v19, v19
	v_cndmask_b32_e32 v19, v22, v29, vcc
	v_and_b32_e32 v22, 0xffff0000, v39
	v_and_b32_e32 v29, 0xffff0000, v38
	v_add_f32_e32 v22, v22, v29
	v_and_b32_e32 v29, 0xffff0000, v40
	v_and_b32_e32 v8, 0xffff0000, v8
	v_add_f32_e32 v8, v29, v8
	;; [unrolled: 3-line block ×3, first 2 shown]
	v_add_f32_e32 v11, v11, v12
	v_add_f32_e32 v8, v11, v8
	v_and_b32_e32 v11, 0xffff0000, v19
	v_and_b32_e32 v12, 0xffff0000, v18
	v_add_f32_e32 v11, v11, v12
	v_add_f32_e32 v8, v11, v8
	;; [unrolled: 1-line block ×3, first 2 shown]
	v_lshlrev_b32_e32 v8, 16, v50
	v_mul_f32_e32 v8, v1, v8
	v_bfe_u32 v11, v8, 16, 1
	v_add3_u32 v11, v11, v8, s26
	v_or_b32_e32 v12, 0x400000, v8
	v_cmp_u_f32_e32 vcc, v8, v8
	v_cndmask_b32_e32 v8, v11, v12, vcc
	v_lshlrev_b32_e32 v11, 16, v51
	v_mul_f32_e32 v11, v4, v11
	v_bfe_u32 v12, v11, 16, 1
	v_add3_u32 v12, v12, v11, s26
	v_or_b32_e32 v18, 0x400000, v11
	v_cmp_u_f32_e32 vcc, v11, v11
	v_cndmask_b32_e32 v11, v12, v18, vcc
	;; [unrolled: 7-line block ×6, first 2 shown]
	v_lshlrev_b32_e32 v29, 16, v49
	v_mul_f32_e32 v29, v0, v29
	v_bfe_u32 v38, v29, 16, 1
	v_lshlrev_b32_e32 v20, 16, v20
	v_and_b32_e32 v11, 0xffff0000, v11
	v_and_b32_e32 v8, 0xffff0000, v8
	v_add3_u32 v38, v38, v29, s26
	v_or_b32_e32 v39, 0x400000, v29
	v_cmp_u_f32_e32 vcc, v29, v29
	v_mul_f32_e32 v20, v7, v20
	v_add_f32_e32 v8, v11, v8
	v_and_b32_e32 v11, 0xffff0000, v18
	v_and_b32_e32 v12, 0xffff0000, v12
	v_cndmask_b32_e32 v29, v38, v39, vcc
	v_bfe_u32 v38, v20, 16, 1
	v_add_f32_e32 v11, v11, v12
	v_add3_u32 v38, v38, v20, s26
	v_or_b32_e32 v39, 0x400000, v20
	v_cmp_u_f32_e32 vcc, v20, v20
	v_add_f32_e32 v8, v11, v8
	v_and_b32_e32 v11, 0xffff0000, v22
	v_and_b32_e32 v12, 0xffff0000, v19
	v_cndmask_b32_e32 v20, v38, v39, vcc
	v_add_f32_e32 v11, v11, v12
	v_add_f32_e32 v8, v11, v8
	v_and_b32_e32 v11, 0xffff0000, v20
	v_and_b32_e32 v12, 0xffff0000, v29
	v_add_f32_e32 v11, v11, v12
	v_add_f32_e32 v8, v11, v8
	;; [unrolled: 1-line block ×3, first 2 shown]
	v_lshlrev_b32_e32 v8, 16, v36
	v_mul_f32_e32 v8, v1, v8
	v_bfe_u32 v11, v8, 16, 1
	v_add3_u32 v11, v11, v8, s26
	v_or_b32_e32 v12, 0x400000, v8
	v_cmp_u_f32_e32 vcc, v8, v8
	v_cndmask_b32_e32 v8, v11, v12, vcc
	v_lshlrev_b32_e32 v11, 16, v37
	v_mul_f32_e32 v11, v4, v11
	v_bfe_u32 v12, v11, 16, 1
	v_add3_u32 v12, v12, v11, s26
	v_or_b32_e32 v18, 0x400000, v11
	v_cmp_u_f32_e32 vcc, v11, v11
	v_cndmask_b32_e32 v11, v12, v18, vcc
	;; [unrolled: 7-line block ×7, first 2 shown]
	v_lshlrev_b32_e32 v29, 16, v32
	v_and_b32_e32 v11, 0xffff0000, v11
	v_and_b32_e32 v8, 0xffff0000, v8
	v_mul_f32_e32 v29, v7, v29
	v_add_f32_e32 v8, v11, v8
	v_and_b32_e32 v11, 0xffff0000, v18
	v_and_b32_e32 v12, 0xffff0000, v12
	v_bfe_u32 v30, v29, 16, 1
	v_add_f32_e32 v11, v11, v12
	v_add3_u32 v30, v30, v29, s26
	v_or_b32_e32 v31, 0x400000, v29
	v_cmp_u_f32_e32 vcc, v29, v29
	v_add_f32_e32 v8, v11, v8
	v_and_b32_e32 v11, 0xffff0000, v20
	v_and_b32_e32 v12, 0xffff0000, v19
	v_cndmask_b32_e32 v29, v30, v31, vcc
	v_add_f32_e32 v11, v11, v12
	v_add_f32_e32 v8, v11, v8
	v_and_b32_e32 v11, 0xffff0000, v29
	v_and_b32_e32 v12, 0xffff0000, v22
	v_add_f32_e32 v11, v11, v12
	v_add_f32_e32 v8, v11, v8
	;; [unrolled: 1-line block ×3, first 2 shown]
	v_lshlrev_b32_e32 v8, 16, v60
	v_mul_f32_e32 v4, v4, v8
	v_bfe_u32 v8, v4, 16, 1
	v_add3_u32 v8, v8, v4, s26
	v_or_b32_e32 v11, 0x400000, v4
	v_cmp_u_f32_e32 vcc, v4, v4
	v_cndmask_b32_e32 v4, v8, v11, vcc
	v_lshlrev_b32_e32 v8, 16, v58
	v_mul_f32_e32 v1, v1, v8
	v_bfe_u32 v8, v1, 16, 1
	v_add3_u32 v8, v8, v1, s26
	v_or_b32_e32 v11, 0x400000, v1
	v_cmp_u_f32_e32 vcc, v1, v1
	v_cndmask_b32_e32 v1, v8, v11, vcc
	;; [unrolled: 7-line block ×7, first 2 shown]
	v_lshlrev_b32_e32 v8, 16, v57
	v_and_b32_e32 v1, 0xffff0000, v1
	v_and_b32_e32 v4, 0xffff0000, v4
	v_mul_f32_e32 v0, v0, v8
	v_add_f32_e32 v1, v4, v1
	v_and_b32_e32 v2, 0xffff0000, v2
	v_and_b32_e32 v4, 0xffff0000, v5
	v_bfe_u32 v8, v0, 16, 1
	v_add_f32_e32 v2, v4, v2
	v_add3_u32 v8, v8, v0, s26
	v_or_b32_e32 v9, 0x400000, v0
	v_cmp_u_f32_e32 vcc, v0, v0
	v_add_f32_e32 v1, v2, v1
	v_and_b32_e32 v2, 0xffff0000, v3
	v_and_b32_e32 v3, 0xffff0000, v6
	v_cndmask_b32_e32 v0, v8, v9, vcc
	v_add_f32_e32 v2, v3, v2
	v_add_f32_e32 v1, v2, v1
	v_and_b32_e32 v0, 0xffff0000, v0
	v_and_b32_e32 v2, 0xffff0000, v7
	v_add_u32_e32 v21, 2, v21
	v_add_f32_e32 v0, v2, v0
	v_cmp_le_i32_e32 vcc, s21, v21
	v_add_f32_e32 v0, v0, v1
	s_or_b64 s[6:7], vcc, s[6:7]
	v_add_co_u32_e32 v13, vcc, 8, v13
	v_add_f32_e32 v23, v23, v0
	v_add_u32_e32 v27, 16, v27
	v_add_u32_e32 v28, 64, v28
	v_addc_co_u32_e32 v14, vcc, 0, v14, vcc
	s_andn2_b64 exec, exec, s[6:7]
	s_cbranch_execz .LBB291_423
.LBB291_223:                            ; =>This Inner Loop Header: Depth=1
	global_load_dword v0, v[13:14], off
	buffer_load_dword v1, off, s[44:47], 0  ; 4-byte Folded Reload
	buffer_load_dword v2, off, s[44:47], 0 offset:4 ; 4-byte Folded Reload
	s_waitcnt vmcnt(0)
	v_mad_i64_i32 v[15:16], s[0:1], v0, s31, v[1:2]
	v_mov_b32_e32 v0, 0
	global_load_dwordx2 v[17:18], v[15:16], off
	ds_read2_b64 v[5:8], v28 offset1:1
	ds_read2_b64 v[1:4], v28 offset0:2 offset1:3
	s_waitcnt vmcnt(0)
	v_cmp_ne_u16_sdwa s[12:13], v17, v10 src0_sel:BYTE_0 src1_sel:DWORD
	s_and_saveexec_b64 s[0:1], s[12:13]
	s_cbranch_execz .LBB291_229
; %bb.224:                              ;   in Loop: Header=BB291_223 Depth=1
	v_cmp_ne_u16_sdwa s[14:15], v17, s24 src0_sel:BYTE_0 src1_sel:DWORD
	v_bfrev_b32_e32 v0, 1
	s_and_saveexec_b64 s[12:13], s[14:15]
	s_cbranch_execz .LBB291_228
; %bb.225:                              ;   in Loop: Header=BB291_223 Depth=1
	v_and_b32_e32 v9, 0x7f, v17
	v_cmp_ne_u32_e32 vcc, s25, v9
	v_mov_b32_e32 v0, 0x7f800001
	s_and_saveexec_b64 s[14:15], vcc
	s_cbranch_execz .LBB291_227
; %bb.226:                              ;   in Loop: Header=BB291_223 Depth=1
	v_and_b32_e32 v0, 7, v17
	v_ffbh_u32_e32 v0, v0
	v_min_u32_e32 v0, 32, v0
	v_subrev_u32_e32 v12, 28, v0
	v_cmp_gt_u32_e32 vcc, 8, v9
	v_lshrrev_b32_e32 v11, 3, v9
	v_cndmask_b32_e32 v9, 0, v12, vcc
	v_lshlrev_b64 v[19:20], v9, v[17:18]
	v_sub_u32_e32 v0, 29, v0
	v_cndmask_b32_e32 v0, v11, v0, vcc
	v_lshlrev_b32_e32 v9, 20, v19
	v_lshlrev_b32_e32 v11, 24, v17
	v_bfrev_b32_e32 v12, 60
	v_and_b32_e32 v9, 0x700000, v9
	v_and_b32_e32 v11, 0x80000000, v11
	v_lshl_add_u32 v0, v0, 23, v12
	v_or3_b32 v0, v11, v0, v9
.LBB291_227:                            ;   in Loop: Header=BB291_223 Depth=1
	s_or_b64 exec, exec, s[14:15]
.LBB291_228:                            ;   in Loop: Header=BB291_223 Depth=1
	s_or_b64 exec, exec, s[12:13]
.LBB291_229:                            ;   in Loop: Header=BB291_223 Depth=1
	s_or_b64 exec, exec, s[0:1]
	v_lshrrev_b16_e32 v9, 8, v17
	v_cmp_ne_u16_e32 vcc, 0, v9
	v_mov_b32_e32 v32, 0
	v_mov_b32_e32 v20, 0
	s_and_saveexec_b64 s[0:1], vcc
	s_cbranch_execz .LBB291_235
; %bb.230:                              ;   in Loop: Header=BB291_223 Depth=1
	v_cmp_ne_u16_e32 vcc, s24, v9
	v_bfrev_b32_e32 v20, 1
	s_and_saveexec_b64 s[12:13], vcc
	s_cbranch_execz .LBB291_234
; %bb.231:                              ;   in Loop: Header=BB291_223 Depth=1
	v_and_b32_e32 v19, 0x7f, v9
	v_cmp_ne_u32_e32 vcc, s25, v19
	v_mov_b32_e32 v20, 0x7f800001
	s_and_saveexec_b64 s[14:15], vcc
	s_cbranch_execz .LBB291_233
; %bb.232:                              ;   in Loop: Header=BB291_223 Depth=1
	v_and_b32_e32 v11, 7, v9
	v_ffbh_u32_e32 v20, v11
	v_min_u32_e32 v20, 32, v20
	v_subrev_u32_e32 v22, 28, v20
	v_lshlrev_b64 v[30:31], v22, v[9:10]
	v_lshrrev_b32_e32 v12, 3, v19
	v_sub_u32_e32 v9, 29, v20
	v_and_b32_e32 v20, 7, v30
	v_cmp_gt_u32_e32 vcc, 8, v19
	v_cndmask_b32_e32 v9, v12, v9, vcc
	v_cndmask_b32_e32 v11, v11, v20, vcc
	v_lshlrev_b32_e32 v12, 16, v17
	v_bfrev_b32_e32 v19, 60
	v_lshlrev_b32_e32 v11, 20, v11
	v_and_b32_e32 v12, 0x80000000, v12
	v_lshl_add_u32 v9, v9, 23, v19
	v_or3_b32 v20, v12, v9, v11
.LBB291_233:                            ;   in Loop: Header=BB291_223 Depth=1
	s_or_b64 exec, exec, s[14:15]
.LBB291_234:                            ;   in Loop: Header=BB291_223 Depth=1
	s_or_b64 exec, exec, s[12:13]
.LBB291_235:                            ;   in Loop: Header=BB291_223 Depth=1
	s_or_b64 exec, exec, s[0:1]
	v_lshrrev_b32_e32 v9, 16, v17
	v_cmp_ne_u16_sdwa s[12:13], v9, v10 src0_sel:BYTE_0 src1_sel:DWORD
	s_and_saveexec_b64 s[0:1], s[12:13]
	s_cbranch_execz .LBB291_241
; %bb.236:                              ;   in Loop: Header=BB291_223 Depth=1
	v_cmp_ne_u16_sdwa s[14:15], v9, s24 src0_sel:BYTE_0 src1_sel:DWORD
	v_bfrev_b32_e32 v32, 1
	s_and_saveexec_b64 s[12:13], s[14:15]
	s_cbranch_execz .LBB291_240
; %bb.237:                              ;   in Loop: Header=BB291_223 Depth=1
	v_bfe_u32 v19, v17, 16, 7
	v_cmp_ne_u32_e32 vcc, s25, v19
	v_mov_b32_e32 v32, 0x7f800001
	s_and_saveexec_b64 s[14:15], vcc
	s_cbranch_execz .LBB291_239
; %bb.238:                              ;   in Loop: Header=BB291_223 Depth=1
	v_and_b32_e32 v11, 7, v9
	v_ffbh_u32_e32 v22, v11
	v_min_u32_e32 v22, 32, v22
	v_subrev_u32_e32 v30, 28, v22
	v_lshlrev_b64 v[30:31], v30, v[9:10]
	v_lshrrev_b32_e32 v12, 3, v19
	v_sub_u32_e32 v22, 29, v22
	v_and_b32_e32 v30, 7, v30
	v_cmp_gt_u32_e32 vcc, 8, v19
	v_cndmask_b32_e32 v12, v12, v22, vcc
	v_cndmask_b32_e32 v11, v11, v30, vcc
	v_lshlrev_b32_e32 v9, 24, v9
	v_bfrev_b32_e32 v19, 60
	v_lshlrev_b32_e32 v11, 20, v11
	v_and_b32_e32 v9, 0x80000000, v9
	v_lshl_add_u32 v12, v12, 23, v19
	v_or3_b32 v32, v9, v12, v11
.LBB291_239:                            ;   in Loop: Header=BB291_223 Depth=1
	s_or_b64 exec, exec, s[14:15]
.LBB291_240:                            ;   in Loop: Header=BB291_223 Depth=1
	s_or_b64 exec, exec, s[12:13]
.LBB291_241:                            ;   in Loop: Header=BB291_223 Depth=1
	s_or_b64 exec, exec, s[0:1]
	v_cmp_lt_u32_e32 vcc, s5, v17
	v_mov_b32_e32 v31, 0
	v_mov_b32_e32 v33, 0
	s_and_saveexec_b64 s[0:1], vcc
	s_cbranch_execz .LBB291_247
; %bb.242:                              ;   in Loop: Header=BB291_223 Depth=1
	v_lshrrev_b32_e32 v9, 24, v17
	v_cmp_ne_u32_e32 vcc, s24, v9
	v_bfrev_b32_e32 v33, 1
	s_and_saveexec_b64 s[12:13], vcc
	s_cbranch_execz .LBB291_246
; %bb.243:                              ;   in Loop: Header=BB291_223 Depth=1
	v_bfe_u32 v19, v17, 24, 7
	v_cmp_ne_u32_e32 vcc, s25, v19
	v_mov_b32_e32 v33, 0x7f800001
	s_and_saveexec_b64 s[14:15], vcc
	s_cbranch_execz .LBB291_245
; %bb.244:                              ;   in Loop: Header=BB291_223 Depth=1
	v_and_b32_e32 v11, 7, v9
	v_ffbh_u32_e32 v22, v11
	v_min_u32_e32 v22, 32, v22
	v_subrev_u32_e32 v30, 28, v22
	v_lshlrev_b64 v[33:34], v30, v[9:10]
	v_lshrrev_b32_e32 v12, 3, v19
	v_sub_u32_e32 v22, 29, v22
	v_and_b32_e32 v30, 7, v33
	v_cmp_gt_u32_e32 vcc, 8, v19
	v_cndmask_b32_e32 v12, v12, v22, vcc
	v_cndmask_b32_e32 v11, v11, v30, vcc
	v_lshlrev_b32_e32 v9, 24, v9
	v_bfrev_b32_e32 v19, 60
	v_lshlrev_b32_e32 v11, 20, v11
	v_and_b32_e32 v9, 0x80000000, v9
	v_lshl_add_u32 v12, v12, 23, v19
	v_or3_b32 v33, v9, v12, v11
.LBB291_245:                            ;   in Loop: Header=BB291_223 Depth=1
	s_or_b64 exec, exec, s[14:15]
.LBB291_246:                            ;   in Loop: Header=BB291_223 Depth=1
	s_or_b64 exec, exec, s[12:13]
.LBB291_247:                            ;   in Loop: Header=BB291_223 Depth=1
	s_or_b64 exec, exec, s[0:1]
	v_mov_b32_e32 v9, v18
	v_cmp_ne_u16_sdwa s[12:13], v18, v10 src0_sel:BYTE_0 src1_sel:DWORD
	s_and_saveexec_b64 s[0:1], s[12:13]
	s_cbranch_execz .LBB291_253
; %bb.248:                              ;   in Loop: Header=BB291_223 Depth=1
	v_cmp_ne_u16_sdwa s[14:15], v18, s24 src0_sel:BYTE_0 src1_sel:DWORD
	v_bfrev_b32_e32 v31, 1
	s_and_saveexec_b64 s[12:13], s[14:15]
	s_cbranch_execz .LBB291_252
; %bb.249:                              ;   in Loop: Header=BB291_223 Depth=1
	v_and_b32_e32 v19, 0x7f, v18
	v_cmp_ne_u32_e32 vcc, s25, v19
	v_mov_b32_e32 v31, 0x7f800001
	s_and_saveexec_b64 s[14:15], vcc
	s_cbranch_execz .LBB291_251
; %bb.250:                              ;   in Loop: Header=BB291_223 Depth=1
	v_and_b32_e32 v11, 7, v18
	v_ffbh_u32_e32 v11, v11
	v_min_u32_e32 v11, 32, v11
	v_lshrrev_b32_e32 v12, 3, v19
	v_subrev_u32_e32 v22, 28, v11
	v_sub_u32_e32 v11, 29, v11
	v_cmp_gt_u32_e32 vcc, 8, v19
	v_cndmask_b32_e32 v11, v12, v11, vcc
	v_cndmask_b32_e32 v12, 0, v22, vcc
	v_lshlrev_b64 v[30:31], v12, v[9:10]
	v_lshlrev_b32_e32 v19, 24, v9
	v_lshlrev_b32_e32 v12, 20, v30
	v_bfrev_b32_e32 v22, 60
	v_and_b32_e32 v12, 0x700000, v12
	v_and_b32_e32 v19, 0x80000000, v19
	v_lshl_add_u32 v11, v11, 23, v22
	v_or3_b32 v31, v19, v11, v12
.LBB291_251:                            ;   in Loop: Header=BB291_223 Depth=1
	s_or_b64 exec, exec, s[14:15]
.LBB291_252:                            ;   in Loop: Header=BB291_223 Depth=1
	s_or_b64 exec, exec, s[12:13]
.LBB291_253:                            ;   in Loop: Header=BB291_223 Depth=1
	s_or_b64 exec, exec, s[0:1]
	v_lshrrev_b16_e32 v19, 8, v9
	v_cmp_ne_u16_e32 vcc, 0, v19
	v_mov_b32_e32 v35, 0
	v_mov_b32_e32 v30, 0
	s_and_saveexec_b64 s[0:1], vcc
	s_cbranch_execz .LBB291_259
; %bb.254:                              ;   in Loop: Header=BB291_223 Depth=1
	v_cmp_ne_u16_e32 vcc, s24, v19
	v_bfrev_b32_e32 v30, 1
	s_and_saveexec_b64 s[12:13], vcc
	s_cbranch_execz .LBB291_258
; %bb.255:                              ;   in Loop: Header=BB291_223 Depth=1
	v_and_b32_e32 v34, 0x7f, v19
	v_cmp_ne_u32_e32 vcc, s25, v34
	v_mov_b32_e32 v30, 0x7f800001
	s_and_saveexec_b64 s[14:15], vcc
	s_cbranch_execz .LBB291_257
; %bb.256:                              ;   in Loop: Header=BB291_223 Depth=1
	v_and_b32_e32 v11, 7, v19
	v_ffbh_u32_e32 v22, v11
	v_min_u32_e32 v22, 32, v22
	v_subrev_u32_e32 v30, 28, v22
	v_lshlrev_b64 v[36:37], v30, v[19:20]
	v_lshrrev_b32_e32 v12, 3, v34
	v_sub_u32_e32 v19, 29, v22
	v_and_b32_e32 v22, 7, v36
	v_cmp_gt_u32_e32 vcc, 8, v34
	v_cndmask_b32_e32 v12, v12, v19, vcc
	v_cndmask_b32_e32 v11, v11, v22, vcc
	v_lshlrev_b32_e32 v9, 16, v9
	v_bfrev_b32_e32 v19, 60
	v_lshlrev_b32_e32 v11, 20, v11
	v_and_b32_e32 v9, 0x80000000, v9
	v_lshl_add_u32 v12, v12, 23, v19
	v_or3_b32 v30, v9, v12, v11
.LBB291_257:                            ;   in Loop: Header=BB291_223 Depth=1
	s_or_b64 exec, exec, s[14:15]
.LBB291_258:                            ;   in Loop: Header=BB291_223 Depth=1
	s_or_b64 exec, exec, s[12:13]
.LBB291_259:                            ;   in Loop: Header=BB291_223 Depth=1
	s_or_b64 exec, exec, s[0:1]
	v_lshrrev_b32_e32 v9, 16, v18
	v_cmp_ne_u16_sdwa s[12:13], v9, v10 src0_sel:BYTE_0 src1_sel:DWORD
	s_and_saveexec_b64 s[0:1], s[12:13]
	s_cbranch_execz .LBB291_265
; %bb.260:                              ;   in Loop: Header=BB291_223 Depth=1
	v_cmp_ne_u16_sdwa s[14:15], v9, s24 src0_sel:BYTE_0 src1_sel:DWORD
	v_bfrev_b32_e32 v35, 1
	s_and_saveexec_b64 s[12:13], s[14:15]
	s_cbranch_execz .LBB291_264
; %bb.261:                              ;   in Loop: Header=BB291_223 Depth=1
	v_bfe_u32 v19, v18, 16, 7
	v_cmp_ne_u32_e32 vcc, s25, v19
	v_mov_b32_e32 v35, 0x7f800001
	s_and_saveexec_b64 s[14:15], vcc
	s_cbranch_execz .LBB291_263
; %bb.262:                              ;   in Loop: Header=BB291_223 Depth=1
	v_and_b32_e32 v11, 7, v9
	v_ffbh_u32_e32 v22, v11
	v_min_u32_e32 v22, 32, v22
	v_subrev_u32_e32 v34, 28, v22
	v_lshlrev_b64 v[34:35], v34, v[9:10]
	v_lshrrev_b32_e32 v12, 3, v19
	v_sub_u32_e32 v22, 29, v22
	v_and_b32_e32 v34, 7, v34
	v_cmp_gt_u32_e32 vcc, 8, v19
	v_cndmask_b32_e32 v12, v12, v22, vcc
	v_cndmask_b32_e32 v11, v11, v34, vcc
	v_lshlrev_b32_e32 v9, 24, v9
	v_bfrev_b32_e32 v19, 60
	v_lshlrev_b32_e32 v11, 20, v11
	v_and_b32_e32 v9, 0x80000000, v9
	v_lshl_add_u32 v12, v12, 23, v19
	v_or3_b32 v35, v9, v12, v11
.LBB291_263:                            ;   in Loop: Header=BB291_223 Depth=1
	s_or_b64 exec, exec, s[14:15]
.LBB291_264:                            ;   in Loop: Header=BB291_223 Depth=1
	s_or_b64 exec, exec, s[12:13]
.LBB291_265:                            ;   in Loop: Header=BB291_223 Depth=1
	s_or_b64 exec, exec, s[0:1]
	v_cmp_lt_u64_e32 vcc, s[4:5], v[17:18]
	v_mov_b32_e32 v17, 0
	s_and_saveexec_b64 s[0:1], vcc
	s_cbranch_execz .LBB291_271
; %bb.266:                              ;   in Loop: Header=BB291_223 Depth=1
	v_lshrrev_b32_e32 v9, 24, v18
	v_cmp_ne_u32_e32 vcc, s24, v9
	v_bfrev_b32_e32 v17, 1
	s_and_saveexec_b64 s[12:13], vcc
	s_cbranch_execz .LBB291_270
; %bb.267:                              ;   in Loop: Header=BB291_223 Depth=1
	v_bfe_u32 v18, v18, 24, 7
	v_cmp_ne_u32_e32 vcc, s25, v18
	v_mov_b32_e32 v17, 0x7f800001
	s_and_saveexec_b64 s[14:15], vcc
	s_cbranch_execz .LBB291_269
; %bb.268:                              ;   in Loop: Header=BB291_223 Depth=1
	v_and_b32_e32 v11, 7, v9
	v_ffbh_u32_e32 v17, v11
	v_min_u32_e32 v17, 32, v17
	v_subrev_u32_e32 v19, 28, v17
	v_lshlrev_b64 v[36:37], v19, v[9:10]
	v_lshrrev_b32_e32 v12, 3, v18
	v_sub_u32_e32 v17, 29, v17
	v_and_b32_e32 v19, 7, v36
	v_cmp_gt_u32_e32 vcc, 8, v18
	v_cndmask_b32_e32 v12, v12, v17, vcc
	v_cndmask_b32_e32 v11, v11, v19, vcc
	v_lshlrev_b32_e32 v9, 24, v9
	v_bfrev_b32_e32 v17, 60
	v_lshlrev_b32_e32 v11, 20, v11
	v_and_b32_e32 v9, 0x80000000, v9
	v_lshl_add_u32 v12, v12, 23, v17
	v_or3_b32 v17, v9, v12, v11
.LBB291_269:                            ;   in Loop: Header=BB291_223 Depth=1
	s_or_b64 exec, exec, s[14:15]
.LBB291_270:                            ;   in Loop: Header=BB291_223 Depth=1
	s_or_b64 exec, exec, s[12:13]
.LBB291_271:                            ;   in Loop: Header=BB291_223 Depth=1
	s_or_b64 exec, exec, s[0:1]
	s_waitcnt lgkmcnt(0)
	v_mul_f32_e32 v9, s18, v30
	v_bfe_u32 v11, v9, 16, 1
	v_add3_u32 v11, v11, v9, s26
	v_or_b32_e32 v12, 0x400000, v9
	v_cmp_u_f32_e64 s[0:1], v9, v9
	v_cndmask_b32_e64 v9, v11, v12, s[0:1]
	v_lshrrev_b32_e32 v30, 16, v9
	v_mul_f32_e32 v9, s18, v31
	v_bfe_u32 v11, v9, 16, 1
	v_add3_u32 v11, v11, v9, s26
	v_or_b32_e32 v12, 0x400000, v9
	v_cmp_u_f32_e64 s[0:1], v9, v9
	v_cndmask_b32_e64 v9, v11, v12, s[0:1]
	v_lshrrev_b32_e32 v31, 16, v9
	;; [unrolled: 7-line block ×4, first 2 shown]
	v_mul_f32_e32 v9, s18, v20
	v_bfe_u32 v11, v9, 16, 1
	v_add3_u32 v11, v11, v9, s26
	v_or_b32_e32 v12, 0x400000, v9
	v_cmp_u_f32_e64 s[0:1], v9, v9
	v_cndmask_b32_e64 v9, v11, v12, s[0:1]
	v_mul_f32_e32 v0, s18, v0
	v_lshrrev_b32_e32 v36, 16, v9
	v_bfe_u32 v9, v0, 16, 1
	v_add3_u32 v9, v9, v0, s26
	v_or_b32_e32 v11, 0x400000, v0
	v_cmp_u_f32_e64 s[0:1], v0, v0
	v_cndmask_b32_e64 v0, v9, v11, s[0:1]
	v_lshrrev_b32_e32 v37, 16, v0
	v_mul_f32_e32 v0, s18, v35
	v_bfe_u32 v9, v0, 16, 1
	v_add3_u32 v9, v9, v0, s26
	v_or_b32_e32 v11, 0x400000, v0
	v_cmp_u_f32_e64 s[0:1], v0, v0
	v_cndmask_b32_e64 v0, v9, v11, s[0:1]
	v_lshrrev_b32_e32 v32, 16, v0
	v_mul_f32_e32 v0, s18, v17
	v_bfe_u32 v9, v0, 16, 1
	v_add3_u32 v9, v9, v0, s26
	v_or_b32_e32 v11, 0x400000, v0
	v_cmp_u_f32_e64 s[0:1], v0, v0
	v_cndmask_b32_e64 v0, v9, v11, s[0:1]
	v_add_u32_e32 v38, -7, v27
	v_cmp_eq_u32_e32 vcc, s19, v21
	v_lshrrev_b32_e32 v35, 16, v0
	v_add_u32_e32 v44, -6, v27
	v_add_u32_e32 v43, -5, v27
	;; [unrolled: 1-line block ×6, first 2 shown]
	s_and_saveexec_b64 s[12:13], vcc
	s_cbranch_execz .LBB291_273
; %bb.272:                              ;   in Loop: Header=BB291_223 Depth=1
	v_cmp_gt_i32_e64 s[0:1], s30, v38
	v_cndmask_b32_e64 v37, 0, v37, s[0:1]
	v_cmp_gt_i32_e64 s[0:1], s30, v44
	v_cndmask_b32_e64 v36, 0, v36, s[0:1]
	;; [unrolled: 2-line block ×8, first 2 shown]
.LBB291_273:                            ;   in Loop: Header=BB291_223 Depth=1
	s_or_b64 exec, exec, s[12:13]
	global_load_dwordx2 v[17:18], v[15:16], off offset:512
	v_mov_b32_e32 v20, 0
	v_mov_b32_e32 v0, 0
	s_waitcnt vmcnt(0)
	v_cmp_ne_u16_sdwa s[0:1], v17, v10 src0_sel:BYTE_0 src1_sel:DWORD
	s_and_saveexec_b64 s[12:13], s[0:1]
	s_cbranch_execz .LBB291_279
; %bb.274:                              ;   in Loop: Header=BB291_223 Depth=1
	v_cmp_ne_u16_sdwa s[0:1], v17, s24 src0_sel:BYTE_0 src1_sel:DWORD
	v_bfrev_b32_e32 v0, 1
	s_and_saveexec_b64 s[14:15], s[0:1]
	s_cbranch_execz .LBB291_278
; %bb.275:                              ;   in Loop: Header=BB291_223 Depth=1
	v_and_b32_e32 v9, 0x7f, v17
	v_cmp_ne_u32_e64 s[0:1], s25, v9
	v_mov_b32_e32 v0, 0x7f800001
	s_and_saveexec_b64 s[16:17], s[0:1]
	s_cbranch_execz .LBB291_277
; %bb.276:                              ;   in Loop: Header=BB291_223 Depth=1
	v_and_b32_e32 v0, 7, v17
	v_ffbh_u32_e32 v0, v0
	v_min_u32_e32 v0, 32, v0
	v_subrev_u32_e32 v12, 28, v0
	v_cmp_gt_u32_e64 s[0:1], 8, v9
	v_lshrrev_b32_e32 v11, 3, v9
	v_cndmask_b32_e64 v9, 0, v12, s[0:1]
	v_lshlrev_b64 v[45:46], v9, v[17:18]
	v_sub_u32_e32 v0, 29, v0
	v_cndmask_b32_e64 v0, v11, v0, s[0:1]
	v_lshlrev_b32_e32 v9, 20, v45
	v_lshlrev_b32_e32 v11, 24, v17
	v_bfrev_b32_e32 v12, 60
	v_and_b32_e32 v9, 0x700000, v9
	v_and_b32_e32 v11, 0x80000000, v11
	v_lshl_add_u32 v0, v0, 23, v12
	v_or3_b32 v0, v11, v0, v9
.LBB291_277:                            ;   in Loop: Header=BB291_223 Depth=1
	s_or_b64 exec, exec, s[16:17]
.LBB291_278:                            ;   in Loop: Header=BB291_223 Depth=1
	s_or_b64 exec, exec, s[14:15]
.LBB291_279:                            ;   in Loop: Header=BB291_223 Depth=1
	s_or_b64 exec, exec, s[12:13]
	v_lshrrev_b16_e32 v9, 8, v17
	v_cmp_ne_u16_e64 s[0:1], 0, v9
	s_and_saveexec_b64 s[12:13], s[0:1]
	s_cbranch_execz .LBB291_285
; %bb.280:                              ;   in Loop: Header=BB291_223 Depth=1
	v_cmp_ne_u16_e64 s[0:1], s24, v9
	v_bfrev_b32_e32 v20, 1
	s_and_saveexec_b64 s[14:15], s[0:1]
	s_cbranch_execz .LBB291_284
; %bb.281:                              ;   in Loop: Header=BB291_223 Depth=1
	v_and_b32_e32 v19, 0x7f, v9
	v_cmp_ne_u32_e64 s[0:1], s25, v19
	v_mov_b32_e32 v20, 0x7f800001
	s_and_saveexec_b64 s[16:17], s[0:1]
	s_cbranch_execz .LBB291_283
; %bb.282:                              ;   in Loop: Header=BB291_223 Depth=1
	v_and_b32_e32 v11, 7, v9
	v_ffbh_u32_e32 v20, v11
	v_min_u32_e32 v20, 32, v20
	v_subrev_u32_e32 v22, 28, v20
	v_lshlrev_b64 v[45:46], v22, v[9:10]
	v_lshrrev_b32_e32 v12, 3, v19
	v_sub_u32_e32 v9, 29, v20
	v_and_b32_e32 v20, 7, v45
	v_cmp_gt_u32_e64 s[0:1], 8, v19
	v_cndmask_b32_e64 v9, v12, v9, s[0:1]
	v_cndmask_b32_e64 v11, v11, v20, s[0:1]
	v_lshlrev_b32_e32 v12, 16, v17
	v_bfrev_b32_e32 v19, 60
	v_lshlrev_b32_e32 v11, 20, v11
	v_and_b32_e32 v12, 0x80000000, v12
	v_lshl_add_u32 v9, v9, 23, v19
	v_or3_b32 v20, v12, v9, v11
.LBB291_283:                            ;   in Loop: Header=BB291_223 Depth=1
	s_or_b64 exec, exec, s[16:17]
.LBB291_284:                            ;   in Loop: Header=BB291_223 Depth=1
	s_or_b64 exec, exec, s[14:15]
.LBB291_285:                            ;   in Loop: Header=BB291_223 Depth=1
	s_or_b64 exec, exec, s[12:13]
	v_lshrrev_b32_e32 v9, 16, v17
	v_cmp_ne_u16_sdwa s[0:1], v9, v10 src0_sel:BYTE_0 src1_sel:DWORD
	v_mov_b32_e32 v47, 0
	v_mov_b32_e32 v48, 0
	s_and_saveexec_b64 s[12:13], s[0:1]
	s_cbranch_execz .LBB291_291
; %bb.286:                              ;   in Loop: Header=BB291_223 Depth=1
	v_cmp_ne_u16_sdwa s[0:1], v9, s24 src0_sel:BYTE_0 src1_sel:DWORD
	v_bfrev_b32_e32 v48, 1
	s_and_saveexec_b64 s[14:15], s[0:1]
	s_cbranch_execz .LBB291_290
; %bb.287:                              ;   in Loop: Header=BB291_223 Depth=1
	v_bfe_u32 v19, v17, 16, 7
	v_cmp_ne_u32_e64 s[0:1], s25, v19
	v_mov_b32_e32 v48, 0x7f800001
	s_and_saveexec_b64 s[16:17], s[0:1]
	s_cbranch_execz .LBB291_289
; %bb.288:                              ;   in Loop: Header=BB291_223 Depth=1
	v_and_b32_e32 v11, 7, v9
	v_ffbh_u32_e32 v22, v11
	v_min_u32_e32 v22, 32, v22
	v_subrev_u32_e32 v45, 28, v22
	v_lshlrev_b64 v[45:46], v45, v[9:10]
	v_lshrrev_b32_e32 v12, 3, v19
	v_sub_u32_e32 v22, 29, v22
	v_and_b32_e32 v45, 7, v45
	v_cmp_gt_u32_e64 s[0:1], 8, v19
	v_cndmask_b32_e64 v12, v12, v22, s[0:1]
	v_cndmask_b32_e64 v11, v11, v45, s[0:1]
	v_lshlrev_b32_e32 v9, 24, v9
	v_bfrev_b32_e32 v19, 60
	v_lshlrev_b32_e32 v11, 20, v11
	v_and_b32_e32 v9, 0x80000000, v9
	v_lshl_add_u32 v12, v12, 23, v19
	v_or3_b32 v48, v9, v12, v11
.LBB291_289:                            ;   in Loop: Header=BB291_223 Depth=1
	s_or_b64 exec, exec, s[16:17]
.LBB291_290:                            ;   in Loop: Header=BB291_223 Depth=1
	s_or_b64 exec, exec, s[14:15]
.LBB291_291:                            ;   in Loop: Header=BB291_223 Depth=1
	s_or_b64 exec, exec, s[12:13]
	v_cmp_lt_u32_e64 s[0:1], s5, v17
	s_and_saveexec_b64 s[12:13], s[0:1]
	s_cbranch_execz .LBB291_297
; %bb.292:                              ;   in Loop: Header=BB291_223 Depth=1
	v_lshrrev_b32_e32 v9, 24, v17
	v_cmp_ne_u32_e64 s[0:1], s24, v9
	v_bfrev_b32_e32 v47, 1
	s_and_saveexec_b64 s[14:15], s[0:1]
	s_cbranch_execz .LBB291_296
; %bb.293:                              ;   in Loop: Header=BB291_223 Depth=1
	v_bfe_u32 v19, v17, 24, 7
	v_cmp_ne_u32_e64 s[0:1], s25, v19
	v_mov_b32_e32 v47, 0x7f800001
	s_and_saveexec_b64 s[16:17], s[0:1]
	s_cbranch_execz .LBB291_295
; %bb.294:                              ;   in Loop: Header=BB291_223 Depth=1
	v_and_b32_e32 v11, 7, v9
	v_ffbh_u32_e32 v22, v11
	v_min_u32_e32 v22, 32, v22
	v_subrev_u32_e32 v45, 28, v22
	v_lshlrev_b64 v[45:46], v45, v[9:10]
	v_lshrrev_b32_e32 v12, 3, v19
	v_sub_u32_e32 v22, 29, v22
	v_and_b32_e32 v45, 7, v45
	v_cmp_gt_u32_e64 s[0:1], 8, v19
	v_cndmask_b32_e64 v12, v12, v22, s[0:1]
	v_cndmask_b32_e64 v11, v11, v45, s[0:1]
	v_lshlrev_b32_e32 v9, 24, v9
	v_bfrev_b32_e32 v19, 60
	v_lshlrev_b32_e32 v11, 20, v11
	v_and_b32_e32 v9, 0x80000000, v9
	v_lshl_add_u32 v12, v12, 23, v19
	v_or3_b32 v47, v9, v12, v11
.LBB291_295:                            ;   in Loop: Header=BB291_223 Depth=1
	s_or_b64 exec, exec, s[16:17]
.LBB291_296:                            ;   in Loop: Header=BB291_223 Depth=1
	s_or_b64 exec, exec, s[14:15]
.LBB291_297:                            ;   in Loop: Header=BB291_223 Depth=1
	s_or_b64 exec, exec, s[12:13]
	v_mov_b32_e32 v9, v18
	v_cmp_ne_u16_sdwa s[0:1], v18, v10 src0_sel:BYTE_0 src1_sel:DWORD
	v_mov_b32_e32 v45, 0
	v_mov_b32_e32 v46, 0
	s_and_saveexec_b64 s[12:13], s[0:1]
	s_cbranch_execz .LBB291_303
; %bb.298:                              ;   in Loop: Header=BB291_223 Depth=1
	v_cmp_ne_u16_sdwa s[0:1], v18, s24 src0_sel:BYTE_0 src1_sel:DWORD
	v_bfrev_b32_e32 v46, 1
	s_and_saveexec_b64 s[14:15], s[0:1]
	s_cbranch_execz .LBB291_302
; %bb.299:                              ;   in Loop: Header=BB291_223 Depth=1
	v_and_b32_e32 v19, 0x7f, v18
	v_cmp_ne_u32_e64 s[0:1], s25, v19
	v_mov_b32_e32 v46, 0x7f800001
	s_and_saveexec_b64 s[16:17], s[0:1]
	s_cbranch_execz .LBB291_301
; %bb.300:                              ;   in Loop: Header=BB291_223 Depth=1
	v_and_b32_e32 v11, 7, v18
	v_ffbh_u32_e32 v11, v11
	v_min_u32_e32 v11, 32, v11
	v_lshrrev_b32_e32 v12, 3, v19
	v_subrev_u32_e32 v22, 28, v11
	v_sub_u32_e32 v11, 29, v11
	v_cmp_gt_u32_e64 s[0:1], 8, v19
	v_cndmask_b32_e64 v11, v12, v11, s[0:1]
	v_cndmask_b32_e64 v12, 0, v22, s[0:1]
	v_lshlrev_b64 v[49:50], v12, v[9:10]
	v_lshlrev_b32_e32 v19, 24, v9
	v_lshlrev_b32_e32 v12, 20, v49
	v_bfrev_b32_e32 v22, 60
	v_and_b32_e32 v12, 0x700000, v12
	v_and_b32_e32 v19, 0x80000000, v19
	v_lshl_add_u32 v11, v11, 23, v22
	v_or3_b32 v46, v19, v11, v12
.LBB291_301:                            ;   in Loop: Header=BB291_223 Depth=1
	s_or_b64 exec, exec, s[16:17]
.LBB291_302:                            ;   in Loop: Header=BB291_223 Depth=1
	s_or_b64 exec, exec, s[14:15]
.LBB291_303:                            ;   in Loop: Header=BB291_223 Depth=1
	s_or_b64 exec, exec, s[12:13]
	v_lshrrev_b16_e32 v19, 8, v9
	v_cmp_ne_u16_e64 s[0:1], 0, v19
	s_and_saveexec_b64 s[12:13], s[0:1]
	s_cbranch_execz .LBB291_309
; %bb.304:                              ;   in Loop: Header=BB291_223 Depth=1
	v_cmp_ne_u16_e64 s[0:1], s24, v19
	v_bfrev_b32_e32 v45, 1
	s_and_saveexec_b64 s[14:15], s[0:1]
	s_cbranch_execz .LBB291_308
; %bb.305:                              ;   in Loop: Header=BB291_223 Depth=1
	v_and_b32_e32 v49, 0x7f, v19
	v_cmp_ne_u32_e64 s[0:1], s25, v49
	v_mov_b32_e32 v45, 0x7f800001
	s_and_saveexec_b64 s[16:17], s[0:1]
	s_cbranch_execz .LBB291_307
; %bb.306:                              ;   in Loop: Header=BB291_223 Depth=1
	v_and_b32_e32 v11, 7, v19
	v_ffbh_u32_e32 v22, v11
	v_min_u32_e32 v22, 32, v22
	v_subrev_u32_e32 v45, 28, v22
	v_lshlrev_b64 v[50:51], v45, v[19:20]
	v_lshrrev_b32_e32 v12, 3, v49
	v_sub_u32_e32 v19, 29, v22
	v_and_b32_e32 v22, 7, v50
	v_cmp_gt_u32_e64 s[0:1], 8, v49
	v_cndmask_b32_e64 v12, v12, v19, s[0:1]
	v_cndmask_b32_e64 v11, v11, v22, s[0:1]
	v_lshlrev_b32_e32 v9, 16, v9
	v_bfrev_b32_e32 v19, 60
	v_lshlrev_b32_e32 v11, 20, v11
	v_and_b32_e32 v9, 0x80000000, v9
	v_lshl_add_u32 v12, v12, 23, v19
	v_or3_b32 v45, v9, v12, v11
.LBB291_307:                            ;   in Loop: Header=BB291_223 Depth=1
	s_or_b64 exec, exec, s[16:17]
.LBB291_308:                            ;   in Loop: Header=BB291_223 Depth=1
	s_or_b64 exec, exec, s[14:15]
.LBB291_309:                            ;   in Loop: Header=BB291_223 Depth=1
	s_or_b64 exec, exec, s[12:13]
	v_lshrrev_b32_e32 v9, 16, v18
	v_cmp_ne_u16_sdwa s[0:1], v9, v10 src0_sel:BYTE_0 src1_sel:DWORD
	v_mov_b32_e32 v19, 0
	v_mov_b32_e32 v49, 0
	s_and_saveexec_b64 s[12:13], s[0:1]
	s_cbranch_execz .LBB291_315
; %bb.310:                              ;   in Loop: Header=BB291_223 Depth=1
	v_cmp_ne_u16_sdwa s[0:1], v9, s24 src0_sel:BYTE_0 src1_sel:DWORD
	v_bfrev_b32_e32 v49, 1
	s_and_saveexec_b64 s[14:15], s[0:1]
	s_cbranch_execz .LBB291_314
; %bb.311:                              ;   in Loop: Header=BB291_223 Depth=1
	v_bfe_u32 v50, v18, 16, 7
	v_cmp_ne_u32_e64 s[0:1], s25, v50
	v_mov_b32_e32 v49, 0x7f800001
	s_and_saveexec_b64 s[16:17], s[0:1]
	s_cbranch_execz .LBB291_313
; %bb.312:                              ;   in Loop: Header=BB291_223 Depth=1
	v_and_b32_e32 v11, 7, v9
	v_ffbh_u32_e32 v22, v11
	v_min_u32_e32 v22, 32, v22
	v_subrev_u32_e32 v49, 28, v22
	v_lshlrev_b64 v[51:52], v49, v[9:10]
	v_lshrrev_b32_e32 v12, 3, v50
	v_sub_u32_e32 v22, 29, v22
	v_and_b32_e32 v49, 7, v51
	v_cmp_gt_u32_e64 s[0:1], 8, v50
	v_cndmask_b32_e64 v12, v12, v22, s[0:1]
	v_cndmask_b32_e64 v11, v11, v49, s[0:1]
	v_lshlrev_b32_e32 v9, 24, v9
	v_bfrev_b32_e32 v22, 60
	v_lshlrev_b32_e32 v11, 20, v11
	v_and_b32_e32 v9, 0x80000000, v9
	v_lshl_add_u32 v12, v12, 23, v22
	v_or3_b32 v49, v9, v12, v11
.LBB291_313:                            ;   in Loop: Header=BB291_223 Depth=1
	s_or_b64 exec, exec, s[16:17]
.LBB291_314:                            ;   in Loop: Header=BB291_223 Depth=1
	s_or_b64 exec, exec, s[14:15]
.LBB291_315:                            ;   in Loop: Header=BB291_223 Depth=1
	s_or_b64 exec, exec, s[12:13]
	v_cmp_lt_u64_e64 s[0:1], s[4:5], v[17:18]
	s_and_saveexec_b64 s[12:13], s[0:1]
	s_cbranch_execz .LBB291_321
; %bb.316:                              ;   in Loop: Header=BB291_223 Depth=1
	v_lshrrev_b32_e32 v9, 24, v18
	v_cmp_ne_u32_e64 s[0:1], s24, v9
	v_bfrev_b32_e32 v19, 1
	s_and_saveexec_b64 s[14:15], s[0:1]
	s_cbranch_execz .LBB291_320
; %bb.317:                              ;   in Loop: Header=BB291_223 Depth=1
	v_bfe_u32 v17, v18, 24, 7
	v_cmp_ne_u32_e64 s[0:1], s25, v17
	v_mov_b32_e32 v19, 0x7f800001
	s_and_saveexec_b64 s[16:17], s[0:1]
	s_cbranch_execz .LBB291_319
; %bb.318:                              ;   in Loop: Header=BB291_223 Depth=1
	v_and_b32_e32 v11, 7, v9
	v_ffbh_u32_e32 v18, v11
	v_min_u32_e32 v22, 32, v18
	v_subrev_u32_e32 v18, 28, v22
	v_lshlrev_b64 v[18:19], v18, v[9:10]
	v_lshrrev_b32_e32 v12, 3, v17
	v_sub_u32_e32 v19, 29, v22
	v_and_b32_e32 v18, 7, v18
	v_cmp_gt_u32_e64 s[0:1], 8, v17
	v_cndmask_b32_e64 v12, v12, v19, s[0:1]
	v_cndmask_b32_e64 v11, v11, v18, s[0:1]
	v_lshlrev_b32_e32 v9, 24, v9
	v_bfrev_b32_e32 v17, 60
	v_lshlrev_b32_e32 v11, 20, v11
	v_and_b32_e32 v9, 0x80000000, v9
	v_lshl_add_u32 v12, v12, 23, v17
	v_or3_b32 v19, v9, v12, v11
.LBB291_319:                            ;   in Loop: Header=BB291_223 Depth=1
	s_or_b64 exec, exec, s[16:17]
.LBB291_320:                            ;   in Loop: Header=BB291_223 Depth=1
	s_or_b64 exec, exec, s[14:15]
.LBB291_321:                            ;   in Loop: Header=BB291_223 Depth=1
	s_or_b64 exec, exec, s[12:13]
	v_mul_f32_e32 v9, s18, v45
	v_bfe_u32 v11, v9, 16, 1
	v_add3_u32 v11, v11, v9, s26
	v_or_b32_e32 v12, 0x400000, v9
	v_cmp_u_f32_e64 s[0:1], v9, v9
	v_cndmask_b32_e64 v9, v11, v12, s[0:1]
	v_lshrrev_b32_e32 v45, 16, v9
	v_mul_f32_e32 v9, s18, v46
	v_bfe_u32 v11, v9, 16, 1
	v_add3_u32 v11, v11, v9, s26
	v_or_b32_e32 v12, 0x400000, v9
	v_cmp_u_f32_e64 s[0:1], v9, v9
	v_cndmask_b32_e64 v9, v11, v12, s[0:1]
	v_lshrrev_b32_e32 v46, 16, v9
	;; [unrolled: 7-line block ×4, first 2 shown]
	v_mul_f32_e32 v9, s18, v20
	v_bfe_u32 v11, v9, 16, 1
	v_add3_u32 v11, v11, v9, s26
	v_or_b32_e32 v12, 0x400000, v9
	v_cmp_u_f32_e64 s[0:1], v9, v9
	v_cndmask_b32_e64 v9, v11, v12, s[0:1]
	v_mul_f32_e32 v0, s18, v0
	v_lshrrev_b32_e32 v50, 16, v9
	v_bfe_u32 v9, v0, 16, 1
	v_add3_u32 v9, v9, v0, s26
	v_or_b32_e32 v11, 0x400000, v0
	v_cmp_u_f32_e64 s[0:1], v0, v0
	v_cndmask_b32_e64 v0, v9, v11, s[0:1]
	v_lshrrev_b32_e32 v51, 16, v0
	v_mul_f32_e32 v0, s18, v49
	v_bfe_u32 v9, v0, 16, 1
	v_add3_u32 v9, v9, v0, s26
	v_or_b32_e32 v11, 0x400000, v0
	v_cmp_u_f32_e64 s[0:1], v0, v0
	v_cndmask_b32_e64 v0, v9, v11, s[0:1]
	v_lshrrev_b32_e32 v20, 16, v0
	v_mul_f32_e32 v0, s18, v19
	v_bfe_u32 v9, v0, 16, 1
	v_add3_u32 v9, v9, v0, s26
	v_or_b32_e32 v11, 0x400000, v0
	v_cmp_u_f32_e64 s[0:1], v0, v0
	v_cndmask_b32_e64 v0, v9, v11, s[0:1]
	v_lshrrev_b32_e32 v49, 16, v0
	s_and_saveexec_b64 s[12:13], vcc
	s_cbranch_execz .LBB291_323
; %bb.322:                              ;   in Loop: Header=BB291_223 Depth=1
	v_cmp_gt_i32_e64 s[0:1], s30, v38
	v_cndmask_b32_e64 v51, 0, v51, s[0:1]
	v_cmp_gt_i32_e64 s[0:1], s30, v44
	v_cndmask_b32_e64 v50, 0, v50, s[0:1]
	;; [unrolled: 2-line block ×8, first 2 shown]
.LBB291_323:                            ;   in Loop: Header=BB291_223 Depth=1
	s_or_b64 exec, exec, s[12:13]
	global_load_dwordx2 v[17:18], v[15:16], off offset:1024
	v_mov_b32_e32 v55, 0
	v_mov_b32_e32 v54, 0
	s_waitcnt vmcnt(0)
	v_cmp_ne_u16_sdwa s[0:1], v17, v10 src0_sel:BYTE_0 src1_sel:DWORD
	s_and_saveexec_b64 s[12:13], s[0:1]
	s_cbranch_execz .LBB291_329
; %bb.324:                              ;   in Loop: Header=BB291_223 Depth=1
	v_cmp_ne_u16_sdwa s[0:1], v17, s24 src0_sel:BYTE_0 src1_sel:DWORD
	v_bfrev_b32_e32 v54, 1
	s_and_saveexec_b64 s[14:15], s[0:1]
	s_cbranch_execz .LBB291_328
; %bb.325:                              ;   in Loop: Header=BB291_223 Depth=1
	v_and_b32_e32 v0, 0x7f, v17
	v_cmp_ne_u32_e64 s[0:1], s25, v0
	v_mov_b32_e32 v54, 0x7f800001
	s_and_saveexec_b64 s[16:17], s[0:1]
	s_cbranch_execz .LBB291_327
; %bb.326:                              ;   in Loop: Header=BB291_223 Depth=1
	v_and_b32_e32 v9, 7, v17
	v_ffbh_u32_e32 v9, v9
	v_min_u32_e32 v9, 32, v9
	v_lshrrev_b32_e32 v11, 3, v0
	v_subrev_u32_e32 v12, 28, v9
	v_sub_u32_e32 v9, 29, v9
	v_cmp_gt_u32_e64 s[0:1], 8, v0
	v_cndmask_b32_e64 v0, v11, v9, s[0:1]
	v_cndmask_b32_e64 v9, 0, v12, s[0:1]
	v_lshlrev_b64 v[52:53], v9, v[17:18]
	v_lshlrev_b32_e32 v11, 24, v17
	v_lshlrev_b32_e32 v9, 20, v52
	v_bfrev_b32_e32 v12, 60
	v_and_b32_e32 v9, 0x700000, v9
	v_and_b32_e32 v11, 0x80000000, v11
	v_lshl_add_u32 v0, v0, 23, v12
	v_or3_b32 v54, v11, v0, v9
.LBB291_327:                            ;   in Loop: Header=BB291_223 Depth=1
	s_or_b64 exec, exec, s[16:17]
.LBB291_328:                            ;   in Loop: Header=BB291_223 Depth=1
	s_or_b64 exec, exec, s[14:15]
.LBB291_329:                            ;   in Loop: Header=BB291_223 Depth=1
	s_or_b64 exec, exec, s[12:13]
	v_lshrrev_b16_e32 v9, 8, v17
	v_cmp_ne_u16_e64 s[0:1], 0, v9
	s_and_saveexec_b64 s[12:13], s[0:1]
	s_cbranch_execz .LBB291_335
; %bb.330:                              ;   in Loop: Header=BB291_223 Depth=1
	v_cmp_ne_u16_e64 s[0:1], s24, v9
	v_bfrev_b32_e32 v55, 1
	s_and_saveexec_b64 s[14:15], s[0:1]
	s_cbranch_execz .LBB291_334
; %bb.331:                              ;   in Loop: Header=BB291_223 Depth=1
	v_and_b32_e32 v0, 0x7f, v9
	v_cmp_ne_u32_e64 s[0:1], s25, v0
	v_mov_b32_e32 v55, 0x7f800001
	s_and_saveexec_b64 s[16:17], s[0:1]
	s_cbranch_execz .LBB291_333
; %bb.332:                              ;   in Loop: Header=BB291_223 Depth=1
	v_and_b32_e32 v11, 7, v9
	v_ffbh_u32_e32 v19, v11
	v_min_u32_e32 v19, 32, v19
	v_subrev_u32_e32 v22, 28, v19
	v_lshlrev_b64 v[52:53], v22, v[9:10]
	v_lshrrev_b32_e32 v12, 3, v0
	v_sub_u32_e32 v9, 29, v19
	v_and_b32_e32 v19, 7, v52
	v_cmp_gt_u32_e64 s[0:1], 8, v0
	v_cndmask_b32_e64 v0, v12, v9, s[0:1]
	v_cndmask_b32_e64 v9, v11, v19, s[0:1]
	v_lshlrev_b32_e32 v11, 16, v17
	v_bfrev_b32_e32 v12, 60
	v_lshlrev_b32_e32 v9, 20, v9
	v_and_b32_e32 v11, 0x80000000, v11
	v_lshl_add_u32 v0, v0, 23, v12
	v_or3_b32 v55, v11, v0, v9
.LBB291_333:                            ;   in Loop: Header=BB291_223 Depth=1
	s_or_b64 exec, exec, s[16:17]
.LBB291_334:                            ;   in Loop: Header=BB291_223 Depth=1
	s_or_b64 exec, exec, s[14:15]
.LBB291_335:                            ;   in Loop: Header=BB291_223 Depth=1
	s_or_b64 exec, exec, s[12:13]
	v_lshrrev_b32_e32 v9, 16, v17
	v_cmp_ne_u16_sdwa s[0:1], v9, v10 src0_sel:BYTE_0 src1_sel:DWORD
	v_mov_b32_e32 v52, 0
	v_mov_b32_e32 v53, 0
	s_and_saveexec_b64 s[12:13], s[0:1]
	s_cbranch_execz .LBB291_341
; %bb.336:                              ;   in Loop: Header=BB291_223 Depth=1
	v_cmp_ne_u16_sdwa s[0:1], v9, s24 src0_sel:BYTE_0 src1_sel:DWORD
	v_bfrev_b32_e32 v53, 1
	s_and_saveexec_b64 s[14:15], s[0:1]
	s_cbranch_execz .LBB291_340
; %bb.337:                              ;   in Loop: Header=BB291_223 Depth=1
	v_bfe_u32 v0, v17, 16, 7
	v_cmp_ne_u32_e64 s[0:1], s25, v0
	v_mov_b32_e32 v53, 0x7f800001
	s_and_saveexec_b64 s[16:17], s[0:1]
	s_cbranch_execz .LBB291_339
; %bb.338:                              ;   in Loop: Header=BB291_223 Depth=1
	v_and_b32_e32 v11, 7, v9
	v_ffbh_u32_e32 v19, v11
	v_min_u32_e32 v19, 32, v19
	v_subrev_u32_e32 v22, 28, v19
	v_lshlrev_b64 v[56:57], v22, v[9:10]
	v_lshrrev_b32_e32 v12, 3, v0
	v_sub_u32_e32 v19, 29, v19
	v_and_b32_e32 v22, 7, v56
	v_cmp_gt_u32_e64 s[0:1], 8, v0
	v_cndmask_b32_e64 v0, v12, v19, s[0:1]
	v_cndmask_b32_e64 v11, v11, v22, s[0:1]
	v_lshlrev_b32_e32 v9, 24, v9
	v_bfrev_b32_e32 v12, 60
	v_lshlrev_b32_e32 v11, 20, v11
	v_and_b32_e32 v9, 0x80000000, v9
	v_lshl_add_u32 v0, v0, 23, v12
	v_or3_b32 v53, v9, v0, v11
.LBB291_339:                            ;   in Loop: Header=BB291_223 Depth=1
	s_or_b64 exec, exec, s[16:17]
.LBB291_340:                            ;   in Loop: Header=BB291_223 Depth=1
	s_or_b64 exec, exec, s[14:15]
.LBB291_341:                            ;   in Loop: Header=BB291_223 Depth=1
	s_or_b64 exec, exec, s[12:13]
	v_cmp_lt_u32_e64 s[0:1], s5, v17
	s_and_saveexec_b64 s[12:13], s[0:1]
	s_cbranch_execz .LBB291_347
; %bb.342:                              ;   in Loop: Header=BB291_223 Depth=1
	v_lshrrev_b32_e32 v9, 24, v17
	v_cmp_ne_u32_e64 s[0:1], s24, v9
	v_bfrev_b32_e32 v52, 1
	s_and_saveexec_b64 s[14:15], s[0:1]
	s_cbranch_execz .LBB291_346
; %bb.343:                              ;   in Loop: Header=BB291_223 Depth=1
	v_bfe_u32 v0, v17, 24, 7
	v_cmp_ne_u32_e64 s[0:1], s25, v0
	v_mov_b32_e32 v52, 0x7f800001
	s_and_saveexec_b64 s[16:17], s[0:1]
	s_cbranch_execz .LBB291_345
; %bb.344:                              ;   in Loop: Header=BB291_223 Depth=1
	v_and_b32_e32 v11, 7, v9
	v_ffbh_u32_e32 v19, v11
	v_min_u32_e32 v19, 32, v19
	v_subrev_u32_e32 v22, 28, v19
	v_lshlrev_b64 v[56:57], v22, v[9:10]
	v_lshrrev_b32_e32 v12, 3, v0
	v_sub_u32_e32 v19, 29, v19
	v_and_b32_e32 v22, 7, v56
	v_cmp_gt_u32_e64 s[0:1], 8, v0
	v_cndmask_b32_e64 v0, v12, v19, s[0:1]
	v_cndmask_b32_e64 v11, v11, v22, s[0:1]
	v_lshlrev_b32_e32 v9, 24, v9
	v_bfrev_b32_e32 v12, 60
	v_lshlrev_b32_e32 v11, 20, v11
	v_and_b32_e32 v9, 0x80000000, v9
	v_lshl_add_u32 v0, v0, 23, v12
	v_or3_b32 v52, v9, v0, v11
.LBB291_345:                            ;   in Loop: Header=BB291_223 Depth=1
	s_or_b64 exec, exec, s[16:17]
.LBB291_346:                            ;   in Loop: Header=BB291_223 Depth=1
	s_or_b64 exec, exec, s[14:15]
.LBB291_347:                            ;   in Loop: Header=BB291_223 Depth=1
	s_or_b64 exec, exec, s[12:13]
	v_mov_b32_e32 v9, v18
	v_cmp_ne_u16_sdwa s[0:1], v18, v10 src0_sel:BYTE_0 src1_sel:DWORD
	v_mov_b32_e32 v0, 0
	v_mov_b32_e32 v56, 0
	s_and_saveexec_b64 s[12:13], s[0:1]
	s_cbranch_execz .LBB291_353
; %bb.348:                              ;   in Loop: Header=BB291_223 Depth=1
	v_cmp_ne_u16_sdwa s[0:1], v18, s24 src0_sel:BYTE_0 src1_sel:DWORD
	v_bfrev_b32_e32 v56, 1
	s_and_saveexec_b64 s[14:15], s[0:1]
	s_cbranch_execz .LBB291_352
; %bb.349:                              ;   in Loop: Header=BB291_223 Depth=1
	v_and_b32_e32 v19, 0x7f, v18
	v_cmp_ne_u32_e64 s[0:1], s25, v19
	v_mov_b32_e32 v56, 0x7f800001
	s_and_saveexec_b64 s[16:17], s[0:1]
	s_cbranch_execz .LBB291_351
; %bb.350:                              ;   in Loop: Header=BB291_223 Depth=1
	v_and_b32_e32 v11, 7, v18
	v_ffbh_u32_e32 v11, v11
	v_min_u32_e32 v11, 32, v11
	v_lshrrev_b32_e32 v12, 3, v19
	v_subrev_u32_e32 v22, 28, v11
	v_sub_u32_e32 v11, 29, v11
	v_cmp_gt_u32_e64 s[0:1], 8, v19
	v_cndmask_b32_e64 v11, v12, v11, s[0:1]
	v_cndmask_b32_e64 v12, 0, v22, s[0:1]
	v_lshlrev_b64 v[56:57], v12, v[9:10]
	v_lshlrev_b32_e32 v19, 24, v9
	v_lshlrev_b32_e32 v12, 20, v56
	v_bfrev_b32_e32 v22, 60
	v_and_b32_e32 v12, 0x700000, v12
	v_and_b32_e32 v19, 0x80000000, v19
	v_lshl_add_u32 v11, v11, 23, v22
	v_or3_b32 v56, v19, v11, v12
.LBB291_351:                            ;   in Loop: Header=BB291_223 Depth=1
	s_or_b64 exec, exec, s[16:17]
.LBB291_352:                            ;   in Loop: Header=BB291_223 Depth=1
	s_or_b64 exec, exec, s[14:15]
.LBB291_353:                            ;   in Loop: Header=BB291_223 Depth=1
	s_or_b64 exec, exec, s[12:13]
	v_lshrrev_b16_e32 v19, 8, v9
	v_cmp_ne_u16_e64 s[0:1], 0, v19
	s_and_saveexec_b64 s[12:13], s[0:1]
	s_cbranch_execz .LBB291_359
; %bb.354:                              ;   in Loop: Header=BB291_223 Depth=1
	v_cmp_ne_u16_e64 s[0:1], s24, v19
	v_bfrev_b32_e32 v0, 1
	s_and_saveexec_b64 s[14:15], s[0:1]
	s_cbranch_execz .LBB291_358
; %bb.355:                              ;   in Loop: Header=BB291_223 Depth=1
	v_and_b32_e32 v57, 0x7f, v19
	v_cmp_ne_u32_e64 s[0:1], s25, v57
	v_mov_b32_e32 v0, 0x7f800001
	s_and_saveexec_b64 s[16:17], s[0:1]
	s_cbranch_execz .LBB291_357
; %bb.356:                              ;   in Loop: Header=BB291_223 Depth=1
	v_and_b32_e32 v0, 7, v19
	v_ffbh_u32_e32 v12, v0
	v_min_u32_e32 v12, 32, v12
	v_subrev_u32_e32 v22, 28, v12
	v_lshrrev_b32_e32 v11, 3, v57
	v_cmp_gt_u32_e64 s[0:1], 8, v57
	v_lshlrev_b64 v[57:58], v22, v[19:20]
	v_sub_u32_e32 v12, 29, v12
	v_and_b32_e32 v19, 7, v57
	v_cndmask_b32_e64 v11, v11, v12, s[0:1]
	v_cndmask_b32_e64 v0, v0, v19, s[0:1]
	v_lshlrev_b32_e32 v9, 16, v9
	v_bfrev_b32_e32 v12, 60
	v_lshlrev_b32_e32 v0, 20, v0
	v_and_b32_e32 v9, 0x80000000, v9
	v_lshl_add_u32 v11, v11, 23, v12
	v_or3_b32 v0, v9, v11, v0
.LBB291_357:                            ;   in Loop: Header=BB291_223 Depth=1
	s_or_b64 exec, exec, s[16:17]
.LBB291_358:                            ;   in Loop: Header=BB291_223 Depth=1
	s_or_b64 exec, exec, s[14:15]
.LBB291_359:                            ;   in Loop: Header=BB291_223 Depth=1
	s_or_b64 exec, exec, s[12:13]
	v_lshrrev_b32_e32 v9, 16, v18
	v_cmp_ne_u16_sdwa s[0:1], v9, v10 src0_sel:BYTE_0 src1_sel:DWORD
	v_mov_b32_e32 v57, 0
	v_mov_b32_e32 v19, 0
	s_and_saveexec_b64 s[12:13], s[0:1]
	s_cbranch_execz .LBB291_365
; %bb.360:                              ;   in Loop: Header=BB291_223 Depth=1
	v_cmp_ne_u16_sdwa s[0:1], v9, s24 src0_sel:BYTE_0 src1_sel:DWORD
	v_bfrev_b32_e32 v19, 1
	s_and_saveexec_b64 s[14:15], s[0:1]
	s_cbranch_execz .LBB291_364
; %bb.361:                              ;   in Loop: Header=BB291_223 Depth=1
	v_bfe_u32 v58, v18, 16, 7
	v_cmp_ne_u32_e64 s[0:1], s25, v58
	v_mov_b32_e32 v19, 0x7f800001
	s_and_saveexec_b64 s[16:17], s[0:1]
	s_cbranch_execz .LBB291_363
; %bb.362:                              ;   in Loop: Header=BB291_223 Depth=1
	v_and_b32_e32 v11, 7, v9
	v_ffbh_u32_e32 v19, v11
	v_min_u32_e32 v19, 32, v19
	v_subrev_u32_e32 v22, 28, v19
	v_lshrrev_b32_e32 v12, 3, v58
	v_cmp_gt_u32_e64 s[0:1], 8, v58
	v_lshlrev_b64 v[58:59], v22, v[9:10]
	v_sub_u32_e32 v19, 29, v19
	v_and_b32_e32 v22, 7, v58
	v_cndmask_b32_e64 v12, v12, v19, s[0:1]
	v_cndmask_b32_e64 v11, v11, v22, s[0:1]
	v_lshlrev_b32_e32 v9, 24, v9
	v_bfrev_b32_e32 v19, 60
	v_lshlrev_b32_e32 v11, 20, v11
	v_and_b32_e32 v9, 0x80000000, v9
	v_lshl_add_u32 v12, v12, 23, v19
	v_or3_b32 v19, v9, v12, v11
.LBB291_363:                            ;   in Loop: Header=BB291_223 Depth=1
	s_or_b64 exec, exec, s[16:17]
.LBB291_364:                            ;   in Loop: Header=BB291_223 Depth=1
	s_or_b64 exec, exec, s[14:15]
.LBB291_365:                            ;   in Loop: Header=BB291_223 Depth=1
	s_or_b64 exec, exec, s[12:13]
	v_cmp_lt_u64_e64 s[0:1], s[4:5], v[17:18]
	s_and_saveexec_b64 s[12:13], s[0:1]
	s_cbranch_execz .LBB291_371
; %bb.366:                              ;   in Loop: Header=BB291_223 Depth=1
	v_lshrrev_b32_e32 v9, 24, v18
	v_cmp_ne_u32_e64 s[0:1], s24, v9
	v_bfrev_b32_e32 v57, 1
	s_and_saveexec_b64 s[14:15], s[0:1]
	s_cbranch_execz .LBB291_370
; %bb.367:                              ;   in Loop: Header=BB291_223 Depth=1
	v_bfe_u32 v17, v18, 24, 7
	v_cmp_ne_u32_e64 s[0:1], s25, v17
	v_mov_b32_e32 v57, 0x7f800001
	s_and_saveexec_b64 s[16:17], s[0:1]
	s_cbranch_execz .LBB291_369
; %bb.368:                              ;   in Loop: Header=BB291_223 Depth=1
	v_and_b32_e32 v11, 7, v9
	v_ffbh_u32_e32 v18, v11
	v_min_u32_e32 v18, 32, v18
	v_subrev_u32_e32 v22, 28, v18
	v_lshlrev_b64 v[57:58], v22, v[9:10]
	v_lshrrev_b32_e32 v12, 3, v17
	v_sub_u32_e32 v18, 29, v18
	v_and_b32_e32 v22, 7, v57
	v_cmp_gt_u32_e64 s[0:1], 8, v17
	v_cndmask_b32_e64 v12, v12, v18, s[0:1]
	v_cndmask_b32_e64 v11, v11, v22, s[0:1]
	v_lshlrev_b32_e32 v9, 24, v9
	v_bfrev_b32_e32 v17, 60
	v_lshlrev_b32_e32 v11, 20, v11
	v_and_b32_e32 v9, 0x80000000, v9
	v_lshl_add_u32 v12, v12, 23, v17
	v_or3_b32 v57, v9, v12, v11
.LBB291_369:                            ;   in Loop: Header=BB291_223 Depth=1
	s_or_b64 exec, exec, s[16:17]
.LBB291_370:                            ;   in Loop: Header=BB291_223 Depth=1
	s_or_b64 exec, exec, s[14:15]
.LBB291_371:                            ;   in Loop: Header=BB291_223 Depth=1
	s_or_b64 exec, exec, s[12:13]
	v_mul_f32_e32 v0, s18, v0
	v_bfe_u32 v9, v0, 16, 1
	v_add3_u32 v9, v9, v0, s26
	v_or_b32_e32 v11, 0x400000, v0
	v_cmp_u_f32_e64 s[0:1], v0, v0
	v_cndmask_b32_e64 v0, v9, v11, s[0:1]
	v_mul_f32_e32 v9, s18, v56
	v_bfe_u32 v11, v9, 16, 1
	v_add3_u32 v11, v11, v9, s26
	v_or_b32_e32 v12, 0x400000, v9
	v_cmp_u_f32_e64 s[0:1], v9, v9
	v_cndmask_b32_e64 v9, v11, v12, s[0:1]
	v_lshrrev_b32_e32 v18, 16, v9
	v_mul_f32_e32 v9, s18, v52
	v_bfe_u32 v11, v9, 16, 1
	v_add3_u32 v11, v11, v9, s26
	v_or_b32_e32 v12, 0x400000, v9
	v_cmp_u_f32_e64 s[0:1], v9, v9
	v_cndmask_b32_e64 v9, v11, v12, s[0:1]
	v_lshrrev_b32_e32 v52, 16, v9
	;; [unrolled: 7-line block ×7, first 2 shown]
	v_lshrrev_b32_e32 v54, 16, v9
	s_and_saveexec_b64 s[12:13], vcc
	s_cbranch_execz .LBB291_373
; %bb.372:                              ;   in Loop: Header=BB291_223 Depth=1
	v_cmp_gt_i32_e64 s[0:1], s30, v38
	v_cndmask_b32_e64 v56, 0, v56, s[0:1]
	v_cmp_gt_i32_e64 s[0:1], s30, v44
	v_cndmask_b32_e64 v55, 0, v55, s[0:1]
	;; [unrolled: 2-line block ×8, first 2 shown]
.LBB291_373:                            ;   in Loop: Header=BB291_223 Depth=1
	s_or_b64 exec, exec, s[12:13]
	global_load_dwordx2 v[15:16], v[15:16], off offset:1536
	v_mov_b32_e32 v58, 0
	v_mov_b32_e32 v57, 0
	s_waitcnt vmcnt(0)
	v_cmp_ne_u16_sdwa s[0:1], v15, v10 src0_sel:BYTE_0 src1_sel:DWORD
	s_and_saveexec_b64 s[12:13], s[0:1]
	s_cbranch_execz .LBB291_379
; %bb.374:                              ;   in Loop: Header=BB291_223 Depth=1
	v_cmp_ne_u16_sdwa s[0:1], v15, s24 src0_sel:BYTE_0 src1_sel:DWORD
	v_bfrev_b32_e32 v57, 1
	s_and_saveexec_b64 s[14:15], s[0:1]
	s_cbranch_execz .LBB291_378
; %bb.375:                              ;   in Loop: Header=BB291_223 Depth=1
	v_and_b32_e32 v9, 0x7f, v15
	v_cmp_ne_u32_e64 s[0:1], s25, v9
	v_mov_b32_e32 v57, 0x7f800001
	s_and_saveexec_b64 s[16:17], s[0:1]
	s_cbranch_execz .LBB291_377
; %bb.376:                              ;   in Loop: Header=BB291_223 Depth=1
	v_and_b32_e32 v11, 7, v15
	v_ffbh_u32_e32 v11, v11
	v_min_u32_e32 v11, 32, v11
	v_lshrrev_b32_e32 v12, 3, v9
	v_subrev_u32_e32 v17, 28, v11
	v_sub_u32_e32 v11, 29, v11
	v_cmp_gt_u32_e64 s[0:1], 8, v9
	v_cndmask_b32_e64 v9, v12, v11, s[0:1]
	v_cndmask_b32_e64 v11, 0, v17, s[0:1]
	v_lshlrev_b64 v[59:60], v11, v[15:16]
	v_lshlrev_b32_e32 v12, 24, v15
	v_lshlrev_b32_e32 v11, 20, v59
	v_bfrev_b32_e32 v17, 60
	v_and_b32_e32 v11, 0x700000, v11
	v_and_b32_e32 v12, 0x80000000, v12
	v_lshl_add_u32 v9, v9, 23, v17
	v_or3_b32 v57, v12, v9, v11
.LBB291_377:                            ;   in Loop: Header=BB291_223 Depth=1
	s_or_b64 exec, exec, s[16:17]
.LBB291_378:                            ;   in Loop: Header=BB291_223 Depth=1
	s_or_b64 exec, exec, s[14:15]
.LBB291_379:                            ;   in Loop: Header=BB291_223 Depth=1
	s_or_b64 exec, exec, s[12:13]
	v_lshrrev_b16_e32 v9, 8, v15
	v_cmp_ne_u16_e64 s[0:1], 0, v9
	s_and_saveexec_b64 s[12:13], s[0:1]
	s_cbranch_execz .LBB291_385
; %bb.380:                              ;   in Loop: Header=BB291_223 Depth=1
	v_cmp_ne_u16_e64 s[0:1], s24, v9
	v_bfrev_b32_e32 v58, 1
	s_and_saveexec_b64 s[14:15], s[0:1]
	s_cbranch_execz .LBB291_384
; %bb.381:                              ;   in Loop: Header=BB291_223 Depth=1
	v_and_b32_e32 v17, 0x7f, v9
	v_cmp_ne_u32_e64 s[0:1], s25, v17
	v_mov_b32_e32 v58, 0x7f800001
	s_and_saveexec_b64 s[16:17], s[0:1]
	s_cbranch_execz .LBB291_383
; %bb.382:                              ;   in Loop: Header=BB291_223 Depth=1
	v_and_b32_e32 v11, 7, v9
	v_lshrrev_b32_e32 v12, 3, v17
	v_cmp_gt_u32_e64 s[0:1], 8, v17
	v_ffbh_u32_e32 v17, v11
	v_min_u32_e32 v17, 32, v17
	v_subrev_u32_e32 v22, 28, v17
	v_lshlrev_b64 v[58:59], v22, v[9:10]
	v_sub_u32_e32 v9, 29, v17
	v_and_b32_e32 v17, 7, v58
	v_cndmask_b32_e64 v9, v12, v9, s[0:1]
	v_cndmask_b32_e64 v11, v11, v17, s[0:1]
	v_lshlrev_b32_e32 v12, 16, v15
	v_bfrev_b32_e32 v17, 60
	v_lshlrev_b32_e32 v11, 20, v11
	v_and_b32_e32 v12, 0x80000000, v12
	v_lshl_add_u32 v9, v9, 23, v17
	v_or3_b32 v58, v12, v9, v11
.LBB291_383:                            ;   in Loop: Header=BB291_223 Depth=1
	s_or_b64 exec, exec, s[16:17]
.LBB291_384:                            ;   in Loop: Header=BB291_223 Depth=1
	s_or_b64 exec, exec, s[14:15]
.LBB291_385:                            ;   in Loop: Header=BB291_223 Depth=1
	s_or_b64 exec, exec, s[12:13]
	v_lshrrev_b32_e32 v9, 16, v15
	v_cmp_ne_u16_sdwa s[0:1], v9, v10 src0_sel:BYTE_0 src1_sel:DWORD
	v_mov_b32_e32 v60, 0
	v_mov_b32_e32 v59, 0
	s_and_saveexec_b64 s[12:13], s[0:1]
	s_cbranch_execz .LBB291_391
; %bb.386:                              ;   in Loop: Header=BB291_223 Depth=1
	v_cmp_ne_u16_sdwa s[0:1], v9, s24 src0_sel:BYTE_0 src1_sel:DWORD
	v_bfrev_b32_e32 v59, 1
	s_and_saveexec_b64 s[14:15], s[0:1]
	s_cbranch_execz .LBB291_390
; %bb.387:                              ;   in Loop: Header=BB291_223 Depth=1
	v_bfe_u32 v17, v15, 16, 7
	v_cmp_ne_u32_e64 s[0:1], s25, v17
	v_mov_b32_e32 v59, 0x7f800001
	s_and_saveexec_b64 s[16:17], s[0:1]
	s_cbranch_execz .LBB291_389
; %bb.388:                              ;   in Loop: Header=BB291_223 Depth=1
	v_and_b32_e32 v11, 7, v9
	v_lshrrev_b32_e32 v12, 3, v17
	v_cmp_gt_u32_e64 s[0:1], 8, v17
	v_ffbh_u32_e32 v17, v11
	v_min_u32_e32 v17, 32, v17
	v_subrev_u32_e32 v22, 28, v17
	v_lshlrev_b64 v[61:62], v22, v[9:10]
	v_sub_u32_e32 v17, 29, v17
	v_and_b32_e32 v22, 7, v61
	v_cndmask_b32_e64 v12, v12, v17, s[0:1]
	v_cndmask_b32_e64 v11, v11, v22, s[0:1]
	v_lshlrev_b32_e32 v9, 24, v9
	v_bfrev_b32_e32 v17, 60
	v_lshlrev_b32_e32 v11, 20, v11
	v_and_b32_e32 v9, 0x80000000, v9
	v_lshl_add_u32 v12, v12, 23, v17
	v_or3_b32 v59, v9, v12, v11
.LBB291_389:                            ;   in Loop: Header=BB291_223 Depth=1
	s_or_b64 exec, exec, s[16:17]
.LBB291_390:                            ;   in Loop: Header=BB291_223 Depth=1
	s_or_b64 exec, exec, s[14:15]
.LBB291_391:                            ;   in Loop: Header=BB291_223 Depth=1
	s_or_b64 exec, exec, s[12:13]
	v_cmp_lt_u32_e64 s[0:1], s5, v15
	s_and_saveexec_b64 s[12:13], s[0:1]
	s_cbranch_execz .LBB291_397
; %bb.392:                              ;   in Loop: Header=BB291_223 Depth=1
	v_lshrrev_b32_e32 v9, 24, v15
	v_cmp_ne_u32_e64 s[0:1], s24, v9
	v_bfrev_b32_e32 v60, 1
	s_and_saveexec_b64 s[14:15], s[0:1]
	s_cbranch_execz .LBB291_396
; %bb.393:                              ;   in Loop: Header=BB291_223 Depth=1
	v_bfe_u32 v17, v15, 24, 7
	v_cmp_ne_u32_e64 s[0:1], s25, v17
	v_mov_b32_e32 v60, 0x7f800001
	s_and_saveexec_b64 s[16:17], s[0:1]
	s_cbranch_execz .LBB291_395
; %bb.394:                              ;   in Loop: Header=BB291_223 Depth=1
	v_and_b32_e32 v11, 7, v9
	v_lshrrev_b32_e32 v12, 3, v17
	v_cmp_gt_u32_e64 s[0:1], 8, v17
	v_ffbh_u32_e32 v17, v11
	v_min_u32_e32 v17, 32, v17
	v_subrev_u32_e32 v22, 28, v17
	v_lshlrev_b64 v[60:61], v22, v[9:10]
	v_sub_u32_e32 v17, 29, v17
	v_and_b32_e32 v22, 7, v60
	v_cndmask_b32_e64 v12, v12, v17, s[0:1]
	v_cndmask_b32_e64 v11, v11, v22, s[0:1]
	v_lshlrev_b32_e32 v9, 24, v9
	v_bfrev_b32_e32 v17, 60
	v_lshlrev_b32_e32 v11, 20, v11
	v_and_b32_e32 v9, 0x80000000, v9
	v_lshl_add_u32 v12, v12, 23, v17
	v_or3_b32 v60, v9, v12, v11
.LBB291_395:                            ;   in Loop: Header=BB291_223 Depth=1
	s_or_b64 exec, exec, s[16:17]
.LBB291_396:                            ;   in Loop: Header=BB291_223 Depth=1
	s_or_b64 exec, exec, s[14:15]
.LBB291_397:                            ;   in Loop: Header=BB291_223 Depth=1
	s_or_b64 exec, exec, s[12:13]
	v_mov_b32_e32 v9, v16
	v_cmp_ne_u16_sdwa s[0:1], v16, v10 src0_sel:BYTE_0 src1_sel:DWORD
	v_mov_b32_e32 v62, 0
	v_mov_b32_e32 v61, 0
	s_and_saveexec_b64 s[12:13], s[0:1]
	s_cbranch_execz .LBB291_403
; %bb.398:                              ;   in Loop: Header=BB291_223 Depth=1
	v_cmp_ne_u16_sdwa s[0:1], v16, s24 src0_sel:BYTE_0 src1_sel:DWORD
	v_bfrev_b32_e32 v61, 1
	s_and_saveexec_b64 s[14:15], s[0:1]
	s_cbranch_execz .LBB291_402
; %bb.399:                              ;   in Loop: Header=BB291_223 Depth=1
	v_and_b32_e32 v17, 0x7f, v16
	v_cmp_ne_u32_e64 s[0:1], s25, v17
	v_mov_b32_e32 v61, 0x7f800001
	s_and_saveexec_b64 s[16:17], s[0:1]
	s_cbranch_execz .LBB291_401
; %bb.400:                              ;   in Loop: Header=BB291_223 Depth=1
	v_and_b32_e32 v11, 7, v16
	v_ffbh_u32_e32 v11, v11
	v_min_u32_e32 v11, 32, v11
	v_lshrrev_b32_e32 v12, 3, v17
	v_cmp_gt_u32_e64 s[0:1], 8, v17
	v_subrev_u32_e32 v17, 28, v11
	v_sub_u32_e32 v11, 29, v11
	v_cndmask_b32_e64 v22, v12, v11, s[0:1]
	v_cndmask_b32_e64 v11, 0, v17, s[0:1]
	v_lshlrev_b64 v[11:12], v11, v[9:10]
	v_lshlrev_b32_e32 v12, 24, v9
	v_lshlrev_b32_e32 v11, 20, v11
	v_bfrev_b32_e32 v17, 60
	v_and_b32_e32 v11, 0x700000, v11
	v_and_b32_e32 v12, 0x80000000, v12
	v_lshl_add_u32 v17, v22, 23, v17
	v_or3_b32 v61, v12, v17, v11
.LBB291_401:                            ;   in Loop: Header=BB291_223 Depth=1
	s_or_b64 exec, exec, s[16:17]
.LBB291_402:                            ;   in Loop: Header=BB291_223 Depth=1
	s_or_b64 exec, exec, s[14:15]
.LBB291_403:                            ;   in Loop: Header=BB291_223 Depth=1
	s_or_b64 exec, exec, s[12:13]
	v_lshrrev_b16_e32 v17, 8, v9
	v_cmp_ne_u16_e64 s[0:1], 0, v17
	s_and_saveexec_b64 s[12:13], s[0:1]
	s_cbranch_execz .LBB291_409
; %bb.404:                              ;   in Loop: Header=BB291_223 Depth=1
	v_cmp_ne_u16_e64 s[0:1], s24, v17
	v_bfrev_b32_e32 v62, 1
	s_and_saveexec_b64 s[14:15], s[0:1]
	s_cbranch_execz .LBB291_408
; %bb.405:                              ;   in Loop: Header=BB291_223 Depth=1
	v_and_b32_e32 v63, 0x7f, v17
	v_cmp_ne_u32_e64 s[0:1], s25, v63
	v_mov_b32_e32 v62, 0x7f800001
	s_and_saveexec_b64 s[16:17], s[0:1]
	s_cbranch_execz .LBB291_407
; %bb.406:                              ;   in Loop: Header=BB291_223 Depth=1
	v_and_b32_e32 v22, 7, v17
	v_ffbh_u32_e32 v11, v22
	v_lshrrev_b32_e32 v62, 3, v63
	v_cmp_gt_u32_e64 s[0:1], 8, v63
	v_min_u32_e32 v63, 32, v11
	v_subrev_u32_e32 v11, 28, v63
	v_lshlrev_b64 v[11:12], v11, v[17:18]
	v_sub_u32_e32 v12, 29, v63
	v_and_b32_e32 v11, 7, v11
	v_cndmask_b32_e64 v12, v62, v12, s[0:1]
	v_cndmask_b32_e64 v11, v22, v11, s[0:1]
	v_lshlrev_b32_e32 v9, 16, v9
	v_bfrev_b32_e32 v17, 60
	v_lshlrev_b32_e32 v11, 20, v11
	v_and_b32_e32 v9, 0x80000000, v9
	v_lshl_add_u32 v12, v12, 23, v17
	v_or3_b32 v62, v9, v12, v11
.LBB291_407:                            ;   in Loop: Header=BB291_223 Depth=1
	s_or_b64 exec, exec, s[16:17]
.LBB291_408:                            ;   in Loop: Header=BB291_223 Depth=1
	s_or_b64 exec, exec, s[14:15]
.LBB291_409:                            ;   in Loop: Header=BB291_223 Depth=1
	s_or_b64 exec, exec, s[12:13]
	v_lshrrev_b32_e32 v9, 16, v16
	v_cmp_ne_u16_sdwa s[0:1], v9, v10 src0_sel:BYTE_0 src1_sel:DWORD
	v_mov_b32_e32 v63, 0
	v_mov_b32_e32 v17, 0
	s_and_saveexec_b64 s[12:13], s[0:1]
	s_cbranch_execz .LBB291_415
; %bb.410:                              ;   in Loop: Header=BB291_223 Depth=1
	v_cmp_ne_u16_sdwa s[0:1], v9, s24 src0_sel:BYTE_0 src1_sel:DWORD
	v_bfrev_b32_e32 v17, 1
	s_and_saveexec_b64 s[14:15], s[0:1]
	s_cbranch_execz .LBB291_414
; %bb.411:                              ;   in Loop: Header=BB291_223 Depth=1
	v_bfe_u32 v22, v16, 16, 7
	v_cmp_ne_u32_e64 s[0:1], s25, v22
	v_mov_b32_e32 v17, 0x7f800001
	s_and_saveexec_b64 s[16:17], s[0:1]
	s_cbranch_execz .LBB291_413
; %bb.412:                              ;   in Loop: Header=BB291_223 Depth=1
	v_and_b32_e32 v17, 7, v9
	v_ffbh_u32_e32 v11, v17
	v_lshrrev_b32_e32 v29, 3, v22
	v_cmp_gt_u32_e64 s[0:1], 8, v22
	v_min_u32_e32 v22, 32, v11
	v_subrev_u32_e32 v11, 28, v22
	v_lshlrev_b64 v[11:12], v11, v[9:10]
	v_sub_u32_e32 v12, 29, v22
	v_and_b32_e32 v11, 7, v11
	v_cndmask_b32_e64 v12, v29, v12, s[0:1]
	v_cndmask_b32_e64 v11, v17, v11, s[0:1]
	v_lshlrev_b32_e32 v9, 24, v9
	v_bfrev_b32_e32 v17, 60
	v_lshlrev_b32_e32 v11, 20, v11
	v_and_b32_e32 v9, 0x80000000, v9
	v_lshl_add_u32 v12, v12, 23, v17
	v_or3_b32 v17, v9, v12, v11
.LBB291_413:                            ;   in Loop: Header=BB291_223 Depth=1
	s_or_b64 exec, exec, s[16:17]
.LBB291_414:                            ;   in Loop: Header=BB291_223 Depth=1
	s_or_b64 exec, exec, s[14:15]
.LBB291_415:                            ;   in Loop: Header=BB291_223 Depth=1
	s_or_b64 exec, exec, s[12:13]
	v_cmp_lt_u64_e64 s[0:1], s[4:5], v[15:16]
	s_and_saveexec_b64 s[12:13], s[0:1]
	s_cbranch_execz .LBB291_421
; %bb.416:                              ;   in Loop: Header=BB291_223 Depth=1
	v_lshrrev_b32_e32 v9, 24, v16
	v_cmp_ne_u32_e64 s[0:1], s24, v9
	v_bfrev_b32_e32 v63, 1
	s_and_saveexec_b64 s[14:15], s[0:1]
	s_cbranch_execz .LBB291_420
; %bb.417:                              ;   in Loop: Header=BB291_223 Depth=1
	v_bfe_u32 v15, v16, 24, 7
	v_cmp_ne_u32_e64 s[0:1], s25, v15
	v_mov_b32_e32 v63, 0x7f800001
	s_and_saveexec_b64 s[16:17], s[0:1]
	s_cbranch_execz .LBB291_419
; %bb.418:                              ;   in Loop: Header=BB291_223 Depth=1
	v_and_b32_e32 v16, 7, v9
	v_ffbh_u32_e32 v11, v16
	v_lshrrev_b32_e32 v22, 3, v15
	v_cmp_gt_u32_e64 s[0:1], 8, v15
	v_min_u32_e32 v15, 32, v11
	v_subrev_u32_e32 v11, 28, v15
	v_lshlrev_b64 v[11:12], v11, v[9:10]
	v_sub_u32_e32 v12, 29, v15
	v_and_b32_e32 v11, 7, v11
	v_cndmask_b32_e64 v12, v22, v12, s[0:1]
	v_cndmask_b32_e64 v11, v16, v11, s[0:1]
	v_lshlrev_b32_e32 v9, 24, v9
	v_bfrev_b32_e32 v15, 60
	v_lshlrev_b32_e32 v11, 20, v11
	v_and_b32_e32 v9, 0x80000000, v9
	v_lshl_add_u32 v12, v12, 23, v15
	v_or3_b32 v63, v9, v12, v11
.LBB291_419:                            ;   in Loop: Header=BB291_223 Depth=1
	s_or_b64 exec, exec, s[16:17]
.LBB291_420:                            ;   in Loop: Header=BB291_223 Depth=1
	s_or_b64 exec, exec, s[14:15]
.LBB291_421:                            ;   in Loop: Header=BB291_223 Depth=1
	s_or_b64 exec, exec, s[12:13]
	v_mul_f32_e32 v9, s18, v62
	v_bfe_u32 v11, v9, 16, 1
	v_add3_u32 v11, v11, v9, s26
	v_or_b32_e32 v12, 0x400000, v9
	v_cmp_u_f32_e64 s[0:1], v9, v9
	v_cndmask_b32_e64 v9, v11, v12, s[0:1]
	v_mul_f32_e32 v11, s18, v61
	v_bfe_u32 v12, v11, 16, 1
	v_add3_u32 v12, v12, v11, s26
	v_or_b32_e32 v15, 0x400000, v11
	v_cmp_u_f32_e64 s[0:1], v11, v11
	v_cndmask_b32_e64 v11, v12, v15, s[0:1]
	v_lshrrev_b32_e32 v15, 16, v11
	v_mul_f32_e32 v11, s18, v60
	v_bfe_u32 v12, v11, 16, 1
	v_add3_u32 v12, v12, v11, s26
	v_or_b32_e32 v16, 0x400000, v11
	v_cmp_u_f32_e64 s[0:1], v11, v11
	v_cndmask_b32_e64 v11, v12, v16, s[0:1]
	v_lshrrev_b32_e32 v16, 16, v11
	;; [unrolled: 7-line block ×7, first 2 shown]
	v_lshrrev_b32_e32 v57, 16, v11
	s_and_saveexec_b64 s[0:1], vcc
	s_cbranch_execz .LBB291_222
; %bb.422:                              ;   in Loop: Header=BB291_223 Depth=1
	v_cmp_gt_i32_e32 vcc, s30, v38
	v_cndmask_b32_e32 v60, 0, v60, vcc
	v_cmp_gt_i32_e32 vcc, s30, v44
	v_cndmask_b32_e32 v58, 0, v58, vcc
	;; [unrolled: 2-line block ×8, first 2 shown]
	s_branch .LBB291_222
.LBB291_423:
	s_or_b64 exec, exec, s[6:7]
	buffer_load_dword v12, off, s[44:47], 0 offset:8 ; 4-byte Folded Reload
.LBB291_424:
	s_or_b64 exec, exec, s[2:3]
	s_waitcnt vmcnt(0)
	s_barrier
	buffer_load_dword v1, off, s[44:47], 0 offset:88 ; 4-byte Folded Reload
	s_waitcnt vmcnt(0)
	v_and_b32_e32 v0, 0x3c0, v1
	v_cmp_eq_u32_e32 vcc, 64, v0
	s_and_saveexec_b64 s[0:1], vcc
	s_cbranch_execz .LBB291_426
; %bb.425:
	v_mov_b32_e32 v0, 0x210
	v_lshl_add_u32 v0, v12, 2, v0
	ds_write2st64_b32 v0, v26, v25 offset1:1
	ds_write2st64_b32 v0, v24, v23 offset0:2 offset1:3
.LBB291_426:
	s_or_b64 exec, exec, s[0:1]
	v_cmp_gt_u32_e32 vcc, 64, v1
	s_waitcnt lgkmcnt(0)
	s_barrier
	s_and_saveexec_b64 s[0:1], vcc
	s_cbranch_execz .LBB291_428
; %bb.427:
	v_mov_b32_e32 v0, 0x210
	v_lshl_add_u32 v2, v1, 2, v0
	ds_read2st64_b32 v[0:1], v2 offset1:1
	ds_read2st64_b32 v[2:3], v2 offset0:2 offset1:3
	s_waitcnt lgkmcnt(1)
	v_add_f32_e32 v26, v26, v0
	v_add_f32_e32 v25, v25, v1
	s_waitcnt lgkmcnt(0)
	v_add_f32_e32 v24, v24, v2
	v_add_f32_e32 v23, v23, v3
.LBB291_428:
	s_or_b64 exec, exec, s[0:1]
	s_barrier
	s_and_saveexec_b64 s[0:1], vcc
	s_cbranch_execz .LBB291_430
; %bb.429:
	buffer_load_dword v2, off, s[44:47], 0 offset:92 ; 4-byte Folded Reload
	s_mul_i32 s0, s10, s11
	s_mul_i32 s0, s0, s9
	s_lshl_b32 s0, s0, 8
	s_ashr_i32 s1, s0, 31
	s_lshl_b64 s[0:1], s[0:1], 1
	s_add_u32 s2, s22, s0
	s_mul_i32 s0, s11, s20
	s_addc_u32 s3, s23, s1
	s_ashr_i32 s1, s0, 31
	s_lshl_b64 s[0:1], s[0:1], 1
	s_add_u32 s2, s2, s0
	s_addc_u32 s3, s3, s1
	s_lshl_b32 s0, s8, 8
	s_ashr_i32 s1, s0, 31
	s_lshl_b64 s[0:1], s[0:1], 1
	s_add_u32 s0, s2, s0
	v_bfe_u32 v0, v26, 16, 1
	s_movk_i32 s2, 0x7fff
	v_add3_u32 v0, v0, v26, s2
	v_or_b32_e32 v1, 0x400000, v26
	v_cmp_u_f32_e32 vcc, v26, v26
	s_addc_u32 s1, s3, s1
	v_cndmask_b32_e32 v0, v0, v1, vcc
	v_or_b32_e32 v1, 0x400000, v25
	v_cmp_u_f32_e32 vcc, v25, v25
	s_waitcnt vmcnt(0)
	global_store_short_d16_hi v2, v0, s[0:1]
	v_bfe_u32 v0, v25, 16, 1
	v_add3_u32 v0, v0, v25, s2
	v_cndmask_b32_e32 v0, v0, v1, vcc
	global_store_short_d16_hi v2, v0, s[0:1] offset:128
	v_bfe_u32 v0, v24, 16, 1
	v_add3_u32 v0, v0, v24, s2
	v_or_b32_e32 v1, 0x400000, v24
	v_cmp_u_f32_e32 vcc, v24, v24
	v_cndmask_b32_e32 v0, v0, v1, vcc
	global_store_short_d16_hi v2, v0, s[0:1] offset:256
	v_bfe_u32 v0, v23, 16, 1
	v_add3_u32 v0, v0, v23, s2
	v_or_b32_e32 v1, 0x400000, v23
	v_cmp_u_f32_e32 vcc, v23, v23
	v_cndmask_b32_e32 v0, v0, v1, vcc
	global_store_short_d16_hi v2, v0, s[0:1] offset:384
.LBB291_430:
	s_endpgm
	.section	.rodata,"a",@progbits
	.p2align	6, 0x0
	.amdhsa_kernel _ZN4vllm25paged_attention_v1_kernelI14__hip_bfloat16hLi256ELi8ELi128ELNS_18Fp8KVCacheDataTypeE1ELb0EEEvPT_PKS3_PKT0_S9_ifPKiSB_iPKfiiiSD_SD_iiiii
		.amdhsa_group_segment_fixed_size 528
		.amdhsa_private_segment_fixed_size 104
		.amdhsa_kernarg_size 384
		.amdhsa_user_sgpr_count 6
		.amdhsa_user_sgpr_private_segment_buffer 1
		.amdhsa_user_sgpr_dispatch_ptr 0
		.amdhsa_user_sgpr_queue_ptr 0
		.amdhsa_user_sgpr_kernarg_segment_ptr 1
		.amdhsa_user_sgpr_dispatch_id 0
		.amdhsa_user_sgpr_flat_scratch_init 0
		.amdhsa_user_sgpr_private_segment_size 0
		.amdhsa_uses_dynamic_stack 0
		.amdhsa_system_sgpr_private_segment_wavefront_offset 1
		.amdhsa_system_sgpr_workgroup_id_x 1
		.amdhsa_system_sgpr_workgroup_id_y 1
		.amdhsa_system_sgpr_workgroup_id_z 1
		.amdhsa_system_sgpr_workgroup_info 0
		.amdhsa_system_vgpr_workitem_id 0
		.amdhsa_next_free_vgpr 64
		.amdhsa_next_free_sgpr 48
		.amdhsa_reserve_vcc 1
		.amdhsa_reserve_flat_scratch 0
		.amdhsa_float_round_mode_32 0
		.amdhsa_float_round_mode_16_64 0
		.amdhsa_float_denorm_mode_32 3
		.amdhsa_float_denorm_mode_16_64 3
		.amdhsa_dx10_clamp 1
		.amdhsa_ieee_mode 1
		.amdhsa_fp16_overflow 0
		.amdhsa_exception_fp_ieee_invalid_op 0
		.amdhsa_exception_fp_denorm_src 0
		.amdhsa_exception_fp_ieee_div_zero 0
		.amdhsa_exception_fp_ieee_overflow 0
		.amdhsa_exception_fp_ieee_underflow 0
		.amdhsa_exception_fp_ieee_inexact 0
		.amdhsa_exception_int_div_zero 0
	.end_amdhsa_kernel
	.section	.text._ZN4vllm25paged_attention_v1_kernelI14__hip_bfloat16hLi256ELi8ELi128ELNS_18Fp8KVCacheDataTypeE1ELb0EEEvPT_PKS3_PKT0_S9_ifPKiSB_iPKfiiiSD_SD_iiiii,"axG",@progbits,_ZN4vllm25paged_attention_v1_kernelI14__hip_bfloat16hLi256ELi8ELi128ELNS_18Fp8KVCacheDataTypeE1ELb0EEEvPT_PKS3_PKT0_S9_ifPKiSB_iPKfiiiSD_SD_iiiii,comdat
.Lfunc_end291:
	.size	_ZN4vllm25paged_attention_v1_kernelI14__hip_bfloat16hLi256ELi8ELi128ELNS_18Fp8KVCacheDataTypeE1ELb0EEEvPT_PKS3_PKT0_S9_ifPKiSB_iPKfiiiSD_SD_iiiii, .Lfunc_end291-_ZN4vllm25paged_attention_v1_kernelI14__hip_bfloat16hLi256ELi8ELi128ELNS_18Fp8KVCacheDataTypeE1ELb0EEEvPT_PKS3_PKT0_S9_ifPKiSB_iPKfiiiSD_SD_iiiii
                                        ; -- End function
	.set _ZN4vllm25paged_attention_v1_kernelI14__hip_bfloat16hLi256ELi8ELi128ELNS_18Fp8KVCacheDataTypeE1ELb0EEEvPT_PKS3_PKT0_S9_ifPKiSB_iPKfiiiSD_SD_iiiii.num_vgpr, 64
	.set _ZN4vllm25paged_attention_v1_kernelI14__hip_bfloat16hLi256ELi8ELi128ELNS_18Fp8KVCacheDataTypeE1ELb0EEEvPT_PKS3_PKT0_S9_ifPKiSB_iPKfiiiSD_SD_iiiii.num_agpr, 0
	.set _ZN4vllm25paged_attention_v1_kernelI14__hip_bfloat16hLi256ELi8ELi128ELNS_18Fp8KVCacheDataTypeE1ELb0EEEvPT_PKS3_PKT0_S9_ifPKiSB_iPKfiiiSD_SD_iiiii.numbered_sgpr, 48
	.set _ZN4vllm25paged_attention_v1_kernelI14__hip_bfloat16hLi256ELi8ELi128ELNS_18Fp8KVCacheDataTypeE1ELb0EEEvPT_PKS3_PKT0_S9_ifPKiSB_iPKfiiiSD_SD_iiiii.num_named_barrier, 0
	.set _ZN4vllm25paged_attention_v1_kernelI14__hip_bfloat16hLi256ELi8ELi128ELNS_18Fp8KVCacheDataTypeE1ELb0EEEvPT_PKS3_PKT0_S9_ifPKiSB_iPKfiiiSD_SD_iiiii.private_seg_size, 104
	.set _ZN4vllm25paged_attention_v1_kernelI14__hip_bfloat16hLi256ELi8ELi128ELNS_18Fp8KVCacheDataTypeE1ELb0EEEvPT_PKS3_PKT0_S9_ifPKiSB_iPKfiiiSD_SD_iiiii.uses_vcc, 1
	.set _ZN4vllm25paged_attention_v1_kernelI14__hip_bfloat16hLi256ELi8ELi128ELNS_18Fp8KVCacheDataTypeE1ELb0EEEvPT_PKS3_PKT0_S9_ifPKiSB_iPKfiiiSD_SD_iiiii.uses_flat_scratch, 0
	.set _ZN4vllm25paged_attention_v1_kernelI14__hip_bfloat16hLi256ELi8ELi128ELNS_18Fp8KVCacheDataTypeE1ELb0EEEvPT_PKS3_PKT0_S9_ifPKiSB_iPKfiiiSD_SD_iiiii.has_dyn_sized_stack, 0
	.set _ZN4vllm25paged_attention_v1_kernelI14__hip_bfloat16hLi256ELi8ELi128ELNS_18Fp8KVCacheDataTypeE1ELb0EEEvPT_PKS3_PKT0_S9_ifPKiSB_iPKfiiiSD_SD_iiiii.has_recursion, 0
	.set _ZN4vllm25paged_attention_v1_kernelI14__hip_bfloat16hLi256ELi8ELi128ELNS_18Fp8KVCacheDataTypeE1ELb0EEEvPT_PKS3_PKT0_S9_ifPKiSB_iPKfiiiSD_SD_iiiii.has_indirect_call, 0
	.section	.AMDGPU.csdata,"",@progbits
; Kernel info:
; codeLenInByte = 21372
; TotalNumSgprs: 52
; NumVgprs: 64
; ScratchSize: 104
; MemoryBound: 0
; FloatMode: 240
; IeeeMode: 1
; LDSByteSize: 528 bytes/workgroup (compile time only)
; SGPRBlocks: 6
; VGPRBlocks: 15
; NumSGPRsForWavesPerEU: 52
; NumVGPRsForWavesPerEU: 64
; Occupancy: 4
; WaveLimiterHint : 1
; COMPUTE_PGM_RSRC2:SCRATCH_EN: 1
; COMPUTE_PGM_RSRC2:USER_SGPR: 6
; COMPUTE_PGM_RSRC2:TRAP_HANDLER: 0
; COMPUTE_PGM_RSRC2:TGID_X_EN: 1
; COMPUTE_PGM_RSRC2:TGID_Y_EN: 1
; COMPUTE_PGM_RSRC2:TGID_Z_EN: 1
; COMPUTE_PGM_RSRC2:TIDIG_COMP_CNT: 0
	.section	.text._ZN4vllm25paged_attention_v1_kernelI14__hip_bfloat16hLi32ELi16ELi128ELNS_18Fp8KVCacheDataTypeE1ELb1EEEvPT_PKS3_PKT0_S9_ifPKiSB_iPKfiiiSD_SD_iiiii,"axG",@progbits,_ZN4vllm25paged_attention_v1_kernelI14__hip_bfloat16hLi32ELi16ELi128ELNS_18Fp8KVCacheDataTypeE1ELb1EEEvPT_PKS3_PKT0_S9_ifPKiSB_iPKfiiiSD_SD_iiiii,comdat
	.protected	_ZN4vllm25paged_attention_v1_kernelI14__hip_bfloat16hLi32ELi16ELi128ELNS_18Fp8KVCacheDataTypeE1ELb1EEEvPT_PKS3_PKT0_S9_ifPKiSB_iPKfiiiSD_SD_iiiii ; -- Begin function _ZN4vllm25paged_attention_v1_kernelI14__hip_bfloat16hLi32ELi16ELi128ELNS_18Fp8KVCacheDataTypeE1ELb1EEEvPT_PKS3_PKT0_S9_ifPKiSB_iPKfiiiSD_SD_iiiii
	.globl	_ZN4vllm25paged_attention_v1_kernelI14__hip_bfloat16hLi32ELi16ELi128ELNS_18Fp8KVCacheDataTypeE1ELb1EEEvPT_PKS3_PKT0_S9_ifPKiSB_iPKfiiiSD_SD_iiiii
	.p2align	8
	.type	_ZN4vllm25paged_attention_v1_kernelI14__hip_bfloat16hLi32ELi16ELi128ELNS_18Fp8KVCacheDataTypeE1ELb1EEEvPT_PKS3_PKT0_S9_ifPKiSB_iPKfiiiSD_SD_iiiii,@function
_ZN4vllm25paged_attention_v1_kernelI14__hip_bfloat16hLi32ELi16ELi128ELNS_18Fp8KVCacheDataTypeE1ELb1EEEvPT_PKS3_PKT0_S9_ifPKiSB_iPKfiiiSD_SD_iiiii: ; @_ZN4vllm25paged_attention_v1_kernelI14__hip_bfloat16hLi32ELi16ELi128ELNS_18Fp8KVCacheDataTypeE1ELb1EEEvPT_PKS3_PKT0_S9_ifPKiSB_iPKfiiiSD_SD_iiiii
; %bb.0:
	s_load_dword s9, s[4:5], 0x80
	s_load_dwordx2 s[0:1], s[4:5], 0x30
	s_load_dwordx2 s[36:37], s[4:5], 0x20
	s_mov_b32 s10, s7
	s_ashr_i32 s11, s7, 31
	s_lshl_b64 s[2:3], s[10:11], 2
	s_waitcnt lgkmcnt(0)
	s_add_u32 s0, s0, s2
	s_addc_u32 s1, s1, s3
	s_abs_i32 s2, s36
	v_cvt_f32_u32_e32 v1, s2
	s_sub_i32 s11, 0, s2
	s_abs_i32 s7, s9
	s_xor_b32 s3, s9, s36
	v_rcp_iflag_f32_e32 v1, v1
	s_ashr_i32 s3, s3, 31
	s_mov_b32 s48, 0
	v_mul_f32_e32 v1, 0x4f7ffffe, v1
	v_cvt_u32_f32_e32 v1, v1
	v_readfirstlane_b32 s12, v1
	s_mul_i32 s11, s11, s12
	s_mul_hi_u32 s11, s12, s11
	s_add_i32 s12, s12, s11
	s_mul_hi_u32 s11, s7, s12
	s_mul_i32 s12, s11, s2
	s_sub_i32 s7, s7, s12
	s_add_i32 s12, s11, 1
	s_sub_i32 s13, s7, s2
	s_cmp_ge_u32 s7, s2
	s_cselect_b32 s11, s12, s11
	s_cselect_b32 s7, s13, s7
	s_add_i32 s12, s11, 1
	s_cmp_ge_u32 s7, s2
	s_cselect_b32 s2, s12, s11
	s_xor_b32 s2, s2, s3
	s_sub_i32 s15, s2, s3
	s_abs_i32 s12, s15
	v_cvt_f32_u32_e32 v1, s12
	s_load_dwordx2 s[2:3], s[4:5], 0x40
	s_sub_i32 s7, 0, s12
	s_abs_i32 s13, s6
	v_rcp_iflag_f32_e32 v1, v1
	v_mul_f32_e32 v1, 0x4f7ffffe, v1
	v_cvt_u32_f32_e32 v1, v1
	v_readfirstlane_b32 s11, v1
	s_mul_i32 s7, s7, s11
	s_mul_hi_u32 s7, s11, s7
	s_add_i32 s11, s11, s7
	s_waitcnt lgkmcnt(0)
	s_cmp_eq_u64 s[2:3], 0
	s_mul_hi_u32 s14, s13, s11
	s_cbranch_scc1 .LBB292_2
; %bb.1:
	s_ashr_i32 s7, s6, 31
	s_lshl_b64 s[16:17], s[6:7], 2
	s_add_u32 s2, s2, s16
	s_addc_u32 s3, s3, s17
	s_load_dword s48, s[2:3], 0x0
.LBB292_2:
	s_load_dword s11, s[0:1], 0x0
	s_load_dwordx4 s[16:19], s[4:5], 0x48
	s_ashr_i32 s3, s6, 31
	s_ashr_i32 s7, s15, 31
	v_and_b32_e32 v1, 3, v0
	s_lshl_b32 s24, s6, 5
	v_cmp_gt_u32_e32 vcc, 16, v0
	s_and_saveexec_b64 s[0:1], vcc
	s_cbranch_execz .LBB292_4
; %bb.3:
	s_load_dwordx2 s[20:21], s[4:5], 0x8
	s_waitcnt lgkmcnt(0)
	s_mul_i32 s22, s16, s10
	s_ashr_i32 s23, s22, 31
	s_lshl_b64 s[22:23], s[22:23], 1
	v_lshlrev_b32_e32 v2, 2, v0
	s_add_u32 s2, s20, s22
	s_addc_u32 s15, s21, s23
	s_ashr_i32 s25, s24, 31
	s_lshl_b64 s[20:21], s[24:25], 1
	s_add_u32 s20, s2, s20
	s_addc_u32 s21, s15, s21
	global_load_dword v2, v2, s[20:21]
	v_and_b32_e32 v3, 0x3fc, v0
	v_lshl_add_u32 v3, v1, 4, v3
	s_waitcnt vmcnt(0)
	ds_write_b32 v3, v2
.LBB292_4:
	s_or_b64 exec, exec, s[0:1]
	s_mul_i32 s1, s14, s12
	s_sub_i32 s1, s13, s1
	s_xor_b32 s0, s3, s7
	s_add_i32 s3, s14, 1
	s_sub_i32 s7, s1, s12
	s_load_dwordx4 s[20:23], s[4:5], 0x68
	s_load_dword s2, s[4:5], 0x78
	s_cmp_ge_u32 s1, s12
	s_cselect_b32 s3, s3, s14
	s_cselect_b32 s1, s7, s1
	s_add_i32 s7, s3, 1
	s_cmp_ge_u32 s1, s12
	s_cselect_b32 s1, s7, s3
	s_waitcnt lgkmcnt(0)
	s_abs_i32 s25, s23
	v_cvt_f32_u32_e32 v2, s25
	s_xor_b32 s1, s1, s0
	s_sub_i32 s47, s1, s0
	s_sub_i32 s0, 0, s25
	v_rcp_iflag_f32_e32 v2, v2
	s_add_i32 s12, s11, -1
	s_abs_i32 s3, s12
	v_mul_f32_e32 v2, 0x4f7ffffe, v2
	v_cvt_u32_f32_e32 v2, v2
	s_barrier
	v_readfirstlane_b32 s33, v2
	s_mul_i32 s0, s0, s33
	s_mul_hi_u32 s0, s33, s0
	s_add_i32 s33, s33, s0
	s_cmp_lt_i32 s2, 0
	s_mul_hi_u32 s7, s3, s33
	s_cbranch_scc0 .LBB292_6
; %bb.5:
	s_mul_i32 s0, s20, s36
	s_add_i32 s0, s47, s0
	s_mul_i32 s0, s0, s2
	s_sub_i32 s36, 1, s0
	s_mov_b64 s[0:1], 0
	s_branch .LBB292_7
.LBB292_6:
	s_mov_b64 s[0:1], -1
                                        ; implicit-def: $sgpr36
.LBB292_7:
	s_load_dwordx2 s[28:29], s[4:5], 0x28
	s_ashr_i32 s16, s12, 31
	s_andn2_b64 vcc, exec, s[0:1]
	s_ashr_i32 s23, s23, 31
	s_cbranch_vccnz .LBB292_9
; %bb.8:
	s_mul_i32 s0, s9, s20
	s_add_i32 s0, s0, s6
	s_mul_i32 s0, s0, s2
	s_add_i32 s36, s0, 1
.LBB292_9:
	s_load_dword s0, s[4:5], 0x38
	s_load_dwordx2 s[26:27], s[4:5], 0x0
	s_load_dwordx2 s[34:35], s[4:5], 0x18
	s_load_dword s20, s[4:5], 0x88
	s_load_dwordx4 s[12:15], s[4:5], 0x58
	s_mul_i32 s1, s7, s25
	s_waitcnt lgkmcnt(0)
	s_mul_i32 s30, s0, s10
	s_sub_i32 s1, s3, s1
	s_ashr_i32 s31, s30, 31
	s_xor_b32 s0, s16, s23
	s_add_i32 s2, s7, 1
	s_sub_i32 s3, s1, s25
	s_cmp_ge_u32 s1, s25
	s_cselect_b32 s2, s2, s7
	s_cselect_b32 s1, s3, s1
	s_add_i32 s3, s2, 1
	s_cmp_ge_u32 s1, s25
	s_cselect_b32 s1, s3, s2
	s_xor_b32 s1, s1, s0
	s_sub_i32 s16, s1, s0
	s_add_i32 s0, s11, 15
	s_ashr_i32 s1, s0, 31
	s_lshr_b32 s1, s1, 28
	s_add_i32 s0, s0, s1
	s_ashr_i32 s46, s0, 4
	v_lshrrev_b32_e32 v17, 6, v0
	v_cmp_gt_i32_e64 s[0:1], s46, v17
	v_mov_b32_e32 v20, 0xff7fffff
	s_mul_i32 s47, s47, s18
	v_lshrrev_b32_e32 v13, 4, v0
	v_lshlrev_b32_e32 v18, 4, v17
	v_mbcnt_lo_u32_b32 v14, -1, 0
	s_and_saveexec_b64 s[18:19], s[0:1]
	s_cbranch_execz .LBB292_69
; %bb.10:
	s_load_dwordx2 s[2:3], s[4:5], 0x10
	s_sub_i32 s49, s16, s21
	s_ashr_i32 s4, s47, 31
	v_cmp_eq_u32_e32 vcc, 0, v1
	v_bfe_u32 v15, v0, 2, 4
	s_waitcnt lgkmcnt(0)
	s_add_u32 s5, s2, s47
	s_addc_u32 s4, s3, s4
	s_abs_i32 s50, s22
	v_cvt_f32_u32_e32 v2, s50
	s_sub_i32 s2, 0, s50
	v_lshlrev_b32_e32 v3, 1, v1
	v_lshlrev_b32_e32 v16, 4, v1
	v_rcp_iflag_f32_e32 v2, v2
	v_lshlrev_b32_e32 v4, 4, v15
	v_mov_b32_e32 v5, s4
	v_add_co_u32_e64 v4, s[4:5], s5, v4
	v_mul_f32_e32 v2, 0x4f7ffffe, v2
	v_cvt_u32_f32_e32 v2, v2
	v_addc_co_u32_e64 v6, s[4:5], 0, v5, s[4:5]
	v_add_co_u32_e64 v5, s[4:5], v4, v3
	v_mul_lo_u32 v1, s2, v2
	v_addc_co_u32_e64 v6, s[4:5], 0, v6, s[4:5]
	s_lshl_b64 s[4:5], s[30:31], 2
	v_mul_hi_u32 v1, v2, v1
	s_add_u32 s4, s28, s4
	s_addc_u32 s5, s29, s5
	s_mov_b32 s51, s17
	v_add_u32_e32 v19, v2, v1
	v_and_b32_e32 v1, 60, v13
	v_mov_b32_e32 v2, s5
	v_add_co_u32_e64 v7, s[4:5], s4, v1
	v_subrev_u32_e32 v1, s11, v15
	v_add_u32_e32 v22, 1, v1
	v_lshlrev_b32_e32 v1, 2, v15
	v_lshl_or_b32 v1, v17, 6, v1
	v_cmp_neq_f32_e64 s[2:3], s48, 0
	v_addc_co_u32_e64 v8, s[4:5], 0, v2, s[4:5]
	v_lshlrev_b32_e32 v21, 4, v17
	v_add_u32_e32 v23, 0x50, v1
	v_mov_b32_e32 v24, 0xff7fffff
	s_mov_b64 s[38:39], 0
	s_movk_i32 s52, 0x80
	s_movk_i32 s53, 0x7f
	s_movk_i32 s54, 0x7fff
	v_mov_b32_e32 v25, 0
	v_bfrev_b32_e32 v26, 60
	v_mbcnt_hi_u32_b32 v27, -1, v14
	v_mov_b32_e32 v20, 0xff7fffff
	v_mov_b32_e32 v28, v17
	s_branch .LBB292_13
.LBB292_11:                             ;   in Loop: Header=BB292_13 Depth=1
	s_or_b64 exec, exec, s[40:41]
.LBB292_12:                             ;   in Loop: Header=BB292_13 Depth=1
	s_or_b64 exec, exec, s[6:7]
	v_add_co_u32_e64 v7, s[4:5], 8, v7
	v_add_u32_e32 v28, 2, v28
	v_addc_co_u32_e64 v8, s[4:5], 0, v8, s[4:5]
	v_cmp_le_i32_e64 s[4:5], s46, v28
	v_add_u32_e32 v21, 32, v21
	s_or_b64 s[38:39], s[4:5], s[38:39]
	v_add_u32_e32 v23, 0x80, v23
	s_andn2_b64 exec, exec, s[38:39]
	s_cbranch_execz .LBB292_68
.LBB292_13:                             ; =>This Inner Loop Header: Depth=1
	v_mul_hi_u32 v1, v21, s33
	s_waitcnt lgkmcnt(0)
	v_mul_lo_u32 v2, v1, s25
	v_add_u32_e32 v3, 1, v1
	v_sub_u32_e32 v2, v21, v2
	v_cmp_le_u32_e64 s[4:5], s25, v2
	v_cndmask_b32_e64 v1, v1, v3, s[4:5]
	v_subrev_u32_e32 v3, s25, v2
	v_cndmask_b32_e64 v2, v2, v3, s[4:5]
	v_add_u32_e32 v3, 1, v1
	v_cmp_le_u32_e64 s[4:5], s25, v2
	v_cndmask_b32_e64 v1, v1, v3, s[4:5]
	v_xor_b32_e32 v1, s23, v1
	v_subrev_u32_e32 v1, s23, v1
	v_add_u32_e32 v2, s36, v1
	v_sub_u32_e32 v3, 0, v2
	v_max_i32_e32 v3, v2, v3
	v_mul_hi_u32 v4, v3, v19
	v_ashrrev_i32_e32 v2, 31, v2
	v_cmp_ge_i32_e64 s[6:7], s49, v1
	v_mul_lo_u32 v4, v4, s50
	v_sub_u32_e32 v3, v3, v4
	v_subrev_u32_e32 v4, s50, v3
	v_cmp_le_u32_e64 s[4:5], s50, v3
	v_cndmask_b32_e64 v3, v3, v4, s[4:5]
	v_subrev_u32_e32 v4, s50, v3
	v_cmp_le_u32_e64 s[4:5], s50, v3
	v_cndmask_b32_e64 v3, v3, v4, s[4:5]
	v_xor_b32_e32 v3, v3, v2
	v_sub_u32_e32 v2, v3, v2
	v_cmp_ne_u32_e64 s[4:5], 0, v2
	s_and_b64 s[4:5], s[4:5], s[6:7]
	s_and_saveexec_b64 s[6:7], s[4:5]
	s_xor_b64 s[4:5], exec, s[6:7]
	s_cbranch_execz .LBB292_17
; %bb.14:                               ;   in Loop: Header=BB292_13 Depth=1
	s_and_saveexec_b64 s[6:7], vcc
; %bb.15:                               ;   in Loop: Header=BB292_13 Depth=1
	ds_write_b32 v23, v24
; %bb.16:                               ;   in Loop: Header=BB292_13 Depth=1
	s_or_b64 exec, exec, s[6:7]
.LBB292_17:                             ;   in Loop: Header=BB292_13 Depth=1
	s_andn2_saveexec_b64 s[6:7], s[4:5]
	s_cbranch_execz .LBB292_12
; %bb.18:                               ;   in Loop: Header=BB292_13 Depth=1
	global_load_dword v1, v[7:8], off
	s_load_dword s55, s[12:13], 0x0
	v_mov_b32_e32 v30, 0
	v_mov_b32_e32 v29, 0
	s_waitcnt vmcnt(0)
	v_mad_i64_i32 v[9:10], s[4:5], v1, s51, v[5:6]
	ds_read_b128 v[1:4], v16
	global_load_ushort v12, v[9:10], off
	s_waitcnt vmcnt(0)
	v_and_b32_e32 v11, 0xffff, v12
	v_cmp_ne_u16_sdwa s[4:5], v12, v25 src0_sel:BYTE_0 src1_sel:DWORD
	s_and_saveexec_b64 s[40:41], s[4:5]
	s_cbranch_execz .LBB292_24
; %bb.19:                               ;   in Loop: Header=BB292_13 Depth=1
	v_cmp_ne_u16_sdwa s[4:5], v11, s52 src0_sel:BYTE_0 src1_sel:DWORD
	v_bfrev_b32_e32 v29, 1
	s_and_saveexec_b64 s[42:43], s[4:5]
	s_cbranch_execz .LBB292_23
; %bb.20:                               ;   in Loop: Header=BB292_13 Depth=1
	v_and_b32_e32 v12, 0x7f, v11
	v_cmp_ne_u32_e64 s[4:5], s53, v12
	v_mov_b32_e32 v29, 0x7f800001
	s_and_saveexec_b64 s[44:45], s[4:5]
	s_cbranch_execz .LBB292_22
; %bb.21:                               ;   in Loop: Header=BB292_13 Depth=1
	v_and_b32_e32 v29, 7, v11
	v_ffbh_u32_e32 v31, v29
	v_min_u32_e32 v34, 32, v31
	v_subrev_u32_e32 v31, 28, v34
	v_lshlrev_b64 v[31:32], v31, v[11:12]
	v_lshrrev_b32_e32 v33, 3, v12
	v_sub_u32_e32 v32, 29, v34
	v_and_b32_e32 v31, 7, v31
	v_cmp_gt_u32_e64 s[4:5], 8, v12
	v_cndmask_b32_e64 v12, v33, v32, s[4:5]
	v_cndmask_b32_e64 v29, v29, v31, s[4:5]
	v_lshlrev_b32_e32 v31, 24, v11
	v_lshlrev_b32_e32 v29, 20, v29
	v_and_b32_e32 v31, 0x80000000, v31
	v_lshl_add_u32 v12, v12, 23, v26
	v_or3_b32 v29, v31, v12, v29
.LBB292_22:                             ;   in Loop: Header=BB292_13 Depth=1
	s_or_b64 exec, exec, s[44:45]
.LBB292_23:                             ;   in Loop: Header=BB292_13 Depth=1
	s_or_b64 exec, exec, s[42:43]
.LBB292_24:                             ;   in Loop: Header=BB292_13 Depth=1
	s_or_b64 exec, exec, s[40:41]
	v_lshrrev_b16_e32 v12, 8, v11
	v_cmp_ne_u16_e64 s[4:5], 0, v12
	s_and_saveexec_b64 s[40:41], s[4:5]
	s_cbranch_execz .LBB292_30
; %bb.25:                               ;   in Loop: Header=BB292_13 Depth=1
	v_cmp_ne_u16_e64 s[4:5], s52, v12
	v_bfrev_b32_e32 v30, 1
	s_and_saveexec_b64 s[42:43], s[4:5]
	s_cbranch_execz .LBB292_29
; %bb.26:                               ;   in Loop: Header=BB292_13 Depth=1
	v_and_b32_e32 v31, 0x7f, v12
	v_cmp_ne_u32_e64 s[4:5], s53, v31
	v_mov_b32_e32 v30, 0x7f800001
	s_and_saveexec_b64 s[44:45], s[4:5]
	s_cbranch_execz .LBB292_28
; %bb.27:                               ;   in Loop: Header=BB292_13 Depth=1
	v_and_b32_e32 v30, 7, v12
	v_ffbh_u32_e32 v32, v30
	v_min_u32_e32 v35, 32, v32
	v_subrev_u32_e32 v32, 28, v35
	v_lshlrev_b64 v[32:33], v32, v[12:13]
	v_lshrrev_b32_e32 v34, 3, v31
	v_sub_u32_e32 v12, 29, v35
	v_and_b32_e32 v32, 7, v32
	v_cmp_gt_u32_e64 s[4:5], 8, v31
	v_cndmask_b32_e64 v12, v34, v12, s[4:5]
	v_cndmask_b32_e64 v30, v30, v32, s[4:5]
	v_lshlrev_b32_e32 v11, 16, v11
	v_lshlrev_b32_e32 v30, 20, v30
	v_and_b32_e32 v11, 0x80000000, v11
	v_lshl_add_u32 v12, v12, 23, v26
	v_or3_b32 v30, v11, v12, v30
.LBB292_28:                             ;   in Loop: Header=BB292_13 Depth=1
	s_or_b64 exec, exec, s[44:45]
.LBB292_29:                             ;   in Loop: Header=BB292_13 Depth=1
	s_or_b64 exec, exec, s[42:43]
.LBB292_30:                             ;   in Loop: Header=BB292_13 Depth=1
	s_or_b64 exec, exec, s[40:41]
	global_load_ushort v12, v[9:10], off offset:8
	v_mov_b32_e32 v32, 0
	v_mov_b32_e32 v31, 0
	s_waitcnt vmcnt(0)
	v_and_b32_e32 v11, 0xffff, v12
	v_cmp_ne_u16_sdwa s[4:5], v12, v25 src0_sel:BYTE_0 src1_sel:DWORD
	s_and_saveexec_b64 s[40:41], s[4:5]
	s_cbranch_execz .LBB292_36
; %bb.31:                               ;   in Loop: Header=BB292_13 Depth=1
	v_cmp_ne_u16_sdwa s[4:5], v11, s52 src0_sel:BYTE_0 src1_sel:DWORD
	v_bfrev_b32_e32 v31, 1
	s_and_saveexec_b64 s[42:43], s[4:5]
	s_cbranch_execz .LBB292_35
; %bb.32:                               ;   in Loop: Header=BB292_13 Depth=1
	v_and_b32_e32 v12, 0x7f, v11
	v_cmp_ne_u32_e64 s[4:5], s53, v12
	v_mov_b32_e32 v31, 0x7f800001
	s_and_saveexec_b64 s[44:45], s[4:5]
	s_cbranch_execz .LBB292_34
; %bb.33:                               ;   in Loop: Header=BB292_13 Depth=1
	v_and_b32_e32 v31, 7, v11
	v_ffbh_u32_e32 v33, v31
	v_min_u32_e32 v36, 32, v33
	v_subrev_u32_e32 v33, 28, v36
	v_lshlrev_b64 v[33:34], v33, v[11:12]
	v_lshrrev_b32_e32 v35, 3, v12
	v_sub_u32_e32 v34, 29, v36
	v_and_b32_e32 v33, 7, v33
	v_cmp_gt_u32_e64 s[4:5], 8, v12
	v_cndmask_b32_e64 v12, v35, v34, s[4:5]
	v_cndmask_b32_e64 v31, v31, v33, s[4:5]
	v_lshlrev_b32_e32 v33, 24, v11
	v_lshlrev_b32_e32 v31, 20, v31
	v_and_b32_e32 v33, 0x80000000, v33
	v_lshl_add_u32 v12, v12, 23, v26
	v_or3_b32 v31, v33, v12, v31
.LBB292_34:                             ;   in Loop: Header=BB292_13 Depth=1
	s_or_b64 exec, exec, s[44:45]
.LBB292_35:                             ;   in Loop: Header=BB292_13 Depth=1
	s_or_b64 exec, exec, s[42:43]
.LBB292_36:                             ;   in Loop: Header=BB292_13 Depth=1
	s_or_b64 exec, exec, s[40:41]
	v_lshrrev_b16_e32 v12, 8, v11
	v_cmp_ne_u16_e64 s[4:5], 0, v12
	s_and_saveexec_b64 s[40:41], s[4:5]
	s_cbranch_execz .LBB292_42
; %bb.37:                               ;   in Loop: Header=BB292_13 Depth=1
	v_cmp_ne_u16_e64 s[4:5], s52, v12
	v_bfrev_b32_e32 v32, 1
	s_and_saveexec_b64 s[42:43], s[4:5]
	s_cbranch_execz .LBB292_41
; %bb.38:                               ;   in Loop: Header=BB292_13 Depth=1
	v_and_b32_e32 v33, 0x7f, v12
	v_cmp_ne_u32_e64 s[4:5], s53, v33
	v_mov_b32_e32 v32, 0x7f800001
	s_and_saveexec_b64 s[44:45], s[4:5]
	s_cbranch_execz .LBB292_40
; %bb.39:                               ;   in Loop: Header=BB292_13 Depth=1
	v_and_b32_e32 v32, 7, v12
	v_ffbh_u32_e32 v34, v32
	v_min_u32_e32 v37, 32, v34
	v_subrev_u32_e32 v34, 28, v37
	v_lshlrev_b64 v[34:35], v34, v[12:13]
	v_lshrrev_b32_e32 v36, 3, v33
	v_sub_u32_e32 v12, 29, v37
	v_and_b32_e32 v34, 7, v34
	v_cmp_gt_u32_e64 s[4:5], 8, v33
	v_cndmask_b32_e64 v12, v36, v12, s[4:5]
	v_cndmask_b32_e64 v32, v32, v34, s[4:5]
	v_lshlrev_b32_e32 v11, 16, v11
	v_lshlrev_b32_e32 v32, 20, v32
	v_and_b32_e32 v11, 0x80000000, v11
	v_lshl_add_u32 v12, v12, 23, v26
	v_or3_b32 v32, v11, v12, v32
.LBB292_40:                             ;   in Loop: Header=BB292_13 Depth=1
	s_or_b64 exec, exec, s[44:45]
.LBB292_41:                             ;   in Loop: Header=BB292_13 Depth=1
	s_or_b64 exec, exec, s[42:43]
.LBB292_42:                             ;   in Loop: Header=BB292_13 Depth=1
	s_or_b64 exec, exec, s[40:41]
	global_load_ushort v12, v[9:10], off offset:256
	v_mov_b32_e32 v34, 0
	v_mov_b32_e32 v33, 0
	s_waitcnt vmcnt(0)
	v_and_b32_e32 v11, 0xffff, v12
	v_cmp_ne_u16_sdwa s[4:5], v12, v25 src0_sel:BYTE_0 src1_sel:DWORD
	s_and_saveexec_b64 s[40:41], s[4:5]
	s_cbranch_execz .LBB292_48
; %bb.43:                               ;   in Loop: Header=BB292_13 Depth=1
	v_cmp_ne_u16_sdwa s[4:5], v11, s52 src0_sel:BYTE_0 src1_sel:DWORD
	v_bfrev_b32_e32 v33, 1
	s_and_saveexec_b64 s[42:43], s[4:5]
	s_cbranch_execz .LBB292_47
; %bb.44:                               ;   in Loop: Header=BB292_13 Depth=1
	v_and_b32_e32 v12, 0x7f, v11
	v_cmp_ne_u32_e64 s[4:5], s53, v12
	v_mov_b32_e32 v33, 0x7f800001
	s_and_saveexec_b64 s[44:45], s[4:5]
	s_cbranch_execz .LBB292_46
; %bb.45:                               ;   in Loop: Header=BB292_13 Depth=1
	v_and_b32_e32 v33, 7, v11
	v_ffbh_u32_e32 v35, v33
	v_min_u32_e32 v38, 32, v35
	v_subrev_u32_e32 v35, 28, v38
	v_lshlrev_b64 v[35:36], v35, v[11:12]
	v_lshrrev_b32_e32 v37, 3, v12
	v_sub_u32_e32 v36, 29, v38
	v_and_b32_e32 v35, 7, v35
	v_cmp_gt_u32_e64 s[4:5], 8, v12
	v_cndmask_b32_e64 v12, v37, v36, s[4:5]
	v_cndmask_b32_e64 v33, v33, v35, s[4:5]
	v_lshlrev_b32_e32 v35, 24, v11
	v_lshlrev_b32_e32 v33, 20, v33
	v_and_b32_e32 v35, 0x80000000, v35
	v_lshl_add_u32 v12, v12, 23, v26
	v_or3_b32 v33, v35, v12, v33
.LBB292_46:                             ;   in Loop: Header=BB292_13 Depth=1
	s_or_b64 exec, exec, s[44:45]
.LBB292_47:                             ;   in Loop: Header=BB292_13 Depth=1
	s_or_b64 exec, exec, s[42:43]
.LBB292_48:                             ;   in Loop: Header=BB292_13 Depth=1
	s_or_b64 exec, exec, s[40:41]
	v_lshrrev_b16_e32 v12, 8, v11
	v_cmp_ne_u16_e64 s[4:5], 0, v12
	s_and_saveexec_b64 s[40:41], s[4:5]
	s_cbranch_execz .LBB292_54
; %bb.49:                               ;   in Loop: Header=BB292_13 Depth=1
	v_cmp_ne_u16_e64 s[4:5], s52, v12
	v_bfrev_b32_e32 v34, 1
	s_and_saveexec_b64 s[42:43], s[4:5]
	s_cbranch_execz .LBB292_53
; %bb.50:                               ;   in Loop: Header=BB292_13 Depth=1
	v_and_b32_e32 v35, 0x7f, v12
	v_cmp_ne_u32_e64 s[4:5], s53, v35
	v_mov_b32_e32 v34, 0x7f800001
	s_and_saveexec_b64 s[44:45], s[4:5]
	s_cbranch_execz .LBB292_52
; %bb.51:                               ;   in Loop: Header=BB292_13 Depth=1
	v_and_b32_e32 v34, 7, v12
	v_ffbh_u32_e32 v36, v34
	v_min_u32_e32 v39, 32, v36
	v_subrev_u32_e32 v36, 28, v39
	v_lshlrev_b64 v[36:37], v36, v[12:13]
	v_lshrrev_b32_e32 v38, 3, v35
	v_sub_u32_e32 v12, 29, v39
	v_and_b32_e32 v36, 7, v36
	v_cmp_gt_u32_e64 s[4:5], 8, v35
	v_cndmask_b32_e64 v12, v38, v12, s[4:5]
	v_cndmask_b32_e64 v34, v34, v36, s[4:5]
	v_lshlrev_b32_e32 v11, 16, v11
	v_lshlrev_b32_e32 v34, 20, v34
	v_and_b32_e32 v11, 0x80000000, v11
	v_lshl_add_u32 v12, v12, 23, v26
	v_or3_b32 v34, v11, v12, v34
.LBB292_52:                             ;   in Loop: Header=BB292_13 Depth=1
	s_or_b64 exec, exec, s[44:45]
.LBB292_53:                             ;   in Loop: Header=BB292_13 Depth=1
	s_or_b64 exec, exec, s[42:43]
.LBB292_54:                             ;   in Loop: Header=BB292_13 Depth=1
	s_or_b64 exec, exec, s[40:41]
	global_load_ushort v10, v[9:10], off offset:264
	v_mov_b32_e32 v11, 0
	v_mov_b32_e32 v12, 0
	s_waitcnt vmcnt(0)
	v_and_b32_e32 v9, 0xffff, v10
	v_cmp_ne_u16_sdwa s[4:5], v10, v25 src0_sel:BYTE_0 src1_sel:DWORD
	s_and_saveexec_b64 s[40:41], s[4:5]
	s_cbranch_execz .LBB292_60
; %bb.55:                               ;   in Loop: Header=BB292_13 Depth=1
	v_cmp_ne_u16_sdwa s[4:5], v9, s52 src0_sel:BYTE_0 src1_sel:DWORD
	v_bfrev_b32_e32 v12, 1
	s_and_saveexec_b64 s[42:43], s[4:5]
	s_cbranch_execz .LBB292_59
; %bb.56:                               ;   in Loop: Header=BB292_13 Depth=1
	v_and_b32_e32 v10, 0x7f, v9
	v_cmp_ne_u32_e64 s[4:5], s53, v10
	v_mov_b32_e32 v12, 0x7f800001
	s_and_saveexec_b64 s[44:45], s[4:5]
	s_cbranch_execz .LBB292_58
; %bb.57:                               ;   in Loop: Header=BB292_13 Depth=1
	v_and_b32_e32 v12, 7, v9
	v_ffbh_u32_e32 v35, v12
	v_min_u32_e32 v38, 32, v35
	v_subrev_u32_e32 v35, 28, v38
	v_lshlrev_b64 v[35:36], v35, v[9:10]
	v_lshrrev_b32_e32 v37, 3, v10
	v_sub_u32_e32 v36, 29, v38
	v_and_b32_e32 v35, 7, v35
	v_cmp_gt_u32_e64 s[4:5], 8, v10
	v_cndmask_b32_e64 v10, v37, v36, s[4:5]
	v_cndmask_b32_e64 v12, v12, v35, s[4:5]
	v_lshlrev_b32_e32 v35, 24, v9
	v_lshlrev_b32_e32 v12, 20, v12
	v_and_b32_e32 v35, 0x80000000, v35
	v_lshl_add_u32 v10, v10, 23, v26
	v_or3_b32 v12, v35, v10, v12
.LBB292_58:                             ;   in Loop: Header=BB292_13 Depth=1
	s_or_b64 exec, exec, s[44:45]
.LBB292_59:                             ;   in Loop: Header=BB292_13 Depth=1
	s_or_b64 exec, exec, s[42:43]
.LBB292_60:                             ;   in Loop: Header=BB292_13 Depth=1
	s_or_b64 exec, exec, s[40:41]
	v_lshrrev_b16_e32 v10, 8, v9
	v_cmp_ne_u16_e64 s[4:5], 0, v10
	s_and_saveexec_b64 s[40:41], s[4:5]
	s_cbranch_execz .LBB292_66
; %bb.61:                               ;   in Loop: Header=BB292_13 Depth=1
	v_cmp_ne_u16_e64 s[4:5], s52, v10
	v_bfrev_b32_e32 v11, 1
	s_and_saveexec_b64 s[42:43], s[4:5]
	s_cbranch_execz .LBB292_65
; %bb.62:                               ;   in Loop: Header=BB292_13 Depth=1
	v_and_b32_e32 v35, 0x7f, v10
	v_cmp_ne_u32_e64 s[4:5], s53, v35
	v_mov_b32_e32 v11, 0x7f800001
	s_and_saveexec_b64 s[44:45], s[4:5]
	s_cbranch_execz .LBB292_64
; %bb.63:                               ;   in Loop: Header=BB292_13 Depth=1
	v_and_b32_e32 v36, 7, v10
	v_ffbh_u32_e32 v11, v36
	v_min_u32_e32 v38, 32, v11
	v_subrev_u32_e32 v11, 28, v38
	v_lshlrev_b64 v[10:11], v11, v[10:11]
	v_lshrrev_b32_e32 v37, 3, v35
	v_sub_u32_e32 v11, 29, v38
	v_and_b32_e32 v10, 7, v10
	v_cmp_gt_u32_e64 s[4:5], 8, v35
	v_cndmask_b32_e64 v11, v37, v11, s[4:5]
	v_cndmask_b32_e64 v10, v36, v10, s[4:5]
	v_lshlrev_b32_e32 v9, 16, v9
	v_lshlrev_b32_e32 v10, 20, v10
	v_and_b32_e32 v9, 0x80000000, v9
	v_lshl_add_u32 v11, v11, 23, v26
	v_or3_b32 v11, v9, v11, v10
.LBB292_64:                             ;   in Loop: Header=BB292_13 Depth=1
	s_or_b64 exec, exec, s[44:45]
.LBB292_65:                             ;   in Loop: Header=BB292_13 Depth=1
	s_or_b64 exec, exec, s[42:43]
.LBB292_66:                             ;   in Loop: Header=BB292_13 Depth=1
	s_or_b64 exec, exec, s[40:41]
	s_waitcnt lgkmcnt(0)
	v_mul_f32_e32 v9, s55, v12
	v_bfe_u32 v10, v9, 16, 1
	v_add3_u32 v10, v10, v9, s54
	v_or_b32_e32 v12, 0x400000, v9
	v_cmp_u_f32_e64 s[4:5], v9, v9
	v_cndmask_b32_e64 v9, v10, v12, s[4:5]
	v_mul_f32_e32 v10, s55, v34
	v_bfe_u32 v12, v10, 16, 1
	v_add3_u32 v12, v12, v10, s54
	v_or_b32_e32 v34, 0x400000, v10
	v_cmp_u_f32_e64 s[4:5], v10, v10
	v_cndmask_b32_e64 v10, v12, v34, s[4:5]
	v_mul_f32_e32 v12, s55, v33
	v_bfe_u32 v33, v12, 16, 1
	v_add3_u32 v33, v33, v12, s54
	v_or_b32_e32 v34, 0x400000, v12
	v_cmp_u_f32_e64 s[4:5], v12, v12
	v_mul_f32_e32 v32, s55, v32
	v_cndmask_b32_e64 v12, v33, v34, s[4:5]
	v_bfe_u32 v33, v32, 16, 1
	v_add3_u32 v33, v33, v32, s54
	v_or_b32_e32 v34, 0x400000, v32
	v_cmp_u_f32_e64 s[4:5], v32, v32
	v_mul_f32_e32 v31, s55, v31
	v_cndmask_b32_e64 v32, v33, v34, s[4:5]
	;; [unrolled: 6-line block ×4, first 2 shown]
	v_bfe_u32 v33, v29, 16, 1
	v_and_b32_e32 v37, 64, v27
	v_add3_u32 v33, v33, v29, s54
	v_or_b32_e32 v34, 0x400000, v29
	v_cmp_u_f32_e64 s[4:5], v29, v29
	v_add_u32_e32 v37, 64, v37
	v_xor_b32_e32 v38, 2, v27
	v_mul_f32_e32 v11, s55, v11
	v_cndmask_b32_e64 v29, v33, v34, s[4:5]
	v_lshlrev_b32_e32 v34, 16, v2
	v_cmp_lt_i32_e64 s[4:5], v38, v37
	v_bfe_u32 v39, v11, 16, 1
	v_and_b32_e32 v2, 0xffff0000, v2
	v_and_b32_e32 v31, 0xffff0000, v31
	;; [unrolled: 1-line block ×3, first 2 shown]
	v_lshlrev_b32_e32 v33, 16, v1
	v_cndmask_b32_e64 v38, v27, v38, s[4:5]
	v_add3_u32 v39, v39, v11, s54
	v_or_b32_e32 v40, 0x400000, v11
	v_cmp_u_f32_e64 s[4:5], v11, v11
	v_and_b32_e32 v1, 0xffff0000, v1
	v_and_b32_e32 v29, 0xffff0000, v29
	;; [unrolled: 1-line block ×3, first 2 shown]
	v_mul_f32_e32 v31, v34, v31
	v_mul_f32_e32 v2, v2, v32
	v_lshlrev_b32_e32 v35, 16, v3
	v_cndmask_b32_e64 v11, v39, v40, s[4:5]
	v_and_b32_e32 v3, 0xffff0000, v3
	v_fmac_f32_e32 v31, v33, v29
	v_fmac_f32_e32 v2, v1, v30
	v_and_b32_e32 v1, 0xffff0000, v12
	v_and_b32_e32 v10, 0xffff0000, v10
	v_lshlrev_b32_e32 v36, 16, v4
	v_and_b32_e32 v4, 0xffff0000, v4
	v_fmac_f32_e32 v31, v35, v1
	v_fmac_f32_e32 v2, v3, v10
	v_and_b32_e32 v1, 0xffff0000, v9
	v_and_b32_e32 v3, 0xffff0000, v11
	v_fmac_f32_e32 v31, v36, v1
	v_fmac_f32_e32 v2, v4, v3
	v_lshlrev_b32_e32 v38, 2, v38
	v_add_f32_e32 v1, v31, v2
	ds_bpermute_b32 v2, v38, v1
	v_xor_b32_e32 v3, 1, v27
	v_cmp_lt_i32_e64 s[4:5], v3, v37
	v_cndmask_b32_e64 v3, v27, v3, s[4:5]
	v_lshlrev_b32_e32 v3, 2, v3
	s_waitcnt lgkmcnt(0)
	v_add_f32_e32 v1, v1, v2
	ds_bpermute_b32 v2, v3, v1
	s_and_saveexec_b64 s[40:41], vcc
	s_cbranch_execz .LBB292_11
; %bb.67:                               ;   in Loop: Header=BB292_13 Depth=1
	v_add_u32_e32 v3, v22, v21
	v_cvt_f32_i32_e32 v3, v3
	s_waitcnt lgkmcnt(0)
	v_add_f32_e32 v1, v1, v2
	v_add_u32_e32 v4, v15, v21
	v_cmp_gt_i32_e64 s[4:5], s11, v4
	v_mul_f32_e32 v2, s48, v3
	v_cndmask_b32_e64 v2, 0, v2, s[2:3]
	v_fmac_f32_e32 v2, s37, v1
	v_cndmask_b32_e64 v1, 0, v2, s[4:5]
	ds_write_b32 v23, v1
	v_max_f32_e32 v1, v20, v20
	v_max_f32_e32 v1, v1, v2
	v_cndmask_b32_e64 v20, v20, v1, s[4:5]
	s_branch .LBB292_11
.LBB292_68:
	s_or_b64 exec, exec, s[38:39]
.LBB292_69:
	s_or_b64 exec, exec, s[18:19]
	v_mbcnt_hi_u32_b32 v1, -1, v14
	v_and_b32_e32 v9, 64, v1
	s_waitcnt lgkmcnt(0)
	v_add_u32_e32 v2, 64, v9
	v_xor_b32_e32 v3, 32, v1
	v_cmp_lt_i32_e32 vcc, v3, v2
	v_cndmask_b32_e32 v3, v1, v3, vcc
	v_lshlrev_b32_e32 v3, 2, v3
	ds_bpermute_b32 v4, v3, v20
	v_xor_b32_e32 v6, 16, v1
	v_max_f32_e32 v5, v20, v20
	v_cmp_lt_i32_e32 vcc, v6, v2
	v_xor_b32_e32 v7, 8, v1
	s_waitcnt lgkmcnt(0)
	v_max_f32_e32 v4, v4, v4
	v_max_f32_e32 v5, v5, v4
	v_cndmask_b32_e32 v4, v1, v6, vcc
	v_lshlrev_b32_e32 v4, 2, v4
	ds_bpermute_b32 v6, v4, v5
	v_cmp_lt_i32_e32 vcc, v7, v2
	v_xor_b32_e32 v8, 4, v1
	v_and_b32_e32 v19, 63, v0
	s_waitcnt lgkmcnt(0)
	v_max_f32_e32 v6, v6, v6
	v_max_f32_e32 v5, v5, v6
	v_cndmask_b32_e32 v6, v1, v7, vcc
	v_lshlrev_b32_e32 v7, 2, v6
	ds_bpermute_b32 v6, v7, v5
	v_cmp_lt_i32_e32 vcc, v8, v2
	s_waitcnt lgkmcnt(0)
	v_max_f32_e32 v6, v6, v6
	v_max_f32_e32 v6, v5, v6
	v_cndmask_b32_e32 v5, v1, v8, vcc
	v_lshlrev_b32_e32 v8, 2, v5
	ds_bpermute_b32 v10, v8, v6
	v_cmp_eq_u32_e32 vcc, 0, v19
	v_lshlrev_b32_e32 v5, 2, v17
	s_and_saveexec_b64 s[2:3], vcc
	s_cbranch_execz .LBB292_71
; %bb.70:
	s_waitcnt lgkmcnt(0)
	v_max_f32_e32 v10, v10, v10
	v_max_f32_e32 v6, v6, v6
	;; [unrolled: 1-line block ×3, first 2 shown]
	ds_write_b32 v5, v6 offset:64
.LBB292_71:
	s_or_b64 exec, exec, s[2:3]
	v_cmp_gt_u32_e64 s[2:3], 2, v19
	s_waitcnt lgkmcnt(0)
	v_mov_b32_e32 v10, 0xff7fffff
	v_lshlrev_b32_e32 v6, 2, v19
	s_barrier
	s_and_saveexec_b64 s[4:5], s[2:3]
; %bb.72:
	ds_read_b32 v10, v6 offset:64
; %bb.73:
	s_or_b64 exec, exec, s[4:5]
	v_xor_b32_e32 v11, 1, v1
	v_cmp_lt_i32_e64 s[4:5], v11, v2
	v_cndmask_b32_e64 v11, v1, v11, s[4:5]
	v_lshlrev_b32_e32 v20, 2, v11
	s_waitcnt lgkmcnt(0)
	ds_bpermute_b32 v11, v20, v10
	v_max_f32_e32 v10, v10, v10
	v_lshlrev_b32_e32 v9, 2, v9
	s_lshl_b32 s4, s46, 4
	s_min_i32 s37, s4, s11
	s_waitcnt lgkmcnt(0)
	v_max_f32_e32 v11, v11, v11
	v_max_f32_e32 v10, v10, v11
	ds_bpermute_b32 v10, v9, v10
	v_cmp_gt_i32_e64 s[4:5], s37, v0
	v_mov_b32_e32 v9, 0
	s_and_saveexec_b64 s[12:13], s[4:5]
	s_cbranch_execz .LBB292_77
; %bb.74:
	v_mov_b32_e32 v9, 0x50
	v_lshl_add_u32 v11, v0, 2, v9
	v_mov_b32_e32 v9, 0
	s_mov_b64 s[18:19], 0
	v_mov_b32_e32 v12, v0
.LBB292_75:                             ; =>This Inner Loop Header: Depth=1
	ds_read_b32 v14, v11
	v_add_u32_e32 v12, 0x80, v12
	v_cmp_le_i32_e64 s[6:7], s37, v12
	s_or_b64 s[18:19], s[6:7], s[18:19]
	s_waitcnt lgkmcnt(0)
	v_sub_f32_e32 v14, v14, v10
	v_mul_f32_e32 v14, 0x3fb8aa3b, v14
	v_exp_f32_e32 v14, v14
	ds_write_b32 v11, v14
	v_add_f32_e32 v9, v9, v14
	v_add_u32_e32 v11, 0x200, v11
	s_andn2_b64 exec, exec, s[18:19]
	s_cbranch_execnz .LBB292_75
; %bb.76:
	s_or_b64 exec, exec, s[18:19]
.LBB292_77:
	s_or_b64 exec, exec, s[12:13]
	ds_bpermute_b32 v3, v3, v9
	s_waitcnt lgkmcnt(0)
	v_add_f32_e32 v3, v9, v3
	ds_bpermute_b32 v4, v4, v3
	s_waitcnt lgkmcnt(0)
	v_add_f32_e32 v3, v3, v4
	ds_bpermute_b32 v4, v7, v3
	v_xor_b32_e32 v7, 2, v1
	v_cmp_lt_i32_e64 s[6:7], v7, v2
	v_cndmask_b32_e64 v2, v1, v7, s[6:7]
	v_lshlrev_b32_e32 v2, 2, v2
	s_waitcnt lgkmcnt(0)
	v_add_f32_e32 v3, v3, v4
	ds_bpermute_b32 v4, v8, v3
	s_waitcnt lgkmcnt(0)
	v_add_f32_e32 v3, v3, v4
	ds_bpermute_b32 v2, v2, v3
	;; [unrolled: 3-line block ×3, first 2 shown]
	s_waitcnt lgkmcnt(0)
	v_add_f32_e32 v2, v2, v3
	s_and_saveexec_b64 s[6:7], vcc
; %bb.78:
	ds_write_b32 v5, v2 offset:72
; %bb.79:
	s_or_b64 exec, exec, s[6:7]
	s_waitcnt lgkmcnt(0)
	s_barrier
	s_and_saveexec_b64 s[6:7], s[2:3]
; %bb.80:
	ds_read_b32 v2, v6 offset:72
; %bb.81:
	s_or_b64 exec, exec, s[6:7]
	s_waitcnt lgkmcnt(0)
	ds_bpermute_b32 v3, v20, v2
	v_lshlrev_b32_e32 v1, 2, v1
	v_and_b32_e32 v1, 0x100, v1
	s_waitcnt lgkmcnt(0)
	v_add_f32_e32 v2, v2, v3
	ds_bpermute_b32 v1, v1, v2
	s_and_saveexec_b64 s[2:3], s[4:5]
	s_cbranch_execz .LBB292_84
; %bb.82:
	s_waitcnt lgkmcnt(0)
	v_add_f32_e32 v2, 0x358637bd, v1
	v_div_scale_f32 v1, s[4:5], v2, v2, 1.0
	v_div_scale_f32 v3, vcc, 1.0, v2, 1.0
	s_mov_b64 s[4:5], 0
	v_rcp_f32_e32 v4, v1
	v_fma_f32 v5, -v1, v4, 1.0
	v_fmac_f32_e32 v4, v5, v4
	v_mul_f32_e32 v5, v3, v4
	v_fma_f32 v6, -v1, v5, v3
	v_fmac_f32_e32 v5, v6, v4
	v_fma_f32 v1, -v1, v5, v3
	v_div_fmas_f32 v3, v1, v4, v5
	v_mov_b32_e32 v1, 0x50
	v_lshl_add_u32 v1, v0, 2, v1
	v_div_fixup_f32 v2, v3, v2, 1.0
	v_mov_b32_e32 v3, v0
.LBB292_83:                             ; =>This Inner Loop Header: Depth=1
	ds_read_b32 v4, v1
	v_add_u32_e32 v3, 0x80, v3
	v_cmp_le_i32_e32 vcc, s37, v3
	s_or_b64 s[4:5], vcc, s[4:5]
	s_waitcnt lgkmcnt(0)
	v_mul_f32_e32 v4, v2, v4
	ds_write_b32 v1, v4
	v_add_u32_e32 v1, 0x200, v1
	s_andn2_b64 exec, exec, s[4:5]
	s_cbranch_execnz .LBB292_83
.LBB292_84:
	s_or_b64 exec, exec, s[2:3]
	v_mov_b32_e32 v23, 0
	s_waitcnt lgkmcnt(0)
	s_barrier
	s_and_saveexec_b64 s[2:3], s[0:1]
	s_cbranch_execz .LBB292_140
; %bb.85:
	s_sub_i32 s21, s16, s21
	s_ashr_i32 s0, s47, 31
	s_add_u32 s1, s34, s47
	s_addc_u32 s0, s35, s0
	s_abs_i32 s22, s22
	v_cvt_f32_u32_e32 v1, s22
	s_sub_i32 s6, 0, s22
	v_lshlrev_b32_e32 v2, 3, v0
	v_and_b32_e32 v21, 8, v2
	v_rcp_iflag_f32_e32 v1, v1
	v_and_b32_e32 v2, 0x1f8, v2
	s_add_i32 s35, s46, -1
	v_mov_b32_e32 v4, s0
	v_mul_f32_e32 v1, 0x4f7ffffe, v1
	v_cvt_u32_f32_e32 v1, v1
	v_add_co_u32_e32 v11, vcc, s1, v2
	s_lshl_b64 s[0:1], s[30:31], 2
	v_mul_lo_u32 v3, s6, v1
	v_addc_co_u32_e32 v12, vcc, 0, v4, vcc
	s_add_u32 s0, s28, s0
	v_mul_hi_u32 v3, v1, v3
	s_addc_u32 s1, s29, s1
	s_mov_b32 s4, -1
	v_mov_b32_e32 v2, s1
	v_add_u32_e32 v22, v1, v3
	v_and_b32_e32 v1, 60, v13
	v_add_co_u32_e32 v13, vcc, s0, v1
	v_and_b32_e32 v1, 1, v0
	v_lshlrev_b32_e32 v1, 5, v1
	v_lshl_or_b32 v1, v17, 6, v1
	s_mov_b32 s34, s17
	v_mov_b32_e32 v10, 0
	s_mov_b32 s5, 0xffffff
	v_addc_co_u32_e32 v14, vcc, 0, v2, vcc
	v_add_u32_e32 v24, 0x50, v1
	s_mov_b64 s[6:7], 0
	s_movk_i32 s28, 0x7f
	s_movk_i32 s29, 0x80
	;; [unrolled: 1-line block ×3, first 2 shown]
	v_bfrev_b32_e32 v25, 60
	v_mov_b32_e32 v26, 0x7f800001
	v_bfrev_b32_e32 v27, 1
	v_mov_b32_e32 v23, 0
	s_branch .LBB292_88
.LBB292_86:                             ;   in Loop: Header=BB292_88 Depth=1
	s_or_b64 exec, exec, s[0:1]
	v_bfe_u32 v33, v5, 16, 1
	v_add3_u32 v33, v33, v5, s30
	v_or_b32_e32 v34, 0x400000, v5
	v_cmp_u_f32_e32 vcc, v5, v5
	v_cndmask_b32_e32 v5, v33, v34, vcc
	v_bfe_u32 v33, v6, 16, 1
	v_add3_u32 v33, v33, v6, s30
	v_or_b32_e32 v34, 0x400000, v6
	v_cmp_u_f32_e32 vcc, v6, v6
	v_cndmask_b32_e32 v6, v33, v34, vcc
	;; [unrolled: 5-line block ×6, first 2 shown]
	v_bfe_u32 v33, v3, 16, 1
	v_add3_u32 v33, v33, v3, s30
	v_or_b32_e32 v34, 0x400000, v3
	v_cmp_u_f32_e32 vcc, v3, v3
	v_and_b32_e32 v5, 0xffff0000, v5
	v_lshlrev_b32_e32 v32, 16, v32
	v_cndmask_b32_e32 v3, v33, v34, vcc
	v_bfe_u32 v33, v4, 16, 1
	v_mul_f32_e32 v5, v5, v32
	v_and_b32_e32 v6, 0xffff0000, v6
	v_lshlrev_b32_e32 v31, 16, v31
	v_add3_u32 v33, v33, v4, s30
	v_or_b32_e32 v34, 0x400000, v4
	v_cmp_u_f32_e32 vcc, v4, v4
	v_bfe_u32 v32, v5, 16, 1
	v_mul_f32_e32 v6, v6, v31
	v_and_b32_e32 v7, 0xffff0000, v7
	v_lshlrev_b32_e32 v30, 16, v30
	v_cndmask_b32_e32 v4, v33, v34, vcc
	v_add3_u32 v32, v32, v5, s30
	v_or_b32_e32 v33, 0x400000, v5
	v_cmp_u_f32_e32 vcc, v5, v5
	v_bfe_u32 v31, v6, 16, 1
	v_mul_f32_e32 v7, v7, v30
	v_and_b32_e32 v8, 0xffff0000, v8
	v_lshlrev_b32_e32 v16, 16, v16
	v_cndmask_b32_e32 v5, v32, v33, vcc
	v_add3_u32 v31, v31, v6, s30
	v_or_b32_e32 v32, 0x400000, v6
	v_cmp_u_f32_e32 vcc, v6, v6
	v_bfe_u32 v30, v7, 16, 1
	v_mul_f32_e32 v8, v8, v16
	v_and_b32_e32 v1, 0xffff0000, v1
	v_lshlrev_b32_e32 v15, 16, v15
	v_cndmask_b32_e32 v6, v31, v32, vcc
	v_add3_u32 v30, v30, v7, s30
	v_or_b32_e32 v31, 0x400000, v7
	v_cmp_u_f32_e32 vcc, v7, v7
	v_bfe_u32 v16, v8, 16, 1
	v_mul_f32_e32 v1, v1, v15
	v_and_b32_e32 v2, 0xffff0000, v2
	v_lshlrev_b32_e32 v9, 16, v9
	v_cndmask_b32_e32 v7, v30, v31, vcc
	v_add3_u32 v16, v16, v8, s30
	v_or_b32_e32 v30, 0x400000, v8
	v_cmp_u_f32_e32 vcc, v8, v8
	v_bfe_u32 v15, v1, 16, 1
	v_mul_f32_e32 v2, v2, v9
	v_cndmask_b32_e32 v8, v16, v30, vcc
	v_add3_u32 v15, v15, v1, s30
	v_or_b32_e32 v16, 0x400000, v1
	v_cmp_u_f32_e32 vcc, v1, v1
	v_bfe_u32 v9, v2, 16, 1
	v_cndmask_b32_e32 v1, v15, v16, vcc
	v_add3_u32 v9, v9, v2, s30
	v_or_b32_e32 v15, 0x400000, v2
	v_cmp_u_f32_e32 vcc, v2, v2
	v_cndmask_b32_e32 v2, v9, v15, vcc
	v_and_b32_e32 v3, 0xffff0000, v3
	v_lshlrev_b32_e32 v9, 16, v29
	v_mul_f32_e32 v3, v3, v9
	v_bfe_u32 v9, v3, 16, 1
	v_add3_u32 v9, v9, v3, s30
	v_or_b32_e32 v15, 0x400000, v3
	v_cmp_u_f32_e32 vcc, v3, v3
	v_cndmask_b32_e32 v3, v9, v15, vcc
	v_and_b32_e32 v4, 0xffff0000, v4
	v_lshlrev_b32_e32 v9, 16, v28
	v_mul_f32_e32 v4, v4, v9
	v_bfe_u32 v9, v4, 16, 1
	v_and_b32_e32 v6, 0xffff0000, v6
	v_and_b32_e32 v5, 0xffff0000, v5
	v_add3_u32 v9, v9, v4, s30
	v_or_b32_e32 v15, 0x400000, v4
	v_cmp_u_f32_e32 vcc, v4, v4
	v_add_f32_e32 v5, v5, v6
	v_and_b32_e32 v6, 0xffff0000, v8
	v_and_b32_e32 v7, 0xffff0000, v7
	v_cndmask_b32_e32 v4, v9, v15, vcc
	v_add_f32_e32 v6, v7, v6
	v_and_b32_e32 v2, 0xffff0000, v2
	v_and_b32_e32 v1, 0xffff0000, v1
	v_add_f32_e32 v5, v6, v5
	v_add_f32_e32 v1, v1, v2
	v_and_b32_e32 v2, 0xffff0000, v4
	v_and_b32_e32 v3, 0xffff0000, v3
	v_add_f32_e32 v1, v1, v5
	v_add_f32_e32 v2, v3, v2
	;; [unrolled: 1-line block ×4, first 2 shown]
.LBB292_87:                             ;   in Loop: Header=BB292_88 Depth=1
	s_or_b64 exec, exec, s[12:13]
	v_add_co_u32_e32 v13, vcc, 8, v13
	v_add_u32_e32 v17, 2, v17
	v_addc_co_u32_e32 v14, vcc, 0, v14, vcc
	v_cmp_le_i32_e32 vcc, s46, v17
	v_add_u32_e32 v18, 32, v18
	s_or_b64 s[6:7], vcc, s[6:7]
	v_add_u32_e32 v24, 0x80, v24
	s_andn2_b64 exec, exec, s[6:7]
	s_cbranch_execz .LBB292_139
.LBB292_88:                             ; =>This Inner Loop Header: Depth=1
	v_mul_hi_u32 v1, v18, s33
	v_mul_lo_u32 v2, v1, s25
	v_add_u32_e32 v3, 1, v1
	v_sub_u32_e32 v2, v18, v2
	v_cmp_le_u32_e32 vcc, s25, v2
	v_cndmask_b32_e32 v1, v1, v3, vcc
	v_subrev_u32_e32 v3, s25, v2
	v_cndmask_b32_e32 v2, v2, v3, vcc
	v_add_u32_e32 v3, 1, v1
	v_cmp_le_u32_e32 vcc, s25, v2
	v_cndmask_b32_e32 v1, v1, v3, vcc
	v_xor_b32_e32 v1, s23, v1
	v_subrev_u32_e32 v1, s23, v1
	v_add_u32_e32 v2, s36, v1
	v_sub_u32_e32 v3, 0, v2
	v_max_i32_e32 v3, v2, v3
	v_mul_hi_u32 v4, v3, v22
	v_ashrrev_i32_e32 v2, 31, v2
	v_cmp_lt_i32_e64 s[0:1], s21, v1
	v_mul_lo_u32 v4, v4, s22
	v_sub_u32_e32 v3, v3, v4
	v_subrev_u32_e32 v4, s22, v3
	v_cmp_le_u32_e32 vcc, s22, v3
	v_cndmask_b32_e32 v3, v3, v4, vcc
	v_subrev_u32_e32 v4, s22, v3
	v_cmp_le_u32_e32 vcc, s22, v3
	v_cndmask_b32_e32 v3, v3, v4, vcc
	v_xor_b32_e32 v3, v3, v2
	v_sub_u32_e32 v2, v3, v2
	v_cmp_eq_u32_e32 vcc, 0, v2
	s_or_b64 s[0:1], vcc, s[0:1]
	s_and_saveexec_b64 s[12:13], s[0:1]
	s_cbranch_execz .LBB292_87
; %bb.89:                               ;   in Loop: Header=BB292_88 Depth=1
	global_load_dword v1, v[13:14], off
	s_waitcnt vmcnt(0)
	v_mad_i64_i32 v[1:2], s[0:1], v1, s34, v[11:12]
	s_mov_b64 s[0:1], 0
	global_load_dwordx2 v[15:16], v[1:2], off
	ds_read2_b64 v[5:8], v24 offset1:1
	ds_read2_b64 v[1:4], v24 offset0:2 offset1:3
	s_load_dword s31, s[14:15], 0x0
	s_waitcnt vmcnt(0)
	v_cmp_gt_i16_sdwa s[16:17], v15, s28 src0_sel:BYTE_0 src1_sel:DWORD
	s_and_saveexec_b64 s[18:19], s[16:17]
	s_xor_b64 s[16:17], exec, s[18:19]
	s_cbranch_execnz .LBB292_115
; %bb.90:                               ;   in Loop: Header=BB292_88 Depth=1
	s_or_saveexec_b64 s[16:17], s[16:17]
	v_bfrev_b32_e32 v28, 1
	s_xor_b64 exec, exec, s[16:17]
	s_cbranch_execnz .LBB292_118
.LBB292_91:                             ;   in Loop: Header=BB292_88 Depth=1
	s_or_b64 exec, exec, s[16:17]
	s_and_saveexec_b64 s[16:17], s[0:1]
	s_cbranch_execz .LBB292_93
.LBB292_92:                             ;   in Loop: Header=BB292_88 Depth=1
	v_and_b32_e32 v28, 7, v15
	v_ffbh_u32_e32 v28, v28
	v_and_b32_e32 v30, 0x7f, v15
	v_min_u32_e32 v28, 32, v28
	v_sub_u32_e32 v29, 29, v28
	v_cmp_gt_u32_e32 vcc, 8, v30
	v_subrev_u32_e32 v28, 28, v28
	v_bfe_u32 v31, v15, 3, 4
	v_cndmask_b32_e32 v28, 0, v28, vcc
	v_cndmask_b32_e32 v31, v31, v29, vcc
	v_lshlrev_b64 v[28:29], v28, v[15:16]
	v_lshlrev_b32_e32 v9, 24, v15
	v_lshlrev_b32_e32 v28, 20, v28
	v_and_b32_e32 v9, 0x80000000, v9
	v_lshl_add_u32 v29, v31, 23, v25
	v_and_b32_e32 v28, 0x700000, v28
	v_or3_b32 v9, v9, v29, v28
	v_cmp_ne_u32_e32 vcc, s28, v30
	v_cndmask_b32_e32 v28, v26, v9, vcc
.LBB292_93:                             ;   in Loop: Header=BB292_88 Depth=1
	s_or_b64 exec, exec, s[16:17]
	v_lshrrev_b16_e32 v9, 8, v15
	v_cmp_lt_i16_e32 vcc, s28, v9
	s_mov_b64 s[0:1], 0
	s_and_saveexec_b64 s[16:17], vcc
	s_xor_b64 s[16:17], exec, s[16:17]
	s_cbranch_execnz .LBB292_119
; %bb.94:                               ;   in Loop: Header=BB292_88 Depth=1
	s_or_saveexec_b64 s[16:17], s[16:17]
	v_bfrev_b32_e32 v29, 1
	s_xor_b64 exec, exec, s[16:17]
	s_cbranch_execnz .LBB292_122
.LBB292_95:                             ;   in Loop: Header=BB292_88 Depth=1
	s_or_b64 exec, exec, s[16:17]
	s_and_saveexec_b64 s[16:17], s[0:1]
	s_cbranch_execz .LBB292_97
.LBB292_96:                             ;   in Loop: Header=BB292_88 Depth=1
	v_and_b32_e32 v31, 7, v9
	v_ffbh_u32_e32 v29, v31
	v_min_u32_e32 v34, 32, v29
	v_subrev_u32_e32 v29, 28, v34
	v_lshlrev_b64 v[29:30], v29, v[9:10]
	v_and_b32_e32 v32, 0x7f, v9
	v_bfe_u32 v33, v9, 3, 4
	v_sub_u32_e32 v30, 29, v34
	v_and_b32_e32 v29, 7, v29
	v_cmp_gt_u32_e32 vcc, 8, v32
	v_cndmask_b32_e32 v30, v33, v30, vcc
	v_cndmask_b32_e32 v29, v31, v29, vcc
	v_lshlrev_b32_e32 v9, 24, v9
	v_lshlrev_b32_e32 v29, 20, v29
	v_and_b32_e32 v9, 0x80000000, v9
	v_lshl_add_u32 v30, v30, 23, v25
	v_or3_b32 v9, v9, v30, v29
	v_cmp_ne_u32_e32 vcc, s28, v32
	v_cndmask_b32_e32 v29, v26, v9, vcc
.LBB292_97:                             ;   in Loop: Header=BB292_88 Depth=1
	s_or_b64 exec, exec, s[16:17]
	v_lshrrev_b32_e32 v9, 16, v15
	v_cmp_gt_i16_sdwa s[16:17], v9, s28 src0_sel:BYTE_0 src1_sel:DWORD
	s_mov_b64 s[0:1], 0
	s_and_saveexec_b64 s[18:19], s[16:17]
	s_xor_b64 s[16:17], exec, s[18:19]
	s_cbranch_execnz .LBB292_123
; %bb.98:                               ;   in Loop: Header=BB292_88 Depth=1
	s_or_saveexec_b64 s[16:17], s[16:17]
	v_bfrev_b32_e32 v30, 1
	s_xor_b64 exec, exec, s[16:17]
	s_cbranch_execnz .LBB292_126
.LBB292_99:                             ;   in Loop: Header=BB292_88 Depth=1
	s_or_b64 exec, exec, s[16:17]
	s_and_saveexec_b64 s[16:17], s[0:1]
	s_cbranch_execz .LBB292_101
.LBB292_100:                            ;   in Loop: Header=BB292_88 Depth=1
	v_and_b32_e32 v32, 7, v9
	v_ffbh_u32_e32 v30, v32
	v_min_u32_e32 v35, 32, v30
	v_subrev_u32_e32 v30, 28, v35
	v_lshlrev_b64 v[30:31], v30, v[9:10]
	v_and_b32_e32 v33, 0x7f, v9
	v_bfe_u32 v34, v9, 3, 4
	v_sub_u32_e32 v31, 29, v35
	v_and_b32_e32 v30, 7, v30
	v_cmp_gt_u32_e32 vcc, 8, v33
	v_cndmask_b32_e32 v31, v34, v31, vcc
	v_cndmask_b32_e32 v30, v32, v30, vcc
	v_lshlrev_b32_e32 v9, 24, v9
	v_lshlrev_b32_e32 v30, 20, v30
	v_and_b32_e32 v9, 0x80000000, v9
	v_lshl_add_u32 v31, v31, 23, v25
	v_or3_b32 v9, v9, v31, v30
	v_cmp_ne_u32_e32 vcc, s28, v33
	v_cndmask_b32_e32 v30, v26, v9, vcc
.LBB292_101:                            ;   in Loop: Header=BB292_88 Depth=1
	s_or_b64 exec, exec, s[16:17]
	v_cmp_gt_i16_sdwa s[16:17], v16, s28 src0_sel:BYTE_0 src1_sel:DWORD
	s_mov_b64 s[0:1], 0
	s_and_saveexec_b64 s[18:19], s[16:17]
	s_xor_b64 s[16:17], exec, s[18:19]
	s_cbranch_execnz .LBB292_127
; %bb.102:                              ;   in Loop: Header=BB292_88 Depth=1
	s_or_saveexec_b64 s[16:17], s[16:17]
	v_bfrev_b32_e32 v31, 1
	s_xor_b64 exec, exec, s[16:17]
	s_cbranch_execnz .LBB292_130
.LBB292_103:                            ;   in Loop: Header=BB292_88 Depth=1
	s_or_b64 exec, exec, s[16:17]
	v_mov_b32_e32 v9, v16
	s_and_saveexec_b64 s[16:17], s[0:1]
	s_cbranch_execz .LBB292_105
.LBB292_104:                            ;   in Loop: Header=BB292_88 Depth=1
	v_and_b32_e32 v31, 7, v16
	v_ffbh_u32_e32 v31, v31
	v_and_b32_e32 v33, 0x7f, v16
	v_min_u32_e32 v31, 32, v31
	v_bfe_u32 v32, v16, 3, 4
	v_subrev_u32_e32 v34, 28, v31
	v_sub_u32_e32 v31, 29, v31
	v_cmp_gt_u32_e32 vcc, 8, v33
	v_cndmask_b32_e32 v35, v32, v31, vcc
	v_cndmask_b32_e32 v31, 0, v34, vcc
	v_lshlrev_b64 v[31:32], v31, v[9:10]
	v_lshlrev_b32_e32 v32, 24, v9
	v_lshlrev_b32_e32 v31, 20, v31
	v_and_b32_e32 v31, 0x700000, v31
	v_and_b32_e32 v32, 0x80000000, v32
	v_lshl_add_u32 v34, v35, 23, v25
	v_or3_b32 v31, v32, v34, v31
	v_cmp_ne_u32_e32 vcc, s28, v33
	v_cndmask_b32_e32 v31, v26, v31, vcc
.LBB292_105:                            ;   in Loop: Header=BB292_88 Depth=1
	s_or_b64 exec, exec, s[16:17]
	v_lshrrev_b16_e32 v9, 8, v9
	v_cmp_lt_i16_e32 vcc, s28, v9
	s_mov_b64 s[0:1], 0
	s_and_saveexec_b64 s[16:17], vcc
	s_xor_b64 s[16:17], exec, s[16:17]
	s_cbranch_execnz .LBB292_131
; %bb.106:                              ;   in Loop: Header=BB292_88 Depth=1
	s_or_saveexec_b64 s[16:17], s[16:17]
	v_bfrev_b32_e32 v32, 1
	s_xor_b64 exec, exec, s[16:17]
	s_cbranch_execnz .LBB292_134
.LBB292_107:                            ;   in Loop: Header=BB292_88 Depth=1
	s_or_b64 exec, exec, s[16:17]
	s_and_saveexec_b64 s[16:17], s[0:1]
	s_cbranch_execz .LBB292_109
.LBB292_108:                            ;   in Loop: Header=BB292_88 Depth=1
	v_and_b32_e32 v34, 7, v9
	v_ffbh_u32_e32 v32, v34
	v_min_u32_e32 v37, 32, v32
	v_subrev_u32_e32 v32, 28, v37
	v_lshlrev_b64 v[32:33], v32, v[9:10]
	v_and_b32_e32 v35, 0x7f, v9
	v_bfe_u32 v36, v9, 3, 4
	v_sub_u32_e32 v33, 29, v37
	v_and_b32_e32 v32, 7, v32
	v_cmp_gt_u32_e32 vcc, 8, v35
	v_cndmask_b32_e32 v33, v36, v33, vcc
	v_cndmask_b32_e32 v32, v34, v32, vcc
	v_lshlrev_b32_e32 v9, 24, v9
	v_lshlrev_b32_e32 v32, 20, v32
	v_and_b32_e32 v9, 0x80000000, v9
	v_lshl_add_u32 v33, v33, 23, v25
	v_or3_b32 v9, v9, v33, v32
	v_cmp_ne_u32_e32 vcc, s28, v35
	v_cndmask_b32_e32 v32, v26, v9, vcc
.LBB292_109:                            ;   in Loop: Header=BB292_88 Depth=1
	s_or_b64 exec, exec, s[16:17]
	v_lshrrev_b32_e32 v9, 16, v16
	v_cmp_gt_i16_sdwa s[16:17], v9, s28 src0_sel:BYTE_0 src1_sel:DWORD
	s_mov_b64 s[0:1], 0
	s_and_saveexec_b64 s[18:19], s[16:17]
	s_xor_b64 s[16:17], exec, s[18:19]
	s_cbranch_execnz .LBB292_135
; %bb.110:                              ;   in Loop: Header=BB292_88 Depth=1
	s_or_saveexec_b64 s[16:17], s[16:17]
	v_bfrev_b32_e32 v33, 1
	s_xor_b64 exec, exec, s[16:17]
	s_cbranch_execnz .LBB292_138
.LBB292_111:                            ;   in Loop: Header=BB292_88 Depth=1
	s_or_b64 exec, exec, s[16:17]
	s_and_saveexec_b64 s[16:17], s[0:1]
	s_cbranch_execz .LBB292_113
.LBB292_112:                            ;   in Loop: Header=BB292_88 Depth=1
	v_and_b32_e32 v35, 7, v9
	v_ffbh_u32_e32 v33, v35
	v_min_u32_e32 v38, 32, v33
	v_subrev_u32_e32 v33, 28, v38
	v_lshlrev_b64 v[33:34], v33, v[9:10]
	v_and_b32_e32 v36, 0x7f, v9
	v_bfe_u32 v37, v9, 3, 4
	v_sub_u32_e32 v34, 29, v38
	v_and_b32_e32 v33, 7, v33
	v_cmp_gt_u32_e32 vcc, 8, v36
	v_cndmask_b32_e32 v34, v37, v34, vcc
	v_cndmask_b32_e32 v33, v35, v33, vcc
	v_lshlrev_b32_e32 v9, 24, v9
	v_lshlrev_b32_e32 v33, 20, v33
	v_and_b32_e32 v9, 0x80000000, v9
	v_lshl_add_u32 v34, v34, 23, v25
	v_or3_b32 v9, v9, v34, v33
	v_cmp_ne_u32_e32 vcc, s28, v36
	v_cndmask_b32_e32 v33, v26, v9, vcc
.LBB292_113:                            ;   in Loop: Header=BB292_88 Depth=1
	s_or_b64 exec, exec, s[16:17]
	v_bfe_u32 v36, v15, 24, 3
	v_ffbh_u32_e32 v34, v36
	v_min_u32_e32 v39, 32, v34
	v_lshrrev_b32_e32 v9, 24, v15
	v_subrev_u32_e32 v34, 28, v39
	v_lshlrev_b64 v[34:35], v34, v[9:10]
	v_bfe_u32 v37, v15, 24, 7
	v_bfe_u32 v38, v9, 3, 4
	v_sub_u32_e32 v35, 29, v39
	v_and_b32_e32 v34, 7, v34
	v_cmp_gt_u32_e32 vcc, 8, v37
	v_cndmask_b32_e32 v35, v38, v35, vcc
	v_cndmask_b32_e32 v34, v36, v34, vcc
	v_lshlrev_b32_e32 v34, 20, v34
	v_and_b32_e32 v36, 0x80000000, v15
	v_lshl_add_u32 v35, v35, 23, v25
	v_or3_b32 v34, v36, v35, v34
	v_cmp_ne_u32_e32 vcc, s28, v37
	v_cndmask_b32_e32 v34, v26, v34, vcc
	v_cmp_ne_u32_e32 vcc, s29, v9
	v_bfe_u32 v37, v16, 24, 3
	v_cndmask_b32_e32 v9, v27, v34, vcc
	v_ffbh_u32_e32 v34, v37
	v_cmp_lt_u32_e32 vcc, s5, v15
	v_min_u32_e32 v40, 32, v34
	v_cndmask_b32_e32 v36, 0, v9, vcc
	v_lshrrev_b32_e32 v9, 24, v16
	v_subrev_u32_e32 v34, 28, v40
	v_lshlrev_b64 v[34:35], v34, v[9:10]
	v_bfe_u32 v38, v16, 24, 7
	v_bfe_u32 v39, v9, 3, 4
	v_sub_u32_e32 v35, 29, v40
	v_and_b32_e32 v34, 7, v34
	v_cmp_gt_u32_e32 vcc, 8, v38
	v_cndmask_b32_e32 v35, v39, v35, vcc
	v_cndmask_b32_e32 v34, v37, v34, vcc
	v_lshlrev_b32_e32 v34, 20, v34
	v_and_b32_e32 v37, 0x80000000, v16
	v_lshl_add_u32 v35, v35, 23, v25
	v_or3_b32 v34, v37, v35, v34
	v_cmp_ne_u32_e64 s[0:1], s28, v38
	v_cndmask_b32_e64 v34, v26, v34, s[0:1]
	v_cmp_ne_u32_e64 s[0:1], s29, v9
	v_cndmask_b32_e64 v9, v27, v34, s[0:1]
	v_cmp_lt_u64_e64 s[0:1], s[4:5], v[15:16]
	s_waitcnt lgkmcnt(0)
	v_mul_f32_e32 v30, s31, v30
	v_cndmask_b32_e64 v34, 0, v9, s[0:1]
	v_mul_f32_e32 v9, s31, v32
	v_bfe_u32 v15, v9, 16, 1
	v_add3_u32 v15, v15, v9, s30
	v_or_b32_e32 v16, 0x400000, v9
	v_cmp_u_f32_e64 s[0:1], v9, v9
	v_cndmask_b32_e64 v9, v15, v16, s[0:1]
	v_mul_f32_e32 v15, s31, v31
	v_bfe_u32 v16, v15, 16, 1
	v_add3_u32 v16, v16, v15, s30
	v_or_b32_e32 v31, 0x400000, v15
	v_cmp_u_f32_e64 s[0:1], v15, v15
	;; [unrolled: 6-line block ×3, first 2 shown]
	v_cndmask_b32_e64 v16, v31, v32, s[0:1]
	v_bfe_u32 v31, v30, 16, 1
	v_add3_u32 v31, v31, v30, s30
	v_or_b32_e32 v32, 0x400000, v30
	v_cmp_u_f32_e64 s[0:1], v30, v30
	v_mul_f32_e32 v29, s31, v29
	v_cndmask_b32_e64 v30, v31, v32, s[0:1]
	v_bfe_u32 v31, v29, 16, 1
	v_add3_u32 v31, v31, v29, s30
	v_or_b32_e32 v32, 0x400000, v29
	v_cmp_u_f32_e64 s[0:1], v29, v29
	v_cndmask_b32_e64 v29, v31, v32, s[0:1]
	v_mul_f32_e32 v28, s31, v28
	v_lshrrev_b32_e32 v31, 16, v29
	v_bfe_u32 v29, v28, 16, 1
	v_add3_u32 v29, v29, v28, s30
	v_or_b32_e32 v32, 0x400000, v28
	v_cmp_u_f32_e64 s[0:1], v28, v28
	v_cndmask_b32_e64 v28, v29, v32, s[0:1]
	v_lshrrev_b32_e32 v32, 16, v28
	v_mul_f32_e32 v28, s31, v33
	v_bfe_u32 v29, v28, 16, 1
	v_add3_u32 v29, v29, v28, s30
	v_or_b32_e32 v33, 0x400000, v28
	v_cmp_u_f32_e64 s[0:1], v28, v28
	v_cndmask_b32_e64 v28, v29, v33, s[0:1]
	v_lshrrev_b32_e32 v29, 16, v28
	v_mul_f32_e32 v28, s31, v34
	v_bfe_u32 v33, v28, 16, 1
	v_add3_u32 v33, v33, v28, s30
	v_or_b32_e32 v34, 0x400000, v28
	v_cmp_u_f32_e64 s[0:1], v28, v28
	v_cndmask_b32_e64 v28, v33, v34, s[0:1]
	v_cmp_eq_u32_e32 vcc, s35, v17
	v_lshrrev_b32_e32 v9, 16, v9
	v_lshrrev_b32_e32 v15, 16, v15
	;; [unrolled: 1-line block ×5, first 2 shown]
	s_and_saveexec_b64 s[0:1], vcc
	s_cbranch_execz .LBB292_86
; %bb.114:                              ;   in Loop: Header=BB292_88 Depth=1
	v_add_u32_e32 v33, v21, v18
	v_cmp_gt_i32_e32 vcc, s11, v33
	v_add_u32_e32 v34, 1, v33
	v_cndmask_b32_e32 v32, 0, v32, vcc
	v_cmp_gt_i32_e32 vcc, s11, v34
	v_add_u32_e32 v34, 2, v33
	v_cndmask_b32_e32 v31, 0, v31, vcc
	;; [unrolled: 3-line block ×7, first 2 shown]
	v_cmp_gt_i32_e32 vcc, s11, v33
	v_cndmask_b32_e32 v28, 0, v28, vcc
	s_branch .LBB292_86
.LBB292_115:                            ;   in Loop: Header=BB292_88 Depth=1
	v_cmp_eq_u16_sdwa s[38:39], v15, s29 src0_sel:BYTE_0 src1_sel:DWORD
	s_mov_b64 s[0:1], -1
	s_and_saveexec_b64 s[18:19], s[38:39]
; %bb.116:                              ;   in Loop: Header=BB292_88 Depth=1
	s_xor_b64 s[0:1], exec, -1
; %bb.117:                              ;   in Loop: Header=BB292_88 Depth=1
	s_or_b64 exec, exec, s[18:19]
	s_and_b64 s[0:1], s[0:1], exec
	s_or_saveexec_b64 s[16:17], s[16:17]
	v_bfrev_b32_e32 v28, 1
	s_xor_b64 exec, exec, s[16:17]
	s_cbranch_execz .LBB292_91
.LBB292_118:                            ;   in Loop: Header=BB292_88 Depth=1
	v_cmp_ne_u16_sdwa s[18:19], v15, v10 src0_sel:BYTE_0 src1_sel:DWORD
	s_andn2_b64 s[0:1], s[0:1], exec
	s_and_b64 s[18:19], s[18:19], exec
	v_mov_b32_e32 v28, 0
	s_or_b64 s[0:1], s[0:1], s[18:19]
	s_or_b64 exec, exec, s[16:17]
	s_and_saveexec_b64 s[16:17], s[0:1]
	s_cbranch_execnz .LBB292_92
	s_branch .LBB292_93
.LBB292_119:                            ;   in Loop: Header=BB292_88 Depth=1
	v_cmp_eq_u16_e32 vcc, s29, v9
	s_mov_b64 s[0:1], -1
	s_and_saveexec_b64 s[18:19], vcc
; %bb.120:                              ;   in Loop: Header=BB292_88 Depth=1
	s_xor_b64 s[0:1], exec, -1
; %bb.121:                              ;   in Loop: Header=BB292_88 Depth=1
	s_or_b64 exec, exec, s[18:19]
	s_and_b64 s[0:1], s[0:1], exec
	s_or_saveexec_b64 s[16:17], s[16:17]
	v_bfrev_b32_e32 v29, 1
	s_xor_b64 exec, exec, s[16:17]
	s_cbranch_execz .LBB292_95
.LBB292_122:                            ;   in Loop: Header=BB292_88 Depth=1
	v_cmp_ne_u16_e32 vcc, 0, v9
	s_andn2_b64 s[0:1], s[0:1], exec
	s_and_b64 s[18:19], vcc, exec
	v_mov_b32_e32 v29, 0
	s_or_b64 s[0:1], s[0:1], s[18:19]
	s_or_b64 exec, exec, s[16:17]
	s_and_saveexec_b64 s[16:17], s[0:1]
	s_cbranch_execnz .LBB292_96
	s_branch .LBB292_97
.LBB292_123:                            ;   in Loop: Header=BB292_88 Depth=1
	v_cmp_eq_u16_sdwa s[38:39], v9, s29 src0_sel:BYTE_0 src1_sel:DWORD
	s_mov_b64 s[0:1], -1
	s_and_saveexec_b64 s[18:19], s[38:39]
; %bb.124:                              ;   in Loop: Header=BB292_88 Depth=1
	s_xor_b64 s[0:1], exec, -1
; %bb.125:                              ;   in Loop: Header=BB292_88 Depth=1
	s_or_b64 exec, exec, s[18:19]
	s_and_b64 s[0:1], s[0:1], exec
	s_or_saveexec_b64 s[16:17], s[16:17]
	v_bfrev_b32_e32 v30, 1
	s_xor_b64 exec, exec, s[16:17]
	s_cbranch_execz .LBB292_99
.LBB292_126:                            ;   in Loop: Header=BB292_88 Depth=1
	v_cmp_ne_u16_sdwa s[18:19], v9, v10 src0_sel:BYTE_0 src1_sel:DWORD
	s_andn2_b64 s[0:1], s[0:1], exec
	s_and_b64 s[18:19], s[18:19], exec
	v_mov_b32_e32 v30, 0
	s_or_b64 s[0:1], s[0:1], s[18:19]
	s_or_b64 exec, exec, s[16:17]
	s_and_saveexec_b64 s[16:17], s[0:1]
	s_cbranch_execnz .LBB292_100
	s_branch .LBB292_101
.LBB292_127:                            ;   in Loop: Header=BB292_88 Depth=1
	v_cmp_eq_u16_sdwa s[38:39], v16, s29 src0_sel:BYTE_0 src1_sel:DWORD
	s_mov_b64 s[0:1], -1
	s_and_saveexec_b64 s[18:19], s[38:39]
; %bb.128:                              ;   in Loop: Header=BB292_88 Depth=1
	s_xor_b64 s[0:1], exec, -1
; %bb.129:                              ;   in Loop: Header=BB292_88 Depth=1
	s_or_b64 exec, exec, s[18:19]
	s_and_b64 s[0:1], s[0:1], exec
	s_or_saveexec_b64 s[16:17], s[16:17]
	v_bfrev_b32_e32 v31, 1
	s_xor_b64 exec, exec, s[16:17]
	s_cbranch_execz .LBB292_103
.LBB292_130:                            ;   in Loop: Header=BB292_88 Depth=1
	v_cmp_ne_u16_sdwa s[18:19], v16, v10 src0_sel:BYTE_0 src1_sel:DWORD
	s_andn2_b64 s[0:1], s[0:1], exec
	s_and_b64 s[18:19], s[18:19], exec
	v_mov_b32_e32 v31, 0
	s_or_b64 s[0:1], s[0:1], s[18:19]
	s_or_b64 exec, exec, s[16:17]
	v_mov_b32_e32 v9, v16
	s_and_saveexec_b64 s[16:17], s[0:1]
	s_cbranch_execnz .LBB292_104
	s_branch .LBB292_105
.LBB292_131:                            ;   in Loop: Header=BB292_88 Depth=1
	v_cmp_eq_u16_e32 vcc, s29, v9
	s_mov_b64 s[0:1], -1
	s_and_saveexec_b64 s[18:19], vcc
; %bb.132:                              ;   in Loop: Header=BB292_88 Depth=1
	s_xor_b64 s[0:1], exec, -1
; %bb.133:                              ;   in Loop: Header=BB292_88 Depth=1
	s_or_b64 exec, exec, s[18:19]
	s_and_b64 s[0:1], s[0:1], exec
	s_or_saveexec_b64 s[16:17], s[16:17]
	v_bfrev_b32_e32 v32, 1
	s_xor_b64 exec, exec, s[16:17]
	s_cbranch_execz .LBB292_107
.LBB292_134:                            ;   in Loop: Header=BB292_88 Depth=1
	v_cmp_ne_u16_e32 vcc, 0, v9
	s_andn2_b64 s[0:1], s[0:1], exec
	s_and_b64 s[18:19], vcc, exec
	v_mov_b32_e32 v32, 0
	s_or_b64 s[0:1], s[0:1], s[18:19]
	s_or_b64 exec, exec, s[16:17]
	s_and_saveexec_b64 s[16:17], s[0:1]
	s_cbranch_execnz .LBB292_108
	s_branch .LBB292_109
.LBB292_135:                            ;   in Loop: Header=BB292_88 Depth=1
	v_cmp_eq_u16_sdwa s[38:39], v9, s29 src0_sel:BYTE_0 src1_sel:DWORD
	s_mov_b64 s[0:1], -1
	s_and_saveexec_b64 s[18:19], s[38:39]
; %bb.136:                              ;   in Loop: Header=BB292_88 Depth=1
	s_xor_b64 s[0:1], exec, -1
; %bb.137:                              ;   in Loop: Header=BB292_88 Depth=1
	s_or_b64 exec, exec, s[18:19]
	s_and_b64 s[0:1], s[0:1], exec
	s_or_saveexec_b64 s[16:17], s[16:17]
	v_bfrev_b32_e32 v33, 1
	s_xor_b64 exec, exec, s[16:17]
	s_cbranch_execz .LBB292_111
.LBB292_138:                            ;   in Loop: Header=BB292_88 Depth=1
	v_cmp_ne_u16_sdwa s[18:19], v9, v10 src0_sel:BYTE_0 src1_sel:DWORD
	s_andn2_b64 s[0:1], s[0:1], exec
	s_and_b64 s[18:19], s[18:19], exec
	v_mov_b32_e32 v33, 0
	s_or_b64 s[0:1], s[0:1], s[18:19]
	s_or_b64 exec, exec, s[16:17]
	s_and_saveexec_b64 s[16:17], s[0:1]
	s_cbranch_execnz .LBB292_112
	s_branch .LBB292_113
.LBB292_139:
	s_or_b64 exec, exec, s[6:7]
.LBB292_140:
	s_or_b64 exec, exec, s[2:3]
	ds_bpermute_b32 v1, v20, v23
	v_and_b32_e32 v2, 0x3c1, v0
	v_cmp_eq_u32_e32 vcc, 64, v2
	s_waitcnt lgkmcnt(0)
	s_barrier
	v_add_f32_e32 v1, v23, v1
	s_and_saveexec_b64 s[0:1], vcc
; %bb.141:
	v_mov_b32_e32 v3, 0x50
	v_lshl_add_u32 v3, v19, 1, v3
	ds_write_b32 v3, v1
; %bb.142:
	s_or_b64 exec, exec, s[0:1]
	v_lshrrev_b32_e32 v0, 1, v0
	v_cmp_eq_u32_e32 vcc, 0, v2
	s_waitcnt lgkmcnt(0)
	s_barrier
	s_and_saveexec_b64 s[0:1], vcc
	s_cbranch_execz .LBB292_144
; %bb.143:
	v_mov_b32_e32 v2, 0x50
	v_lshl_add_u32 v2, v0, 2, v2
	ds_read_b32 v2, v2
	s_waitcnt lgkmcnt(0)
	v_add_f32_e32 v1, v1, v2
.LBB292_144:
	s_or_b64 exec, exec, s[0:1]
	s_barrier
	s_and_saveexec_b64 s[0:1], vcc
	s_cbranch_execz .LBB292_146
; %bb.145:
	s_mul_i32 s0, s10, s20
	s_mul_i32 s0, s0, s9
	s_lshl_b32 s0, s0, 5
	s_ashr_i32 s1, s0, 31
	s_lshl_b64 s[0:1], s[0:1], 1
	s_add_u32 s2, s26, s0
	s_mul_i32 s0, s20, s24
	s_addc_u32 s3, s27, s1
	s_ashr_i32 s1, s0, 31
	s_lshl_b64 s[0:1], s[0:1], 1
	s_add_u32 s2, s2, s0
	s_addc_u32 s3, s3, s1
	s_lshl_b32 s0, s8, 5
	s_ashr_i32 s1, s0, 31
	s_lshl_b64 s[0:1], s[0:1], 1
	s_add_u32 s0, s2, s0
	v_bfe_u32 v2, v1, 16, 1
	s_movk_i32 s2, 0x7fff
	v_add3_u32 v2, v2, v1, s2
	v_or_b32_e32 v3, 0x400000, v1
	v_cmp_u_f32_e32 vcc, v1, v1
	s_addc_u32 s1, s3, s1
	v_lshlrev_b32_e32 v0, 1, v0
	v_cndmask_b32_e32 v1, v2, v3, vcc
	global_store_short_d16_hi v0, v1, s[0:1]
.LBB292_146:
	s_endpgm
	.section	.rodata,"a",@progbits
	.p2align	6, 0x0
	.amdhsa_kernel _ZN4vllm25paged_attention_v1_kernelI14__hip_bfloat16hLi32ELi16ELi128ELNS_18Fp8KVCacheDataTypeE1ELb1EEEvPT_PKS3_PKT0_S9_ifPKiSB_iPKfiiiSD_SD_iiiii
		.amdhsa_group_segment_fixed_size 80
		.amdhsa_private_segment_fixed_size 0
		.amdhsa_kernarg_size 384
		.amdhsa_user_sgpr_count 6
		.amdhsa_user_sgpr_private_segment_buffer 1
		.amdhsa_user_sgpr_dispatch_ptr 0
		.amdhsa_user_sgpr_queue_ptr 0
		.amdhsa_user_sgpr_kernarg_segment_ptr 1
		.amdhsa_user_sgpr_dispatch_id 0
		.amdhsa_user_sgpr_flat_scratch_init 0
		.amdhsa_user_sgpr_private_segment_size 0
		.amdhsa_uses_dynamic_stack 0
		.amdhsa_system_sgpr_private_segment_wavefront_offset 0
		.amdhsa_system_sgpr_workgroup_id_x 1
		.amdhsa_system_sgpr_workgroup_id_y 1
		.amdhsa_system_sgpr_workgroup_id_z 1
		.amdhsa_system_sgpr_workgroup_info 0
		.amdhsa_system_vgpr_workitem_id 0
		.amdhsa_next_free_vgpr 41
		.amdhsa_next_free_sgpr 56
		.amdhsa_reserve_vcc 1
		.amdhsa_reserve_flat_scratch 0
		.amdhsa_float_round_mode_32 0
		.amdhsa_float_round_mode_16_64 0
		.amdhsa_float_denorm_mode_32 3
		.amdhsa_float_denorm_mode_16_64 3
		.amdhsa_dx10_clamp 1
		.amdhsa_ieee_mode 1
		.amdhsa_fp16_overflow 0
		.amdhsa_exception_fp_ieee_invalid_op 0
		.amdhsa_exception_fp_denorm_src 0
		.amdhsa_exception_fp_ieee_div_zero 0
		.amdhsa_exception_fp_ieee_overflow 0
		.amdhsa_exception_fp_ieee_underflow 0
		.amdhsa_exception_fp_ieee_inexact 0
		.amdhsa_exception_int_div_zero 0
	.end_amdhsa_kernel
	.section	.text._ZN4vllm25paged_attention_v1_kernelI14__hip_bfloat16hLi32ELi16ELi128ELNS_18Fp8KVCacheDataTypeE1ELb1EEEvPT_PKS3_PKT0_S9_ifPKiSB_iPKfiiiSD_SD_iiiii,"axG",@progbits,_ZN4vllm25paged_attention_v1_kernelI14__hip_bfloat16hLi32ELi16ELi128ELNS_18Fp8KVCacheDataTypeE1ELb1EEEvPT_PKS3_PKT0_S9_ifPKiSB_iPKfiiiSD_SD_iiiii,comdat
.Lfunc_end292:
	.size	_ZN4vllm25paged_attention_v1_kernelI14__hip_bfloat16hLi32ELi16ELi128ELNS_18Fp8KVCacheDataTypeE1ELb1EEEvPT_PKS3_PKT0_S9_ifPKiSB_iPKfiiiSD_SD_iiiii, .Lfunc_end292-_ZN4vllm25paged_attention_v1_kernelI14__hip_bfloat16hLi32ELi16ELi128ELNS_18Fp8KVCacheDataTypeE1ELb1EEEvPT_PKS3_PKT0_S9_ifPKiSB_iPKfiiiSD_SD_iiiii
                                        ; -- End function
	.set _ZN4vllm25paged_attention_v1_kernelI14__hip_bfloat16hLi32ELi16ELi128ELNS_18Fp8KVCacheDataTypeE1ELb1EEEvPT_PKS3_PKT0_S9_ifPKiSB_iPKfiiiSD_SD_iiiii.num_vgpr, 41
	.set _ZN4vllm25paged_attention_v1_kernelI14__hip_bfloat16hLi32ELi16ELi128ELNS_18Fp8KVCacheDataTypeE1ELb1EEEvPT_PKS3_PKT0_S9_ifPKiSB_iPKfiiiSD_SD_iiiii.num_agpr, 0
	.set _ZN4vllm25paged_attention_v1_kernelI14__hip_bfloat16hLi32ELi16ELi128ELNS_18Fp8KVCacheDataTypeE1ELb1EEEvPT_PKS3_PKT0_S9_ifPKiSB_iPKfiiiSD_SD_iiiii.numbered_sgpr, 56
	.set _ZN4vllm25paged_attention_v1_kernelI14__hip_bfloat16hLi32ELi16ELi128ELNS_18Fp8KVCacheDataTypeE1ELb1EEEvPT_PKS3_PKT0_S9_ifPKiSB_iPKfiiiSD_SD_iiiii.num_named_barrier, 0
	.set _ZN4vllm25paged_attention_v1_kernelI14__hip_bfloat16hLi32ELi16ELi128ELNS_18Fp8KVCacheDataTypeE1ELb1EEEvPT_PKS3_PKT0_S9_ifPKiSB_iPKfiiiSD_SD_iiiii.private_seg_size, 0
	.set _ZN4vllm25paged_attention_v1_kernelI14__hip_bfloat16hLi32ELi16ELi128ELNS_18Fp8KVCacheDataTypeE1ELb1EEEvPT_PKS3_PKT0_S9_ifPKiSB_iPKfiiiSD_SD_iiiii.uses_vcc, 1
	.set _ZN4vllm25paged_attention_v1_kernelI14__hip_bfloat16hLi32ELi16ELi128ELNS_18Fp8KVCacheDataTypeE1ELb1EEEvPT_PKS3_PKT0_S9_ifPKiSB_iPKfiiiSD_SD_iiiii.uses_flat_scratch, 0
	.set _ZN4vllm25paged_attention_v1_kernelI14__hip_bfloat16hLi32ELi16ELi128ELNS_18Fp8KVCacheDataTypeE1ELb1EEEvPT_PKS3_PKT0_S9_ifPKiSB_iPKfiiiSD_SD_iiiii.has_dyn_sized_stack, 0
	.set _ZN4vllm25paged_attention_v1_kernelI14__hip_bfloat16hLi32ELi16ELi128ELNS_18Fp8KVCacheDataTypeE1ELb1EEEvPT_PKS3_PKT0_S9_ifPKiSB_iPKfiiiSD_SD_iiiii.has_recursion, 0
	.set _ZN4vllm25paged_attention_v1_kernelI14__hip_bfloat16hLi32ELi16ELi128ELNS_18Fp8KVCacheDataTypeE1ELb1EEEvPT_PKS3_PKT0_S9_ifPKiSB_iPKfiiiSD_SD_iiiii.has_indirect_call, 0
	.section	.AMDGPU.csdata,"",@progbits
; Kernel info:
; codeLenInByte = 8072
; TotalNumSgprs: 60
; NumVgprs: 41
; ScratchSize: 0
; MemoryBound: 0
; FloatMode: 240
; IeeeMode: 1
; LDSByteSize: 80 bytes/workgroup (compile time only)
; SGPRBlocks: 7
; VGPRBlocks: 10
; NumSGPRsForWavesPerEU: 60
; NumVGPRsForWavesPerEU: 41
; Occupancy: 5
; WaveLimiterHint : 1
; COMPUTE_PGM_RSRC2:SCRATCH_EN: 0
; COMPUTE_PGM_RSRC2:USER_SGPR: 6
; COMPUTE_PGM_RSRC2:TRAP_HANDLER: 0
; COMPUTE_PGM_RSRC2:TGID_X_EN: 1
; COMPUTE_PGM_RSRC2:TGID_Y_EN: 1
; COMPUTE_PGM_RSRC2:TGID_Z_EN: 1
; COMPUTE_PGM_RSRC2:TIDIG_COMP_CNT: 0
	.section	.text._ZN4vllm25paged_attention_v1_kernelI14__hip_bfloat16hLi64ELi16ELi128ELNS_18Fp8KVCacheDataTypeE1ELb1EEEvPT_PKS3_PKT0_S9_ifPKiSB_iPKfiiiSD_SD_iiiii,"axG",@progbits,_ZN4vllm25paged_attention_v1_kernelI14__hip_bfloat16hLi64ELi16ELi128ELNS_18Fp8KVCacheDataTypeE1ELb1EEEvPT_PKS3_PKT0_S9_ifPKiSB_iPKfiiiSD_SD_iiiii,comdat
	.protected	_ZN4vllm25paged_attention_v1_kernelI14__hip_bfloat16hLi64ELi16ELi128ELNS_18Fp8KVCacheDataTypeE1ELb1EEEvPT_PKS3_PKT0_S9_ifPKiSB_iPKfiiiSD_SD_iiiii ; -- Begin function _ZN4vllm25paged_attention_v1_kernelI14__hip_bfloat16hLi64ELi16ELi128ELNS_18Fp8KVCacheDataTypeE1ELb1EEEvPT_PKS3_PKT0_S9_ifPKiSB_iPKfiiiSD_SD_iiiii
	.globl	_ZN4vllm25paged_attention_v1_kernelI14__hip_bfloat16hLi64ELi16ELi128ELNS_18Fp8KVCacheDataTypeE1ELb1EEEvPT_PKS3_PKT0_S9_ifPKiSB_iPKfiiiSD_SD_iiiii
	.p2align	8
	.type	_ZN4vllm25paged_attention_v1_kernelI14__hip_bfloat16hLi64ELi16ELi128ELNS_18Fp8KVCacheDataTypeE1ELb1EEEvPT_PKS3_PKT0_S9_ifPKiSB_iPKfiiiSD_SD_iiiii,@function
_ZN4vllm25paged_attention_v1_kernelI14__hip_bfloat16hLi64ELi16ELi128ELNS_18Fp8KVCacheDataTypeE1ELb1EEEvPT_PKS3_PKT0_S9_ifPKiSB_iPKfiiiSD_SD_iiiii: ; @_ZN4vllm25paged_attention_v1_kernelI14__hip_bfloat16hLi64ELi16ELi128ELNS_18Fp8KVCacheDataTypeE1ELb1EEEvPT_PKS3_PKT0_S9_ifPKiSB_iPKfiiiSD_SD_iiiii
; %bb.0:
	s_load_dword s9, s[4:5], 0x80
	s_load_dwordx2 s[0:1], s[4:5], 0x30
	s_load_dwordx2 s[36:37], s[4:5], 0x20
	s_mov_b32 s10, s7
	s_ashr_i32 s11, s7, 31
	s_lshl_b64 s[2:3], s[10:11], 2
	s_waitcnt lgkmcnt(0)
	s_add_u32 s0, s0, s2
	s_addc_u32 s1, s1, s3
	s_abs_i32 s2, s36
	v_cvt_f32_u32_e32 v1, s2
	s_sub_i32 s11, 0, s2
	s_abs_i32 s7, s9
	s_xor_b32 s3, s9, s36
	v_rcp_iflag_f32_e32 v1, v1
	s_ashr_i32 s3, s3, 31
	s_mov_b32 s48, 0
	v_mul_f32_e32 v1, 0x4f7ffffe, v1
	v_cvt_u32_f32_e32 v1, v1
	v_readfirstlane_b32 s12, v1
	s_mul_i32 s11, s11, s12
	s_mul_hi_u32 s11, s12, s11
	s_add_i32 s12, s12, s11
	s_mul_hi_u32 s11, s7, s12
	s_mul_i32 s12, s11, s2
	s_sub_i32 s7, s7, s12
	s_add_i32 s12, s11, 1
	s_sub_i32 s13, s7, s2
	s_cmp_ge_u32 s7, s2
	s_cselect_b32 s11, s12, s11
	s_cselect_b32 s7, s13, s7
	s_add_i32 s12, s11, 1
	s_cmp_ge_u32 s7, s2
	s_cselect_b32 s2, s12, s11
	s_xor_b32 s2, s2, s3
	s_sub_i32 s15, s2, s3
	s_abs_i32 s12, s15
	v_cvt_f32_u32_e32 v1, s12
	s_load_dwordx2 s[2:3], s[4:5], 0x40
	s_sub_i32 s7, 0, s12
	s_abs_i32 s13, s6
	v_rcp_iflag_f32_e32 v1, v1
	v_mul_f32_e32 v1, 0x4f7ffffe, v1
	v_cvt_u32_f32_e32 v1, v1
	v_readfirstlane_b32 s11, v1
	s_mul_i32 s7, s7, s11
	s_mul_hi_u32 s7, s11, s7
	s_add_i32 s11, s11, s7
	s_waitcnt lgkmcnt(0)
	s_cmp_eq_u64 s[2:3], 0
	s_mul_hi_u32 s14, s13, s11
	s_cbranch_scc1 .LBB293_2
; %bb.1:
	s_ashr_i32 s7, s6, 31
	s_lshl_b64 s[16:17], s[6:7], 2
	s_add_u32 s2, s2, s16
	s_addc_u32 s3, s3, s17
	s_load_dword s48, s[2:3], 0x0
.LBB293_2:
	s_load_dword s11, s[0:1], 0x0
	s_load_dwordx4 s[16:19], s[4:5], 0x48
	s_ashr_i32 s2, s6, 31
	s_ashr_i32 s7, s15, 31
	v_and_b32_e32 v1, 3, v0
	s_lshl_b32 s24, s6, 6
	v_cmp_gt_u32_e32 vcc, 32, v0
	s_and_saveexec_b64 s[0:1], vcc
	s_cbranch_execz .LBB293_4
; %bb.3:
	s_load_dwordx2 s[20:21], s[4:5], 0x8
	s_waitcnt lgkmcnt(0)
	s_mul_i32 s22, s16, s10
	s_ashr_i32 s23, s22, 31
	s_lshl_b64 s[22:23], s[22:23], 1
	v_lshlrev_b32_e32 v2, 2, v0
	s_add_u32 s3, s20, s22
	s_addc_u32 s15, s21, s23
	s_ashr_i32 s25, s24, 31
	s_lshl_b64 s[20:21], s[24:25], 1
	s_add_u32 s20, s3, s20
	s_addc_u32 s21, s15, s21
	global_load_dword v2, v2, s[20:21]
	v_and_b32_e32 v3, 0x3fc, v0
	v_lshl_add_u32 v3, v1, 5, v3
	s_waitcnt vmcnt(0)
	ds_write_b32 v3, v2
.LBB293_4:
	s_or_b64 exec, exec, s[0:1]
	s_mul_i32 s1, s14, s12
	s_sub_i32 s1, s13, s1
	s_xor_b32 s0, s2, s7
	s_add_i32 s2, s14, 1
	s_sub_i32 s7, s1, s12
	s_load_dwordx4 s[20:23], s[4:5], 0x68
	s_load_dword s3, s[4:5], 0x78
	s_cmp_ge_u32 s1, s12
	s_cselect_b32 s2, s2, s14
	s_cselect_b32 s1, s7, s1
	s_add_i32 s7, s2, 1
	s_cmp_ge_u32 s1, s12
	s_cselect_b32 s1, s7, s2
	s_waitcnt lgkmcnt(0)
	s_abs_i32 s25, s23
	v_cvt_f32_u32_e32 v2, s25
	s_xor_b32 s1, s1, s0
	s_sub_i32 s2, s1, s0
	s_sub_i32 s0, 0, s25
	v_rcp_iflag_f32_e32 v2, v2
	s_add_i32 s12, s11, -1
	s_abs_i32 s7, s12
	v_mul_f32_e32 v2, 0x4f7ffffe, v2
	v_cvt_u32_f32_e32 v2, v2
	s_barrier
	v_readfirstlane_b32 s33, v2
	s_mul_i32 s0, s0, s33
	s_mul_hi_u32 s0, s33, s0
	s_add_i32 s33, s33, s0
	s_cmp_lt_i32 s3, 0
	s_mul_hi_u32 s16, s7, s33
	s_cbranch_scc0 .LBB293_6
; %bb.5:
	s_mul_i32 s0, s20, s36
	s_add_i32 s0, s2, s0
	s_mul_i32 s0, s0, s3
	s_sub_i32 s36, 1, s0
	s_mov_b64 s[0:1], 0
	s_branch .LBB293_7
.LBB293_6:
	s_mov_b64 s[0:1], -1
                                        ; implicit-def: $sgpr36
.LBB293_7:
	s_load_dwordx2 s[28:29], s[4:5], 0x28
	s_ashr_i32 s19, s12, 31
	s_andn2_b64 vcc, exec, s[0:1]
	s_ashr_i32 s46, s23, 31
	s_cbranch_vccnz .LBB293_9
; %bb.8:
	s_mul_i32 s0, s9, s20
	s_add_i32 s0, s0, s6
	s_mul_i32 s0, s0, s3
	s_add_i32 s36, s0, 1
.LBB293_9:
	s_load_dword s0, s[4:5], 0x38
	s_load_dwordx2 s[26:27], s[4:5], 0x0
	s_load_dwordx2 s[34:35], s[4:5], 0x18
	s_load_dword s23, s[4:5], 0x88
	s_load_dwordx4 s[12:15], s[4:5], 0x58
	s_mul_i32 s1, s16, s25
	s_waitcnt lgkmcnt(0)
	s_mul_i32 s30, s0, s10
	s_sub_i32 s1, s7, s1
	s_ashr_i32 s31, s30, 31
	s_xor_b32 s0, s19, s46
	s_add_i32 s3, s16, 1
	s_sub_i32 s6, s1, s25
	s_cmp_ge_u32 s1, s25
	s_cselect_b32 s3, s3, s16
	s_cselect_b32 s1, s6, s1
	s_add_i32 s6, s3, 1
	s_cmp_ge_u32 s1, s25
	s_cselect_b32 s1, s6, s3
	s_xor_b32 s1, s1, s0
	s_sub_i32 s16, s1, s0
	s_add_i32 s0, s11, 15
	s_ashr_i32 s1, s0, 31
	s_lshr_b32 s1, s1, 28
	s_add_i32 s0, s0, s1
	s_ashr_i32 s47, s0, 4
	v_lshrrev_b32_e32 v20, 6, v0
	v_cmp_gt_i32_e64 s[0:1], s47, v20
	v_mov_b32_e32 v24, 0xff7fffff
	s_mul_i32 s20, s2, s18
	v_lshrrev_b32_e32 v17, 4, v0
	v_lshlrev_b32_e32 v21, 4, v20
	v_mbcnt_lo_u32_b32 v18, -1, 0
	s_and_saveexec_b64 s[18:19], s[0:1]
	s_cbranch_execz .LBB293_117
; %bb.10:
	s_load_dwordx2 s[2:3], s[4:5], 0x10
	s_sub_i32 s49, s16, s21
	s_ashr_i32 s4, s20, 31
	v_cmp_eq_u32_e32 vcc, 0, v1
	v_bfe_u32 v19, v0, 2, 4
	s_waitcnt lgkmcnt(0)
	s_add_u32 s5, s2, s20
	s_addc_u32 s4, s3, s4
	s_abs_i32 s50, s22
	v_cvt_f32_u32_e32 v2, s50
	s_sub_i32 s2, 0, s50
	v_lshlrev_b32_e32 v3, 1, v1
	v_lshlrev_b32_e32 v22, 5, v1
	v_rcp_iflag_f32_e32 v2, v2
	v_lshlrev_b32_e32 v4, 4, v19
	v_mov_b32_e32 v5, s4
	v_add_co_u32_e64 v4, s[4:5], s5, v4
	v_mul_f32_e32 v2, 0x4f7ffffe, v2
	v_cvt_u32_f32_e32 v2, v2
	v_addc_co_u32_e64 v5, s[4:5], 0, v5, s[4:5]
	v_add_co_u32_e64 v9, s[4:5], v4, v3
	v_mul_lo_u32 v1, s2, v2
	v_addc_co_u32_e64 v10, s[4:5], 0, v5, s[4:5]
	s_lshl_b64 s[4:5], s[30:31], 2
	v_mul_hi_u32 v1, v2, v1
	s_add_u32 s4, s28, s4
	s_addc_u32 s5, s29, s5
	s_mov_b32 s51, s17
	v_add_u32_e32 v23, v2, v1
	v_and_b32_e32 v1, 60, v17
	v_mov_b32_e32 v2, s5
	v_add_co_u32_e64 v11, s[4:5], s4, v1
	v_subrev_u32_e32 v1, s11, v19
	v_add_u32_e32 v26, 1, v1
	v_lshlrev_b32_e32 v1, 2, v19
	v_lshl_or_b32 v1, v20, 6, v1
	v_cmp_neq_f32_e64 s[2:3], s48, 0
	v_addc_co_u32_e64 v12, s[4:5], 0, v2, s[4:5]
	v_lshlrev_b32_e32 v25, 4, v20
	v_add_u32_e32 v27, 0x90, v1
	v_mov_b32_e32 v28, 0xff7fffff
	s_mov_b64 s[38:39], 0
	s_movk_i32 s52, 0x80
	s_movk_i32 s53, 0x7f
	;; [unrolled: 1-line block ×3, first 2 shown]
	v_mov_b32_e32 v29, 0
	v_bfrev_b32_e32 v30, 60
	v_mbcnt_hi_u32_b32 v31, -1, v18
	v_mov_b32_e32 v24, 0xff7fffff
	v_mov_b32_e32 v32, v20
	s_branch .LBB293_13
.LBB293_11:                             ;   in Loop: Header=BB293_13 Depth=1
	s_or_b64 exec, exec, s[40:41]
.LBB293_12:                             ;   in Loop: Header=BB293_13 Depth=1
	s_or_b64 exec, exec, s[6:7]
	v_add_co_u32_e64 v11, s[4:5], 8, v11
	v_add_u32_e32 v32, 2, v32
	v_addc_co_u32_e64 v12, s[4:5], 0, v12, s[4:5]
	v_cmp_le_i32_e64 s[4:5], s47, v32
	v_add_u32_e32 v25, 32, v25
	s_or_b64 s[38:39], s[4:5], s[38:39]
	v_add_u32_e32 v27, 0x80, v27
	s_andn2_b64 exec, exec, s[38:39]
	s_cbranch_execz .LBB293_116
.LBB293_13:                             ; =>This Inner Loop Header: Depth=1
	v_mul_hi_u32 v1, v25, s33
	s_waitcnt lgkmcnt(0)
	v_mul_lo_u32 v2, v1, s25
	v_add_u32_e32 v3, 1, v1
	v_sub_u32_e32 v2, v25, v2
	v_cmp_le_u32_e64 s[4:5], s25, v2
	v_cndmask_b32_e64 v1, v1, v3, s[4:5]
	v_subrev_u32_e32 v3, s25, v2
	v_cndmask_b32_e64 v2, v2, v3, s[4:5]
	v_add_u32_e32 v3, 1, v1
	v_cmp_le_u32_e64 s[4:5], s25, v2
	v_cndmask_b32_e64 v1, v1, v3, s[4:5]
	v_xor_b32_e32 v1, s46, v1
	v_subrev_u32_e32 v1, s46, v1
	v_add_u32_e32 v2, s36, v1
	v_sub_u32_e32 v3, 0, v2
	v_max_i32_e32 v3, v2, v3
	v_mul_hi_u32 v4, v3, v23
	v_ashrrev_i32_e32 v2, 31, v2
	v_cmp_ge_i32_e64 s[6:7], s49, v1
	v_mul_lo_u32 v4, v4, s50
	v_sub_u32_e32 v3, v3, v4
	v_subrev_u32_e32 v4, s50, v3
	v_cmp_le_u32_e64 s[4:5], s50, v3
	v_cndmask_b32_e64 v3, v3, v4, s[4:5]
	v_subrev_u32_e32 v4, s50, v3
	v_cmp_le_u32_e64 s[4:5], s50, v3
	v_cndmask_b32_e64 v3, v3, v4, s[4:5]
	v_xor_b32_e32 v3, v3, v2
	v_sub_u32_e32 v2, v3, v2
	v_cmp_ne_u32_e64 s[4:5], 0, v2
	s_and_b64 s[4:5], s[4:5], s[6:7]
	s_and_saveexec_b64 s[6:7], s[4:5]
	s_xor_b64 s[4:5], exec, s[6:7]
	s_cbranch_execz .LBB293_17
; %bb.14:                               ;   in Loop: Header=BB293_13 Depth=1
	s_and_saveexec_b64 s[6:7], vcc
; %bb.15:                               ;   in Loop: Header=BB293_13 Depth=1
	ds_write_b32 v27, v28
; %bb.16:                               ;   in Loop: Header=BB293_13 Depth=1
	s_or_b64 exec, exec, s[6:7]
.LBB293_17:                             ;   in Loop: Header=BB293_13 Depth=1
	s_andn2_saveexec_b64 s[6:7], s[4:5]
	s_cbranch_execz .LBB293_12
; %bb.18:                               ;   in Loop: Header=BB293_13 Depth=1
	global_load_dword v1, v[11:12], off
	v_mov_b32_e32 v34, 0
	v_mov_b32_e32 v33, 0
	s_waitcnt vmcnt(0)
	v_mad_i64_i32 v[13:14], s[4:5], v1, s51, v[9:10]
	global_load_ushort v16, v[13:14], off
	ds_read_b128 v[5:8], v22
	ds_read_b128 v[1:4], v22 offset:16
	s_load_dword s55, s[12:13], 0x0
	s_waitcnt vmcnt(0)
	v_and_b32_e32 v15, 0xffff, v16
	v_cmp_ne_u16_sdwa s[4:5], v16, v29 src0_sel:BYTE_0 src1_sel:DWORD
	s_and_saveexec_b64 s[40:41], s[4:5]
	s_cbranch_execz .LBB293_24
; %bb.19:                               ;   in Loop: Header=BB293_13 Depth=1
	v_cmp_ne_u16_sdwa s[4:5], v15, s52 src0_sel:BYTE_0 src1_sel:DWORD
	v_bfrev_b32_e32 v33, 1
	s_and_saveexec_b64 s[42:43], s[4:5]
	s_cbranch_execz .LBB293_23
; %bb.20:                               ;   in Loop: Header=BB293_13 Depth=1
	v_and_b32_e32 v16, 0x7f, v15
	v_cmp_ne_u32_e64 s[4:5], s53, v16
	v_mov_b32_e32 v33, 0x7f800001
	s_and_saveexec_b64 s[44:45], s[4:5]
	s_cbranch_execz .LBB293_22
; %bb.21:                               ;   in Loop: Header=BB293_13 Depth=1
	v_and_b32_e32 v33, 7, v15
	v_ffbh_u32_e32 v35, v33
	v_min_u32_e32 v38, 32, v35
	v_subrev_u32_e32 v35, 28, v38
	v_lshlrev_b64 v[35:36], v35, v[15:16]
	v_lshrrev_b32_e32 v37, 3, v16
	v_sub_u32_e32 v36, 29, v38
	v_and_b32_e32 v35, 7, v35
	v_cmp_gt_u32_e64 s[4:5], 8, v16
	v_cndmask_b32_e64 v16, v37, v36, s[4:5]
	v_cndmask_b32_e64 v33, v33, v35, s[4:5]
	v_lshlrev_b32_e32 v35, 24, v15
	v_lshlrev_b32_e32 v33, 20, v33
	v_and_b32_e32 v35, 0x80000000, v35
	v_lshl_add_u32 v16, v16, 23, v30
	v_or3_b32 v33, v35, v16, v33
.LBB293_22:                             ;   in Loop: Header=BB293_13 Depth=1
	s_or_b64 exec, exec, s[44:45]
.LBB293_23:                             ;   in Loop: Header=BB293_13 Depth=1
	s_or_b64 exec, exec, s[42:43]
.LBB293_24:                             ;   in Loop: Header=BB293_13 Depth=1
	s_or_b64 exec, exec, s[40:41]
	v_lshrrev_b16_e32 v16, 8, v15
	v_cmp_ne_u16_e64 s[4:5], 0, v16
	s_and_saveexec_b64 s[40:41], s[4:5]
	s_cbranch_execz .LBB293_30
; %bb.25:                               ;   in Loop: Header=BB293_13 Depth=1
	v_cmp_ne_u16_e64 s[4:5], s52, v16
	v_bfrev_b32_e32 v34, 1
	s_and_saveexec_b64 s[42:43], s[4:5]
	s_cbranch_execz .LBB293_29
; %bb.26:                               ;   in Loop: Header=BB293_13 Depth=1
	v_and_b32_e32 v35, 0x7f, v16
	v_cmp_ne_u32_e64 s[4:5], s53, v35
	v_mov_b32_e32 v34, 0x7f800001
	s_and_saveexec_b64 s[44:45], s[4:5]
	s_cbranch_execz .LBB293_28
; %bb.27:                               ;   in Loop: Header=BB293_13 Depth=1
	v_and_b32_e32 v34, 7, v16
	v_ffbh_u32_e32 v36, v34
	v_min_u32_e32 v39, 32, v36
	v_subrev_u32_e32 v36, 28, v39
	v_lshlrev_b64 v[36:37], v36, v[16:17]
	v_lshrrev_b32_e32 v38, 3, v35
	v_sub_u32_e32 v16, 29, v39
	v_and_b32_e32 v36, 7, v36
	v_cmp_gt_u32_e64 s[4:5], 8, v35
	v_cndmask_b32_e64 v16, v38, v16, s[4:5]
	v_cndmask_b32_e64 v34, v34, v36, s[4:5]
	v_lshlrev_b32_e32 v15, 16, v15
	v_lshlrev_b32_e32 v34, 20, v34
	v_and_b32_e32 v15, 0x80000000, v15
	v_lshl_add_u32 v16, v16, 23, v30
	v_or3_b32 v34, v15, v16, v34
.LBB293_28:                             ;   in Loop: Header=BB293_13 Depth=1
	s_or_b64 exec, exec, s[44:45]
.LBB293_29:                             ;   in Loop: Header=BB293_13 Depth=1
	s_or_b64 exec, exec, s[42:43]
.LBB293_30:                             ;   in Loop: Header=BB293_13 Depth=1
	s_or_b64 exec, exec, s[40:41]
	global_load_ushort v16, v[13:14], off offset:8
	v_mov_b32_e32 v36, 0
	v_mov_b32_e32 v35, 0
	s_waitcnt vmcnt(0)
	v_and_b32_e32 v15, 0xffff, v16
	v_cmp_ne_u16_sdwa s[4:5], v16, v29 src0_sel:BYTE_0 src1_sel:DWORD
	s_and_saveexec_b64 s[40:41], s[4:5]
	s_cbranch_execz .LBB293_36
; %bb.31:                               ;   in Loop: Header=BB293_13 Depth=1
	v_cmp_ne_u16_sdwa s[4:5], v15, s52 src0_sel:BYTE_0 src1_sel:DWORD
	v_bfrev_b32_e32 v35, 1
	s_and_saveexec_b64 s[42:43], s[4:5]
	s_cbranch_execz .LBB293_35
; %bb.32:                               ;   in Loop: Header=BB293_13 Depth=1
	v_and_b32_e32 v16, 0x7f, v15
	v_cmp_ne_u32_e64 s[4:5], s53, v16
	v_mov_b32_e32 v35, 0x7f800001
	s_and_saveexec_b64 s[44:45], s[4:5]
	s_cbranch_execz .LBB293_34
; %bb.33:                               ;   in Loop: Header=BB293_13 Depth=1
	v_and_b32_e32 v35, 7, v15
	v_ffbh_u32_e32 v37, v35
	v_min_u32_e32 v40, 32, v37
	v_subrev_u32_e32 v37, 28, v40
	v_lshlrev_b64 v[37:38], v37, v[15:16]
	v_lshrrev_b32_e32 v39, 3, v16
	v_sub_u32_e32 v38, 29, v40
	v_and_b32_e32 v37, 7, v37
	v_cmp_gt_u32_e64 s[4:5], 8, v16
	v_cndmask_b32_e64 v16, v39, v38, s[4:5]
	v_cndmask_b32_e64 v35, v35, v37, s[4:5]
	v_lshlrev_b32_e32 v37, 24, v15
	v_lshlrev_b32_e32 v35, 20, v35
	v_and_b32_e32 v37, 0x80000000, v37
	v_lshl_add_u32 v16, v16, 23, v30
	v_or3_b32 v35, v37, v16, v35
.LBB293_34:                             ;   in Loop: Header=BB293_13 Depth=1
	s_or_b64 exec, exec, s[44:45]
.LBB293_35:                             ;   in Loop: Header=BB293_13 Depth=1
	s_or_b64 exec, exec, s[42:43]
.LBB293_36:                             ;   in Loop: Header=BB293_13 Depth=1
	s_or_b64 exec, exec, s[40:41]
	v_lshrrev_b16_e32 v16, 8, v15
	v_cmp_ne_u16_e64 s[4:5], 0, v16
	s_and_saveexec_b64 s[40:41], s[4:5]
	s_cbranch_execz .LBB293_42
; %bb.37:                               ;   in Loop: Header=BB293_13 Depth=1
	v_cmp_ne_u16_e64 s[4:5], s52, v16
	v_bfrev_b32_e32 v36, 1
	s_and_saveexec_b64 s[42:43], s[4:5]
	s_cbranch_execz .LBB293_41
; %bb.38:                               ;   in Loop: Header=BB293_13 Depth=1
	v_and_b32_e32 v37, 0x7f, v16
	v_cmp_ne_u32_e64 s[4:5], s53, v37
	v_mov_b32_e32 v36, 0x7f800001
	s_and_saveexec_b64 s[44:45], s[4:5]
	s_cbranch_execz .LBB293_40
; %bb.39:                               ;   in Loop: Header=BB293_13 Depth=1
	v_and_b32_e32 v36, 7, v16
	v_ffbh_u32_e32 v38, v36
	v_min_u32_e32 v41, 32, v38
	v_subrev_u32_e32 v38, 28, v41
	v_lshlrev_b64 v[38:39], v38, v[16:17]
	v_lshrrev_b32_e32 v40, 3, v37
	v_sub_u32_e32 v16, 29, v41
	v_and_b32_e32 v38, 7, v38
	v_cmp_gt_u32_e64 s[4:5], 8, v37
	v_cndmask_b32_e64 v16, v40, v16, s[4:5]
	v_cndmask_b32_e64 v36, v36, v38, s[4:5]
	v_lshlrev_b32_e32 v15, 16, v15
	v_lshlrev_b32_e32 v36, 20, v36
	v_and_b32_e32 v15, 0x80000000, v15
	v_lshl_add_u32 v16, v16, 23, v30
	v_or3_b32 v36, v15, v16, v36
.LBB293_40:                             ;   in Loop: Header=BB293_13 Depth=1
	s_or_b64 exec, exec, s[44:45]
.LBB293_41:                             ;   in Loop: Header=BB293_13 Depth=1
	s_or_b64 exec, exec, s[42:43]
.LBB293_42:                             ;   in Loop: Header=BB293_13 Depth=1
	s_or_b64 exec, exec, s[40:41]
	global_load_ushort v16, v[13:14], off offset:256
	v_mov_b32_e32 v38, 0
	v_mov_b32_e32 v37, 0
	s_waitcnt vmcnt(0)
	v_and_b32_e32 v15, 0xffff, v16
	v_cmp_ne_u16_sdwa s[4:5], v16, v29 src0_sel:BYTE_0 src1_sel:DWORD
	s_and_saveexec_b64 s[40:41], s[4:5]
	s_cbranch_execz .LBB293_48
; %bb.43:                               ;   in Loop: Header=BB293_13 Depth=1
	v_cmp_ne_u16_sdwa s[4:5], v15, s52 src0_sel:BYTE_0 src1_sel:DWORD
	v_bfrev_b32_e32 v37, 1
	s_and_saveexec_b64 s[42:43], s[4:5]
	s_cbranch_execz .LBB293_47
; %bb.44:                               ;   in Loop: Header=BB293_13 Depth=1
	v_and_b32_e32 v16, 0x7f, v15
	v_cmp_ne_u32_e64 s[4:5], s53, v16
	v_mov_b32_e32 v37, 0x7f800001
	s_and_saveexec_b64 s[44:45], s[4:5]
	s_cbranch_execz .LBB293_46
; %bb.45:                               ;   in Loop: Header=BB293_13 Depth=1
	v_and_b32_e32 v37, 7, v15
	v_ffbh_u32_e32 v39, v37
	v_min_u32_e32 v42, 32, v39
	v_subrev_u32_e32 v39, 28, v42
	v_lshlrev_b64 v[39:40], v39, v[15:16]
	v_lshrrev_b32_e32 v41, 3, v16
	v_sub_u32_e32 v40, 29, v42
	v_and_b32_e32 v39, 7, v39
	v_cmp_gt_u32_e64 s[4:5], 8, v16
	v_cndmask_b32_e64 v16, v41, v40, s[4:5]
	v_cndmask_b32_e64 v37, v37, v39, s[4:5]
	v_lshlrev_b32_e32 v39, 24, v15
	v_lshlrev_b32_e32 v37, 20, v37
	v_and_b32_e32 v39, 0x80000000, v39
	v_lshl_add_u32 v16, v16, 23, v30
	v_or3_b32 v37, v39, v16, v37
.LBB293_46:                             ;   in Loop: Header=BB293_13 Depth=1
	s_or_b64 exec, exec, s[44:45]
.LBB293_47:                             ;   in Loop: Header=BB293_13 Depth=1
	s_or_b64 exec, exec, s[42:43]
.LBB293_48:                             ;   in Loop: Header=BB293_13 Depth=1
	s_or_b64 exec, exec, s[40:41]
	v_lshrrev_b16_e32 v16, 8, v15
	v_cmp_ne_u16_e64 s[4:5], 0, v16
	s_and_saveexec_b64 s[40:41], s[4:5]
	s_cbranch_execz .LBB293_54
; %bb.49:                               ;   in Loop: Header=BB293_13 Depth=1
	v_cmp_ne_u16_e64 s[4:5], s52, v16
	v_bfrev_b32_e32 v38, 1
	s_and_saveexec_b64 s[42:43], s[4:5]
	s_cbranch_execz .LBB293_53
; %bb.50:                               ;   in Loop: Header=BB293_13 Depth=1
	v_and_b32_e32 v39, 0x7f, v16
	v_cmp_ne_u32_e64 s[4:5], s53, v39
	v_mov_b32_e32 v38, 0x7f800001
	s_and_saveexec_b64 s[44:45], s[4:5]
	s_cbranch_execz .LBB293_52
; %bb.51:                               ;   in Loop: Header=BB293_13 Depth=1
	v_and_b32_e32 v38, 7, v16
	v_ffbh_u32_e32 v40, v38
	v_min_u32_e32 v43, 32, v40
	v_subrev_u32_e32 v40, 28, v43
	v_lshlrev_b64 v[40:41], v40, v[16:17]
	v_lshrrev_b32_e32 v42, 3, v39
	v_sub_u32_e32 v16, 29, v43
	v_and_b32_e32 v40, 7, v40
	v_cmp_gt_u32_e64 s[4:5], 8, v39
	v_cndmask_b32_e64 v16, v42, v16, s[4:5]
	v_cndmask_b32_e64 v38, v38, v40, s[4:5]
	v_lshlrev_b32_e32 v15, 16, v15
	v_lshlrev_b32_e32 v38, 20, v38
	v_and_b32_e32 v15, 0x80000000, v15
	v_lshl_add_u32 v16, v16, 23, v30
	v_or3_b32 v38, v15, v16, v38
.LBB293_52:                             ;   in Loop: Header=BB293_13 Depth=1
	s_or_b64 exec, exec, s[44:45]
.LBB293_53:                             ;   in Loop: Header=BB293_13 Depth=1
	s_or_b64 exec, exec, s[42:43]
.LBB293_54:                             ;   in Loop: Header=BB293_13 Depth=1
	s_or_b64 exec, exec, s[40:41]
	global_load_ushort v16, v[13:14], off offset:264
	v_mov_b32_e32 v40, 0
	v_mov_b32_e32 v39, 0
	s_waitcnt vmcnt(0)
	v_and_b32_e32 v15, 0xffff, v16
	v_cmp_ne_u16_sdwa s[4:5], v16, v29 src0_sel:BYTE_0 src1_sel:DWORD
	s_and_saveexec_b64 s[40:41], s[4:5]
	s_cbranch_execz .LBB293_60
; %bb.55:                               ;   in Loop: Header=BB293_13 Depth=1
	v_cmp_ne_u16_sdwa s[4:5], v15, s52 src0_sel:BYTE_0 src1_sel:DWORD
	v_bfrev_b32_e32 v39, 1
	s_and_saveexec_b64 s[42:43], s[4:5]
	s_cbranch_execz .LBB293_59
; %bb.56:                               ;   in Loop: Header=BB293_13 Depth=1
	v_and_b32_e32 v16, 0x7f, v15
	v_cmp_ne_u32_e64 s[4:5], s53, v16
	v_mov_b32_e32 v39, 0x7f800001
	s_and_saveexec_b64 s[44:45], s[4:5]
	s_cbranch_execz .LBB293_58
; %bb.57:                               ;   in Loop: Header=BB293_13 Depth=1
	v_and_b32_e32 v39, 7, v15
	v_ffbh_u32_e32 v41, v39
	v_min_u32_e32 v44, 32, v41
	v_subrev_u32_e32 v41, 28, v44
	v_lshlrev_b64 v[41:42], v41, v[15:16]
	v_lshrrev_b32_e32 v43, 3, v16
	v_sub_u32_e32 v42, 29, v44
	v_and_b32_e32 v41, 7, v41
	v_cmp_gt_u32_e64 s[4:5], 8, v16
	v_cndmask_b32_e64 v16, v43, v42, s[4:5]
	v_cndmask_b32_e64 v39, v39, v41, s[4:5]
	v_lshlrev_b32_e32 v41, 24, v15
	v_lshlrev_b32_e32 v39, 20, v39
	v_and_b32_e32 v41, 0x80000000, v41
	v_lshl_add_u32 v16, v16, 23, v30
	v_or3_b32 v39, v41, v16, v39
.LBB293_58:                             ;   in Loop: Header=BB293_13 Depth=1
	s_or_b64 exec, exec, s[44:45]
.LBB293_59:                             ;   in Loop: Header=BB293_13 Depth=1
	s_or_b64 exec, exec, s[42:43]
.LBB293_60:                             ;   in Loop: Header=BB293_13 Depth=1
	s_or_b64 exec, exec, s[40:41]
	v_lshrrev_b16_e32 v16, 8, v15
	v_cmp_ne_u16_e64 s[4:5], 0, v16
	s_and_saveexec_b64 s[40:41], s[4:5]
	s_cbranch_execz .LBB293_66
; %bb.61:                               ;   in Loop: Header=BB293_13 Depth=1
	v_cmp_ne_u16_e64 s[4:5], s52, v16
	v_bfrev_b32_e32 v40, 1
	s_and_saveexec_b64 s[42:43], s[4:5]
	s_cbranch_execz .LBB293_65
; %bb.62:                               ;   in Loop: Header=BB293_13 Depth=1
	v_and_b32_e32 v41, 0x7f, v16
	v_cmp_ne_u32_e64 s[4:5], s53, v41
	v_mov_b32_e32 v40, 0x7f800001
	s_and_saveexec_b64 s[44:45], s[4:5]
	s_cbranch_execz .LBB293_64
; %bb.63:                               ;   in Loop: Header=BB293_13 Depth=1
	v_and_b32_e32 v40, 7, v16
	v_ffbh_u32_e32 v42, v40
	v_min_u32_e32 v45, 32, v42
	v_subrev_u32_e32 v42, 28, v45
	v_lshlrev_b64 v[42:43], v42, v[16:17]
	v_lshrrev_b32_e32 v44, 3, v41
	v_sub_u32_e32 v16, 29, v45
	v_and_b32_e32 v42, 7, v42
	v_cmp_gt_u32_e64 s[4:5], 8, v41
	v_cndmask_b32_e64 v16, v44, v16, s[4:5]
	v_cndmask_b32_e64 v40, v40, v42, s[4:5]
	v_lshlrev_b32_e32 v15, 16, v15
	v_lshlrev_b32_e32 v40, 20, v40
	v_and_b32_e32 v15, 0x80000000, v15
	v_lshl_add_u32 v16, v16, 23, v30
	v_or3_b32 v40, v15, v16, v40
.LBB293_64:                             ;   in Loop: Header=BB293_13 Depth=1
	s_or_b64 exec, exec, s[44:45]
.LBB293_65:                             ;   in Loop: Header=BB293_13 Depth=1
	s_or_b64 exec, exec, s[42:43]
.LBB293_66:                             ;   in Loop: Header=BB293_13 Depth=1
	s_or_b64 exec, exec, s[40:41]
	global_load_ushort v16, v[13:14], off offset:512
	v_mov_b32_e32 v42, 0
	v_mov_b32_e32 v41, 0
	s_waitcnt vmcnt(0)
	v_and_b32_e32 v15, 0xffff, v16
	v_cmp_ne_u16_sdwa s[4:5], v16, v29 src0_sel:BYTE_0 src1_sel:DWORD
	s_and_saveexec_b64 s[40:41], s[4:5]
	s_cbranch_execz .LBB293_72
; %bb.67:                               ;   in Loop: Header=BB293_13 Depth=1
	v_cmp_ne_u16_sdwa s[4:5], v15, s52 src0_sel:BYTE_0 src1_sel:DWORD
	v_bfrev_b32_e32 v41, 1
	s_and_saveexec_b64 s[42:43], s[4:5]
	s_cbranch_execz .LBB293_71
; %bb.68:                               ;   in Loop: Header=BB293_13 Depth=1
	v_and_b32_e32 v16, 0x7f, v15
	v_cmp_ne_u32_e64 s[4:5], s53, v16
	v_mov_b32_e32 v41, 0x7f800001
	s_and_saveexec_b64 s[44:45], s[4:5]
	s_cbranch_execz .LBB293_70
; %bb.69:                               ;   in Loop: Header=BB293_13 Depth=1
	v_and_b32_e32 v41, 7, v15
	v_ffbh_u32_e32 v43, v41
	v_min_u32_e32 v46, 32, v43
	v_subrev_u32_e32 v43, 28, v46
	v_lshlrev_b64 v[43:44], v43, v[15:16]
	v_lshrrev_b32_e32 v45, 3, v16
	v_sub_u32_e32 v44, 29, v46
	v_and_b32_e32 v43, 7, v43
	v_cmp_gt_u32_e64 s[4:5], 8, v16
	v_cndmask_b32_e64 v16, v45, v44, s[4:5]
	v_cndmask_b32_e64 v41, v41, v43, s[4:5]
	v_lshlrev_b32_e32 v43, 24, v15
	v_lshlrev_b32_e32 v41, 20, v41
	v_and_b32_e32 v43, 0x80000000, v43
	v_lshl_add_u32 v16, v16, 23, v30
	v_or3_b32 v41, v43, v16, v41
.LBB293_70:                             ;   in Loop: Header=BB293_13 Depth=1
	s_or_b64 exec, exec, s[44:45]
.LBB293_71:                             ;   in Loop: Header=BB293_13 Depth=1
	s_or_b64 exec, exec, s[42:43]
.LBB293_72:                             ;   in Loop: Header=BB293_13 Depth=1
	s_or_b64 exec, exec, s[40:41]
	v_lshrrev_b16_e32 v16, 8, v15
	v_cmp_ne_u16_e64 s[4:5], 0, v16
	s_and_saveexec_b64 s[40:41], s[4:5]
	s_cbranch_execz .LBB293_78
; %bb.73:                               ;   in Loop: Header=BB293_13 Depth=1
	v_cmp_ne_u16_e64 s[4:5], s52, v16
	v_bfrev_b32_e32 v42, 1
	s_and_saveexec_b64 s[42:43], s[4:5]
	s_cbranch_execz .LBB293_77
; %bb.74:                               ;   in Loop: Header=BB293_13 Depth=1
	v_and_b32_e32 v43, 0x7f, v16
	v_cmp_ne_u32_e64 s[4:5], s53, v43
	v_mov_b32_e32 v42, 0x7f800001
	s_and_saveexec_b64 s[44:45], s[4:5]
	s_cbranch_execz .LBB293_76
; %bb.75:                               ;   in Loop: Header=BB293_13 Depth=1
	v_and_b32_e32 v42, 7, v16
	v_ffbh_u32_e32 v44, v42
	v_min_u32_e32 v47, 32, v44
	v_subrev_u32_e32 v44, 28, v47
	v_lshlrev_b64 v[44:45], v44, v[16:17]
	v_lshrrev_b32_e32 v46, 3, v43
	v_sub_u32_e32 v16, 29, v47
	v_and_b32_e32 v44, 7, v44
	v_cmp_gt_u32_e64 s[4:5], 8, v43
	v_cndmask_b32_e64 v16, v46, v16, s[4:5]
	v_cndmask_b32_e64 v42, v42, v44, s[4:5]
	v_lshlrev_b32_e32 v15, 16, v15
	v_lshlrev_b32_e32 v42, 20, v42
	v_and_b32_e32 v15, 0x80000000, v15
	v_lshl_add_u32 v16, v16, 23, v30
	v_or3_b32 v42, v15, v16, v42
.LBB293_76:                             ;   in Loop: Header=BB293_13 Depth=1
	s_or_b64 exec, exec, s[44:45]
.LBB293_77:                             ;   in Loop: Header=BB293_13 Depth=1
	s_or_b64 exec, exec, s[42:43]
.LBB293_78:                             ;   in Loop: Header=BB293_13 Depth=1
	s_or_b64 exec, exec, s[40:41]
	global_load_ushort v16, v[13:14], off offset:520
	v_mov_b32_e32 v44, 0
	v_mov_b32_e32 v43, 0
	s_waitcnt vmcnt(0)
	v_and_b32_e32 v15, 0xffff, v16
	v_cmp_ne_u16_sdwa s[4:5], v16, v29 src0_sel:BYTE_0 src1_sel:DWORD
	s_and_saveexec_b64 s[40:41], s[4:5]
	s_cbranch_execz .LBB293_84
; %bb.79:                               ;   in Loop: Header=BB293_13 Depth=1
	v_cmp_ne_u16_sdwa s[4:5], v15, s52 src0_sel:BYTE_0 src1_sel:DWORD
	v_bfrev_b32_e32 v43, 1
	s_and_saveexec_b64 s[42:43], s[4:5]
	s_cbranch_execz .LBB293_83
; %bb.80:                               ;   in Loop: Header=BB293_13 Depth=1
	v_and_b32_e32 v16, 0x7f, v15
	v_cmp_ne_u32_e64 s[4:5], s53, v16
	v_mov_b32_e32 v43, 0x7f800001
	s_and_saveexec_b64 s[44:45], s[4:5]
	s_cbranch_execz .LBB293_82
; %bb.81:                               ;   in Loop: Header=BB293_13 Depth=1
	v_and_b32_e32 v43, 7, v15
	v_ffbh_u32_e32 v45, v43
	v_min_u32_e32 v48, 32, v45
	v_subrev_u32_e32 v45, 28, v48
	v_lshlrev_b64 v[45:46], v45, v[15:16]
	v_lshrrev_b32_e32 v47, 3, v16
	v_sub_u32_e32 v46, 29, v48
	v_and_b32_e32 v45, 7, v45
	v_cmp_gt_u32_e64 s[4:5], 8, v16
	v_cndmask_b32_e64 v16, v47, v46, s[4:5]
	v_cndmask_b32_e64 v43, v43, v45, s[4:5]
	v_lshlrev_b32_e32 v45, 24, v15
	v_lshlrev_b32_e32 v43, 20, v43
	v_and_b32_e32 v45, 0x80000000, v45
	v_lshl_add_u32 v16, v16, 23, v30
	v_or3_b32 v43, v45, v16, v43
.LBB293_82:                             ;   in Loop: Header=BB293_13 Depth=1
	s_or_b64 exec, exec, s[44:45]
.LBB293_83:                             ;   in Loop: Header=BB293_13 Depth=1
	s_or_b64 exec, exec, s[42:43]
.LBB293_84:                             ;   in Loop: Header=BB293_13 Depth=1
	s_or_b64 exec, exec, s[40:41]
	v_lshrrev_b16_e32 v16, 8, v15
	v_cmp_ne_u16_e64 s[4:5], 0, v16
	s_and_saveexec_b64 s[40:41], s[4:5]
	s_cbranch_execz .LBB293_90
; %bb.85:                               ;   in Loop: Header=BB293_13 Depth=1
	v_cmp_ne_u16_e64 s[4:5], s52, v16
	v_bfrev_b32_e32 v44, 1
	s_and_saveexec_b64 s[42:43], s[4:5]
	s_cbranch_execz .LBB293_89
; %bb.86:                               ;   in Loop: Header=BB293_13 Depth=1
	v_and_b32_e32 v45, 0x7f, v16
	v_cmp_ne_u32_e64 s[4:5], s53, v45
	v_mov_b32_e32 v44, 0x7f800001
	s_and_saveexec_b64 s[44:45], s[4:5]
	s_cbranch_execz .LBB293_88
; %bb.87:                               ;   in Loop: Header=BB293_13 Depth=1
	v_and_b32_e32 v44, 7, v16
	v_ffbh_u32_e32 v46, v44
	v_min_u32_e32 v49, 32, v46
	v_subrev_u32_e32 v46, 28, v49
	v_lshlrev_b64 v[46:47], v46, v[16:17]
	v_lshrrev_b32_e32 v48, 3, v45
	v_sub_u32_e32 v16, 29, v49
	v_and_b32_e32 v46, 7, v46
	v_cmp_gt_u32_e64 s[4:5], 8, v45
	v_cndmask_b32_e64 v16, v48, v16, s[4:5]
	v_cndmask_b32_e64 v44, v44, v46, s[4:5]
	v_lshlrev_b32_e32 v15, 16, v15
	v_lshlrev_b32_e32 v44, 20, v44
	v_and_b32_e32 v15, 0x80000000, v15
	v_lshl_add_u32 v16, v16, 23, v30
	v_or3_b32 v44, v15, v16, v44
.LBB293_88:                             ;   in Loop: Header=BB293_13 Depth=1
	s_or_b64 exec, exec, s[44:45]
.LBB293_89:                             ;   in Loop: Header=BB293_13 Depth=1
	s_or_b64 exec, exec, s[42:43]
.LBB293_90:                             ;   in Loop: Header=BB293_13 Depth=1
	s_or_b64 exec, exec, s[40:41]
	global_load_ushort v16, v[13:14], off offset:768
	v_mov_b32_e32 v46, 0
	v_mov_b32_e32 v45, 0
	s_waitcnt vmcnt(0)
	v_and_b32_e32 v15, 0xffff, v16
	v_cmp_ne_u16_sdwa s[4:5], v16, v29 src0_sel:BYTE_0 src1_sel:DWORD
	s_and_saveexec_b64 s[40:41], s[4:5]
	s_cbranch_execz .LBB293_96
; %bb.91:                               ;   in Loop: Header=BB293_13 Depth=1
	v_cmp_ne_u16_sdwa s[4:5], v15, s52 src0_sel:BYTE_0 src1_sel:DWORD
	v_bfrev_b32_e32 v45, 1
	s_and_saveexec_b64 s[42:43], s[4:5]
	s_cbranch_execz .LBB293_95
; %bb.92:                               ;   in Loop: Header=BB293_13 Depth=1
	v_and_b32_e32 v16, 0x7f, v15
	v_cmp_ne_u32_e64 s[4:5], s53, v16
	v_mov_b32_e32 v45, 0x7f800001
	s_and_saveexec_b64 s[44:45], s[4:5]
	s_cbranch_execz .LBB293_94
; %bb.93:                               ;   in Loop: Header=BB293_13 Depth=1
	v_and_b32_e32 v45, 7, v15
	v_ffbh_u32_e32 v47, v45
	v_min_u32_e32 v50, 32, v47
	v_subrev_u32_e32 v47, 28, v50
	v_lshlrev_b64 v[47:48], v47, v[15:16]
	v_lshrrev_b32_e32 v49, 3, v16
	v_sub_u32_e32 v48, 29, v50
	v_and_b32_e32 v47, 7, v47
	v_cmp_gt_u32_e64 s[4:5], 8, v16
	v_cndmask_b32_e64 v16, v49, v48, s[4:5]
	v_cndmask_b32_e64 v45, v45, v47, s[4:5]
	v_lshlrev_b32_e32 v47, 24, v15
	v_lshlrev_b32_e32 v45, 20, v45
	v_and_b32_e32 v47, 0x80000000, v47
	v_lshl_add_u32 v16, v16, 23, v30
	v_or3_b32 v45, v47, v16, v45
.LBB293_94:                             ;   in Loop: Header=BB293_13 Depth=1
	s_or_b64 exec, exec, s[44:45]
.LBB293_95:                             ;   in Loop: Header=BB293_13 Depth=1
	s_or_b64 exec, exec, s[42:43]
.LBB293_96:                             ;   in Loop: Header=BB293_13 Depth=1
	s_or_b64 exec, exec, s[40:41]
	v_lshrrev_b16_e32 v16, 8, v15
	v_cmp_ne_u16_e64 s[4:5], 0, v16
	s_and_saveexec_b64 s[40:41], s[4:5]
	s_cbranch_execz .LBB293_102
; %bb.97:                               ;   in Loop: Header=BB293_13 Depth=1
	v_cmp_ne_u16_e64 s[4:5], s52, v16
	v_bfrev_b32_e32 v46, 1
	s_and_saveexec_b64 s[42:43], s[4:5]
	s_cbranch_execz .LBB293_101
; %bb.98:                               ;   in Loop: Header=BB293_13 Depth=1
	v_and_b32_e32 v47, 0x7f, v16
	v_cmp_ne_u32_e64 s[4:5], s53, v47
	v_mov_b32_e32 v46, 0x7f800001
	s_and_saveexec_b64 s[44:45], s[4:5]
	s_cbranch_execz .LBB293_100
; %bb.99:                               ;   in Loop: Header=BB293_13 Depth=1
	v_and_b32_e32 v46, 7, v16
	v_ffbh_u32_e32 v48, v46
	v_min_u32_e32 v51, 32, v48
	v_subrev_u32_e32 v48, 28, v51
	v_lshlrev_b64 v[48:49], v48, v[16:17]
	v_lshrrev_b32_e32 v50, 3, v47
	v_sub_u32_e32 v16, 29, v51
	v_and_b32_e32 v48, 7, v48
	v_cmp_gt_u32_e64 s[4:5], 8, v47
	v_cndmask_b32_e64 v16, v50, v16, s[4:5]
	v_cndmask_b32_e64 v46, v46, v48, s[4:5]
	v_lshlrev_b32_e32 v15, 16, v15
	v_lshlrev_b32_e32 v46, 20, v46
	v_and_b32_e32 v15, 0x80000000, v15
	v_lshl_add_u32 v16, v16, 23, v30
	v_or3_b32 v46, v15, v16, v46
.LBB293_100:                            ;   in Loop: Header=BB293_13 Depth=1
	s_or_b64 exec, exec, s[44:45]
.LBB293_101:                            ;   in Loop: Header=BB293_13 Depth=1
	s_or_b64 exec, exec, s[42:43]
.LBB293_102:                            ;   in Loop: Header=BB293_13 Depth=1
	s_or_b64 exec, exec, s[40:41]
	global_load_ushort v14, v[13:14], off offset:776
	v_mov_b32_e32 v15, 0
	v_mov_b32_e32 v16, 0
	s_waitcnt vmcnt(0)
	v_and_b32_e32 v13, 0xffff, v14
	v_cmp_ne_u16_sdwa s[4:5], v14, v29 src0_sel:BYTE_0 src1_sel:DWORD
	s_and_saveexec_b64 s[40:41], s[4:5]
	s_cbranch_execz .LBB293_108
; %bb.103:                              ;   in Loop: Header=BB293_13 Depth=1
	v_cmp_ne_u16_sdwa s[4:5], v13, s52 src0_sel:BYTE_0 src1_sel:DWORD
	v_bfrev_b32_e32 v16, 1
	s_and_saveexec_b64 s[42:43], s[4:5]
	s_cbranch_execz .LBB293_107
; %bb.104:                              ;   in Loop: Header=BB293_13 Depth=1
	v_and_b32_e32 v14, 0x7f, v13
	v_cmp_ne_u32_e64 s[4:5], s53, v14
	v_mov_b32_e32 v16, 0x7f800001
	s_and_saveexec_b64 s[44:45], s[4:5]
	s_cbranch_execz .LBB293_106
; %bb.105:                              ;   in Loop: Header=BB293_13 Depth=1
	v_and_b32_e32 v16, 7, v13
	v_ffbh_u32_e32 v47, v16
	v_min_u32_e32 v50, 32, v47
	v_subrev_u32_e32 v47, 28, v50
	v_lshlrev_b64 v[47:48], v47, v[13:14]
	v_lshrrev_b32_e32 v49, 3, v14
	v_sub_u32_e32 v48, 29, v50
	v_and_b32_e32 v47, 7, v47
	v_cmp_gt_u32_e64 s[4:5], 8, v14
	v_cndmask_b32_e64 v14, v49, v48, s[4:5]
	v_cndmask_b32_e64 v16, v16, v47, s[4:5]
	v_lshlrev_b32_e32 v47, 24, v13
	v_lshlrev_b32_e32 v16, 20, v16
	v_and_b32_e32 v47, 0x80000000, v47
	v_lshl_add_u32 v14, v14, 23, v30
	v_or3_b32 v16, v47, v14, v16
.LBB293_106:                            ;   in Loop: Header=BB293_13 Depth=1
	s_or_b64 exec, exec, s[44:45]
.LBB293_107:                            ;   in Loop: Header=BB293_13 Depth=1
	s_or_b64 exec, exec, s[42:43]
.LBB293_108:                            ;   in Loop: Header=BB293_13 Depth=1
	s_or_b64 exec, exec, s[40:41]
	v_lshrrev_b16_e32 v14, 8, v13
	v_cmp_ne_u16_e64 s[4:5], 0, v14
	s_and_saveexec_b64 s[40:41], s[4:5]
	s_cbranch_execz .LBB293_114
; %bb.109:                              ;   in Loop: Header=BB293_13 Depth=1
	v_cmp_ne_u16_e64 s[4:5], s52, v14
	v_bfrev_b32_e32 v15, 1
	s_and_saveexec_b64 s[42:43], s[4:5]
	s_cbranch_execz .LBB293_113
; %bb.110:                              ;   in Loop: Header=BB293_13 Depth=1
	v_and_b32_e32 v47, 0x7f, v14
	v_cmp_ne_u32_e64 s[4:5], s53, v47
	v_mov_b32_e32 v15, 0x7f800001
	s_and_saveexec_b64 s[44:45], s[4:5]
	s_cbranch_execz .LBB293_112
; %bb.111:                              ;   in Loop: Header=BB293_13 Depth=1
	v_and_b32_e32 v48, 7, v14
	v_ffbh_u32_e32 v15, v48
	v_min_u32_e32 v50, 32, v15
	v_subrev_u32_e32 v15, 28, v50
	v_lshlrev_b64 v[14:15], v15, v[14:15]
	v_lshrrev_b32_e32 v49, 3, v47
	v_sub_u32_e32 v15, 29, v50
	v_and_b32_e32 v14, 7, v14
	v_cmp_gt_u32_e64 s[4:5], 8, v47
	v_cndmask_b32_e64 v15, v49, v15, s[4:5]
	v_cndmask_b32_e64 v14, v48, v14, s[4:5]
	v_lshlrev_b32_e32 v13, 16, v13
	v_lshlrev_b32_e32 v14, 20, v14
	v_and_b32_e32 v13, 0x80000000, v13
	v_lshl_add_u32 v15, v15, 23, v30
	v_or3_b32 v15, v13, v15, v14
.LBB293_112:                            ;   in Loop: Header=BB293_13 Depth=1
	s_or_b64 exec, exec, s[44:45]
.LBB293_113:                            ;   in Loop: Header=BB293_13 Depth=1
	s_or_b64 exec, exec, s[42:43]
.LBB293_114:                            ;   in Loop: Header=BB293_13 Depth=1
	s_or_b64 exec, exec, s[40:41]
	s_waitcnt lgkmcnt(0)
	v_mul_f32_e32 v13, s55, v16
	v_bfe_u32 v14, v13, 16, 1
	v_add3_u32 v14, v14, v13, s54
	v_or_b32_e32 v16, 0x400000, v13
	v_cmp_u_f32_e64 s[4:5], v13, v13
	v_cndmask_b32_e64 v13, v14, v16, s[4:5]
	v_mul_f32_e32 v14, s55, v46
	v_bfe_u32 v16, v14, 16, 1
	v_add3_u32 v16, v16, v14, s54
	v_or_b32_e32 v46, 0x400000, v14
	v_cmp_u_f32_e64 s[4:5], v14, v14
	v_cndmask_b32_e64 v14, v16, v46, s[4:5]
	v_mul_f32_e32 v16, s55, v45
	v_bfe_u32 v45, v16, 16, 1
	v_add3_u32 v45, v45, v16, s54
	v_or_b32_e32 v46, 0x400000, v16
	v_cmp_u_f32_e64 s[4:5], v16, v16
	v_mul_f32_e32 v44, s55, v44
	v_cndmask_b32_e64 v16, v45, v46, s[4:5]
	v_bfe_u32 v45, v44, 16, 1
	v_add3_u32 v45, v45, v44, s54
	v_or_b32_e32 v46, 0x400000, v44
	v_cmp_u_f32_e64 s[4:5], v44, v44
	v_mul_f32_e32 v43, s55, v43
	v_cndmask_b32_e64 v44, v45, v46, s[4:5]
	;; [unrolled: 6-line block ×12, first 2 shown]
	v_bfe_u32 v45, v33, 16, 1
	v_add3_u32 v45, v45, v33, s54
	v_or_b32_e32 v46, 0x400000, v33
	v_cmp_u_f32_e64 s[4:5], v33, v33
	v_cndmask_b32_e64 v33, v45, v46, s[4:5]
	v_lshlrev_b32_e32 v46, 16, v6
	v_and_b32_e32 v6, 0xffff0000, v6
	v_and_b32_e32 v35, 0xffff0000, v35
	;; [unrolled: 1-line block ×3, first 2 shown]
	v_lshlrev_b32_e32 v45, 16, v5
	v_and_b32_e32 v5, 0xffff0000, v5
	v_and_b32_e32 v33, 0xffff0000, v33
	;; [unrolled: 1-line block ×3, first 2 shown]
	v_mul_f32_e32 v35, v46, v35
	v_mul_f32_e32 v6, v6, v36
	v_lshlrev_b32_e32 v47, 16, v7
	v_and_b32_e32 v53, 64, v31
	v_and_b32_e32 v7, 0xffff0000, v7
	v_fmac_f32_e32 v35, v45, v33
	v_fmac_f32_e32 v6, v5, v34
	v_and_b32_e32 v5, 0xffff0000, v37
	v_and_b32_e32 v33, 0xffff0000, v38
	v_lshlrev_b32_e32 v48, 16, v8
	v_add_u32_e32 v53, 64, v53
	v_xor_b32_e32 v54, 2, v31
	v_mul_f32_e32 v15, s55, v15
	v_and_b32_e32 v8, 0xffff0000, v8
	v_fmac_f32_e32 v35, v47, v5
	v_fmac_f32_e32 v6, v7, v33
	v_and_b32_e32 v5, 0xffff0000, v39
	v_and_b32_e32 v7, 0xffff0000, v40
	v_lshlrev_b32_e32 v49, 16, v1
	v_cmp_lt_i32_e64 s[4:5], v54, v53
	v_bfe_u32 v55, v15, 16, 1
	v_and_b32_e32 v1, 0xffff0000, v1
	v_fmac_f32_e32 v35, v48, v5
	v_fmac_f32_e32 v6, v8, v7
	v_and_b32_e32 v5, 0xffff0000, v41
	v_and_b32_e32 v7, 0xffff0000, v42
	v_lshlrev_b32_e32 v50, 16, v2
	v_cndmask_b32_e64 v54, v31, v54, s[4:5]
	v_add3_u32 v55, v55, v15, s54
	v_or_b32_e32 v56, 0x400000, v15
	v_cmp_u_f32_e64 s[4:5], v15, v15
	v_and_b32_e32 v2, 0xffff0000, v2
	v_fmac_f32_e32 v35, v49, v5
	v_fmac_f32_e32 v6, v1, v7
	v_and_b32_e32 v1, 0xffff0000, v43
	v_and_b32_e32 v5, 0xffff0000, v44
	v_lshlrev_b32_e32 v51, 16, v3
	v_cndmask_b32_e64 v15, v55, v56, s[4:5]
	v_and_b32_e32 v3, 0xffff0000, v3
	v_fmac_f32_e32 v35, v50, v1
	v_fmac_f32_e32 v6, v2, v5
	v_and_b32_e32 v1, 0xffff0000, v16
	v_and_b32_e32 v2, 0xffff0000, v14
	v_lshlrev_b32_e32 v52, 16, v4
	v_and_b32_e32 v4, 0xffff0000, v4
	v_fmac_f32_e32 v35, v51, v1
	v_fmac_f32_e32 v6, v3, v2
	v_and_b32_e32 v1, 0xffff0000, v13
	v_and_b32_e32 v2, 0xffff0000, v15
	v_fmac_f32_e32 v35, v52, v1
	v_fmac_f32_e32 v6, v4, v2
	v_lshlrev_b32_e32 v54, 2, v54
	v_add_f32_e32 v1, v35, v6
	ds_bpermute_b32 v2, v54, v1
	v_xor_b32_e32 v3, 1, v31
	v_cmp_lt_i32_e64 s[4:5], v3, v53
	v_cndmask_b32_e64 v3, v31, v3, s[4:5]
	v_lshlrev_b32_e32 v3, 2, v3
	s_waitcnt lgkmcnt(0)
	v_add_f32_e32 v1, v1, v2
	ds_bpermute_b32 v2, v3, v1
	s_and_saveexec_b64 s[40:41], vcc
	s_cbranch_execz .LBB293_11
; %bb.115:                              ;   in Loop: Header=BB293_13 Depth=1
	v_add_u32_e32 v3, v26, v25
	v_cvt_f32_i32_e32 v3, v3
	s_waitcnt lgkmcnt(0)
	v_add_f32_e32 v1, v1, v2
	v_add_u32_e32 v4, v19, v25
	v_cmp_gt_i32_e64 s[4:5], s11, v4
	v_mul_f32_e32 v2, s48, v3
	v_cndmask_b32_e64 v2, 0, v2, s[2:3]
	v_fmac_f32_e32 v2, s37, v1
	v_cndmask_b32_e64 v1, 0, v2, s[4:5]
	ds_write_b32 v27, v1
	v_max_f32_e32 v1, v24, v24
	v_max_f32_e32 v1, v1, v2
	v_cndmask_b32_e64 v24, v24, v1, s[4:5]
	s_branch .LBB293_11
.LBB293_116:
	s_or_b64 exec, exec, s[38:39]
.LBB293_117:
	s_or_b64 exec, exec, s[18:19]
	v_mbcnt_hi_u32_b32 v1, -1, v18
	v_and_b32_e32 v9, 64, v1
	s_waitcnt lgkmcnt(0)
	v_add_u32_e32 v2, 64, v9
	v_xor_b32_e32 v3, 32, v1
	v_cmp_lt_i32_e32 vcc, v3, v2
	v_cndmask_b32_e32 v3, v1, v3, vcc
	v_lshlrev_b32_e32 v3, 2, v3
	ds_bpermute_b32 v4, v3, v24
	v_xor_b32_e32 v6, 16, v1
	v_max_f32_e32 v5, v24, v24
	v_cmp_lt_i32_e32 vcc, v6, v2
	v_xor_b32_e32 v7, 8, v1
	s_waitcnt lgkmcnt(0)
	v_max_f32_e32 v4, v4, v4
	v_max_f32_e32 v5, v5, v4
	v_cndmask_b32_e32 v4, v1, v6, vcc
	v_lshlrev_b32_e32 v4, 2, v4
	ds_bpermute_b32 v6, v4, v5
	v_cmp_lt_i32_e32 vcc, v7, v2
	v_xor_b32_e32 v8, 4, v1
	v_and_b32_e32 v22, 63, v0
	s_waitcnt lgkmcnt(0)
	v_max_f32_e32 v6, v6, v6
	v_max_f32_e32 v5, v5, v6
	v_cndmask_b32_e32 v6, v1, v7, vcc
	v_lshlrev_b32_e32 v7, 2, v6
	ds_bpermute_b32 v6, v7, v5
	v_cmp_lt_i32_e32 vcc, v8, v2
	s_waitcnt lgkmcnt(0)
	v_max_f32_e32 v6, v6, v6
	v_max_f32_e32 v6, v5, v6
	v_cndmask_b32_e32 v5, v1, v8, vcc
	v_lshlrev_b32_e32 v8, 2, v5
	ds_bpermute_b32 v10, v8, v6
	v_cmp_eq_u32_e32 vcc, 0, v22
	v_lshlrev_b32_e32 v5, 2, v20
	s_and_saveexec_b64 s[2:3], vcc
	s_cbranch_execz .LBB293_119
; %bb.118:
	s_waitcnt lgkmcnt(0)
	v_max_f32_e32 v10, v10, v10
	v_max_f32_e32 v6, v6, v6
	;; [unrolled: 1-line block ×3, first 2 shown]
	ds_write_b32 v5, v6 offset:128
.LBB293_119:
	s_or_b64 exec, exec, s[2:3]
	v_cmp_gt_u32_e64 s[2:3], 2, v22
	s_waitcnt lgkmcnt(0)
	v_mov_b32_e32 v10, 0xff7fffff
	v_lshlrev_b32_e32 v6, 2, v22
	s_barrier
	s_and_saveexec_b64 s[4:5], s[2:3]
; %bb.120:
	ds_read_b32 v10, v6 offset:128
; %bb.121:
	s_or_b64 exec, exec, s[4:5]
	v_xor_b32_e32 v11, 1, v1
	v_cmp_lt_i32_e64 s[4:5], v11, v2
	v_cndmask_b32_e64 v11, v1, v11, s[4:5]
	v_lshlrev_b32_e32 v23, 2, v11
	s_waitcnt lgkmcnt(0)
	ds_bpermute_b32 v11, v23, v10
	v_max_f32_e32 v10, v10, v10
	v_lshlrev_b32_e32 v9, 2, v9
	s_lshl_b32 s4, s47, 4
	s_min_i32 s37, s4, s11
	s_waitcnt lgkmcnt(0)
	v_max_f32_e32 v11, v11, v11
	v_max_f32_e32 v10, v10, v11
	ds_bpermute_b32 v10, v9, v10
	v_cmp_gt_i32_e64 s[4:5], s37, v0
	v_mov_b32_e32 v9, 0
	s_and_saveexec_b64 s[12:13], s[4:5]
	s_cbranch_execz .LBB293_125
; %bb.122:
	v_mov_b32_e32 v9, 0x90
	v_lshl_add_u32 v11, v0, 2, v9
	v_mov_b32_e32 v9, 0
	s_mov_b64 s[18:19], 0
	v_mov_b32_e32 v12, v0
.LBB293_123:                            ; =>This Inner Loop Header: Depth=1
	ds_read_b32 v13, v11
	v_add_u32_e32 v12, 0x80, v12
	v_cmp_le_i32_e64 s[6:7], s37, v12
	s_or_b64 s[18:19], s[6:7], s[18:19]
	s_waitcnt lgkmcnt(0)
	v_sub_f32_e32 v13, v13, v10
	v_mul_f32_e32 v13, 0x3fb8aa3b, v13
	v_exp_f32_e32 v13, v13
	ds_write_b32 v11, v13
	v_add_f32_e32 v9, v9, v13
	v_add_u32_e32 v11, 0x200, v11
	s_andn2_b64 exec, exec, s[18:19]
	s_cbranch_execnz .LBB293_123
; %bb.124:
	s_or_b64 exec, exec, s[18:19]
.LBB293_125:
	s_or_b64 exec, exec, s[12:13]
	ds_bpermute_b32 v3, v3, v9
	s_waitcnt lgkmcnt(0)
	v_add_f32_e32 v3, v9, v3
	ds_bpermute_b32 v4, v4, v3
	s_waitcnt lgkmcnt(0)
	v_add_f32_e32 v3, v3, v4
	ds_bpermute_b32 v4, v7, v3
	v_xor_b32_e32 v7, 2, v1
	v_cmp_lt_i32_e64 s[6:7], v7, v2
	v_cndmask_b32_e64 v2, v1, v7, s[6:7]
	v_lshlrev_b32_e32 v2, 2, v2
	s_waitcnt lgkmcnt(0)
	v_add_f32_e32 v3, v3, v4
	ds_bpermute_b32 v4, v8, v3
	s_waitcnt lgkmcnt(0)
	v_add_f32_e32 v3, v3, v4
	ds_bpermute_b32 v2, v2, v3
	;; [unrolled: 3-line block ×3, first 2 shown]
	s_waitcnt lgkmcnt(0)
	v_add_f32_e32 v2, v2, v3
	s_and_saveexec_b64 s[6:7], vcc
; %bb.126:
	ds_write_b32 v5, v2 offset:136
; %bb.127:
	s_or_b64 exec, exec, s[6:7]
	s_waitcnt lgkmcnt(0)
	s_barrier
	s_and_saveexec_b64 s[6:7], s[2:3]
; %bb.128:
	ds_read_b32 v2, v6 offset:136
; %bb.129:
	s_or_b64 exec, exec, s[6:7]
	s_waitcnt lgkmcnt(0)
	ds_bpermute_b32 v3, v23, v2
	v_lshlrev_b32_e32 v1, 2, v1
	v_and_b32_e32 v1, 0x100, v1
	s_waitcnt lgkmcnt(0)
	v_add_f32_e32 v2, v2, v3
	ds_bpermute_b32 v1, v1, v2
	s_and_saveexec_b64 s[2:3], s[4:5]
	s_cbranch_execz .LBB293_132
; %bb.130:
	s_waitcnt lgkmcnt(0)
	v_add_f32_e32 v2, 0x358637bd, v1
	v_div_scale_f32 v1, s[4:5], v2, v2, 1.0
	v_div_scale_f32 v3, vcc, 1.0, v2, 1.0
	s_mov_b64 s[4:5], 0
	v_rcp_f32_e32 v4, v1
	v_fma_f32 v5, -v1, v4, 1.0
	v_fmac_f32_e32 v4, v5, v4
	v_mul_f32_e32 v5, v3, v4
	v_fma_f32 v6, -v1, v5, v3
	v_fmac_f32_e32 v5, v6, v4
	v_fma_f32 v1, -v1, v5, v3
	v_div_fmas_f32 v3, v1, v4, v5
	v_mov_b32_e32 v1, 0x90
	v_lshl_add_u32 v1, v0, 2, v1
	v_div_fixup_f32 v2, v3, v2, 1.0
	v_mov_b32_e32 v3, v0
.LBB293_131:                            ; =>This Inner Loop Header: Depth=1
	ds_read_b32 v4, v1
	v_add_u32_e32 v3, 0x80, v3
	v_cmp_le_i32_e32 vcc, s37, v3
	s_or_b64 s[4:5], vcc, s[4:5]
	s_waitcnt lgkmcnt(0)
	v_mul_f32_e32 v4, v2, v4
	ds_write_b32 v1, v4
	v_add_u32_e32 v1, 0x200, v1
	s_andn2_b64 exec, exec, s[4:5]
	s_cbranch_execnz .LBB293_131
.LBB293_132:
	s_or_b64 exec, exec, s[2:3]
	v_mov_b32_e32 v26, 0
	v_and_b32_e32 v24, 1, v0
	v_mov_b32_e32 v28, 0
	s_waitcnt lgkmcnt(0)
	s_barrier
	s_and_saveexec_b64 s[2:3], s[0:1]
	s_cbranch_execz .LBB293_238
; %bb.133:
	s_sub_i32 s37, s16, s21
	s_ashr_i32 s0, s20, 31
	s_add_u32 s1, s34, s20
	s_addc_u32 s0, s35, s0
	s_abs_i32 s22, s22
	v_cvt_f32_u32_e32 v1, s22
	s_sub_i32 s6, 0, s22
	v_lshlrev_b32_e32 v2, 3, v0
	v_and_b32_e32 v25, 8, v2
	v_rcp_iflag_f32_e32 v1, v1
	v_and_b32_e32 v2, 0x1f8, v2
	s_add_i32 s35, s47, -1
	v_mov_b32_e32 v4, s0
	v_mul_f32_e32 v1, 0x4f7ffffe, v1
	v_cvt_u32_f32_e32 v1, v1
	v_add_co_u32_e32 v11, vcc, s1, v2
	s_lshl_b64 s[0:1], s[30:31], 2
	v_mul_lo_u32 v3, s6, v1
	v_addc_co_u32_e32 v12, vcc, 0, v4, vcc
	s_add_u32 s0, s28, s0
	v_mul_hi_u32 v3, v1, v3
	s_addc_u32 s1, s29, s1
	s_mov_b32 s4, -1
	v_mov_b32_e32 v2, s1
	v_add_u32_e32 v27, v1, v3
	v_and_b32_e32 v1, 60, v17
	v_add_co_u32_e32 v13, vcc, s0, v1
	v_lshlrev_b32_e32 v1, 5, v24
	v_lshl_or_b32 v1, v20, 6, v1
	s_mov_b32 s34, s17
	s_mov_b32 s5, 0xffffff
	v_mov_b32_e32 v10, 0
	v_addc_co_u32_e32 v14, vcc, 0, v2, vcc
	v_add_u32_e32 v29, 0x90, v1
	s_mov_b64 s[6:7], 0
	s_movk_i32 s28, 0x80
	s_movk_i32 s29, 0x7f
	;; [unrolled: 1-line block ×3, first 2 shown]
	v_bfrev_b32_e32 v30, 60
	v_mov_b32_e32 v28, 0
	v_mov_b32_e32 v26, 0
	s_branch .LBB293_136
.LBB293_134:                            ;   in Loop: Header=BB293_136 Depth=1
	s_or_b64 exec, exec, s[0:1]
	v_bfe_u32 v37, v5, 16, 1
	v_add3_u32 v37, v37, v5, s30
	v_or_b32_e32 v38, 0x400000, v5
	v_cmp_u_f32_e32 vcc, v5, v5
	v_cndmask_b32_e32 v5, v37, v38, vcc
	v_bfe_u32 v37, v6, 16, 1
	v_add3_u32 v37, v37, v6, s30
	v_or_b32_e32 v38, 0x400000, v6
	v_cmp_u_f32_e32 vcc, v6, v6
	v_cndmask_b32_e32 v6, v37, v38, vcc
	;; [unrolled: 5-line block ×7, first 2 shown]
	v_bfe_u32 v37, v4, 16, 1
	v_and_b32_e32 v5, 0xffff0000, v5
	v_lshlrev_b32_e32 v36, 16, v36
	v_add3_u32 v37, v37, v4, s30
	v_or_b32_e32 v38, 0x400000, v4
	v_cmp_u_f32_e32 vcc, v4, v4
	v_mul_f32_e32 v36, v5, v36
	v_cndmask_b32_e32 v4, v37, v38, vcc
	v_bfe_u32 v37, v36, 16, 1
	v_and_b32_e32 v6, 0xffff0000, v6
	v_lshlrev_b32_e32 v35, 16, v35
	v_add3_u32 v37, v37, v36, s30
	v_or_b32_e32 v38, 0x400000, v36
	v_cmp_u_f32_e32 vcc, v36, v36
	v_mul_f32_e32 v35, v6, v35
	v_cndmask_b32_e32 v36, v37, v38, vcc
	;; [unrolled: 8-line block ×8, first 2 shown]
	v_bfe_u32 v37, v32, 16, 1
	v_and_b32_e32 v35, 0xffff0000, v35
	v_and_b32_e32 v36, 0xffff0000, v36
	;; [unrolled: 1-line block ×4, first 2 shown]
	v_add3_u32 v37, v37, v32, s30
	v_or_b32_e32 v38, 0x400000, v32
	v_cmp_u_f32_e32 vcc, v32, v32
	v_add_f32_e32 v35, v36, v35
	v_add_f32_e32 v31, v34, v31
	v_and_b32_e32 v18, 0xffff0000, v18
	v_and_b32_e32 v19, 0xffff0000, v19
	v_cndmask_b32_e32 v32, v37, v38, vcc
	v_add_f32_e32 v31, v31, v35
	v_add_f32_e32 v18, v19, v18
	;; [unrolled: 1-line block ×3, first 2 shown]
	v_and_b32_e32 v19, 0xffff0000, v32
	v_and_b32_e32 v31, 0xffff0000, v33
	v_add_f32_e32 v19, v31, v19
	v_add_f32_e32 v18, v19, v18
	;; [unrolled: 1-line block ×3, first 2 shown]
	v_lshlrev_b32_e32 v18, 16, v48
	v_mul_f32_e32 v5, v5, v18
	v_bfe_u32 v18, v5, 16, 1
	v_add3_u32 v18, v18, v5, s30
	v_or_b32_e32 v19, 0x400000, v5
	v_cmp_u_f32_e32 vcc, v5, v5
	v_cndmask_b32_e32 v5, v18, v19, vcc
	v_lshlrev_b32_e32 v18, 16, v46
	v_mul_f32_e32 v6, v6, v18
	v_bfe_u32 v18, v6, 16, 1
	v_add3_u32 v18, v18, v6, s30
	v_or_b32_e32 v19, 0x400000, v6
	v_cmp_u_f32_e32 vcc, v6, v6
	v_cndmask_b32_e32 v6, v18, v19, vcc
	v_lshlrev_b32_e32 v18, 16, v47
	v_mul_f32_e32 v7, v7, v18
	v_lshlrev_b32_e32 v16, 16, v16
	v_bfe_u32 v18, v7, 16, 1
	v_mul_f32_e32 v8, v8, v16
	v_lshlrev_b32_e32 v15, 16, v15
	v_add3_u32 v18, v18, v7, s30
	v_or_b32_e32 v19, 0x400000, v7
	v_cmp_u_f32_e32 vcc, v7, v7
	v_bfe_u32 v16, v8, 16, 1
	v_mul_f32_e32 v1, v1, v15
	v_lshlrev_b32_e32 v9, 16, v9
	v_cndmask_b32_e32 v7, v18, v19, vcc
	v_add3_u32 v16, v16, v8, s30
	v_or_b32_e32 v18, 0x400000, v8
	v_cmp_u_f32_e32 vcc, v8, v8
	v_bfe_u32 v15, v1, 16, 1
	v_mul_f32_e32 v2, v2, v9
	v_cndmask_b32_e32 v8, v16, v18, vcc
	v_add3_u32 v15, v15, v1, s30
	v_or_b32_e32 v16, 0x400000, v1
	v_cmp_u_f32_e32 vcc, v1, v1
	v_bfe_u32 v9, v2, 16, 1
	v_cndmask_b32_e32 v1, v15, v16, vcc
	v_add3_u32 v9, v9, v2, s30
	v_or_b32_e32 v15, 0x400000, v2
	v_cmp_u_f32_e32 vcc, v2, v2
	v_cndmask_b32_e32 v2, v9, v15, vcc
	v_lshlrev_b32_e32 v9, 16, v17
	v_mul_f32_e32 v3, v3, v9
	v_bfe_u32 v9, v3, 16, 1
	v_add3_u32 v9, v9, v3, s30
	v_or_b32_e32 v15, 0x400000, v3
	v_cmp_u_f32_e32 vcc, v3, v3
	v_cndmask_b32_e32 v3, v9, v15, vcc
	v_lshlrev_b32_e32 v9, 16, v45
	v_mul_f32_e32 v4, v4, v9
	v_bfe_u32 v9, v4, 16, 1
	v_and_b32_e32 v6, 0xffff0000, v6
	v_and_b32_e32 v5, 0xffff0000, v5
	v_add3_u32 v9, v9, v4, s30
	v_or_b32_e32 v15, 0x400000, v4
	v_cmp_u_f32_e32 vcc, v4, v4
	v_add_f32_e32 v5, v5, v6
	v_and_b32_e32 v6, 0xffff0000, v8
	v_and_b32_e32 v7, 0xffff0000, v7
	v_cndmask_b32_e32 v4, v9, v15, vcc
	v_add_f32_e32 v6, v7, v6
	v_and_b32_e32 v2, 0xffff0000, v2
	v_and_b32_e32 v1, 0xffff0000, v1
	v_add_f32_e32 v5, v6, v5
	v_add_f32_e32 v1, v1, v2
	v_and_b32_e32 v2, 0xffff0000, v4
	v_and_b32_e32 v3, 0xffff0000, v3
	v_add_f32_e32 v1, v1, v5
	v_add_f32_e32 v2, v3, v2
	;; [unrolled: 1-line block ×4, first 2 shown]
.LBB293_135:                            ;   in Loop: Header=BB293_136 Depth=1
	s_or_b64 exec, exec, s[12:13]
	v_add_co_u32_e32 v13, vcc, 8, v13
	v_add_u32_e32 v20, 2, v20
	v_addc_co_u32_e32 v14, vcc, 0, v14, vcc
	v_cmp_le_i32_e32 vcc, s47, v20
	v_add_u32_e32 v21, 32, v21
	s_or_b64 s[6:7], vcc, s[6:7]
	v_add_u32_e32 v29, 0x80, v29
	s_andn2_b64 exec, exec, s[6:7]
	s_cbranch_execz .LBB293_237
.LBB293_136:                            ; =>This Inner Loop Header: Depth=1
	v_mul_hi_u32 v1, v21, s33
	v_mul_lo_u32 v2, v1, s25
	v_add_u32_e32 v3, 1, v1
	v_sub_u32_e32 v2, v21, v2
	v_cmp_le_u32_e32 vcc, s25, v2
	v_cndmask_b32_e32 v1, v1, v3, vcc
	v_subrev_u32_e32 v3, s25, v2
	v_cndmask_b32_e32 v2, v2, v3, vcc
	v_add_u32_e32 v3, 1, v1
	v_cmp_le_u32_e32 vcc, s25, v2
	v_cndmask_b32_e32 v1, v1, v3, vcc
	v_xor_b32_e32 v1, s46, v1
	v_subrev_u32_e32 v1, s46, v1
	v_add_u32_e32 v2, s36, v1
	v_sub_u32_e32 v3, 0, v2
	v_max_i32_e32 v3, v2, v3
	v_mul_hi_u32 v4, v3, v27
	v_ashrrev_i32_e32 v2, 31, v2
	v_cmp_lt_i32_e64 s[0:1], s37, v1
	v_mul_lo_u32 v4, v4, s22
	v_sub_u32_e32 v3, v3, v4
	v_subrev_u32_e32 v4, s22, v3
	v_cmp_le_u32_e32 vcc, s22, v3
	v_cndmask_b32_e32 v3, v3, v4, vcc
	v_subrev_u32_e32 v4, s22, v3
	v_cmp_le_u32_e32 vcc, s22, v3
	v_cndmask_b32_e32 v3, v3, v4, vcc
	v_xor_b32_e32 v3, v3, v2
	v_sub_u32_e32 v2, v3, v2
	v_cmp_eq_u32_e32 vcc, 0, v2
	s_or_b64 s[0:1], vcc, s[0:1]
	s_and_saveexec_b64 s[12:13], s[0:1]
	s_cbranch_execz .LBB293_135
; %bb.137:                              ;   in Loop: Header=BB293_136 Depth=1
	global_load_dword v1, v[13:14], off
	v_mov_b32_e32 v33, 0
	v_mov_b32_e32 v32, 0
	s_waitcnt vmcnt(0)
	v_mad_i64_i32 v[15:16], s[0:1], v1, s34, v[11:12]
	global_load_dwordx2 v[17:18], v[15:16], off
	ds_read2_b64 v[5:8], v29 offset1:1
	ds_read2_b64 v[1:4], v29 offset0:2 offset1:3
	s_load_dword s31, s[14:15], 0x0
	s_waitcnt vmcnt(0)
	v_cmp_ne_u16_sdwa s[16:17], v17, v10 src0_sel:BYTE_0 src1_sel:DWORD
	s_and_saveexec_b64 s[0:1], s[16:17]
	s_cbranch_execz .LBB293_143
; %bb.138:                              ;   in Loop: Header=BB293_136 Depth=1
	v_cmp_ne_u16_sdwa s[18:19], v17, s28 src0_sel:BYTE_0 src1_sel:DWORD
	v_bfrev_b32_e32 v32, 1
	s_and_saveexec_b64 s[16:17], s[18:19]
	s_cbranch_execz .LBB293_142
; %bb.139:                              ;   in Loop: Header=BB293_136 Depth=1
	v_and_b32_e32 v9, 0x7f, v17
	v_cmp_ne_u32_e32 vcc, s29, v9
	v_mov_b32_e32 v32, 0x7f800001
	s_and_saveexec_b64 s[18:19], vcc
	s_cbranch_execz .LBB293_141
; %bb.140:                              ;   in Loop: Header=BB293_136 Depth=1
	v_and_b32_e32 v19, 7, v17
	v_ffbh_u32_e32 v19, v19
	v_min_u32_e32 v19, 32, v19
	v_lshrrev_b32_e32 v31, 3, v9
	v_subrev_u32_e32 v32, 28, v19
	v_sub_u32_e32 v19, 29, v19
	v_cmp_gt_u32_e32 vcc, 8, v9
	v_cndmask_b32_e32 v9, v31, v19, vcc
	v_cndmask_b32_e32 v19, 0, v32, vcc
	v_lshlrev_b64 v[31:32], v19, v[17:18]
	v_lshl_add_u32 v9, v9, 23, v30
	v_lshlrev_b32_e32 v19, 20, v31
	v_lshlrev_b32_e32 v31, 24, v17
	v_and_b32_e32 v19, 0x700000, v19
	v_and_b32_e32 v31, 0x80000000, v31
	v_or3_b32 v32, v31, v9, v19
.LBB293_141:                            ;   in Loop: Header=BB293_136 Depth=1
	s_or_b64 exec, exec, s[18:19]
.LBB293_142:                            ;   in Loop: Header=BB293_136 Depth=1
	s_or_b64 exec, exec, s[16:17]
.LBB293_143:                            ;   in Loop: Header=BB293_136 Depth=1
	s_or_b64 exec, exec, s[0:1]
	v_lshrrev_b16_e32 v9, 8, v17
	v_cmp_ne_u16_e32 vcc, 0, v9
	s_and_saveexec_b64 s[0:1], vcc
	s_cbranch_execz .LBB293_149
; %bb.144:                              ;   in Loop: Header=BB293_136 Depth=1
	v_cmp_ne_u16_e32 vcc, s28, v9
	v_bfrev_b32_e32 v33, 1
	s_and_saveexec_b64 s[16:17], vcc
	s_cbranch_execz .LBB293_148
; %bb.145:                              ;   in Loop: Header=BB293_136 Depth=1
	v_and_b32_e32 v19, 0x7f, v9
	v_cmp_ne_u32_e32 vcc, s29, v19
	v_mov_b32_e32 v33, 0x7f800001
	s_and_saveexec_b64 s[18:19], vcc
	s_cbranch_execz .LBB293_147
; %bb.146:                              ;   in Loop: Header=BB293_136 Depth=1
	v_and_b32_e32 v31, 7, v9
	v_ffbh_u32_e32 v33, v31
	v_min_u32_e32 v36, 32, v33
	v_subrev_u32_e32 v33, 28, v36
	v_lshlrev_b64 v[33:34], v33, v[9:10]
	v_lshrrev_b32_e32 v35, 3, v19
	v_sub_u32_e32 v9, 29, v36
	v_and_b32_e32 v33, 7, v33
	v_cmp_gt_u32_e32 vcc, 8, v19
	v_cndmask_b32_e32 v9, v35, v9, vcc
	v_cndmask_b32_e32 v19, v31, v33, vcc
	v_lshlrev_b32_e32 v31, 16, v17
	v_lshlrev_b32_e32 v19, 20, v19
	v_and_b32_e32 v31, 0x80000000, v31
	v_lshl_add_u32 v9, v9, 23, v30
	v_or3_b32 v33, v31, v9, v19
.LBB293_147:                            ;   in Loop: Header=BB293_136 Depth=1
	s_or_b64 exec, exec, s[18:19]
.LBB293_148:                            ;   in Loop: Header=BB293_136 Depth=1
	s_or_b64 exec, exec, s[16:17]
.LBB293_149:                            ;   in Loop: Header=BB293_136 Depth=1
	s_or_b64 exec, exec, s[0:1]
	v_lshrrev_b32_e32 v9, 16, v17
	v_cmp_ne_u16_sdwa s[16:17], v9, v10 src0_sel:BYTE_0 src1_sel:DWORD
	v_mov_b32_e32 v31, 0
	v_mov_b32_e32 v34, 0
	s_and_saveexec_b64 s[0:1], s[16:17]
	s_cbranch_execz .LBB293_155
; %bb.150:                              ;   in Loop: Header=BB293_136 Depth=1
	v_cmp_ne_u16_sdwa s[18:19], v9, s28 src0_sel:BYTE_0 src1_sel:DWORD
	v_bfrev_b32_e32 v34, 1
	s_and_saveexec_b64 s[16:17], s[18:19]
	s_cbranch_execz .LBB293_154
; %bb.151:                              ;   in Loop: Header=BB293_136 Depth=1
	v_bfe_u32 v19, v17, 16, 7
	v_cmp_ne_u32_e32 vcc, s29, v19
	v_mov_b32_e32 v34, 0x7f800001
	s_and_saveexec_b64 s[18:19], vcc
	s_cbranch_execz .LBB293_153
; %bb.152:                              ;   in Loop: Header=BB293_136 Depth=1
	v_and_b32_e32 v36, 7, v9
	v_ffbh_u32_e32 v34, v36
	v_min_u32_e32 v38, 32, v34
	v_subrev_u32_e32 v34, 28, v38
	v_lshlrev_b64 v[34:35], v34, v[9:10]
	v_lshrrev_b32_e32 v37, 3, v19
	v_sub_u32_e32 v35, 29, v38
	v_and_b32_e32 v34, 7, v34
	v_cmp_gt_u32_e32 vcc, 8, v19
	v_cndmask_b32_e32 v19, v37, v35, vcc
	v_cndmask_b32_e32 v34, v36, v34, vcc
	v_lshlrev_b32_e32 v9, 24, v9
	v_lshlrev_b32_e32 v34, 20, v34
	v_and_b32_e32 v9, 0x80000000, v9
	v_lshl_add_u32 v19, v19, 23, v30
	v_or3_b32 v34, v9, v19, v34
.LBB293_153:                            ;   in Loop: Header=BB293_136 Depth=1
	s_or_b64 exec, exec, s[18:19]
.LBB293_154:                            ;   in Loop: Header=BB293_136 Depth=1
	s_or_b64 exec, exec, s[16:17]
.LBB293_155:                            ;   in Loop: Header=BB293_136 Depth=1
	s_or_b64 exec, exec, s[0:1]
	v_cmp_lt_u32_e32 vcc, s5, v17
	s_and_saveexec_b64 s[0:1], vcc
	s_cbranch_execz .LBB293_161
; %bb.156:                              ;   in Loop: Header=BB293_136 Depth=1
	v_lshrrev_b32_e32 v9, 24, v17
	v_cmp_ne_u32_e32 vcc, s28, v9
	v_bfrev_b32_e32 v31, 1
	s_and_saveexec_b64 s[16:17], vcc
	s_cbranch_execz .LBB293_160
; %bb.157:                              ;   in Loop: Header=BB293_136 Depth=1
	v_bfe_u32 v19, v17, 24, 7
	v_cmp_ne_u32_e32 vcc, s29, v19
	v_mov_b32_e32 v31, 0x7f800001
	s_and_saveexec_b64 s[18:19], vcc
	s_cbranch_execz .LBB293_159
; %bb.158:                              ;   in Loop: Header=BB293_136 Depth=1
	v_and_b32_e32 v31, 7, v9
	v_ffbh_u32_e32 v35, v31
	v_min_u32_e32 v38, 32, v35
	v_subrev_u32_e32 v35, 28, v38
	v_lshlrev_b64 v[35:36], v35, v[9:10]
	v_lshrrev_b32_e32 v37, 3, v19
	v_sub_u32_e32 v36, 29, v38
	v_and_b32_e32 v35, 7, v35
	v_cmp_gt_u32_e32 vcc, 8, v19
	v_cndmask_b32_e32 v19, v37, v36, vcc
	v_cndmask_b32_e32 v31, v31, v35, vcc
	v_lshlrev_b32_e32 v9, 24, v9
	v_lshlrev_b32_e32 v31, 20, v31
	v_and_b32_e32 v9, 0x80000000, v9
	v_lshl_add_u32 v19, v19, 23, v30
	v_or3_b32 v31, v9, v19, v31
.LBB293_159:                            ;   in Loop: Header=BB293_136 Depth=1
	s_or_b64 exec, exec, s[18:19]
.LBB293_160:                            ;   in Loop: Header=BB293_136 Depth=1
	s_or_b64 exec, exec, s[16:17]
.LBB293_161:                            ;   in Loop: Header=BB293_136 Depth=1
	s_or_b64 exec, exec, s[0:1]
	v_mov_b32_e32 v9, v18
	v_cmp_ne_u16_sdwa s[16:17], v18, v10 src0_sel:BYTE_0 src1_sel:DWORD
	v_mov_b32_e32 v36, 0
	v_mov_b32_e32 v35, 0
	s_and_saveexec_b64 s[0:1], s[16:17]
	s_cbranch_execz .LBB293_167
; %bb.162:                              ;   in Loop: Header=BB293_136 Depth=1
	v_cmp_ne_u16_sdwa s[18:19], v18, s28 src0_sel:BYTE_0 src1_sel:DWORD
	v_bfrev_b32_e32 v35, 1
	s_and_saveexec_b64 s[16:17], s[18:19]
	s_cbranch_execz .LBB293_166
; %bb.163:                              ;   in Loop: Header=BB293_136 Depth=1
	v_and_b32_e32 v19, 0x7f, v18
	v_cmp_ne_u32_e32 vcc, s29, v19
	v_mov_b32_e32 v35, 0x7f800001
	s_and_saveexec_b64 s[18:19], vcc
	s_cbranch_execz .LBB293_165
; %bb.164:                              ;   in Loop: Header=BB293_136 Depth=1
	v_and_b32_e32 v35, 7, v18
	v_ffbh_u32_e32 v35, v35
	v_min_u32_e32 v35, 32, v35
	v_lshrrev_b32_e32 v37, 3, v19
	v_subrev_u32_e32 v38, 28, v35
	v_sub_u32_e32 v35, 29, v35
	v_cmp_gt_u32_e32 vcc, 8, v19
	v_cndmask_b32_e32 v19, v37, v35, vcc
	v_cndmask_b32_e32 v35, 0, v38, vcc
	v_lshlrev_b64 v[37:38], v35, v[9:10]
	v_lshl_add_u32 v19, v19, 23, v30
	v_lshlrev_b32_e32 v35, 20, v37
	v_lshlrev_b32_e32 v37, 24, v9
	v_and_b32_e32 v35, 0x700000, v35
	v_and_b32_e32 v37, 0x80000000, v37
	v_or3_b32 v35, v37, v19, v35
.LBB293_165:                            ;   in Loop: Header=BB293_136 Depth=1
	s_or_b64 exec, exec, s[18:19]
.LBB293_166:                            ;   in Loop: Header=BB293_136 Depth=1
	s_or_b64 exec, exec, s[16:17]
.LBB293_167:                            ;   in Loop: Header=BB293_136 Depth=1
	s_or_b64 exec, exec, s[0:1]
	v_lshrrev_b16_e32 v19, 8, v9
	v_cmp_ne_u16_e32 vcc, 0, v19
	s_and_saveexec_b64 s[0:1], vcc
	s_cbranch_execz .LBB293_173
; %bb.168:                              ;   in Loop: Header=BB293_136 Depth=1
	v_cmp_ne_u16_e32 vcc, s28, v19
	v_bfrev_b32_e32 v36, 1
	s_and_saveexec_b64 s[16:17], vcc
	s_cbranch_execz .LBB293_172
; %bb.169:                              ;   in Loop: Header=BB293_136 Depth=1
	v_and_b32_e32 v37, 0x7f, v19
	v_cmp_ne_u32_e32 vcc, s29, v37
	v_mov_b32_e32 v36, 0x7f800001
	s_and_saveexec_b64 s[18:19], vcc
	s_cbranch_execz .LBB293_171
; %bb.170:                              ;   in Loop: Header=BB293_136 Depth=1
	v_and_b32_e32 v36, 7, v19
	v_ffbh_u32_e32 v38, v36
	v_min_u32_e32 v41, 32, v38
	v_subrev_u32_e32 v38, 28, v41
	v_lshlrev_b64 v[38:39], v38, v[19:20]
	v_lshrrev_b32_e32 v40, 3, v37
	v_sub_u32_e32 v19, 29, v41
	v_and_b32_e32 v38, 7, v38
	v_cmp_gt_u32_e32 vcc, 8, v37
	v_cndmask_b32_e32 v19, v40, v19, vcc
	v_cndmask_b32_e32 v36, v36, v38, vcc
	v_lshlrev_b32_e32 v9, 16, v9
	v_lshlrev_b32_e32 v36, 20, v36
	v_and_b32_e32 v9, 0x80000000, v9
	v_lshl_add_u32 v19, v19, 23, v30
	v_or3_b32 v36, v9, v19, v36
.LBB293_171:                            ;   in Loop: Header=BB293_136 Depth=1
	s_or_b64 exec, exec, s[18:19]
.LBB293_172:                            ;   in Loop: Header=BB293_136 Depth=1
	s_or_b64 exec, exec, s[16:17]
.LBB293_173:                            ;   in Loop: Header=BB293_136 Depth=1
	s_or_b64 exec, exec, s[0:1]
	v_lshrrev_b32_e32 v9, 16, v18
	v_cmp_ne_u16_sdwa s[16:17], v9, v10 src0_sel:BYTE_0 src1_sel:DWORD
	v_mov_b32_e32 v38, 0
	v_mov_b32_e32 v39, 0
	s_and_saveexec_b64 s[0:1], s[16:17]
	s_cbranch_execz .LBB293_179
; %bb.174:                              ;   in Loop: Header=BB293_136 Depth=1
	v_cmp_ne_u16_sdwa s[18:19], v9, s28 src0_sel:BYTE_0 src1_sel:DWORD
	v_bfrev_b32_e32 v39, 1
	s_and_saveexec_b64 s[16:17], s[18:19]
	s_cbranch_execz .LBB293_178
; %bb.175:                              ;   in Loop: Header=BB293_136 Depth=1
	v_bfe_u32 v19, v18, 16, 7
	v_cmp_ne_u32_e32 vcc, s29, v19
	v_mov_b32_e32 v39, 0x7f800001
	s_and_saveexec_b64 s[18:19], vcc
	s_cbranch_execz .LBB293_177
; %bb.176:                              ;   in Loop: Header=BB293_136 Depth=1
	v_and_b32_e32 v37, 7, v9
	v_ffbh_u32_e32 v39, v37
	v_min_u32_e32 v42, 32, v39
	v_subrev_u32_e32 v39, 28, v42
	v_lshlrev_b64 v[39:40], v39, v[9:10]
	v_lshrrev_b32_e32 v41, 3, v19
	v_sub_u32_e32 v40, 29, v42
	v_and_b32_e32 v39, 7, v39
	v_cmp_gt_u32_e32 vcc, 8, v19
	v_cndmask_b32_e32 v19, v41, v40, vcc
	v_cndmask_b32_e32 v37, v37, v39, vcc
	v_lshlrev_b32_e32 v9, 24, v9
	v_lshlrev_b32_e32 v37, 20, v37
	v_and_b32_e32 v9, 0x80000000, v9
	v_lshl_add_u32 v19, v19, 23, v30
	v_or3_b32 v39, v9, v19, v37
.LBB293_177:                            ;   in Loop: Header=BB293_136 Depth=1
	s_or_b64 exec, exec, s[18:19]
.LBB293_178:                            ;   in Loop: Header=BB293_136 Depth=1
	s_or_b64 exec, exec, s[16:17]
.LBB293_179:                            ;   in Loop: Header=BB293_136 Depth=1
	s_or_b64 exec, exec, s[0:1]
	v_cmp_lt_u64_e32 vcc, s[4:5], v[17:18]
	s_and_saveexec_b64 s[0:1], vcc
	s_cbranch_execz .LBB293_185
; %bb.180:                              ;   in Loop: Header=BB293_136 Depth=1
	v_lshrrev_b32_e32 v9, 24, v18
	v_cmp_ne_u32_e32 vcc, s28, v9
	v_bfrev_b32_e32 v38, 1
	s_and_saveexec_b64 s[16:17], vcc
	s_cbranch_execz .LBB293_184
; %bb.181:                              ;   in Loop: Header=BB293_136 Depth=1
	v_bfe_u32 v17, v18, 24, 7
	v_cmp_ne_u32_e32 vcc, s29, v17
	v_mov_b32_e32 v38, 0x7f800001
	s_and_saveexec_b64 s[18:19], vcc
	s_cbranch_execz .LBB293_183
; %bb.182:                              ;   in Loop: Header=BB293_136 Depth=1
	v_and_b32_e32 v37, 7, v9
	v_ffbh_u32_e32 v18, v37
	v_min_u32_e32 v40, 32, v18
	v_subrev_u32_e32 v18, 28, v40
	v_lshlrev_b64 v[18:19], v18, v[9:10]
	v_lshrrev_b32_e32 v38, 3, v17
	v_sub_u32_e32 v19, 29, v40
	v_and_b32_e32 v18, 7, v18
	v_cmp_gt_u32_e32 vcc, 8, v17
	v_cndmask_b32_e32 v17, v38, v19, vcc
	v_cndmask_b32_e32 v18, v37, v18, vcc
	v_lshlrev_b32_e32 v9, 24, v9
	v_lshlrev_b32_e32 v18, 20, v18
	v_and_b32_e32 v9, 0x80000000, v9
	v_lshl_add_u32 v17, v17, 23, v30
	v_or3_b32 v38, v9, v17, v18
.LBB293_183:                            ;   in Loop: Header=BB293_136 Depth=1
	s_or_b64 exec, exec, s[18:19]
.LBB293_184:                            ;   in Loop: Header=BB293_136 Depth=1
	s_or_b64 exec, exec, s[16:17]
.LBB293_185:                            ;   in Loop: Header=BB293_136 Depth=1
	s_or_b64 exec, exec, s[0:1]
	s_waitcnt lgkmcnt(0)
	v_mul_f32_e32 v9, s31, v36
	v_bfe_u32 v17, v9, 16, 1
	v_add3_u32 v17, v17, v9, s30
	v_or_b32_e32 v18, 0x400000, v9
	v_cmp_u_f32_e64 s[0:1], v9, v9
	v_cndmask_b32_e64 v9, v17, v18, s[0:1]
	v_lshrrev_b32_e32 v18, 16, v9
	v_mul_f32_e32 v9, s31, v35
	v_bfe_u32 v17, v9, 16, 1
	v_add3_u32 v17, v17, v9, s30
	v_or_b32_e32 v19, 0x400000, v9
	v_cmp_u_f32_e64 s[0:1], v9, v9
	v_cndmask_b32_e64 v9, v17, v19, s[0:1]
	v_lshrrev_b32_e32 v19, 16, v9
	;; [unrolled: 7-line block ×7, first 2 shown]
	v_mul_f32_e32 v9, s31, v38
	v_bfe_u32 v17, v9, 16, 1
	v_add3_u32 v17, v17, v9, s30
	v_or_b32_e32 v32, 0x400000, v9
	v_cmp_u_f32_e64 s[0:1], v9, v9
	v_add_u32_e32 v37, v25, v21
	v_cndmask_b32_e64 v9, v17, v32, s[0:1]
	v_cmp_eq_u32_e32 vcc, s35, v20
	v_lshrrev_b32_e32 v32, 16, v9
	v_add_u32_e32 v44, 1, v37
	v_add_u32_e32 v43, 2, v37
	;; [unrolled: 1-line block ×7, first 2 shown]
	s_and_saveexec_b64 s[16:17], vcc
	s_cbranch_execz .LBB293_187
; %bb.186:                              ;   in Loop: Header=BB293_136 Depth=1
	v_cmp_gt_i32_e64 s[0:1], s11, v37
	v_cndmask_b32_e64 v36, 0, v36, s[0:1]
	v_cmp_gt_i32_e64 s[0:1], s11, v44
	v_cndmask_b32_e64 v35, 0, v35, s[0:1]
	;; [unrolled: 2-line block ×8, first 2 shown]
.LBB293_187:                            ;   in Loop: Header=BB293_136 Depth=1
	s_or_b64 exec, exec, s[16:17]
	global_load_dwordx2 v[15:16], v[15:16], off offset:512
	v_mov_b32_e32 v46, 0
	v_mov_b32_e32 v45, 0
	s_waitcnt vmcnt(0)
	v_cmp_ne_u16_sdwa s[0:1], v15, v10 src0_sel:BYTE_0 src1_sel:DWORD
	s_and_saveexec_b64 s[16:17], s[0:1]
	s_cbranch_execz .LBB293_193
; %bb.188:                              ;   in Loop: Header=BB293_136 Depth=1
	v_cmp_ne_u16_sdwa s[0:1], v15, s28 src0_sel:BYTE_0 src1_sel:DWORD
	v_bfrev_b32_e32 v45, 1
	s_and_saveexec_b64 s[18:19], s[0:1]
	s_cbranch_execz .LBB293_192
; %bb.189:                              ;   in Loop: Header=BB293_136 Depth=1
	v_and_b32_e32 v9, 0x7f, v15
	v_cmp_ne_u32_e64 s[0:1], s29, v9
	v_mov_b32_e32 v45, 0x7f800001
	s_and_saveexec_b64 s[20:21], s[0:1]
	s_cbranch_execz .LBB293_191
; %bb.190:                              ;   in Loop: Header=BB293_136 Depth=1
	v_and_b32_e32 v17, 7, v15
	v_ffbh_u32_e32 v17, v17
	v_min_u32_e32 v17, 32, v17
	v_lshrrev_b32_e32 v45, 3, v9
	v_subrev_u32_e32 v47, 28, v17
	v_sub_u32_e32 v17, 29, v17
	v_cmp_gt_u32_e64 s[0:1], 8, v9
	v_cndmask_b32_e64 v9, v45, v17, s[0:1]
	v_cndmask_b32_e64 v17, 0, v47, s[0:1]
	v_lshlrev_b64 v[47:48], v17, v[15:16]
	v_lshlrev_b32_e32 v45, 24, v15
	v_lshlrev_b32_e32 v17, 20, v47
	v_and_b32_e32 v17, 0x700000, v17
	v_and_b32_e32 v45, 0x80000000, v45
	v_lshl_add_u32 v9, v9, 23, v30
	v_or3_b32 v45, v45, v9, v17
.LBB293_191:                            ;   in Loop: Header=BB293_136 Depth=1
	s_or_b64 exec, exec, s[20:21]
.LBB293_192:                            ;   in Loop: Header=BB293_136 Depth=1
	s_or_b64 exec, exec, s[18:19]
.LBB293_193:                            ;   in Loop: Header=BB293_136 Depth=1
	s_or_b64 exec, exec, s[16:17]
	v_lshrrev_b16_e32 v9, 8, v15
	v_cmp_ne_u16_e64 s[0:1], 0, v9
	s_and_saveexec_b64 s[16:17], s[0:1]
	s_cbranch_execz .LBB293_199
; %bb.194:                              ;   in Loop: Header=BB293_136 Depth=1
	v_cmp_ne_u16_e64 s[0:1], s28, v9
	v_bfrev_b32_e32 v46, 1
	s_and_saveexec_b64 s[18:19], s[0:1]
	s_cbranch_execz .LBB293_198
; %bb.195:                              ;   in Loop: Header=BB293_136 Depth=1
	v_and_b32_e32 v17, 0x7f, v9
	v_cmp_ne_u32_e64 s[0:1], s29, v17
	v_mov_b32_e32 v46, 0x7f800001
	s_and_saveexec_b64 s[20:21], s[0:1]
	s_cbranch_execz .LBB293_197
; %bb.196:                              ;   in Loop: Header=BB293_136 Depth=1
	v_and_b32_e32 v48, 7, v9
	v_ffbh_u32_e32 v46, v48
	v_min_u32_e32 v50, 32, v46
	v_subrev_u32_e32 v46, 28, v50
	v_lshlrev_b64 v[46:47], v46, v[9:10]
	v_lshrrev_b32_e32 v49, 3, v17
	v_sub_u32_e32 v9, 29, v50
	v_and_b32_e32 v46, 7, v46
	v_cmp_gt_u32_e64 s[0:1], 8, v17
	v_cndmask_b32_e64 v9, v49, v9, s[0:1]
	v_cndmask_b32_e64 v17, v48, v46, s[0:1]
	v_lshlrev_b32_e32 v46, 16, v15
	v_lshlrev_b32_e32 v17, 20, v17
	v_and_b32_e32 v46, 0x80000000, v46
	v_lshl_add_u32 v9, v9, 23, v30
	v_or3_b32 v46, v46, v9, v17
.LBB293_197:                            ;   in Loop: Header=BB293_136 Depth=1
	s_or_b64 exec, exec, s[20:21]
.LBB293_198:                            ;   in Loop: Header=BB293_136 Depth=1
	s_or_b64 exec, exec, s[18:19]
.LBB293_199:                            ;   in Loop: Header=BB293_136 Depth=1
	s_or_b64 exec, exec, s[16:17]
	v_lshrrev_b32_e32 v9, 16, v15
	v_cmp_ne_u16_sdwa s[0:1], v9, v10 src0_sel:BYTE_0 src1_sel:DWORD
	v_mov_b32_e32 v48, 0
	v_mov_b32_e32 v47, 0
	s_and_saveexec_b64 s[16:17], s[0:1]
	s_cbranch_execz .LBB293_205
; %bb.200:                              ;   in Loop: Header=BB293_136 Depth=1
	v_cmp_ne_u16_sdwa s[0:1], v9, s28 src0_sel:BYTE_0 src1_sel:DWORD
	v_bfrev_b32_e32 v47, 1
	s_and_saveexec_b64 s[18:19], s[0:1]
	s_cbranch_execz .LBB293_204
; %bb.201:                              ;   in Loop: Header=BB293_136 Depth=1
	v_bfe_u32 v17, v15, 16, 7
	v_cmp_ne_u32_e64 s[0:1], s29, v17
	v_mov_b32_e32 v47, 0x7f800001
	s_and_saveexec_b64 s[20:21], s[0:1]
	s_cbranch_execz .LBB293_203
; %bb.202:                              ;   in Loop: Header=BB293_136 Depth=1
	v_and_b32_e32 v47, 7, v9
	v_ffbh_u32_e32 v49, v47
	v_min_u32_e32 v52, 32, v49
	v_subrev_u32_e32 v49, 28, v52
	v_lshlrev_b64 v[49:50], v49, v[9:10]
	v_lshrrev_b32_e32 v51, 3, v17
	v_sub_u32_e32 v50, 29, v52
	v_and_b32_e32 v49, 7, v49
	v_cmp_gt_u32_e64 s[0:1], 8, v17
	v_cndmask_b32_e64 v17, v51, v50, s[0:1]
	v_cndmask_b32_e64 v47, v47, v49, s[0:1]
	v_lshlrev_b32_e32 v9, 24, v9
	v_lshlrev_b32_e32 v47, 20, v47
	v_and_b32_e32 v9, 0x80000000, v9
	v_lshl_add_u32 v17, v17, 23, v30
	v_or3_b32 v47, v9, v17, v47
.LBB293_203:                            ;   in Loop: Header=BB293_136 Depth=1
	s_or_b64 exec, exec, s[20:21]
.LBB293_204:                            ;   in Loop: Header=BB293_136 Depth=1
	s_or_b64 exec, exec, s[18:19]
.LBB293_205:                            ;   in Loop: Header=BB293_136 Depth=1
	s_or_b64 exec, exec, s[16:17]
	v_cmp_lt_u32_e64 s[0:1], s5, v15
	s_and_saveexec_b64 s[16:17], s[0:1]
	s_cbranch_execz .LBB293_211
; %bb.206:                              ;   in Loop: Header=BB293_136 Depth=1
	v_lshrrev_b32_e32 v9, 24, v15
	v_cmp_ne_u32_e64 s[0:1], s28, v9
	v_bfrev_b32_e32 v48, 1
	s_and_saveexec_b64 s[18:19], s[0:1]
	s_cbranch_execz .LBB293_210
; %bb.207:                              ;   in Loop: Header=BB293_136 Depth=1
	v_bfe_u32 v17, v15, 24, 7
	v_cmp_ne_u32_e64 s[0:1], s29, v17
	v_mov_b32_e32 v48, 0x7f800001
	s_and_saveexec_b64 s[20:21], s[0:1]
	s_cbranch_execz .LBB293_209
; %bb.208:                              ;   in Loop: Header=BB293_136 Depth=1
	v_and_b32_e32 v50, 7, v9
	v_ffbh_u32_e32 v48, v50
	v_min_u32_e32 v52, 32, v48
	v_subrev_u32_e32 v48, 28, v52
	v_lshlrev_b64 v[48:49], v48, v[9:10]
	v_lshrrev_b32_e32 v51, 3, v17
	v_sub_u32_e32 v49, 29, v52
	v_and_b32_e32 v48, 7, v48
	v_cmp_gt_u32_e64 s[0:1], 8, v17
	v_cndmask_b32_e64 v17, v51, v49, s[0:1]
	v_cndmask_b32_e64 v48, v50, v48, s[0:1]
	v_lshlrev_b32_e32 v9, 24, v9
	v_lshlrev_b32_e32 v48, 20, v48
	v_and_b32_e32 v9, 0x80000000, v9
	v_lshl_add_u32 v17, v17, 23, v30
	v_or3_b32 v48, v9, v17, v48
.LBB293_209:                            ;   in Loop: Header=BB293_136 Depth=1
	s_or_b64 exec, exec, s[20:21]
.LBB293_210:                            ;   in Loop: Header=BB293_136 Depth=1
	s_or_b64 exec, exec, s[18:19]
.LBB293_211:                            ;   in Loop: Header=BB293_136 Depth=1
	s_or_b64 exec, exec, s[16:17]
	v_mov_b32_e32 v9, v16
	v_cmp_ne_u16_sdwa s[0:1], v16, v10 src0_sel:BYTE_0 src1_sel:DWORD
	v_mov_b32_e32 v50, 0
	v_mov_b32_e32 v49, 0
	s_and_saveexec_b64 s[16:17], s[0:1]
	s_cbranch_execz .LBB293_217
; %bb.212:                              ;   in Loop: Header=BB293_136 Depth=1
	v_cmp_ne_u16_sdwa s[0:1], v16, s28 src0_sel:BYTE_0 src1_sel:DWORD
	v_bfrev_b32_e32 v49, 1
	s_and_saveexec_b64 s[18:19], s[0:1]
	s_cbranch_execz .LBB293_216
; %bb.213:                              ;   in Loop: Header=BB293_136 Depth=1
	v_and_b32_e32 v17, 0x7f, v16
	v_cmp_ne_u32_e64 s[0:1], s29, v17
	v_mov_b32_e32 v49, 0x7f800001
	s_and_saveexec_b64 s[20:21], s[0:1]
	s_cbranch_execz .LBB293_215
; %bb.214:                              ;   in Loop: Header=BB293_136 Depth=1
	v_and_b32_e32 v49, 7, v16
	v_ffbh_u32_e32 v49, v49
	v_min_u32_e32 v49, 32, v49
	v_lshrrev_b32_e32 v51, 3, v17
	v_subrev_u32_e32 v52, 28, v49
	v_sub_u32_e32 v49, 29, v49
	v_cmp_gt_u32_e64 s[0:1], 8, v17
	v_cndmask_b32_e64 v17, v51, v49, s[0:1]
	v_cndmask_b32_e64 v49, 0, v52, s[0:1]
	v_lshlrev_b64 v[51:52], v49, v[9:10]
	v_lshl_add_u32 v17, v17, 23, v30
	v_lshlrev_b32_e32 v49, 20, v51
	v_lshlrev_b32_e32 v51, 24, v9
	v_and_b32_e32 v49, 0x700000, v49
	v_and_b32_e32 v51, 0x80000000, v51
	v_or3_b32 v49, v51, v17, v49
.LBB293_215:                            ;   in Loop: Header=BB293_136 Depth=1
	s_or_b64 exec, exec, s[20:21]
.LBB293_216:                            ;   in Loop: Header=BB293_136 Depth=1
	s_or_b64 exec, exec, s[18:19]
.LBB293_217:                            ;   in Loop: Header=BB293_136 Depth=1
	s_or_b64 exec, exec, s[16:17]
	v_lshrrev_b16_e32 v17, 8, v9
	v_cmp_ne_u16_e64 s[0:1], 0, v17
	s_and_saveexec_b64 s[16:17], s[0:1]
	s_cbranch_execz .LBB293_223
; %bb.218:                              ;   in Loop: Header=BB293_136 Depth=1
	v_cmp_ne_u16_e64 s[0:1], s28, v17
	v_bfrev_b32_e32 v50, 1
	s_and_saveexec_b64 s[18:19], s[0:1]
	s_cbranch_execz .LBB293_222
; %bb.219:                              ;   in Loop: Header=BB293_136 Depth=1
	v_and_b32_e32 v51, 0x7f, v17
	v_cmp_ne_u32_e64 s[0:1], s29, v51
	v_mov_b32_e32 v50, 0x7f800001
	s_and_saveexec_b64 s[20:21], s[0:1]
	s_cbranch_execz .LBB293_221
; %bb.220:                              ;   in Loop: Header=BB293_136 Depth=1
	v_and_b32_e32 v50, 7, v17
	v_ffbh_u32_e32 v52, v50
	v_min_u32_e32 v55, 32, v52
	v_subrev_u32_e32 v52, 28, v55
	v_lshlrev_b64 v[52:53], v52, v[17:18]
	v_lshrrev_b32_e32 v54, 3, v51
	v_sub_u32_e32 v17, 29, v55
	v_and_b32_e32 v52, 7, v52
	v_cmp_gt_u32_e64 s[0:1], 8, v51
	v_cndmask_b32_e64 v17, v54, v17, s[0:1]
	v_cndmask_b32_e64 v50, v50, v52, s[0:1]
	v_lshlrev_b32_e32 v9, 16, v9
	v_lshlrev_b32_e32 v50, 20, v50
	v_and_b32_e32 v9, 0x80000000, v9
	v_lshl_add_u32 v17, v17, 23, v30
	v_or3_b32 v50, v9, v17, v50
.LBB293_221:                            ;   in Loop: Header=BB293_136 Depth=1
	s_or_b64 exec, exec, s[20:21]
.LBB293_222:                            ;   in Loop: Header=BB293_136 Depth=1
	s_or_b64 exec, exec, s[18:19]
.LBB293_223:                            ;   in Loop: Header=BB293_136 Depth=1
	s_or_b64 exec, exec, s[16:17]
	v_lshrrev_b32_e32 v9, 16, v16
	v_cmp_ne_u16_sdwa s[0:1], v9, v10 src0_sel:BYTE_0 src1_sel:DWORD
	v_mov_b32_e32 v51, 0
	v_mov_b32_e32 v17, 0
	s_and_saveexec_b64 s[16:17], s[0:1]
	s_cbranch_execz .LBB293_229
; %bb.224:                              ;   in Loop: Header=BB293_136 Depth=1
	v_cmp_ne_u16_sdwa s[0:1], v9, s28 src0_sel:BYTE_0 src1_sel:DWORD
	v_bfrev_b32_e32 v17, 1
	s_and_saveexec_b64 s[18:19], s[0:1]
	s_cbranch_execz .LBB293_228
; %bb.225:                              ;   in Loop: Header=BB293_136 Depth=1
	v_bfe_u32 v52, v16, 16, 7
	v_cmp_ne_u32_e64 s[0:1], s29, v52
	v_mov_b32_e32 v17, 0x7f800001
	s_and_saveexec_b64 s[20:21], s[0:1]
	s_cbranch_execz .LBB293_227
; %bb.226:                              ;   in Loop: Header=BB293_136 Depth=1
	v_and_b32_e32 v17, 7, v9
	v_ffbh_u32_e32 v53, v17
	v_min_u32_e32 v56, 32, v53
	v_subrev_u32_e32 v53, 28, v56
	v_lshlrev_b64 v[53:54], v53, v[9:10]
	v_lshrrev_b32_e32 v55, 3, v52
	v_sub_u32_e32 v54, 29, v56
	v_and_b32_e32 v53, 7, v53
	v_cmp_gt_u32_e64 s[0:1], 8, v52
	v_cndmask_b32_e64 v52, v55, v54, s[0:1]
	v_cndmask_b32_e64 v17, v17, v53, s[0:1]
	v_lshlrev_b32_e32 v9, 24, v9
	v_lshlrev_b32_e32 v17, 20, v17
	v_and_b32_e32 v9, 0x80000000, v9
	v_lshl_add_u32 v52, v52, 23, v30
	v_or3_b32 v17, v9, v52, v17
.LBB293_227:                            ;   in Loop: Header=BB293_136 Depth=1
	s_or_b64 exec, exec, s[20:21]
.LBB293_228:                            ;   in Loop: Header=BB293_136 Depth=1
	s_or_b64 exec, exec, s[18:19]
.LBB293_229:                            ;   in Loop: Header=BB293_136 Depth=1
	s_or_b64 exec, exec, s[16:17]
	v_cmp_lt_u64_e64 s[0:1], s[4:5], v[15:16]
	s_and_saveexec_b64 s[16:17], s[0:1]
	s_cbranch_execz .LBB293_235
; %bb.230:                              ;   in Loop: Header=BB293_136 Depth=1
	v_lshrrev_b32_e32 v9, 24, v16
	v_cmp_ne_u32_e64 s[0:1], s28, v9
	v_bfrev_b32_e32 v51, 1
	s_and_saveexec_b64 s[18:19], s[0:1]
	s_cbranch_execz .LBB293_234
; %bb.231:                              ;   in Loop: Header=BB293_136 Depth=1
	v_bfe_u32 v15, v16, 24, 7
	v_cmp_ne_u32_e64 s[0:1], s29, v15
	v_mov_b32_e32 v51, 0x7f800001
	s_and_saveexec_b64 s[20:21], s[0:1]
	s_cbranch_execz .LBB293_233
; %bb.232:                              ;   in Loop: Header=BB293_136 Depth=1
	v_and_b32_e32 v16, 7, v9
	v_ffbh_u32_e32 v51, v16
	v_min_u32_e32 v54, 32, v51
	v_subrev_u32_e32 v51, 28, v54
	v_lshlrev_b64 v[51:52], v51, v[9:10]
	v_lshrrev_b32_e32 v53, 3, v15
	v_sub_u32_e32 v52, 29, v54
	v_and_b32_e32 v51, 7, v51
	v_cmp_gt_u32_e64 s[0:1], 8, v15
	v_cndmask_b32_e64 v15, v53, v52, s[0:1]
	v_cndmask_b32_e64 v16, v16, v51, s[0:1]
	v_lshlrev_b32_e32 v9, 24, v9
	v_lshlrev_b32_e32 v16, 20, v16
	v_and_b32_e32 v9, 0x80000000, v9
	v_lshl_add_u32 v15, v15, 23, v30
	v_or3_b32 v51, v9, v15, v16
.LBB293_233:                            ;   in Loop: Header=BB293_136 Depth=1
	s_or_b64 exec, exec, s[20:21]
.LBB293_234:                            ;   in Loop: Header=BB293_136 Depth=1
	s_or_b64 exec, exec, s[18:19]
.LBB293_235:                            ;   in Loop: Header=BB293_136 Depth=1
	s_or_b64 exec, exec, s[16:17]
	v_mul_f32_e32 v9, s31, v50
	v_bfe_u32 v15, v9, 16, 1
	v_add3_u32 v15, v15, v9, s30
	v_or_b32_e32 v16, 0x400000, v9
	v_cmp_u_f32_e64 s[0:1], v9, v9
	v_cndmask_b32_e64 v9, v15, v16, s[0:1]
	v_mul_f32_e32 v15, s31, v49
	v_bfe_u32 v16, v15, 16, 1
	v_add3_u32 v16, v16, v15, s30
	v_or_b32_e32 v49, 0x400000, v15
	v_cmp_u_f32_e64 s[0:1], v15, v15
	v_cndmask_b32_e64 v15, v16, v49, s[0:1]
	v_mul_f32_e32 v16, s31, v48
	v_bfe_u32 v48, v16, 16, 1
	v_add3_u32 v48, v48, v16, s30
	v_or_b32_e32 v49, 0x400000, v16
	v_cmp_u_f32_e64 s[0:1], v16, v16
	v_mul_f32_e32 v47, s31, v47
	v_cndmask_b32_e64 v16, v48, v49, s[0:1]
	v_bfe_u32 v48, v47, 16, 1
	v_add3_u32 v48, v48, v47, s30
	v_or_b32_e32 v49, 0x400000, v47
	v_cmp_u_f32_e64 s[0:1], v47, v47
	v_mul_f32_e32 v46, s31, v46
	v_cndmask_b32_e64 v47, v48, v49, s[0:1]
	v_bfe_u32 v48, v46, 16, 1
	v_add3_u32 v48, v48, v46, s30
	v_or_b32_e32 v49, 0x400000, v46
	v_cmp_u_f32_e64 s[0:1], v46, v46
	v_mul_f32_e32 v45, s31, v45
	v_cndmask_b32_e64 v46, v48, v49, s[0:1]
	v_bfe_u32 v48, v45, 16, 1
	v_add3_u32 v48, v48, v45, s30
	v_or_b32_e32 v49, 0x400000, v45
	v_cmp_u_f32_e64 s[0:1], v45, v45
	v_cndmask_b32_e64 v45, v48, v49, s[0:1]
	v_mul_f32_e32 v17, s31, v17
	v_lshrrev_b32_e32 v48, 16, v45
	v_bfe_u32 v45, v17, 16, 1
	v_add3_u32 v45, v45, v17, s30
	v_or_b32_e32 v49, 0x400000, v17
	v_cmp_u_f32_e64 s[0:1], v17, v17
	v_cndmask_b32_e64 v17, v45, v49, s[0:1]
	v_mul_f32_e32 v45, s31, v51
	v_bfe_u32 v49, v45, 16, 1
	v_add3_u32 v49, v49, v45, s30
	v_or_b32_e32 v50, 0x400000, v45
	v_cmp_u_f32_e64 s[0:1], v45, v45
	v_cndmask_b32_e64 v45, v49, v50, s[0:1]
	v_lshrrev_b32_e32 v9, 16, v9
	v_lshrrev_b32_e32 v15, 16, v15
	;; [unrolled: 1-line block ×7, first 2 shown]
	s_and_saveexec_b64 s[0:1], vcc
	s_cbranch_execz .LBB293_134
; %bb.236:                              ;   in Loop: Header=BB293_136 Depth=1
	v_cmp_gt_i32_e32 vcc, s11, v37
	v_cndmask_b32_e32 v48, 0, v48, vcc
	v_cmp_gt_i32_e32 vcc, s11, v44
	v_cndmask_b32_e32 v46, 0, v46, vcc
	;; [unrolled: 2-line block ×8, first 2 shown]
	s_branch .LBB293_134
.LBB293_237:
	s_or_b64 exec, exec, s[6:7]
.LBB293_238:
	s_or_b64 exec, exec, s[2:3]
	ds_bpermute_b32 v1, v23, v28
	ds_bpermute_b32 v3, v23, v26
	s_waitcnt lgkmcnt(0)
	s_barrier
	v_add_f32_e32 v2, v28, v1
	v_add_f32_e32 v1, v26, v3
	v_and_b32_e32 v3, 0x3c1, v0
	v_cmp_eq_u32_e32 vcc, 64, v3
	s_and_saveexec_b64 s[0:1], vcc
; %bb.239:
	v_mov_b32_e32 v4, 0x90
	v_lshl_add_u32 v4, v22, 1, v4
	ds_write2_b32 v4, v2, v1 offset1:32
; %bb.240:
	s_or_b64 exec, exec, s[0:1]
	v_cmp_gt_u32_e32 vcc, 64, v0
	v_lshrrev_b32_e32 v0, 1, v0
	s_waitcnt lgkmcnt(0)
	s_barrier
	s_and_saveexec_b64 s[0:1], vcc
	s_cbranch_execz .LBB293_246
; %bb.241:
	v_mov_b32_e32 v4, 0x90
	v_cmp_eq_u32_e32 vcc, 0, v24
	v_lshl_add_u32 v4, v0, 2, v4
	s_and_saveexec_b64 s[2:3], vcc
	s_cbranch_execz .LBB293_243
; %bb.242:
	ds_read_b32 v5, v4
	s_waitcnt lgkmcnt(0)
	v_add_f32_e32 v2, v2, v5
.LBB293_243:
	s_or_b64 exec, exec, s[2:3]
	s_and_saveexec_b64 s[2:3], vcc
	s_cbranch_execz .LBB293_245
; %bb.244:
	ds_read_b32 v4, v4 offset:128
	s_waitcnt lgkmcnt(0)
	v_add_f32_e32 v1, v1, v4
.LBB293_245:
	s_or_b64 exec, exec, s[2:3]
.LBB293_246:
	s_or_b64 exec, exec, s[0:1]
	v_cmp_eq_u32_e32 vcc, 0, v3
	s_barrier
	s_and_saveexec_b64 s[0:1], vcc
	s_cbranch_execz .LBB293_248
; %bb.247:
	s_mul_i32 s0, s10, s23
	s_mul_i32 s0, s0, s9
	s_lshl_b32 s0, s0, 6
	s_ashr_i32 s1, s0, 31
	s_lshl_b64 s[0:1], s[0:1], 1
	s_add_u32 s2, s26, s0
	s_mul_i32 s0, s23, s24
	s_addc_u32 s3, s27, s1
	s_ashr_i32 s1, s0, 31
	s_lshl_b64 s[0:1], s[0:1], 1
	s_add_u32 s2, s2, s0
	s_addc_u32 s3, s3, s1
	s_lshl_b32 s0, s8, 6
	s_ashr_i32 s1, s0, 31
	s_lshl_b64 s[0:1], s[0:1], 1
	s_add_u32 s0, s2, s0
	v_bfe_u32 v3, v2, 16, 1
	s_movk_i32 s2, 0x7fff
	v_add3_u32 v3, v3, v2, s2
	v_or_b32_e32 v4, 0x400000, v2
	v_cmp_u_f32_e32 vcc, v2, v2
	s_addc_u32 s1, s3, s1
	v_cndmask_b32_e32 v2, v3, v4, vcc
	v_lshlrev_b32_e32 v0, 1, v0
	global_store_short_d16_hi v0, v2, s[0:1]
	v_bfe_u32 v2, v1, 16, 1
	v_add3_u32 v2, v2, v1, s2
	v_or_b32_e32 v3, 0x400000, v1
	v_cmp_u_f32_e32 vcc, v1, v1
	v_cndmask_b32_e32 v1, v2, v3, vcc
	global_store_short_d16_hi v0, v1, s[0:1] offset:64
.LBB293_248:
	s_endpgm
	.section	.rodata,"a",@progbits
	.p2align	6, 0x0
	.amdhsa_kernel _ZN4vllm25paged_attention_v1_kernelI14__hip_bfloat16hLi64ELi16ELi128ELNS_18Fp8KVCacheDataTypeE1ELb1EEEvPT_PKS3_PKT0_S9_ifPKiSB_iPKfiiiSD_SD_iiiii
		.amdhsa_group_segment_fixed_size 144
		.amdhsa_private_segment_fixed_size 0
		.amdhsa_kernarg_size 384
		.amdhsa_user_sgpr_count 6
		.amdhsa_user_sgpr_private_segment_buffer 1
		.amdhsa_user_sgpr_dispatch_ptr 0
		.amdhsa_user_sgpr_queue_ptr 0
		.amdhsa_user_sgpr_kernarg_segment_ptr 1
		.amdhsa_user_sgpr_dispatch_id 0
		.amdhsa_user_sgpr_flat_scratch_init 0
		.amdhsa_user_sgpr_private_segment_size 0
		.amdhsa_uses_dynamic_stack 0
		.amdhsa_system_sgpr_private_segment_wavefront_offset 0
		.amdhsa_system_sgpr_workgroup_id_x 1
		.amdhsa_system_sgpr_workgroup_id_y 1
		.amdhsa_system_sgpr_workgroup_id_z 1
		.amdhsa_system_sgpr_workgroup_info 0
		.amdhsa_system_vgpr_workitem_id 0
		.amdhsa_next_free_vgpr 57
		.amdhsa_next_free_sgpr 56
		.amdhsa_reserve_vcc 1
		.amdhsa_reserve_flat_scratch 0
		.amdhsa_float_round_mode_32 0
		.amdhsa_float_round_mode_16_64 0
		.amdhsa_float_denorm_mode_32 3
		.amdhsa_float_denorm_mode_16_64 3
		.amdhsa_dx10_clamp 1
		.amdhsa_ieee_mode 1
		.amdhsa_fp16_overflow 0
		.amdhsa_exception_fp_ieee_invalid_op 0
		.amdhsa_exception_fp_denorm_src 0
		.amdhsa_exception_fp_ieee_div_zero 0
		.amdhsa_exception_fp_ieee_overflow 0
		.amdhsa_exception_fp_ieee_underflow 0
		.amdhsa_exception_fp_ieee_inexact 0
		.amdhsa_exception_int_div_zero 0
	.end_amdhsa_kernel
	.section	.text._ZN4vllm25paged_attention_v1_kernelI14__hip_bfloat16hLi64ELi16ELi128ELNS_18Fp8KVCacheDataTypeE1ELb1EEEvPT_PKS3_PKT0_S9_ifPKiSB_iPKfiiiSD_SD_iiiii,"axG",@progbits,_ZN4vllm25paged_attention_v1_kernelI14__hip_bfloat16hLi64ELi16ELi128ELNS_18Fp8KVCacheDataTypeE1ELb1EEEvPT_PKS3_PKT0_S9_ifPKiSB_iPKfiiiSD_SD_iiiii,comdat
.Lfunc_end293:
	.size	_ZN4vllm25paged_attention_v1_kernelI14__hip_bfloat16hLi64ELi16ELi128ELNS_18Fp8KVCacheDataTypeE1ELb1EEEvPT_PKS3_PKT0_S9_ifPKiSB_iPKfiiiSD_SD_iiiii, .Lfunc_end293-_ZN4vllm25paged_attention_v1_kernelI14__hip_bfloat16hLi64ELi16ELi128ELNS_18Fp8KVCacheDataTypeE1ELb1EEEvPT_PKS3_PKT0_S9_ifPKiSB_iPKfiiiSD_SD_iiiii
                                        ; -- End function
	.set _ZN4vllm25paged_attention_v1_kernelI14__hip_bfloat16hLi64ELi16ELi128ELNS_18Fp8KVCacheDataTypeE1ELb1EEEvPT_PKS3_PKT0_S9_ifPKiSB_iPKfiiiSD_SD_iiiii.num_vgpr, 57
	.set _ZN4vllm25paged_attention_v1_kernelI14__hip_bfloat16hLi64ELi16ELi128ELNS_18Fp8KVCacheDataTypeE1ELb1EEEvPT_PKS3_PKT0_S9_ifPKiSB_iPKfiiiSD_SD_iiiii.num_agpr, 0
	.set _ZN4vllm25paged_attention_v1_kernelI14__hip_bfloat16hLi64ELi16ELi128ELNS_18Fp8KVCacheDataTypeE1ELb1EEEvPT_PKS3_PKT0_S9_ifPKiSB_iPKfiiiSD_SD_iiiii.numbered_sgpr, 56
	.set _ZN4vllm25paged_attention_v1_kernelI14__hip_bfloat16hLi64ELi16ELi128ELNS_18Fp8KVCacheDataTypeE1ELb1EEEvPT_PKS3_PKT0_S9_ifPKiSB_iPKfiiiSD_SD_iiiii.num_named_barrier, 0
	.set _ZN4vllm25paged_attention_v1_kernelI14__hip_bfloat16hLi64ELi16ELi128ELNS_18Fp8KVCacheDataTypeE1ELb1EEEvPT_PKS3_PKT0_S9_ifPKiSB_iPKfiiiSD_SD_iiiii.private_seg_size, 0
	.set _ZN4vllm25paged_attention_v1_kernelI14__hip_bfloat16hLi64ELi16ELi128ELNS_18Fp8KVCacheDataTypeE1ELb1EEEvPT_PKS3_PKT0_S9_ifPKiSB_iPKfiiiSD_SD_iiiii.uses_vcc, 1
	.set _ZN4vllm25paged_attention_v1_kernelI14__hip_bfloat16hLi64ELi16ELi128ELNS_18Fp8KVCacheDataTypeE1ELb1EEEvPT_PKS3_PKT0_S9_ifPKiSB_iPKfiiiSD_SD_iiiii.uses_flat_scratch, 0
	.set _ZN4vllm25paged_attention_v1_kernelI14__hip_bfloat16hLi64ELi16ELi128ELNS_18Fp8KVCacheDataTypeE1ELb1EEEvPT_PKS3_PKT0_S9_ifPKiSB_iPKfiiiSD_SD_iiiii.has_dyn_sized_stack, 0
	.set _ZN4vllm25paged_attention_v1_kernelI14__hip_bfloat16hLi64ELi16ELi128ELNS_18Fp8KVCacheDataTypeE1ELb1EEEvPT_PKS3_PKT0_S9_ifPKiSB_iPKfiiiSD_SD_iiiii.has_recursion, 0
	.set _ZN4vllm25paged_attention_v1_kernelI14__hip_bfloat16hLi64ELi16ELi128ELNS_18Fp8KVCacheDataTypeE1ELb1EEEvPT_PKS3_PKT0_S9_ifPKiSB_iPKfiiiSD_SD_iiiii.has_indirect_call, 0
	.section	.AMDGPU.csdata,"",@progbits
; Kernel info:
; codeLenInByte = 12144
; TotalNumSgprs: 60
; NumVgprs: 57
; ScratchSize: 0
; MemoryBound: 0
; FloatMode: 240
; IeeeMode: 1
; LDSByteSize: 144 bytes/workgroup (compile time only)
; SGPRBlocks: 7
; VGPRBlocks: 14
; NumSGPRsForWavesPerEU: 60
; NumVGPRsForWavesPerEU: 57
; Occupancy: 4
; WaveLimiterHint : 1
; COMPUTE_PGM_RSRC2:SCRATCH_EN: 0
; COMPUTE_PGM_RSRC2:USER_SGPR: 6
; COMPUTE_PGM_RSRC2:TRAP_HANDLER: 0
; COMPUTE_PGM_RSRC2:TGID_X_EN: 1
; COMPUTE_PGM_RSRC2:TGID_Y_EN: 1
; COMPUTE_PGM_RSRC2:TGID_Z_EN: 1
; COMPUTE_PGM_RSRC2:TIDIG_COMP_CNT: 0
	.section	.text._ZN4vllm25paged_attention_v1_kernelI14__hip_bfloat16hLi80ELi16ELi128ELNS_18Fp8KVCacheDataTypeE1ELb1EEEvPT_PKS3_PKT0_S9_ifPKiSB_iPKfiiiSD_SD_iiiii,"axG",@progbits,_ZN4vllm25paged_attention_v1_kernelI14__hip_bfloat16hLi80ELi16ELi128ELNS_18Fp8KVCacheDataTypeE1ELb1EEEvPT_PKS3_PKT0_S9_ifPKiSB_iPKfiiiSD_SD_iiiii,comdat
	.protected	_ZN4vllm25paged_attention_v1_kernelI14__hip_bfloat16hLi80ELi16ELi128ELNS_18Fp8KVCacheDataTypeE1ELb1EEEvPT_PKS3_PKT0_S9_ifPKiSB_iPKfiiiSD_SD_iiiii ; -- Begin function _ZN4vllm25paged_attention_v1_kernelI14__hip_bfloat16hLi80ELi16ELi128ELNS_18Fp8KVCacheDataTypeE1ELb1EEEvPT_PKS3_PKT0_S9_ifPKiSB_iPKfiiiSD_SD_iiiii
	.globl	_ZN4vllm25paged_attention_v1_kernelI14__hip_bfloat16hLi80ELi16ELi128ELNS_18Fp8KVCacheDataTypeE1ELb1EEEvPT_PKS3_PKT0_S9_ifPKiSB_iPKfiiiSD_SD_iiiii
	.p2align	8
	.type	_ZN4vllm25paged_attention_v1_kernelI14__hip_bfloat16hLi80ELi16ELi128ELNS_18Fp8KVCacheDataTypeE1ELb1EEEvPT_PKS3_PKT0_S9_ifPKiSB_iPKfiiiSD_SD_iiiii,@function
_ZN4vllm25paged_attention_v1_kernelI14__hip_bfloat16hLi80ELi16ELi128ELNS_18Fp8KVCacheDataTypeE1ELb1EEEvPT_PKS3_PKT0_S9_ifPKiSB_iPKfiiiSD_SD_iiiii: ; @_ZN4vllm25paged_attention_v1_kernelI14__hip_bfloat16hLi80ELi16ELi128ELNS_18Fp8KVCacheDataTypeE1ELb1EEEvPT_PKS3_PKT0_S9_ifPKiSB_iPKfiiiSD_SD_iiiii
; %bb.0:
	s_load_dword s9, s[4:5], 0x80
	s_load_dwordx2 s[0:1], s[4:5], 0x30
	s_load_dwordx2 s[36:37], s[4:5], 0x20
	s_mov_b32 s10, s7
	s_ashr_i32 s11, s7, 31
	s_lshl_b64 s[2:3], s[10:11], 2
	s_waitcnt lgkmcnt(0)
	s_add_u32 s0, s0, s2
	s_addc_u32 s1, s1, s3
	s_abs_i32 s2, s36
	v_cvt_f32_u32_e32 v1, s2
	s_sub_i32 s11, 0, s2
	s_abs_i32 s7, s9
	s_xor_b32 s3, s9, s36
	v_rcp_iflag_f32_e32 v1, v1
	s_ashr_i32 s3, s3, 31
	s_mov_b32 s49, 0
	v_mul_f32_e32 v1, 0x4f7ffffe, v1
	v_cvt_u32_f32_e32 v1, v1
	v_readfirstlane_b32 s12, v1
	s_mul_i32 s11, s11, s12
	s_mul_hi_u32 s11, s12, s11
	s_add_i32 s12, s12, s11
	s_mul_hi_u32 s11, s7, s12
	s_mul_i32 s12, s11, s2
	s_sub_i32 s7, s7, s12
	s_add_i32 s12, s11, 1
	s_sub_i32 s13, s7, s2
	s_cmp_ge_u32 s7, s2
	s_cselect_b32 s11, s12, s11
	s_cselect_b32 s7, s13, s7
	s_add_i32 s12, s11, 1
	s_cmp_ge_u32 s7, s2
	s_cselect_b32 s2, s12, s11
	s_xor_b32 s2, s2, s3
	s_sub_i32 s14, s2, s3
	s_abs_i32 s11, s14
	v_cvt_f32_u32_e32 v1, s11
	s_load_dwordx2 s[2:3], s[4:5], 0x40
	s_sub_i32 s7, 0, s11
	s_abs_i32 s12, s6
	v_rcp_iflag_f32_e32 v1, v1
	v_mul_f32_e32 v1, 0x4f7ffffe, v1
	v_cvt_u32_f32_e32 v1, v1
	v_readfirstlane_b32 s13, v1
	s_mul_i32 s7, s7, s13
	s_mul_hi_u32 s7, s13, s7
	s_add_i32 s13, s13, s7
	s_waitcnt lgkmcnt(0)
	s_cmp_eq_u64 s[2:3], 0
	s_mul_hi_u32 s13, s12, s13
	s_cbranch_scc1 .LBB294_2
; %bb.1:
	s_ashr_i32 s7, s6, 31
	s_lshl_b64 s[16:17], s[6:7], 2
	s_add_u32 s2, s2, s16
	s_addc_u32 s3, s3, s17
	s_load_dword s49, s[2:3], 0x0
.LBB294_2:
	s_load_dword s33, s[0:1], 0x0
	s_load_dwordx4 s[16:19], s[4:5], 0x48
	s_ashr_i32 s2, s6, 31
	s_ashr_i32 s7, s14, 31
	v_and_b32_e32 v1, 3, v0
	s_mul_i32 s24, s6, 0x50
	v_cmp_gt_u32_e32 vcc, 40, v0
	s_and_saveexec_b64 s[0:1], vcc
	s_cbranch_execz .LBB294_4
; %bb.3:
	s_load_dwordx2 s[14:15], s[4:5], 0x8
	s_waitcnt lgkmcnt(0)
	s_mul_i32 s20, s16, s10
	s_ashr_i32 s21, s20, 31
	s_lshl_b64 s[20:21], s[20:21], 1
	v_lshlrev_b32_e32 v2, 2, v0
	s_add_u32 s3, s14, s20
	s_addc_u32 s16, s15, s21
	s_ashr_i32 s25, s24, 31
	s_lshl_b64 s[14:15], s[24:25], 1
	s_add_u32 s14, s3, s14
	s_addc_u32 s15, s16, s15
	global_load_dword v2, v2, s[14:15]
	v_and_b32_e32 v3, 0x3fc, v0
	v_mad_u32_u24 v3, v1, 40, v3
	s_waitcnt vmcnt(0)
	ds_write_b32 v3, v2
.LBB294_4:
	s_or_b64 exec, exec, s[0:1]
	s_mul_i32 s1, s13, s11
	s_sub_i32 s1, s12, s1
	s_xor_b32 s0, s2, s7
	s_add_i32 s2, s13, 1
	s_sub_i32 s7, s1, s11
	s_load_dwordx4 s[20:23], s[4:5], 0x68
	s_load_dword s3, s[4:5], 0x78
	s_cmp_ge_u32 s1, s11
	s_cselect_b32 s2, s2, s13
	s_cselect_b32 s1, s7, s1
	s_add_i32 s7, s2, 1
	s_cmp_ge_u32 s1, s11
	s_cselect_b32 s1, s7, s2
	s_waitcnt lgkmcnt(0)
	s_abs_i32 s25, s23
	v_cvt_f32_u32_e32 v2, s25
	s_xor_b32 s1, s1, s0
	s_sub_i32 s2, s1, s0
	s_sub_i32 s0, 0, s25
	v_rcp_iflag_f32_e32 v2, v2
	s_add_i32 s11, s33, -1
	s_abs_i32 s7, s11
	v_mul_f32_e32 v2, 0x4f7ffffe, v2
	v_cvt_u32_f32_e32 v2, v2
	s_barrier
	v_readfirstlane_b32 s46, v2
	s_mul_i32 s0, s0, s46
	s_mul_hi_u32 s0, s46, s0
	s_add_i32 s46, s46, s0
	s_cmp_lt_i32 s3, 0
	s_mul_hi_u32 s16, s7, s46
	s_cbranch_scc0 .LBB294_6
; %bb.5:
	s_mul_i32 s0, s20, s36
	s_add_i32 s0, s2, s0
	s_mul_i32 s0, s0, s3
	s_sub_i32 s36, 1, s0
	s_mov_b64 s[0:1], 0
	s_branch .LBB294_7
.LBB294_6:
	s_mov_b64 s[0:1], -1
                                        ; implicit-def: $sgpr36
.LBB294_7:
	s_load_dwordx2 s[28:29], s[4:5], 0x28
	s_ashr_i32 s19, s11, 31
	s_andn2_b64 vcc, exec, s[0:1]
	s_ashr_i32 s47, s23, 31
	s_cbranch_vccnz .LBB294_9
; %bb.8:
	s_mul_i32 s0, s9, s20
	s_add_i32 s0, s0, s6
	s_mul_i32 s0, s0, s3
	s_add_i32 s36, s0, 1
.LBB294_9:
	s_load_dword s0, s[4:5], 0x38
	s_load_dwordx2 s[26:27], s[4:5], 0x0
	s_load_dwordx2 s[34:35], s[4:5], 0x18
	s_load_dword s11, s[4:5], 0x88
	s_load_dwordx4 s[12:15], s[4:5], 0x58
	s_mul_i32 s1, s16, s25
	s_waitcnt lgkmcnt(0)
	s_mul_i32 s30, s0, s10
	s_sub_i32 s1, s7, s1
	s_ashr_i32 s31, s30, 31
	s_xor_b32 s0, s19, s47
	s_add_i32 s3, s16, 1
	s_sub_i32 s6, s1, s25
	s_cmp_ge_u32 s1, s25
	s_cselect_b32 s3, s3, s16
	s_cselect_b32 s1, s6, s1
	s_add_i32 s6, s3, 1
	s_cmp_ge_u32 s1, s25
	s_cselect_b32 s1, s6, s3
	s_xor_b32 s1, s1, s0
	s_sub_i32 s16, s1, s0
	s_add_i32 s0, s33, 15
	s_ashr_i32 s1, s0, 31
	s_lshr_b32 s1, s1, 28
	s_add_i32 s0, s0, s1
	s_ashr_i32 s48, s0, 4
	v_lshrrev_b32_e32 v20, 6, v0
	v_cmp_le_i32_e64 s[0:1], s48, v20
	v_cmp_gt_i32_e32 vcc, s48, v20
	v_mov_b32_e32 v26, 0xff7fffff
	s_mul_i32 s20, s2, s18
	v_lshrrev_b32_e32 v19, 4, v0
	v_lshlrev_b32_e32 v21, 4, v20
	v_mbcnt_lo_u32_b32 v22, -1, 0
	s_and_saveexec_b64 s[18:19], vcc
	s_cbranch_execz .LBB294_141
; %bb.10:
	s_load_dwordx2 s[2:3], s[4:5], 0x10
	s_sub_i32 s23, s16, s21
	s_ashr_i32 s4, s20, 31
	v_cmp_eq_u32_e32 vcc, 0, v1
	v_bfe_u32 v23, v0, 2, 4
	s_waitcnt lgkmcnt(0)
	s_add_u32 s5, s2, s20
	s_addc_u32 s4, s3, s4
	s_abs_i32 s50, s22
	v_cvt_f32_u32_e32 v2, s50
	s_sub_i32 s2, 0, s50
	v_lshlrev_b32_e32 v3, 1, v1
	v_mul_u32_u24_e32 v24, 40, v1
	v_rcp_iflag_f32_e32 v2, v2
	v_lshlrev_b32_e32 v4, 4, v23
	v_mov_b32_e32 v5, s4
	v_add_co_u32_e64 v4, s[4:5], s5, v4
	v_mul_f32_e32 v2, 0x4f7ffffe, v2
	v_cvt_u32_f32_e32 v2, v2
	v_addc_co_u32_e64 v5, s[4:5], 0, v5, s[4:5]
	v_add_co_u32_e64 v9, s[4:5], v4, v3
	v_mul_lo_u32 v1, s2, v2
	v_addc_co_u32_e64 v10, s[4:5], 0, v5, s[4:5]
	s_lshl_b64 s[4:5], s[30:31], 2
	v_mul_hi_u32 v1, v2, v1
	s_add_u32 s4, s28, s4
	s_addc_u32 s5, s29, s5
	s_mov_b32 s51, s17
	v_add_u32_e32 v25, v2, v1
	v_and_b32_e32 v1, 60, v19
	v_mov_b32_e32 v2, s5
	v_add_co_u32_e64 v11, s[4:5], s4, v1
	v_subrev_u32_e32 v1, s33, v23
	v_add_u32_e32 v28, 1, v1
	v_lshlrev_b32_e32 v1, 2, v23
	v_lshl_or_b32 v1, v20, 6, v1
	v_cmp_neq_f32_e64 s[2:3], s49, 0
	v_addc_co_u32_e64 v12, s[4:5], 0, v2, s[4:5]
	v_lshlrev_b32_e32 v27, 4, v20
	v_add_u32_e32 v29, 0xb0, v1
	s_mov_b64 s[38:39], 0
	s_movk_i32 s52, 0x80
	s_movk_i32 s53, 0x7f
	;; [unrolled: 1-line block ×3, first 2 shown]
	v_mov_b32_e32 v30, 0
	v_bfrev_b32_e32 v31, 60
	v_mbcnt_hi_u32_b32 v32, -1, v22
	v_mov_b32_e32 v26, 0xff7fffff
	v_mov_b32_e32 v33, v20
	s_branch .LBB294_13
.LBB294_11:                             ;   in Loop: Header=BB294_13 Depth=1
	s_or_b64 exec, exec, s[40:41]
.LBB294_12:                             ;   in Loop: Header=BB294_13 Depth=1
	s_or_b64 exec, exec, s[6:7]
	v_add_co_u32_e64 v11, s[4:5], 8, v11
	v_add_u32_e32 v33, 2, v33
	v_addc_co_u32_e64 v12, s[4:5], 0, v12, s[4:5]
	v_cmp_le_i32_e64 s[4:5], s48, v33
	v_add_u32_e32 v27, 32, v27
	s_or_b64 s[38:39], s[4:5], s[38:39]
	v_add_u32_e32 v29, 0x80, v29
	s_andn2_b64 exec, exec, s[38:39]
	s_cbranch_execz .LBB294_140
.LBB294_13:                             ; =>This Inner Loop Header: Depth=1
	v_mul_hi_u32 v1, v27, s46
	s_waitcnt lgkmcnt(0)
	v_mul_lo_u32 v2, v1, s25
	v_add_u32_e32 v3, 1, v1
	v_sub_u32_e32 v2, v27, v2
	v_cmp_le_u32_e64 s[4:5], s25, v2
	v_cndmask_b32_e64 v1, v1, v3, s[4:5]
	v_subrev_u32_e32 v3, s25, v2
	v_cndmask_b32_e64 v2, v2, v3, s[4:5]
	v_add_u32_e32 v3, 1, v1
	v_cmp_le_u32_e64 s[4:5], s25, v2
	v_cndmask_b32_e64 v1, v1, v3, s[4:5]
	v_xor_b32_e32 v1, s47, v1
	v_subrev_u32_e32 v1, s47, v1
	v_add_u32_e32 v2, s36, v1
	v_sub_u32_e32 v3, 0, v2
	v_max_i32_e32 v3, v2, v3
	v_mul_hi_u32 v4, v3, v25
	v_ashrrev_i32_e32 v2, 31, v2
	v_cmp_ge_i32_e64 s[6:7], s23, v1
	v_mul_lo_u32 v4, v4, s50
	v_sub_u32_e32 v3, v3, v4
	v_subrev_u32_e32 v4, s50, v3
	v_cmp_le_u32_e64 s[4:5], s50, v3
	v_cndmask_b32_e64 v3, v3, v4, s[4:5]
	v_subrev_u32_e32 v4, s50, v3
	v_cmp_le_u32_e64 s[4:5], s50, v3
	v_cndmask_b32_e64 v3, v3, v4, s[4:5]
	v_xor_b32_e32 v3, v3, v2
	v_sub_u32_e32 v2, v3, v2
	v_cmp_ne_u32_e64 s[4:5], 0, v2
	s_and_b64 s[4:5], s[4:5], s[6:7]
	s_and_saveexec_b64 s[6:7], s[4:5]
	s_xor_b64 s[4:5], exec, s[6:7]
	s_cbranch_execz .LBB294_17
; %bb.14:                               ;   in Loop: Header=BB294_13 Depth=1
	s_and_saveexec_b64 s[6:7], vcc
; %bb.15:                               ;   in Loop: Header=BB294_13 Depth=1
	v_mov_b32_e32 v1, 0xff7fffff
	ds_write_b32 v29, v1
; %bb.16:                               ;   in Loop: Header=BB294_13 Depth=1
	s_or_b64 exec, exec, s[6:7]
.LBB294_17:                             ;   in Loop: Header=BB294_13 Depth=1
	s_andn2_saveexec_b64 s[6:7], s[4:5]
	s_cbranch_execz .LBB294_12
; %bb.18:                               ;   in Loop: Header=BB294_13 Depth=1
	global_load_dword v1, v[11:12], off
	v_mov_b32_e32 v35, 0
	v_mov_b32_e32 v34, 0
	s_waitcnt vmcnt(0)
	v_mad_i64_i32 v[15:16], s[4:5], v1, s51, v[9:10]
	global_load_ushort v18, v[15:16], off
	ds_read2_b64 v[5:8], v24 offset1:1
	ds_read2_b64 v[1:4], v24 offset0:2 offset1:3
	ds_read_b64 v[13:14], v24 offset:32
	s_load_dword s55, s[12:13], 0x0
	s_waitcnt vmcnt(0)
	v_and_b32_e32 v17, 0xffff, v18
	v_cmp_ne_u16_sdwa s[4:5], v18, v30 src0_sel:BYTE_0 src1_sel:DWORD
	s_and_saveexec_b64 s[40:41], s[4:5]
	s_cbranch_execz .LBB294_24
; %bb.19:                               ;   in Loop: Header=BB294_13 Depth=1
	v_cmp_ne_u16_sdwa s[4:5], v17, s52 src0_sel:BYTE_0 src1_sel:DWORD
	v_bfrev_b32_e32 v34, 1
	s_and_saveexec_b64 s[42:43], s[4:5]
	s_cbranch_execz .LBB294_23
; %bb.20:                               ;   in Loop: Header=BB294_13 Depth=1
	v_and_b32_e32 v18, 0x7f, v17
	v_cmp_ne_u32_e64 s[4:5], s53, v18
	v_mov_b32_e32 v34, 0x7f800001
	s_and_saveexec_b64 s[44:45], s[4:5]
	s_cbranch_execz .LBB294_22
; %bb.21:                               ;   in Loop: Header=BB294_13 Depth=1
	v_and_b32_e32 v34, 7, v17
	v_ffbh_u32_e32 v36, v34
	v_min_u32_e32 v39, 32, v36
	v_subrev_u32_e32 v36, 28, v39
	v_lshlrev_b64 v[36:37], v36, v[17:18]
	v_lshrrev_b32_e32 v38, 3, v18
	v_sub_u32_e32 v37, 29, v39
	v_and_b32_e32 v36, 7, v36
	v_cmp_gt_u32_e64 s[4:5], 8, v18
	v_cndmask_b32_e64 v18, v38, v37, s[4:5]
	v_cndmask_b32_e64 v34, v34, v36, s[4:5]
	v_lshlrev_b32_e32 v36, 24, v17
	v_lshlrev_b32_e32 v34, 20, v34
	v_and_b32_e32 v36, 0x80000000, v36
	v_lshl_add_u32 v18, v18, 23, v31
	v_or3_b32 v34, v36, v18, v34
.LBB294_22:                             ;   in Loop: Header=BB294_13 Depth=1
	s_or_b64 exec, exec, s[44:45]
.LBB294_23:                             ;   in Loop: Header=BB294_13 Depth=1
	s_or_b64 exec, exec, s[42:43]
.LBB294_24:                             ;   in Loop: Header=BB294_13 Depth=1
	s_or_b64 exec, exec, s[40:41]
	v_lshrrev_b16_e32 v18, 8, v17
	v_cmp_ne_u16_e64 s[4:5], 0, v18
	s_and_saveexec_b64 s[40:41], s[4:5]
	s_cbranch_execz .LBB294_30
; %bb.25:                               ;   in Loop: Header=BB294_13 Depth=1
	v_cmp_ne_u16_e64 s[4:5], s52, v18
	v_bfrev_b32_e32 v35, 1
	s_and_saveexec_b64 s[42:43], s[4:5]
	s_cbranch_execz .LBB294_29
; %bb.26:                               ;   in Loop: Header=BB294_13 Depth=1
	v_and_b32_e32 v36, 0x7f, v18
	v_cmp_ne_u32_e64 s[4:5], s53, v36
	v_mov_b32_e32 v35, 0x7f800001
	s_and_saveexec_b64 s[44:45], s[4:5]
	s_cbranch_execz .LBB294_28
; %bb.27:                               ;   in Loop: Header=BB294_13 Depth=1
	v_and_b32_e32 v35, 7, v18
	v_ffbh_u32_e32 v37, v35
	v_min_u32_e32 v40, 32, v37
	v_subrev_u32_e32 v37, 28, v40
	v_lshlrev_b64 v[37:38], v37, v[18:19]
	v_lshrrev_b32_e32 v39, 3, v36
	v_sub_u32_e32 v18, 29, v40
	v_and_b32_e32 v37, 7, v37
	v_cmp_gt_u32_e64 s[4:5], 8, v36
	v_cndmask_b32_e64 v18, v39, v18, s[4:5]
	v_cndmask_b32_e64 v35, v35, v37, s[4:5]
	v_lshlrev_b32_e32 v17, 16, v17
	v_lshlrev_b32_e32 v35, 20, v35
	v_and_b32_e32 v17, 0x80000000, v17
	v_lshl_add_u32 v18, v18, 23, v31
	v_or3_b32 v35, v17, v18, v35
.LBB294_28:                             ;   in Loop: Header=BB294_13 Depth=1
	s_or_b64 exec, exec, s[44:45]
.LBB294_29:                             ;   in Loop: Header=BB294_13 Depth=1
	s_or_b64 exec, exec, s[42:43]
.LBB294_30:                             ;   in Loop: Header=BB294_13 Depth=1
	s_or_b64 exec, exec, s[40:41]
	global_load_ushort v18, v[15:16], off offset:8
	v_mov_b32_e32 v37, 0
	v_mov_b32_e32 v36, 0
	s_waitcnt vmcnt(0)
	v_and_b32_e32 v17, 0xffff, v18
	v_cmp_ne_u16_sdwa s[4:5], v18, v30 src0_sel:BYTE_0 src1_sel:DWORD
	s_and_saveexec_b64 s[40:41], s[4:5]
	s_cbranch_execz .LBB294_36
; %bb.31:                               ;   in Loop: Header=BB294_13 Depth=1
	v_cmp_ne_u16_sdwa s[4:5], v17, s52 src0_sel:BYTE_0 src1_sel:DWORD
	v_bfrev_b32_e32 v36, 1
	s_and_saveexec_b64 s[42:43], s[4:5]
	s_cbranch_execz .LBB294_35
; %bb.32:                               ;   in Loop: Header=BB294_13 Depth=1
	v_and_b32_e32 v18, 0x7f, v17
	v_cmp_ne_u32_e64 s[4:5], s53, v18
	v_mov_b32_e32 v36, 0x7f800001
	s_and_saveexec_b64 s[44:45], s[4:5]
	s_cbranch_execz .LBB294_34
; %bb.33:                               ;   in Loop: Header=BB294_13 Depth=1
	v_and_b32_e32 v36, 7, v17
	v_ffbh_u32_e32 v38, v36
	v_min_u32_e32 v41, 32, v38
	v_subrev_u32_e32 v38, 28, v41
	v_lshlrev_b64 v[38:39], v38, v[17:18]
	v_lshrrev_b32_e32 v40, 3, v18
	v_sub_u32_e32 v39, 29, v41
	v_and_b32_e32 v38, 7, v38
	v_cmp_gt_u32_e64 s[4:5], 8, v18
	v_cndmask_b32_e64 v18, v40, v39, s[4:5]
	v_cndmask_b32_e64 v36, v36, v38, s[4:5]
	v_lshlrev_b32_e32 v38, 24, v17
	v_lshlrev_b32_e32 v36, 20, v36
	v_and_b32_e32 v38, 0x80000000, v38
	v_lshl_add_u32 v18, v18, 23, v31
	v_or3_b32 v36, v38, v18, v36
.LBB294_34:                             ;   in Loop: Header=BB294_13 Depth=1
	s_or_b64 exec, exec, s[44:45]
.LBB294_35:                             ;   in Loop: Header=BB294_13 Depth=1
	s_or_b64 exec, exec, s[42:43]
.LBB294_36:                             ;   in Loop: Header=BB294_13 Depth=1
	s_or_b64 exec, exec, s[40:41]
	v_lshrrev_b16_e32 v18, 8, v17
	v_cmp_ne_u16_e64 s[4:5], 0, v18
	s_and_saveexec_b64 s[40:41], s[4:5]
	s_cbranch_execz .LBB294_42
; %bb.37:                               ;   in Loop: Header=BB294_13 Depth=1
	v_cmp_ne_u16_e64 s[4:5], s52, v18
	v_bfrev_b32_e32 v37, 1
	s_and_saveexec_b64 s[42:43], s[4:5]
	s_cbranch_execz .LBB294_41
; %bb.38:                               ;   in Loop: Header=BB294_13 Depth=1
	v_and_b32_e32 v38, 0x7f, v18
	v_cmp_ne_u32_e64 s[4:5], s53, v38
	v_mov_b32_e32 v37, 0x7f800001
	s_and_saveexec_b64 s[44:45], s[4:5]
	s_cbranch_execz .LBB294_40
; %bb.39:                               ;   in Loop: Header=BB294_13 Depth=1
	v_and_b32_e32 v37, 7, v18
	v_ffbh_u32_e32 v39, v37
	v_min_u32_e32 v42, 32, v39
	v_subrev_u32_e32 v39, 28, v42
	v_lshlrev_b64 v[39:40], v39, v[18:19]
	v_lshrrev_b32_e32 v41, 3, v38
	v_sub_u32_e32 v18, 29, v42
	v_and_b32_e32 v39, 7, v39
	v_cmp_gt_u32_e64 s[4:5], 8, v38
	v_cndmask_b32_e64 v18, v41, v18, s[4:5]
	v_cndmask_b32_e64 v37, v37, v39, s[4:5]
	v_lshlrev_b32_e32 v17, 16, v17
	v_lshlrev_b32_e32 v37, 20, v37
	v_and_b32_e32 v17, 0x80000000, v17
	v_lshl_add_u32 v18, v18, 23, v31
	v_or3_b32 v37, v17, v18, v37
.LBB294_40:                             ;   in Loop: Header=BB294_13 Depth=1
	s_or_b64 exec, exec, s[44:45]
.LBB294_41:                             ;   in Loop: Header=BB294_13 Depth=1
	s_or_b64 exec, exec, s[42:43]
.LBB294_42:                             ;   in Loop: Header=BB294_13 Depth=1
	s_or_b64 exec, exec, s[40:41]
	global_load_ushort v18, v[15:16], off offset:256
	v_mov_b32_e32 v39, 0
	v_mov_b32_e32 v38, 0
	s_waitcnt vmcnt(0)
	v_and_b32_e32 v17, 0xffff, v18
	v_cmp_ne_u16_sdwa s[4:5], v18, v30 src0_sel:BYTE_0 src1_sel:DWORD
	s_and_saveexec_b64 s[40:41], s[4:5]
	s_cbranch_execz .LBB294_48
; %bb.43:                               ;   in Loop: Header=BB294_13 Depth=1
	v_cmp_ne_u16_sdwa s[4:5], v17, s52 src0_sel:BYTE_0 src1_sel:DWORD
	v_bfrev_b32_e32 v38, 1
	s_and_saveexec_b64 s[42:43], s[4:5]
	s_cbranch_execz .LBB294_47
; %bb.44:                               ;   in Loop: Header=BB294_13 Depth=1
	v_and_b32_e32 v18, 0x7f, v17
	v_cmp_ne_u32_e64 s[4:5], s53, v18
	v_mov_b32_e32 v38, 0x7f800001
	s_and_saveexec_b64 s[44:45], s[4:5]
	s_cbranch_execz .LBB294_46
; %bb.45:                               ;   in Loop: Header=BB294_13 Depth=1
	v_and_b32_e32 v38, 7, v17
	v_ffbh_u32_e32 v40, v38
	v_min_u32_e32 v43, 32, v40
	v_subrev_u32_e32 v40, 28, v43
	v_lshlrev_b64 v[40:41], v40, v[17:18]
	v_lshrrev_b32_e32 v42, 3, v18
	v_sub_u32_e32 v41, 29, v43
	v_and_b32_e32 v40, 7, v40
	v_cmp_gt_u32_e64 s[4:5], 8, v18
	v_cndmask_b32_e64 v18, v42, v41, s[4:5]
	v_cndmask_b32_e64 v38, v38, v40, s[4:5]
	v_lshlrev_b32_e32 v40, 24, v17
	v_lshlrev_b32_e32 v38, 20, v38
	v_and_b32_e32 v40, 0x80000000, v40
	v_lshl_add_u32 v18, v18, 23, v31
	v_or3_b32 v38, v40, v18, v38
.LBB294_46:                             ;   in Loop: Header=BB294_13 Depth=1
	s_or_b64 exec, exec, s[44:45]
.LBB294_47:                             ;   in Loop: Header=BB294_13 Depth=1
	s_or_b64 exec, exec, s[42:43]
.LBB294_48:                             ;   in Loop: Header=BB294_13 Depth=1
	s_or_b64 exec, exec, s[40:41]
	v_lshrrev_b16_e32 v18, 8, v17
	v_cmp_ne_u16_e64 s[4:5], 0, v18
	s_and_saveexec_b64 s[40:41], s[4:5]
	s_cbranch_execz .LBB294_54
; %bb.49:                               ;   in Loop: Header=BB294_13 Depth=1
	v_cmp_ne_u16_e64 s[4:5], s52, v18
	v_bfrev_b32_e32 v39, 1
	s_and_saveexec_b64 s[42:43], s[4:5]
	s_cbranch_execz .LBB294_53
; %bb.50:                               ;   in Loop: Header=BB294_13 Depth=1
	v_and_b32_e32 v40, 0x7f, v18
	v_cmp_ne_u32_e64 s[4:5], s53, v40
	v_mov_b32_e32 v39, 0x7f800001
	s_and_saveexec_b64 s[44:45], s[4:5]
	s_cbranch_execz .LBB294_52
; %bb.51:                               ;   in Loop: Header=BB294_13 Depth=1
	v_and_b32_e32 v39, 7, v18
	v_ffbh_u32_e32 v41, v39
	v_min_u32_e32 v44, 32, v41
	v_subrev_u32_e32 v41, 28, v44
	v_lshlrev_b64 v[41:42], v41, v[18:19]
	v_lshrrev_b32_e32 v43, 3, v40
	v_sub_u32_e32 v18, 29, v44
	v_and_b32_e32 v41, 7, v41
	v_cmp_gt_u32_e64 s[4:5], 8, v40
	v_cndmask_b32_e64 v18, v43, v18, s[4:5]
	v_cndmask_b32_e64 v39, v39, v41, s[4:5]
	v_lshlrev_b32_e32 v17, 16, v17
	v_lshlrev_b32_e32 v39, 20, v39
	v_and_b32_e32 v17, 0x80000000, v17
	v_lshl_add_u32 v18, v18, 23, v31
	v_or3_b32 v39, v17, v18, v39
.LBB294_52:                             ;   in Loop: Header=BB294_13 Depth=1
	s_or_b64 exec, exec, s[44:45]
.LBB294_53:                             ;   in Loop: Header=BB294_13 Depth=1
	s_or_b64 exec, exec, s[42:43]
.LBB294_54:                             ;   in Loop: Header=BB294_13 Depth=1
	s_or_b64 exec, exec, s[40:41]
	global_load_ushort v18, v[15:16], off offset:264
	v_mov_b32_e32 v41, 0
	v_mov_b32_e32 v40, 0
	s_waitcnt vmcnt(0)
	v_and_b32_e32 v17, 0xffff, v18
	v_cmp_ne_u16_sdwa s[4:5], v18, v30 src0_sel:BYTE_0 src1_sel:DWORD
	s_and_saveexec_b64 s[40:41], s[4:5]
	s_cbranch_execz .LBB294_60
; %bb.55:                               ;   in Loop: Header=BB294_13 Depth=1
	v_cmp_ne_u16_sdwa s[4:5], v17, s52 src0_sel:BYTE_0 src1_sel:DWORD
	v_bfrev_b32_e32 v40, 1
	s_and_saveexec_b64 s[42:43], s[4:5]
	s_cbranch_execz .LBB294_59
; %bb.56:                               ;   in Loop: Header=BB294_13 Depth=1
	v_and_b32_e32 v18, 0x7f, v17
	v_cmp_ne_u32_e64 s[4:5], s53, v18
	v_mov_b32_e32 v40, 0x7f800001
	s_and_saveexec_b64 s[44:45], s[4:5]
	s_cbranch_execz .LBB294_58
; %bb.57:                               ;   in Loop: Header=BB294_13 Depth=1
	v_and_b32_e32 v40, 7, v17
	v_ffbh_u32_e32 v42, v40
	v_min_u32_e32 v45, 32, v42
	v_subrev_u32_e32 v42, 28, v45
	v_lshlrev_b64 v[42:43], v42, v[17:18]
	v_lshrrev_b32_e32 v44, 3, v18
	v_sub_u32_e32 v43, 29, v45
	v_and_b32_e32 v42, 7, v42
	v_cmp_gt_u32_e64 s[4:5], 8, v18
	v_cndmask_b32_e64 v18, v44, v43, s[4:5]
	v_cndmask_b32_e64 v40, v40, v42, s[4:5]
	v_lshlrev_b32_e32 v42, 24, v17
	v_lshlrev_b32_e32 v40, 20, v40
	v_and_b32_e32 v42, 0x80000000, v42
	v_lshl_add_u32 v18, v18, 23, v31
	v_or3_b32 v40, v42, v18, v40
.LBB294_58:                             ;   in Loop: Header=BB294_13 Depth=1
	s_or_b64 exec, exec, s[44:45]
.LBB294_59:                             ;   in Loop: Header=BB294_13 Depth=1
	s_or_b64 exec, exec, s[42:43]
.LBB294_60:                             ;   in Loop: Header=BB294_13 Depth=1
	s_or_b64 exec, exec, s[40:41]
	v_lshrrev_b16_e32 v18, 8, v17
	v_cmp_ne_u16_e64 s[4:5], 0, v18
	s_and_saveexec_b64 s[40:41], s[4:5]
	s_cbranch_execz .LBB294_66
; %bb.61:                               ;   in Loop: Header=BB294_13 Depth=1
	v_cmp_ne_u16_e64 s[4:5], s52, v18
	v_bfrev_b32_e32 v41, 1
	s_and_saveexec_b64 s[42:43], s[4:5]
	s_cbranch_execz .LBB294_65
; %bb.62:                               ;   in Loop: Header=BB294_13 Depth=1
	v_and_b32_e32 v42, 0x7f, v18
	v_cmp_ne_u32_e64 s[4:5], s53, v42
	v_mov_b32_e32 v41, 0x7f800001
	s_and_saveexec_b64 s[44:45], s[4:5]
	s_cbranch_execz .LBB294_64
; %bb.63:                               ;   in Loop: Header=BB294_13 Depth=1
	v_and_b32_e32 v41, 7, v18
	v_ffbh_u32_e32 v43, v41
	v_min_u32_e32 v46, 32, v43
	v_subrev_u32_e32 v43, 28, v46
	v_lshlrev_b64 v[43:44], v43, v[18:19]
	v_lshrrev_b32_e32 v45, 3, v42
	v_sub_u32_e32 v18, 29, v46
	v_and_b32_e32 v43, 7, v43
	v_cmp_gt_u32_e64 s[4:5], 8, v42
	v_cndmask_b32_e64 v18, v45, v18, s[4:5]
	v_cndmask_b32_e64 v41, v41, v43, s[4:5]
	v_lshlrev_b32_e32 v17, 16, v17
	v_lshlrev_b32_e32 v41, 20, v41
	v_and_b32_e32 v17, 0x80000000, v17
	v_lshl_add_u32 v18, v18, 23, v31
	v_or3_b32 v41, v17, v18, v41
.LBB294_64:                             ;   in Loop: Header=BB294_13 Depth=1
	s_or_b64 exec, exec, s[44:45]
.LBB294_65:                             ;   in Loop: Header=BB294_13 Depth=1
	s_or_b64 exec, exec, s[42:43]
.LBB294_66:                             ;   in Loop: Header=BB294_13 Depth=1
	s_or_b64 exec, exec, s[40:41]
	global_load_ushort v18, v[15:16], off offset:512
	v_mov_b32_e32 v43, 0
	v_mov_b32_e32 v42, 0
	s_waitcnt vmcnt(0)
	v_and_b32_e32 v17, 0xffff, v18
	v_cmp_ne_u16_sdwa s[4:5], v18, v30 src0_sel:BYTE_0 src1_sel:DWORD
	s_and_saveexec_b64 s[40:41], s[4:5]
	s_cbranch_execz .LBB294_72
; %bb.67:                               ;   in Loop: Header=BB294_13 Depth=1
	v_cmp_ne_u16_sdwa s[4:5], v17, s52 src0_sel:BYTE_0 src1_sel:DWORD
	v_bfrev_b32_e32 v42, 1
	s_and_saveexec_b64 s[42:43], s[4:5]
	s_cbranch_execz .LBB294_71
; %bb.68:                               ;   in Loop: Header=BB294_13 Depth=1
	v_and_b32_e32 v18, 0x7f, v17
	v_cmp_ne_u32_e64 s[4:5], s53, v18
	v_mov_b32_e32 v42, 0x7f800001
	s_and_saveexec_b64 s[44:45], s[4:5]
	s_cbranch_execz .LBB294_70
; %bb.69:                               ;   in Loop: Header=BB294_13 Depth=1
	v_and_b32_e32 v42, 7, v17
	v_ffbh_u32_e32 v44, v42
	v_min_u32_e32 v47, 32, v44
	v_subrev_u32_e32 v44, 28, v47
	v_lshlrev_b64 v[44:45], v44, v[17:18]
	v_lshrrev_b32_e32 v46, 3, v18
	v_sub_u32_e32 v45, 29, v47
	v_and_b32_e32 v44, 7, v44
	v_cmp_gt_u32_e64 s[4:5], 8, v18
	v_cndmask_b32_e64 v18, v46, v45, s[4:5]
	v_cndmask_b32_e64 v42, v42, v44, s[4:5]
	v_lshlrev_b32_e32 v44, 24, v17
	v_lshlrev_b32_e32 v42, 20, v42
	v_and_b32_e32 v44, 0x80000000, v44
	v_lshl_add_u32 v18, v18, 23, v31
	v_or3_b32 v42, v44, v18, v42
.LBB294_70:                             ;   in Loop: Header=BB294_13 Depth=1
	s_or_b64 exec, exec, s[44:45]
.LBB294_71:                             ;   in Loop: Header=BB294_13 Depth=1
	s_or_b64 exec, exec, s[42:43]
.LBB294_72:                             ;   in Loop: Header=BB294_13 Depth=1
	s_or_b64 exec, exec, s[40:41]
	v_lshrrev_b16_e32 v18, 8, v17
	v_cmp_ne_u16_e64 s[4:5], 0, v18
	s_and_saveexec_b64 s[40:41], s[4:5]
	s_cbranch_execz .LBB294_78
; %bb.73:                               ;   in Loop: Header=BB294_13 Depth=1
	v_cmp_ne_u16_e64 s[4:5], s52, v18
	v_bfrev_b32_e32 v43, 1
	s_and_saveexec_b64 s[42:43], s[4:5]
	s_cbranch_execz .LBB294_77
; %bb.74:                               ;   in Loop: Header=BB294_13 Depth=1
	v_and_b32_e32 v44, 0x7f, v18
	v_cmp_ne_u32_e64 s[4:5], s53, v44
	v_mov_b32_e32 v43, 0x7f800001
	s_and_saveexec_b64 s[44:45], s[4:5]
	s_cbranch_execz .LBB294_76
; %bb.75:                               ;   in Loop: Header=BB294_13 Depth=1
	v_and_b32_e32 v43, 7, v18
	v_ffbh_u32_e32 v45, v43
	v_min_u32_e32 v48, 32, v45
	v_subrev_u32_e32 v45, 28, v48
	v_lshlrev_b64 v[45:46], v45, v[18:19]
	v_lshrrev_b32_e32 v47, 3, v44
	v_sub_u32_e32 v18, 29, v48
	v_and_b32_e32 v45, 7, v45
	v_cmp_gt_u32_e64 s[4:5], 8, v44
	v_cndmask_b32_e64 v18, v47, v18, s[4:5]
	v_cndmask_b32_e64 v43, v43, v45, s[4:5]
	v_lshlrev_b32_e32 v17, 16, v17
	v_lshlrev_b32_e32 v43, 20, v43
	v_and_b32_e32 v17, 0x80000000, v17
	v_lshl_add_u32 v18, v18, 23, v31
	v_or3_b32 v43, v17, v18, v43
.LBB294_76:                             ;   in Loop: Header=BB294_13 Depth=1
	s_or_b64 exec, exec, s[44:45]
.LBB294_77:                             ;   in Loop: Header=BB294_13 Depth=1
	s_or_b64 exec, exec, s[42:43]
.LBB294_78:                             ;   in Loop: Header=BB294_13 Depth=1
	s_or_b64 exec, exec, s[40:41]
	global_load_ushort v18, v[15:16], off offset:520
	v_mov_b32_e32 v45, 0
	v_mov_b32_e32 v44, 0
	s_waitcnt vmcnt(0)
	v_and_b32_e32 v17, 0xffff, v18
	v_cmp_ne_u16_sdwa s[4:5], v18, v30 src0_sel:BYTE_0 src1_sel:DWORD
	s_and_saveexec_b64 s[40:41], s[4:5]
	s_cbranch_execz .LBB294_84
; %bb.79:                               ;   in Loop: Header=BB294_13 Depth=1
	v_cmp_ne_u16_sdwa s[4:5], v17, s52 src0_sel:BYTE_0 src1_sel:DWORD
	v_bfrev_b32_e32 v44, 1
	s_and_saveexec_b64 s[42:43], s[4:5]
	s_cbranch_execz .LBB294_83
; %bb.80:                               ;   in Loop: Header=BB294_13 Depth=1
	v_and_b32_e32 v18, 0x7f, v17
	v_cmp_ne_u32_e64 s[4:5], s53, v18
	v_mov_b32_e32 v44, 0x7f800001
	s_and_saveexec_b64 s[44:45], s[4:5]
	s_cbranch_execz .LBB294_82
; %bb.81:                               ;   in Loop: Header=BB294_13 Depth=1
	v_and_b32_e32 v44, 7, v17
	v_ffbh_u32_e32 v46, v44
	v_min_u32_e32 v49, 32, v46
	v_subrev_u32_e32 v46, 28, v49
	v_lshlrev_b64 v[46:47], v46, v[17:18]
	v_lshrrev_b32_e32 v48, 3, v18
	v_sub_u32_e32 v47, 29, v49
	v_and_b32_e32 v46, 7, v46
	v_cmp_gt_u32_e64 s[4:5], 8, v18
	v_cndmask_b32_e64 v18, v48, v47, s[4:5]
	v_cndmask_b32_e64 v44, v44, v46, s[4:5]
	v_lshlrev_b32_e32 v46, 24, v17
	v_lshlrev_b32_e32 v44, 20, v44
	v_and_b32_e32 v46, 0x80000000, v46
	v_lshl_add_u32 v18, v18, 23, v31
	v_or3_b32 v44, v46, v18, v44
.LBB294_82:                             ;   in Loop: Header=BB294_13 Depth=1
	s_or_b64 exec, exec, s[44:45]
.LBB294_83:                             ;   in Loop: Header=BB294_13 Depth=1
	s_or_b64 exec, exec, s[42:43]
.LBB294_84:                             ;   in Loop: Header=BB294_13 Depth=1
	s_or_b64 exec, exec, s[40:41]
	v_lshrrev_b16_e32 v18, 8, v17
	v_cmp_ne_u16_e64 s[4:5], 0, v18
	s_and_saveexec_b64 s[40:41], s[4:5]
	s_cbranch_execz .LBB294_90
; %bb.85:                               ;   in Loop: Header=BB294_13 Depth=1
	v_cmp_ne_u16_e64 s[4:5], s52, v18
	v_bfrev_b32_e32 v45, 1
	s_and_saveexec_b64 s[42:43], s[4:5]
	s_cbranch_execz .LBB294_89
; %bb.86:                               ;   in Loop: Header=BB294_13 Depth=1
	v_and_b32_e32 v46, 0x7f, v18
	v_cmp_ne_u32_e64 s[4:5], s53, v46
	v_mov_b32_e32 v45, 0x7f800001
	s_and_saveexec_b64 s[44:45], s[4:5]
	s_cbranch_execz .LBB294_88
; %bb.87:                               ;   in Loop: Header=BB294_13 Depth=1
	v_and_b32_e32 v45, 7, v18
	v_ffbh_u32_e32 v47, v45
	v_min_u32_e32 v50, 32, v47
	v_subrev_u32_e32 v47, 28, v50
	v_lshlrev_b64 v[47:48], v47, v[18:19]
	v_lshrrev_b32_e32 v49, 3, v46
	v_sub_u32_e32 v18, 29, v50
	v_and_b32_e32 v47, 7, v47
	v_cmp_gt_u32_e64 s[4:5], 8, v46
	v_cndmask_b32_e64 v18, v49, v18, s[4:5]
	v_cndmask_b32_e64 v45, v45, v47, s[4:5]
	v_lshlrev_b32_e32 v17, 16, v17
	v_lshlrev_b32_e32 v45, 20, v45
	v_and_b32_e32 v17, 0x80000000, v17
	v_lshl_add_u32 v18, v18, 23, v31
	v_or3_b32 v45, v17, v18, v45
.LBB294_88:                             ;   in Loop: Header=BB294_13 Depth=1
	s_or_b64 exec, exec, s[44:45]
.LBB294_89:                             ;   in Loop: Header=BB294_13 Depth=1
	s_or_b64 exec, exec, s[42:43]
.LBB294_90:                             ;   in Loop: Header=BB294_13 Depth=1
	s_or_b64 exec, exec, s[40:41]
	global_load_ushort v18, v[15:16], off offset:768
	v_mov_b32_e32 v47, 0
	v_mov_b32_e32 v46, 0
	s_waitcnt vmcnt(0)
	v_and_b32_e32 v17, 0xffff, v18
	v_cmp_ne_u16_sdwa s[4:5], v18, v30 src0_sel:BYTE_0 src1_sel:DWORD
	s_and_saveexec_b64 s[40:41], s[4:5]
	s_cbranch_execz .LBB294_96
; %bb.91:                               ;   in Loop: Header=BB294_13 Depth=1
	v_cmp_ne_u16_sdwa s[4:5], v17, s52 src0_sel:BYTE_0 src1_sel:DWORD
	v_bfrev_b32_e32 v46, 1
	s_and_saveexec_b64 s[42:43], s[4:5]
	s_cbranch_execz .LBB294_95
; %bb.92:                               ;   in Loop: Header=BB294_13 Depth=1
	v_and_b32_e32 v18, 0x7f, v17
	v_cmp_ne_u32_e64 s[4:5], s53, v18
	v_mov_b32_e32 v46, 0x7f800001
	s_and_saveexec_b64 s[44:45], s[4:5]
	s_cbranch_execz .LBB294_94
; %bb.93:                               ;   in Loop: Header=BB294_13 Depth=1
	v_and_b32_e32 v46, 7, v17
	v_ffbh_u32_e32 v48, v46
	v_min_u32_e32 v51, 32, v48
	v_subrev_u32_e32 v48, 28, v51
	v_lshlrev_b64 v[48:49], v48, v[17:18]
	v_lshrrev_b32_e32 v50, 3, v18
	v_sub_u32_e32 v49, 29, v51
	v_and_b32_e32 v48, 7, v48
	v_cmp_gt_u32_e64 s[4:5], 8, v18
	v_cndmask_b32_e64 v18, v50, v49, s[4:5]
	v_cndmask_b32_e64 v46, v46, v48, s[4:5]
	v_lshlrev_b32_e32 v48, 24, v17
	v_lshlrev_b32_e32 v46, 20, v46
	v_and_b32_e32 v48, 0x80000000, v48
	v_lshl_add_u32 v18, v18, 23, v31
	v_or3_b32 v46, v48, v18, v46
.LBB294_94:                             ;   in Loop: Header=BB294_13 Depth=1
	s_or_b64 exec, exec, s[44:45]
.LBB294_95:                             ;   in Loop: Header=BB294_13 Depth=1
	s_or_b64 exec, exec, s[42:43]
.LBB294_96:                             ;   in Loop: Header=BB294_13 Depth=1
	s_or_b64 exec, exec, s[40:41]
	v_lshrrev_b16_e32 v18, 8, v17
	v_cmp_ne_u16_e64 s[4:5], 0, v18
	s_and_saveexec_b64 s[40:41], s[4:5]
	s_cbranch_execz .LBB294_102
; %bb.97:                               ;   in Loop: Header=BB294_13 Depth=1
	v_cmp_ne_u16_e64 s[4:5], s52, v18
	v_bfrev_b32_e32 v47, 1
	s_and_saveexec_b64 s[42:43], s[4:5]
	s_cbranch_execz .LBB294_101
; %bb.98:                               ;   in Loop: Header=BB294_13 Depth=1
	v_and_b32_e32 v48, 0x7f, v18
	v_cmp_ne_u32_e64 s[4:5], s53, v48
	v_mov_b32_e32 v47, 0x7f800001
	s_and_saveexec_b64 s[44:45], s[4:5]
	s_cbranch_execz .LBB294_100
; %bb.99:                               ;   in Loop: Header=BB294_13 Depth=1
	v_and_b32_e32 v47, 7, v18
	v_ffbh_u32_e32 v49, v47
	v_min_u32_e32 v52, 32, v49
	v_subrev_u32_e32 v49, 28, v52
	v_lshlrev_b64 v[49:50], v49, v[18:19]
	v_lshrrev_b32_e32 v51, 3, v48
	v_sub_u32_e32 v18, 29, v52
	v_and_b32_e32 v49, 7, v49
	v_cmp_gt_u32_e64 s[4:5], 8, v48
	v_cndmask_b32_e64 v18, v51, v18, s[4:5]
	v_cndmask_b32_e64 v47, v47, v49, s[4:5]
	v_lshlrev_b32_e32 v17, 16, v17
	v_lshlrev_b32_e32 v47, 20, v47
	v_and_b32_e32 v17, 0x80000000, v17
	v_lshl_add_u32 v18, v18, 23, v31
	v_or3_b32 v47, v17, v18, v47
.LBB294_100:                            ;   in Loop: Header=BB294_13 Depth=1
	s_or_b64 exec, exec, s[44:45]
.LBB294_101:                            ;   in Loop: Header=BB294_13 Depth=1
	s_or_b64 exec, exec, s[42:43]
.LBB294_102:                            ;   in Loop: Header=BB294_13 Depth=1
	s_or_b64 exec, exec, s[40:41]
	global_load_ushort v18, v[15:16], off offset:776
	v_mov_b32_e32 v49, 0
	v_mov_b32_e32 v48, 0
	s_waitcnt vmcnt(0)
	v_and_b32_e32 v17, 0xffff, v18
	v_cmp_ne_u16_sdwa s[4:5], v18, v30 src0_sel:BYTE_0 src1_sel:DWORD
	s_and_saveexec_b64 s[40:41], s[4:5]
	s_cbranch_execz .LBB294_108
; %bb.103:                              ;   in Loop: Header=BB294_13 Depth=1
	v_cmp_ne_u16_sdwa s[4:5], v17, s52 src0_sel:BYTE_0 src1_sel:DWORD
	v_bfrev_b32_e32 v48, 1
	s_and_saveexec_b64 s[42:43], s[4:5]
	s_cbranch_execz .LBB294_107
; %bb.104:                              ;   in Loop: Header=BB294_13 Depth=1
	v_and_b32_e32 v18, 0x7f, v17
	v_cmp_ne_u32_e64 s[4:5], s53, v18
	v_mov_b32_e32 v48, 0x7f800001
	s_and_saveexec_b64 s[44:45], s[4:5]
	s_cbranch_execz .LBB294_106
; %bb.105:                              ;   in Loop: Header=BB294_13 Depth=1
	v_and_b32_e32 v48, 7, v17
	v_ffbh_u32_e32 v50, v48
	v_min_u32_e32 v53, 32, v50
	v_subrev_u32_e32 v50, 28, v53
	v_lshlrev_b64 v[50:51], v50, v[17:18]
	v_lshrrev_b32_e32 v52, 3, v18
	v_sub_u32_e32 v51, 29, v53
	v_and_b32_e32 v50, 7, v50
	v_cmp_gt_u32_e64 s[4:5], 8, v18
	v_cndmask_b32_e64 v18, v52, v51, s[4:5]
	v_cndmask_b32_e64 v48, v48, v50, s[4:5]
	v_lshlrev_b32_e32 v50, 24, v17
	v_lshlrev_b32_e32 v48, 20, v48
	v_and_b32_e32 v50, 0x80000000, v50
	v_lshl_add_u32 v18, v18, 23, v31
	v_or3_b32 v48, v50, v18, v48
.LBB294_106:                            ;   in Loop: Header=BB294_13 Depth=1
	s_or_b64 exec, exec, s[44:45]
.LBB294_107:                            ;   in Loop: Header=BB294_13 Depth=1
	s_or_b64 exec, exec, s[42:43]
.LBB294_108:                            ;   in Loop: Header=BB294_13 Depth=1
	s_or_b64 exec, exec, s[40:41]
	v_lshrrev_b16_e32 v18, 8, v17
	v_cmp_ne_u16_e64 s[4:5], 0, v18
	s_and_saveexec_b64 s[40:41], s[4:5]
	s_cbranch_execz .LBB294_114
; %bb.109:                              ;   in Loop: Header=BB294_13 Depth=1
	v_cmp_ne_u16_e64 s[4:5], s52, v18
	v_bfrev_b32_e32 v49, 1
	s_and_saveexec_b64 s[42:43], s[4:5]
	s_cbranch_execz .LBB294_113
; %bb.110:                              ;   in Loop: Header=BB294_13 Depth=1
	v_and_b32_e32 v50, 0x7f, v18
	v_cmp_ne_u32_e64 s[4:5], s53, v50
	v_mov_b32_e32 v49, 0x7f800001
	s_and_saveexec_b64 s[44:45], s[4:5]
	s_cbranch_execz .LBB294_112
; %bb.111:                              ;   in Loop: Header=BB294_13 Depth=1
	v_and_b32_e32 v49, 7, v18
	v_ffbh_u32_e32 v51, v49
	v_min_u32_e32 v54, 32, v51
	v_subrev_u32_e32 v51, 28, v54
	v_lshlrev_b64 v[51:52], v51, v[18:19]
	v_lshrrev_b32_e32 v53, 3, v50
	v_sub_u32_e32 v18, 29, v54
	v_and_b32_e32 v51, 7, v51
	v_cmp_gt_u32_e64 s[4:5], 8, v50
	v_cndmask_b32_e64 v18, v53, v18, s[4:5]
	v_cndmask_b32_e64 v49, v49, v51, s[4:5]
	v_lshlrev_b32_e32 v17, 16, v17
	v_lshlrev_b32_e32 v49, 20, v49
	v_and_b32_e32 v17, 0x80000000, v17
	v_lshl_add_u32 v18, v18, 23, v31
	v_or3_b32 v49, v17, v18, v49
.LBB294_112:                            ;   in Loop: Header=BB294_13 Depth=1
	s_or_b64 exec, exec, s[44:45]
.LBB294_113:                            ;   in Loop: Header=BB294_13 Depth=1
	s_or_b64 exec, exec, s[42:43]
.LBB294_114:                            ;   in Loop: Header=BB294_13 Depth=1
	s_or_b64 exec, exec, s[40:41]
	global_load_ushort v18, v[15:16], off offset:1024
	v_mov_b32_e32 v51, 0
	v_mov_b32_e32 v50, 0
	s_waitcnt vmcnt(0)
	v_and_b32_e32 v17, 0xffff, v18
	v_cmp_ne_u16_sdwa s[4:5], v18, v30 src0_sel:BYTE_0 src1_sel:DWORD
	s_and_saveexec_b64 s[40:41], s[4:5]
	s_cbranch_execz .LBB294_120
; %bb.115:                              ;   in Loop: Header=BB294_13 Depth=1
	v_cmp_ne_u16_sdwa s[4:5], v17, s52 src0_sel:BYTE_0 src1_sel:DWORD
	v_bfrev_b32_e32 v50, 1
	s_and_saveexec_b64 s[42:43], s[4:5]
	s_cbranch_execz .LBB294_119
; %bb.116:                              ;   in Loop: Header=BB294_13 Depth=1
	v_and_b32_e32 v18, 0x7f, v17
	v_cmp_ne_u32_e64 s[4:5], s53, v18
	v_mov_b32_e32 v50, 0x7f800001
	s_and_saveexec_b64 s[44:45], s[4:5]
	s_cbranch_execz .LBB294_118
; %bb.117:                              ;   in Loop: Header=BB294_13 Depth=1
	v_and_b32_e32 v50, 7, v17
	v_ffbh_u32_e32 v52, v50
	v_min_u32_e32 v55, 32, v52
	v_subrev_u32_e32 v52, 28, v55
	v_lshlrev_b64 v[52:53], v52, v[17:18]
	v_lshrrev_b32_e32 v54, 3, v18
	v_sub_u32_e32 v53, 29, v55
	v_and_b32_e32 v52, 7, v52
	v_cmp_gt_u32_e64 s[4:5], 8, v18
	v_cndmask_b32_e64 v18, v54, v53, s[4:5]
	v_cndmask_b32_e64 v50, v50, v52, s[4:5]
	v_lshlrev_b32_e32 v52, 24, v17
	v_lshlrev_b32_e32 v50, 20, v50
	v_and_b32_e32 v52, 0x80000000, v52
	v_lshl_add_u32 v18, v18, 23, v31
	v_or3_b32 v50, v52, v18, v50
.LBB294_118:                            ;   in Loop: Header=BB294_13 Depth=1
	s_or_b64 exec, exec, s[44:45]
.LBB294_119:                            ;   in Loop: Header=BB294_13 Depth=1
	s_or_b64 exec, exec, s[42:43]
.LBB294_120:                            ;   in Loop: Header=BB294_13 Depth=1
	s_or_b64 exec, exec, s[40:41]
	v_lshrrev_b16_e32 v18, 8, v17
	v_cmp_ne_u16_e64 s[4:5], 0, v18
	s_and_saveexec_b64 s[40:41], s[4:5]
	s_cbranch_execz .LBB294_126
; %bb.121:                              ;   in Loop: Header=BB294_13 Depth=1
	v_cmp_ne_u16_e64 s[4:5], s52, v18
	v_bfrev_b32_e32 v51, 1
	s_and_saveexec_b64 s[42:43], s[4:5]
	s_cbranch_execz .LBB294_125
; %bb.122:                              ;   in Loop: Header=BB294_13 Depth=1
	v_and_b32_e32 v52, 0x7f, v18
	v_cmp_ne_u32_e64 s[4:5], s53, v52
	v_mov_b32_e32 v51, 0x7f800001
	s_and_saveexec_b64 s[44:45], s[4:5]
	s_cbranch_execz .LBB294_124
; %bb.123:                              ;   in Loop: Header=BB294_13 Depth=1
	v_and_b32_e32 v51, 7, v18
	v_ffbh_u32_e32 v53, v51
	v_min_u32_e32 v56, 32, v53
	v_subrev_u32_e32 v53, 28, v56
	v_lshlrev_b64 v[53:54], v53, v[18:19]
	v_lshrrev_b32_e32 v55, 3, v52
	v_sub_u32_e32 v18, 29, v56
	v_and_b32_e32 v53, 7, v53
	v_cmp_gt_u32_e64 s[4:5], 8, v52
	v_cndmask_b32_e64 v18, v55, v18, s[4:5]
	v_cndmask_b32_e64 v51, v51, v53, s[4:5]
	v_lshlrev_b32_e32 v17, 16, v17
	v_lshlrev_b32_e32 v51, 20, v51
	v_and_b32_e32 v17, 0x80000000, v17
	v_lshl_add_u32 v18, v18, 23, v31
	v_or3_b32 v51, v17, v18, v51
.LBB294_124:                            ;   in Loop: Header=BB294_13 Depth=1
	s_or_b64 exec, exec, s[44:45]
.LBB294_125:                            ;   in Loop: Header=BB294_13 Depth=1
	s_or_b64 exec, exec, s[42:43]
.LBB294_126:                            ;   in Loop: Header=BB294_13 Depth=1
	s_or_b64 exec, exec, s[40:41]
	global_load_ushort v16, v[15:16], off offset:1032
	v_mov_b32_e32 v17, 0
	v_mov_b32_e32 v18, 0
	s_waitcnt vmcnt(0)
	v_and_b32_e32 v15, 0xffff, v16
	v_cmp_ne_u16_sdwa s[4:5], v16, v30 src0_sel:BYTE_0 src1_sel:DWORD
	s_and_saveexec_b64 s[40:41], s[4:5]
	s_cbranch_execz .LBB294_132
; %bb.127:                              ;   in Loop: Header=BB294_13 Depth=1
	v_cmp_ne_u16_sdwa s[4:5], v15, s52 src0_sel:BYTE_0 src1_sel:DWORD
	v_bfrev_b32_e32 v18, 1
	s_and_saveexec_b64 s[42:43], s[4:5]
	s_cbranch_execz .LBB294_131
; %bb.128:                              ;   in Loop: Header=BB294_13 Depth=1
	v_and_b32_e32 v16, 0x7f, v15
	v_cmp_ne_u32_e64 s[4:5], s53, v16
	v_mov_b32_e32 v18, 0x7f800001
	s_and_saveexec_b64 s[44:45], s[4:5]
	s_cbranch_execz .LBB294_130
; %bb.129:                              ;   in Loop: Header=BB294_13 Depth=1
	v_and_b32_e32 v18, 7, v15
	v_ffbh_u32_e32 v52, v18
	v_min_u32_e32 v55, 32, v52
	v_subrev_u32_e32 v52, 28, v55
	v_lshlrev_b64 v[52:53], v52, v[15:16]
	v_lshrrev_b32_e32 v54, 3, v16
	v_sub_u32_e32 v53, 29, v55
	v_and_b32_e32 v52, 7, v52
	v_cmp_gt_u32_e64 s[4:5], 8, v16
	v_cndmask_b32_e64 v16, v54, v53, s[4:5]
	v_cndmask_b32_e64 v18, v18, v52, s[4:5]
	v_lshlrev_b32_e32 v52, 24, v15
	v_lshlrev_b32_e32 v18, 20, v18
	v_and_b32_e32 v52, 0x80000000, v52
	v_lshl_add_u32 v16, v16, 23, v31
	v_or3_b32 v18, v52, v16, v18
.LBB294_130:                            ;   in Loop: Header=BB294_13 Depth=1
	s_or_b64 exec, exec, s[44:45]
.LBB294_131:                            ;   in Loop: Header=BB294_13 Depth=1
	s_or_b64 exec, exec, s[42:43]
.LBB294_132:                            ;   in Loop: Header=BB294_13 Depth=1
	s_or_b64 exec, exec, s[40:41]
	v_lshrrev_b16_e32 v16, 8, v15
	v_cmp_ne_u16_e64 s[4:5], 0, v16
	s_and_saveexec_b64 s[40:41], s[4:5]
	s_cbranch_execz .LBB294_138
; %bb.133:                              ;   in Loop: Header=BB294_13 Depth=1
	v_cmp_ne_u16_e64 s[4:5], s52, v16
	v_bfrev_b32_e32 v17, 1
	s_and_saveexec_b64 s[42:43], s[4:5]
	s_cbranch_execz .LBB294_137
; %bb.134:                              ;   in Loop: Header=BB294_13 Depth=1
	v_and_b32_e32 v52, 0x7f, v16
	v_cmp_ne_u32_e64 s[4:5], s53, v52
	v_mov_b32_e32 v17, 0x7f800001
	s_and_saveexec_b64 s[44:45], s[4:5]
	s_cbranch_execz .LBB294_136
; %bb.135:                              ;   in Loop: Header=BB294_13 Depth=1
	v_and_b32_e32 v53, 7, v16
	v_ffbh_u32_e32 v17, v53
	v_min_u32_e32 v55, 32, v17
	v_subrev_u32_e32 v17, 28, v55
	v_lshlrev_b64 v[16:17], v17, v[16:17]
	v_lshrrev_b32_e32 v54, 3, v52
	v_sub_u32_e32 v17, 29, v55
	v_and_b32_e32 v16, 7, v16
	v_cmp_gt_u32_e64 s[4:5], 8, v52
	v_cndmask_b32_e64 v17, v54, v17, s[4:5]
	v_cndmask_b32_e64 v16, v53, v16, s[4:5]
	v_lshlrev_b32_e32 v15, 16, v15
	v_lshlrev_b32_e32 v16, 20, v16
	v_and_b32_e32 v15, 0x80000000, v15
	v_lshl_add_u32 v17, v17, 23, v31
	v_or3_b32 v17, v15, v17, v16
.LBB294_136:                            ;   in Loop: Header=BB294_13 Depth=1
	s_or_b64 exec, exec, s[44:45]
.LBB294_137:                            ;   in Loop: Header=BB294_13 Depth=1
	s_or_b64 exec, exec, s[42:43]
.LBB294_138:                            ;   in Loop: Header=BB294_13 Depth=1
	s_or_b64 exec, exec, s[40:41]
	s_waitcnt lgkmcnt(0)
	v_mul_f32_e32 v15, s55, v18
	v_bfe_u32 v16, v15, 16, 1
	v_add3_u32 v16, v16, v15, s54
	v_or_b32_e32 v18, 0x400000, v15
	v_cmp_u_f32_e64 s[4:5], v15, v15
	v_cndmask_b32_e64 v15, v16, v18, s[4:5]
	v_mul_f32_e32 v16, s55, v51
	v_bfe_u32 v18, v16, 16, 1
	v_add3_u32 v18, v18, v16, s54
	v_or_b32_e32 v51, 0x400000, v16
	v_cmp_u_f32_e64 s[4:5], v16, v16
	v_cndmask_b32_e64 v16, v18, v51, s[4:5]
	v_mul_f32_e32 v18, s55, v50
	v_bfe_u32 v50, v18, 16, 1
	v_add3_u32 v50, v50, v18, s54
	v_or_b32_e32 v51, 0x400000, v18
	v_cmp_u_f32_e64 s[4:5], v18, v18
	v_mul_f32_e32 v49, s55, v49
	v_cndmask_b32_e64 v18, v50, v51, s[4:5]
	v_bfe_u32 v50, v49, 16, 1
	v_add3_u32 v50, v50, v49, s54
	v_or_b32_e32 v51, 0x400000, v49
	v_cmp_u_f32_e64 s[4:5], v49, v49
	v_mul_f32_e32 v48, s55, v48
	v_cndmask_b32_e64 v49, v50, v51, s[4:5]
	;; [unrolled: 6-line block ×16, first 2 shown]
	v_bfe_u32 v50, v34, 16, 1
	v_add3_u32 v50, v50, v34, s54
	v_or_b32_e32 v51, 0x400000, v34
	v_cmp_u_f32_e64 s[4:5], v34, v34
	v_cndmask_b32_e64 v34, v50, v51, s[4:5]
	v_lshlrev_b32_e32 v51, 16, v6
	v_and_b32_e32 v6, 0xffff0000, v6
	v_and_b32_e32 v36, 0xffff0000, v36
	;; [unrolled: 1-line block ×3, first 2 shown]
	v_lshlrev_b32_e32 v50, 16, v5
	v_and_b32_e32 v5, 0xffff0000, v5
	v_and_b32_e32 v34, 0xffff0000, v34
	;; [unrolled: 1-line block ×3, first 2 shown]
	v_mul_f32_e32 v36, v51, v36
	v_mul_f32_e32 v6, v6, v37
	v_lshlrev_b32_e32 v52, 16, v7
	v_and_b32_e32 v7, 0xffff0000, v7
	v_fmac_f32_e32 v36, v50, v34
	v_fmac_f32_e32 v6, v5, v35
	v_and_b32_e32 v5, 0xffff0000, v38
	v_and_b32_e32 v34, 0xffff0000, v39
	v_lshlrev_b32_e32 v53, 16, v8
	v_and_b32_e32 v8, 0xffff0000, v8
	v_fmac_f32_e32 v36, v52, v5
	v_fmac_f32_e32 v6, v7, v34
	v_and_b32_e32 v5, 0xffff0000, v40
	v_and_b32_e32 v7, 0xffff0000, v41
	v_lshlrev_b32_e32 v54, 16, v1
	v_and_b32_e32 v60, 64, v32
	v_and_b32_e32 v1, 0xffff0000, v1
	v_fmac_f32_e32 v36, v53, v5
	v_fmac_f32_e32 v6, v8, v7
	v_and_b32_e32 v5, 0xffff0000, v42
	v_and_b32_e32 v7, 0xffff0000, v43
	v_lshlrev_b32_e32 v55, 16, v2
	v_add_u32_e32 v60, 64, v60
	v_xor_b32_e32 v61, 2, v32
	v_mul_f32_e32 v17, s55, v17
	v_and_b32_e32 v2, 0xffff0000, v2
	v_fmac_f32_e32 v36, v54, v5
	v_fmac_f32_e32 v6, v1, v7
	v_and_b32_e32 v1, 0xffff0000, v44
	v_and_b32_e32 v5, 0xffff0000, v45
	v_lshlrev_b32_e32 v56, 16, v3
	v_cmp_lt_i32_e64 s[4:5], v61, v60
	v_bfe_u32 v62, v17, 16, 1
	v_and_b32_e32 v3, 0xffff0000, v3
	v_fmac_f32_e32 v36, v55, v1
	v_fmac_f32_e32 v6, v2, v5
	v_and_b32_e32 v1, 0xffff0000, v46
	v_and_b32_e32 v2, 0xffff0000, v47
	v_lshlrev_b32_e32 v57, 16, v4
	v_cndmask_b32_e64 v61, v32, v61, s[4:5]
	v_add3_u32 v62, v62, v17, s54
	v_or_b32_e32 v63, 0x400000, v17
	v_cmp_u_f32_e64 s[4:5], v17, v17
	v_and_b32_e32 v4, 0xffff0000, v4
	v_fmac_f32_e32 v36, v56, v1
	v_fmac_f32_e32 v6, v3, v2
	v_and_b32_e32 v1, 0xffff0000, v48
	v_and_b32_e32 v2, 0xffff0000, v49
	v_lshlrev_b32_e32 v58, 16, v13
	v_cndmask_b32_e64 v17, v62, v63, s[4:5]
	v_and_b32_e32 v13, 0xffff0000, v13
	v_fmac_f32_e32 v36, v57, v1
	v_fmac_f32_e32 v6, v4, v2
	v_and_b32_e32 v1, 0xffff0000, v18
	v_and_b32_e32 v2, 0xffff0000, v16
	v_lshlrev_b32_e32 v59, 16, v14
	v_and_b32_e32 v14, 0xffff0000, v14
	v_fmac_f32_e32 v36, v58, v1
	v_fmac_f32_e32 v6, v13, v2
	v_and_b32_e32 v1, 0xffff0000, v15
	v_and_b32_e32 v2, 0xffff0000, v17
	v_fmac_f32_e32 v36, v59, v1
	v_fmac_f32_e32 v6, v14, v2
	v_lshlrev_b32_e32 v61, 2, v61
	v_add_f32_e32 v1, v36, v6
	ds_bpermute_b32 v2, v61, v1
	v_xor_b32_e32 v3, 1, v32
	v_cmp_lt_i32_e64 s[4:5], v3, v60
	v_cndmask_b32_e64 v3, v32, v3, s[4:5]
	v_lshlrev_b32_e32 v3, 2, v3
	s_waitcnt lgkmcnt(0)
	v_add_f32_e32 v1, v1, v2
	ds_bpermute_b32 v2, v3, v1
	s_and_saveexec_b64 s[40:41], vcc
	s_cbranch_execz .LBB294_11
; %bb.139:                              ;   in Loop: Header=BB294_13 Depth=1
	v_add_u32_e32 v3, v28, v27
	v_cvt_f32_i32_e32 v3, v3
	s_waitcnt lgkmcnt(0)
	v_add_f32_e32 v1, v1, v2
	v_add_u32_e32 v4, v23, v27
	v_cmp_gt_i32_e64 s[4:5], s33, v4
	v_mul_f32_e32 v2, s49, v3
	v_cndmask_b32_e64 v2, 0, v2, s[2:3]
	v_fmac_f32_e32 v2, s37, v1
	v_cndmask_b32_e64 v1, 0, v2, s[4:5]
	ds_write_b32 v29, v1
	v_max_f32_e32 v1, v26, v26
	v_max_f32_e32 v1, v1, v2
	v_cndmask_b32_e64 v26, v26, v1, s[4:5]
	s_branch .LBB294_11
.LBB294_140:
	s_or_b64 exec, exec, s[38:39]
.LBB294_141:
	s_or_b64 exec, exec, s[18:19]
	s_waitcnt lgkmcnt(0)
	v_mbcnt_hi_u32_b32 v2, -1, v22
	v_and_b32_e32 v10, 64, v2
	v_add_u32_e32 v3, 64, v10
	v_xor_b32_e32 v1, 32, v2
	v_cmp_lt_i32_e32 vcc, v1, v3
	v_cndmask_b32_e32 v1, v2, v1, vcc
	v_lshlrev_b32_e32 v4, 2, v1
	ds_bpermute_b32 v1, v4, v26
	v_xor_b32_e32 v6, 16, v2
	v_max_f32_e32 v5, v26, v26
	v_cmp_lt_i32_e32 vcc, v6, v3
	v_xor_b32_e32 v7, 8, v2
	s_waitcnt lgkmcnt(0)
	v_max_f32_e32 v1, v1, v1
	v_max_f32_e32 v1, v5, v1
	v_cndmask_b32_e32 v5, v2, v6, vcc
	v_lshlrev_b32_e32 v5, 2, v5
	ds_bpermute_b32 v6, v5, v1
	v_cmp_lt_i32_e32 vcc, v7, v3
	v_xor_b32_e32 v9, 4, v2
	s_waitcnt lgkmcnt(0)
	v_max_f32_e32 v6, v6, v6
	v_max_f32_e32 v1, v1, v6
	v_cndmask_b32_e32 v6, v2, v7, vcc
	v_lshlrev_b32_e32 v8, 2, v6
	ds_bpermute_b32 v6, v8, v1
	v_cmp_lt_i32_e32 vcc, v9, v3
	s_waitcnt lgkmcnt(0)
	v_max_f32_e32 v6, v6, v6
	v_max_f32_e32 v7, v1, v6
	v_cndmask_b32_e32 v1, v2, v9, vcc
	v_lshlrev_b32_e32 v9, 2, v1
	ds_bpermute_b32 v11, v9, v7
	v_and_b32_e32 v1, 63, v0
	v_cmp_eq_u32_e32 vcc, 0, v1
	v_lshlrev_b32_e32 v6, 2, v20
	s_and_saveexec_b64 s[2:3], vcc
	s_cbranch_execz .LBB294_143
; %bb.142:
	s_waitcnt lgkmcnt(0)
	v_max_f32_e32 v11, v11, v11
	v_max_f32_e32 v7, v7, v7
	;; [unrolled: 1-line block ×3, first 2 shown]
	ds_write_b32 v6, v7 offset:160
.LBB294_143:
	s_or_b64 exec, exec, s[2:3]
	v_cmp_gt_u32_e64 s[2:3], 2, v1
	s_waitcnt lgkmcnt(0)
	v_mov_b32_e32 v11, 0xff7fffff
	v_lshlrev_b32_e32 v7, 2, v1
	s_barrier
	s_and_saveexec_b64 s[4:5], s[2:3]
; %bb.144:
	ds_read_b32 v11, v7 offset:160
; %bb.145:
	s_or_b64 exec, exec, s[4:5]
	v_xor_b32_e32 v12, 1, v2
	v_cmp_lt_i32_e64 s[4:5], v12, v3
	v_cndmask_b32_e64 v12, v2, v12, s[4:5]
	v_lshlrev_b32_e32 v22, 2, v12
	s_waitcnt lgkmcnt(0)
	ds_bpermute_b32 v12, v22, v11
	v_max_f32_e32 v11, v11, v11
	v_lshlrev_b32_e32 v10, 2, v10
	s_lshl_b32 s4, s48, 4
	s_min_i32 s23, s4, s33
	s_waitcnt lgkmcnt(0)
	v_max_f32_e32 v12, v12, v12
	v_max_f32_e32 v11, v11, v12
	ds_bpermute_b32 v11, v10, v11
	v_cmp_gt_i32_e64 s[4:5], s23, v0
	v_mov_b32_e32 v10, 0
	s_and_saveexec_b64 s[12:13], s[4:5]
	s_cbranch_execz .LBB294_149
; %bb.146:
	v_mov_b32_e32 v10, 0xb0
	v_lshl_add_u32 v12, v0, 2, v10
	v_mov_b32_e32 v10, 0
	s_mov_b64 s[18:19], 0
	v_mov_b32_e32 v13, v0
.LBB294_147:                            ; =>This Inner Loop Header: Depth=1
	ds_read_b32 v14, v12
	v_add_u32_e32 v13, 0x80, v13
	v_cmp_le_i32_e64 s[6:7], s23, v13
	s_or_b64 s[18:19], s[6:7], s[18:19]
	s_waitcnt lgkmcnt(0)
	v_sub_f32_e32 v14, v14, v11
	v_mul_f32_e32 v14, 0x3fb8aa3b, v14
	v_exp_f32_e32 v14, v14
	ds_write_b32 v12, v14
	v_add_f32_e32 v10, v10, v14
	v_add_u32_e32 v12, 0x200, v12
	s_andn2_b64 exec, exec, s[18:19]
	s_cbranch_execnz .LBB294_147
; %bb.148:
	s_or_b64 exec, exec, s[18:19]
.LBB294_149:
	s_or_b64 exec, exec, s[12:13]
	ds_bpermute_b32 v4, v4, v10
	s_waitcnt lgkmcnt(0)
	v_add_f32_e32 v4, v10, v4
	ds_bpermute_b32 v5, v5, v4
	s_waitcnt lgkmcnt(0)
	v_add_f32_e32 v4, v4, v5
	ds_bpermute_b32 v5, v8, v4
	v_xor_b32_e32 v8, 2, v2
	v_cmp_lt_i32_e64 s[6:7], v8, v3
	v_cndmask_b32_e64 v3, v2, v8, s[6:7]
	v_lshlrev_b32_e32 v3, 2, v3
	s_waitcnt lgkmcnt(0)
	v_add_f32_e32 v4, v4, v5
	ds_bpermute_b32 v5, v9, v4
	s_waitcnt lgkmcnt(0)
	v_add_f32_e32 v4, v4, v5
	ds_bpermute_b32 v3, v3, v4
	;; [unrolled: 3-line block ×3, first 2 shown]
	s_waitcnt lgkmcnt(0)
	v_add_f32_e32 v3, v3, v4
	s_and_saveexec_b64 s[6:7], vcc
; %bb.150:
	ds_write_b32 v6, v3 offset:168
; %bb.151:
	s_or_b64 exec, exec, s[6:7]
	s_waitcnt lgkmcnt(0)
	s_barrier
	s_and_saveexec_b64 s[6:7], s[2:3]
; %bb.152:
	ds_read_b32 v3, v7 offset:168
; %bb.153:
	s_or_b64 exec, exec, s[6:7]
	s_waitcnt lgkmcnt(0)
	ds_bpermute_b32 v4, v22, v3
	v_lshlrev_b32_e32 v2, 2, v2
	v_and_b32_e32 v2, 0x100, v2
	s_waitcnt lgkmcnt(0)
	v_add_f32_e32 v3, v3, v4
	ds_bpermute_b32 v2, v2, v3
	s_and_saveexec_b64 s[2:3], s[4:5]
	s_cbranch_execz .LBB294_156
; %bb.154:
	s_waitcnt lgkmcnt(0)
	v_add_f32_e32 v3, 0x358637bd, v2
	v_div_scale_f32 v2, s[4:5], v3, v3, 1.0
	v_div_scale_f32 v4, vcc, 1.0, v3, 1.0
	s_mov_b64 s[4:5], 0
	v_rcp_f32_e32 v5, v2
	v_fma_f32 v6, -v2, v5, 1.0
	v_fmac_f32_e32 v5, v6, v5
	v_mul_f32_e32 v6, v4, v5
	v_fma_f32 v7, -v2, v6, v4
	v_fmac_f32_e32 v6, v7, v5
	v_fma_f32 v2, -v2, v6, v4
	v_div_fmas_f32 v4, v2, v5, v6
	v_mov_b32_e32 v2, 0xb0
	v_lshl_add_u32 v2, v0, 2, v2
	v_div_fixup_f32 v3, v4, v3, 1.0
	v_mov_b32_e32 v4, v0
.LBB294_155:                            ; =>This Inner Loop Header: Depth=1
	ds_read_b32 v5, v2
	v_add_u32_e32 v4, 0x80, v4
	v_cmp_le_i32_e32 vcc, s23, v4
	s_or_b64 s[4:5], vcc, s[4:5]
	s_waitcnt lgkmcnt(0)
	v_mul_f32_e32 v5, v3, v5
	ds_write_b32 v2, v5
	v_add_u32_e32 v2, 0x200, v2
	s_andn2_b64 exec, exec, s[4:5]
	s_cbranch_execnz .LBB294_155
.LBB294_156:
	s_or_b64 exec, exec, s[2:3]
	v_lshrrev_b32_e32 v23, 1, v1
	s_waitcnt lgkmcnt(0)
	s_barrier
	s_and_saveexec_b64 s[2:3], s[0:1]
	s_xor_b64 s[0:1], exec, s[2:3]
; %bb.157:
	v_lshrrev_b32_e32 v23, 1, v1
                                        ; implicit-def: $vgpr21
                                        ; implicit-def: $vgpr20
                                        ; implicit-def: $vgpr19
; %bb.158:
	s_or_saveexec_b64 s[4:5], s[0:1]
	v_mov_b32_e32 v26, 0
	v_and_b32_e32 v24, 1, v0
	v_mov_b32_e32 v27, 0
	v_mov_b32_e32 v28, 0
	s_xor_b64 exec, exec, s[4:5]
	s_cbranch_execz .LBB294_316
; %bb.159:
	s_sub_i32 s37, s16, s21
	s_ashr_i32 s0, s20, 31
	s_add_u32 s6, s34, s20
	s_addc_u32 s7, s35, s0
	s_abs_i32 s34, s22
	v_cvt_f32_u32_e32 v1, s34
	s_sub_i32 s1, 0, s34
	v_lshlrev_b32_e32 v2, 3, v0
	v_or_b32_e32 v3, 64, v23
	v_rcp_iflag_f32_e32 v1, v1
	s_movk_i32 s0, 0x50
	v_and_b32_e32 v25, 8, v2
	v_cmp_gt_u32_e32 vcc, s0, v3
	v_mul_f32_e32 v1, 0x4f7ffffe, v1
	v_cvt_u32_f32_e32 v1, v1
	s_add_i32 s38, s48, -1
	v_and_b32_e32 v5, 60, v19
	s_mov_b32 s12, -1
	v_mul_lo_u32 v4, s1, v1
	s_lshl_b64 s[0:1], s[30:31], 2
	s_add_u32 s0, s28, s0
	s_addc_u32 s1, s29, s1
	v_mul_hi_u32 v2, v1, v4
	s_mov_b32 s35, s17
	s_mov_b32 s13, 0xffffff
	v_mov_b32_e32 v10, 0
	v_add_u32_e32 v31, v1, v2
	v_mov_b32_e32 v1, s1
	v_add_co_u32_e64 v11, s[0:1], s0, v5
	v_addc_co_u32_e64 v12, s[0:1], 0, v1, s[0:1]
	v_lshlrev_b32_e32 v1, 5, v24
	v_lshl_or_b32 v1, v20, 6, v1
	v_lshl_or_b32 v29, v23, 4, v25
	;; [unrolled: 1-line block ×3, first 2 shown]
	v_add_u32_e32 v32, 0xb0, v1
	s_mov_b64 s[16:17], 0
	s_movk_i32 s39, 0x80
	s_movk_i32 s40, 0x7f
	;; [unrolled: 1-line block ×3, first 2 shown]
	s_mov_b32 s42, 0x7060302
	v_bfrev_b32_e32 v33, 60
	v_mov_b32_e32 v28, 0
	v_mov_b32_e32 v27, 0
	;; [unrolled: 1-line block ×3, first 2 shown]
	s_branch .LBB294_163
.LBB294_160:                            ;   in Loop: Header=BB294_163 Depth=1
	s_or_b64 exec, exec, s[2:3]
	v_lshlrev_b32_e32 v9, 16, v7
	v_lshlrev_b32_e32 v40, 16, v47
	v_mul_f32_e32 v9, v9, v40
	v_bfe_u32 v40, v9, 16, 1
	v_add3_u32 v40, v40, v9, s41
	v_or_b32_e32 v47, 0x400000, v9
	v_cmp_u_f32_e64 s[0:1], v9, v9
	v_cndmask_b32_e64 v9, v40, v47, s[0:1]
	v_and_b32_e32 v40, 0xffff0000, v7
	v_lshlrev_b32_e32 v46, 16, v46
	v_mul_f32_e32 v40, v40, v46
	v_bfe_u32 v46, v40, 16, 1
	v_add3_u32 v46, v46, v40, s41
	v_or_b32_e32 v47, 0x400000, v40
	v_cmp_u_f32_e64 s[0:1], v40, v40
	v_cndmask_b32_e64 v40, v46, v47, s[0:1]
	v_lshlrev_b32_e32 v46, 16, v6
	v_lshlrev_b32_e32 v14, 16, v14
	v_mul_f32_e32 v14, v46, v14
	v_bfe_u32 v46, v14, 16, 1
	v_add3_u32 v46, v46, v14, s41
	v_or_b32_e32 v47, 0x400000, v14
	v_cmp_u_f32_e64 s[0:1], v14, v14
	v_cndmask_b32_e64 v14, v46, v47, s[0:1]
	v_and_b32_e32 v46, 0xffff0000, v6
	v_lshlrev_b32_e32 v3, 16, v3
	v_mul_f32_e32 v3, v46, v3
	v_bfe_u32 v46, v3, 16, 1
	v_add3_u32 v46, v46, v3, s41
	v_or_b32_e32 v47, 0x400000, v3
	v_cmp_u_f32_e64 s[0:1], v3, v3
	v_cndmask_b32_e64 v3, v46, v47, s[0:1]
	;; [unrolled: 16-line block ×3, first 2 shown]
	v_lshlrev_b32_e32 v46, 16, v4
	v_lshlrev_b32_e32 v13, 16, v13
	v_mul_f32_e32 v13, v46, v13
	v_bfe_u32 v46, v13, 16, 1
	v_add3_u32 v46, v46, v13, s41
	v_or_b32_e32 v47, 0x400000, v13
	v_cmp_u_f32_e64 s[0:1], v13, v13
	v_cndmask_b32_e64 v13, v46, v47, s[0:1]
	v_and_b32_e32 v46, 0xffff0000, v4
	v_lshlrev_b32_e32 v8, 16, v8
	v_mul_f32_e32 v8, v46, v8
	v_bfe_u32 v46, v8, 16, 1
	v_and_b32_e32 v40, 0xffff0000, v40
	v_and_b32_e32 v9, 0xffff0000, v9
	;; [unrolled: 1-line block ×4, first 2 shown]
	v_add3_u32 v46, v46, v8, s41
	v_or_b32_e32 v47, 0x400000, v8
	v_cmp_u_f32_e64 s[0:1], v8, v8
	v_add_f32_e32 v9, v9, v40
	v_add_f32_e32 v3, v14, v3
	v_and_b32_e32 v1, 0xffff0000, v1
	v_and_b32_e32 v2, 0xffff0000, v2
	v_cndmask_b32_e64 v8, v46, v47, s[0:1]
	v_add_f32_e32 v3, v3, v9
	v_add_f32_e32 v1, v2, v1
	v_add_f32_e32 v1, v1, v3
	v_and_b32_e32 v2, 0xffff0000, v8
	v_and_b32_e32 v3, 0xffff0000, v13
	v_add_f32_e32 v2, v3, v2
	v_add_f32_e32 v1, v2, v1
	v_add_f32_e32 v28, v28, v1
.LBB294_161:                            ;   in Loop: Header=BB294_163 Depth=1
	s_or_b64 exec, exec, s[20:21]
	v_and_b32_e32 v1, 0xffff0000, v7
	v_lshlrev_b32_e32 v2, 16, v44
	v_mul_f32_e32 v2, v1, v2
	v_bfe_u32 v3, v2, 16, 1
	v_add3_u32 v3, v3, v2, s41
	v_or_b32_e32 v8, 0x400000, v2
	v_cmp_u_f32_e64 s[0:1], v2, v2
	v_cndmask_b32_e64 v2, v3, v8, s[0:1]
	v_lshlrev_b32_e32 v3, 16, v7
	v_lshlrev_b32_e32 v7, 16, v45
	v_mul_f32_e32 v7, v3, v7
	v_bfe_u32 v8, v7, 16, 1
	v_add3_u32 v8, v8, v7, s41
	v_or_b32_e32 v9, 0x400000, v7
	v_cmp_u_f32_e64 s[0:1], v7, v7
	v_cndmask_b32_e64 v7, v8, v9, s[0:1]
	v_and_b32_e32 v8, 0xffff0000, v6
	v_lshlrev_b32_e32 v9, 16, v41
	v_mul_f32_e32 v9, v8, v9
	v_bfe_u32 v13, v9, 16, 1
	v_add3_u32 v13, v13, v9, s41
	v_or_b32_e32 v14, 0x400000, v9
	v_cmp_u_f32_e64 s[0:1], v9, v9
	v_cndmask_b32_e64 v9, v13, v14, s[0:1]
	v_lshlrev_b32_e32 v6, 16, v6
	v_lshlrev_b32_e32 v13, 16, v42
	v_mul_f32_e32 v13, v6, v13
	v_bfe_u32 v14, v13, 16, 1
	v_add3_u32 v14, v14, v13, s41
	v_or_b32_e32 v40, 0x400000, v13
	v_cmp_u_f32_e64 s[0:1], v13, v13
	v_cndmask_b32_e64 v13, v14, v40, s[0:1]
	v_and_b32_e32 v14, 0xffff0000, v5
	v_lshlrev_b32_e32 v15, 16, v15
	v_mul_f32_e32 v15, v14, v15
	v_bfe_u32 v40, v15, 16, 1
	v_lshlrev_b32_e32 v5, 16, v5
	v_lshlrev_b32_e32 v16, 16, v16
	v_add3_u32 v40, v40, v15, s41
	v_or_b32_e32 v41, 0x400000, v15
	v_cmp_u_f32_e64 s[0:1], v15, v15
	v_mul_f32_e32 v16, v5, v16
	v_cndmask_b32_e64 v15, v40, v41, s[0:1]
	v_bfe_u32 v40, v16, 16, 1
	v_add3_u32 v40, v40, v16, s41
	v_or_b32_e32 v41, 0x400000, v16
	v_cmp_u_f32_e64 s[0:1], v16, v16
	v_cndmask_b32_e64 v16, v40, v41, s[0:1]
	v_and_b32_e32 v40, 0xffff0000, v4
	v_lshlrev_b32_e32 v41, 16, v43
	v_mul_f32_e32 v41, v40, v41
	v_bfe_u32 v42, v41, 16, 1
	v_lshlrev_b32_e32 v4, 16, v4
	v_lshlrev_b32_e32 v17, 16, v17
	v_and_b32_e32 v7, 0xffff0000, v7
	v_and_b32_e32 v2, 0xffff0000, v2
	v_add3_u32 v42, v42, v41, s41
	v_or_b32_e32 v43, 0x400000, v41
	v_cmp_u_f32_e64 s[0:1], v41, v41
	v_mul_f32_e32 v17, v4, v17
	v_add_f32_e32 v2, v7, v2
	v_and_b32_e32 v7, 0xffff0000, v13
	v_and_b32_e32 v9, 0xffff0000, v9
	v_cndmask_b32_e64 v41, v42, v43, s[0:1]
	v_bfe_u32 v42, v17, 16, 1
	v_add_f32_e32 v7, v7, v9
	v_add3_u32 v42, v42, v17, s41
	v_or_b32_e32 v43, 0x400000, v17
	v_cmp_u_f32_e64 s[0:1], v17, v17
	v_add_f32_e32 v2, v7, v2
	v_and_b32_e32 v7, 0xffff0000, v16
	v_and_b32_e32 v9, 0xffff0000, v15
	v_cndmask_b32_e64 v17, v42, v43, s[0:1]
	v_add_f32_e32 v7, v7, v9
	v_add_f32_e32 v2, v7, v2
	v_and_b32_e32 v7, 0xffff0000, v17
	v_and_b32_e32 v9, 0xffff0000, v41
	v_add_f32_e32 v7, v7, v9
	v_add_f32_e32 v2, v7, v2
	;; [unrolled: 1-line block ×3, first 2 shown]
	v_lshlrev_b32_e32 v2, 16, v38
	v_mul_f32_e32 v1, v1, v2
	v_bfe_u32 v2, v1, 16, 1
	v_add3_u32 v2, v2, v1, s41
	v_or_b32_e32 v7, 0x400000, v1
	v_cmp_u_f32_e64 s[0:1], v1, v1
	v_cndmask_b32_e64 v1, v2, v7, s[0:1]
	v_lshlrev_b32_e32 v2, 16, v39
	v_mul_f32_e32 v2, v3, v2
	v_bfe_u32 v3, v2, 16, 1
	v_add3_u32 v3, v3, v2, s41
	v_or_b32_e32 v7, 0x400000, v2
	v_cmp_u_f32_e64 s[0:1], v2, v2
	v_cndmask_b32_e64 v2, v3, v7, s[0:1]
	;; [unrolled: 7-line block ×7, first 2 shown]
	v_lshlrev_b32_e32 v9, 16, v34
	v_and_b32_e32 v2, 0xffff0000, v2
	v_and_b32_e32 v1, 0xffff0000, v1
	v_mul_f32_e32 v4, v4, v9
	v_add_f32_e32 v1, v2, v1
	v_and_b32_e32 v2, 0xffff0000, v6
	v_and_b32_e32 v3, 0xffff0000, v3
	v_bfe_u32 v9, v4, 16, 1
	v_add_f32_e32 v2, v2, v3
	v_add3_u32 v9, v9, v4, s41
	v_or_b32_e32 v13, 0x400000, v4
	v_cmp_u_f32_e64 s[0:1], v4, v4
	v_add_f32_e32 v1, v2, v1
	v_and_b32_e32 v2, 0xffff0000, v5
	v_and_b32_e32 v3, 0xffff0000, v7
	v_cndmask_b32_e64 v4, v9, v13, s[0:1]
	v_add_f32_e32 v2, v2, v3
	v_add_f32_e32 v1, v2, v1
	v_and_b32_e32 v2, 0xffff0000, v4
	v_and_b32_e32 v3, 0xffff0000, v8
	v_add_f32_e32 v2, v2, v3
	v_add_f32_e32 v1, v2, v1
	;; [unrolled: 1-line block ×3, first 2 shown]
.LBB294_162:                            ;   in Loop: Header=BB294_163 Depth=1
	s_or_b64 exec, exec, s[18:19]
	v_add_co_u32_e64 v11, s[0:1], 8, v11
	v_add_u32_e32 v20, 2, v20
	v_addc_co_u32_e64 v12, s[0:1], 0, v12, s[0:1]
	v_cmp_le_i32_e64 s[0:1], s48, v20
	v_add_u32_e32 v21, 32, v21
	s_or_b64 s[16:17], s[0:1], s[16:17]
	v_add_u32_e32 v32, 0x80, v32
	s_andn2_b64 exec, exec, s[16:17]
	s_cbranch_execz .LBB294_315
.LBB294_163:                            ; =>This Inner Loop Header: Depth=1
	v_mul_hi_u32 v1, v21, s46
	v_mul_lo_u32 v2, v1, s25
	v_add_u32_e32 v3, 1, v1
	v_sub_u32_e32 v2, v21, v2
	v_cmp_le_u32_e64 s[0:1], s25, v2
	v_cndmask_b32_e64 v1, v1, v3, s[0:1]
	v_subrev_u32_e32 v3, s25, v2
	v_cndmask_b32_e64 v2, v2, v3, s[0:1]
	v_add_u32_e32 v3, 1, v1
	v_cmp_le_u32_e64 s[0:1], s25, v2
	v_cndmask_b32_e64 v1, v1, v3, s[0:1]
	v_xor_b32_e32 v1, s47, v1
	v_subrev_u32_e32 v1, s47, v1
	v_add_u32_e32 v2, s36, v1
	v_sub_u32_e32 v3, 0, v2
	v_max_i32_e32 v3, v2, v3
	v_mul_hi_u32 v4, v3, v31
	v_ashrrev_i32_e32 v2, 31, v2
	v_cmp_lt_i32_e64 s[2:3], s37, v1
	v_mul_lo_u32 v4, v4, s34
	v_sub_u32_e32 v3, v3, v4
	v_subrev_u32_e32 v4, s34, v3
	v_cmp_le_u32_e64 s[0:1], s34, v3
	v_cndmask_b32_e64 v3, v3, v4, s[0:1]
	v_subrev_u32_e32 v4, s34, v3
	v_cmp_le_u32_e64 s[0:1], s34, v3
	v_cndmask_b32_e64 v3, v3, v4, s[0:1]
	v_xor_b32_e32 v3, v3, v2
	v_sub_u32_e32 v2, v3, v2
	v_cmp_eq_u32_e64 s[0:1], 0, v2
	s_or_b64 s[0:1], s[0:1], s[2:3]
	s_and_saveexec_b64 s[18:19], s[0:1]
	s_cbranch_execz .LBB294_162
; %bb.164:                              ;   in Loop: Header=BB294_163 Depth=1
	global_load_dword v3, v[11:12], off
	v_mov_b32_e32 v1, s6
	v_mov_b32_e32 v2, s7
	;; [unrolled: 1-line block ×4, first 2 shown]
	s_waitcnt vmcnt(0)
	v_mad_i64_i32 v[13:14], s[0:1], v3, s35, v[1:2]
	v_add_co_u32_e64 v15, s[0:1], v13, v29
	v_addc_co_u32_e64 v16, s[0:1], 0, v14, s[0:1]
	global_load_dwordx2 v[17:18], v[15:16], off
	ds_read2_b64 v[5:8], v32 offset1:1
	ds_read2_b64 v[1:4], v32 offset0:2 offset1:3
	s_load_dword s43, s[14:15], 0x0
	s_waitcnt vmcnt(0)
	v_cmp_ne_u16_sdwa s[0:1], v17, v10 src0_sel:BYTE_0 src1_sel:DWORD
	s_and_saveexec_b64 s[2:3], s[0:1]
	s_cbranch_execz .LBB294_170
; %bb.165:                              ;   in Loop: Header=BB294_163 Depth=1
	v_cmp_ne_u16_sdwa s[0:1], v17, s39 src0_sel:BYTE_0 src1_sel:DWORD
	v_bfrev_b32_e32 v34, 1
	s_and_saveexec_b64 s[20:21], s[0:1]
	s_cbranch_execz .LBB294_169
; %bb.166:                              ;   in Loop: Header=BB294_163 Depth=1
	v_and_b32_e32 v9, 0x7f, v17
	v_cmp_ne_u32_e64 s[0:1], s40, v9
	v_mov_b32_e32 v34, 0x7f800001
	s_and_saveexec_b64 s[22:23], s[0:1]
	s_cbranch_execz .LBB294_168
; %bb.167:                              ;   in Loop: Header=BB294_163 Depth=1
	v_and_b32_e32 v19, 7, v17
	v_ffbh_u32_e32 v19, v19
	v_min_u32_e32 v19, 32, v19
	v_lshrrev_b32_e32 v34, 3, v9
	v_subrev_u32_e32 v35, 28, v19
	v_sub_u32_e32 v19, 29, v19
	v_cmp_gt_u32_e64 s[0:1], 8, v9
	v_cndmask_b32_e64 v9, v34, v19, s[0:1]
	v_cndmask_b32_e64 v19, 0, v35, s[0:1]
	v_lshlrev_b64 v[34:35], v19, v[17:18]
	v_lshl_add_u32 v9, v9, 23, v33
	v_lshlrev_b32_e32 v19, 20, v34
	v_lshlrev_b32_e32 v34, 24, v17
	v_and_b32_e32 v19, 0x700000, v19
	v_and_b32_e32 v34, 0x80000000, v34
	v_or3_b32 v34, v34, v9, v19
.LBB294_168:                            ;   in Loop: Header=BB294_163 Depth=1
	s_or_b64 exec, exec, s[22:23]
.LBB294_169:                            ;   in Loop: Header=BB294_163 Depth=1
	s_or_b64 exec, exec, s[20:21]
.LBB294_170:                            ;   in Loop: Header=BB294_163 Depth=1
	s_or_b64 exec, exec, s[2:3]
	v_lshrrev_b16_e32 v9, 8, v17
	v_cmp_ne_u16_e64 s[0:1], 0, v9
	s_and_saveexec_b64 s[2:3], s[0:1]
	s_cbranch_execz .LBB294_176
; %bb.171:                              ;   in Loop: Header=BB294_163 Depth=1
	v_cmp_ne_u16_e64 s[0:1], s39, v9
	v_bfrev_b32_e32 v37, 1
	s_and_saveexec_b64 s[20:21], s[0:1]
	s_cbranch_execz .LBB294_175
; %bb.172:                              ;   in Loop: Header=BB294_163 Depth=1
	v_and_b32_e32 v19, 0x7f, v9
	v_cmp_ne_u32_e64 s[0:1], s40, v19
	v_mov_b32_e32 v37, 0x7f800001
	s_and_saveexec_b64 s[22:23], s[0:1]
	s_cbranch_execz .LBB294_174
; %bb.173:                              ;   in Loop: Header=BB294_163 Depth=1
	v_and_b32_e32 v37, 7, v9
	v_ffbh_u32_e32 v35, v37
	v_min_u32_e32 v39, 32, v35
	v_subrev_u32_e32 v35, 28, v39
	v_lshlrev_b64 v[35:36], v35, v[9:10]
	v_lshrrev_b32_e32 v38, 3, v19
	v_sub_u32_e32 v9, 29, v39
	v_and_b32_e32 v35, 7, v35
	v_cmp_gt_u32_e64 s[0:1], 8, v19
	v_cndmask_b32_e64 v9, v38, v9, s[0:1]
	v_cndmask_b32_e64 v19, v37, v35, s[0:1]
	v_lshlrev_b32_e32 v35, 16, v17
	v_lshlrev_b32_e32 v19, 20, v19
	v_and_b32_e32 v35, 0x80000000, v35
	v_lshl_add_u32 v9, v9, 23, v33
	v_or3_b32 v37, v35, v9, v19
.LBB294_174:                            ;   in Loop: Header=BB294_163 Depth=1
	s_or_b64 exec, exec, s[22:23]
.LBB294_175:                            ;   in Loop: Header=BB294_163 Depth=1
	s_or_b64 exec, exec, s[20:21]
.LBB294_176:                            ;   in Loop: Header=BB294_163 Depth=1
	s_or_b64 exec, exec, s[2:3]
	v_lshrrev_b32_e32 v9, 16, v17
	v_cmp_ne_u16_sdwa s[0:1], v9, v10 src0_sel:BYTE_0 src1_sel:DWORD
	v_mov_b32_e32 v35, 0
	v_mov_b32_e32 v36, 0
	s_and_saveexec_b64 s[2:3], s[0:1]
	s_cbranch_execz .LBB294_182
; %bb.177:                              ;   in Loop: Header=BB294_163 Depth=1
	v_cmp_ne_u16_sdwa s[0:1], v9, s39 src0_sel:BYTE_0 src1_sel:DWORD
	v_bfrev_b32_e32 v36, 1
	s_and_saveexec_b64 s[20:21], s[0:1]
	s_cbranch_execz .LBB294_181
; %bb.178:                              ;   in Loop: Header=BB294_163 Depth=1
	v_bfe_u32 v19, v17, 16, 7
	v_cmp_ne_u32_e64 s[0:1], s40, v19
	v_mov_b32_e32 v36, 0x7f800001
	s_and_saveexec_b64 s[22:23], s[0:1]
	s_cbranch_execz .LBB294_180
; %bb.179:                              ;   in Loop: Header=BB294_163 Depth=1
	v_and_b32_e32 v36, 7, v9
	v_ffbh_u32_e32 v38, v36
	v_min_u32_e32 v41, 32, v38
	v_subrev_u32_e32 v38, 28, v41
	v_lshlrev_b64 v[38:39], v38, v[9:10]
	v_lshrrev_b32_e32 v40, 3, v19
	v_sub_u32_e32 v39, 29, v41
	v_and_b32_e32 v38, 7, v38
	v_cmp_gt_u32_e64 s[0:1], 8, v19
	v_cndmask_b32_e64 v19, v40, v39, s[0:1]
	v_cndmask_b32_e64 v36, v36, v38, s[0:1]
	v_lshlrev_b32_e32 v9, 24, v9
	v_lshlrev_b32_e32 v36, 20, v36
	v_and_b32_e32 v9, 0x80000000, v9
	v_lshl_add_u32 v19, v19, 23, v33
	v_or3_b32 v36, v9, v19, v36
.LBB294_180:                            ;   in Loop: Header=BB294_163 Depth=1
	s_or_b64 exec, exec, s[22:23]
.LBB294_181:                            ;   in Loop: Header=BB294_163 Depth=1
	s_or_b64 exec, exec, s[20:21]
.LBB294_182:                            ;   in Loop: Header=BB294_163 Depth=1
	s_or_b64 exec, exec, s[2:3]
	v_cmp_lt_u32_e64 s[0:1], s13, v17
	s_and_saveexec_b64 s[2:3], s[0:1]
	s_cbranch_execz .LBB294_188
; %bb.183:                              ;   in Loop: Header=BB294_163 Depth=1
	v_lshrrev_b32_e32 v9, 24, v17
	v_cmp_ne_u32_e64 s[0:1], s39, v9
	v_bfrev_b32_e32 v35, 1
	s_and_saveexec_b64 s[20:21], s[0:1]
	s_cbranch_execz .LBB294_187
; %bb.184:                              ;   in Loop: Header=BB294_163 Depth=1
	v_bfe_u32 v19, v17, 24, 7
	v_cmp_ne_u32_e64 s[0:1], s40, v19
	v_mov_b32_e32 v35, 0x7f800001
	s_and_saveexec_b64 s[22:23], s[0:1]
	s_cbranch_execz .LBB294_186
; %bb.185:                              ;   in Loop: Header=BB294_163 Depth=1
	v_and_b32_e32 v35, 7, v9
	v_ffbh_u32_e32 v38, v35
	v_min_u32_e32 v41, 32, v38
	v_subrev_u32_e32 v38, 28, v41
	v_lshlrev_b64 v[38:39], v38, v[9:10]
	v_lshrrev_b32_e32 v40, 3, v19
	v_sub_u32_e32 v39, 29, v41
	v_and_b32_e32 v38, 7, v38
	v_cmp_gt_u32_e64 s[0:1], 8, v19
	v_cndmask_b32_e64 v19, v40, v39, s[0:1]
	v_cndmask_b32_e64 v35, v35, v38, s[0:1]
	v_lshlrev_b32_e32 v9, 24, v9
	v_lshlrev_b32_e32 v35, 20, v35
	v_and_b32_e32 v9, 0x80000000, v9
	v_lshl_add_u32 v19, v19, 23, v33
	v_or3_b32 v35, v9, v19, v35
.LBB294_186:                            ;   in Loop: Header=BB294_163 Depth=1
	s_or_b64 exec, exec, s[22:23]
.LBB294_187:                            ;   in Loop: Header=BB294_163 Depth=1
	s_or_b64 exec, exec, s[20:21]
.LBB294_188:                            ;   in Loop: Header=BB294_163 Depth=1
	s_or_b64 exec, exec, s[2:3]
	v_mov_b32_e32 v9, v18
	v_cmp_ne_u16_sdwa s[0:1], v18, v10 src0_sel:BYTE_0 src1_sel:DWORD
	v_mov_b32_e32 v39, 0
	v_mov_b32_e32 v38, 0
	s_and_saveexec_b64 s[2:3], s[0:1]
	s_cbranch_execz .LBB294_194
; %bb.189:                              ;   in Loop: Header=BB294_163 Depth=1
	v_cmp_ne_u16_sdwa s[0:1], v18, s39 src0_sel:BYTE_0 src1_sel:DWORD
	v_bfrev_b32_e32 v38, 1
	s_and_saveexec_b64 s[20:21], s[0:1]
	s_cbranch_execz .LBB294_193
; %bb.190:                              ;   in Loop: Header=BB294_163 Depth=1
	v_and_b32_e32 v19, 0x7f, v18
	v_cmp_ne_u32_e64 s[0:1], s40, v19
	v_mov_b32_e32 v38, 0x7f800001
	s_and_saveexec_b64 s[22:23], s[0:1]
	s_cbranch_execz .LBB294_192
; %bb.191:                              ;   in Loop: Header=BB294_163 Depth=1
	v_and_b32_e32 v38, 7, v18
	v_ffbh_u32_e32 v38, v38
	v_min_u32_e32 v38, 32, v38
	v_lshrrev_b32_e32 v40, 3, v19
	v_subrev_u32_e32 v41, 28, v38
	v_sub_u32_e32 v38, 29, v38
	v_cmp_gt_u32_e64 s[0:1], 8, v19
	v_cndmask_b32_e64 v19, v40, v38, s[0:1]
	v_cndmask_b32_e64 v38, 0, v41, s[0:1]
	v_lshlrev_b64 v[40:41], v38, v[9:10]
	v_lshl_add_u32 v19, v19, 23, v33
	v_lshlrev_b32_e32 v38, 20, v40
	v_lshlrev_b32_e32 v40, 24, v9
	v_and_b32_e32 v38, 0x700000, v38
	v_and_b32_e32 v40, 0x80000000, v40
	v_or3_b32 v38, v40, v19, v38
.LBB294_192:                            ;   in Loop: Header=BB294_163 Depth=1
	s_or_b64 exec, exec, s[22:23]
.LBB294_193:                            ;   in Loop: Header=BB294_163 Depth=1
	s_or_b64 exec, exec, s[20:21]
.LBB294_194:                            ;   in Loop: Header=BB294_163 Depth=1
	s_or_b64 exec, exec, s[2:3]
	v_lshrrev_b16_e32 v19, 8, v9
	v_cmp_ne_u16_e64 s[0:1], 0, v19
	s_and_saveexec_b64 s[2:3], s[0:1]
	s_cbranch_execz .LBB294_200
; %bb.195:                              ;   in Loop: Header=BB294_163 Depth=1
	v_cmp_ne_u16_e64 s[0:1], s39, v19
	v_bfrev_b32_e32 v39, 1
	s_and_saveexec_b64 s[20:21], s[0:1]
	s_cbranch_execz .LBB294_199
; %bb.196:                              ;   in Loop: Header=BB294_163 Depth=1
	v_and_b32_e32 v40, 0x7f, v19
	v_cmp_ne_u32_e64 s[0:1], s40, v40
	v_mov_b32_e32 v39, 0x7f800001
	s_and_saveexec_b64 s[22:23], s[0:1]
	s_cbranch_execz .LBB294_198
; %bb.197:                              ;   in Loop: Header=BB294_163 Depth=1
	v_and_b32_e32 v39, 7, v19
	v_ffbh_u32_e32 v41, v39
	v_min_u32_e32 v44, 32, v41
	v_subrev_u32_e32 v41, 28, v44
	v_lshlrev_b64 v[41:42], v41, v[19:20]
	v_lshrrev_b32_e32 v43, 3, v40
	v_sub_u32_e32 v19, 29, v44
	v_and_b32_e32 v41, 7, v41
	v_cmp_gt_u32_e64 s[0:1], 8, v40
	v_cndmask_b32_e64 v19, v43, v19, s[0:1]
	v_cndmask_b32_e64 v39, v39, v41, s[0:1]
	v_lshlrev_b32_e32 v9, 16, v9
	v_lshlrev_b32_e32 v39, 20, v39
	v_and_b32_e32 v9, 0x80000000, v9
	v_lshl_add_u32 v19, v19, 23, v33
	v_or3_b32 v39, v9, v19, v39
.LBB294_198:                            ;   in Loop: Header=BB294_163 Depth=1
	s_or_b64 exec, exec, s[22:23]
.LBB294_199:                            ;   in Loop: Header=BB294_163 Depth=1
	s_or_b64 exec, exec, s[20:21]
.LBB294_200:                            ;   in Loop: Header=BB294_163 Depth=1
	s_or_b64 exec, exec, s[2:3]
	v_lshrrev_b32_e32 v9, 16, v18
	v_cmp_ne_u16_sdwa s[0:1], v9, v10 src0_sel:BYTE_0 src1_sel:DWORD
	v_mov_b32_e32 v41, 0
	v_mov_b32_e32 v42, 0
	s_and_saveexec_b64 s[2:3], s[0:1]
	s_cbranch_execz .LBB294_206
; %bb.201:                              ;   in Loop: Header=BB294_163 Depth=1
	v_cmp_ne_u16_sdwa s[0:1], v9, s39 src0_sel:BYTE_0 src1_sel:DWORD
	v_bfrev_b32_e32 v42, 1
	s_and_saveexec_b64 s[20:21], s[0:1]
	s_cbranch_execz .LBB294_205
; %bb.202:                              ;   in Loop: Header=BB294_163 Depth=1
	v_bfe_u32 v19, v18, 16, 7
	v_cmp_ne_u32_e64 s[0:1], s40, v19
	v_mov_b32_e32 v42, 0x7f800001
	s_and_saveexec_b64 s[22:23], s[0:1]
	s_cbranch_execz .LBB294_204
; %bb.203:                              ;   in Loop: Header=BB294_163 Depth=1
	v_and_b32_e32 v40, 7, v9
	v_ffbh_u32_e32 v42, v40
	v_min_u32_e32 v45, 32, v42
	v_subrev_u32_e32 v42, 28, v45
	v_lshlrev_b64 v[42:43], v42, v[9:10]
	v_lshrrev_b32_e32 v44, 3, v19
	v_sub_u32_e32 v43, 29, v45
	v_and_b32_e32 v42, 7, v42
	v_cmp_gt_u32_e64 s[0:1], 8, v19
	v_cndmask_b32_e64 v19, v44, v43, s[0:1]
	v_cndmask_b32_e64 v40, v40, v42, s[0:1]
	v_lshlrev_b32_e32 v9, 24, v9
	v_lshlrev_b32_e32 v40, 20, v40
	v_and_b32_e32 v9, 0x80000000, v9
	v_lshl_add_u32 v19, v19, 23, v33
	v_or3_b32 v42, v9, v19, v40
.LBB294_204:                            ;   in Loop: Header=BB294_163 Depth=1
	s_or_b64 exec, exec, s[22:23]
.LBB294_205:                            ;   in Loop: Header=BB294_163 Depth=1
	s_or_b64 exec, exec, s[20:21]
.LBB294_206:                            ;   in Loop: Header=BB294_163 Depth=1
	s_or_b64 exec, exec, s[2:3]
	v_cmp_lt_u64_e64 s[0:1], s[12:13], v[17:18]
	s_and_saveexec_b64 s[2:3], s[0:1]
	s_cbranch_execz .LBB294_212
; %bb.207:                              ;   in Loop: Header=BB294_163 Depth=1
	v_lshrrev_b32_e32 v9, 24, v18
	v_cmp_ne_u32_e64 s[0:1], s39, v9
	v_bfrev_b32_e32 v41, 1
	s_and_saveexec_b64 s[20:21], s[0:1]
	s_cbranch_execz .LBB294_211
; %bb.208:                              ;   in Loop: Header=BB294_163 Depth=1
	v_bfe_u32 v17, v18, 24, 7
	v_cmp_ne_u32_e64 s[0:1], s40, v17
	v_mov_b32_e32 v41, 0x7f800001
	s_and_saveexec_b64 s[22:23], s[0:1]
	s_cbranch_execz .LBB294_210
; %bb.209:                              ;   in Loop: Header=BB294_163 Depth=1
	v_and_b32_e32 v40, 7, v9
	v_ffbh_u32_e32 v18, v40
	v_min_u32_e32 v43, 32, v18
	v_subrev_u32_e32 v18, 28, v43
	v_lshlrev_b64 v[18:19], v18, v[9:10]
	v_lshrrev_b32_e32 v41, 3, v17
	v_sub_u32_e32 v19, 29, v43
	v_and_b32_e32 v18, 7, v18
	v_cmp_gt_u32_e64 s[0:1], 8, v17
	v_cndmask_b32_e64 v17, v41, v19, s[0:1]
	v_cndmask_b32_e64 v18, v40, v18, s[0:1]
	v_lshlrev_b32_e32 v9, 24, v9
	v_lshlrev_b32_e32 v18, 20, v18
	v_and_b32_e32 v9, 0x80000000, v9
	v_lshl_add_u32 v17, v17, 23, v33
	v_or3_b32 v41, v9, v17, v18
.LBB294_210:                            ;   in Loop: Header=BB294_163 Depth=1
	s_or_b64 exec, exec, s[22:23]
.LBB294_211:                            ;   in Loop: Header=BB294_163 Depth=1
	s_or_b64 exec, exec, s[20:21]
.LBB294_212:                            ;   in Loop: Header=BB294_163 Depth=1
	s_or_b64 exec, exec, s[2:3]
	s_waitcnt lgkmcnt(0)
	v_mul_f32_e32 v9, s43, v39
	v_bfe_u32 v17, v9, 16, 1
	v_add3_u32 v17, v17, v9, s41
	v_or_b32_e32 v18, 0x400000, v9
	v_cmp_u_f32_e64 s[2:3], v9, v9
	v_cndmask_b32_e64 v9, v17, v18, s[2:3]
	v_lshrrev_b32_e32 v18, 16, v9
	v_mul_f32_e32 v9, s43, v38
	v_bfe_u32 v17, v9, 16, 1
	v_add3_u32 v17, v17, v9, s41
	v_or_b32_e32 v19, 0x400000, v9
	v_cmp_u_f32_e64 s[2:3], v9, v9
	v_cndmask_b32_e64 v9, v17, v19, s[2:3]
	v_lshrrev_b32_e32 v19, 16, v9
	v_mul_f32_e32 v9, s43, v35
	v_bfe_u32 v17, v9, 16, 1
	v_add3_u32 v17, v17, v9, s41
	v_or_b32_e32 v35, 0x400000, v9
	v_cmp_u_f32_e64 s[2:3], v9, v9
	v_cndmask_b32_e64 v9, v17, v35, s[2:3]
	v_lshrrev_b32_e32 v35, 16, v9
	v_mul_f32_e32 v9, s43, v36
	v_bfe_u32 v17, v9, 16, 1
	v_add3_u32 v17, v17, v9, s41
	v_or_b32_e32 v36, 0x400000, v9
	v_cmp_u_f32_e64 s[2:3], v9, v9
	v_cndmask_b32_e64 v9, v17, v36, s[2:3]
	v_lshrrev_b32_e32 v36, 16, v9
	v_mul_f32_e32 v9, s43, v37
	v_bfe_u32 v17, v9, 16, 1
	v_add3_u32 v17, v17, v9, s41
	v_or_b32_e32 v37, 0x400000, v9
	v_cmp_u_f32_e64 s[2:3], v9, v9
	v_cndmask_b32_e64 v9, v17, v37, s[2:3]
	v_lshrrev_b32_e32 v38, 16, v9
	v_mul_f32_e32 v9, s43, v34
	v_bfe_u32 v17, v9, 16, 1
	v_add3_u32 v17, v17, v9, s41
	v_or_b32_e32 v34, 0x400000, v9
	v_cmp_u_f32_e64 s[2:3], v9, v9
	v_cndmask_b32_e64 v9, v17, v34, s[2:3]
	v_lshrrev_b32_e32 v39, 16, v9
	v_mul_f32_e32 v9, s43, v42
	v_bfe_u32 v17, v9, 16, 1
	v_add3_u32 v17, v17, v9, s41
	v_or_b32_e32 v34, 0x400000, v9
	v_cmp_u_f32_e64 s[2:3], v9, v9
	v_cndmask_b32_e64 v9, v17, v34, s[2:3]
	v_lshrrev_b32_e32 v34, 16, v9
	v_mul_f32_e32 v9, s43, v41
	v_bfe_u32 v17, v9, 16, 1
	v_add3_u32 v17, v17, v9, s41
	v_or_b32_e32 v37, 0x400000, v9
	v_cmp_u_f32_e64 s[2:3], v9, v9
	v_cndmask_b32_e64 v9, v17, v37, s[2:3]
	v_add_u32_e32 v40, v25, v21
	v_cmp_eq_u32_e64 s[0:1], s38, v20
	v_lshrrev_b32_e32 v37, 16, v9
	s_and_saveexec_b64 s[20:21], s[0:1]
	s_cbranch_execz .LBB294_214
; %bb.213:                              ;   in Loop: Header=BB294_163 Depth=1
	v_cmp_gt_i32_e64 s[2:3], s33, v40
	v_add_u32_e32 v9, 1, v40
	v_cndmask_b32_e64 v39, 0, v39, s[2:3]
	v_cmp_gt_i32_e64 s[2:3], s33, v9
	v_add_u32_e32 v9, 2, v40
	v_cndmask_b32_e64 v38, 0, v38, s[2:3]
	;; [unrolled: 3-line block ×7, first 2 shown]
	v_cmp_gt_i32_e64 s[2:3], s33, v9
	v_cndmask_b32_e64 v37, 0, v37, s[2:3]
.LBB294_214:                            ;   in Loop: Header=BB294_163 Depth=1
	s_or_b64 exec, exec, s[20:21]
	global_load_dwordx2 v[15:16], v[15:16], off offset:512
	v_mov_b32_e32 v44, 0
	v_mov_b32_e32 v43, 0
	s_waitcnt vmcnt(0)
	v_cmp_ne_u16_sdwa s[2:3], v15, v10 src0_sel:BYTE_0 src1_sel:DWORD
	s_and_saveexec_b64 s[20:21], s[2:3]
	s_cbranch_execz .LBB294_220
; %bb.215:                              ;   in Loop: Header=BB294_163 Depth=1
	v_cmp_ne_u16_sdwa s[2:3], v15, s39 src0_sel:BYTE_0 src1_sel:DWORD
	v_bfrev_b32_e32 v43, 1
	s_and_saveexec_b64 s[22:23], s[2:3]
	s_cbranch_execz .LBB294_219
; %bb.216:                              ;   in Loop: Header=BB294_163 Depth=1
	v_and_b32_e32 v9, 0x7f, v15
	v_cmp_ne_u32_e64 s[2:3], s40, v9
	v_mov_b32_e32 v43, 0x7f800001
	s_and_saveexec_b64 s[28:29], s[2:3]
	s_cbranch_execz .LBB294_218
; %bb.217:                              ;   in Loop: Header=BB294_163 Depth=1
	v_and_b32_e32 v17, 7, v15
	v_ffbh_u32_e32 v17, v17
	v_min_u32_e32 v17, 32, v17
	v_lshrrev_b32_e32 v41, 3, v9
	v_subrev_u32_e32 v42, 28, v17
	v_sub_u32_e32 v17, 29, v17
	v_cmp_gt_u32_e64 s[2:3], 8, v9
	v_cndmask_b32_e64 v9, v41, v17, s[2:3]
	v_cndmask_b32_e64 v17, 0, v42, s[2:3]
	v_lshlrev_b64 v[41:42], v17, v[15:16]
	v_lshl_add_u32 v9, v9, 23, v33
	v_lshlrev_b32_e32 v17, 20, v41
	v_lshlrev_b32_e32 v41, 24, v15
	v_and_b32_e32 v17, 0x700000, v17
	v_and_b32_e32 v41, 0x80000000, v41
	v_or3_b32 v43, v41, v9, v17
.LBB294_218:                            ;   in Loop: Header=BB294_163 Depth=1
	s_or_b64 exec, exec, s[28:29]
.LBB294_219:                            ;   in Loop: Header=BB294_163 Depth=1
	s_or_b64 exec, exec, s[22:23]
.LBB294_220:                            ;   in Loop: Header=BB294_163 Depth=1
	s_or_b64 exec, exec, s[20:21]
	v_lshrrev_b16_e32 v9, 8, v15
	v_cmp_ne_u16_e64 s[2:3], 0, v9
	s_and_saveexec_b64 s[20:21], s[2:3]
	s_cbranch_execz .LBB294_226
; %bb.221:                              ;   in Loop: Header=BB294_163 Depth=1
	v_cmp_ne_u16_e64 s[2:3], s39, v9
	v_bfrev_b32_e32 v44, 1
	s_and_saveexec_b64 s[22:23], s[2:3]
	s_cbranch_execz .LBB294_225
; %bb.222:                              ;   in Loop: Header=BB294_163 Depth=1
	v_and_b32_e32 v17, 0x7f, v9
	v_cmp_ne_u32_e64 s[2:3], s40, v17
	v_mov_b32_e32 v44, 0x7f800001
	s_and_saveexec_b64 s[28:29], s[2:3]
	s_cbranch_execz .LBB294_224
; %bb.223:                              ;   in Loop: Header=BB294_163 Depth=1
	v_and_b32_e32 v44, 7, v9
	v_ffbh_u32_e32 v41, v44
	v_min_u32_e32 v46, 32, v41
	v_subrev_u32_e32 v41, 28, v46
	v_lshlrev_b64 v[41:42], v41, v[9:10]
	v_lshrrev_b32_e32 v45, 3, v17
	v_sub_u32_e32 v9, 29, v46
	v_and_b32_e32 v41, 7, v41
	v_cmp_gt_u32_e64 s[2:3], 8, v17
	v_cndmask_b32_e64 v9, v45, v9, s[2:3]
	v_cndmask_b32_e64 v17, v44, v41, s[2:3]
	v_lshlrev_b32_e32 v41, 16, v15
	v_lshlrev_b32_e32 v17, 20, v17
	v_and_b32_e32 v41, 0x80000000, v41
	v_lshl_add_u32 v9, v9, 23, v33
	v_or3_b32 v44, v41, v9, v17
.LBB294_224:                            ;   in Loop: Header=BB294_163 Depth=1
	s_or_b64 exec, exec, s[28:29]
.LBB294_225:                            ;   in Loop: Header=BB294_163 Depth=1
	s_or_b64 exec, exec, s[22:23]
.LBB294_226:                            ;   in Loop: Header=BB294_163 Depth=1
	s_or_b64 exec, exec, s[20:21]
	v_lshrrev_b32_e32 v9, 16, v15
	v_cmp_ne_u16_sdwa s[2:3], v9, v10 src0_sel:BYTE_0 src1_sel:DWORD
	v_mov_b32_e32 v41, 0
	v_mov_b32_e32 v42, 0
	s_and_saveexec_b64 s[20:21], s[2:3]
	s_cbranch_execz .LBB294_232
; %bb.227:                              ;   in Loop: Header=BB294_163 Depth=1
	v_cmp_ne_u16_sdwa s[2:3], v9, s39 src0_sel:BYTE_0 src1_sel:DWORD
	v_bfrev_b32_e32 v42, 1
	s_and_saveexec_b64 s[22:23], s[2:3]
	s_cbranch_execz .LBB294_231
; %bb.228:                              ;   in Loop: Header=BB294_163 Depth=1
	v_bfe_u32 v17, v15, 16, 7
	v_cmp_ne_u32_e64 s[2:3], s40, v17
	v_mov_b32_e32 v42, 0x7f800001
	s_and_saveexec_b64 s[28:29], s[2:3]
	s_cbranch_execz .LBB294_230
; %bb.229:                              ;   in Loop: Header=BB294_163 Depth=1
	v_and_b32_e32 v42, 7, v9
	v_ffbh_u32_e32 v45, v42
	v_min_u32_e32 v48, 32, v45
	v_subrev_u32_e32 v45, 28, v48
	v_lshlrev_b64 v[45:46], v45, v[9:10]
	v_lshrrev_b32_e32 v47, 3, v17
	v_sub_u32_e32 v46, 29, v48
	v_and_b32_e32 v45, 7, v45
	v_cmp_gt_u32_e64 s[2:3], 8, v17
	v_cndmask_b32_e64 v17, v47, v46, s[2:3]
	v_cndmask_b32_e64 v42, v42, v45, s[2:3]
	v_lshlrev_b32_e32 v9, 24, v9
	v_lshlrev_b32_e32 v42, 20, v42
	v_and_b32_e32 v9, 0x80000000, v9
	v_lshl_add_u32 v17, v17, 23, v33
	v_or3_b32 v42, v9, v17, v42
.LBB294_230:                            ;   in Loop: Header=BB294_163 Depth=1
	s_or_b64 exec, exec, s[28:29]
.LBB294_231:                            ;   in Loop: Header=BB294_163 Depth=1
	s_or_b64 exec, exec, s[22:23]
.LBB294_232:                            ;   in Loop: Header=BB294_163 Depth=1
	s_or_b64 exec, exec, s[20:21]
	v_cmp_lt_u32_e64 s[2:3], s13, v15
	s_and_saveexec_b64 s[20:21], s[2:3]
	s_cbranch_execz .LBB294_238
; %bb.233:                              ;   in Loop: Header=BB294_163 Depth=1
	v_lshrrev_b32_e32 v9, 24, v15
	v_cmp_ne_u32_e64 s[2:3], s39, v9
	v_bfrev_b32_e32 v41, 1
	s_and_saveexec_b64 s[22:23], s[2:3]
	s_cbranch_execz .LBB294_237
; %bb.234:                              ;   in Loop: Header=BB294_163 Depth=1
	v_bfe_u32 v17, v15, 24, 7
	v_cmp_ne_u32_e64 s[2:3], s40, v17
	v_mov_b32_e32 v41, 0x7f800001
	s_and_saveexec_b64 s[28:29], s[2:3]
	s_cbranch_execz .LBB294_236
; %bb.235:                              ;   in Loop: Header=BB294_163 Depth=1
	v_and_b32_e32 v41, 7, v9
	v_ffbh_u32_e32 v45, v41
	v_min_u32_e32 v48, 32, v45
	v_subrev_u32_e32 v45, 28, v48
	v_lshlrev_b64 v[45:46], v45, v[9:10]
	v_lshrrev_b32_e32 v47, 3, v17
	v_sub_u32_e32 v46, 29, v48
	v_and_b32_e32 v45, 7, v45
	v_cmp_gt_u32_e64 s[2:3], 8, v17
	v_cndmask_b32_e64 v17, v47, v46, s[2:3]
	v_cndmask_b32_e64 v41, v41, v45, s[2:3]
	v_lshlrev_b32_e32 v9, 24, v9
	v_lshlrev_b32_e32 v41, 20, v41
	v_and_b32_e32 v9, 0x80000000, v9
	v_lshl_add_u32 v17, v17, 23, v33
	v_or3_b32 v41, v9, v17, v41
.LBB294_236:                            ;   in Loop: Header=BB294_163 Depth=1
	s_or_b64 exec, exec, s[28:29]
.LBB294_237:                            ;   in Loop: Header=BB294_163 Depth=1
	s_or_b64 exec, exec, s[22:23]
.LBB294_238:                            ;   in Loop: Header=BB294_163 Depth=1
	s_or_b64 exec, exec, s[20:21]
	v_mov_b32_e32 v9, v16
	v_cmp_ne_u16_sdwa s[2:3], v16, v10 src0_sel:BYTE_0 src1_sel:DWORD
	v_mov_b32_e32 v46, 0
	v_mov_b32_e32 v45, 0
	s_and_saveexec_b64 s[20:21], s[2:3]
	s_cbranch_execz .LBB294_244
; %bb.239:                              ;   in Loop: Header=BB294_163 Depth=1
	v_cmp_ne_u16_sdwa s[2:3], v16, s39 src0_sel:BYTE_0 src1_sel:DWORD
	v_bfrev_b32_e32 v45, 1
	s_and_saveexec_b64 s[22:23], s[2:3]
	s_cbranch_execz .LBB294_243
; %bb.240:                              ;   in Loop: Header=BB294_163 Depth=1
	v_and_b32_e32 v17, 0x7f, v16
	v_cmp_ne_u32_e64 s[2:3], s40, v17
	v_mov_b32_e32 v45, 0x7f800001
	s_and_saveexec_b64 s[28:29], s[2:3]
	s_cbranch_execz .LBB294_242
; %bb.241:                              ;   in Loop: Header=BB294_163 Depth=1
	v_and_b32_e32 v45, 7, v16
	v_ffbh_u32_e32 v45, v45
	v_min_u32_e32 v45, 32, v45
	v_lshrrev_b32_e32 v47, 3, v17
	v_subrev_u32_e32 v48, 28, v45
	v_sub_u32_e32 v45, 29, v45
	v_cmp_gt_u32_e64 s[2:3], 8, v17
	v_cndmask_b32_e64 v17, v47, v45, s[2:3]
	v_cndmask_b32_e64 v45, 0, v48, s[2:3]
	v_lshlrev_b64 v[47:48], v45, v[9:10]
	v_lshl_add_u32 v17, v17, 23, v33
	v_lshlrev_b32_e32 v45, 20, v47
	v_lshlrev_b32_e32 v47, 24, v9
	v_and_b32_e32 v45, 0x700000, v45
	v_and_b32_e32 v47, 0x80000000, v47
	v_or3_b32 v45, v47, v17, v45
.LBB294_242:                            ;   in Loop: Header=BB294_163 Depth=1
	s_or_b64 exec, exec, s[28:29]
.LBB294_243:                            ;   in Loop: Header=BB294_163 Depth=1
	s_or_b64 exec, exec, s[22:23]
.LBB294_244:                            ;   in Loop: Header=BB294_163 Depth=1
	s_or_b64 exec, exec, s[20:21]
	v_lshrrev_b16_e32 v17, 8, v9
	v_cmp_ne_u16_e64 s[2:3], 0, v17
	s_and_saveexec_b64 s[20:21], s[2:3]
	s_cbranch_execz .LBB294_250
; %bb.245:                              ;   in Loop: Header=BB294_163 Depth=1
	v_cmp_ne_u16_e64 s[2:3], s39, v17
	v_bfrev_b32_e32 v46, 1
	s_and_saveexec_b64 s[22:23], s[2:3]
	s_cbranch_execz .LBB294_249
; %bb.246:                              ;   in Loop: Header=BB294_163 Depth=1
	v_and_b32_e32 v47, 0x7f, v17
	v_cmp_ne_u32_e64 s[2:3], s40, v47
	v_mov_b32_e32 v46, 0x7f800001
	s_and_saveexec_b64 s[28:29], s[2:3]
	s_cbranch_execz .LBB294_248
; %bb.247:                              ;   in Loop: Header=BB294_163 Depth=1
	v_and_b32_e32 v46, 7, v17
	v_ffbh_u32_e32 v48, v46
	v_min_u32_e32 v51, 32, v48
	v_subrev_u32_e32 v48, 28, v51
	v_lshlrev_b64 v[48:49], v48, v[17:18]
	v_lshrrev_b32_e32 v50, 3, v47
	v_sub_u32_e32 v17, 29, v51
	v_and_b32_e32 v48, 7, v48
	v_cmp_gt_u32_e64 s[2:3], 8, v47
	v_cndmask_b32_e64 v17, v50, v17, s[2:3]
	v_cndmask_b32_e64 v46, v46, v48, s[2:3]
	v_lshlrev_b32_e32 v9, 16, v9
	v_lshlrev_b32_e32 v46, 20, v46
	v_and_b32_e32 v9, 0x80000000, v9
	v_lshl_add_u32 v17, v17, 23, v33
	v_or3_b32 v46, v9, v17, v46
.LBB294_248:                            ;   in Loop: Header=BB294_163 Depth=1
	s_or_b64 exec, exec, s[28:29]
.LBB294_249:                            ;   in Loop: Header=BB294_163 Depth=1
	s_or_b64 exec, exec, s[22:23]
.LBB294_250:                            ;   in Loop: Header=BB294_163 Depth=1
	s_or_b64 exec, exec, s[20:21]
	v_lshrrev_b32_e32 v9, 16, v16
	v_cmp_ne_u16_sdwa s[2:3], v9, v10 src0_sel:BYTE_0 src1_sel:DWORD
	v_mov_b32_e32 v47, 0
	v_mov_b32_e32 v17, 0
	s_and_saveexec_b64 s[20:21], s[2:3]
	s_cbranch_execz .LBB294_256
; %bb.251:                              ;   in Loop: Header=BB294_163 Depth=1
	v_cmp_ne_u16_sdwa s[2:3], v9, s39 src0_sel:BYTE_0 src1_sel:DWORD
	v_bfrev_b32_e32 v17, 1
	s_and_saveexec_b64 s[22:23], s[2:3]
	s_cbranch_execz .LBB294_255
; %bb.252:                              ;   in Loop: Header=BB294_163 Depth=1
	v_bfe_u32 v48, v16, 16, 7
	v_cmp_ne_u32_e64 s[2:3], s40, v48
	v_mov_b32_e32 v17, 0x7f800001
	s_and_saveexec_b64 s[28:29], s[2:3]
	s_cbranch_execz .LBB294_254
; %bb.253:                              ;   in Loop: Header=BB294_163 Depth=1
	v_and_b32_e32 v17, 7, v9
	v_ffbh_u32_e32 v49, v17
	v_min_u32_e32 v52, 32, v49
	v_subrev_u32_e32 v49, 28, v52
	v_lshlrev_b64 v[49:50], v49, v[9:10]
	v_lshrrev_b32_e32 v51, 3, v48
	v_sub_u32_e32 v50, 29, v52
	v_and_b32_e32 v49, 7, v49
	v_cmp_gt_u32_e64 s[2:3], 8, v48
	v_cndmask_b32_e64 v48, v51, v50, s[2:3]
	v_cndmask_b32_e64 v17, v17, v49, s[2:3]
	v_lshlrev_b32_e32 v9, 24, v9
	v_lshlrev_b32_e32 v17, 20, v17
	v_and_b32_e32 v9, 0x80000000, v9
	v_lshl_add_u32 v48, v48, 23, v33
	v_or3_b32 v17, v9, v48, v17
.LBB294_254:                            ;   in Loop: Header=BB294_163 Depth=1
	s_or_b64 exec, exec, s[28:29]
.LBB294_255:                            ;   in Loop: Header=BB294_163 Depth=1
	s_or_b64 exec, exec, s[22:23]
.LBB294_256:                            ;   in Loop: Header=BB294_163 Depth=1
	s_or_b64 exec, exec, s[20:21]
	v_cmp_lt_u64_e64 s[2:3], s[12:13], v[15:16]
	s_and_saveexec_b64 s[20:21], s[2:3]
	s_cbranch_execz .LBB294_262
; %bb.257:                              ;   in Loop: Header=BB294_163 Depth=1
	v_lshrrev_b32_e32 v9, 24, v16
	v_cmp_ne_u32_e64 s[2:3], s39, v9
	v_bfrev_b32_e32 v47, 1
	s_and_saveexec_b64 s[22:23], s[2:3]
	s_cbranch_execz .LBB294_261
; %bb.258:                              ;   in Loop: Header=BB294_163 Depth=1
	v_bfe_u32 v15, v16, 24, 7
	v_cmp_ne_u32_e64 s[2:3], s40, v15
	v_mov_b32_e32 v47, 0x7f800001
	s_and_saveexec_b64 s[28:29], s[2:3]
	s_cbranch_execz .LBB294_260
; %bb.259:                              ;   in Loop: Header=BB294_163 Depth=1
	v_and_b32_e32 v16, 7, v9
	v_ffbh_u32_e32 v47, v16
	v_min_u32_e32 v50, 32, v47
	v_subrev_u32_e32 v47, 28, v50
	v_lshlrev_b64 v[47:48], v47, v[9:10]
	v_lshrrev_b32_e32 v49, 3, v15
	v_sub_u32_e32 v48, 29, v50
	v_and_b32_e32 v47, 7, v47
	v_cmp_gt_u32_e64 s[2:3], 8, v15
	v_cndmask_b32_e64 v15, v49, v48, s[2:3]
	v_cndmask_b32_e64 v16, v16, v47, s[2:3]
	v_lshlrev_b32_e32 v9, 24, v9
	v_lshlrev_b32_e32 v16, 20, v16
	v_and_b32_e32 v9, 0x80000000, v9
	v_lshl_add_u32 v15, v15, 23, v33
	v_or3_b32 v47, v9, v15, v16
.LBB294_260:                            ;   in Loop: Header=BB294_163 Depth=1
	s_or_b64 exec, exec, s[28:29]
.LBB294_261:                            ;   in Loop: Header=BB294_163 Depth=1
	s_or_b64 exec, exec, s[22:23]
.LBB294_262:                            ;   in Loop: Header=BB294_163 Depth=1
	s_or_b64 exec, exec, s[20:21]
	v_mul_f32_e32 v9, s43, v46
	v_bfe_u32 v15, v9, 16, 1
	v_add3_u32 v15, v15, v9, s41
	v_or_b32_e32 v16, 0x400000, v9
	v_cmp_u_f32_e64 s[2:3], v9, v9
	v_cndmask_b32_e64 v9, v15, v16, s[2:3]
	v_lshrrev_b32_e32 v15, 16, v9
	v_mul_f32_e32 v9, s43, v45
	v_bfe_u32 v16, v9, 16, 1
	v_add3_u32 v16, v16, v9, s41
	v_or_b32_e32 v45, 0x400000, v9
	v_cmp_u_f32_e64 s[2:3], v9, v9
	v_cndmask_b32_e64 v9, v16, v45, s[2:3]
	v_lshrrev_b32_e32 v16, 16, v9
	;; [unrolled: 7-line block ×8, first 2 shown]
	s_and_saveexec_b64 s[20:21], s[0:1]
	s_cbranch_execz .LBB294_264
; %bb.263:                              ;   in Loop: Header=BB294_163 Depth=1
	v_cmp_gt_i32_e64 s[2:3], s33, v40
	v_add_u32_e32 v9, 1, v40
	v_cndmask_b32_e64 v45, 0, v45, s[2:3]
	v_cmp_gt_i32_e64 s[2:3], s33, v9
	v_add_u32_e32 v9, 2, v40
	v_cndmask_b32_e64 v44, 0, v44, s[2:3]
	;; [unrolled: 3-line block ×7, first 2 shown]
	v_cmp_gt_i32_e64 s[2:3], s33, v9
	v_cndmask_b32_e64 v43, 0, v43, s[2:3]
.LBB294_264:                            ;   in Loop: Header=BB294_163 Depth=1
	s_or_b64 exec, exec, s[20:21]
	v_bfe_u32 v9, v5, 16, 1
	v_add3_u32 v9, v9, v5, s41
	v_or_b32_e32 v46, 0x400000, v5
	v_cmp_u_f32_e64 s[2:3], v5, v5
	v_cndmask_b32_e64 v5, v9, v46, s[2:3]
	v_bfe_u32 v9, v6, 16, 1
	v_add3_u32 v9, v9, v6, s41
	v_or_b32_e32 v46, 0x400000, v6
	v_cmp_u_f32_e64 s[2:3], v6, v6
	v_cndmask_b32_e64 v6, v9, v46, s[2:3]
	v_bfe_u32 v9, v7, 16, 1
	v_add3_u32 v9, v9, v7, s41
	v_or_b32_e32 v46, 0x400000, v7
	v_cmp_u_f32_e64 s[2:3], v7, v7
	v_bfe_u32 v7, v8, 16, 1
	v_cndmask_b32_e64 v9, v9, v46, s[2:3]
	v_add3_u32 v7, v7, v8, s41
	v_or_b32_e32 v46, 0x400000, v8
	v_cmp_u_f32_e64 s[2:3], v8, v8
	v_cndmask_b32_e64 v8, v7, v46, s[2:3]
	v_bfe_u32 v7, v1, 16, 1
	v_add3_u32 v7, v7, v1, s41
	v_or_b32_e32 v46, 0x400000, v1
	v_cmp_u_f32_e64 s[2:3], v1, v1
	v_cndmask_b32_e64 v1, v7, v46, s[2:3]
	v_bfe_u32 v7, v2, 16, 1
	;; [unrolled: 5-line block ×4, first 2 shown]
	v_add3_u32 v7, v7, v4, s41
	v_or_b32_e32 v46, 0x400000, v4
	v_cmp_u_f32_e64 s[2:3], v4, v4
	v_cndmask_b32_e64 v4, v7, v46, s[2:3]
	v_perm_b32 v7, v6, v5, s42
	v_perm_b32 v6, v8, v9, s42
	;; [unrolled: 1-line block ×4, first 2 shown]
	s_and_saveexec_b64 s[20:21], vcc
	s_cbranch_execz .LBB294_161
; %bb.265:                              ;   in Loop: Header=BB294_163 Depth=1
	v_add_co_u32_e64 v1, s[2:3], v13, v30
	v_addc_co_u32_e64 v2, s[2:3], 0, v14, s[2:3]
	global_load_dwordx2 v[1:2], v[1:2], off
	v_mov_b32_e32 v13, 0
	v_mov_b32_e32 v8, 0
	s_waitcnt vmcnt(0)
	v_cmp_ne_u16_sdwa s[2:3], v1, v10 src0_sel:BYTE_0 src1_sel:DWORD
	s_and_saveexec_b64 s[22:23], s[2:3]
	s_cbranch_execz .LBB294_271
; %bb.266:                              ;   in Loop: Header=BB294_163 Depth=1
	v_cmp_ne_u16_sdwa s[2:3], v1, s39 src0_sel:BYTE_0 src1_sel:DWORD
	v_bfrev_b32_e32 v8, 1
	s_and_saveexec_b64 s[28:29], s[2:3]
	s_cbranch_execz .LBB294_270
; %bb.267:                              ;   in Loop: Header=BB294_163 Depth=1
	v_and_b32_e32 v3, 0x7f, v1
	v_cmp_ne_u32_e64 s[2:3], s40, v3
	v_mov_b32_e32 v8, 0x7f800001
	s_and_saveexec_b64 s[30:31], s[2:3]
	s_cbranch_execz .LBB294_269
; %bb.268:                              ;   in Loop: Header=BB294_163 Depth=1
	v_and_b32_e32 v8, 7, v1
	v_ffbh_u32_e32 v8, v8
	v_min_u32_e32 v8, 32, v8
	v_lshrrev_b32_e32 v9, 3, v3
	v_subrev_u32_e32 v14, 28, v8
	v_sub_u32_e32 v8, 29, v8
	v_cmp_gt_u32_e64 s[2:3], 8, v3
	v_cndmask_b32_e64 v3, v9, v8, s[2:3]
	v_cndmask_b32_e64 v8, 0, v14, s[2:3]
	v_lshlrev_b64 v[8:9], v8, v[1:2]
	v_lshlrev_b32_e32 v9, 24, v1
	v_lshlrev_b32_e32 v8, 20, v8
	v_and_b32_e32 v8, 0x700000, v8
	v_and_b32_e32 v9, 0x80000000, v9
	v_lshl_add_u32 v3, v3, 23, v33
	v_or3_b32 v8, v9, v3, v8
.LBB294_269:                            ;   in Loop: Header=BB294_163 Depth=1
	s_or_b64 exec, exec, s[30:31]
.LBB294_270:                            ;   in Loop: Header=BB294_163 Depth=1
	s_or_b64 exec, exec, s[28:29]
.LBB294_271:                            ;   in Loop: Header=BB294_163 Depth=1
	s_or_b64 exec, exec, s[22:23]
	v_lshrrev_b16_e32 v3, 8, v1
	v_cmp_ne_u16_e64 s[2:3], 0, v3
	s_and_saveexec_b64 s[22:23], s[2:3]
	s_cbranch_execz .LBB294_277
; %bb.272:                              ;   in Loop: Header=BB294_163 Depth=1
	v_cmp_ne_u16_e64 s[2:3], s39, v3
	v_bfrev_b32_e32 v13, 1
	s_and_saveexec_b64 s[28:29], s[2:3]
	s_cbranch_execz .LBB294_276
; %bb.273:                              ;   in Loop: Header=BB294_163 Depth=1
	v_and_b32_e32 v9, 0x7f, v3
	v_cmp_ne_u32_e64 s[2:3], s40, v9
	v_mov_b32_e32 v13, 0x7f800001
	s_and_saveexec_b64 s[30:31], s[2:3]
	s_cbranch_execz .LBB294_275
; %bb.274:                              ;   in Loop: Header=BB294_163 Depth=1
	v_and_b32_e32 v46, 7, v3
	v_ffbh_u32_e32 v13, v46
	v_min_u32_e32 v48, 32, v13
	v_subrev_u32_e32 v13, 28, v48
	v_lshlrev_b64 v[13:14], v13, v[3:4]
	v_lshrrev_b32_e32 v47, 3, v9
	v_sub_u32_e32 v3, 29, v48
	v_and_b32_e32 v13, 7, v13
	v_cmp_gt_u32_e64 s[2:3], 8, v9
	v_cndmask_b32_e64 v3, v47, v3, s[2:3]
	v_cndmask_b32_e64 v9, v46, v13, s[2:3]
	v_lshlrev_b32_e32 v13, 16, v1
	v_lshlrev_b32_e32 v9, 20, v9
	v_and_b32_e32 v13, 0x80000000, v13
	v_lshl_add_u32 v3, v3, 23, v33
	v_or3_b32 v13, v13, v3, v9
.LBB294_275:                            ;   in Loop: Header=BB294_163 Depth=1
	s_or_b64 exec, exec, s[30:31]
.LBB294_276:                            ;   in Loop: Header=BB294_163 Depth=1
	s_or_b64 exec, exec, s[28:29]
.LBB294_277:                            ;   in Loop: Header=BB294_163 Depth=1
	s_or_b64 exec, exec, s[22:23]
	v_lshrrev_b32_e32 v3, 16, v1
	v_cmp_ne_u16_sdwa s[2:3], v3, v10 src0_sel:BYTE_0 src1_sel:DWORD
	v_mov_b32_e32 v46, 0
	v_mov_b32_e32 v14, 0
	s_and_saveexec_b64 s[22:23], s[2:3]
	s_cbranch_execz .LBB294_283
; %bb.278:                              ;   in Loop: Header=BB294_163 Depth=1
	v_cmp_ne_u16_sdwa s[2:3], v3, s39 src0_sel:BYTE_0 src1_sel:DWORD
	v_bfrev_b32_e32 v14, 1
	s_and_saveexec_b64 s[28:29], s[2:3]
	s_cbranch_execz .LBB294_282
; %bb.279:                              ;   in Loop: Header=BB294_163 Depth=1
	v_bfe_u32 v9, v1, 16, 7
	v_cmp_ne_u32_e64 s[2:3], s40, v9
	v_mov_b32_e32 v14, 0x7f800001
	s_and_saveexec_b64 s[30:31], s[2:3]
	s_cbranch_execz .LBB294_281
; %bb.280:                              ;   in Loop: Header=BB294_163 Depth=1
	v_and_b32_e32 v14, 7, v3
	v_ffbh_u32_e32 v47, v14
	v_min_u32_e32 v50, 32, v47
	v_subrev_u32_e32 v47, 28, v50
	v_lshlrev_b64 v[47:48], v47, v[3:4]
	v_lshrrev_b32_e32 v49, 3, v9
	v_sub_u32_e32 v48, 29, v50
	v_and_b32_e32 v47, 7, v47
	v_cmp_gt_u32_e64 s[2:3], 8, v9
	v_cndmask_b32_e64 v9, v49, v48, s[2:3]
	v_cndmask_b32_e64 v14, v14, v47, s[2:3]
	v_lshlrev_b32_e32 v3, 24, v3
	v_lshlrev_b32_e32 v14, 20, v14
	v_and_b32_e32 v3, 0x80000000, v3
	v_lshl_add_u32 v9, v9, 23, v33
	v_or3_b32 v14, v3, v9, v14
.LBB294_281:                            ;   in Loop: Header=BB294_163 Depth=1
	s_or_b64 exec, exec, s[30:31]
.LBB294_282:                            ;   in Loop: Header=BB294_163 Depth=1
	s_or_b64 exec, exec, s[28:29]
.LBB294_283:                            ;   in Loop: Header=BB294_163 Depth=1
	s_or_b64 exec, exec, s[22:23]
	v_cmp_lt_u32_e64 s[2:3], s13, v1
	s_and_saveexec_b64 s[22:23], s[2:3]
	s_cbranch_execz .LBB294_289
; %bb.284:                              ;   in Loop: Header=BB294_163 Depth=1
	v_lshrrev_b32_e32 v3, 24, v1
	v_cmp_ne_u32_e64 s[2:3], s39, v3
	v_bfrev_b32_e32 v46, 1
	s_and_saveexec_b64 s[28:29], s[2:3]
	s_cbranch_execz .LBB294_288
; %bb.285:                              ;   in Loop: Header=BB294_163 Depth=1
	v_bfe_u32 v9, v1, 24, 7
	v_cmp_ne_u32_e64 s[2:3], s40, v9
	v_mov_b32_e32 v46, 0x7f800001
	s_and_saveexec_b64 s[30:31], s[2:3]
	s_cbranch_execz .LBB294_287
; %bb.286:                              ;   in Loop: Header=BB294_163 Depth=1
	v_and_b32_e32 v48, 7, v3
	v_ffbh_u32_e32 v46, v48
	v_min_u32_e32 v50, 32, v46
	v_subrev_u32_e32 v46, 28, v50
	v_lshlrev_b64 v[46:47], v46, v[3:4]
	v_lshrrev_b32_e32 v49, 3, v9
	v_sub_u32_e32 v47, 29, v50
	v_and_b32_e32 v46, 7, v46
	v_cmp_gt_u32_e64 s[2:3], 8, v9
	v_cndmask_b32_e64 v9, v49, v47, s[2:3]
	v_cndmask_b32_e64 v46, v48, v46, s[2:3]
	v_lshlrev_b32_e32 v3, 24, v3
	v_lshlrev_b32_e32 v46, 20, v46
	v_and_b32_e32 v3, 0x80000000, v3
	v_lshl_add_u32 v9, v9, 23, v33
	v_or3_b32 v46, v3, v9, v46
.LBB294_287:                            ;   in Loop: Header=BB294_163 Depth=1
	s_or_b64 exec, exec, s[30:31]
.LBB294_288:                            ;   in Loop: Header=BB294_163 Depth=1
	s_or_b64 exec, exec, s[28:29]
.LBB294_289:                            ;   in Loop: Header=BB294_163 Depth=1
	s_or_b64 exec, exec, s[22:23]
	v_mov_b32_e32 v9, v2
	v_cmp_ne_u16_sdwa s[2:3], v2, v10 src0_sel:BYTE_0 src1_sel:DWORD
	v_mov_b32_e32 v48, 0
	v_mov_b32_e32 v47, 0
	s_and_saveexec_b64 s[22:23], s[2:3]
	s_cbranch_execz .LBB294_295
; %bb.290:                              ;   in Loop: Header=BB294_163 Depth=1
	v_cmp_ne_u16_sdwa s[2:3], v2, s39 src0_sel:BYTE_0 src1_sel:DWORD
	v_bfrev_b32_e32 v47, 1
	s_and_saveexec_b64 s[28:29], s[2:3]
	s_cbranch_execz .LBB294_294
; %bb.291:                              ;   in Loop: Header=BB294_163 Depth=1
	v_and_b32_e32 v3, 0x7f, v2
	v_cmp_ne_u32_e64 s[2:3], s40, v3
	v_mov_b32_e32 v47, 0x7f800001
	s_and_saveexec_b64 s[30:31], s[2:3]
	s_cbranch_execz .LBB294_293
; %bb.292:                              ;   in Loop: Header=BB294_163 Depth=1
	v_and_b32_e32 v47, 7, v2
	v_ffbh_u32_e32 v47, v47
	v_min_u32_e32 v47, 32, v47
	v_lshrrev_b32_e32 v49, 3, v3
	v_subrev_u32_e32 v50, 28, v47
	v_sub_u32_e32 v47, 29, v47
	v_cmp_gt_u32_e64 s[2:3], 8, v3
	v_cndmask_b32_e64 v3, v49, v47, s[2:3]
	v_cndmask_b32_e64 v47, 0, v50, s[2:3]
	v_lshlrev_b64 v[49:50], v47, v[9:10]
	v_lshl_add_u32 v3, v3, 23, v33
	v_lshlrev_b32_e32 v47, 20, v49
	v_lshlrev_b32_e32 v49, 24, v9
	v_and_b32_e32 v47, 0x700000, v47
	v_and_b32_e32 v49, 0x80000000, v49
	v_or3_b32 v47, v49, v3, v47
.LBB294_293:                            ;   in Loop: Header=BB294_163 Depth=1
	s_or_b64 exec, exec, s[30:31]
.LBB294_294:                            ;   in Loop: Header=BB294_163 Depth=1
	s_or_b64 exec, exec, s[28:29]
.LBB294_295:                            ;   in Loop: Header=BB294_163 Depth=1
	s_or_b64 exec, exec, s[22:23]
	v_lshrrev_b16_e32 v3, 8, v9
	v_cmp_ne_u16_e64 s[2:3], 0, v3
	s_and_saveexec_b64 s[22:23], s[2:3]
	s_cbranch_execz .LBB294_301
; %bb.296:                              ;   in Loop: Header=BB294_163 Depth=1
	v_cmp_ne_u16_e64 s[2:3], s39, v3
	v_bfrev_b32_e32 v48, 1
	s_and_saveexec_b64 s[28:29], s[2:3]
	s_cbranch_execz .LBB294_300
; %bb.297:                              ;   in Loop: Header=BB294_163 Depth=1
	v_and_b32_e32 v49, 0x7f, v3
	v_cmp_ne_u32_e64 s[2:3], s40, v49
	v_mov_b32_e32 v48, 0x7f800001
	s_and_saveexec_b64 s[30:31], s[2:3]
	s_cbranch_execz .LBB294_299
; %bb.298:                              ;   in Loop: Header=BB294_163 Depth=1
	v_and_b32_e32 v48, 7, v3
	v_ffbh_u32_e32 v50, v48
	v_min_u32_e32 v53, 32, v50
	v_subrev_u32_e32 v50, 28, v53
	v_lshlrev_b64 v[50:51], v50, v[3:4]
	v_lshrrev_b32_e32 v52, 3, v49
	v_sub_u32_e32 v3, 29, v53
	v_and_b32_e32 v50, 7, v50
	v_cmp_gt_u32_e64 s[2:3], 8, v49
	v_cndmask_b32_e64 v3, v52, v3, s[2:3]
	v_cndmask_b32_e64 v48, v48, v50, s[2:3]
	v_lshlrev_b32_e32 v9, 16, v9
	v_lshlrev_b32_e32 v48, 20, v48
	v_and_b32_e32 v9, 0x80000000, v9
	v_lshl_add_u32 v3, v3, 23, v33
	v_or3_b32 v48, v9, v3, v48
.LBB294_299:                            ;   in Loop: Header=BB294_163 Depth=1
	s_or_b64 exec, exec, s[30:31]
.LBB294_300:                            ;   in Loop: Header=BB294_163 Depth=1
	s_or_b64 exec, exec, s[28:29]
.LBB294_301:                            ;   in Loop: Header=BB294_163 Depth=1
	s_or_b64 exec, exec, s[22:23]
	v_lshrrev_b32_e32 v3, 16, v2
	v_cmp_ne_u16_sdwa s[2:3], v3, v10 src0_sel:BYTE_0 src1_sel:DWORD
	v_mov_b32_e32 v9, 0
	v_mov_b32_e32 v49, 0
	s_and_saveexec_b64 s[22:23], s[2:3]
	s_cbranch_execz .LBB294_307
; %bb.302:                              ;   in Loop: Header=BB294_163 Depth=1
	v_cmp_ne_u16_sdwa s[2:3], v3, s39 src0_sel:BYTE_0 src1_sel:DWORD
	v_bfrev_b32_e32 v49, 1
	s_and_saveexec_b64 s[28:29], s[2:3]
	s_cbranch_execz .LBB294_306
; %bb.303:                              ;   in Loop: Header=BB294_163 Depth=1
	v_bfe_u32 v50, v2, 16, 7
	v_cmp_ne_u32_e64 s[2:3], s40, v50
	v_mov_b32_e32 v49, 0x7f800001
	s_and_saveexec_b64 s[30:31], s[2:3]
	s_cbranch_execz .LBB294_305
; %bb.304:                              ;   in Loop: Header=BB294_163 Depth=1
	v_and_b32_e32 v49, 7, v3
	v_ffbh_u32_e32 v51, v49
	v_min_u32_e32 v54, 32, v51
	v_subrev_u32_e32 v51, 28, v54
	v_lshlrev_b64 v[51:52], v51, v[3:4]
	v_lshrrev_b32_e32 v53, 3, v50
	v_sub_u32_e32 v52, 29, v54
	v_and_b32_e32 v51, 7, v51
	v_cmp_gt_u32_e64 s[2:3], 8, v50
	v_cndmask_b32_e64 v50, v53, v52, s[2:3]
	v_cndmask_b32_e64 v49, v49, v51, s[2:3]
	v_lshlrev_b32_e32 v3, 24, v3
	v_lshlrev_b32_e32 v49, 20, v49
	v_and_b32_e32 v3, 0x80000000, v3
	v_lshl_add_u32 v50, v50, 23, v33
	v_or3_b32 v49, v3, v50, v49
.LBB294_305:                            ;   in Loop: Header=BB294_163 Depth=1
	s_or_b64 exec, exec, s[30:31]
.LBB294_306:                            ;   in Loop: Header=BB294_163 Depth=1
	s_or_b64 exec, exec, s[28:29]
.LBB294_307:                            ;   in Loop: Header=BB294_163 Depth=1
	s_or_b64 exec, exec, s[22:23]
	v_cmp_lt_u64_e64 s[2:3], s[12:13], v[1:2]
	s_and_saveexec_b64 s[22:23], s[2:3]
	s_cbranch_execz .LBB294_313
; %bb.308:                              ;   in Loop: Header=BB294_163 Depth=1
	v_lshrrev_b32_e32 v1, 24, v2
	v_cmp_ne_u32_e64 s[2:3], s39, v1
	v_bfrev_b32_e32 v9, 1
	s_and_saveexec_b64 s[28:29], s[2:3]
	s_cbranch_execz .LBB294_312
; %bb.309:                              ;   in Loop: Header=BB294_163 Depth=1
	v_bfe_u32 v2, v2, 24, 7
	v_cmp_ne_u32_e64 s[2:3], s40, v2
	v_mov_b32_e32 v9, 0x7f800001
	s_and_saveexec_b64 s[30:31], s[2:3]
	s_cbranch_execz .LBB294_311
; %bb.310:                              ;   in Loop: Header=BB294_163 Depth=1
	v_and_b32_e32 v3, 7, v1
	v_ffbh_u32_e32 v50, v3
	v_min_u32_e32 v52, 32, v50
	v_subrev_u32_e32 v50, 28, v52
	v_lshlrev_b64 v[50:51], v50, v[1:2]
	v_lshrrev_b32_e32 v9, 3, v2
	v_sub_u32_e32 v51, 29, v52
	v_and_b32_e32 v50, 7, v50
	v_cmp_gt_u32_e64 s[2:3], 8, v2
	v_cndmask_b32_e64 v2, v9, v51, s[2:3]
	v_cndmask_b32_e64 v3, v3, v50, s[2:3]
	v_lshlrev_b32_e32 v1, 24, v1
	v_lshlrev_b32_e32 v3, 20, v3
	v_and_b32_e32 v1, 0x80000000, v1
	v_lshl_add_u32 v2, v2, 23, v33
	v_or3_b32 v9, v1, v2, v3
.LBB294_311:                            ;   in Loop: Header=BB294_163 Depth=1
	s_or_b64 exec, exec, s[30:31]
.LBB294_312:                            ;   in Loop: Header=BB294_163 Depth=1
	s_or_b64 exec, exec, s[28:29]
.LBB294_313:                            ;   in Loop: Header=BB294_163 Depth=1
	s_or_b64 exec, exec, s[22:23]
	v_mul_f32_e32 v1, s43, v48
	v_bfe_u32 v2, v1, 16, 1
	v_add3_u32 v2, v2, v1, s41
	v_or_b32_e32 v3, 0x400000, v1
	v_cmp_u_f32_e64 s[2:3], v1, v1
	v_cndmask_b32_e64 v1, v2, v3, s[2:3]
	v_mul_f32_e32 v2, s43, v47
	v_bfe_u32 v3, v2, 16, 1
	v_add3_u32 v3, v3, v2, s41
	v_or_b32_e32 v47, 0x400000, v2
	v_cmp_u_f32_e64 s[2:3], v2, v2
	v_cndmask_b32_e64 v2, v3, v47, s[2:3]
	v_mul_f32_e32 v3, s43, v46
	v_bfe_u32 v46, v3, 16, 1
	v_add3_u32 v46, v46, v3, s41
	v_or_b32_e32 v47, 0x400000, v3
	v_cmp_u_f32_e64 s[2:3], v3, v3
	v_mul_f32_e32 v14, s43, v14
	v_cndmask_b32_e64 v3, v46, v47, s[2:3]
	v_bfe_u32 v46, v14, 16, 1
	v_add3_u32 v46, v46, v14, s41
	v_or_b32_e32 v47, 0x400000, v14
	v_cmp_u_f32_e64 s[2:3], v14, v14
	v_mul_f32_e32 v13, s43, v13
	v_cndmask_b32_e64 v14, v46, v47, s[2:3]
	v_bfe_u32 v46, v13, 16, 1
	v_add3_u32 v46, v46, v13, s41
	v_or_b32_e32 v47, 0x400000, v13
	v_cmp_u_f32_e64 s[2:3], v13, v13
	v_cndmask_b32_e64 v13, v46, v47, s[2:3]
	v_mul_f32_e32 v8, s43, v8
	v_lshrrev_b32_e32 v46, 16, v13
	v_bfe_u32 v13, v8, 16, 1
	v_add3_u32 v13, v13, v8, s41
	v_or_b32_e32 v47, 0x400000, v8
	v_cmp_u_f32_e64 s[2:3], v8, v8
	v_cndmask_b32_e64 v8, v13, v47, s[2:3]
	v_lshrrev_b32_e32 v47, 16, v8
	v_mul_f32_e32 v8, s43, v49
	v_bfe_u32 v13, v8, 16, 1
	v_add3_u32 v13, v13, v8, s41
	v_or_b32_e32 v48, 0x400000, v8
	v_cmp_u_f32_e64 s[2:3], v8, v8
	v_cndmask_b32_e64 v8, v13, v48, s[2:3]
	v_lshrrev_b32_e32 v13, 16, v8
	v_mul_f32_e32 v8, s43, v9
	v_bfe_u32 v9, v8, 16, 1
	v_add3_u32 v9, v9, v8, s41
	v_or_b32_e32 v48, 0x400000, v8
	v_cmp_u_f32_e64 s[2:3], v8, v8
	v_cndmask_b32_e64 v8, v9, v48, s[2:3]
	v_lshrrev_b32_e32 v1, 16, v1
	v_lshrrev_b32_e32 v2, 16, v2
	v_lshrrev_b32_e32 v3, 16, v3
	v_lshrrev_b32_e32 v14, 16, v14
	v_lshrrev_b32_e32 v8, 16, v8
	s_and_saveexec_b64 s[2:3], s[0:1]
	s_cbranch_execz .LBB294_160
; %bb.314:                              ;   in Loop: Header=BB294_163 Depth=1
	v_cmp_gt_i32_e64 s[0:1], s33, v40
	v_add_u32_e32 v9, 1, v40
	v_cndmask_b32_e64 v47, 0, v47, s[0:1]
	v_cmp_gt_i32_e64 s[0:1], s33, v9
	v_add_u32_e32 v9, 2, v40
	v_cndmask_b32_e64 v46, 0, v46, s[0:1]
	;; [unrolled: 3-line block ×7, first 2 shown]
	v_cmp_gt_i32_e64 s[0:1], s33, v9
	v_cndmask_b32_e64 v8, 0, v8, s[0:1]
	s_branch .LBB294_160
.LBB294_315:
	s_or_b64 exec, exec, s[16:17]
.LBB294_316:
	s_or_b64 exec, exec, s[4:5]
	ds_bpermute_b32 v1, v22, v26
	ds_bpermute_b32 v4, v22, v28
	;; [unrolled: 1-line block ×3, first 2 shown]
	v_cmp_eq_u32_e32 vcc, 0, v24
	s_waitcnt lgkmcnt(0)
	v_add_f32_e32 v3, v26, v1
	v_add_f32_e32 v1, v28, v4
	v_and_b32_e32 v4, 0x3c0, v0
	v_add_f32_e32 v2, v27, v2
	v_cmp_eq_u32_e64 s[0:1], 64, v4
	s_barrier
	s_and_saveexec_b64 s[2:3], s[0:1]
	s_cbranch_execz .LBB294_321
; %bb.317:
	s_and_saveexec_b64 s[0:1], vcc
; %bb.318:
	v_mov_b32_e32 v4, 0xb0
	v_lshl_add_u32 v4, v23, 2, v4
	ds_write2_b32 v4, v3, v2 offset1:32
; %bb.319:
	s_or_b64 exec, exec, s[0:1]
	v_or_b32_e32 v4, 64, v23
	s_movk_i32 s0, 0x50
	v_cmp_gt_u32_e64 s[0:1], s0, v4
	s_and_b64 s[0:1], vcc, s[0:1]
	s_and_b64 exec, exec, s[0:1]
; %bb.320:
	v_mov_b32_e32 v4, 0xb0
	v_lshl_add_u32 v4, v23, 2, v4
	ds_write_b32 v4, v1 offset:256
.LBB294_321:
	s_or_b64 exec, exec, s[2:3]
	v_cmp_gt_u32_e64 s[0:1], 64, v0
	v_lshrrev_b32_e32 v0, 1, v0
	s_waitcnt lgkmcnt(0)
	s_barrier
	s_and_saveexec_b64 s[4:5], s[0:1]
	s_cbranch_execz .LBB294_329
; %bb.322:
	s_and_saveexec_b64 s[2:3], vcc
	s_cbranch_execz .LBB294_324
; %bb.323:
	v_mov_b32_e32 v4, 0xb0
	v_lshl_add_u32 v4, v0, 2, v4
	ds_read_b32 v4, v4
	s_waitcnt lgkmcnt(0)
	v_add_f32_e32 v3, v3, v4
.LBB294_324:
	s_or_b64 exec, exec, s[2:3]
	v_or_b32_e32 v4, 32, v0
	s_movk_i32 s6, 0x50
	v_cmp_gt_u32_e64 s[2:3], s6, v4
	s_and_b64 s[12:13], vcc, s[2:3]
	s_and_saveexec_b64 s[2:3], s[12:13]
	s_cbranch_execz .LBB294_326
; %bb.325:
	v_mov_b32_e32 v4, 0xb0
	v_lshl_add_u32 v4, v0, 2, v4
	ds_read_b32 v4, v4 offset:128
	s_waitcnt lgkmcnt(0)
	v_add_f32_e32 v2, v2, v4
.LBB294_326:
	s_or_b64 exec, exec, s[2:3]
	v_or_b32_e32 v4, 64, v0
	v_cmp_gt_u32_e64 s[2:3], s6, v4
	s_and_b64 s[6:7], vcc, s[2:3]
	s_and_saveexec_b64 s[2:3], s[6:7]
	s_cbranch_execz .LBB294_328
; %bb.327:
	v_mov_b32_e32 v4, 0xb0
	v_lshl_add_u32 v4, v0, 2, v4
	ds_read_b32 v4, v4 offset:256
	s_waitcnt lgkmcnt(0)
	v_add_f32_e32 v1, v1, v4
.LBB294_328:
	s_or_b64 exec, exec, s[2:3]
.LBB294_329:
	s_or_b64 exec, exec, s[4:5]
	s_barrier
	s_and_saveexec_b64 s[2:3], s[0:1]
	s_cbranch_execz .LBB294_336
; %bb.330:
	s_mul_i32 s0, s10, s11
	s_mul_i32 s0, s0, s9
	s_mulk_i32 s0, 0x50
	s_ashr_i32 s1, s0, 31
	s_lshl_b64 s[0:1], s[0:1], 1
	s_add_u32 s2, s26, s0
	s_mul_i32 s0, s11, s24
	s_addc_u32 s3, s27, s1
	s_ashr_i32 s1, s0, 31
	s_lshl_b64 s[0:1], s[0:1], 1
	s_add_u32 s2, s2, s0
	s_mul_i32 s0, s8, 0x50
	s_addc_u32 s3, s3, s1
	s_ashr_i32 s1, s0, 31
	s_lshl_b64 s[0:1], s[0:1], 1
	s_add_u32 s2, s2, s0
	s_movk_i32 s6, 0x50
	s_addc_u32 s3, s3, s1
	v_lshlrev_b32_e32 v4, 1, v0
	s_and_saveexec_b64 s[4:5], vcc
	s_cbranch_execz .LBB294_332
; %bb.331:
	v_bfe_u32 v5, v3, 16, 1
	s_movk_i32 s0, 0x7fff
	v_add3_u32 v5, v5, v3, s0
	v_or_b32_e32 v6, 0x400000, v3
	v_cmp_u_f32_e64 s[0:1], v3, v3
	v_cndmask_b32_e64 v3, v5, v6, s[0:1]
	global_store_short_d16_hi v4, v3, s[2:3]
.LBB294_332:
	s_or_b64 exec, exec, s[4:5]
	v_or_b32_e32 v3, 32, v0
	v_cmp_gt_u32_e64 s[0:1], s6, v3
	s_and_b64 s[0:1], vcc, s[0:1]
	s_and_saveexec_b64 s[4:5], s[0:1]
	s_cbranch_execz .LBB294_334
; %bb.333:
	v_bfe_u32 v3, v2, 16, 1
	s_movk_i32 s0, 0x7fff
	v_add3_u32 v3, v3, v2, s0
	v_or_b32_e32 v5, 0x400000, v2
	v_cmp_u_f32_e64 s[0:1], v2, v2
	v_cndmask_b32_e64 v2, v3, v5, s[0:1]
	global_store_short_d16_hi v4, v2, s[2:3] offset:64
.LBB294_334:
	s_or_b64 exec, exec, s[4:5]
	v_or_b32_e32 v0, 64, v0
	s_movk_i32 s0, 0x50
	v_cmp_gt_u32_e64 s[0:1], s0, v0
	s_and_b64 s[0:1], vcc, s[0:1]
	s_and_b64 exec, exec, s[0:1]
	s_cbranch_execz .LBB294_336
; %bb.335:
	v_bfe_u32 v0, v1, 16, 1
	s_movk_i32 s0, 0x7fff
	v_add3_u32 v0, v0, v1, s0
	v_or_b32_e32 v2, 0x400000, v1
	v_cmp_u_f32_e32 vcc, v1, v1
	v_cndmask_b32_e32 v0, v0, v2, vcc
	global_store_short_d16_hi v4, v0, s[2:3] offset:128
.LBB294_336:
	s_endpgm
	.section	.rodata,"a",@progbits
	.p2align	6, 0x0
	.amdhsa_kernel _ZN4vllm25paged_attention_v1_kernelI14__hip_bfloat16hLi80ELi16ELi128ELNS_18Fp8KVCacheDataTypeE1ELb1EEEvPT_PKS3_PKT0_S9_ifPKiSB_iPKfiiiSD_SD_iiiii
		.amdhsa_group_segment_fixed_size 176
		.amdhsa_private_segment_fixed_size 0
		.amdhsa_kernarg_size 384
		.amdhsa_user_sgpr_count 6
		.amdhsa_user_sgpr_private_segment_buffer 1
		.amdhsa_user_sgpr_dispatch_ptr 0
		.amdhsa_user_sgpr_queue_ptr 0
		.amdhsa_user_sgpr_kernarg_segment_ptr 1
		.amdhsa_user_sgpr_dispatch_id 0
		.amdhsa_user_sgpr_flat_scratch_init 0
		.amdhsa_user_sgpr_private_segment_size 0
		.amdhsa_uses_dynamic_stack 0
		.amdhsa_system_sgpr_private_segment_wavefront_offset 0
		.amdhsa_system_sgpr_workgroup_id_x 1
		.amdhsa_system_sgpr_workgroup_id_y 1
		.amdhsa_system_sgpr_workgroup_id_z 1
		.amdhsa_system_sgpr_workgroup_info 0
		.amdhsa_system_vgpr_workitem_id 0
		.amdhsa_next_free_vgpr 64
		.amdhsa_next_free_sgpr 56
		.amdhsa_reserve_vcc 1
		.amdhsa_reserve_flat_scratch 0
		.amdhsa_float_round_mode_32 0
		.amdhsa_float_round_mode_16_64 0
		.amdhsa_float_denorm_mode_32 3
		.amdhsa_float_denorm_mode_16_64 3
		.amdhsa_dx10_clamp 1
		.amdhsa_ieee_mode 1
		.amdhsa_fp16_overflow 0
		.amdhsa_exception_fp_ieee_invalid_op 0
		.amdhsa_exception_fp_denorm_src 0
		.amdhsa_exception_fp_ieee_div_zero 0
		.amdhsa_exception_fp_ieee_overflow 0
		.amdhsa_exception_fp_ieee_underflow 0
		.amdhsa_exception_fp_ieee_inexact 0
		.amdhsa_exception_int_div_zero 0
	.end_amdhsa_kernel
	.section	.text._ZN4vllm25paged_attention_v1_kernelI14__hip_bfloat16hLi80ELi16ELi128ELNS_18Fp8KVCacheDataTypeE1ELb1EEEvPT_PKS3_PKT0_S9_ifPKiSB_iPKfiiiSD_SD_iiiii,"axG",@progbits,_ZN4vllm25paged_attention_v1_kernelI14__hip_bfloat16hLi80ELi16ELi128ELNS_18Fp8KVCacheDataTypeE1ELb1EEEvPT_PKS3_PKT0_S9_ifPKiSB_iPKfiiiSD_SD_iiiii,comdat
.Lfunc_end294:
	.size	_ZN4vllm25paged_attention_v1_kernelI14__hip_bfloat16hLi80ELi16ELi128ELNS_18Fp8KVCacheDataTypeE1ELb1EEEvPT_PKS3_PKT0_S9_ifPKiSB_iPKfiiiSD_SD_iiiii, .Lfunc_end294-_ZN4vllm25paged_attention_v1_kernelI14__hip_bfloat16hLi80ELi16ELi128ELNS_18Fp8KVCacheDataTypeE1ELb1EEEvPT_PKS3_PKT0_S9_ifPKiSB_iPKfiiiSD_SD_iiiii
                                        ; -- End function
	.set _ZN4vllm25paged_attention_v1_kernelI14__hip_bfloat16hLi80ELi16ELi128ELNS_18Fp8KVCacheDataTypeE1ELb1EEEvPT_PKS3_PKT0_S9_ifPKiSB_iPKfiiiSD_SD_iiiii.num_vgpr, 64
	.set _ZN4vllm25paged_attention_v1_kernelI14__hip_bfloat16hLi80ELi16ELi128ELNS_18Fp8KVCacheDataTypeE1ELb1EEEvPT_PKS3_PKT0_S9_ifPKiSB_iPKfiiiSD_SD_iiiii.num_agpr, 0
	.set _ZN4vllm25paged_attention_v1_kernelI14__hip_bfloat16hLi80ELi16ELi128ELNS_18Fp8KVCacheDataTypeE1ELb1EEEvPT_PKS3_PKT0_S9_ifPKiSB_iPKfiiiSD_SD_iiiii.numbered_sgpr, 56
	.set _ZN4vllm25paged_attention_v1_kernelI14__hip_bfloat16hLi80ELi16ELi128ELNS_18Fp8KVCacheDataTypeE1ELb1EEEvPT_PKS3_PKT0_S9_ifPKiSB_iPKfiiiSD_SD_iiiii.num_named_barrier, 0
	.set _ZN4vllm25paged_attention_v1_kernelI14__hip_bfloat16hLi80ELi16ELi128ELNS_18Fp8KVCacheDataTypeE1ELb1EEEvPT_PKS3_PKT0_S9_ifPKiSB_iPKfiiiSD_SD_iiiii.private_seg_size, 0
	.set _ZN4vllm25paged_attention_v1_kernelI14__hip_bfloat16hLi80ELi16ELi128ELNS_18Fp8KVCacheDataTypeE1ELb1EEEvPT_PKS3_PKT0_S9_ifPKiSB_iPKfiiiSD_SD_iiiii.uses_vcc, 1
	.set _ZN4vllm25paged_attention_v1_kernelI14__hip_bfloat16hLi80ELi16ELi128ELNS_18Fp8KVCacheDataTypeE1ELb1EEEvPT_PKS3_PKT0_S9_ifPKiSB_iPKfiiiSD_SD_iiiii.uses_flat_scratch, 0
	.set _ZN4vllm25paged_attention_v1_kernelI14__hip_bfloat16hLi80ELi16ELi128ELNS_18Fp8KVCacheDataTypeE1ELb1EEEvPT_PKS3_PKT0_S9_ifPKiSB_iPKfiiiSD_SD_iiiii.has_dyn_sized_stack, 0
	.set _ZN4vllm25paged_attention_v1_kernelI14__hip_bfloat16hLi80ELi16ELi128ELNS_18Fp8KVCacheDataTypeE1ELb1EEEvPT_PKS3_PKT0_S9_ifPKiSB_iPKfiiiSD_SD_iiiii.has_recursion, 0
	.set _ZN4vllm25paged_attention_v1_kernelI14__hip_bfloat16hLi80ELi16ELi128ELNS_18Fp8KVCacheDataTypeE1ELb1EEEvPT_PKS3_PKT0_S9_ifPKiSB_iPKfiiiSD_SD_iiiii.has_indirect_call, 0
	.section	.AMDGPU.csdata,"",@progbits
; Kernel info:
; codeLenInByte = 16628
; TotalNumSgprs: 60
; NumVgprs: 64
; ScratchSize: 0
; MemoryBound: 0
; FloatMode: 240
; IeeeMode: 1
; LDSByteSize: 176 bytes/workgroup (compile time only)
; SGPRBlocks: 7
; VGPRBlocks: 15
; NumSGPRsForWavesPerEU: 60
; NumVGPRsForWavesPerEU: 64
; Occupancy: 4
; WaveLimiterHint : 1
; COMPUTE_PGM_RSRC2:SCRATCH_EN: 0
; COMPUTE_PGM_RSRC2:USER_SGPR: 6
; COMPUTE_PGM_RSRC2:TRAP_HANDLER: 0
; COMPUTE_PGM_RSRC2:TGID_X_EN: 1
; COMPUTE_PGM_RSRC2:TGID_Y_EN: 1
; COMPUTE_PGM_RSRC2:TGID_Z_EN: 1
; COMPUTE_PGM_RSRC2:TIDIG_COMP_CNT: 0
	.section	.text._ZN4vllm25paged_attention_v1_kernelI14__hip_bfloat16hLi96ELi16ELi128ELNS_18Fp8KVCacheDataTypeE1ELb1EEEvPT_PKS3_PKT0_S9_ifPKiSB_iPKfiiiSD_SD_iiiii,"axG",@progbits,_ZN4vllm25paged_attention_v1_kernelI14__hip_bfloat16hLi96ELi16ELi128ELNS_18Fp8KVCacheDataTypeE1ELb1EEEvPT_PKS3_PKT0_S9_ifPKiSB_iPKfiiiSD_SD_iiiii,comdat
	.protected	_ZN4vllm25paged_attention_v1_kernelI14__hip_bfloat16hLi96ELi16ELi128ELNS_18Fp8KVCacheDataTypeE1ELb1EEEvPT_PKS3_PKT0_S9_ifPKiSB_iPKfiiiSD_SD_iiiii ; -- Begin function _ZN4vllm25paged_attention_v1_kernelI14__hip_bfloat16hLi96ELi16ELi128ELNS_18Fp8KVCacheDataTypeE1ELb1EEEvPT_PKS3_PKT0_S9_ifPKiSB_iPKfiiiSD_SD_iiiii
	.globl	_ZN4vllm25paged_attention_v1_kernelI14__hip_bfloat16hLi96ELi16ELi128ELNS_18Fp8KVCacheDataTypeE1ELb1EEEvPT_PKS3_PKT0_S9_ifPKiSB_iPKfiiiSD_SD_iiiii
	.p2align	8
	.type	_ZN4vllm25paged_attention_v1_kernelI14__hip_bfloat16hLi96ELi16ELi128ELNS_18Fp8KVCacheDataTypeE1ELb1EEEvPT_PKS3_PKT0_S9_ifPKiSB_iPKfiiiSD_SD_iiiii,@function
_ZN4vllm25paged_attention_v1_kernelI14__hip_bfloat16hLi96ELi16ELi128ELNS_18Fp8KVCacheDataTypeE1ELb1EEEvPT_PKS3_PKT0_S9_ifPKiSB_iPKfiiiSD_SD_iiiii: ; @_ZN4vllm25paged_attention_v1_kernelI14__hip_bfloat16hLi96ELi16ELi128ELNS_18Fp8KVCacheDataTypeE1ELb1EEEvPT_PKS3_PKT0_S9_ifPKiSB_iPKfiiiSD_SD_iiiii
; %bb.0:
	s_mov_b64 s[58:59], s[2:3]
	s_mov_b64 s[56:57], s[0:1]
	s_add_u32 s56, s56, s9
	s_load_dword s9, s[4:5], 0x80
	s_load_dwordx2 s[0:1], s[4:5], 0x30
	s_load_dwordx2 s[36:37], s[4:5], 0x20
	s_addc_u32 s57, s57, 0
	s_mov_b32 s10, s7
	s_ashr_i32 s11, s7, 31
	s_lshl_b64 s[2:3], s[10:11], 2
	s_waitcnt lgkmcnt(0)
	s_add_u32 s0, s0, s2
	s_addc_u32 s1, s1, s3
	s_abs_i32 s2, s36
	v_cvt_f32_u32_e32 v1, s2
	s_sub_i32 s11, 0, s2
	s_abs_i32 s7, s9
	s_xor_b32 s3, s9, s36
	v_rcp_iflag_f32_e32 v1, v1
	s_ashr_i32 s3, s3, 31
	v_mov_b32_e32 v13, v0
	s_mov_b32 s48, 0
	v_mul_f32_e32 v1, 0x4f7ffffe, v1
	v_cvt_u32_f32_e32 v1, v1
	v_readfirstlane_b32 s12, v1
	s_mul_i32 s11, s11, s12
	s_mul_hi_u32 s11, s12, s11
	s_add_i32 s12, s12, s11
	s_mul_hi_u32 s11, s7, s12
	s_mul_i32 s12, s11, s2
	s_sub_i32 s7, s7, s12
	s_add_i32 s12, s11, 1
	s_sub_i32 s13, s7, s2
	s_cmp_ge_u32 s7, s2
	s_cselect_b32 s11, s12, s11
	s_cselect_b32 s7, s13, s7
	s_add_i32 s12, s11, 1
	s_cmp_ge_u32 s7, s2
	s_cselect_b32 s2, s12, s11
	s_xor_b32 s2, s2, s3
	s_sub_i32 s14, s2, s3
	s_abs_i32 s11, s14
	v_cvt_f32_u32_e32 v1, s11
	s_load_dwordx2 s[2:3], s[4:5], 0x40
	s_sub_i32 s7, 0, s11
	s_abs_i32 s12, s6
	v_rcp_iflag_f32_e32 v1, v1
	v_mul_f32_e32 v1, 0x4f7ffffe, v1
	v_cvt_u32_f32_e32 v1, v1
	v_readfirstlane_b32 s13, v1
	s_mul_i32 s7, s7, s13
	s_mul_hi_u32 s7, s13, s7
	s_add_i32 s13, s13, s7
	s_waitcnt lgkmcnt(0)
	s_cmp_eq_u64 s[2:3], 0
	s_mul_hi_u32 s13, s12, s13
	s_cbranch_scc1 .LBB295_2
; %bb.1:
	s_ashr_i32 s7, s6, 31
	s_lshl_b64 s[16:17], s[6:7], 2
	s_add_u32 s2, s2, s16
	s_addc_u32 s3, s3, s17
	s_load_dword s48, s[2:3], 0x0
.LBB295_2:
	s_load_dword s33, s[0:1], 0x0
	s_load_dwordx4 s[16:19], s[4:5], 0x48
	s_ashr_i32 s2, s6, 31
	s_ashr_i32 s7, s14, 31
	v_and_b32_e32 v1, 3, v13
	s_mul_i32 s24, s6, 0x60
	v_cmp_gt_u32_e32 vcc, 48, v13
	s_and_saveexec_b64 s[0:1], vcc
	s_cbranch_execz .LBB295_4
; %bb.3:
	s_load_dwordx2 s[14:15], s[4:5], 0x8
	s_waitcnt lgkmcnt(0)
	s_mul_i32 s20, s16, s10
	s_ashr_i32 s21, s20, 31
	s_lshl_b64 s[20:21], s[20:21], 1
	v_lshlrev_b32_e32 v2, 2, v13
	s_add_u32 s3, s14, s20
	s_addc_u32 s16, s15, s21
	s_ashr_i32 s25, s24, 31
	s_lshl_b64 s[14:15], s[24:25], 1
	s_add_u32 s14, s3, s14
	s_addc_u32 s15, s16, s15
	global_load_dword v2, v2, s[14:15]
	v_and_b32_e32 v3, 0x3fc, v13
	v_mad_u32_u24 v3, v1, 48, v3
	s_waitcnt vmcnt(0)
	ds_write_b32 v3, v2
.LBB295_4:
	s_or_b64 exec, exec, s[0:1]
	s_mul_i32 s1, s13, s11
	s_sub_i32 s1, s12, s1
	s_xor_b32 s0, s2, s7
	s_add_i32 s2, s13, 1
	s_sub_i32 s7, s1, s11
	s_load_dwordx4 s[20:23], s[4:5], 0x68
	s_load_dword s3, s[4:5], 0x78
	s_cmp_ge_u32 s1, s11
	s_cselect_b32 s2, s2, s13
	s_cselect_b32 s1, s7, s1
	s_add_i32 s7, s2, 1
	s_cmp_ge_u32 s1, s11
	s_cselect_b32 s1, s7, s2
	s_waitcnt lgkmcnt(0)
	s_abs_i32 s25, s23
	v_cvt_f32_u32_e32 v2, s25
	s_xor_b32 s1, s1, s0
	s_sub_i32 s2, s1, s0
	s_sub_i32 s0, 0, s25
	v_rcp_iflag_f32_e32 v2, v2
	s_add_i32 s11, s33, -1
	s_abs_i32 s7, s11
	v_mul_f32_e32 v2, 0x4f7ffffe, v2
	v_cvt_u32_f32_e32 v2, v2
	s_barrier
	v_readfirstlane_b32 s46, v2
	s_mul_i32 s0, s0, s46
	s_mul_hi_u32 s0, s46, s0
	s_add_i32 s46, s46, s0
	s_cmp_lt_i32 s3, 0
	s_mul_hi_u32 s16, s7, s46
	s_cbranch_scc0 .LBB295_6
; %bb.5:
	s_mul_i32 s0, s20, s36
	s_add_i32 s0, s2, s0
	s_mul_i32 s0, s0, s3
	s_sub_i32 s36, 1, s0
	s_mov_b64 s[0:1], 0
	s_branch .LBB295_7
.LBB295_6:
	s_mov_b64 s[0:1], -1
                                        ; implicit-def: $sgpr36
.LBB295_7:
	s_load_dwordx2 s[28:29], s[4:5], 0x28
	s_ashr_i32 s19, s11, 31
	s_andn2_b64 vcc, exec, s[0:1]
	s_ashr_i32 s23, s23, 31
	s_cbranch_vccnz .LBB295_9
; %bb.8:
	s_mul_i32 s0, s9, s20
	s_add_i32 s0, s0, s6
	s_mul_i32 s0, s0, s3
	s_add_i32 s36, s0, 1
.LBB295_9:
	s_load_dword s0, s[4:5], 0x38
	s_load_dwordx2 s[26:27], s[4:5], 0x0
	s_load_dwordx2 s[34:35], s[4:5], 0x18
	s_load_dword s11, s[4:5], 0x88
	s_load_dwordx4 s[12:15], s[4:5], 0x58
	s_mul_i32 s1, s16, s25
	s_waitcnt lgkmcnt(0)
	s_mul_i32 s30, s0, s10
	s_sub_i32 s1, s7, s1
	s_ashr_i32 s31, s30, 31
	s_xor_b32 s0, s19, s23
	s_add_i32 s3, s16, 1
	s_sub_i32 s6, s1, s25
	s_cmp_ge_u32 s1, s25
	s_cselect_b32 s3, s3, s16
	s_cselect_b32 s1, s6, s1
	s_add_i32 s6, s3, 1
	s_cmp_ge_u32 s1, s25
	s_cselect_b32 s1, s6, s3
	s_xor_b32 s1, s1, s0
	s_sub_i32 s16, s1, s0
	s_add_i32 s0, s33, 15
	s_ashr_i32 s1, s0, 31
	s_lshr_b32 s1, s1, 28
	s_add_i32 s0, s0, s1
	s_ashr_i32 s47, s0, 4
	v_lshrrev_b32_e32 v21, 6, v13
	v_cmp_gt_i32_e64 s[0:1], s47, v21
	v_mov_b32_e32 v28, 0xff7fffff
	s_mul_i32 s20, s2, s18
	v_lshrrev_b32_e32 v14, 4, v13
	v_lshlrev_b32_e32 v22, 4, v21
	v_mbcnt_lo_u32_b32 v0, -1, 0
	s_mov_b64 s[18:19], exec
	s_and_b64 s[2:3], s[18:19], s[0:1]
	buffer_store_dword v13, off, s[56:59], 0 offset:16 ; 4-byte Folded Spill
	s_mov_b64 exec, s[2:3]
	s_cbranch_execz .LBB295_165
; %bb.10:
	s_load_dwordx2 s[2:3], s[4:5], 0x10
	s_sub_i32 s49, s16, s21
	s_ashr_i32 s4, s20, 31
	v_cmp_eq_u32_e32 vcc, 0, v1
	v_lshlrev_b32_e32 v3, 1, v1
	s_waitcnt lgkmcnt(0)
	s_add_u32 s5, s2, s20
	s_addc_u32 s4, s3, s4
	s_abs_i32 s50, s22
	v_cvt_f32_u32_e32 v2, s50
	s_sub_i32 s2, 0, s50
	v_mul_u32_u24_e32 v26, 48, v1
	v_bfe_u32 v6, v13, 2, 4
	v_rcp_iflag_f32_e32 v2, v2
	v_lshlrev_b32_e32 v4, 4, v6
	v_mov_b32_e32 v5, s4
	v_add_co_u32_e64 v4, s[4:5], s5, v4
	v_mul_f32_e32 v2, 0x4f7ffffe, v2
	v_cvt_u32_f32_e32 v2, v2
	v_addc_co_u32_e64 v5, s[4:5], 0, v5, s[4:5]
	s_mov_b32 s51, s17
	v_mul_lo_u32 v1, s2, v2
	v_cmp_neq_f32_e64 s[2:3], s48, 0
	v_lshlrev_b32_e32 v29, 4, v21
	s_mov_b64 s[38:39], 0
	v_mul_hi_u32 v1, v2, v1
	s_movk_i32 s52, 0x80
	s_movk_i32 s53, 0x7f
	;; [unrolled: 1-line block ×3, first 2 shown]
	v_add_u32_e32 v27, v2, v1
	v_add_co_u32_e64 v1, s[4:5], v4, v3
	v_addc_co_u32_e64 v2, s[4:5], 0, v5, s[4:5]
	s_lshl_b64 s[4:5], s[30:31], 2
	buffer_store_dword v1, off, s[56:59], 0 ; 4-byte Folded Spill
	s_nop 0
	buffer_store_dword v2, off, s[56:59], 0 offset:4 ; 4-byte Folded Spill
	buffer_store_dword v14, off, s[56:59], 0 offset:20 ; 4-byte Folded Spill
	s_add_u32 s4, s28, s4
	v_and_b32_e32 v1, 60, v14
	s_addc_u32 s5, s29, s5
	v_mov_b32_e32 v2, s5
	v_add_co_u32_e64 v15, s[4:5], s4, v1
	v_subrev_u32_e32 v1, s33, v6
	v_add_u32_e32 v1, 1, v1
	buffer_store_dword v1, off, s[56:59], 0 offset:12 ; 4-byte Folded Spill
	buffer_store_dword v6, off, s[56:59], 0 offset:8 ; 4-byte Folded Spill
	v_lshlrev_b32_e32 v1, 2, v6
	v_lshl_or_b32 v1, v21, 6, v1
	v_addc_co_u32_e64 v16, s[4:5], 0, v2, s[4:5]
	v_add_u32_e32 v31, 0xd0, v1
	v_mov_b32_e32 v32, 0
	v_mbcnt_hi_u32_b32 v34, -1, v0
	v_mov_b32_e32 v28, 0xff7fffff
	v_mov_b32_e32 v35, v21
	s_branch .LBB295_13
.LBB295_11:                             ;   in Loop: Header=BB295_13 Depth=1
	s_or_b64 exec, exec, s[40:41]
.LBB295_12:                             ;   in Loop: Header=BB295_13 Depth=1
	s_or_b64 exec, exec, s[6:7]
	v_add_co_u32_e64 v15, s[4:5], 8, v15
	v_add_u32_e32 v35, 2, v35
	v_addc_co_u32_e64 v16, s[4:5], 0, v16, s[4:5]
	v_cmp_le_i32_e64 s[4:5], s47, v35
	v_add_u32_e32 v29, 32, v29
	s_or_b64 s[38:39], s[4:5], s[38:39]
	v_add_u32_e32 v31, 0x80, v31
	s_andn2_b64 exec, exec, s[38:39]
	s_cbranch_execz .LBB295_164
.LBB295_13:                             ; =>This Inner Loop Header: Depth=1
	v_mul_hi_u32 v1, v29, s46
	s_waitcnt lgkmcnt(0)
	v_mul_lo_u32 v2, v1, s25
	v_add_u32_e32 v3, 1, v1
	v_sub_u32_e32 v2, v29, v2
	v_cmp_le_u32_e64 s[4:5], s25, v2
	v_cndmask_b32_e64 v1, v1, v3, s[4:5]
	v_subrev_u32_e32 v3, s25, v2
	v_cndmask_b32_e64 v2, v2, v3, s[4:5]
	v_add_u32_e32 v3, 1, v1
	v_cmp_le_u32_e64 s[4:5], s25, v2
	v_cndmask_b32_e64 v1, v1, v3, s[4:5]
	v_xor_b32_e32 v1, s23, v1
	v_subrev_u32_e32 v1, s23, v1
	v_add_u32_e32 v2, s36, v1
	v_sub_u32_e32 v3, 0, v2
	v_max_i32_e32 v3, v2, v3
	v_mul_hi_u32 v4, v3, v27
	v_ashrrev_i32_e32 v2, 31, v2
	v_cmp_ge_i32_e64 s[6:7], s49, v1
	v_mul_lo_u32 v4, v4, s50
	v_sub_u32_e32 v3, v3, v4
	v_subrev_u32_e32 v4, s50, v3
	v_cmp_le_u32_e64 s[4:5], s50, v3
	v_cndmask_b32_e64 v3, v3, v4, s[4:5]
	v_subrev_u32_e32 v4, s50, v3
	v_cmp_le_u32_e64 s[4:5], s50, v3
	v_cndmask_b32_e64 v3, v3, v4, s[4:5]
	v_xor_b32_e32 v3, v3, v2
	v_sub_u32_e32 v2, v3, v2
	v_cmp_ne_u32_e64 s[4:5], 0, v2
	s_and_b64 s[4:5], s[4:5], s[6:7]
	s_and_saveexec_b64 s[6:7], s[4:5]
	s_xor_b64 s[4:5], exec, s[6:7]
	s_cbranch_execz .LBB295_17
; %bb.14:                               ;   in Loop: Header=BB295_13 Depth=1
	s_and_saveexec_b64 s[6:7], vcc
; %bb.15:                               ;   in Loop: Header=BB295_13 Depth=1
	v_mov_b32_e32 v1, 0xff7fffff
	ds_write_b32 v31, v1
; %bb.16:                               ;   in Loop: Header=BB295_13 Depth=1
	s_or_b64 exec, exec, s[6:7]
.LBB295_17:                             ;   in Loop: Header=BB295_13 Depth=1
	s_andn2_saveexec_b64 s[6:7], s[4:5]
	s_cbranch_execz .LBB295_12
; %bb.18:                               ;   in Loop: Header=BB295_13 Depth=1
	global_load_dword v1, v[15:16], off
	buffer_load_dword v2, off, s[56:59], 0  ; 4-byte Folded Reload
	buffer_load_dword v3, off, s[56:59], 0 offset:4 ; 4-byte Folded Reload
	v_mov_b32_e32 v37, 0
	v_mov_b32_e32 v36, 0
	s_waitcnt vmcnt(0)
	v_mad_i64_i32 v[17:18], s[4:5], v1, s51, v[2:3]
	global_load_ushort v20, v[17:18], off
	ds_read_b128 v[9:12], v26
	ds_read_b128 v[5:8], v26 offset:16
	ds_read_b128 v[1:4], v26 offset:32
	s_load_dword s55, s[12:13], 0x0
	s_waitcnt vmcnt(0)
	v_and_b32_e32 v19, 0xffff, v20
	v_cmp_ne_u16_sdwa s[4:5], v20, v32 src0_sel:BYTE_0 src1_sel:DWORD
	s_and_saveexec_b64 s[40:41], s[4:5]
	s_cbranch_execz .LBB295_24
; %bb.19:                               ;   in Loop: Header=BB295_13 Depth=1
	v_cmp_ne_u16_sdwa s[4:5], v19, s52 src0_sel:BYTE_0 src1_sel:DWORD
	v_bfrev_b32_e32 v36, 1
	s_and_saveexec_b64 s[42:43], s[4:5]
	s_cbranch_execz .LBB295_23
; %bb.20:                               ;   in Loop: Header=BB295_13 Depth=1
	v_and_b32_e32 v20, 0x7f, v19
	v_cmp_ne_u32_e64 s[4:5], s53, v20
	v_mov_b32_e32 v36, 0x7f800001
	s_and_saveexec_b64 s[44:45], s[4:5]
	s_cbranch_execz .LBB295_22
; %bb.21:                               ;   in Loop: Header=BB295_13 Depth=1
	v_and_b32_e32 v36, 7, v19
	v_ffbh_u32_e32 v38, v36
	v_min_u32_e32 v41, 32, v38
	v_subrev_u32_e32 v38, 28, v41
	v_lshlrev_b64 v[38:39], v38, v[19:20]
	v_lshrrev_b32_e32 v40, 3, v20
	v_sub_u32_e32 v39, 29, v41
	v_and_b32_e32 v38, 7, v38
	v_cmp_gt_u32_e64 s[4:5], 8, v20
	v_cndmask_b32_e64 v20, v40, v39, s[4:5]
	v_cndmask_b32_e64 v36, v36, v38, s[4:5]
	v_lshlrev_b32_e32 v38, 24, v19
	v_bfrev_b32_e32 v0, 60
	v_lshlrev_b32_e32 v36, 20, v36
	v_and_b32_e32 v38, 0x80000000, v38
	v_lshl_add_u32 v20, v20, 23, v0
	v_or3_b32 v36, v38, v20, v36
.LBB295_22:                             ;   in Loop: Header=BB295_13 Depth=1
	s_or_b64 exec, exec, s[44:45]
.LBB295_23:                             ;   in Loop: Header=BB295_13 Depth=1
	s_or_b64 exec, exec, s[42:43]
.LBB295_24:                             ;   in Loop: Header=BB295_13 Depth=1
	s_or_b64 exec, exec, s[40:41]
	v_lshrrev_b16_e32 v20, 8, v19
	v_cmp_ne_u16_e64 s[4:5], 0, v20
	s_and_saveexec_b64 s[40:41], s[4:5]
	s_cbranch_execz .LBB295_30
; %bb.25:                               ;   in Loop: Header=BB295_13 Depth=1
	v_cmp_ne_u16_e64 s[4:5], s52, v20
	v_bfrev_b32_e32 v37, 1
	s_and_saveexec_b64 s[42:43], s[4:5]
	s_cbranch_execz .LBB295_29
; %bb.26:                               ;   in Loop: Header=BB295_13 Depth=1
	v_and_b32_e32 v38, 0x7f, v20
	v_cmp_ne_u32_e64 s[4:5], s53, v38
	v_mov_b32_e32 v37, 0x7f800001
	s_and_saveexec_b64 s[44:45], s[4:5]
	s_cbranch_execz .LBB295_28
; %bb.27:                               ;   in Loop: Header=BB295_13 Depth=1
	v_and_b32_e32 v37, 7, v20
	v_ffbh_u32_e32 v39, v37
	v_min_u32_e32 v42, 32, v39
	v_subrev_u32_e32 v39, 28, v42
	v_lshlrev_b64 v[39:40], v39, v[20:21]
	v_lshrrev_b32_e32 v41, 3, v38
	v_sub_u32_e32 v20, 29, v42
	v_and_b32_e32 v39, 7, v39
	v_cmp_gt_u32_e64 s[4:5], 8, v38
	v_cndmask_b32_e64 v20, v41, v20, s[4:5]
	v_cndmask_b32_e64 v37, v37, v39, s[4:5]
	v_lshlrev_b32_e32 v19, 16, v19
	v_bfrev_b32_e32 v0, 60
	v_lshlrev_b32_e32 v37, 20, v37
	v_and_b32_e32 v19, 0x80000000, v19
	v_lshl_add_u32 v20, v20, 23, v0
	v_or3_b32 v37, v19, v20, v37
.LBB295_28:                             ;   in Loop: Header=BB295_13 Depth=1
	s_or_b64 exec, exec, s[44:45]
.LBB295_29:                             ;   in Loop: Header=BB295_13 Depth=1
	s_or_b64 exec, exec, s[42:43]
.LBB295_30:                             ;   in Loop: Header=BB295_13 Depth=1
	s_or_b64 exec, exec, s[40:41]
	global_load_ushort v20, v[17:18], off offset:8
	v_mov_b32_e32 v39, 0
	v_mov_b32_e32 v38, 0
	s_waitcnt vmcnt(0)
	v_and_b32_e32 v19, 0xffff, v20
	v_cmp_ne_u16_sdwa s[4:5], v20, v32 src0_sel:BYTE_0 src1_sel:DWORD
	s_and_saveexec_b64 s[40:41], s[4:5]
	s_cbranch_execz .LBB295_36
; %bb.31:                               ;   in Loop: Header=BB295_13 Depth=1
	v_cmp_ne_u16_sdwa s[4:5], v19, s52 src0_sel:BYTE_0 src1_sel:DWORD
	v_bfrev_b32_e32 v38, 1
	s_and_saveexec_b64 s[42:43], s[4:5]
	s_cbranch_execz .LBB295_35
; %bb.32:                               ;   in Loop: Header=BB295_13 Depth=1
	v_and_b32_e32 v20, 0x7f, v19
	v_cmp_ne_u32_e64 s[4:5], s53, v20
	v_mov_b32_e32 v38, 0x7f800001
	s_and_saveexec_b64 s[44:45], s[4:5]
	s_cbranch_execz .LBB295_34
; %bb.33:                               ;   in Loop: Header=BB295_13 Depth=1
	v_and_b32_e32 v38, 7, v19
	v_ffbh_u32_e32 v40, v38
	v_min_u32_e32 v43, 32, v40
	v_subrev_u32_e32 v40, 28, v43
	v_lshlrev_b64 v[40:41], v40, v[19:20]
	v_lshrrev_b32_e32 v42, 3, v20
	v_sub_u32_e32 v41, 29, v43
	v_and_b32_e32 v40, 7, v40
	v_cmp_gt_u32_e64 s[4:5], 8, v20
	v_cndmask_b32_e64 v20, v42, v41, s[4:5]
	v_cndmask_b32_e64 v38, v38, v40, s[4:5]
	v_lshlrev_b32_e32 v40, 24, v19
	v_bfrev_b32_e32 v0, 60
	v_lshlrev_b32_e32 v38, 20, v38
	v_and_b32_e32 v40, 0x80000000, v40
	v_lshl_add_u32 v20, v20, 23, v0
	v_or3_b32 v38, v40, v20, v38
.LBB295_34:                             ;   in Loop: Header=BB295_13 Depth=1
	s_or_b64 exec, exec, s[44:45]
.LBB295_35:                             ;   in Loop: Header=BB295_13 Depth=1
	s_or_b64 exec, exec, s[42:43]
.LBB295_36:                             ;   in Loop: Header=BB295_13 Depth=1
	s_or_b64 exec, exec, s[40:41]
	v_lshrrev_b16_e32 v20, 8, v19
	v_cmp_ne_u16_e64 s[4:5], 0, v20
	s_and_saveexec_b64 s[40:41], s[4:5]
	s_cbranch_execz .LBB295_42
; %bb.37:                               ;   in Loop: Header=BB295_13 Depth=1
	v_cmp_ne_u16_e64 s[4:5], s52, v20
	v_bfrev_b32_e32 v39, 1
	s_and_saveexec_b64 s[42:43], s[4:5]
	s_cbranch_execz .LBB295_41
; %bb.38:                               ;   in Loop: Header=BB295_13 Depth=1
	v_and_b32_e32 v40, 0x7f, v20
	v_cmp_ne_u32_e64 s[4:5], s53, v40
	v_mov_b32_e32 v39, 0x7f800001
	s_and_saveexec_b64 s[44:45], s[4:5]
	s_cbranch_execz .LBB295_40
; %bb.39:                               ;   in Loop: Header=BB295_13 Depth=1
	v_and_b32_e32 v39, 7, v20
	v_ffbh_u32_e32 v41, v39
	v_min_u32_e32 v44, 32, v41
	v_subrev_u32_e32 v41, 28, v44
	v_lshlrev_b64 v[41:42], v41, v[20:21]
	v_lshrrev_b32_e32 v43, 3, v40
	v_sub_u32_e32 v20, 29, v44
	v_and_b32_e32 v41, 7, v41
	v_cmp_gt_u32_e64 s[4:5], 8, v40
	v_cndmask_b32_e64 v20, v43, v20, s[4:5]
	v_cndmask_b32_e64 v39, v39, v41, s[4:5]
	v_lshlrev_b32_e32 v19, 16, v19
	v_bfrev_b32_e32 v0, 60
	v_lshlrev_b32_e32 v39, 20, v39
	v_and_b32_e32 v19, 0x80000000, v19
	v_lshl_add_u32 v20, v20, 23, v0
	v_or3_b32 v39, v19, v20, v39
.LBB295_40:                             ;   in Loop: Header=BB295_13 Depth=1
	s_or_b64 exec, exec, s[44:45]
.LBB295_41:                             ;   in Loop: Header=BB295_13 Depth=1
	s_or_b64 exec, exec, s[42:43]
.LBB295_42:                             ;   in Loop: Header=BB295_13 Depth=1
	s_or_b64 exec, exec, s[40:41]
	global_load_ushort v20, v[17:18], off offset:256
	v_mov_b32_e32 v41, 0
	v_mov_b32_e32 v40, 0
	s_waitcnt vmcnt(0)
	v_and_b32_e32 v19, 0xffff, v20
	v_cmp_ne_u16_sdwa s[4:5], v20, v32 src0_sel:BYTE_0 src1_sel:DWORD
	s_and_saveexec_b64 s[40:41], s[4:5]
	s_cbranch_execz .LBB295_48
; %bb.43:                               ;   in Loop: Header=BB295_13 Depth=1
	v_cmp_ne_u16_sdwa s[4:5], v19, s52 src0_sel:BYTE_0 src1_sel:DWORD
	v_bfrev_b32_e32 v40, 1
	s_and_saveexec_b64 s[42:43], s[4:5]
	s_cbranch_execz .LBB295_47
; %bb.44:                               ;   in Loop: Header=BB295_13 Depth=1
	v_and_b32_e32 v20, 0x7f, v19
	v_cmp_ne_u32_e64 s[4:5], s53, v20
	v_mov_b32_e32 v40, 0x7f800001
	s_and_saveexec_b64 s[44:45], s[4:5]
	s_cbranch_execz .LBB295_46
; %bb.45:                               ;   in Loop: Header=BB295_13 Depth=1
	v_and_b32_e32 v40, 7, v19
	v_ffbh_u32_e32 v42, v40
	v_min_u32_e32 v45, 32, v42
	v_subrev_u32_e32 v42, 28, v45
	v_lshlrev_b64 v[42:43], v42, v[19:20]
	v_lshrrev_b32_e32 v44, 3, v20
	v_sub_u32_e32 v43, 29, v45
	v_and_b32_e32 v42, 7, v42
	v_cmp_gt_u32_e64 s[4:5], 8, v20
	v_cndmask_b32_e64 v20, v44, v43, s[4:5]
	v_cndmask_b32_e64 v40, v40, v42, s[4:5]
	v_lshlrev_b32_e32 v42, 24, v19
	v_bfrev_b32_e32 v0, 60
	v_lshlrev_b32_e32 v40, 20, v40
	v_and_b32_e32 v42, 0x80000000, v42
	v_lshl_add_u32 v20, v20, 23, v0
	v_or3_b32 v40, v42, v20, v40
.LBB295_46:                             ;   in Loop: Header=BB295_13 Depth=1
	s_or_b64 exec, exec, s[44:45]
.LBB295_47:                             ;   in Loop: Header=BB295_13 Depth=1
	s_or_b64 exec, exec, s[42:43]
.LBB295_48:                             ;   in Loop: Header=BB295_13 Depth=1
	s_or_b64 exec, exec, s[40:41]
	v_lshrrev_b16_e32 v20, 8, v19
	v_cmp_ne_u16_e64 s[4:5], 0, v20
	s_and_saveexec_b64 s[40:41], s[4:5]
	s_cbranch_execz .LBB295_54
; %bb.49:                               ;   in Loop: Header=BB295_13 Depth=1
	v_cmp_ne_u16_e64 s[4:5], s52, v20
	v_bfrev_b32_e32 v41, 1
	s_and_saveexec_b64 s[42:43], s[4:5]
	s_cbranch_execz .LBB295_53
; %bb.50:                               ;   in Loop: Header=BB295_13 Depth=1
	v_and_b32_e32 v42, 0x7f, v20
	v_cmp_ne_u32_e64 s[4:5], s53, v42
	v_mov_b32_e32 v41, 0x7f800001
	s_and_saveexec_b64 s[44:45], s[4:5]
	s_cbranch_execz .LBB295_52
; %bb.51:                               ;   in Loop: Header=BB295_13 Depth=1
	v_and_b32_e32 v41, 7, v20
	v_ffbh_u32_e32 v43, v41
	v_min_u32_e32 v46, 32, v43
	v_subrev_u32_e32 v43, 28, v46
	v_lshlrev_b64 v[43:44], v43, v[20:21]
	v_lshrrev_b32_e32 v45, 3, v42
	v_sub_u32_e32 v20, 29, v46
	v_and_b32_e32 v43, 7, v43
	v_cmp_gt_u32_e64 s[4:5], 8, v42
	v_cndmask_b32_e64 v20, v45, v20, s[4:5]
	v_cndmask_b32_e64 v41, v41, v43, s[4:5]
	v_lshlrev_b32_e32 v19, 16, v19
	v_bfrev_b32_e32 v0, 60
	v_lshlrev_b32_e32 v41, 20, v41
	v_and_b32_e32 v19, 0x80000000, v19
	v_lshl_add_u32 v20, v20, 23, v0
	v_or3_b32 v41, v19, v20, v41
.LBB295_52:                             ;   in Loop: Header=BB295_13 Depth=1
	s_or_b64 exec, exec, s[44:45]
.LBB295_53:                             ;   in Loop: Header=BB295_13 Depth=1
	s_or_b64 exec, exec, s[42:43]
.LBB295_54:                             ;   in Loop: Header=BB295_13 Depth=1
	s_or_b64 exec, exec, s[40:41]
	global_load_ushort v20, v[17:18], off offset:264
	v_mov_b32_e32 v43, 0
	v_mov_b32_e32 v42, 0
	s_waitcnt vmcnt(0)
	v_and_b32_e32 v19, 0xffff, v20
	v_cmp_ne_u16_sdwa s[4:5], v20, v32 src0_sel:BYTE_0 src1_sel:DWORD
	s_and_saveexec_b64 s[40:41], s[4:5]
	s_cbranch_execz .LBB295_60
; %bb.55:                               ;   in Loop: Header=BB295_13 Depth=1
	v_cmp_ne_u16_sdwa s[4:5], v19, s52 src0_sel:BYTE_0 src1_sel:DWORD
	v_bfrev_b32_e32 v42, 1
	s_and_saveexec_b64 s[42:43], s[4:5]
	s_cbranch_execz .LBB295_59
; %bb.56:                               ;   in Loop: Header=BB295_13 Depth=1
	v_and_b32_e32 v20, 0x7f, v19
	v_cmp_ne_u32_e64 s[4:5], s53, v20
	v_mov_b32_e32 v42, 0x7f800001
	s_and_saveexec_b64 s[44:45], s[4:5]
	s_cbranch_execz .LBB295_58
; %bb.57:                               ;   in Loop: Header=BB295_13 Depth=1
	v_and_b32_e32 v42, 7, v19
	v_ffbh_u32_e32 v44, v42
	v_min_u32_e32 v47, 32, v44
	v_subrev_u32_e32 v44, 28, v47
	v_lshlrev_b64 v[44:45], v44, v[19:20]
	v_lshrrev_b32_e32 v46, 3, v20
	v_sub_u32_e32 v45, 29, v47
	v_and_b32_e32 v44, 7, v44
	v_cmp_gt_u32_e64 s[4:5], 8, v20
	v_cndmask_b32_e64 v20, v46, v45, s[4:5]
	v_cndmask_b32_e64 v42, v42, v44, s[4:5]
	v_lshlrev_b32_e32 v44, 24, v19
	v_bfrev_b32_e32 v0, 60
	v_lshlrev_b32_e32 v42, 20, v42
	v_and_b32_e32 v44, 0x80000000, v44
	v_lshl_add_u32 v20, v20, 23, v0
	v_or3_b32 v42, v44, v20, v42
.LBB295_58:                             ;   in Loop: Header=BB295_13 Depth=1
	s_or_b64 exec, exec, s[44:45]
.LBB295_59:                             ;   in Loop: Header=BB295_13 Depth=1
	s_or_b64 exec, exec, s[42:43]
.LBB295_60:                             ;   in Loop: Header=BB295_13 Depth=1
	s_or_b64 exec, exec, s[40:41]
	v_lshrrev_b16_e32 v20, 8, v19
	v_cmp_ne_u16_e64 s[4:5], 0, v20
	s_and_saveexec_b64 s[40:41], s[4:5]
	s_cbranch_execz .LBB295_66
; %bb.61:                               ;   in Loop: Header=BB295_13 Depth=1
	v_cmp_ne_u16_e64 s[4:5], s52, v20
	v_bfrev_b32_e32 v43, 1
	s_and_saveexec_b64 s[42:43], s[4:5]
	s_cbranch_execz .LBB295_65
; %bb.62:                               ;   in Loop: Header=BB295_13 Depth=1
	v_and_b32_e32 v44, 0x7f, v20
	v_cmp_ne_u32_e64 s[4:5], s53, v44
	v_mov_b32_e32 v43, 0x7f800001
	s_and_saveexec_b64 s[44:45], s[4:5]
	s_cbranch_execz .LBB295_64
; %bb.63:                               ;   in Loop: Header=BB295_13 Depth=1
	v_and_b32_e32 v43, 7, v20
	v_ffbh_u32_e32 v45, v43
	v_min_u32_e32 v48, 32, v45
	v_subrev_u32_e32 v45, 28, v48
	v_lshlrev_b64 v[45:46], v45, v[20:21]
	v_lshrrev_b32_e32 v47, 3, v44
	v_sub_u32_e32 v20, 29, v48
	v_and_b32_e32 v45, 7, v45
	v_cmp_gt_u32_e64 s[4:5], 8, v44
	v_cndmask_b32_e64 v20, v47, v20, s[4:5]
	v_cndmask_b32_e64 v43, v43, v45, s[4:5]
	v_lshlrev_b32_e32 v19, 16, v19
	v_bfrev_b32_e32 v0, 60
	v_lshlrev_b32_e32 v43, 20, v43
	v_and_b32_e32 v19, 0x80000000, v19
	v_lshl_add_u32 v20, v20, 23, v0
	v_or3_b32 v43, v19, v20, v43
.LBB295_64:                             ;   in Loop: Header=BB295_13 Depth=1
	s_or_b64 exec, exec, s[44:45]
.LBB295_65:                             ;   in Loop: Header=BB295_13 Depth=1
	s_or_b64 exec, exec, s[42:43]
.LBB295_66:                             ;   in Loop: Header=BB295_13 Depth=1
	s_or_b64 exec, exec, s[40:41]
	global_load_ushort v20, v[17:18], off offset:512
	v_mov_b32_e32 v45, 0
	v_mov_b32_e32 v44, 0
	s_waitcnt vmcnt(0)
	v_and_b32_e32 v19, 0xffff, v20
	v_cmp_ne_u16_sdwa s[4:5], v20, v32 src0_sel:BYTE_0 src1_sel:DWORD
	s_and_saveexec_b64 s[40:41], s[4:5]
	s_cbranch_execz .LBB295_72
; %bb.67:                               ;   in Loop: Header=BB295_13 Depth=1
	v_cmp_ne_u16_sdwa s[4:5], v19, s52 src0_sel:BYTE_0 src1_sel:DWORD
	v_bfrev_b32_e32 v44, 1
	s_and_saveexec_b64 s[42:43], s[4:5]
	s_cbranch_execz .LBB295_71
; %bb.68:                               ;   in Loop: Header=BB295_13 Depth=1
	v_and_b32_e32 v20, 0x7f, v19
	v_cmp_ne_u32_e64 s[4:5], s53, v20
	v_mov_b32_e32 v44, 0x7f800001
	s_and_saveexec_b64 s[44:45], s[4:5]
	s_cbranch_execz .LBB295_70
; %bb.69:                               ;   in Loop: Header=BB295_13 Depth=1
	v_and_b32_e32 v44, 7, v19
	v_ffbh_u32_e32 v46, v44
	v_min_u32_e32 v49, 32, v46
	v_subrev_u32_e32 v46, 28, v49
	v_lshlrev_b64 v[46:47], v46, v[19:20]
	v_lshrrev_b32_e32 v48, 3, v20
	v_sub_u32_e32 v47, 29, v49
	v_and_b32_e32 v46, 7, v46
	v_cmp_gt_u32_e64 s[4:5], 8, v20
	v_cndmask_b32_e64 v20, v48, v47, s[4:5]
	v_cndmask_b32_e64 v44, v44, v46, s[4:5]
	v_lshlrev_b32_e32 v46, 24, v19
	v_bfrev_b32_e32 v0, 60
	v_lshlrev_b32_e32 v44, 20, v44
	v_and_b32_e32 v46, 0x80000000, v46
	v_lshl_add_u32 v20, v20, 23, v0
	v_or3_b32 v44, v46, v20, v44
.LBB295_70:                             ;   in Loop: Header=BB295_13 Depth=1
	s_or_b64 exec, exec, s[44:45]
.LBB295_71:                             ;   in Loop: Header=BB295_13 Depth=1
	s_or_b64 exec, exec, s[42:43]
.LBB295_72:                             ;   in Loop: Header=BB295_13 Depth=1
	s_or_b64 exec, exec, s[40:41]
	v_lshrrev_b16_e32 v20, 8, v19
	v_cmp_ne_u16_e64 s[4:5], 0, v20
	s_and_saveexec_b64 s[40:41], s[4:5]
	s_cbranch_execz .LBB295_78
; %bb.73:                               ;   in Loop: Header=BB295_13 Depth=1
	v_cmp_ne_u16_e64 s[4:5], s52, v20
	v_bfrev_b32_e32 v45, 1
	s_and_saveexec_b64 s[42:43], s[4:5]
	s_cbranch_execz .LBB295_77
; %bb.74:                               ;   in Loop: Header=BB295_13 Depth=1
	v_and_b32_e32 v46, 0x7f, v20
	v_cmp_ne_u32_e64 s[4:5], s53, v46
	v_mov_b32_e32 v45, 0x7f800001
	s_and_saveexec_b64 s[44:45], s[4:5]
	s_cbranch_execz .LBB295_76
; %bb.75:                               ;   in Loop: Header=BB295_13 Depth=1
	v_and_b32_e32 v45, 7, v20
	v_ffbh_u32_e32 v47, v45
	v_min_u32_e32 v50, 32, v47
	v_subrev_u32_e32 v47, 28, v50
	v_lshlrev_b64 v[47:48], v47, v[20:21]
	v_lshrrev_b32_e32 v49, 3, v46
	v_sub_u32_e32 v20, 29, v50
	v_and_b32_e32 v47, 7, v47
	v_cmp_gt_u32_e64 s[4:5], 8, v46
	v_cndmask_b32_e64 v20, v49, v20, s[4:5]
	v_cndmask_b32_e64 v45, v45, v47, s[4:5]
	v_lshlrev_b32_e32 v19, 16, v19
	v_bfrev_b32_e32 v0, 60
	v_lshlrev_b32_e32 v45, 20, v45
	v_and_b32_e32 v19, 0x80000000, v19
	v_lshl_add_u32 v20, v20, 23, v0
	v_or3_b32 v45, v19, v20, v45
.LBB295_76:                             ;   in Loop: Header=BB295_13 Depth=1
	s_or_b64 exec, exec, s[44:45]
.LBB295_77:                             ;   in Loop: Header=BB295_13 Depth=1
	s_or_b64 exec, exec, s[42:43]
.LBB295_78:                             ;   in Loop: Header=BB295_13 Depth=1
	s_or_b64 exec, exec, s[40:41]
	global_load_ushort v20, v[17:18], off offset:520
	v_mov_b32_e32 v47, 0
	v_mov_b32_e32 v46, 0
	s_waitcnt vmcnt(0)
	v_and_b32_e32 v19, 0xffff, v20
	v_cmp_ne_u16_sdwa s[4:5], v20, v32 src0_sel:BYTE_0 src1_sel:DWORD
	s_and_saveexec_b64 s[40:41], s[4:5]
	s_cbranch_execz .LBB295_84
; %bb.79:                               ;   in Loop: Header=BB295_13 Depth=1
	v_cmp_ne_u16_sdwa s[4:5], v19, s52 src0_sel:BYTE_0 src1_sel:DWORD
	v_bfrev_b32_e32 v46, 1
	s_and_saveexec_b64 s[42:43], s[4:5]
	s_cbranch_execz .LBB295_83
; %bb.80:                               ;   in Loop: Header=BB295_13 Depth=1
	v_and_b32_e32 v20, 0x7f, v19
	v_cmp_ne_u32_e64 s[4:5], s53, v20
	v_mov_b32_e32 v46, 0x7f800001
	s_and_saveexec_b64 s[44:45], s[4:5]
	s_cbranch_execz .LBB295_82
; %bb.81:                               ;   in Loop: Header=BB295_13 Depth=1
	v_and_b32_e32 v46, 7, v19
	v_ffbh_u32_e32 v48, v46
	v_min_u32_e32 v51, 32, v48
	v_subrev_u32_e32 v48, 28, v51
	v_lshlrev_b64 v[48:49], v48, v[19:20]
	v_lshrrev_b32_e32 v50, 3, v20
	v_sub_u32_e32 v49, 29, v51
	v_and_b32_e32 v48, 7, v48
	v_cmp_gt_u32_e64 s[4:5], 8, v20
	v_cndmask_b32_e64 v20, v50, v49, s[4:5]
	v_cndmask_b32_e64 v46, v46, v48, s[4:5]
	v_lshlrev_b32_e32 v48, 24, v19
	v_bfrev_b32_e32 v0, 60
	v_lshlrev_b32_e32 v46, 20, v46
	v_and_b32_e32 v48, 0x80000000, v48
	v_lshl_add_u32 v20, v20, 23, v0
	v_or3_b32 v46, v48, v20, v46
.LBB295_82:                             ;   in Loop: Header=BB295_13 Depth=1
	s_or_b64 exec, exec, s[44:45]
.LBB295_83:                             ;   in Loop: Header=BB295_13 Depth=1
	s_or_b64 exec, exec, s[42:43]
.LBB295_84:                             ;   in Loop: Header=BB295_13 Depth=1
	s_or_b64 exec, exec, s[40:41]
	v_lshrrev_b16_e32 v20, 8, v19
	v_cmp_ne_u16_e64 s[4:5], 0, v20
	s_and_saveexec_b64 s[40:41], s[4:5]
	s_cbranch_execz .LBB295_90
; %bb.85:                               ;   in Loop: Header=BB295_13 Depth=1
	v_cmp_ne_u16_e64 s[4:5], s52, v20
	v_bfrev_b32_e32 v47, 1
	s_and_saveexec_b64 s[42:43], s[4:5]
	s_cbranch_execz .LBB295_89
; %bb.86:                               ;   in Loop: Header=BB295_13 Depth=1
	v_and_b32_e32 v48, 0x7f, v20
	v_cmp_ne_u32_e64 s[4:5], s53, v48
	v_mov_b32_e32 v47, 0x7f800001
	s_and_saveexec_b64 s[44:45], s[4:5]
	s_cbranch_execz .LBB295_88
; %bb.87:                               ;   in Loop: Header=BB295_13 Depth=1
	v_and_b32_e32 v47, 7, v20
	v_ffbh_u32_e32 v49, v47
	v_min_u32_e32 v52, 32, v49
	v_subrev_u32_e32 v49, 28, v52
	v_lshlrev_b64 v[49:50], v49, v[20:21]
	v_lshrrev_b32_e32 v51, 3, v48
	v_sub_u32_e32 v20, 29, v52
	v_and_b32_e32 v49, 7, v49
	v_cmp_gt_u32_e64 s[4:5], 8, v48
	v_cndmask_b32_e64 v20, v51, v20, s[4:5]
	v_cndmask_b32_e64 v47, v47, v49, s[4:5]
	v_lshlrev_b32_e32 v19, 16, v19
	v_bfrev_b32_e32 v0, 60
	v_lshlrev_b32_e32 v47, 20, v47
	v_and_b32_e32 v19, 0x80000000, v19
	v_lshl_add_u32 v20, v20, 23, v0
	v_or3_b32 v47, v19, v20, v47
.LBB295_88:                             ;   in Loop: Header=BB295_13 Depth=1
	s_or_b64 exec, exec, s[44:45]
.LBB295_89:                             ;   in Loop: Header=BB295_13 Depth=1
	s_or_b64 exec, exec, s[42:43]
.LBB295_90:                             ;   in Loop: Header=BB295_13 Depth=1
	s_or_b64 exec, exec, s[40:41]
	global_load_ushort v20, v[17:18], off offset:768
	v_mov_b32_e32 v49, 0
	v_mov_b32_e32 v48, 0
	s_waitcnt vmcnt(0)
	v_and_b32_e32 v19, 0xffff, v20
	v_cmp_ne_u16_sdwa s[4:5], v20, v32 src0_sel:BYTE_0 src1_sel:DWORD
	s_and_saveexec_b64 s[40:41], s[4:5]
	s_cbranch_execz .LBB295_96
; %bb.91:                               ;   in Loop: Header=BB295_13 Depth=1
	v_cmp_ne_u16_sdwa s[4:5], v19, s52 src0_sel:BYTE_0 src1_sel:DWORD
	v_bfrev_b32_e32 v48, 1
	s_and_saveexec_b64 s[42:43], s[4:5]
	s_cbranch_execz .LBB295_95
; %bb.92:                               ;   in Loop: Header=BB295_13 Depth=1
	v_and_b32_e32 v20, 0x7f, v19
	v_cmp_ne_u32_e64 s[4:5], s53, v20
	v_mov_b32_e32 v48, 0x7f800001
	s_and_saveexec_b64 s[44:45], s[4:5]
	s_cbranch_execz .LBB295_94
; %bb.93:                               ;   in Loop: Header=BB295_13 Depth=1
	v_and_b32_e32 v48, 7, v19
	v_ffbh_u32_e32 v50, v48
	v_min_u32_e32 v53, 32, v50
	v_subrev_u32_e32 v50, 28, v53
	v_lshlrev_b64 v[50:51], v50, v[19:20]
	v_lshrrev_b32_e32 v52, 3, v20
	v_sub_u32_e32 v51, 29, v53
	v_and_b32_e32 v50, 7, v50
	v_cmp_gt_u32_e64 s[4:5], 8, v20
	v_cndmask_b32_e64 v20, v52, v51, s[4:5]
	v_cndmask_b32_e64 v48, v48, v50, s[4:5]
	v_lshlrev_b32_e32 v50, 24, v19
	v_bfrev_b32_e32 v0, 60
	v_lshlrev_b32_e32 v48, 20, v48
	v_and_b32_e32 v50, 0x80000000, v50
	v_lshl_add_u32 v20, v20, 23, v0
	v_or3_b32 v48, v50, v20, v48
.LBB295_94:                             ;   in Loop: Header=BB295_13 Depth=1
	s_or_b64 exec, exec, s[44:45]
.LBB295_95:                             ;   in Loop: Header=BB295_13 Depth=1
	s_or_b64 exec, exec, s[42:43]
.LBB295_96:                             ;   in Loop: Header=BB295_13 Depth=1
	s_or_b64 exec, exec, s[40:41]
	v_lshrrev_b16_e32 v20, 8, v19
	v_cmp_ne_u16_e64 s[4:5], 0, v20
	s_and_saveexec_b64 s[40:41], s[4:5]
	s_cbranch_execz .LBB295_102
; %bb.97:                               ;   in Loop: Header=BB295_13 Depth=1
	v_cmp_ne_u16_e64 s[4:5], s52, v20
	v_bfrev_b32_e32 v49, 1
	s_and_saveexec_b64 s[42:43], s[4:5]
	s_cbranch_execz .LBB295_101
; %bb.98:                               ;   in Loop: Header=BB295_13 Depth=1
	v_and_b32_e32 v50, 0x7f, v20
	v_cmp_ne_u32_e64 s[4:5], s53, v50
	v_mov_b32_e32 v49, 0x7f800001
	s_and_saveexec_b64 s[44:45], s[4:5]
	s_cbranch_execz .LBB295_100
; %bb.99:                               ;   in Loop: Header=BB295_13 Depth=1
	v_and_b32_e32 v49, 7, v20
	v_ffbh_u32_e32 v51, v49
	v_min_u32_e32 v54, 32, v51
	v_subrev_u32_e32 v51, 28, v54
	v_lshlrev_b64 v[51:52], v51, v[20:21]
	v_lshrrev_b32_e32 v53, 3, v50
	v_sub_u32_e32 v20, 29, v54
	v_and_b32_e32 v51, 7, v51
	v_cmp_gt_u32_e64 s[4:5], 8, v50
	v_cndmask_b32_e64 v20, v53, v20, s[4:5]
	v_cndmask_b32_e64 v49, v49, v51, s[4:5]
	v_lshlrev_b32_e32 v19, 16, v19
	v_bfrev_b32_e32 v0, 60
	v_lshlrev_b32_e32 v49, 20, v49
	v_and_b32_e32 v19, 0x80000000, v19
	v_lshl_add_u32 v20, v20, 23, v0
	v_or3_b32 v49, v19, v20, v49
.LBB295_100:                            ;   in Loop: Header=BB295_13 Depth=1
	s_or_b64 exec, exec, s[44:45]
.LBB295_101:                            ;   in Loop: Header=BB295_13 Depth=1
	s_or_b64 exec, exec, s[42:43]
.LBB295_102:                            ;   in Loop: Header=BB295_13 Depth=1
	s_or_b64 exec, exec, s[40:41]
	global_load_ushort v20, v[17:18], off offset:776
	v_mov_b32_e32 v51, 0
	v_mov_b32_e32 v50, 0
	s_waitcnt vmcnt(0)
	v_and_b32_e32 v19, 0xffff, v20
	v_cmp_ne_u16_sdwa s[4:5], v20, v32 src0_sel:BYTE_0 src1_sel:DWORD
	s_and_saveexec_b64 s[40:41], s[4:5]
	s_cbranch_execz .LBB295_108
; %bb.103:                              ;   in Loop: Header=BB295_13 Depth=1
	v_cmp_ne_u16_sdwa s[4:5], v19, s52 src0_sel:BYTE_0 src1_sel:DWORD
	v_bfrev_b32_e32 v50, 1
	s_and_saveexec_b64 s[42:43], s[4:5]
	s_cbranch_execz .LBB295_107
; %bb.104:                              ;   in Loop: Header=BB295_13 Depth=1
	v_and_b32_e32 v20, 0x7f, v19
	v_cmp_ne_u32_e64 s[4:5], s53, v20
	v_mov_b32_e32 v50, 0x7f800001
	s_and_saveexec_b64 s[44:45], s[4:5]
	s_cbranch_execz .LBB295_106
; %bb.105:                              ;   in Loop: Header=BB295_13 Depth=1
	v_and_b32_e32 v50, 7, v19
	v_ffbh_u32_e32 v52, v50
	v_min_u32_e32 v55, 32, v52
	v_subrev_u32_e32 v52, 28, v55
	v_lshlrev_b64 v[52:53], v52, v[19:20]
	v_lshrrev_b32_e32 v54, 3, v20
	v_sub_u32_e32 v53, 29, v55
	v_and_b32_e32 v52, 7, v52
	v_cmp_gt_u32_e64 s[4:5], 8, v20
	v_cndmask_b32_e64 v20, v54, v53, s[4:5]
	v_cndmask_b32_e64 v50, v50, v52, s[4:5]
	v_lshlrev_b32_e32 v52, 24, v19
	v_bfrev_b32_e32 v0, 60
	v_lshlrev_b32_e32 v50, 20, v50
	v_and_b32_e32 v52, 0x80000000, v52
	v_lshl_add_u32 v20, v20, 23, v0
	v_or3_b32 v50, v52, v20, v50
.LBB295_106:                            ;   in Loop: Header=BB295_13 Depth=1
	s_or_b64 exec, exec, s[44:45]
.LBB295_107:                            ;   in Loop: Header=BB295_13 Depth=1
	s_or_b64 exec, exec, s[42:43]
.LBB295_108:                            ;   in Loop: Header=BB295_13 Depth=1
	s_or_b64 exec, exec, s[40:41]
	v_lshrrev_b16_e32 v20, 8, v19
	v_cmp_ne_u16_e64 s[4:5], 0, v20
	s_and_saveexec_b64 s[40:41], s[4:5]
	s_cbranch_execz .LBB295_114
; %bb.109:                              ;   in Loop: Header=BB295_13 Depth=1
	v_cmp_ne_u16_e64 s[4:5], s52, v20
	v_bfrev_b32_e32 v51, 1
	s_and_saveexec_b64 s[42:43], s[4:5]
	s_cbranch_execz .LBB295_113
; %bb.110:                              ;   in Loop: Header=BB295_13 Depth=1
	v_and_b32_e32 v52, 0x7f, v20
	v_cmp_ne_u32_e64 s[4:5], s53, v52
	v_mov_b32_e32 v51, 0x7f800001
	s_and_saveexec_b64 s[44:45], s[4:5]
	s_cbranch_execz .LBB295_112
; %bb.111:                              ;   in Loop: Header=BB295_13 Depth=1
	v_and_b32_e32 v51, 7, v20
	v_ffbh_u32_e32 v53, v51
	v_min_u32_e32 v56, 32, v53
	v_subrev_u32_e32 v53, 28, v56
	v_lshlrev_b64 v[53:54], v53, v[20:21]
	v_lshrrev_b32_e32 v55, 3, v52
	v_sub_u32_e32 v20, 29, v56
	v_and_b32_e32 v53, 7, v53
	v_cmp_gt_u32_e64 s[4:5], 8, v52
	v_cndmask_b32_e64 v20, v55, v20, s[4:5]
	v_cndmask_b32_e64 v51, v51, v53, s[4:5]
	v_lshlrev_b32_e32 v19, 16, v19
	v_bfrev_b32_e32 v0, 60
	v_lshlrev_b32_e32 v51, 20, v51
	v_and_b32_e32 v19, 0x80000000, v19
	v_lshl_add_u32 v20, v20, 23, v0
	v_or3_b32 v51, v19, v20, v51
.LBB295_112:                            ;   in Loop: Header=BB295_13 Depth=1
	s_or_b64 exec, exec, s[44:45]
.LBB295_113:                            ;   in Loop: Header=BB295_13 Depth=1
	s_or_b64 exec, exec, s[42:43]
.LBB295_114:                            ;   in Loop: Header=BB295_13 Depth=1
	s_or_b64 exec, exec, s[40:41]
	global_load_ushort v20, v[17:18], off offset:1024
	v_mov_b32_e32 v53, 0
	v_mov_b32_e32 v52, 0
	s_waitcnt vmcnt(0)
	v_and_b32_e32 v19, 0xffff, v20
	v_cmp_ne_u16_sdwa s[4:5], v20, v32 src0_sel:BYTE_0 src1_sel:DWORD
	s_and_saveexec_b64 s[40:41], s[4:5]
	s_cbranch_execz .LBB295_120
; %bb.115:                              ;   in Loop: Header=BB295_13 Depth=1
	v_cmp_ne_u16_sdwa s[4:5], v19, s52 src0_sel:BYTE_0 src1_sel:DWORD
	v_bfrev_b32_e32 v52, 1
	s_and_saveexec_b64 s[42:43], s[4:5]
	s_cbranch_execz .LBB295_119
; %bb.116:                              ;   in Loop: Header=BB295_13 Depth=1
	v_and_b32_e32 v20, 0x7f, v19
	v_cmp_ne_u32_e64 s[4:5], s53, v20
	v_mov_b32_e32 v52, 0x7f800001
	s_and_saveexec_b64 s[44:45], s[4:5]
	s_cbranch_execz .LBB295_118
; %bb.117:                              ;   in Loop: Header=BB295_13 Depth=1
	v_and_b32_e32 v52, 7, v19
	v_ffbh_u32_e32 v54, v52
	v_min_u32_e32 v57, 32, v54
	v_subrev_u32_e32 v54, 28, v57
	v_lshlrev_b64 v[54:55], v54, v[19:20]
	v_lshrrev_b32_e32 v56, 3, v20
	v_sub_u32_e32 v55, 29, v57
	v_and_b32_e32 v54, 7, v54
	v_cmp_gt_u32_e64 s[4:5], 8, v20
	v_cndmask_b32_e64 v20, v56, v55, s[4:5]
	v_cndmask_b32_e64 v52, v52, v54, s[4:5]
	v_lshlrev_b32_e32 v54, 24, v19
	v_bfrev_b32_e32 v0, 60
	v_lshlrev_b32_e32 v52, 20, v52
	v_and_b32_e32 v54, 0x80000000, v54
	v_lshl_add_u32 v20, v20, 23, v0
	v_or3_b32 v52, v54, v20, v52
.LBB295_118:                            ;   in Loop: Header=BB295_13 Depth=1
	s_or_b64 exec, exec, s[44:45]
.LBB295_119:                            ;   in Loop: Header=BB295_13 Depth=1
	s_or_b64 exec, exec, s[42:43]
.LBB295_120:                            ;   in Loop: Header=BB295_13 Depth=1
	s_or_b64 exec, exec, s[40:41]
	v_lshrrev_b16_e32 v20, 8, v19
	v_cmp_ne_u16_e64 s[4:5], 0, v20
	s_and_saveexec_b64 s[40:41], s[4:5]
	s_cbranch_execz .LBB295_126
; %bb.121:                              ;   in Loop: Header=BB295_13 Depth=1
	v_cmp_ne_u16_e64 s[4:5], s52, v20
	v_bfrev_b32_e32 v53, 1
	s_and_saveexec_b64 s[42:43], s[4:5]
	s_cbranch_execz .LBB295_125
; %bb.122:                              ;   in Loop: Header=BB295_13 Depth=1
	v_and_b32_e32 v54, 0x7f, v20
	v_cmp_ne_u32_e64 s[4:5], s53, v54
	v_mov_b32_e32 v53, 0x7f800001
	s_and_saveexec_b64 s[44:45], s[4:5]
	s_cbranch_execz .LBB295_124
; %bb.123:                              ;   in Loop: Header=BB295_13 Depth=1
	v_and_b32_e32 v53, 7, v20
	v_ffbh_u32_e32 v55, v53
	v_min_u32_e32 v58, 32, v55
	v_subrev_u32_e32 v55, 28, v58
	v_lshlrev_b64 v[55:56], v55, v[20:21]
	v_lshrrev_b32_e32 v57, 3, v54
	v_sub_u32_e32 v20, 29, v58
	v_and_b32_e32 v55, 7, v55
	v_cmp_gt_u32_e64 s[4:5], 8, v54
	v_cndmask_b32_e64 v20, v57, v20, s[4:5]
	v_cndmask_b32_e64 v53, v53, v55, s[4:5]
	v_lshlrev_b32_e32 v19, 16, v19
	v_bfrev_b32_e32 v0, 60
	v_lshlrev_b32_e32 v53, 20, v53
	v_and_b32_e32 v19, 0x80000000, v19
	v_lshl_add_u32 v20, v20, 23, v0
	v_or3_b32 v53, v19, v20, v53
.LBB295_124:                            ;   in Loop: Header=BB295_13 Depth=1
	s_or_b64 exec, exec, s[44:45]
.LBB295_125:                            ;   in Loop: Header=BB295_13 Depth=1
	s_or_b64 exec, exec, s[42:43]
.LBB295_126:                            ;   in Loop: Header=BB295_13 Depth=1
	s_or_b64 exec, exec, s[40:41]
	global_load_ushort v20, v[17:18], off offset:1032
	v_mov_b32_e32 v55, 0
	v_mov_b32_e32 v54, 0
	s_waitcnt vmcnt(0)
	v_and_b32_e32 v19, 0xffff, v20
	v_cmp_ne_u16_sdwa s[4:5], v20, v32 src0_sel:BYTE_0 src1_sel:DWORD
	s_and_saveexec_b64 s[40:41], s[4:5]
	s_cbranch_execz .LBB295_132
; %bb.127:                              ;   in Loop: Header=BB295_13 Depth=1
	v_cmp_ne_u16_sdwa s[4:5], v19, s52 src0_sel:BYTE_0 src1_sel:DWORD
	v_bfrev_b32_e32 v54, 1
	s_and_saveexec_b64 s[42:43], s[4:5]
	s_cbranch_execz .LBB295_131
; %bb.128:                              ;   in Loop: Header=BB295_13 Depth=1
	v_and_b32_e32 v20, 0x7f, v19
	v_cmp_ne_u32_e64 s[4:5], s53, v20
	v_mov_b32_e32 v54, 0x7f800001
	s_and_saveexec_b64 s[44:45], s[4:5]
	s_cbranch_execz .LBB295_130
; %bb.129:                              ;   in Loop: Header=BB295_13 Depth=1
	v_and_b32_e32 v54, 7, v19
	v_ffbh_u32_e32 v56, v54
	v_min_u32_e32 v59, 32, v56
	v_subrev_u32_e32 v56, 28, v59
	v_lshlrev_b64 v[56:57], v56, v[19:20]
	v_lshrrev_b32_e32 v58, 3, v20
	v_sub_u32_e32 v57, 29, v59
	v_and_b32_e32 v56, 7, v56
	v_cmp_gt_u32_e64 s[4:5], 8, v20
	v_cndmask_b32_e64 v20, v58, v57, s[4:5]
	v_cndmask_b32_e64 v54, v54, v56, s[4:5]
	v_lshlrev_b32_e32 v56, 24, v19
	v_bfrev_b32_e32 v0, 60
	v_lshlrev_b32_e32 v54, 20, v54
	v_and_b32_e32 v56, 0x80000000, v56
	v_lshl_add_u32 v20, v20, 23, v0
	v_or3_b32 v54, v56, v20, v54
.LBB295_130:                            ;   in Loop: Header=BB295_13 Depth=1
	s_or_b64 exec, exec, s[44:45]
.LBB295_131:                            ;   in Loop: Header=BB295_13 Depth=1
	s_or_b64 exec, exec, s[42:43]
.LBB295_132:                            ;   in Loop: Header=BB295_13 Depth=1
	s_or_b64 exec, exec, s[40:41]
	v_lshrrev_b16_e32 v20, 8, v19
	v_cmp_ne_u16_e64 s[4:5], 0, v20
	s_and_saveexec_b64 s[40:41], s[4:5]
	s_cbranch_execz .LBB295_138
; %bb.133:                              ;   in Loop: Header=BB295_13 Depth=1
	v_cmp_ne_u16_e64 s[4:5], s52, v20
	v_bfrev_b32_e32 v55, 1
	s_and_saveexec_b64 s[42:43], s[4:5]
	s_cbranch_execz .LBB295_137
; %bb.134:                              ;   in Loop: Header=BB295_13 Depth=1
	v_and_b32_e32 v56, 0x7f, v20
	v_cmp_ne_u32_e64 s[4:5], s53, v56
	v_mov_b32_e32 v55, 0x7f800001
	s_and_saveexec_b64 s[44:45], s[4:5]
	s_cbranch_execz .LBB295_136
; %bb.135:                              ;   in Loop: Header=BB295_13 Depth=1
	v_and_b32_e32 v55, 7, v20
	v_ffbh_u32_e32 v57, v55
	v_min_u32_e32 v60, 32, v57
	v_subrev_u32_e32 v57, 28, v60
	v_lshlrev_b64 v[57:58], v57, v[20:21]
	v_lshrrev_b32_e32 v59, 3, v56
	v_sub_u32_e32 v20, 29, v60
	v_and_b32_e32 v57, 7, v57
	v_cmp_gt_u32_e64 s[4:5], 8, v56
	v_cndmask_b32_e64 v20, v59, v20, s[4:5]
	v_cndmask_b32_e64 v55, v55, v57, s[4:5]
	v_lshlrev_b32_e32 v19, 16, v19
	v_bfrev_b32_e32 v0, 60
	v_lshlrev_b32_e32 v55, 20, v55
	v_and_b32_e32 v19, 0x80000000, v19
	v_lshl_add_u32 v20, v20, 23, v0
	v_or3_b32 v55, v19, v20, v55
.LBB295_136:                            ;   in Loop: Header=BB295_13 Depth=1
	s_or_b64 exec, exec, s[44:45]
.LBB295_137:                            ;   in Loop: Header=BB295_13 Depth=1
	s_or_b64 exec, exec, s[42:43]
.LBB295_138:                            ;   in Loop: Header=BB295_13 Depth=1
	s_or_b64 exec, exec, s[40:41]
	global_load_ushort v20, v[17:18], off offset:1280
	v_mov_b32_e32 v57, 0
	v_mov_b32_e32 v56, 0
	s_waitcnt vmcnt(0)
	v_and_b32_e32 v19, 0xffff, v20
	v_cmp_ne_u16_sdwa s[4:5], v20, v32 src0_sel:BYTE_0 src1_sel:DWORD
	s_and_saveexec_b64 s[40:41], s[4:5]
	s_cbranch_execz .LBB295_144
; %bb.139:                              ;   in Loop: Header=BB295_13 Depth=1
	v_cmp_ne_u16_sdwa s[4:5], v19, s52 src0_sel:BYTE_0 src1_sel:DWORD
	v_bfrev_b32_e32 v56, 1
	s_and_saveexec_b64 s[42:43], s[4:5]
	s_cbranch_execz .LBB295_143
; %bb.140:                              ;   in Loop: Header=BB295_13 Depth=1
	v_and_b32_e32 v20, 0x7f, v19
	v_cmp_ne_u32_e64 s[4:5], s53, v20
	v_mov_b32_e32 v56, 0x7f800001
	s_and_saveexec_b64 s[44:45], s[4:5]
	s_cbranch_execz .LBB295_142
; %bb.141:                              ;   in Loop: Header=BB295_13 Depth=1
	v_and_b32_e32 v56, 7, v19
	v_ffbh_u32_e32 v58, v56
	v_min_u32_e32 v61, 32, v58
	v_subrev_u32_e32 v58, 28, v61
	v_lshlrev_b64 v[58:59], v58, v[19:20]
	v_lshrrev_b32_e32 v60, 3, v20
	v_sub_u32_e32 v59, 29, v61
	v_and_b32_e32 v58, 7, v58
	v_cmp_gt_u32_e64 s[4:5], 8, v20
	v_cndmask_b32_e64 v20, v60, v59, s[4:5]
	v_cndmask_b32_e64 v56, v56, v58, s[4:5]
	v_lshlrev_b32_e32 v58, 24, v19
	v_bfrev_b32_e32 v0, 60
	v_lshlrev_b32_e32 v56, 20, v56
	v_and_b32_e32 v58, 0x80000000, v58
	v_lshl_add_u32 v20, v20, 23, v0
	v_or3_b32 v56, v58, v20, v56
.LBB295_142:                            ;   in Loop: Header=BB295_13 Depth=1
	s_or_b64 exec, exec, s[44:45]
.LBB295_143:                            ;   in Loop: Header=BB295_13 Depth=1
	s_or_b64 exec, exec, s[42:43]
.LBB295_144:                            ;   in Loop: Header=BB295_13 Depth=1
	s_or_b64 exec, exec, s[40:41]
	v_lshrrev_b16_e32 v20, 8, v19
	v_cmp_ne_u16_e64 s[4:5], 0, v20
	s_and_saveexec_b64 s[40:41], s[4:5]
	s_cbranch_execz .LBB295_150
; %bb.145:                              ;   in Loop: Header=BB295_13 Depth=1
	v_cmp_ne_u16_e64 s[4:5], s52, v20
	v_bfrev_b32_e32 v57, 1
	s_and_saveexec_b64 s[42:43], s[4:5]
	s_cbranch_execz .LBB295_149
; %bb.146:                              ;   in Loop: Header=BB295_13 Depth=1
	v_and_b32_e32 v58, 0x7f, v20
	v_cmp_ne_u32_e64 s[4:5], s53, v58
	v_mov_b32_e32 v57, 0x7f800001
	s_and_saveexec_b64 s[44:45], s[4:5]
	s_cbranch_execz .LBB295_148
; %bb.147:                              ;   in Loop: Header=BB295_13 Depth=1
	v_and_b32_e32 v59, 7, v20
	v_ffbh_u32_e32 v57, v59
	v_min_u32_e32 v61, 32, v57
	v_subrev_u32_e32 v57, 28, v61
	v_lshrrev_b32_e32 v60, 3, v58
	v_cmp_gt_u32_e64 s[4:5], 8, v58
	v_lshlrev_b64 v[57:58], v57, v[20:21]
	v_sub_u32_e32 v20, 29, v61
	v_and_b32_e32 v57, 7, v57
	v_cndmask_b32_e64 v20, v60, v20, s[4:5]
	v_cndmask_b32_e64 v57, v59, v57, s[4:5]
	v_lshlrev_b32_e32 v19, 16, v19
	v_bfrev_b32_e32 v0, 60
	v_lshlrev_b32_e32 v57, 20, v57
	v_and_b32_e32 v19, 0x80000000, v19
	v_lshl_add_u32 v20, v20, 23, v0
	v_or3_b32 v57, v19, v20, v57
.LBB295_148:                            ;   in Loop: Header=BB295_13 Depth=1
	s_or_b64 exec, exec, s[44:45]
.LBB295_149:                            ;   in Loop: Header=BB295_13 Depth=1
	s_or_b64 exec, exec, s[42:43]
.LBB295_150:                            ;   in Loop: Header=BB295_13 Depth=1
	s_or_b64 exec, exec, s[40:41]
	global_load_ushort v18, v[17:18], off offset:1288
	v_mov_b32_e32 v19, 0
	v_mov_b32_e32 v20, 0
	s_waitcnt vmcnt(0)
	v_and_b32_e32 v17, 0xffff, v18
	v_cmp_ne_u16_sdwa s[4:5], v18, v32 src0_sel:BYTE_0 src1_sel:DWORD
	s_and_saveexec_b64 s[40:41], s[4:5]
	s_cbranch_execz .LBB295_156
; %bb.151:                              ;   in Loop: Header=BB295_13 Depth=1
	v_cmp_ne_u16_sdwa s[4:5], v17, s52 src0_sel:BYTE_0 src1_sel:DWORD
	v_bfrev_b32_e32 v20, 1
	s_and_saveexec_b64 s[42:43], s[4:5]
	s_cbranch_execz .LBB295_155
; %bb.152:                              ;   in Loop: Header=BB295_13 Depth=1
	v_and_b32_e32 v18, 0x7f, v17
	v_cmp_ne_u32_e64 s[4:5], s53, v18
	v_mov_b32_e32 v20, 0x7f800001
	s_and_saveexec_b64 s[44:45], s[4:5]
	s_cbranch_execz .LBB295_154
; %bb.153:                              ;   in Loop: Header=BB295_13 Depth=1
	v_and_b32_e32 v20, 7, v17
	v_ffbh_u32_e32 v58, v20
	v_min_u32_e32 v61, 32, v58
	v_subrev_u32_e32 v58, 28, v61
	v_lshlrev_b64 v[58:59], v58, v[17:18]
	v_lshrrev_b32_e32 v60, 3, v18
	v_sub_u32_e32 v59, 29, v61
	v_and_b32_e32 v58, 7, v58
	v_cmp_gt_u32_e64 s[4:5], 8, v18
	v_cndmask_b32_e64 v18, v60, v59, s[4:5]
	v_cndmask_b32_e64 v20, v20, v58, s[4:5]
	v_lshlrev_b32_e32 v58, 24, v17
	v_bfrev_b32_e32 v0, 60
	v_lshlrev_b32_e32 v20, 20, v20
	v_and_b32_e32 v58, 0x80000000, v58
	v_lshl_add_u32 v18, v18, 23, v0
	v_or3_b32 v20, v58, v18, v20
.LBB295_154:                            ;   in Loop: Header=BB295_13 Depth=1
	s_or_b64 exec, exec, s[44:45]
.LBB295_155:                            ;   in Loop: Header=BB295_13 Depth=1
	s_or_b64 exec, exec, s[42:43]
.LBB295_156:                            ;   in Loop: Header=BB295_13 Depth=1
	s_or_b64 exec, exec, s[40:41]
	v_lshrrev_b16_e32 v18, 8, v17
	v_cmp_ne_u16_e64 s[4:5], 0, v18
	s_and_saveexec_b64 s[40:41], s[4:5]
	s_cbranch_execz .LBB295_162
; %bb.157:                              ;   in Loop: Header=BB295_13 Depth=1
	v_cmp_ne_u16_e64 s[4:5], s52, v18
	v_bfrev_b32_e32 v19, 1
	s_and_saveexec_b64 s[42:43], s[4:5]
	s_cbranch_execz .LBB295_161
; %bb.158:                              ;   in Loop: Header=BB295_13 Depth=1
	v_and_b32_e32 v58, 0x7f, v18
	v_cmp_ne_u32_e64 s[4:5], s53, v58
	v_mov_b32_e32 v19, 0x7f800001
	s_and_saveexec_b64 s[44:45], s[4:5]
	s_cbranch_execz .LBB295_160
; %bb.159:                              ;   in Loop: Header=BB295_13 Depth=1
	v_and_b32_e32 v59, 7, v18
	v_ffbh_u32_e32 v19, v59
	v_lshrrev_b32_e32 v60, 3, v58
	v_cmp_gt_u32_e64 s[4:5], 8, v58
	v_min_u32_e32 v58, 32, v19
	v_subrev_u32_e32 v19, 28, v58
	v_lshlrev_b64 v[18:19], v19, v[18:19]
	v_sub_u32_e32 v19, 29, v58
	v_and_b32_e32 v18, 7, v18
	v_cndmask_b32_e64 v19, v60, v19, s[4:5]
	v_cndmask_b32_e64 v18, v59, v18, s[4:5]
	v_lshlrev_b32_e32 v17, 16, v17
	v_bfrev_b32_e32 v0, 60
	v_lshlrev_b32_e32 v18, 20, v18
	v_and_b32_e32 v17, 0x80000000, v17
	v_lshl_add_u32 v19, v19, 23, v0
	v_or3_b32 v19, v17, v19, v18
.LBB295_160:                            ;   in Loop: Header=BB295_13 Depth=1
	s_or_b64 exec, exec, s[44:45]
.LBB295_161:                            ;   in Loop: Header=BB295_13 Depth=1
	s_or_b64 exec, exec, s[42:43]
.LBB295_162:                            ;   in Loop: Header=BB295_13 Depth=1
	s_or_b64 exec, exec, s[40:41]
	s_waitcnt lgkmcnt(0)
	v_mul_f32_e32 v17, s55, v20
	v_bfe_u32 v18, v17, 16, 1
	v_add3_u32 v18, v18, v17, s54
	v_or_b32_e32 v20, 0x400000, v17
	v_cmp_u_f32_e64 s[4:5], v17, v17
	v_cndmask_b32_e64 v17, v18, v20, s[4:5]
	v_mul_f32_e32 v18, s55, v57
	v_bfe_u32 v20, v18, 16, 1
	v_add3_u32 v20, v20, v18, s54
	v_or_b32_e32 v57, 0x400000, v18
	v_cmp_u_f32_e64 s[4:5], v18, v18
	v_cndmask_b32_e64 v18, v20, v57, s[4:5]
	v_mul_f32_e32 v20, s55, v56
	v_bfe_u32 v56, v20, 16, 1
	v_add3_u32 v56, v56, v20, s54
	v_or_b32_e32 v57, 0x400000, v20
	v_cmp_u_f32_e64 s[4:5], v20, v20
	v_mul_f32_e32 v55, s55, v55
	v_cndmask_b32_e64 v20, v56, v57, s[4:5]
	v_bfe_u32 v56, v55, 16, 1
	v_add3_u32 v56, v56, v55, s54
	v_or_b32_e32 v57, 0x400000, v55
	v_cmp_u_f32_e64 s[4:5], v55, v55
	v_mul_f32_e32 v54, s55, v54
	v_cndmask_b32_e64 v55, v56, v57, s[4:5]
	;; [unrolled: 6-line block ×20, first 2 shown]
	v_bfe_u32 v56, v36, 16, 1
	v_and_b32_e32 v13, 64, v34
	v_add3_u32 v56, v56, v36, s54
	v_or_b32_e32 v57, 0x400000, v36
	v_cmp_u_f32_e64 s[4:5], v36, v36
	v_add_u32_e32 v13, 64, v13
	v_xor_b32_e32 v14, 2, v34
	v_mul_f32_e32 v19, s55, v19
	v_cndmask_b32_e64 v36, v56, v57, s[4:5]
	v_cmp_lt_i32_e64 s[4:5], v14, v13
	v_bfe_u32 v33, v19, 16, 1
	v_cndmask_b32_e64 v14, v34, v14, s[4:5]
	v_add3_u32 v33, v33, v19, s54
	v_or_b32_e32 v0, 0x400000, v19
	v_cmp_u_f32_e64 s[4:5], v19, v19
	v_lshlrev_b32_e32 v57, 16, v10
	v_cndmask_b32_e64 v0, v33, v0, s[4:5]
	v_and_b32_e32 v10, 0xffff0000, v10
	v_and_b32_e32 v19, 0xffff0000, v36
	;; [unrolled: 1-line block ×5, first 2 shown]
	v_lshlrev_b32_e32 v56, 16, v9
	v_and_b32_e32 v9, 0xffff0000, v9
	v_mul_f32_e32 v36, v57, v36
	v_mul_f32_e32 v10, v10, v37
	v_lshlrev_b32_e32 v58, 16, v11
	v_and_b32_e32 v11, 0xffff0000, v11
	v_fmac_f32_e32 v36, v56, v19
	v_fmac_f32_e32 v10, v9, v33
	v_and_b32_e32 v9, 0xffff0000, v40
	v_and_b32_e32 v19, 0xffff0000, v41
	v_lshlrev_b32_e32 v59, 16, v12
	v_and_b32_e32 v12, 0xffff0000, v12
	v_fmac_f32_e32 v36, v58, v9
	v_fmac_f32_e32 v10, v11, v19
	v_and_b32_e32 v9, 0xffff0000, v42
	v_and_b32_e32 v11, 0xffff0000, v43
	v_lshlrev_b32_e32 v60, 16, v5
	v_and_b32_e32 v5, 0xffff0000, v5
	v_fmac_f32_e32 v36, v59, v9
	v_fmac_f32_e32 v10, v12, v11
	v_and_b32_e32 v9, 0xffff0000, v44
	v_and_b32_e32 v11, 0xffff0000, v45
	v_lshlrev_b32_e32 v61, 16, v6
	v_and_b32_e32 v6, 0xffff0000, v6
	v_fmac_f32_e32 v36, v60, v9
	v_fmac_f32_e32 v10, v5, v11
	v_and_b32_e32 v5, 0xffff0000, v46
	v_and_b32_e32 v9, 0xffff0000, v47
	v_lshlrev_b32_e32 v62, 16, v7
	v_and_b32_e32 v7, 0xffff0000, v7
	v_fmac_f32_e32 v36, v61, v5
	v_fmac_f32_e32 v10, v6, v9
	v_and_b32_e32 v5, 0xffff0000, v48
	v_and_b32_e32 v6, 0xffff0000, v49
	v_lshlrev_b32_e32 v63, 16, v8
	v_and_b32_e32 v8, 0xffff0000, v8
	v_fmac_f32_e32 v36, v62, v5
	v_fmac_f32_e32 v10, v7, v6
	v_and_b32_e32 v5, 0xffff0000, v50
	v_and_b32_e32 v6, 0xffff0000, v51
	v_lshlrev_b32_e32 v25, 16, v1
	v_and_b32_e32 v1, 0xffff0000, v1
	v_fmac_f32_e32 v36, v63, v5
	v_fmac_f32_e32 v10, v8, v6
	v_and_b32_e32 v5, 0xffff0000, v52
	v_and_b32_e32 v6, 0xffff0000, v53
	v_lshlrev_b32_e32 v23, 16, v2
	v_and_b32_e32 v2, 0xffff0000, v2
	v_fmac_f32_e32 v36, v25, v5
	v_fmac_f32_e32 v10, v1, v6
	v_and_b32_e32 v1, 0xffff0000, v54
	v_and_b32_e32 v5, 0xffff0000, v55
	v_lshlrev_b32_e32 v24, 16, v3
	v_and_b32_e32 v3, 0xffff0000, v3
	v_fmac_f32_e32 v36, v23, v1
	v_fmac_f32_e32 v10, v2, v5
	v_and_b32_e32 v1, 0xffff0000, v20
	v_and_b32_e32 v2, 0xffff0000, v18
	v_lshlrev_b32_e32 v30, 16, v4
	v_and_b32_e32 v4, 0xffff0000, v4
	v_fmac_f32_e32 v36, v24, v1
	v_fmac_f32_e32 v10, v3, v2
	v_and_b32_e32 v1, 0xffff0000, v17
	v_and_b32_e32 v0, 0xffff0000, v0
	v_fmac_f32_e32 v36, v30, v1
	v_fmac_f32_e32 v10, v4, v0
	v_lshlrev_b32_e32 v14, 2, v14
	v_add_f32_e32 v0, v36, v10
	ds_bpermute_b32 v1, v14, v0
	v_xor_b32_e32 v2, 1, v34
	v_cmp_lt_i32_e64 s[4:5], v2, v13
	v_cndmask_b32_e64 v2, v34, v2, s[4:5]
	v_lshlrev_b32_e32 v2, 2, v2
	s_waitcnt lgkmcnt(0)
	v_add_f32_e32 v1, v0, v1
	ds_bpermute_b32 v2, v2, v1
	s_and_saveexec_b64 s[40:41], vcc
	s_cbranch_execz .LBB295_11
; %bb.163:                              ;   in Loop: Header=BB295_13 Depth=1
	buffer_load_dword v0, off, s[56:59], 0 offset:12 ; 4-byte Folded Reload
	buffer_load_dword v3, off, s[56:59], 0 offset:8 ; 4-byte Folded Reload
	s_waitcnt lgkmcnt(0)
	v_add_f32_e32 v1, v1, v2
	s_waitcnt vmcnt(1)
	v_add_u32_e32 v0, v0, v29
	v_cvt_f32_i32_e32 v0, v0
	s_waitcnt vmcnt(0)
	v_add_u32_e32 v3, v3, v29
	v_cmp_gt_i32_e64 s[4:5], s33, v3
	v_mul_f32_e32 v0, s48, v0
	v_cndmask_b32_e64 v0, 0, v0, s[2:3]
	v_fmac_f32_e32 v0, s37, v1
	v_cndmask_b32_e64 v1, 0, v0, s[4:5]
	ds_write_b32 v31, v1
	v_max_f32_e32 v1, v28, v28
	v_max_f32_e32 v0, v1, v0
	v_cndmask_b32_e64 v28, v28, v0, s[4:5]
	s_branch .LBB295_11
.LBB295_164:
	s_or_b64 exec, exec, s[38:39]
	buffer_load_dword v13, off, s[56:59], 0 offset:16 ; 4-byte Folded Reload
	buffer_load_dword v14, off, s[56:59], 0 offset:20 ; 4-byte Folded Reload
	v_mbcnt_lo_u32_b32 v0, -1, 0
.LBB295_165:
	s_or_b64 exec, exec, s[18:19]
	v_mbcnt_hi_u32_b32 v1, -1, v0
	v_and_b32_e32 v9, 64, v1
	s_waitcnt lgkmcnt(0)
	v_add_u32_e32 v2, 64, v9
	v_xor_b32_e32 v3, 32, v1
	v_cmp_lt_i32_e32 vcc, v3, v2
	v_cndmask_b32_e32 v3, v1, v3, vcc
	v_lshlrev_b32_e32 v3, 2, v3
	ds_bpermute_b32 v4, v3, v28
	v_xor_b32_e32 v6, 16, v1
	v_max_f32_e32 v5, v28, v28
	v_cmp_lt_i32_e32 vcc, v6, v2
	v_xor_b32_e32 v7, 8, v1
	s_waitcnt lgkmcnt(0)
	v_max_f32_e32 v4, v4, v4
	v_max_f32_e32 v5, v5, v4
	v_cndmask_b32_e32 v4, v1, v6, vcc
	v_lshlrev_b32_e32 v4, 2, v4
	ds_bpermute_b32 v6, v4, v5
	v_cmp_lt_i32_e32 vcc, v7, v2
	v_xor_b32_e32 v8, 4, v1
	s_waitcnt vmcnt(1)
	v_and_b32_e32 v20, 63, v13
	s_waitcnt lgkmcnt(0)
	v_max_f32_e32 v6, v6, v6
	v_max_f32_e32 v5, v5, v6
	v_cndmask_b32_e32 v6, v1, v7, vcc
	v_lshlrev_b32_e32 v7, 2, v6
	ds_bpermute_b32 v6, v7, v5
	v_cmp_lt_i32_e32 vcc, v8, v2
	s_waitcnt lgkmcnt(0)
	v_max_f32_e32 v6, v6, v6
	v_max_f32_e32 v6, v5, v6
	v_cndmask_b32_e32 v5, v1, v8, vcc
	v_lshlrev_b32_e32 v8, 2, v5
	ds_bpermute_b32 v10, v8, v6
	v_cmp_eq_u32_e32 vcc, 0, v20
	v_lshlrev_b32_e32 v5, 2, v21
	s_and_saveexec_b64 s[2:3], vcc
	s_cbranch_execz .LBB295_167
; %bb.166:
	s_waitcnt lgkmcnt(0)
	v_max_f32_e32 v0, v10, v10
	v_max_f32_e32 v6, v6, v6
	;; [unrolled: 1-line block ×3, first 2 shown]
	ds_write_b32 v5, v0 offset:192
.LBB295_167:
	s_or_b64 exec, exec, s[2:3]
	v_cmp_gt_u32_e64 s[2:3], 2, v20
	s_waitcnt lgkmcnt(0)
	v_mov_b32_e32 v10, 0xff7fffff
	v_lshlrev_b32_e32 v6, 2, v20
	s_waitcnt vmcnt(0)
	s_barrier
	s_and_saveexec_b64 s[4:5], s[2:3]
; %bb.168:
	ds_read_b32 v10, v6 offset:192
; %bb.169:
	s_or_b64 exec, exec, s[4:5]
	v_xor_b32_e32 v0, 1, v1
	v_cmp_lt_i32_e64 s[4:5], v0, v2
	v_cndmask_b32_e64 v0, v1, v0, s[4:5]
	v_lshlrev_b32_e32 v23, 2, v0
	s_waitcnt lgkmcnt(0)
	ds_bpermute_b32 v0, v23, v10
	v_max_f32_e32 v10, v10, v10
	v_lshlrev_b32_e32 v9, 2, v9
	s_lshl_b32 s4, s47, 4
	s_min_i32 s37, s4, s33
	s_waitcnt lgkmcnt(0)
	v_max_f32_e32 v0, v0, v0
	v_max_f32_e32 v0, v10, v0
	ds_bpermute_b32 v10, v9, v0
	v_cmp_gt_i32_e64 s[4:5], s37, v13
	v_mov_b32_e32 v9, 0
	s_and_saveexec_b64 s[12:13], s[4:5]
	s_cbranch_execz .LBB295_173
; %bb.170:
	v_mov_b32_e32 v0, 0xd0
	v_lshl_add_u32 v11, v13, 2, v0
	v_mov_b32_e32 v9, 0
	s_mov_b64 s[18:19], 0
	v_mov_b32_e32 v12, v13
.LBB295_171:                            ; =>This Inner Loop Header: Depth=1
	ds_read_b32 v0, v11
	v_add_u32_e32 v12, 0x80, v12
	v_cmp_le_i32_e64 s[6:7], s37, v12
	s_or_b64 s[18:19], s[6:7], s[18:19]
	s_waitcnt lgkmcnt(0)
	v_sub_f32_e32 v0, v0, v10
	v_mul_f32_e32 v0, 0x3fb8aa3b, v0
	v_exp_f32_e32 v0, v0
	ds_write_b32 v11, v0
	v_add_f32_e32 v9, v9, v0
	v_add_u32_e32 v11, 0x200, v11
	s_andn2_b64 exec, exec, s[18:19]
	s_cbranch_execnz .LBB295_171
; %bb.172:
	s_or_b64 exec, exec, s[18:19]
.LBB295_173:
	s_or_b64 exec, exec, s[12:13]
	ds_bpermute_b32 v0, v3, v9
	s_waitcnt lgkmcnt(0)
	v_add_f32_e32 v0, v9, v0
	ds_bpermute_b32 v3, v4, v0
	v_xor_b32_e32 v4, 2, v1
	v_cmp_lt_i32_e64 s[6:7], v4, v2
	v_cndmask_b32_e64 v2, v1, v4, s[6:7]
	v_lshlrev_b32_e32 v2, 2, v2
	s_waitcnt lgkmcnt(0)
	v_add_f32_e32 v0, v0, v3
	ds_bpermute_b32 v3, v7, v0
	s_waitcnt lgkmcnt(0)
	v_add_f32_e32 v0, v0, v3
	ds_bpermute_b32 v3, v8, v0
	;; [unrolled: 3-line block ×4, first 2 shown]
	s_waitcnt lgkmcnt(0)
	v_add_f32_e32 v2, v0, v2
	s_and_saveexec_b64 s[6:7], vcc
; %bb.174:
	ds_write_b32 v5, v2 offset:200
; %bb.175:
	s_or_b64 exec, exec, s[6:7]
	s_waitcnt lgkmcnt(0)
	s_barrier
	s_and_saveexec_b64 s[6:7], s[2:3]
; %bb.176:
	ds_read_b32 v2, v6 offset:200
; %bb.177:
	s_or_b64 exec, exec, s[6:7]
	s_waitcnt lgkmcnt(0)
	ds_bpermute_b32 v0, v23, v2
	v_lshlrev_b32_e32 v1, 2, v1
	v_and_b32_e32 v1, 0x100, v1
	s_waitcnt lgkmcnt(0)
	v_add_f32_e32 v0, v2, v0
	ds_bpermute_b32 v1, v1, v0
	s_and_saveexec_b64 s[2:3], s[4:5]
	s_cbranch_execz .LBB295_180
; %bb.178:
	s_waitcnt lgkmcnt(0)
	v_add_f32_e32 v0, 0x358637bd, v1
	v_div_scale_f32 v1, s[4:5], v0, v0, 1.0
	v_div_scale_f32 v2, vcc, 1.0, v0, 1.0
	s_mov_b64 s[4:5], 0
	v_rcp_f32_e32 v3, v1
	v_fma_f32 v4, -v1, v3, 1.0
	v_fmac_f32_e32 v3, v4, v3
	v_mul_f32_e32 v4, v2, v3
	v_fma_f32 v5, -v1, v4, v2
	v_fmac_f32_e32 v4, v5, v3
	v_fma_f32 v1, -v1, v4, v2
	v_div_fmas_f32 v2, v1, v3, v4
	v_mov_b32_e32 v1, 0xd0
	v_lshl_add_u32 v1, v13, 2, v1
	v_mov_b32_e32 v3, v13
	v_div_fixup_f32 v2, v2, v0, 1.0
.LBB295_179:                            ; =>This Inner Loop Header: Depth=1
	ds_read_b32 v0, v1
	v_add_u32_e32 v3, 0x80, v3
	v_cmp_le_i32_e32 vcc, s37, v3
	s_or_b64 s[4:5], vcc, s[4:5]
	s_waitcnt lgkmcnt(0)
	v_mul_f32_e32 v0, v2, v0
	ds_write_b32 v1, v0
	v_add_u32_e32 v1, 0x200, v1
	s_andn2_b64 exec, exec, s[4:5]
	s_cbranch_execnz .LBB295_179
.LBB295_180:
	s_or_b64 exec, exec, s[2:3]
	v_mov_b32_e32 v28, 0
	v_and_b32_e32 v24, 1, v13
	v_mov_b32_e32 v29, 0
	v_mov_b32_e32 v27, 0
	s_waitcnt lgkmcnt(0)
	s_barrier
	s_and_saveexec_b64 s[2:3], s[0:1]
	s_cbranch_execz .LBB295_336
; %bb.181:
	s_sub_i32 s37, s16, s21
	s_ashr_i32 s0, s20, 31
	s_add_u32 s1, s34, s20
	s_addc_u32 s0, s35, s0
	s_abs_i32 s22, s22
	v_cvt_f32_u32_e32 v0, s22
	s_sub_i32 s6, 0, s22
	v_lshlrev_b32_e32 v1, 3, v13
	v_and_b32_e32 v26, 8, v1
	v_rcp_iflag_f32_e32 v0, v0
	v_and_b32_e32 v1, 0x1f8, v1
	s_add_i32 s35, s47, -1
	v_mov_b32_e32 v3, s0
	v_mul_f32_e32 v0, 0x4f7ffffe, v0
	v_cvt_u32_f32_e32 v0, v0
	v_add_co_u32_e32 v11, vcc, s1, v1
	s_lshl_b64 s[0:1], s[30:31], 2
	v_mul_lo_u32 v2, s6, v0
	v_addc_co_u32_e32 v12, vcc, 0, v3, vcc
	s_add_u32 s0, s28, s0
	v_mul_hi_u32 v2, v0, v2
	s_addc_u32 s1, s29, s1
	s_mov_b32 s4, -1
	v_mov_b32_e32 v1, s1
	v_add_u32_e32 v30, v0, v2
	v_and_b32_e32 v0, 60, v14
	v_add_co_u32_e32 v13, vcc, s0, v0
	v_lshlrev_b32_e32 v0, 5, v24
	v_lshl_or_b32 v0, v21, 6, v0
	s_mov_b32 s34, s17
	s_mov_b32 s5, 0xffffff
	v_mov_b32_e32 v10, 0
	v_addc_co_u32_e32 v14, vcc, 0, v1, vcc
	v_add_u32_e32 v25, 0xd0, v0
	s_mov_b64 s[6:7], 0
	s_movk_i32 s28, 0x80
	s_movk_i32 s29, 0x7f
	s_movk_i32 s30, 0x7fff
	v_bfrev_b32_e32 v31, 60
	v_mov_b32_e32 v27, 0
	v_mov_b32_e32 v29, 0
	;; [unrolled: 1-line block ×3, first 2 shown]
	s_branch .LBB295_184
.LBB295_182:                            ;   in Loop: Header=BB295_184 Depth=1
	s_or_b64 exec, exec, s[0:1]
	v_bfe_u32 v0, v5, 16, 1
	v_add3_u32 v0, v0, v5, s30
	v_or_b32_e32 v40, 0x400000, v5
	v_cmp_u_f32_e32 vcc, v5, v5
	v_bfe_u32 v5, v6, 16, 1
	v_cndmask_b32_e32 v0, v0, v40, vcc
	v_add3_u32 v5, v5, v6, s30
	v_or_b32_e32 v40, 0x400000, v6
	v_cmp_u_f32_e32 vcc, v6, v6
	v_bfe_u32 v6, v7, 16, 1
	v_cndmask_b32_e32 v5, v5, v40, vcc
	;; [unrolled: 5-line block ×5, first 2 shown]
	v_add3_u32 v1, v1, v2, s30
	v_or_b32_e32 v40, 0x400000, v2
	v_cmp_u_f32_e32 vcc, v2, v2
	v_cndmask_b32_e32 v40, v1, v40, vcc
	v_bfe_u32 v1, v3, 16, 1
	v_add3_u32 v1, v1, v3, s30
	v_or_b32_e32 v2, 0x400000, v3
	v_cmp_u_f32_e32 vcc, v3, v3
	v_cndmask_b32_e32 v41, v1, v2, vcc
	v_bfe_u32 v1, v4, 16, 1
	v_add3_u32 v1, v1, v4, s30
	v_or_b32_e32 v2, 0x400000, v4
	v_cmp_u_f32_e32 vcc, v4, v4
	v_cndmask_b32_e32 v4, v1, v2, vcc
	v_and_b32_e32 v1, 0xffff0000, v5
	v_lshlrev_b32_e32 v2, 16, v52
	v_mul_f32_e32 v2, v1, v2
	v_bfe_u32 v3, v2, 16, 1
	v_add3_u32 v3, v3, v2, s30
	v_or_b32_e32 v5, 0x400000, v2
	v_cmp_u_f32_e32 vcc, v2, v2
	v_cndmask_b32_e32 v42, v3, v5, vcc
	v_and_b32_e32 v5, 0xffff0000, v0
	v_lshlrev_b32_e32 v0, 16, v53
	v_mul_f32_e32 v0, v5, v0
	;; [unrolled: 8-line block ×3, first 2 shown]
	v_bfe_u32 v7, v3, 16, 1
	v_add3_u32 v7, v7, v3, s30
	v_or_b32_e32 v43, 0x400000, v3
	v_cmp_u_f32_e32 vcc, v3, v3
	v_and_b32_e32 v6, 0xffff0000, v6
	v_lshlrev_b32_e32 v3, 16, v50
	v_mul_f32_e32 v3, v6, v3
	v_cndmask_b32_e32 v43, v7, v43, vcc
	v_bfe_u32 v7, v3, 16, 1
	v_add3_u32 v7, v7, v3, s30
	v_or_b32_e32 v44, 0x400000, v3
	v_cmp_u_f32_e32 vcc, v3, v3
	v_cndmask_b32_e32 v44, v7, v44, vcc
	v_and_b32_e32 v3, 0xffff0000, v40
	v_lshlrev_b32_e32 v7, 16, v18
	v_mul_f32_e32 v7, v3, v7
	v_bfe_u32 v18, v7, 16, 1
	v_add3_u32 v18, v18, v7, s30
	v_or_b32_e32 v40, 0x400000, v7
	v_cmp_u_f32_e32 vcc, v7, v7
	v_and_b32_e32 v7, 0xffff0000, v8
	v_lshlrev_b32_e32 v8, 16, v19
	v_mul_f32_e32 v8, v7, v8
	v_bfe_u32 v19, v8, 16, 1
	v_cndmask_b32_e32 v18, v18, v40, vcc
	v_add3_u32 v19, v19, v8, s30
	v_or_b32_e32 v40, 0x400000, v8
	v_cmp_u_f32_e32 vcc, v8, v8
	v_and_b32_e32 v4, 0xffff0000, v4
	v_lshlrev_b32_e32 v8, 16, v51
	v_mul_f32_e32 v8, v4, v8
	v_cndmask_b32_e32 v19, v19, v40, vcc
	v_bfe_u32 v40, v8, 16, 1
	v_add3_u32 v40, v40, v8, s30
	v_or_b32_e32 v45, 0x400000, v8
	v_cmp_u_f32_e32 vcc, v8, v8
	v_and_b32_e32 v8, 0xffff0000, v41
	v_lshlrev_b32_e32 v41, 16, v48
	v_mul_f32_e32 v41, v8, v41
	v_and_b32_e32 v0, 0xffff0000, v0
	v_and_b32_e32 v42, 0xffff0000, v42
	v_cndmask_b32_e32 v40, v40, v45, vcc
	v_bfe_u32 v45, v41, 16, 1
	v_add_f32_e32 v0, v0, v42
	v_and_b32_e32 v42, 0xffff0000, v44
	v_and_b32_e32 v43, 0xffff0000, v43
	v_add3_u32 v45, v45, v41, s30
	v_or_b32_e32 v46, 0x400000, v41
	v_cmp_u_f32_e32 vcc, v41, v41
	v_add_f32_e32 v42, v42, v43
	v_and_b32_e32 v19, 0xffff0000, v19
	v_and_b32_e32 v18, 0xffff0000, v18
	v_cndmask_b32_e32 v41, v45, v46, vcc
	v_add_f32_e32 v0, v42, v0
	v_add_f32_e32 v18, v19, v18
	;; [unrolled: 1-line block ×3, first 2 shown]
	v_and_b32_e32 v18, 0xffff0000, v41
	v_and_b32_e32 v19, 0xffff0000, v40
	v_add_f32_e32 v18, v18, v19
	v_add_f32_e32 v0, v18, v0
	;; [unrolled: 1-line block ×3, first 2 shown]
	v_lshlrev_b32_e32 v0, 16, v38
	v_mul_f32_e32 v0, v1, v0
	v_bfe_u32 v18, v0, 16, 1
	v_add3_u32 v18, v18, v0, s30
	v_or_b32_e32 v19, 0x400000, v0
	v_cmp_u_f32_e32 vcc, v0, v0
	v_cndmask_b32_e32 v0, v18, v19, vcc
	v_lshlrev_b32_e32 v18, 16, v39
	v_mul_f32_e32 v18, v5, v18
	v_bfe_u32 v19, v18, 16, 1
	v_add3_u32 v19, v19, v18, s30
	v_or_b32_e32 v38, 0x400000, v18
	v_cmp_u_f32_e32 vcc, v18, v18
	v_cndmask_b32_e32 v18, v19, v38, vcc
	;; [unrolled: 7-line block ×3, first 2 shown]
	v_lshlrev_b32_e32 v35, 16, v36
	v_mul_f32_e32 v35, v6, v35
	v_bfe_u32 v36, v35, 16, 1
	v_lshlrev_b32_e32 v32, 16, v32
	v_add3_u32 v36, v36, v35, s30
	v_or_b32_e32 v38, 0x400000, v35
	v_cmp_u_f32_e32 vcc, v35, v35
	v_mul_f32_e32 v32, v3, v32
	v_cndmask_b32_e32 v35, v36, v38, vcc
	v_bfe_u32 v36, v32, 16, 1
	v_lshlrev_b32_e32 v33, 16, v33
	v_add3_u32 v36, v36, v32, s30
	v_or_b32_e32 v38, 0x400000, v32
	v_cmp_u_f32_e32 vcc, v32, v32
	v_mul_f32_e32 v33, v7, v33
	v_cndmask_b32_e32 v32, v36, v38, vcc
	v_bfe_u32 v36, v33, 16, 1
	v_add3_u32 v36, v36, v33, s30
	v_or_b32_e32 v38, 0x400000, v33
	v_cmp_u_f32_e32 vcc, v33, v33
	v_cndmask_b32_e32 v33, v36, v38, vcc
	v_lshlrev_b32_e32 v36, 16, v37
	v_mul_f32_e32 v36, v4, v36
	v_bfe_u32 v37, v36, 16, 1
	v_lshlrev_b32_e32 v34, 16, v34
	v_and_b32_e32 v18, 0xffff0000, v18
	v_and_b32_e32 v0, 0xffff0000, v0
	v_add3_u32 v37, v37, v36, s30
	v_or_b32_e32 v38, 0x400000, v36
	v_cmp_u_f32_e32 vcc, v36, v36
	v_mul_f32_e32 v34, v8, v34
	v_add_f32_e32 v0, v18, v0
	v_and_b32_e32 v18, 0xffff0000, v35
	v_and_b32_e32 v19, 0xffff0000, v19
	v_cndmask_b32_e32 v36, v37, v38, vcc
	v_bfe_u32 v37, v34, 16, 1
	v_add_f32_e32 v18, v18, v19
	v_add3_u32 v37, v37, v34, s30
	v_or_b32_e32 v38, 0x400000, v34
	v_cmp_u_f32_e32 vcc, v34, v34
	v_add_f32_e32 v0, v18, v0
	v_and_b32_e32 v18, 0xffff0000, v33
	v_and_b32_e32 v19, 0xffff0000, v32
	v_cndmask_b32_e32 v34, v37, v38, vcc
	v_add_f32_e32 v18, v18, v19
	v_add_f32_e32 v0, v18, v0
	v_and_b32_e32 v18, 0xffff0000, v34
	v_and_b32_e32 v19, 0xffff0000, v36
	v_add_f32_e32 v18, v18, v19
	v_add_f32_e32 v0, v18, v0
	;; [unrolled: 1-line block ×3, first 2 shown]
	v_lshlrev_b32_e32 v0, 16, v57
	v_mul_f32_e32 v0, v5, v0
	v_bfe_u32 v5, v0, 16, 1
	v_add3_u32 v5, v5, v0, s30
	v_or_b32_e32 v18, 0x400000, v0
	v_cmp_u_f32_e32 vcc, v0, v0
	v_cndmask_b32_e32 v0, v5, v18, vcc
	v_lshlrev_b32_e32 v5, 16, v55
	v_mul_f32_e32 v1, v1, v5
	v_bfe_u32 v5, v1, 16, 1
	v_add3_u32 v5, v5, v1, s30
	v_or_b32_e32 v18, 0x400000, v1
	v_cmp_u_f32_e32 vcc, v1, v1
	v_cndmask_b32_e32 v1, v5, v18, vcc
	v_lshlrev_b32_e32 v5, 16, v56
	v_mul_f32_e32 v5, v6, v5
	v_bfe_u32 v6, v5, 16, 1
	v_add3_u32 v6, v6, v5, s30
	v_or_b32_e32 v18, 0x400000, v5
	v_cmp_u_f32_e32 vcc, v5, v5
	v_cndmask_b32_e32 v5, v6, v18, vcc
	v_lshlrev_b32_e32 v6, 16, v16
	v_mul_f32_e32 v2, v2, v6
	v_bfe_u32 v6, v2, 16, 1
	v_add3_u32 v6, v6, v2, s30
	v_or_b32_e32 v16, 0x400000, v2
	v_cmp_u_f32_e32 vcc, v2, v2
	v_cndmask_b32_e32 v2, v6, v16, vcc
	v_lshlrev_b32_e32 v6, 16, v15
	v_mul_f32_e32 v6, v7, v6
	v_bfe_u32 v7, v6, 16, 1
	v_add3_u32 v7, v7, v6, s30
	v_or_b32_e32 v15, 0x400000, v6
	v_cmp_u_f32_e32 vcc, v6, v6
	v_cndmask_b32_e32 v6, v7, v15, vcc
	v_lshlrev_b32_e32 v7, 16, v9
	v_mul_f32_e32 v3, v3, v7
	v_bfe_u32 v7, v3, 16, 1
	v_add3_u32 v7, v7, v3, s30
	v_or_b32_e32 v9, 0x400000, v3
	v_cmp_u_f32_e32 vcc, v3, v3
	v_cndmask_b32_e32 v3, v7, v9, vcc
	v_lshlrev_b32_e32 v7, 16, v17
	v_mul_f32_e32 v7, v8, v7
	v_bfe_u32 v8, v7, 16, 1
	v_add3_u32 v8, v8, v7, s30
	v_or_b32_e32 v9, 0x400000, v7
	v_cmp_u_f32_e32 vcc, v7, v7
	v_cndmask_b32_e32 v7, v8, v9, vcc
	v_lshlrev_b32_e32 v8, 16, v54
	v_and_b32_e32 v1, 0xffff0000, v1
	v_and_b32_e32 v0, 0xffff0000, v0
	v_mul_f32_e32 v4, v4, v8
	v_add_f32_e32 v0, v0, v1
	v_and_b32_e32 v1, 0xffff0000, v2
	v_and_b32_e32 v2, 0xffff0000, v5
	v_bfe_u32 v8, v4, 16, 1
	v_add_f32_e32 v1, v2, v1
	v_add3_u32 v8, v8, v4, s30
	v_or_b32_e32 v9, 0x400000, v4
	v_cmp_u_f32_e32 vcc, v4, v4
	v_add_f32_e32 v0, v1, v0
	v_and_b32_e32 v1, 0xffff0000, v3
	v_and_b32_e32 v2, 0xffff0000, v6
	v_cndmask_b32_e32 v4, v8, v9, vcc
	v_add_f32_e32 v1, v2, v1
	v_add_f32_e32 v0, v1, v0
	v_and_b32_e32 v1, 0xffff0000, v4
	v_and_b32_e32 v2, 0xffff0000, v7
	v_add_f32_e32 v1, v2, v1
	v_add_f32_e32 v0, v1, v0
	;; [unrolled: 1-line block ×3, first 2 shown]
.LBB295_183:                            ;   in Loop: Header=BB295_184 Depth=1
	s_or_b64 exec, exec, s[12:13]
	v_add_co_u32_e32 v13, vcc, 8, v13
	v_add_u32_e32 v21, 2, v21
	v_addc_co_u32_e32 v14, vcc, 0, v14, vcc
	v_cmp_le_i32_e32 vcc, s47, v21
	v_add_u32_e32 v22, 32, v22
	s_or_b64 s[6:7], vcc, s[6:7]
	v_add_u32_e32 v25, 0x80, v25
	s_andn2_b64 exec, exec, s[6:7]
	s_cbranch_execz .LBB295_335
.LBB295_184:                            ; =>This Inner Loop Header: Depth=1
	v_mul_hi_u32 v0, v22, s46
	v_mul_lo_u32 v1, v0, s25
	v_add_u32_e32 v2, 1, v0
	v_sub_u32_e32 v1, v22, v1
	v_cmp_le_u32_e32 vcc, s25, v1
	v_cndmask_b32_e32 v0, v0, v2, vcc
	v_subrev_u32_e32 v2, s25, v1
	v_cndmask_b32_e32 v1, v1, v2, vcc
	v_add_u32_e32 v2, 1, v0
	v_cmp_le_u32_e32 vcc, s25, v1
	v_cndmask_b32_e32 v0, v0, v2, vcc
	v_xor_b32_e32 v0, s23, v0
	v_subrev_u32_e32 v0, s23, v0
	v_add_u32_e32 v1, s36, v0
	v_sub_u32_e32 v2, 0, v1
	v_max_i32_e32 v2, v1, v2
	v_mul_hi_u32 v3, v2, v30
	v_ashrrev_i32_e32 v1, 31, v1
	v_cmp_lt_i32_e64 s[0:1], s37, v0
	v_mul_lo_u32 v3, v3, s22
	v_sub_u32_e32 v2, v2, v3
	v_subrev_u32_e32 v3, s22, v2
	v_cmp_le_u32_e32 vcc, s22, v2
	v_cndmask_b32_e32 v2, v2, v3, vcc
	v_subrev_u32_e32 v3, s22, v2
	v_cmp_le_u32_e32 vcc, s22, v2
	v_cndmask_b32_e32 v2, v2, v3, vcc
	v_xor_b32_e32 v2, v2, v1
	v_sub_u32_e32 v1, v2, v1
	v_cmp_eq_u32_e32 vcc, 0, v1
	s_or_b64 s[0:1], vcc, s[0:1]
	s_and_saveexec_b64 s[12:13], s[0:1]
	s_cbranch_execz .LBB295_183
; %bb.185:                              ;   in Loop: Header=BB295_184 Depth=1
	global_load_dword v0, v[13:14], off
	v_mov_b32_e32 v37, 0
	v_mov_b32_e32 v34, 0
	s_waitcnt vmcnt(0)
	v_mad_i64_i32 v[15:16], s[0:1], v0, s34, v[11:12]
	global_load_dwordx2 v[17:18], v[15:16], off
	ds_read2_b64 v[5:8], v25 offset1:1
	ds_read2_b64 v[1:4], v25 offset0:2 offset1:3
	s_load_dword s31, s[14:15], 0x0
	s_waitcnt vmcnt(0)
	v_cmp_ne_u16_sdwa s[16:17], v17, v10 src0_sel:BYTE_0 src1_sel:DWORD
	s_and_saveexec_b64 s[0:1], s[16:17]
	s_cbranch_execz .LBB295_191
; %bb.186:                              ;   in Loop: Header=BB295_184 Depth=1
	v_cmp_ne_u16_sdwa s[18:19], v17, s28 src0_sel:BYTE_0 src1_sel:DWORD
	v_bfrev_b32_e32 v34, 1
	s_and_saveexec_b64 s[16:17], s[18:19]
	s_cbranch_execz .LBB295_190
; %bb.187:                              ;   in Loop: Header=BB295_184 Depth=1
	v_and_b32_e32 v9, 0x7f, v17
	v_cmp_ne_u32_e32 vcc, s29, v9
	v_mov_b32_e32 v34, 0x7f800001
	s_and_saveexec_b64 s[18:19], vcc
	s_cbranch_execz .LBB295_189
; %bb.188:                              ;   in Loop: Header=BB295_184 Depth=1
	v_and_b32_e32 v0, 7, v17
	v_ffbh_u32_e32 v0, v0
	v_min_u32_e32 v0, 32, v0
	v_subrev_u32_e32 v32, 28, v0
	v_cmp_gt_u32_e32 vcc, 8, v9
	v_lshrrev_b32_e32 v19, 3, v9
	v_cndmask_b32_e32 v9, 0, v32, vcc
	v_lshlrev_b64 v[32:33], v9, v[17:18]
	v_sub_u32_e32 v0, 29, v0
	v_cndmask_b32_e32 v0, v19, v0, vcc
	v_lshlrev_b32_e32 v9, 20, v32
	v_lshlrev_b32_e32 v19, 24, v17
	v_and_b32_e32 v9, 0x700000, v9
	v_and_b32_e32 v19, 0x80000000, v19
	v_lshl_add_u32 v0, v0, 23, v31
	v_or3_b32 v34, v19, v0, v9
.LBB295_189:                            ;   in Loop: Header=BB295_184 Depth=1
	s_or_b64 exec, exec, s[18:19]
.LBB295_190:                            ;   in Loop: Header=BB295_184 Depth=1
	s_or_b64 exec, exec, s[16:17]
.LBB295_191:                            ;   in Loop: Header=BB295_184 Depth=1
	s_or_b64 exec, exec, s[0:1]
	v_lshrrev_b16_e32 v9, 8, v17
	v_cmp_ne_u16_e32 vcc, 0, v9
	s_and_saveexec_b64 s[0:1], vcc
	s_cbranch_execz .LBB295_197
; %bb.192:                              ;   in Loop: Header=BB295_184 Depth=1
	v_cmp_ne_u16_e32 vcc, s28, v9
	v_bfrev_b32_e32 v37, 1
	s_and_saveexec_b64 s[16:17], vcc
	s_cbranch_execz .LBB295_196
; %bb.193:                              ;   in Loop: Header=BB295_184 Depth=1
	v_and_b32_e32 v19, 0x7f, v9
	v_cmp_ne_u32_e32 vcc, s29, v19
	v_mov_b32_e32 v37, 0x7f800001
	s_and_saveexec_b64 s[18:19], vcc
	s_cbranch_execz .LBB295_195
; %bb.194:                              ;   in Loop: Header=BB295_184 Depth=1
	v_and_b32_e32 v0, 7, v9
	v_ffbh_u32_e32 v32, v0
	v_min_u32_e32 v36, 32, v32
	v_subrev_u32_e32 v32, 28, v36
	v_lshlrev_b64 v[32:33], v32, v[9:10]
	v_lshrrev_b32_e32 v35, 3, v19
	v_sub_u32_e32 v9, 29, v36
	v_and_b32_e32 v32, 7, v32
	v_cmp_gt_u32_e32 vcc, 8, v19
	v_cndmask_b32_e32 v9, v35, v9, vcc
	v_cndmask_b32_e32 v0, v0, v32, vcc
	v_lshlrev_b32_e32 v19, 16, v17
	v_lshlrev_b32_e32 v0, 20, v0
	v_and_b32_e32 v19, 0x80000000, v19
	v_lshl_add_u32 v9, v9, 23, v31
	v_or3_b32 v37, v19, v9, v0
.LBB295_195:                            ;   in Loop: Header=BB295_184 Depth=1
	s_or_b64 exec, exec, s[18:19]
.LBB295_196:                            ;   in Loop: Header=BB295_184 Depth=1
	s_or_b64 exec, exec, s[16:17]
.LBB295_197:                            ;   in Loop: Header=BB295_184 Depth=1
	s_or_b64 exec, exec, s[0:1]
	v_lshrrev_b32_e32 v9, 16, v17
	v_cmp_ne_u16_sdwa s[16:17], v9, v10 src0_sel:BYTE_0 src1_sel:DWORD
	v_mov_b32_e32 v35, 0
	v_mov_b32_e32 v36, 0
	s_and_saveexec_b64 s[0:1], s[16:17]
	s_cbranch_execz .LBB295_203
; %bb.198:                              ;   in Loop: Header=BB295_184 Depth=1
	v_cmp_ne_u16_sdwa s[18:19], v9, s28 src0_sel:BYTE_0 src1_sel:DWORD
	v_bfrev_b32_e32 v36, 1
	s_and_saveexec_b64 s[16:17], s[18:19]
	s_cbranch_execz .LBB295_202
; %bb.199:                              ;   in Loop: Header=BB295_184 Depth=1
	v_bfe_u32 v19, v17, 16, 7
	v_cmp_ne_u32_e32 vcc, s29, v19
	v_mov_b32_e32 v36, 0x7f800001
	s_and_saveexec_b64 s[18:19], vcc
	s_cbranch_execz .LBB295_201
; %bb.200:                              ;   in Loop: Header=BB295_184 Depth=1
	v_and_b32_e32 v0, 7, v9
	v_ffbh_u32_e32 v32, v0
	v_min_u32_e32 v38, 32, v32
	v_subrev_u32_e32 v32, 28, v38
	v_lshlrev_b64 v[32:33], v32, v[9:10]
	v_lshrrev_b32_e32 v36, 3, v19
	v_sub_u32_e32 v33, 29, v38
	v_and_b32_e32 v32, 7, v32
	v_cmp_gt_u32_e32 vcc, 8, v19
	v_cndmask_b32_e32 v19, v36, v33, vcc
	v_cndmask_b32_e32 v0, v0, v32, vcc
	v_lshlrev_b32_e32 v9, 24, v9
	v_lshlrev_b32_e32 v0, 20, v0
	v_and_b32_e32 v9, 0x80000000, v9
	v_lshl_add_u32 v19, v19, 23, v31
	v_or3_b32 v36, v9, v19, v0
.LBB295_201:                            ;   in Loop: Header=BB295_184 Depth=1
	s_or_b64 exec, exec, s[18:19]
.LBB295_202:                            ;   in Loop: Header=BB295_184 Depth=1
	s_or_b64 exec, exec, s[16:17]
.LBB295_203:                            ;   in Loop: Header=BB295_184 Depth=1
	s_or_b64 exec, exec, s[0:1]
	v_cmp_lt_u32_e32 vcc, s5, v17
	s_and_saveexec_b64 s[0:1], vcc
	s_cbranch_execz .LBB295_209
; %bb.204:                              ;   in Loop: Header=BB295_184 Depth=1
	v_lshrrev_b32_e32 v9, 24, v17
	v_cmp_ne_u32_e32 vcc, s28, v9
	v_bfrev_b32_e32 v35, 1
	s_and_saveexec_b64 s[16:17], vcc
	s_cbranch_execz .LBB295_208
; %bb.205:                              ;   in Loop: Header=BB295_184 Depth=1
	v_bfe_u32 v19, v17, 24, 7
	v_cmp_ne_u32_e32 vcc, s29, v19
	v_mov_b32_e32 v35, 0x7f800001
	s_and_saveexec_b64 s[18:19], vcc
	s_cbranch_execz .LBB295_207
; %bb.206:                              ;   in Loop: Header=BB295_184 Depth=1
	v_and_b32_e32 v0, 7, v9
	v_ffbh_u32_e32 v32, v0
	v_min_u32_e32 v38, 32, v32
	v_subrev_u32_e32 v32, 28, v38
	v_lshlrev_b64 v[32:33], v32, v[9:10]
	v_lshrrev_b32_e32 v35, 3, v19
	v_sub_u32_e32 v33, 29, v38
	v_and_b32_e32 v32, 7, v32
	v_cmp_gt_u32_e32 vcc, 8, v19
	v_cndmask_b32_e32 v19, v35, v33, vcc
	v_cndmask_b32_e32 v0, v0, v32, vcc
	v_lshlrev_b32_e32 v9, 24, v9
	v_lshlrev_b32_e32 v0, 20, v0
	v_and_b32_e32 v9, 0x80000000, v9
	v_lshl_add_u32 v19, v19, 23, v31
	v_or3_b32 v35, v9, v19, v0
.LBB295_207:                            ;   in Loop: Header=BB295_184 Depth=1
	s_or_b64 exec, exec, s[18:19]
.LBB295_208:                            ;   in Loop: Header=BB295_184 Depth=1
	s_or_b64 exec, exec, s[16:17]
.LBB295_209:                            ;   in Loop: Header=BB295_184 Depth=1
	s_or_b64 exec, exec, s[0:1]
	v_mov_b32_e32 v9, v18
	v_cmp_ne_u16_sdwa s[16:17], v18, v10 src0_sel:BYTE_0 src1_sel:DWORD
	v_mov_b32_e32 v32, 0
	v_mov_b32_e32 v33, 0
	s_and_saveexec_b64 s[0:1], s[16:17]
	s_cbranch_execz .LBB295_215
; %bb.210:                              ;   in Loop: Header=BB295_184 Depth=1
	v_cmp_ne_u16_sdwa s[18:19], v18, s28 src0_sel:BYTE_0 src1_sel:DWORD
	v_bfrev_b32_e32 v33, 1
	s_and_saveexec_b64 s[16:17], s[18:19]
	s_cbranch_execz .LBB295_214
; %bb.211:                              ;   in Loop: Header=BB295_184 Depth=1
	v_and_b32_e32 v19, 0x7f, v18
	v_cmp_ne_u32_e32 vcc, s29, v19
	v_mov_b32_e32 v33, 0x7f800001
	s_and_saveexec_b64 s[18:19], vcc
	s_cbranch_execz .LBB295_213
; %bb.212:                              ;   in Loop: Header=BB295_184 Depth=1
	v_and_b32_e32 v0, 7, v18
	v_ffbh_u32_e32 v0, v0
	v_min_u32_e32 v0, 32, v0
	v_subrev_u32_e32 v38, 28, v0
	v_cmp_gt_u32_e32 vcc, 8, v19
	v_lshrrev_b32_e32 v33, 3, v19
	v_cndmask_b32_e32 v19, 0, v38, vcc
	v_lshlrev_b64 v[38:39], v19, v[9:10]
	v_sub_u32_e32 v0, 29, v0
	v_cndmask_b32_e32 v0, v33, v0, vcc
	v_lshlrev_b32_e32 v19, 20, v38
	v_lshlrev_b32_e32 v33, 24, v9
	v_and_b32_e32 v19, 0x700000, v19
	v_and_b32_e32 v33, 0x80000000, v33
	v_lshl_add_u32 v0, v0, 23, v31
	v_or3_b32 v33, v33, v0, v19
.LBB295_213:                            ;   in Loop: Header=BB295_184 Depth=1
	s_or_b64 exec, exec, s[18:19]
.LBB295_214:                            ;   in Loop: Header=BB295_184 Depth=1
	s_or_b64 exec, exec, s[16:17]
.LBB295_215:                            ;   in Loop: Header=BB295_184 Depth=1
	s_or_b64 exec, exec, s[0:1]
	v_lshrrev_b16_e32 v19, 8, v9
	v_cmp_ne_u16_e32 vcc, 0, v19
	s_and_saveexec_b64 s[0:1], vcc
	s_cbranch_execz .LBB295_221
; %bb.216:                              ;   in Loop: Header=BB295_184 Depth=1
	v_cmp_ne_u16_e32 vcc, s28, v19
	v_bfrev_b32_e32 v32, 1
	s_and_saveexec_b64 s[16:17], vcc
	s_cbranch_execz .LBB295_220
; %bb.217:                              ;   in Loop: Header=BB295_184 Depth=1
	v_and_b32_e32 v38, 0x7f, v19
	v_cmp_ne_u32_e32 vcc, s29, v38
	v_mov_b32_e32 v32, 0x7f800001
	s_and_saveexec_b64 s[18:19], vcc
	s_cbranch_execz .LBB295_219
; %bb.218:                              ;   in Loop: Header=BB295_184 Depth=1
	v_and_b32_e32 v0, 7, v19
	v_ffbh_u32_e32 v39, v0
	v_min_u32_e32 v41, 32, v39
	v_subrev_u32_e32 v39, 28, v41
	v_lshlrev_b64 v[39:40], v39, v[19:20]
	v_lshrrev_b32_e32 v32, 3, v38
	v_sub_u32_e32 v19, 29, v41
	v_and_b32_e32 v39, 7, v39
	v_cmp_gt_u32_e32 vcc, 8, v38
	v_cndmask_b32_e32 v19, v32, v19, vcc
	v_cndmask_b32_e32 v0, v0, v39, vcc
	v_lshlrev_b32_e32 v9, 16, v9
	v_lshlrev_b32_e32 v0, 20, v0
	v_and_b32_e32 v9, 0x80000000, v9
	v_lshl_add_u32 v19, v19, 23, v31
	v_or3_b32 v32, v9, v19, v0
.LBB295_219:                            ;   in Loop: Header=BB295_184 Depth=1
	s_or_b64 exec, exec, s[18:19]
.LBB295_220:                            ;   in Loop: Header=BB295_184 Depth=1
	s_or_b64 exec, exec, s[16:17]
.LBB295_221:                            ;   in Loop: Header=BB295_184 Depth=1
	s_or_b64 exec, exec, s[0:1]
	v_lshrrev_b32_e32 v9, 16, v18
	v_cmp_ne_u16_sdwa s[16:17], v9, v10 src0_sel:BYTE_0 src1_sel:DWORD
	v_mov_b32_e32 v19, 0
	v_mov_b32_e32 v41, 0
	s_and_saveexec_b64 s[0:1], s[16:17]
	s_cbranch_execz .LBB295_227
; %bb.222:                              ;   in Loop: Header=BB295_184 Depth=1
	v_cmp_ne_u16_sdwa s[18:19], v9, s28 src0_sel:BYTE_0 src1_sel:DWORD
	v_bfrev_b32_e32 v41, 1
	s_and_saveexec_b64 s[16:17], s[18:19]
	s_cbranch_execz .LBB295_226
; %bb.223:                              ;   in Loop: Header=BB295_184 Depth=1
	v_bfe_u32 v38, v18, 16, 7
	v_cmp_ne_u32_e32 vcc, s29, v38
	v_mov_b32_e32 v41, 0x7f800001
	s_and_saveexec_b64 s[18:19], vcc
	s_cbranch_execz .LBB295_225
; %bb.224:                              ;   in Loop: Header=BB295_184 Depth=1
	v_and_b32_e32 v0, 7, v9
	v_ffbh_u32_e32 v39, v0
	v_min_u32_e32 v42, 32, v39
	v_subrev_u32_e32 v39, 28, v42
	v_lshlrev_b64 v[39:40], v39, v[9:10]
	v_lshrrev_b32_e32 v41, 3, v38
	v_sub_u32_e32 v40, 29, v42
	v_and_b32_e32 v39, 7, v39
	v_cmp_gt_u32_e32 vcc, 8, v38
	v_cndmask_b32_e32 v38, v41, v40, vcc
	v_cndmask_b32_e32 v0, v0, v39, vcc
	v_lshlrev_b32_e32 v9, 24, v9
	v_lshlrev_b32_e32 v0, 20, v0
	v_and_b32_e32 v9, 0x80000000, v9
	v_lshl_add_u32 v38, v38, 23, v31
	v_or3_b32 v41, v9, v38, v0
.LBB295_225:                            ;   in Loop: Header=BB295_184 Depth=1
	s_or_b64 exec, exec, s[18:19]
.LBB295_226:                            ;   in Loop: Header=BB295_184 Depth=1
	s_or_b64 exec, exec, s[16:17]
.LBB295_227:                            ;   in Loop: Header=BB295_184 Depth=1
	s_or_b64 exec, exec, s[0:1]
	v_cmp_lt_u64_e32 vcc, s[4:5], v[17:18]
	s_and_saveexec_b64 s[0:1], vcc
	s_cbranch_execz .LBB295_233
; %bb.228:                              ;   in Loop: Header=BB295_184 Depth=1
	v_lshrrev_b32_e32 v9, 24, v18
	v_cmp_ne_u32_e32 vcc, s28, v9
	v_bfrev_b32_e32 v19, 1
	s_and_saveexec_b64 s[16:17], vcc
	s_cbranch_execz .LBB295_232
; %bb.229:                              ;   in Loop: Header=BB295_184 Depth=1
	v_bfe_u32 v17, v18, 24, 7
	v_cmp_ne_u32_e32 vcc, s29, v17
	v_mov_b32_e32 v19, 0x7f800001
	s_and_saveexec_b64 s[18:19], vcc
	s_cbranch_execz .LBB295_231
; %bb.230:                              ;   in Loop: Header=BB295_184 Depth=1
	v_and_b32_e32 v0, 7, v9
	v_ffbh_u32_e32 v18, v0
	v_min_u32_e32 v39, 32, v18
	v_subrev_u32_e32 v18, 28, v39
	v_lshlrev_b64 v[18:19], v18, v[9:10]
	v_lshrrev_b32_e32 v38, 3, v17
	v_sub_u32_e32 v19, 29, v39
	v_and_b32_e32 v18, 7, v18
	v_cmp_gt_u32_e32 vcc, 8, v17
	v_cndmask_b32_e32 v17, v38, v19, vcc
	v_cndmask_b32_e32 v0, v0, v18, vcc
	v_lshlrev_b32_e32 v9, 24, v9
	v_lshlrev_b32_e32 v0, 20, v0
	v_and_b32_e32 v9, 0x80000000, v9
	v_lshl_add_u32 v17, v17, 23, v31
	v_or3_b32 v19, v9, v17, v0
.LBB295_231:                            ;   in Loop: Header=BB295_184 Depth=1
	s_or_b64 exec, exec, s[18:19]
.LBB295_232:                            ;   in Loop: Header=BB295_184 Depth=1
	s_or_b64 exec, exec, s[16:17]
.LBB295_233:                            ;   in Loop: Header=BB295_184 Depth=1
	s_or_b64 exec, exec, s[0:1]
	s_waitcnt lgkmcnt(0)
	v_mul_f32_e32 v0, s31, v32
	v_bfe_u32 v9, v0, 16, 1
	v_add3_u32 v9, v9, v0, s30
	v_or_b32_e32 v17, 0x400000, v0
	v_cmp_u_f32_e64 s[0:1], v0, v0
	v_cndmask_b32_e64 v0, v9, v17, s[0:1]
	v_lshrrev_b32_e32 v32, 16, v0
	v_mul_f32_e32 v0, s31, v33
	v_bfe_u32 v9, v0, 16, 1
	v_add3_u32 v9, v9, v0, s30
	v_or_b32_e32 v17, 0x400000, v0
	v_cmp_u_f32_e64 s[0:1], v0, v0
	v_cndmask_b32_e64 v0, v9, v17, s[0:1]
	v_lshrrev_b32_e32 v33, 16, v0
	;; [unrolled: 7-line block ×7, first 2 shown]
	v_mul_f32_e32 v0, s31, v19
	v_bfe_u32 v9, v0, 16, 1
	v_add3_u32 v9, v9, v0, s30
	v_or_b32_e32 v17, 0x400000, v0
	v_cmp_u_f32_e64 s[0:1], v0, v0
	v_add_u32_e32 v40, v26, v22
	v_cndmask_b32_e64 v0, v9, v17, s[0:1]
	v_cmp_eq_u32_e32 vcc, s35, v21
	v_lshrrev_b32_e32 v37, 16, v0
	v_add_u32_e32 v47, 1, v40
	v_add_u32_e32 v46, 2, v40
	;; [unrolled: 1-line block ×7, first 2 shown]
	s_and_saveexec_b64 s[16:17], vcc
	s_cbranch_execz .LBB295_235
; %bb.234:                              ;   in Loop: Header=BB295_184 Depth=1
	v_cmp_gt_i32_e64 s[0:1], s33, v40
	v_cndmask_b32_e64 v39, 0, v39, s[0:1]
	v_cmp_gt_i32_e64 s[0:1], s33, v47
	v_cndmask_b32_e64 v38, 0, v38, s[0:1]
	;; [unrolled: 2-line block ×8, first 2 shown]
.LBB295_235:                            ;   in Loop: Header=BB295_184 Depth=1
	s_or_b64 exec, exec, s[16:17]
	global_load_dwordx2 v[17:18], v[15:16], off offset:512
	v_mov_b32_e32 v51, 0
	v_mov_b32_e32 v48, 0
	s_waitcnt vmcnt(0)
	v_cmp_ne_u16_sdwa s[0:1], v17, v10 src0_sel:BYTE_0 src1_sel:DWORD
	s_and_saveexec_b64 s[16:17], s[0:1]
	s_cbranch_execz .LBB295_241
; %bb.236:                              ;   in Loop: Header=BB295_184 Depth=1
	v_cmp_ne_u16_sdwa s[0:1], v17, s28 src0_sel:BYTE_0 src1_sel:DWORD
	v_bfrev_b32_e32 v48, 1
	s_and_saveexec_b64 s[18:19], s[0:1]
	s_cbranch_execz .LBB295_240
; %bb.237:                              ;   in Loop: Header=BB295_184 Depth=1
	v_and_b32_e32 v9, 0x7f, v17
	v_cmp_ne_u32_e64 s[0:1], s29, v9
	v_mov_b32_e32 v48, 0x7f800001
	s_and_saveexec_b64 s[20:21], s[0:1]
	s_cbranch_execz .LBB295_239
; %bb.238:                              ;   in Loop: Header=BB295_184 Depth=1
	v_and_b32_e32 v0, 7, v17
	v_ffbh_u32_e32 v0, v0
	v_min_u32_e32 v0, 32, v0
	v_subrev_u32_e32 v48, 28, v0
	v_cmp_gt_u32_e64 s[0:1], 8, v9
	v_lshrrev_b32_e32 v19, 3, v9
	v_cndmask_b32_e64 v9, 0, v48, s[0:1]
	v_lshlrev_b64 v[48:49], v9, v[17:18]
	v_sub_u32_e32 v0, 29, v0
	v_cndmask_b32_e64 v0, v19, v0, s[0:1]
	v_lshlrev_b32_e32 v9, 20, v48
	v_lshlrev_b32_e32 v19, 24, v17
	v_and_b32_e32 v9, 0x700000, v9
	v_and_b32_e32 v19, 0x80000000, v19
	v_lshl_add_u32 v0, v0, 23, v31
	v_or3_b32 v48, v19, v0, v9
.LBB295_239:                            ;   in Loop: Header=BB295_184 Depth=1
	s_or_b64 exec, exec, s[20:21]
.LBB295_240:                            ;   in Loop: Header=BB295_184 Depth=1
	s_or_b64 exec, exec, s[18:19]
.LBB295_241:                            ;   in Loop: Header=BB295_184 Depth=1
	s_or_b64 exec, exec, s[16:17]
	v_lshrrev_b16_e32 v9, 8, v17
	v_cmp_ne_u16_e64 s[0:1], 0, v9
	s_and_saveexec_b64 s[16:17], s[0:1]
	s_cbranch_execz .LBB295_247
; %bb.242:                              ;   in Loop: Header=BB295_184 Depth=1
	v_cmp_ne_u16_e64 s[0:1], s28, v9
	v_bfrev_b32_e32 v51, 1
	s_and_saveexec_b64 s[18:19], s[0:1]
	s_cbranch_execz .LBB295_246
; %bb.243:                              ;   in Loop: Header=BB295_184 Depth=1
	v_and_b32_e32 v19, 0x7f, v9
	v_cmp_ne_u32_e64 s[0:1], s29, v19
	v_mov_b32_e32 v51, 0x7f800001
	s_and_saveexec_b64 s[20:21], s[0:1]
	s_cbranch_execz .LBB295_245
; %bb.244:                              ;   in Loop: Header=BB295_184 Depth=1
	v_and_b32_e32 v0, 7, v9
	v_ffbh_u32_e32 v49, v0
	v_min_u32_e32 v52, 32, v49
	v_subrev_u32_e32 v49, 28, v52
	v_lshlrev_b64 v[49:50], v49, v[9:10]
	v_lshrrev_b32_e32 v51, 3, v19
	v_sub_u32_e32 v9, 29, v52
	v_and_b32_e32 v49, 7, v49
	v_cmp_gt_u32_e64 s[0:1], 8, v19
	v_cndmask_b32_e64 v9, v51, v9, s[0:1]
	v_cndmask_b32_e64 v0, v0, v49, s[0:1]
	v_lshlrev_b32_e32 v19, 16, v17
	v_lshlrev_b32_e32 v0, 20, v0
	v_and_b32_e32 v19, 0x80000000, v19
	v_lshl_add_u32 v9, v9, 23, v31
	v_or3_b32 v51, v19, v9, v0
.LBB295_245:                            ;   in Loop: Header=BB295_184 Depth=1
	s_or_b64 exec, exec, s[20:21]
.LBB295_246:                            ;   in Loop: Header=BB295_184 Depth=1
	s_or_b64 exec, exec, s[18:19]
.LBB295_247:                            ;   in Loop: Header=BB295_184 Depth=1
	s_or_b64 exec, exec, s[16:17]
	v_lshrrev_b32_e32 v9, 16, v17
	v_cmp_ne_u16_sdwa s[0:1], v9, v10 src0_sel:BYTE_0 src1_sel:DWORD
	v_mov_b32_e32 v49, 0
	v_mov_b32_e32 v50, 0
	s_and_saveexec_b64 s[16:17], s[0:1]
	s_cbranch_execz .LBB295_253
; %bb.248:                              ;   in Loop: Header=BB295_184 Depth=1
	v_cmp_ne_u16_sdwa s[0:1], v9, s28 src0_sel:BYTE_0 src1_sel:DWORD
	v_bfrev_b32_e32 v50, 1
	s_and_saveexec_b64 s[18:19], s[0:1]
	s_cbranch_execz .LBB295_252
; %bb.249:                              ;   in Loop: Header=BB295_184 Depth=1
	v_bfe_u32 v19, v17, 16, 7
	v_cmp_ne_u32_e64 s[0:1], s29, v19
	v_mov_b32_e32 v50, 0x7f800001
	s_and_saveexec_b64 s[20:21], s[0:1]
	s_cbranch_execz .LBB295_251
; %bb.250:                              ;   in Loop: Header=BB295_184 Depth=1
	v_and_b32_e32 v0, 7, v9
	v_ffbh_u32_e32 v52, v0
	v_min_u32_e32 v54, 32, v52
	v_subrev_u32_e32 v52, 28, v54
	v_lshlrev_b64 v[52:53], v52, v[9:10]
	v_lshrrev_b32_e32 v50, 3, v19
	v_sub_u32_e32 v53, 29, v54
	v_and_b32_e32 v52, 7, v52
	v_cmp_gt_u32_e64 s[0:1], 8, v19
	v_cndmask_b32_e64 v19, v50, v53, s[0:1]
	v_cndmask_b32_e64 v0, v0, v52, s[0:1]
	v_lshlrev_b32_e32 v9, 24, v9
	v_lshlrev_b32_e32 v0, 20, v0
	v_and_b32_e32 v9, 0x80000000, v9
	v_lshl_add_u32 v19, v19, 23, v31
	v_or3_b32 v50, v9, v19, v0
.LBB295_251:                            ;   in Loop: Header=BB295_184 Depth=1
	s_or_b64 exec, exec, s[20:21]
.LBB295_252:                            ;   in Loop: Header=BB295_184 Depth=1
	s_or_b64 exec, exec, s[18:19]
.LBB295_253:                            ;   in Loop: Header=BB295_184 Depth=1
	s_or_b64 exec, exec, s[16:17]
	v_cmp_lt_u32_e64 s[0:1], s5, v17
	s_and_saveexec_b64 s[16:17], s[0:1]
	s_cbranch_execz .LBB295_259
; %bb.254:                              ;   in Loop: Header=BB295_184 Depth=1
	v_lshrrev_b32_e32 v9, 24, v17
	v_cmp_ne_u32_e64 s[0:1], s28, v9
	v_bfrev_b32_e32 v49, 1
	s_and_saveexec_b64 s[18:19], s[0:1]
	s_cbranch_execz .LBB295_258
; %bb.255:                              ;   in Loop: Header=BB295_184 Depth=1
	v_bfe_u32 v19, v17, 24, 7
	v_cmp_ne_u32_e64 s[0:1], s29, v19
	v_mov_b32_e32 v49, 0x7f800001
	s_and_saveexec_b64 s[20:21], s[0:1]
	s_cbranch_execz .LBB295_257
; %bb.256:                              ;   in Loop: Header=BB295_184 Depth=1
	v_and_b32_e32 v0, 7, v9
	v_ffbh_u32_e32 v52, v0
	v_min_u32_e32 v54, 32, v52
	v_subrev_u32_e32 v52, 28, v54
	v_lshlrev_b64 v[52:53], v52, v[9:10]
	v_lshrrev_b32_e32 v49, 3, v19
	v_sub_u32_e32 v53, 29, v54
	v_and_b32_e32 v52, 7, v52
	v_cmp_gt_u32_e64 s[0:1], 8, v19
	v_cndmask_b32_e64 v19, v49, v53, s[0:1]
	v_cndmask_b32_e64 v0, v0, v52, s[0:1]
	v_lshlrev_b32_e32 v9, 24, v9
	v_lshlrev_b32_e32 v0, 20, v0
	v_and_b32_e32 v9, 0x80000000, v9
	v_lshl_add_u32 v19, v19, 23, v31
	v_or3_b32 v49, v9, v19, v0
.LBB295_257:                            ;   in Loop: Header=BB295_184 Depth=1
	s_or_b64 exec, exec, s[20:21]
.LBB295_258:                            ;   in Loop: Header=BB295_184 Depth=1
	s_or_b64 exec, exec, s[18:19]
.LBB295_259:                            ;   in Loop: Header=BB295_184 Depth=1
	s_or_b64 exec, exec, s[16:17]
	v_mov_b32_e32 v9, v18
	v_cmp_ne_u16_sdwa s[0:1], v18, v10 src0_sel:BYTE_0 src1_sel:DWORD
	v_mov_b32_e32 v53, 0
	v_mov_b32_e32 v52, 0
	s_and_saveexec_b64 s[16:17], s[0:1]
	s_cbranch_execz .LBB295_265
; %bb.260:                              ;   in Loop: Header=BB295_184 Depth=1
	v_cmp_ne_u16_sdwa s[0:1], v18, s28 src0_sel:BYTE_0 src1_sel:DWORD
	v_bfrev_b32_e32 v52, 1
	s_and_saveexec_b64 s[18:19], s[0:1]
	s_cbranch_execz .LBB295_264
; %bb.261:                              ;   in Loop: Header=BB295_184 Depth=1
	v_and_b32_e32 v19, 0x7f, v18
	v_cmp_ne_u32_e64 s[0:1], s29, v19
	v_mov_b32_e32 v52, 0x7f800001
	s_and_saveexec_b64 s[20:21], s[0:1]
	s_cbranch_execz .LBB295_263
; %bb.262:                              ;   in Loop: Header=BB295_184 Depth=1
	v_and_b32_e32 v0, 7, v18
	v_ffbh_u32_e32 v0, v0
	v_min_u32_e32 v0, 32, v0
	v_subrev_u32_e32 v54, 28, v0
	v_cmp_gt_u32_e64 s[0:1], 8, v19
	v_lshrrev_b32_e32 v52, 3, v19
	v_cndmask_b32_e64 v19, 0, v54, s[0:1]
	v_lshlrev_b64 v[54:55], v19, v[9:10]
	v_sub_u32_e32 v0, 29, v0
	v_cndmask_b32_e64 v0, v52, v0, s[0:1]
	v_lshlrev_b32_e32 v19, 20, v54
	v_lshlrev_b32_e32 v52, 24, v9
	v_and_b32_e32 v19, 0x700000, v19
	v_and_b32_e32 v52, 0x80000000, v52
	v_lshl_add_u32 v0, v0, 23, v31
	v_or3_b32 v52, v52, v0, v19
.LBB295_263:                            ;   in Loop: Header=BB295_184 Depth=1
	s_or_b64 exec, exec, s[20:21]
.LBB295_264:                            ;   in Loop: Header=BB295_184 Depth=1
	s_or_b64 exec, exec, s[18:19]
.LBB295_265:                            ;   in Loop: Header=BB295_184 Depth=1
	s_or_b64 exec, exec, s[16:17]
	v_lshrrev_b16_e32 v19, 8, v9
	v_cmp_ne_u16_e64 s[0:1], 0, v19
	s_and_saveexec_b64 s[16:17], s[0:1]
	s_cbranch_execz .LBB295_271
; %bb.266:                              ;   in Loop: Header=BB295_184 Depth=1
	v_cmp_ne_u16_e64 s[0:1], s28, v19
	v_bfrev_b32_e32 v53, 1
	s_and_saveexec_b64 s[18:19], s[0:1]
	s_cbranch_execz .LBB295_270
; %bb.267:                              ;   in Loop: Header=BB295_184 Depth=1
	v_and_b32_e32 v54, 0x7f, v19
	v_cmp_ne_u32_e64 s[0:1], s29, v54
	v_mov_b32_e32 v53, 0x7f800001
	s_and_saveexec_b64 s[20:21], s[0:1]
	s_cbranch_execz .LBB295_269
; %bb.268:                              ;   in Loop: Header=BB295_184 Depth=1
	v_and_b32_e32 v0, 7, v19
	v_ffbh_u32_e32 v55, v0
	v_min_u32_e32 v57, 32, v55
	v_subrev_u32_e32 v55, 28, v57
	v_lshlrev_b64 v[55:56], v55, v[19:20]
	v_lshrrev_b32_e32 v53, 3, v54
	v_sub_u32_e32 v19, 29, v57
	v_and_b32_e32 v55, 7, v55
	v_cmp_gt_u32_e64 s[0:1], 8, v54
	v_cndmask_b32_e64 v19, v53, v19, s[0:1]
	v_cndmask_b32_e64 v0, v0, v55, s[0:1]
	v_lshlrev_b32_e32 v9, 16, v9
	v_lshlrev_b32_e32 v0, 20, v0
	v_and_b32_e32 v9, 0x80000000, v9
	v_lshl_add_u32 v19, v19, 23, v31
	v_or3_b32 v53, v9, v19, v0
.LBB295_269:                            ;   in Loop: Header=BB295_184 Depth=1
	s_or_b64 exec, exec, s[20:21]
.LBB295_270:                            ;   in Loop: Header=BB295_184 Depth=1
	s_or_b64 exec, exec, s[18:19]
.LBB295_271:                            ;   in Loop: Header=BB295_184 Depth=1
	s_or_b64 exec, exec, s[16:17]
	v_lshrrev_b32_e32 v9, 16, v18
	v_cmp_ne_u16_sdwa s[0:1], v9, v10 src0_sel:BYTE_0 src1_sel:DWORD
	v_mov_b32_e32 v54, 0
	v_mov_b32_e32 v55, 0
	s_and_saveexec_b64 s[16:17], s[0:1]
	s_cbranch_execz .LBB295_277
; %bb.272:                              ;   in Loop: Header=BB295_184 Depth=1
	v_cmp_ne_u16_sdwa s[0:1], v9, s28 src0_sel:BYTE_0 src1_sel:DWORD
	v_bfrev_b32_e32 v55, 1
	s_and_saveexec_b64 s[18:19], s[0:1]
	s_cbranch_execz .LBB295_276
; %bb.273:                              ;   in Loop: Header=BB295_184 Depth=1
	v_bfe_u32 v19, v18, 16, 7
	v_cmp_ne_u32_e64 s[0:1], s29, v19
	v_mov_b32_e32 v55, 0x7f800001
	s_and_saveexec_b64 s[20:21], s[0:1]
	s_cbranch_execz .LBB295_275
; %bb.274:                              ;   in Loop: Header=BB295_184 Depth=1
	v_and_b32_e32 v0, 7, v9
	v_ffbh_u32_e32 v55, v0
	v_min_u32_e32 v58, 32, v55
	v_subrev_u32_e32 v55, 28, v58
	v_lshlrev_b64 v[55:56], v55, v[9:10]
	v_lshrrev_b32_e32 v57, 3, v19
	v_sub_u32_e32 v56, 29, v58
	v_and_b32_e32 v55, 7, v55
	v_cmp_gt_u32_e64 s[0:1], 8, v19
	v_cndmask_b32_e64 v19, v57, v56, s[0:1]
	v_cndmask_b32_e64 v0, v0, v55, s[0:1]
	v_lshlrev_b32_e32 v9, 24, v9
	v_lshlrev_b32_e32 v0, 20, v0
	v_and_b32_e32 v9, 0x80000000, v9
	v_lshl_add_u32 v19, v19, 23, v31
	v_or3_b32 v55, v9, v19, v0
.LBB295_275:                            ;   in Loop: Header=BB295_184 Depth=1
	s_or_b64 exec, exec, s[20:21]
.LBB295_276:                            ;   in Loop: Header=BB295_184 Depth=1
	s_or_b64 exec, exec, s[18:19]
.LBB295_277:                            ;   in Loop: Header=BB295_184 Depth=1
	s_or_b64 exec, exec, s[16:17]
	v_cmp_lt_u64_e64 s[0:1], s[4:5], v[17:18]
	s_and_saveexec_b64 s[16:17], s[0:1]
	s_cbranch_execz .LBB295_283
; %bb.278:                              ;   in Loop: Header=BB295_184 Depth=1
	v_lshrrev_b32_e32 v9, 24, v18
	v_cmp_ne_u32_e64 s[0:1], s28, v9
	v_bfrev_b32_e32 v54, 1
	s_and_saveexec_b64 s[18:19], s[0:1]
	s_cbranch_execz .LBB295_282
; %bb.279:                              ;   in Loop: Header=BB295_184 Depth=1
	v_bfe_u32 v17, v18, 24, 7
	v_cmp_ne_u32_e64 s[0:1], s29, v17
	v_mov_b32_e32 v54, 0x7f800001
	s_and_saveexec_b64 s[20:21], s[0:1]
	s_cbranch_execz .LBB295_281
; %bb.280:                              ;   in Loop: Header=BB295_184 Depth=1
	v_and_b32_e32 v0, 7, v9
	v_ffbh_u32_e32 v18, v0
	v_min_u32_e32 v56, 32, v18
	v_subrev_u32_e32 v18, 28, v56
	v_lshlrev_b64 v[18:19], v18, v[9:10]
	v_lshrrev_b32_e32 v54, 3, v17
	v_sub_u32_e32 v19, 29, v56
	v_and_b32_e32 v18, 7, v18
	v_cmp_gt_u32_e64 s[0:1], 8, v17
	v_cndmask_b32_e64 v17, v54, v19, s[0:1]
	v_cndmask_b32_e64 v0, v0, v18, s[0:1]
	v_lshlrev_b32_e32 v9, 24, v9
	v_lshlrev_b32_e32 v0, 20, v0
	v_and_b32_e32 v9, 0x80000000, v9
	v_lshl_add_u32 v17, v17, 23, v31
	v_or3_b32 v54, v9, v17, v0
.LBB295_281:                            ;   in Loop: Header=BB295_184 Depth=1
	s_or_b64 exec, exec, s[20:21]
.LBB295_282:                            ;   in Loop: Header=BB295_184 Depth=1
	s_or_b64 exec, exec, s[18:19]
.LBB295_283:                            ;   in Loop: Header=BB295_184 Depth=1
	s_or_b64 exec, exec, s[16:17]
	v_mul_f32_e32 v0, s31, v53
	v_bfe_u32 v9, v0, 16, 1
	v_add3_u32 v9, v9, v0, s30
	v_or_b32_e32 v17, 0x400000, v0
	v_cmp_u_f32_e64 s[0:1], v0, v0
	v_cndmask_b32_e64 v0, v9, v17, s[0:1]
	v_lshrrev_b32_e32 v18, 16, v0
	v_mul_f32_e32 v0, s31, v52
	v_bfe_u32 v9, v0, 16, 1
	v_add3_u32 v9, v9, v0, s30
	v_or_b32_e32 v17, 0x400000, v0
	v_cmp_u_f32_e64 s[0:1], v0, v0
	v_cndmask_b32_e64 v0, v9, v17, s[0:1]
	v_lshrrev_b32_e32 v19, 16, v0
	;; [unrolled: 7-line block ×8, first 2 shown]
	s_and_saveexec_b64 s[16:17], vcc
	s_cbranch_execz .LBB295_285
; %bb.284:                              ;   in Loop: Header=BB295_184 Depth=1
	v_cmp_gt_i32_e64 s[0:1], s33, v40
	v_cndmask_b32_e64 v53, 0, v53, s[0:1]
	v_cmp_gt_i32_e64 s[0:1], s33, v47
	v_cndmask_b32_e64 v52, 0, v52, s[0:1]
	;; [unrolled: 2-line block ×8, first 2 shown]
.LBB295_285:                            ;   in Loop: Header=BB295_184 Depth=1
	s_or_b64 exec, exec, s[16:17]
	global_load_dwordx2 v[15:16], v[15:16], off offset:1024
	v_mov_b32_e32 v55, 0
	v_mov_b32_e32 v54, 0
	s_waitcnt vmcnt(0)
	v_cmp_ne_u16_sdwa s[0:1], v15, v10 src0_sel:BYTE_0 src1_sel:DWORD
	s_and_saveexec_b64 s[16:17], s[0:1]
	s_cbranch_execz .LBB295_291
; %bb.286:                              ;   in Loop: Header=BB295_184 Depth=1
	v_cmp_ne_u16_sdwa s[0:1], v15, s28 src0_sel:BYTE_0 src1_sel:DWORD
	v_bfrev_b32_e32 v54, 1
	s_and_saveexec_b64 s[18:19], s[0:1]
	s_cbranch_execz .LBB295_290
; %bb.287:                              ;   in Loop: Header=BB295_184 Depth=1
	v_and_b32_e32 v9, 0x7f, v15
	v_cmp_ne_u32_e64 s[0:1], s29, v9
	v_mov_b32_e32 v54, 0x7f800001
	s_and_saveexec_b64 s[20:21], s[0:1]
	s_cbranch_execz .LBB295_289
; %bb.288:                              ;   in Loop: Header=BB295_184 Depth=1
	v_and_b32_e32 v0, 7, v15
	v_ffbh_u32_e32 v0, v0
	v_min_u32_e32 v0, 32, v0
	v_subrev_u32_e32 v54, 28, v0
	v_cmp_gt_u32_e64 s[0:1], 8, v9
	v_lshrrev_b32_e32 v17, 3, v9
	v_cndmask_b32_e64 v9, 0, v54, s[0:1]
	v_lshlrev_b64 v[56:57], v9, v[15:16]
	v_sub_u32_e32 v0, 29, v0
	v_cndmask_b32_e64 v0, v17, v0, s[0:1]
	v_lshlrev_b32_e32 v9, 20, v56
	v_lshlrev_b32_e32 v17, 24, v15
	v_and_b32_e32 v9, 0x700000, v9
	v_and_b32_e32 v17, 0x80000000, v17
	v_lshl_add_u32 v0, v0, 23, v31
	v_or3_b32 v54, v17, v0, v9
.LBB295_289:                            ;   in Loop: Header=BB295_184 Depth=1
	s_or_b64 exec, exec, s[20:21]
.LBB295_290:                            ;   in Loop: Header=BB295_184 Depth=1
	s_or_b64 exec, exec, s[18:19]
.LBB295_291:                            ;   in Loop: Header=BB295_184 Depth=1
	s_or_b64 exec, exec, s[16:17]
	v_lshrrev_b16_e32 v9, 8, v15
	v_cmp_ne_u16_e64 s[0:1], 0, v9
	s_and_saveexec_b64 s[16:17], s[0:1]
	s_cbranch_execz .LBB295_297
; %bb.292:                              ;   in Loop: Header=BB295_184 Depth=1
	v_cmp_ne_u16_e64 s[0:1], s28, v9
	v_bfrev_b32_e32 v55, 1
	s_and_saveexec_b64 s[18:19], s[0:1]
	s_cbranch_execz .LBB295_296
; %bb.293:                              ;   in Loop: Header=BB295_184 Depth=1
	v_and_b32_e32 v17, 0x7f, v9
	v_cmp_ne_u32_e64 s[0:1], s29, v17
	v_mov_b32_e32 v55, 0x7f800001
	s_and_saveexec_b64 s[20:21], s[0:1]
	s_cbranch_execz .LBB295_295
; %bb.294:                              ;   in Loop: Header=BB295_184 Depth=1
	v_and_b32_e32 v0, 7, v9
	v_ffbh_u32_e32 v55, v0
	v_min_u32_e32 v58, 32, v55
	v_subrev_u32_e32 v55, 28, v58
	v_lshlrev_b64 v[55:56], v55, v[9:10]
	v_lshrrev_b32_e32 v57, 3, v17
	v_sub_u32_e32 v9, 29, v58
	v_and_b32_e32 v55, 7, v55
	v_cmp_gt_u32_e64 s[0:1], 8, v17
	v_cndmask_b32_e64 v9, v57, v9, s[0:1]
	v_cndmask_b32_e64 v0, v0, v55, s[0:1]
	v_lshlrev_b32_e32 v17, 16, v15
	v_lshlrev_b32_e32 v0, 20, v0
	v_and_b32_e32 v17, 0x80000000, v17
	v_lshl_add_u32 v9, v9, 23, v31
	v_or3_b32 v55, v17, v9, v0
.LBB295_295:                            ;   in Loop: Header=BB295_184 Depth=1
	s_or_b64 exec, exec, s[20:21]
.LBB295_296:                            ;   in Loop: Header=BB295_184 Depth=1
	s_or_b64 exec, exec, s[18:19]
.LBB295_297:                            ;   in Loop: Header=BB295_184 Depth=1
	s_or_b64 exec, exec, s[16:17]
	v_lshrrev_b32_e32 v9, 16, v15
	v_cmp_ne_u16_sdwa s[0:1], v9, v10 src0_sel:BYTE_0 src1_sel:DWORD
	v_mov_b32_e32 v57, 0
	v_mov_b32_e32 v56, 0
	s_and_saveexec_b64 s[16:17], s[0:1]
	s_cbranch_execz .LBB295_303
; %bb.298:                              ;   in Loop: Header=BB295_184 Depth=1
	v_cmp_ne_u16_sdwa s[0:1], v9, s28 src0_sel:BYTE_0 src1_sel:DWORD
	v_bfrev_b32_e32 v56, 1
	s_and_saveexec_b64 s[18:19], s[0:1]
	s_cbranch_execz .LBB295_302
; %bb.299:                              ;   in Loop: Header=BB295_184 Depth=1
	v_bfe_u32 v17, v15, 16, 7
	v_cmp_ne_u32_e64 s[0:1], s29, v17
	v_mov_b32_e32 v56, 0x7f800001
	s_and_saveexec_b64 s[20:21], s[0:1]
	s_cbranch_execz .LBB295_301
; %bb.300:                              ;   in Loop: Header=BB295_184 Depth=1
	v_and_b32_e32 v0, 7, v9
	v_ffbh_u32_e32 v58, v0
	v_min_u32_e32 v60, 32, v58
	v_subrev_u32_e32 v58, 28, v60
	v_lshlrev_b64 v[58:59], v58, v[9:10]
	v_lshrrev_b32_e32 v56, 3, v17
	v_sub_u32_e32 v59, 29, v60
	v_and_b32_e32 v58, 7, v58
	v_cmp_gt_u32_e64 s[0:1], 8, v17
	v_cndmask_b32_e64 v17, v56, v59, s[0:1]
	v_cndmask_b32_e64 v0, v0, v58, s[0:1]
	v_lshlrev_b32_e32 v9, 24, v9
	v_lshlrev_b32_e32 v0, 20, v0
	v_and_b32_e32 v9, 0x80000000, v9
	v_lshl_add_u32 v17, v17, 23, v31
	v_or3_b32 v56, v9, v17, v0
.LBB295_301:                            ;   in Loop: Header=BB295_184 Depth=1
	s_or_b64 exec, exec, s[20:21]
.LBB295_302:                            ;   in Loop: Header=BB295_184 Depth=1
	s_or_b64 exec, exec, s[18:19]
.LBB295_303:                            ;   in Loop: Header=BB295_184 Depth=1
	s_or_b64 exec, exec, s[16:17]
	v_cmp_lt_u32_e64 s[0:1], s5, v15
	s_and_saveexec_b64 s[16:17], s[0:1]
	s_cbranch_execz .LBB295_309
; %bb.304:                              ;   in Loop: Header=BB295_184 Depth=1
	v_lshrrev_b32_e32 v9, 24, v15
	v_cmp_ne_u32_e64 s[0:1], s28, v9
	v_bfrev_b32_e32 v57, 1
	s_and_saveexec_b64 s[18:19], s[0:1]
	s_cbranch_execz .LBB295_308
; %bb.305:                              ;   in Loop: Header=BB295_184 Depth=1
	v_bfe_u32 v17, v15, 24, 7
	v_cmp_ne_u32_e64 s[0:1], s29, v17
	v_mov_b32_e32 v57, 0x7f800001
	s_and_saveexec_b64 s[20:21], s[0:1]
	s_cbranch_execz .LBB295_307
; %bb.306:                              ;   in Loop: Header=BB295_184 Depth=1
	v_and_b32_e32 v0, 7, v9
	v_ffbh_u32_e32 v57, v0
	v_min_u32_e32 v60, 32, v57
	v_subrev_u32_e32 v57, 28, v60
	v_lshlrev_b64 v[57:58], v57, v[9:10]
	v_lshrrev_b32_e32 v59, 3, v17
	v_sub_u32_e32 v58, 29, v60
	v_and_b32_e32 v57, 7, v57
	v_cmp_gt_u32_e64 s[0:1], 8, v17
	v_cndmask_b32_e64 v17, v59, v58, s[0:1]
	v_cndmask_b32_e64 v0, v0, v57, s[0:1]
	v_lshlrev_b32_e32 v9, 24, v9
	v_lshlrev_b32_e32 v0, 20, v0
	v_and_b32_e32 v9, 0x80000000, v9
	v_lshl_add_u32 v17, v17, 23, v31
	v_or3_b32 v57, v9, v17, v0
.LBB295_307:                            ;   in Loop: Header=BB295_184 Depth=1
	s_or_b64 exec, exec, s[20:21]
.LBB295_308:                            ;   in Loop: Header=BB295_184 Depth=1
	s_or_b64 exec, exec, s[18:19]
.LBB295_309:                            ;   in Loop: Header=BB295_184 Depth=1
	s_or_b64 exec, exec, s[16:17]
	v_mov_b32_e32 v9, v16
	v_cmp_ne_u16_sdwa s[0:1], v16, v10 src0_sel:BYTE_0 src1_sel:DWORD
	v_mov_b32_e32 v59, 0
	v_mov_b32_e32 v58, 0
	s_and_saveexec_b64 s[16:17], s[0:1]
	s_cbranch_execz .LBB295_315
; %bb.310:                              ;   in Loop: Header=BB295_184 Depth=1
	v_cmp_ne_u16_sdwa s[0:1], v16, s28 src0_sel:BYTE_0 src1_sel:DWORD
	v_bfrev_b32_e32 v58, 1
	s_and_saveexec_b64 s[18:19], s[0:1]
	s_cbranch_execz .LBB295_314
; %bb.311:                              ;   in Loop: Header=BB295_184 Depth=1
	v_and_b32_e32 v17, 0x7f, v16
	v_cmp_ne_u32_e64 s[0:1], s29, v17
	v_mov_b32_e32 v58, 0x7f800001
	s_and_saveexec_b64 s[20:21], s[0:1]
	s_cbranch_execz .LBB295_313
; %bb.312:                              ;   in Loop: Header=BB295_184 Depth=1
	v_and_b32_e32 v0, 7, v16
	v_ffbh_u32_e32 v0, v0
	v_min_u32_e32 v0, 32, v0
	v_subrev_u32_e32 v60, 28, v0
	v_cmp_gt_u32_e64 s[0:1], 8, v17
	v_lshrrev_b32_e32 v58, 3, v17
	v_cndmask_b32_e64 v17, 0, v60, s[0:1]
	v_lshlrev_b64 v[60:61], v17, v[9:10]
	v_sub_u32_e32 v0, 29, v0
	v_cndmask_b32_e64 v0, v58, v0, s[0:1]
	v_lshlrev_b32_e32 v17, 20, v60
	v_lshlrev_b32_e32 v58, 24, v9
	v_and_b32_e32 v17, 0x700000, v17
	v_and_b32_e32 v58, 0x80000000, v58
	v_lshl_add_u32 v0, v0, 23, v31
	v_or3_b32 v58, v58, v0, v17
.LBB295_313:                            ;   in Loop: Header=BB295_184 Depth=1
	s_or_b64 exec, exec, s[20:21]
.LBB295_314:                            ;   in Loop: Header=BB295_184 Depth=1
	s_or_b64 exec, exec, s[18:19]
.LBB295_315:                            ;   in Loop: Header=BB295_184 Depth=1
	s_or_b64 exec, exec, s[16:17]
	v_lshrrev_b16_e32 v17, 8, v9
	v_cmp_ne_u16_e64 s[0:1], 0, v17
	s_and_saveexec_b64 s[16:17], s[0:1]
	s_cbranch_execz .LBB295_321
; %bb.316:                              ;   in Loop: Header=BB295_184 Depth=1
	v_cmp_ne_u16_e64 s[0:1], s28, v17
	v_bfrev_b32_e32 v59, 1
	s_and_saveexec_b64 s[18:19], s[0:1]
	s_cbranch_execz .LBB295_320
; %bb.317:                              ;   in Loop: Header=BB295_184 Depth=1
	v_and_b32_e32 v60, 0x7f, v17
	v_cmp_ne_u32_e64 s[0:1], s29, v60
	v_mov_b32_e32 v59, 0x7f800001
	s_and_saveexec_b64 s[20:21], s[0:1]
	s_cbranch_execz .LBB295_319
; %bb.318:                              ;   in Loop: Header=BB295_184 Depth=1
	v_and_b32_e32 v0, 7, v17
	v_ffbh_u32_e32 v59, v0
	v_min_u32_e32 v62, 32, v59
	v_subrev_u32_e32 v59, 28, v62
	v_lshrrev_b32_e32 v61, 3, v60
	v_cmp_gt_u32_e64 s[0:1], 8, v60
	v_lshlrev_b64 v[59:60], v59, v[17:18]
	v_sub_u32_e32 v17, 29, v62
	v_and_b32_e32 v59, 7, v59
	v_cndmask_b32_e64 v17, v61, v17, s[0:1]
	v_cndmask_b32_e64 v0, v0, v59, s[0:1]
	v_lshlrev_b32_e32 v9, 16, v9
	v_lshlrev_b32_e32 v0, 20, v0
	v_and_b32_e32 v9, 0x80000000, v9
	v_lshl_add_u32 v17, v17, 23, v31
	v_or3_b32 v59, v9, v17, v0
.LBB295_319:                            ;   in Loop: Header=BB295_184 Depth=1
	s_or_b64 exec, exec, s[20:21]
.LBB295_320:                            ;   in Loop: Header=BB295_184 Depth=1
	s_or_b64 exec, exec, s[18:19]
.LBB295_321:                            ;   in Loop: Header=BB295_184 Depth=1
	s_or_b64 exec, exec, s[16:17]
	v_lshrrev_b32_e32 v9, 16, v16
	v_cmp_ne_u16_sdwa s[0:1], v9, v10 src0_sel:BYTE_0 src1_sel:DWORD
	v_mov_b32_e32 v60, 0
	v_mov_b32_e32 v17, 0
	s_and_saveexec_b64 s[16:17], s[0:1]
	s_cbranch_execz .LBB295_327
; %bb.322:                              ;   in Loop: Header=BB295_184 Depth=1
	v_cmp_ne_u16_sdwa s[0:1], v9, s28 src0_sel:BYTE_0 src1_sel:DWORD
	v_bfrev_b32_e32 v17, 1
	s_and_saveexec_b64 s[18:19], s[0:1]
	s_cbranch_execz .LBB295_326
; %bb.323:                              ;   in Loop: Header=BB295_184 Depth=1
	v_bfe_u32 v61, v16, 16, 7
	v_cmp_ne_u32_e64 s[0:1], s29, v61
	v_mov_b32_e32 v17, 0x7f800001
	s_and_saveexec_b64 s[20:21], s[0:1]
	s_cbranch_execz .LBB295_325
; %bb.324:                              ;   in Loop: Header=BB295_184 Depth=1
	v_and_b32_e32 v0, 7, v9
	v_lshrrev_b32_e32 v17, 3, v61
	v_cmp_gt_u32_e64 s[0:1], 8, v61
	v_ffbh_u32_e32 v61, v0
	v_min_u32_e32 v63, 32, v61
	v_subrev_u32_e32 v61, 28, v63
	v_lshlrev_b64 v[61:62], v61, v[9:10]
	v_sub_u32_e32 v62, 29, v63
	v_and_b32_e32 v61, 7, v61
	v_cndmask_b32_e64 v17, v17, v62, s[0:1]
	v_cndmask_b32_e64 v0, v0, v61, s[0:1]
	v_lshlrev_b32_e32 v9, 24, v9
	v_lshlrev_b32_e32 v0, 20, v0
	v_and_b32_e32 v9, 0x80000000, v9
	v_lshl_add_u32 v17, v17, 23, v31
	v_or3_b32 v17, v9, v17, v0
.LBB295_325:                            ;   in Loop: Header=BB295_184 Depth=1
	s_or_b64 exec, exec, s[20:21]
.LBB295_326:                            ;   in Loop: Header=BB295_184 Depth=1
	s_or_b64 exec, exec, s[18:19]
.LBB295_327:                            ;   in Loop: Header=BB295_184 Depth=1
	s_or_b64 exec, exec, s[16:17]
	v_cmp_lt_u64_e64 s[0:1], s[4:5], v[15:16]
	s_and_saveexec_b64 s[16:17], s[0:1]
	s_cbranch_execz .LBB295_333
; %bb.328:                              ;   in Loop: Header=BB295_184 Depth=1
	v_lshrrev_b32_e32 v9, 24, v16
	v_cmp_ne_u32_e64 s[0:1], s28, v9
	v_bfrev_b32_e32 v60, 1
	s_and_saveexec_b64 s[18:19], s[0:1]
	s_cbranch_execz .LBB295_332
; %bb.329:                              ;   in Loop: Header=BB295_184 Depth=1
	v_bfe_u32 v15, v16, 24, 7
	v_cmp_ne_u32_e64 s[0:1], s29, v15
	v_mov_b32_e32 v60, 0x7f800001
	s_and_saveexec_b64 s[20:21], s[0:1]
	s_cbranch_execz .LBB295_331
; %bb.330:                              ;   in Loop: Header=BB295_184 Depth=1
	v_and_b32_e32 v0, 7, v9
	v_lshrrev_b32_e32 v60, 3, v15
	v_cmp_gt_u32_e64 s[0:1], 8, v15
	v_ffbh_u32_e32 v15, v0
	v_min_u32_e32 v61, 32, v15
	v_subrev_u32_e32 v15, 28, v61
	v_lshlrev_b64 v[15:16], v15, v[9:10]
	v_sub_u32_e32 v16, 29, v61
	v_and_b32_e32 v15, 7, v15
	v_cndmask_b32_e64 v16, v60, v16, s[0:1]
	v_cndmask_b32_e64 v0, v0, v15, s[0:1]
	v_lshlrev_b32_e32 v9, 24, v9
	v_lshlrev_b32_e32 v0, 20, v0
	v_and_b32_e32 v9, 0x80000000, v9
	v_lshl_add_u32 v15, v16, 23, v31
	v_or3_b32 v60, v9, v15, v0
.LBB295_331:                            ;   in Loop: Header=BB295_184 Depth=1
	s_or_b64 exec, exec, s[20:21]
.LBB295_332:                            ;   in Loop: Header=BB295_184 Depth=1
	s_or_b64 exec, exec, s[18:19]
.LBB295_333:                            ;   in Loop: Header=BB295_184 Depth=1
	s_or_b64 exec, exec, s[16:17]
	v_mul_f32_e32 v0, s31, v59
	v_bfe_u32 v9, v0, 16, 1
	v_add3_u32 v9, v9, v0, s30
	v_or_b32_e32 v15, 0x400000, v0
	v_cmp_u_f32_e64 s[0:1], v0, v0
	v_cndmask_b32_e64 v0, v9, v15, s[0:1]
	v_lshrrev_b32_e32 v9, 16, v0
	v_mul_f32_e32 v0, s31, v58
	v_bfe_u32 v15, v0, 16, 1
	v_add3_u32 v15, v15, v0, s30
	v_or_b32_e32 v16, 0x400000, v0
	v_cmp_u_f32_e64 s[0:1], v0, v0
	v_cndmask_b32_e64 v0, v15, v16, s[0:1]
	v_lshrrev_b32_e32 v15, 16, v0
	;; [unrolled: 7-line block ×8, first 2 shown]
	s_and_saveexec_b64 s[0:1], vcc
	s_cbranch_execz .LBB295_182
; %bb.334:                              ;   in Loop: Header=BB295_184 Depth=1
	v_cmp_gt_i32_e32 vcc, s33, v40
	v_cndmask_b32_e32 v57, 0, v57, vcc
	v_cmp_gt_i32_e32 vcc, s33, v47
	v_cndmask_b32_e32 v55, 0, v55, vcc
	;; [unrolled: 2-line block ×8, first 2 shown]
	s_branch .LBB295_182
.LBB295_335:
	s_or_b64 exec, exec, s[6:7]
	buffer_load_dword v13, off, s[56:59], 0 offset:16 ; 4-byte Folded Reload
.LBB295_336:
	s_or_b64 exec, exec, s[2:3]
	ds_bpermute_b32 v1, v23, v29
	ds_bpermute_b32 v4, v23, v27
	;; [unrolled: 1-line block ×3, first 2 shown]
	s_waitcnt vmcnt(0) lgkmcnt(0)
	s_barrier
	v_add_f32_e32 v2, v29, v1
	v_add_f32_e32 v1, v27, v4
	v_and_b32_e32 v4, 0x3c1, v13
	v_add_f32_e32 v3, v28, v0
	v_cmp_eq_u32_e32 vcc, 64, v4
	s_and_saveexec_b64 s[0:1], vcc
	s_cbranch_execz .LBB295_338
; %bb.337:
	v_mov_b32_e32 v0, 0xd0
	v_lshl_add_u32 v0, v20, 1, v0
	ds_write2_b32 v0, v3, v2 offset1:32
	ds_write_b32 v0, v1 offset:256
.LBB295_338:
	s_or_b64 exec, exec, s[0:1]
	v_cmp_gt_u32_e32 vcc, 64, v13
	v_lshrrev_b32_e32 v0, 1, v13
	s_waitcnt lgkmcnt(0)
	s_barrier
	s_and_saveexec_b64 s[0:1], vcc
	s_cbranch_execz .LBB295_344
; %bb.339:
	v_mov_b32_e32 v5, 0xd0
	v_cmp_eq_u32_e32 vcc, 0, v24
	v_lshl_add_u32 v5, v0, 2, v5
	s_and_saveexec_b64 s[2:3], vcc
	s_cbranch_execnz .LBB295_347
; %bb.340:
	s_or_b64 exec, exec, s[2:3]
	s_and_saveexec_b64 s[2:3], vcc
	s_cbranch_execnz .LBB295_348
.LBB295_341:
	s_or_b64 exec, exec, s[2:3]
	s_and_saveexec_b64 s[2:3], vcc
	s_cbranch_execz .LBB295_343
.LBB295_342:
	ds_read_b32 v5, v5 offset:256
	s_waitcnt lgkmcnt(0)
	v_add_f32_e32 v1, v1, v5
.LBB295_343:
	s_or_b64 exec, exec, s[2:3]
.LBB295_344:
	s_or_b64 exec, exec, s[0:1]
	v_cmp_eq_u32_e32 vcc, 0, v4
	s_barrier
	s_and_saveexec_b64 s[0:1], vcc
	s_cbranch_execz .LBB295_346
; %bb.345:
	s_mul_i32 s0, s10, s11
	s_mul_i32 s0, s0, s9
	s_mulk_i32 s0, 0x60
	s_ashr_i32 s1, s0, 31
	s_lshl_b64 s[0:1], s[0:1], 1
	s_add_u32 s2, s26, s0
	s_mul_i32 s0, s11, s24
	s_addc_u32 s3, s27, s1
	s_ashr_i32 s1, s0, 31
	s_lshl_b64 s[0:1], s[0:1], 1
	s_add_u32 s2, s2, s0
	s_mul_i32 s0, s8, 0x60
	s_addc_u32 s3, s3, s1
	s_ashr_i32 s1, s0, 31
	s_lshl_b64 s[0:1], s[0:1], 1
	s_add_u32 s0, s2, s0
	v_bfe_u32 v4, v3, 16, 1
	s_movk_i32 s2, 0x7fff
	v_add3_u32 v4, v4, v3, s2
	v_or_b32_e32 v5, 0x400000, v3
	v_cmp_u_f32_e32 vcc, v3, v3
	s_addc_u32 s1, s3, s1
	v_lshlrev_b32_e32 v0, 1, v0
	v_cndmask_b32_e32 v3, v4, v5, vcc
	global_store_short_d16_hi v0, v3, s[0:1]
	v_bfe_u32 v3, v2, 16, 1
	v_add3_u32 v3, v3, v2, s2
	v_or_b32_e32 v4, 0x400000, v2
	v_cmp_u_f32_e32 vcc, v2, v2
	v_cndmask_b32_e32 v2, v3, v4, vcc
	global_store_short_d16_hi v0, v2, s[0:1] offset:64
	v_bfe_u32 v2, v1, 16, 1
	v_add3_u32 v2, v2, v1, s2
	v_or_b32_e32 v3, 0x400000, v1
	v_cmp_u_f32_e32 vcc, v1, v1
	v_cndmask_b32_e32 v1, v2, v3, vcc
	global_store_short_d16_hi v0, v1, s[0:1] offset:128
.LBB295_346:
	s_endpgm
.LBB295_347:
	ds_read_b32 v6, v5
	s_waitcnt lgkmcnt(0)
	v_add_f32_e32 v3, v3, v6
	s_or_b64 exec, exec, s[2:3]
	s_and_saveexec_b64 s[2:3], vcc
	s_cbranch_execz .LBB295_341
.LBB295_348:
	ds_read_b32 v6, v5 offset:128
	s_waitcnt lgkmcnt(0)
	v_add_f32_e32 v2, v2, v6
	s_or_b64 exec, exec, s[2:3]
	s_and_saveexec_b64 s[2:3], vcc
	s_cbranch_execnz .LBB295_342
	s_branch .LBB295_343
	.section	.rodata,"a",@progbits
	.p2align	6, 0x0
	.amdhsa_kernel _ZN4vllm25paged_attention_v1_kernelI14__hip_bfloat16hLi96ELi16ELi128ELNS_18Fp8KVCacheDataTypeE1ELb1EEEvPT_PKS3_PKT0_S9_ifPKiSB_iPKfiiiSD_SD_iiiii
		.amdhsa_group_segment_fixed_size 208
		.amdhsa_private_segment_fixed_size 28
		.amdhsa_kernarg_size 384
		.amdhsa_user_sgpr_count 6
		.amdhsa_user_sgpr_private_segment_buffer 1
		.amdhsa_user_sgpr_dispatch_ptr 0
		.amdhsa_user_sgpr_queue_ptr 0
		.amdhsa_user_sgpr_kernarg_segment_ptr 1
		.amdhsa_user_sgpr_dispatch_id 0
		.amdhsa_user_sgpr_flat_scratch_init 0
		.amdhsa_user_sgpr_private_segment_size 0
		.amdhsa_uses_dynamic_stack 0
		.amdhsa_system_sgpr_private_segment_wavefront_offset 1
		.amdhsa_system_sgpr_workgroup_id_x 1
		.amdhsa_system_sgpr_workgroup_id_y 1
		.amdhsa_system_sgpr_workgroup_id_z 1
		.amdhsa_system_sgpr_workgroup_info 0
		.amdhsa_system_vgpr_workitem_id 0
		.amdhsa_next_free_vgpr 64
		.amdhsa_next_free_sgpr 60
		.amdhsa_reserve_vcc 1
		.amdhsa_reserve_flat_scratch 0
		.amdhsa_float_round_mode_32 0
		.amdhsa_float_round_mode_16_64 0
		.amdhsa_float_denorm_mode_32 3
		.amdhsa_float_denorm_mode_16_64 3
		.amdhsa_dx10_clamp 1
		.amdhsa_ieee_mode 1
		.amdhsa_fp16_overflow 0
		.amdhsa_exception_fp_ieee_invalid_op 0
		.amdhsa_exception_fp_denorm_src 0
		.amdhsa_exception_fp_ieee_div_zero 0
		.amdhsa_exception_fp_ieee_overflow 0
		.amdhsa_exception_fp_ieee_underflow 0
		.amdhsa_exception_fp_ieee_inexact 0
		.amdhsa_exception_int_div_zero 0
	.end_amdhsa_kernel
	.section	.text._ZN4vllm25paged_attention_v1_kernelI14__hip_bfloat16hLi96ELi16ELi128ELNS_18Fp8KVCacheDataTypeE1ELb1EEEvPT_PKS3_PKT0_S9_ifPKiSB_iPKfiiiSD_SD_iiiii,"axG",@progbits,_ZN4vllm25paged_attention_v1_kernelI14__hip_bfloat16hLi96ELi16ELi128ELNS_18Fp8KVCacheDataTypeE1ELb1EEEvPT_PKS3_PKT0_S9_ifPKiSB_iPKfiiiSD_SD_iiiii,comdat
.Lfunc_end295:
	.size	_ZN4vllm25paged_attention_v1_kernelI14__hip_bfloat16hLi96ELi16ELi128ELNS_18Fp8KVCacheDataTypeE1ELb1EEEvPT_PKS3_PKT0_S9_ifPKiSB_iPKfiiiSD_SD_iiiii, .Lfunc_end295-_ZN4vllm25paged_attention_v1_kernelI14__hip_bfloat16hLi96ELi16ELi128ELNS_18Fp8KVCacheDataTypeE1ELb1EEEvPT_PKS3_PKT0_S9_ifPKiSB_iPKfiiiSD_SD_iiiii
                                        ; -- End function
	.set _ZN4vllm25paged_attention_v1_kernelI14__hip_bfloat16hLi96ELi16ELi128ELNS_18Fp8KVCacheDataTypeE1ELb1EEEvPT_PKS3_PKT0_S9_ifPKiSB_iPKfiiiSD_SD_iiiii.num_vgpr, 64
	.set _ZN4vllm25paged_attention_v1_kernelI14__hip_bfloat16hLi96ELi16ELi128ELNS_18Fp8KVCacheDataTypeE1ELb1EEEvPT_PKS3_PKT0_S9_ifPKiSB_iPKfiiiSD_SD_iiiii.num_agpr, 0
	.set _ZN4vllm25paged_attention_v1_kernelI14__hip_bfloat16hLi96ELi16ELi128ELNS_18Fp8KVCacheDataTypeE1ELb1EEEvPT_PKS3_PKT0_S9_ifPKiSB_iPKfiiiSD_SD_iiiii.numbered_sgpr, 60
	.set _ZN4vllm25paged_attention_v1_kernelI14__hip_bfloat16hLi96ELi16ELi128ELNS_18Fp8KVCacheDataTypeE1ELb1EEEvPT_PKS3_PKT0_S9_ifPKiSB_iPKfiiiSD_SD_iiiii.num_named_barrier, 0
	.set _ZN4vllm25paged_attention_v1_kernelI14__hip_bfloat16hLi96ELi16ELi128ELNS_18Fp8KVCacheDataTypeE1ELb1EEEvPT_PKS3_PKT0_S9_ifPKiSB_iPKfiiiSD_SD_iiiii.private_seg_size, 28
	.set _ZN4vllm25paged_attention_v1_kernelI14__hip_bfloat16hLi96ELi16ELi128ELNS_18Fp8KVCacheDataTypeE1ELb1EEEvPT_PKS3_PKT0_S9_ifPKiSB_iPKfiiiSD_SD_iiiii.uses_vcc, 1
	.set _ZN4vllm25paged_attention_v1_kernelI14__hip_bfloat16hLi96ELi16ELi128ELNS_18Fp8KVCacheDataTypeE1ELb1EEEvPT_PKS3_PKT0_S9_ifPKiSB_iPKfiiiSD_SD_iiiii.uses_flat_scratch, 0
	.set _ZN4vllm25paged_attention_v1_kernelI14__hip_bfloat16hLi96ELi16ELi128ELNS_18Fp8KVCacheDataTypeE1ELb1EEEvPT_PKS3_PKT0_S9_ifPKiSB_iPKfiiiSD_SD_iiiii.has_dyn_sized_stack, 0
	.set _ZN4vllm25paged_attention_v1_kernelI14__hip_bfloat16hLi96ELi16ELi128ELNS_18Fp8KVCacheDataTypeE1ELb1EEEvPT_PKS3_PKT0_S9_ifPKiSB_iPKfiiiSD_SD_iiiii.has_recursion, 0
	.set _ZN4vllm25paged_attention_v1_kernelI14__hip_bfloat16hLi96ELi16ELi128ELNS_18Fp8KVCacheDataTypeE1ELb1EEEvPT_PKS3_PKT0_S9_ifPKiSB_iPKfiiiSD_SD_iiiii.has_indirect_call, 0
	.section	.AMDGPU.csdata,"",@progbits
; Kernel info:
; codeLenInByte = 16936
; TotalNumSgprs: 64
; NumVgprs: 64
; ScratchSize: 28
; MemoryBound: 0
; FloatMode: 240
; IeeeMode: 1
; LDSByteSize: 208 bytes/workgroup (compile time only)
; SGPRBlocks: 7
; VGPRBlocks: 15
; NumSGPRsForWavesPerEU: 64
; NumVGPRsForWavesPerEU: 64
; Occupancy: 4
; WaveLimiterHint : 1
; COMPUTE_PGM_RSRC2:SCRATCH_EN: 1
; COMPUTE_PGM_RSRC2:USER_SGPR: 6
; COMPUTE_PGM_RSRC2:TRAP_HANDLER: 0
; COMPUTE_PGM_RSRC2:TGID_X_EN: 1
; COMPUTE_PGM_RSRC2:TGID_Y_EN: 1
; COMPUTE_PGM_RSRC2:TGID_Z_EN: 1
; COMPUTE_PGM_RSRC2:TIDIG_COMP_CNT: 0
	.section	.text._ZN4vllm25paged_attention_v1_kernelI14__hip_bfloat16hLi112ELi16ELi128ELNS_18Fp8KVCacheDataTypeE1ELb1EEEvPT_PKS3_PKT0_S9_ifPKiSB_iPKfiiiSD_SD_iiiii,"axG",@progbits,_ZN4vllm25paged_attention_v1_kernelI14__hip_bfloat16hLi112ELi16ELi128ELNS_18Fp8KVCacheDataTypeE1ELb1EEEvPT_PKS3_PKT0_S9_ifPKiSB_iPKfiiiSD_SD_iiiii,comdat
	.protected	_ZN4vllm25paged_attention_v1_kernelI14__hip_bfloat16hLi112ELi16ELi128ELNS_18Fp8KVCacheDataTypeE1ELb1EEEvPT_PKS3_PKT0_S9_ifPKiSB_iPKfiiiSD_SD_iiiii ; -- Begin function _ZN4vllm25paged_attention_v1_kernelI14__hip_bfloat16hLi112ELi16ELi128ELNS_18Fp8KVCacheDataTypeE1ELb1EEEvPT_PKS3_PKT0_S9_ifPKiSB_iPKfiiiSD_SD_iiiii
	.globl	_ZN4vllm25paged_attention_v1_kernelI14__hip_bfloat16hLi112ELi16ELi128ELNS_18Fp8KVCacheDataTypeE1ELb1EEEvPT_PKS3_PKT0_S9_ifPKiSB_iPKfiiiSD_SD_iiiii
	.p2align	8
	.type	_ZN4vllm25paged_attention_v1_kernelI14__hip_bfloat16hLi112ELi16ELi128ELNS_18Fp8KVCacheDataTypeE1ELb1EEEvPT_PKS3_PKT0_S9_ifPKiSB_iPKfiiiSD_SD_iiiii,@function
_ZN4vllm25paged_attention_v1_kernelI14__hip_bfloat16hLi112ELi16ELi128ELNS_18Fp8KVCacheDataTypeE1ELb1EEEvPT_PKS3_PKT0_S9_ifPKiSB_iPKfiiiSD_SD_iiiii: ; @_ZN4vllm25paged_attention_v1_kernelI14__hip_bfloat16hLi112ELi16ELi128ELNS_18Fp8KVCacheDataTypeE1ELb1EEEvPT_PKS3_PKT0_S9_ifPKiSB_iPKfiiiSD_SD_iiiii
; %bb.0:
	s_mov_b64 s[58:59], s[2:3]
	s_mov_b64 s[56:57], s[0:1]
	s_add_u32 s56, s56, s9
	s_load_dword s9, s[4:5], 0x80
	s_load_dwordx2 s[0:1], s[4:5], 0x30
	s_load_dwordx2 s[36:37], s[4:5], 0x20
	s_addc_u32 s57, s57, 0
	s_mov_b32 s10, s7
	s_ashr_i32 s11, s7, 31
	s_lshl_b64 s[2:3], s[10:11], 2
	s_waitcnt lgkmcnt(0)
	s_add_u32 s0, s0, s2
	s_addc_u32 s1, s1, s3
	s_abs_i32 s2, s36
	v_mov_b32_e32 v14, v0
	v_cvt_f32_u32_e32 v0, s2
	s_sub_i32 s11, 0, s2
	s_abs_i32 s7, s9
	s_xor_b32 s3, s9, s36
	v_rcp_iflag_f32_e32 v0, v0
	s_ashr_i32 s3, s3, 31
	s_mov_b32 s49, 0
	v_mul_f32_e32 v0, 0x4f7ffffe, v0
	v_cvt_u32_f32_e32 v0, v0
	v_readfirstlane_b32 s12, v0
	s_mul_i32 s11, s11, s12
	s_mul_hi_u32 s11, s12, s11
	s_add_i32 s12, s12, s11
	s_mul_hi_u32 s11, s7, s12
	s_mul_i32 s12, s11, s2
	s_sub_i32 s7, s7, s12
	s_add_i32 s12, s11, 1
	s_sub_i32 s13, s7, s2
	s_cmp_ge_u32 s7, s2
	s_cselect_b32 s11, s12, s11
	s_cselect_b32 s7, s13, s7
	s_add_i32 s12, s11, 1
	s_cmp_ge_u32 s7, s2
	s_cselect_b32 s2, s12, s11
	s_xor_b32 s2, s2, s3
	s_sub_i32 s14, s2, s3
	s_abs_i32 s11, s14
	v_cvt_f32_u32_e32 v0, s11
	s_load_dwordx2 s[2:3], s[4:5], 0x40
	s_sub_i32 s7, 0, s11
	s_abs_i32 s12, s6
	v_rcp_iflag_f32_e32 v0, v0
	v_mul_f32_e32 v0, 0x4f7ffffe, v0
	v_cvt_u32_f32_e32 v0, v0
	v_readfirstlane_b32 s13, v0
	s_mul_i32 s7, s7, s13
	s_mul_hi_u32 s7, s13, s7
	s_add_i32 s13, s13, s7
	s_waitcnt lgkmcnt(0)
	s_cmp_eq_u64 s[2:3], 0
	s_mul_hi_u32 s13, s12, s13
	s_cbranch_scc1 .LBB296_2
; %bb.1:
	s_ashr_i32 s7, s6, 31
	s_lshl_b64 s[16:17], s[6:7], 2
	s_add_u32 s2, s2, s16
	s_addc_u32 s3, s3, s17
	s_load_dword s49, s[2:3], 0x0
.LBB296_2:
	s_load_dword s33, s[0:1], 0x0
	s_load_dwordx4 s[16:19], s[4:5], 0x48
	s_ashr_i32 s2, s6, 31
	s_ashr_i32 s7, s14, 31
	v_and_b32_e32 v0, 3, v14
	s_mul_i32 s24, s6, 0x70
	v_cmp_gt_u32_e32 vcc, 56, v14
	s_and_saveexec_b64 s[0:1], vcc
	s_cbranch_execz .LBB296_4
; %bb.3:
	s_load_dwordx2 s[14:15], s[4:5], 0x8
	s_waitcnt lgkmcnt(0)
	s_mul_i32 s20, s16, s10
	s_ashr_i32 s21, s20, 31
	s_lshl_b64 s[20:21], s[20:21], 1
	v_lshlrev_b32_e32 v1, 2, v14
	s_add_u32 s3, s14, s20
	s_addc_u32 s16, s15, s21
	s_ashr_i32 s25, s24, 31
	s_lshl_b64 s[14:15], s[24:25], 1
	s_add_u32 s14, s3, s14
	s_addc_u32 s15, s16, s15
	global_load_dword v1, v1, s[14:15]
	v_and_b32_e32 v2, 0x3fc, v14
	v_mad_u32_u24 v2, v0, 56, v2
	s_waitcnt vmcnt(0)
	ds_write_b32 v2, v1
.LBB296_4:
	s_or_b64 exec, exec, s[0:1]
	s_mul_i32 s1, s13, s11
	s_sub_i32 s1, s12, s1
	s_xor_b32 s0, s2, s7
	s_add_i32 s2, s13, 1
	s_sub_i32 s7, s1, s11
	s_load_dwordx4 s[20:23], s[4:5], 0x68
	s_load_dword s3, s[4:5], 0x78
	s_cmp_ge_u32 s1, s11
	s_cselect_b32 s2, s2, s13
	s_cselect_b32 s1, s7, s1
	s_add_i32 s7, s2, 1
	s_cmp_ge_u32 s1, s11
	s_cselect_b32 s1, s7, s2
	s_waitcnt lgkmcnt(0)
	s_abs_i32 s25, s23
	v_cvt_f32_u32_e32 v1, s25
	s_xor_b32 s1, s1, s0
	s_sub_i32 s2, s1, s0
	s_sub_i32 s0, 0, s25
	v_rcp_iflag_f32_e32 v1, v1
	s_add_i32 s11, s33, -1
	s_abs_i32 s7, s11
	v_mul_f32_e32 v1, 0x4f7ffffe, v1
	v_cvt_u32_f32_e32 v1, v1
	s_barrier
	v_readfirstlane_b32 s46, v1
	s_mul_i32 s0, s0, s46
	s_mul_hi_u32 s0, s46, s0
	s_add_i32 s46, s46, s0
	s_cmp_lt_i32 s3, 0
	s_mul_hi_u32 s16, s7, s46
	s_cbranch_scc0 .LBB296_6
; %bb.5:
	s_mul_i32 s0, s20, s36
	s_add_i32 s0, s2, s0
	s_mul_i32 s0, s0, s3
	s_sub_i32 s36, 1, s0
	s_mov_b64 s[0:1], 0
	s_branch .LBB296_7
.LBB296_6:
	s_mov_b64 s[0:1], -1
                                        ; implicit-def: $sgpr36
.LBB296_7:
	s_load_dwordx2 s[28:29], s[4:5], 0x28
	s_ashr_i32 s19, s11, 31
	s_andn2_b64 vcc, exec, s[0:1]
	s_ashr_i32 s47, s23, 31
	s_cbranch_vccnz .LBB296_9
; %bb.8:
	s_mul_i32 s0, s9, s20
	s_add_i32 s0, s0, s6
	s_mul_i32 s0, s0, s3
	s_add_i32 s36, s0, 1
.LBB296_9:
	s_load_dword s0, s[4:5], 0x38
	s_load_dwordx2 s[26:27], s[4:5], 0x0
	s_load_dwordx2 s[34:35], s[4:5], 0x18
	s_load_dword s11, s[4:5], 0x88
	s_load_dwordx4 s[12:15], s[4:5], 0x58
	s_mul_i32 s1, s16, s25
	s_waitcnt lgkmcnt(0)
	s_mul_i32 s30, s0, s10
	s_sub_i32 s1, s7, s1
	s_ashr_i32 s31, s30, 31
	s_xor_b32 s0, s19, s47
	s_add_i32 s3, s16, 1
	s_sub_i32 s6, s1, s25
	s_cmp_ge_u32 s1, s25
	s_cselect_b32 s3, s3, s16
	s_cselect_b32 s1, s6, s1
	s_add_i32 s6, s3, 1
	s_cmp_ge_u32 s1, s25
	s_cselect_b32 s1, s6, s3
	s_xor_b32 s1, s1, s0
	s_sub_i32 s16, s1, s0
	s_add_i32 s0, s33, 15
	s_ashr_i32 s1, s0, 31
	s_lshr_b32 s1, s1, 28
	s_add_i32 s0, s0, s1
	s_ashr_i32 s48, s0, 4
	v_lshrrev_b32_e32 v23, 6, v14
	v_cmp_le_i32_e64 s[0:1], s48, v23
	v_cmp_gt_i32_e32 vcc, s48, v23
	v_mov_b32_e32 v4, 0xff7fffff
	s_mul_i32 s20, s2, s18
	v_lshrrev_b32_e32 v15, 4, v14
	v_lshlrev_b32_e32 v24, 4, v23
	v_mbcnt_lo_u32_b32 v5, -1, 0
	s_and_saveexec_b64 s[18:19], vcc
	s_cbranch_execz .LBB296_189
; %bb.10:
	s_load_dwordx2 s[2:3], s[4:5], 0x10
	s_sub_i32 s23, s16, s21
	s_ashr_i32 s4, s20, 31
	v_cmp_eq_u32_e32 vcc, 0, v0
	v_lshlrev_b32_e32 v2, 1, v0
	s_waitcnt lgkmcnt(0)
	s_add_u32 s5, s2, s20
	s_addc_u32 s4, s3, s4
	s_abs_i32 s50, s22
	v_cvt_f32_u32_e32 v1, s50
	v_mul_u32_u24_e32 v0, 56, v0
	s_sub_i32 s2, 0, s50
	buffer_store_dword v0, off, s[56:59], 0 offset:28 ; 4-byte Folded Spill
	v_rcp_iflag_f32_e32 v1, v1
	v_bfe_u32 v6, v14, 2, 4
	v_lshlrev_b32_e32 v3, 4, v6
	v_mov_b32_e32 v4, s4
	v_mul_f32_e32 v1, 0x4f7ffffe, v1
	v_cvt_u32_f32_e32 v1, v1
	v_add_co_u32_e64 v3, s[4:5], s5, v3
	v_addc_co_u32_e64 v4, s[4:5], 0, v4, s[4:5]
	v_mul_lo_u32 v0, s2, v1
	buffer_store_dword v14, off, s[56:59], 0 offset:40 ; 4-byte Folded Spill
	s_mov_b32 s51, s17
	v_cmp_neq_f32_e64 s[2:3], s49, 0
	v_mul_hi_u32 v0, v1, v0
	v_lshlrev_b32_e32 v31, 4, v23
	s_mov_b64 s[38:39], 0
	s_movk_i32 s52, 0x80
	v_add_u32_e32 v0, v1, v0
	buffer_store_dword v0, off, s[56:59], 0 ; 4-byte Folded Spill
	v_add_co_u32_e64 v0, s[4:5], v3, v2
	v_addc_co_u32_e64 v1, s[4:5], 0, v4, s[4:5]
	s_lshl_b64 s[4:5], s[30:31], 2
	buffer_store_dword v0, off, s[56:59], 0 offset:16 ; 4-byte Folded Spill
	s_nop 0
	buffer_store_dword v1, off, s[56:59], 0 offset:20 ; 4-byte Folded Spill
	buffer_store_dword v15, off, s[56:59], 0 offset:44 ; 4-byte Folded Spill
	s_add_u32 s4, s28, s4
	v_and_b32_e32 v0, 60, v15
	s_addc_u32 s5, s29, s5
	v_mov_b32_e32 v1, s5
	v_add_co_u32_e64 v15, s[4:5], s4, v0
	v_subrev_u32_e32 v0, s33, v6
	v_add_u32_e32 v0, 1, v0
	buffer_store_dword v0, off, s[56:59], 0 offset:36 ; 4-byte Folded Spill
	buffer_store_dword v6, off, s[56:59], 0 offset:32 ; 4-byte Folded Spill
	v_lshlrev_b32_e32 v0, 2, v6
	v_lshl_or_b32 v0, v23, 6, v0
	v_add_u32_e32 v33, 0xf0, v0
	v_mbcnt_hi_u32_b32 v0, -1, v5
	v_addc_co_u32_e64 v16, s[4:5], 0, v1, s[4:5]
	s_movk_i32 s53, 0x7f
	s_movk_i32 s54, 0x7fff
	v_mov_b32_e32 v34, 0
	buffer_store_dword v0, off, s[56:59], 0 offset:24 ; 4-byte Folded Spill
	v_mov_b32_e32 v0, 0xff7fffff
	v_mov_b32_e32 v37, v23
	buffer_store_dword v0, off, s[56:59], 0 offset:12 ; 4-byte Folded Spill
	s_branch .LBB296_13
.LBB296_11:                             ;   in Loop: Header=BB296_13 Depth=1
	s_or_b64 exec, exec, s[40:41]
.LBB296_12:                             ;   in Loop: Header=BB296_13 Depth=1
	s_or_b64 exec, exec, s[6:7]
	v_add_co_u32_e64 v15, s[4:5], 8, v15
	v_add_u32_e32 v37, 2, v37
	v_addc_co_u32_e64 v16, s[4:5], 0, v16, s[4:5]
	v_cmp_le_i32_e64 s[4:5], s48, v37
	v_add_u32_e32 v31, 32, v31
	s_or_b64 s[38:39], s[4:5], s[38:39]
	v_add_u32_e32 v33, 0x80, v33
	s_andn2_b64 exec, exec, s[38:39]
	s_cbranch_execz .LBB296_188
.LBB296_13:                             ; =>This Inner Loop Header: Depth=1
	buffer_load_dword v3, off, s[56:59], 0  ; 4-byte Folded Reload
	v_mul_hi_u32 v0, v31, s46
	s_waitcnt lgkmcnt(0)
	v_mul_lo_u32 v1, v0, s25
	v_add_u32_e32 v2, 1, v0
	v_sub_u32_e32 v1, v31, v1
	v_cmp_le_u32_e64 s[4:5], s25, v1
	v_cndmask_b32_e64 v0, v0, v2, s[4:5]
	v_subrev_u32_e32 v2, s25, v1
	v_cndmask_b32_e64 v1, v1, v2, s[4:5]
	v_add_u32_e32 v2, 1, v0
	v_cmp_le_u32_e64 s[4:5], s25, v1
	v_cndmask_b32_e64 v0, v0, v2, s[4:5]
	v_xor_b32_e32 v0, s47, v0
	v_subrev_u32_e32 v0, s47, v0
	v_add_u32_e32 v1, s36, v0
	v_sub_u32_e32 v2, 0, v1
	v_max_i32_e32 v2, v1, v2
	v_ashrrev_i32_e32 v1, 31, v1
	v_cmp_ge_i32_e64 s[6:7], s23, v0
	s_waitcnt vmcnt(0)
	v_mul_hi_u32 v3, v2, v3
	v_mul_lo_u32 v3, v3, s50
	v_sub_u32_e32 v2, v2, v3
	v_subrev_u32_e32 v3, s50, v2
	v_cmp_le_u32_e64 s[4:5], s50, v2
	v_cndmask_b32_e64 v2, v2, v3, s[4:5]
	v_subrev_u32_e32 v3, s50, v2
	v_cmp_le_u32_e64 s[4:5], s50, v2
	v_cndmask_b32_e64 v2, v2, v3, s[4:5]
	v_xor_b32_e32 v2, v2, v1
	v_sub_u32_e32 v1, v2, v1
	v_cmp_ne_u32_e64 s[4:5], 0, v1
	s_and_b64 s[4:5], s[4:5], s[6:7]
	s_and_saveexec_b64 s[6:7], s[4:5]
	s_xor_b64 s[4:5], exec, s[6:7]
	s_cbranch_execz .LBB296_17
; %bb.14:                               ;   in Loop: Header=BB296_13 Depth=1
	s_and_saveexec_b64 s[6:7], vcc
; %bb.15:                               ;   in Loop: Header=BB296_13 Depth=1
	v_mov_b32_e32 v0, 0xff7fffff
	ds_write_b32 v33, v0
; %bb.16:                               ;   in Loop: Header=BB296_13 Depth=1
	s_or_b64 exec, exec, s[6:7]
.LBB296_17:                             ;   in Loop: Header=BB296_13 Depth=1
	s_andn2_saveexec_b64 s[6:7], s[4:5]
	s_cbranch_execz .LBB296_12
; %bb.18:                               ;   in Loop: Header=BB296_13 Depth=1
	global_load_dword v0, v[15:16], off
	buffer_load_dword v1, off, s[56:59], 0 offset:16 ; 4-byte Folded Reload
	buffer_load_dword v2, off, s[56:59], 0 offset:20 ; 4-byte Folded Reload
	;; [unrolled: 1-line block ×3, first 2 shown]
	v_mov_b32_e32 v17, 0
	v_mov_b32_e32 v40, 0
	s_waitcnt vmcnt(1)
	v_mad_i64_i32 v[19:20], s[4:5], v0, s51, v[1:2]
	global_load_ushort v0, v[19:20], off
	s_waitcnt vmcnt(1)
	ds_read2_b64 v[5:8], v13 offset1:1
	ds_read2_b64 v[1:4], v13 offset0:2 offset1:3
	s_load_dword s55, s[12:13], 0x0
	ds_read2_b64 v[9:12], v13 offset0:4 offset1:5
	ds_read_b64 v[13:14], v13 offset:48
	s_waitcnt lgkmcnt(0)
	buffer_store_dword v13, off, s[56:59], 0 offset:4 ; 4-byte Folded Spill
	s_nop 0
	buffer_store_dword v14, off, s[56:59], 0 offset:8 ; 4-byte Folded Spill
	s_waitcnt vmcnt(2)
	v_and_b32_e32 v21, 0xffff, v0
	v_cmp_ne_u16_sdwa s[4:5], v0, v34 src0_sel:BYTE_0 src1_sel:DWORD
	s_and_saveexec_b64 s[40:41], s[4:5]
	s_cbranch_execz .LBB296_24
; %bb.19:                               ;   in Loop: Header=BB296_13 Depth=1
	v_cmp_ne_u16_sdwa s[4:5], v21, s52 src0_sel:BYTE_0 src1_sel:DWORD
	v_bfrev_b32_e32 v40, 1
	s_and_saveexec_b64 s[42:43], s[4:5]
	s_cbranch_execz .LBB296_23
; %bb.20:                               ;   in Loop: Header=BB296_13 Depth=1
	v_and_b32_e32 v0, 0x7f, v21
	v_cmp_ne_u32_e64 s[4:5], s53, v0
	v_mov_b32_e32 v40, 0x7f800001
	s_and_saveexec_b64 s[44:45], s[4:5]
	s_cbranch_execz .LBB296_22
; %bb.21:                               ;   in Loop: Header=BB296_13 Depth=1
	v_and_b32_e32 v22, 7, v21
	v_ffbh_u32_e32 v13, v22
	v_min_u32_e32 v26, 32, v13
	v_subrev_u32_e32 v13, 28, v26
	v_lshlrev_b64 v[13:14], v13, v[21:22]
	v_lshrrev_b32_e32 v25, 3, v0
	v_sub_u32_e32 v14, 29, v26
	v_and_b32_e32 v13, 7, v13
	v_cmp_gt_u32_e64 s[4:5], 8, v0
	v_cndmask_b32_e64 v0, v25, v14, s[4:5]
	v_cndmask_b32_e64 v13, v22, v13, s[4:5]
	v_lshlrev_b32_e32 v14, 24, v21
	v_bfrev_b32_e32 v22, 60
	v_lshlrev_b32_e32 v13, 20, v13
	v_and_b32_e32 v14, 0x80000000, v14
	v_lshl_add_u32 v0, v0, 23, v22
	v_or3_b32 v40, v14, v0, v13
.LBB296_22:                             ;   in Loop: Header=BB296_13 Depth=1
	s_or_b64 exec, exec, s[44:45]
.LBB296_23:                             ;   in Loop: Header=BB296_13 Depth=1
	s_or_b64 exec, exec, s[42:43]
.LBB296_24:                             ;   in Loop: Header=BB296_13 Depth=1
	s_or_b64 exec, exec, s[40:41]
	v_lshrrev_b16_e32 v22, 8, v21
	v_cmp_ne_u16_e64 s[4:5], 0, v22
	s_and_saveexec_b64 s[40:41], s[4:5]
	s_cbranch_execz .LBB296_30
; %bb.25:                               ;   in Loop: Header=BB296_13 Depth=1
	v_cmp_ne_u16_e64 s[4:5], s52, v22
	v_bfrev_b32_e32 v17, 1
	s_and_saveexec_b64 s[42:43], s[4:5]
	s_cbranch_execz .LBB296_29
; %bb.26:                               ;   in Loop: Header=BB296_13 Depth=1
	v_and_b32_e32 v0, 0x7f, v22
	v_cmp_ne_u32_e64 s[4:5], s53, v0
	v_mov_b32_e32 v17, 0x7f800001
	s_and_saveexec_b64 s[44:45], s[4:5]
	s_cbranch_execz .LBB296_28
; %bb.27:                               ;   in Loop: Header=BB296_13 Depth=1
	v_and_b32_e32 v25, 7, v22
	v_ffbh_u32_e32 v13, v25
	v_min_u32_e32 v28, 32, v13
	v_subrev_u32_e32 v13, 28, v28
	v_lshlrev_b64 v[13:14], v13, v[22:23]
	v_lshrrev_b32_e32 v26, 3, v0
	v_sub_u32_e32 v14, 29, v28
	v_and_b32_e32 v13, 7, v13
	v_cmp_gt_u32_e64 s[4:5], 8, v0
	v_cndmask_b32_e64 v0, v26, v14, s[4:5]
	v_cndmask_b32_e64 v13, v25, v13, s[4:5]
	v_lshlrev_b32_e32 v14, 16, v21
	v_bfrev_b32_e32 v21, 60
	v_lshlrev_b32_e32 v13, 20, v13
	v_and_b32_e32 v14, 0x80000000, v14
	v_lshl_add_u32 v0, v0, 23, v21
	v_or3_b32 v17, v14, v0, v13
.LBB296_28:                             ;   in Loop: Header=BB296_13 Depth=1
	s_or_b64 exec, exec, s[44:45]
.LBB296_29:                             ;   in Loop: Header=BB296_13 Depth=1
	s_or_b64 exec, exec, s[42:43]
.LBB296_30:                             ;   in Loop: Header=BB296_13 Depth=1
	s_or_b64 exec, exec, s[40:41]
	global_load_ushort v0, v[19:20], off offset:8
	v_mov_b32_e32 v27, 0
	v_mov_b32_e32 v43, 0
	s_waitcnt vmcnt(0)
	v_and_b32_e32 v21, 0xffff, v0
	v_cmp_ne_u16_sdwa s[4:5], v0, v34 src0_sel:BYTE_0 src1_sel:DWORD
	s_and_saveexec_b64 s[40:41], s[4:5]
	s_cbranch_execz .LBB296_36
; %bb.31:                               ;   in Loop: Header=BB296_13 Depth=1
	v_cmp_ne_u16_sdwa s[4:5], v21, s52 src0_sel:BYTE_0 src1_sel:DWORD
	v_bfrev_b32_e32 v43, 1
	s_and_saveexec_b64 s[42:43], s[4:5]
	s_cbranch_execz .LBB296_35
; %bb.32:                               ;   in Loop: Header=BB296_13 Depth=1
	v_and_b32_e32 v0, 0x7f, v21
	v_cmp_ne_u32_e64 s[4:5], s53, v0
	v_mov_b32_e32 v43, 0x7f800001
	s_and_saveexec_b64 s[44:45], s[4:5]
	s_cbranch_execz .LBB296_34
; %bb.33:                               ;   in Loop: Header=BB296_13 Depth=1
	v_and_b32_e32 v22, 7, v21
	v_ffbh_u32_e32 v13, v22
	v_min_u32_e32 v26, 32, v13
	v_subrev_u32_e32 v13, 28, v26
	v_lshlrev_b64 v[13:14], v13, v[21:22]
	v_lshrrev_b32_e32 v25, 3, v0
	v_sub_u32_e32 v14, 29, v26
	v_and_b32_e32 v13, 7, v13
	v_cmp_gt_u32_e64 s[4:5], 8, v0
	v_cndmask_b32_e64 v0, v25, v14, s[4:5]
	v_cndmask_b32_e64 v13, v22, v13, s[4:5]
	v_lshlrev_b32_e32 v14, 24, v21
	v_bfrev_b32_e32 v22, 60
	v_lshlrev_b32_e32 v13, 20, v13
	v_and_b32_e32 v14, 0x80000000, v14
	v_lshl_add_u32 v0, v0, 23, v22
	v_or3_b32 v43, v14, v0, v13
.LBB296_34:                             ;   in Loop: Header=BB296_13 Depth=1
	s_or_b64 exec, exec, s[44:45]
.LBB296_35:                             ;   in Loop: Header=BB296_13 Depth=1
	s_or_b64 exec, exec, s[42:43]
.LBB296_36:                             ;   in Loop: Header=BB296_13 Depth=1
	s_or_b64 exec, exec, s[40:41]
	v_lshrrev_b16_e32 v22, 8, v21
	v_cmp_ne_u16_e64 s[4:5], 0, v22
	s_and_saveexec_b64 s[40:41], s[4:5]
	s_cbranch_execz .LBB296_42
; %bb.37:                               ;   in Loop: Header=BB296_13 Depth=1
	v_cmp_ne_u16_e64 s[4:5], s52, v22
	v_bfrev_b32_e32 v27, 1
	s_and_saveexec_b64 s[42:43], s[4:5]
	s_cbranch_execz .LBB296_41
; %bb.38:                               ;   in Loop: Header=BB296_13 Depth=1
	v_and_b32_e32 v0, 0x7f, v22
	v_cmp_ne_u32_e64 s[4:5], s53, v0
	v_mov_b32_e32 v27, 0x7f800001
	s_and_saveexec_b64 s[44:45], s[4:5]
	s_cbranch_execz .LBB296_40
; %bb.39:                               ;   in Loop: Header=BB296_13 Depth=1
	v_and_b32_e32 v25, 7, v22
	v_ffbh_u32_e32 v13, v25
	v_min_u32_e32 v28, 32, v13
	v_subrev_u32_e32 v13, 28, v28
	v_lshlrev_b64 v[13:14], v13, v[22:23]
	v_lshrrev_b32_e32 v26, 3, v0
	v_sub_u32_e32 v14, 29, v28
	v_and_b32_e32 v13, 7, v13
	v_cmp_gt_u32_e64 s[4:5], 8, v0
	v_cndmask_b32_e64 v0, v26, v14, s[4:5]
	v_cndmask_b32_e64 v13, v25, v13, s[4:5]
	v_lshlrev_b32_e32 v14, 16, v21
	v_bfrev_b32_e32 v21, 60
	v_lshlrev_b32_e32 v13, 20, v13
	v_and_b32_e32 v14, 0x80000000, v14
	v_lshl_add_u32 v0, v0, 23, v21
	v_or3_b32 v27, v14, v0, v13
.LBB296_40:                             ;   in Loop: Header=BB296_13 Depth=1
	s_or_b64 exec, exec, s[44:45]
.LBB296_41:                             ;   in Loop: Header=BB296_13 Depth=1
	s_or_b64 exec, exec, s[42:43]
.LBB296_42:                             ;   in Loop: Header=BB296_13 Depth=1
	s_or_b64 exec, exec, s[40:41]
	global_load_ushort v0, v[19:20], off offset:256
	v_mov_b32_e32 v42, 0
	v_mov_b32_e32 v41, 0
	s_waitcnt vmcnt(0)
	v_and_b32_e32 v21, 0xffff, v0
	v_cmp_ne_u16_sdwa s[4:5], v0, v34 src0_sel:BYTE_0 src1_sel:DWORD
	s_and_saveexec_b64 s[40:41], s[4:5]
	s_cbranch_execz .LBB296_48
; %bb.43:                               ;   in Loop: Header=BB296_13 Depth=1
	v_cmp_ne_u16_sdwa s[4:5], v21, s52 src0_sel:BYTE_0 src1_sel:DWORD
	v_bfrev_b32_e32 v41, 1
	s_and_saveexec_b64 s[42:43], s[4:5]
	s_cbranch_execz .LBB296_47
; %bb.44:                               ;   in Loop: Header=BB296_13 Depth=1
	v_and_b32_e32 v0, 0x7f, v21
	v_cmp_ne_u32_e64 s[4:5], s53, v0
	v_mov_b32_e32 v41, 0x7f800001
	s_and_saveexec_b64 s[44:45], s[4:5]
	s_cbranch_execz .LBB296_46
; %bb.45:                               ;   in Loop: Header=BB296_13 Depth=1
	v_and_b32_e32 v22, 7, v21
	v_ffbh_u32_e32 v13, v22
	v_min_u32_e32 v26, 32, v13
	v_subrev_u32_e32 v13, 28, v26
	v_lshlrev_b64 v[13:14], v13, v[21:22]
	v_lshrrev_b32_e32 v25, 3, v0
	v_sub_u32_e32 v14, 29, v26
	v_and_b32_e32 v13, 7, v13
	v_cmp_gt_u32_e64 s[4:5], 8, v0
	v_cndmask_b32_e64 v0, v25, v14, s[4:5]
	v_cndmask_b32_e64 v13, v22, v13, s[4:5]
	v_lshlrev_b32_e32 v14, 24, v21
	v_bfrev_b32_e32 v22, 60
	v_lshlrev_b32_e32 v13, 20, v13
	v_and_b32_e32 v14, 0x80000000, v14
	v_lshl_add_u32 v0, v0, 23, v22
	v_or3_b32 v41, v14, v0, v13
.LBB296_46:                             ;   in Loop: Header=BB296_13 Depth=1
	s_or_b64 exec, exec, s[44:45]
.LBB296_47:                             ;   in Loop: Header=BB296_13 Depth=1
	s_or_b64 exec, exec, s[42:43]
.LBB296_48:                             ;   in Loop: Header=BB296_13 Depth=1
	s_or_b64 exec, exec, s[40:41]
	v_lshrrev_b16_e32 v22, 8, v21
	v_cmp_ne_u16_e64 s[4:5], 0, v22
	s_and_saveexec_b64 s[40:41], s[4:5]
	s_cbranch_execz .LBB296_54
; %bb.49:                               ;   in Loop: Header=BB296_13 Depth=1
	v_cmp_ne_u16_e64 s[4:5], s52, v22
	v_bfrev_b32_e32 v42, 1
	s_and_saveexec_b64 s[42:43], s[4:5]
	s_cbranch_execz .LBB296_53
; %bb.50:                               ;   in Loop: Header=BB296_13 Depth=1
	v_and_b32_e32 v0, 0x7f, v22
	v_cmp_ne_u32_e64 s[4:5], s53, v0
	v_mov_b32_e32 v42, 0x7f800001
	s_and_saveexec_b64 s[44:45], s[4:5]
	s_cbranch_execz .LBB296_52
; %bb.51:                               ;   in Loop: Header=BB296_13 Depth=1
	v_and_b32_e32 v25, 7, v22
	v_ffbh_u32_e32 v13, v25
	v_min_u32_e32 v28, 32, v13
	v_subrev_u32_e32 v13, 28, v28
	v_lshlrev_b64 v[13:14], v13, v[22:23]
	v_lshrrev_b32_e32 v26, 3, v0
	v_sub_u32_e32 v14, 29, v28
	v_and_b32_e32 v13, 7, v13
	v_cmp_gt_u32_e64 s[4:5], 8, v0
	v_cndmask_b32_e64 v0, v26, v14, s[4:5]
	v_cndmask_b32_e64 v13, v25, v13, s[4:5]
	v_lshlrev_b32_e32 v14, 16, v21
	v_bfrev_b32_e32 v21, 60
	v_lshlrev_b32_e32 v13, 20, v13
	v_and_b32_e32 v14, 0x80000000, v14
	v_lshl_add_u32 v0, v0, 23, v21
	v_or3_b32 v42, v14, v0, v13
.LBB296_52:                             ;   in Loop: Header=BB296_13 Depth=1
	s_or_b64 exec, exec, s[44:45]
.LBB296_53:                             ;   in Loop: Header=BB296_13 Depth=1
	s_or_b64 exec, exec, s[42:43]
.LBB296_54:                             ;   in Loop: Header=BB296_13 Depth=1
	s_or_b64 exec, exec, s[40:41]
	global_load_ushort v0, v[19:20], off offset:264
	v_mov_b32_e32 v45, 0
	v_mov_b32_e32 v44, 0
	s_waitcnt vmcnt(0)
	v_and_b32_e32 v21, 0xffff, v0
	v_cmp_ne_u16_sdwa s[4:5], v0, v34 src0_sel:BYTE_0 src1_sel:DWORD
	s_and_saveexec_b64 s[40:41], s[4:5]
	s_cbranch_execz .LBB296_60
; %bb.55:                               ;   in Loop: Header=BB296_13 Depth=1
	v_cmp_ne_u16_sdwa s[4:5], v21, s52 src0_sel:BYTE_0 src1_sel:DWORD
	v_bfrev_b32_e32 v44, 1
	s_and_saveexec_b64 s[42:43], s[4:5]
	s_cbranch_execz .LBB296_59
; %bb.56:                               ;   in Loop: Header=BB296_13 Depth=1
	v_and_b32_e32 v0, 0x7f, v21
	v_cmp_ne_u32_e64 s[4:5], s53, v0
	v_mov_b32_e32 v44, 0x7f800001
	s_and_saveexec_b64 s[44:45], s[4:5]
	s_cbranch_execz .LBB296_58
; %bb.57:                               ;   in Loop: Header=BB296_13 Depth=1
	v_and_b32_e32 v22, 7, v21
	v_ffbh_u32_e32 v13, v22
	v_min_u32_e32 v26, 32, v13
	v_subrev_u32_e32 v13, 28, v26
	v_lshlrev_b64 v[13:14], v13, v[21:22]
	v_lshrrev_b32_e32 v25, 3, v0
	v_sub_u32_e32 v14, 29, v26
	v_and_b32_e32 v13, 7, v13
	v_cmp_gt_u32_e64 s[4:5], 8, v0
	v_cndmask_b32_e64 v0, v25, v14, s[4:5]
	v_cndmask_b32_e64 v13, v22, v13, s[4:5]
	v_lshlrev_b32_e32 v14, 24, v21
	v_bfrev_b32_e32 v22, 60
	v_lshlrev_b32_e32 v13, 20, v13
	v_and_b32_e32 v14, 0x80000000, v14
	v_lshl_add_u32 v0, v0, 23, v22
	v_or3_b32 v44, v14, v0, v13
.LBB296_58:                             ;   in Loop: Header=BB296_13 Depth=1
	s_or_b64 exec, exec, s[44:45]
.LBB296_59:                             ;   in Loop: Header=BB296_13 Depth=1
	s_or_b64 exec, exec, s[42:43]
.LBB296_60:                             ;   in Loop: Header=BB296_13 Depth=1
	s_or_b64 exec, exec, s[40:41]
	v_lshrrev_b16_e32 v22, 8, v21
	v_cmp_ne_u16_e64 s[4:5], 0, v22
	s_and_saveexec_b64 s[40:41], s[4:5]
	s_cbranch_execz .LBB296_66
; %bb.61:                               ;   in Loop: Header=BB296_13 Depth=1
	v_cmp_ne_u16_e64 s[4:5], s52, v22
	v_bfrev_b32_e32 v45, 1
	s_and_saveexec_b64 s[42:43], s[4:5]
	s_cbranch_execz .LBB296_65
; %bb.62:                               ;   in Loop: Header=BB296_13 Depth=1
	v_and_b32_e32 v0, 0x7f, v22
	v_cmp_ne_u32_e64 s[4:5], s53, v0
	v_mov_b32_e32 v45, 0x7f800001
	s_and_saveexec_b64 s[44:45], s[4:5]
	s_cbranch_execz .LBB296_64
; %bb.63:                               ;   in Loop: Header=BB296_13 Depth=1
	v_and_b32_e32 v25, 7, v22
	v_ffbh_u32_e32 v13, v25
	v_min_u32_e32 v28, 32, v13
	v_subrev_u32_e32 v13, 28, v28
	v_lshlrev_b64 v[13:14], v13, v[22:23]
	v_lshrrev_b32_e32 v26, 3, v0
	v_sub_u32_e32 v14, 29, v28
	v_and_b32_e32 v13, 7, v13
	v_cmp_gt_u32_e64 s[4:5], 8, v0
	v_cndmask_b32_e64 v0, v26, v14, s[4:5]
	v_cndmask_b32_e64 v13, v25, v13, s[4:5]
	v_lshlrev_b32_e32 v14, 16, v21
	v_bfrev_b32_e32 v21, 60
	v_lshlrev_b32_e32 v13, 20, v13
	v_and_b32_e32 v14, 0x80000000, v14
	v_lshl_add_u32 v0, v0, 23, v21
	v_or3_b32 v45, v14, v0, v13
.LBB296_64:                             ;   in Loop: Header=BB296_13 Depth=1
	s_or_b64 exec, exec, s[44:45]
.LBB296_65:                             ;   in Loop: Header=BB296_13 Depth=1
	s_or_b64 exec, exec, s[42:43]
.LBB296_66:                             ;   in Loop: Header=BB296_13 Depth=1
	s_or_b64 exec, exec, s[40:41]
	global_load_ushort v0, v[19:20], off offset:512
	v_mov_b32_e32 v47, 0
	v_mov_b32_e32 v46, 0
	s_waitcnt vmcnt(0)
	v_and_b32_e32 v21, 0xffff, v0
	v_cmp_ne_u16_sdwa s[4:5], v0, v34 src0_sel:BYTE_0 src1_sel:DWORD
	s_and_saveexec_b64 s[40:41], s[4:5]
	s_cbranch_execz .LBB296_72
; %bb.67:                               ;   in Loop: Header=BB296_13 Depth=1
	v_cmp_ne_u16_sdwa s[4:5], v21, s52 src0_sel:BYTE_0 src1_sel:DWORD
	v_bfrev_b32_e32 v46, 1
	s_and_saveexec_b64 s[42:43], s[4:5]
	s_cbranch_execz .LBB296_71
; %bb.68:                               ;   in Loop: Header=BB296_13 Depth=1
	v_and_b32_e32 v0, 0x7f, v21
	v_cmp_ne_u32_e64 s[4:5], s53, v0
	v_mov_b32_e32 v46, 0x7f800001
	s_and_saveexec_b64 s[44:45], s[4:5]
	s_cbranch_execz .LBB296_70
; %bb.69:                               ;   in Loop: Header=BB296_13 Depth=1
	v_and_b32_e32 v22, 7, v21
	v_ffbh_u32_e32 v13, v22
	v_min_u32_e32 v26, 32, v13
	v_subrev_u32_e32 v13, 28, v26
	v_lshlrev_b64 v[13:14], v13, v[21:22]
	v_lshrrev_b32_e32 v25, 3, v0
	v_sub_u32_e32 v14, 29, v26
	v_and_b32_e32 v13, 7, v13
	v_cmp_gt_u32_e64 s[4:5], 8, v0
	v_cndmask_b32_e64 v0, v25, v14, s[4:5]
	v_cndmask_b32_e64 v13, v22, v13, s[4:5]
	v_lshlrev_b32_e32 v14, 24, v21
	v_bfrev_b32_e32 v22, 60
	v_lshlrev_b32_e32 v13, 20, v13
	v_and_b32_e32 v14, 0x80000000, v14
	v_lshl_add_u32 v0, v0, 23, v22
	v_or3_b32 v46, v14, v0, v13
.LBB296_70:                             ;   in Loop: Header=BB296_13 Depth=1
	s_or_b64 exec, exec, s[44:45]
.LBB296_71:                             ;   in Loop: Header=BB296_13 Depth=1
	s_or_b64 exec, exec, s[42:43]
.LBB296_72:                             ;   in Loop: Header=BB296_13 Depth=1
	s_or_b64 exec, exec, s[40:41]
	v_lshrrev_b16_e32 v22, 8, v21
	v_cmp_ne_u16_e64 s[4:5], 0, v22
	s_and_saveexec_b64 s[40:41], s[4:5]
	s_cbranch_execz .LBB296_78
; %bb.73:                               ;   in Loop: Header=BB296_13 Depth=1
	v_cmp_ne_u16_e64 s[4:5], s52, v22
	v_bfrev_b32_e32 v47, 1
	s_and_saveexec_b64 s[42:43], s[4:5]
	s_cbranch_execz .LBB296_77
; %bb.74:                               ;   in Loop: Header=BB296_13 Depth=1
	v_and_b32_e32 v0, 0x7f, v22
	v_cmp_ne_u32_e64 s[4:5], s53, v0
	v_mov_b32_e32 v47, 0x7f800001
	s_and_saveexec_b64 s[44:45], s[4:5]
	s_cbranch_execz .LBB296_76
; %bb.75:                               ;   in Loop: Header=BB296_13 Depth=1
	v_and_b32_e32 v25, 7, v22
	v_ffbh_u32_e32 v13, v25
	v_min_u32_e32 v28, 32, v13
	v_subrev_u32_e32 v13, 28, v28
	v_lshlrev_b64 v[13:14], v13, v[22:23]
	v_lshrrev_b32_e32 v26, 3, v0
	v_sub_u32_e32 v14, 29, v28
	v_and_b32_e32 v13, 7, v13
	v_cmp_gt_u32_e64 s[4:5], 8, v0
	v_cndmask_b32_e64 v0, v26, v14, s[4:5]
	v_cndmask_b32_e64 v13, v25, v13, s[4:5]
	v_lshlrev_b32_e32 v14, 16, v21
	v_bfrev_b32_e32 v21, 60
	v_lshlrev_b32_e32 v13, 20, v13
	v_and_b32_e32 v14, 0x80000000, v14
	v_lshl_add_u32 v0, v0, 23, v21
	v_or3_b32 v47, v14, v0, v13
.LBB296_76:                             ;   in Loop: Header=BB296_13 Depth=1
	s_or_b64 exec, exec, s[44:45]
.LBB296_77:                             ;   in Loop: Header=BB296_13 Depth=1
	s_or_b64 exec, exec, s[42:43]
.LBB296_78:                             ;   in Loop: Header=BB296_13 Depth=1
	s_or_b64 exec, exec, s[40:41]
	global_load_ushort v0, v[19:20], off offset:520
	v_mov_b32_e32 v49, 0
	v_mov_b32_e32 v48, 0
	s_waitcnt vmcnt(0)
	v_and_b32_e32 v21, 0xffff, v0
	v_cmp_ne_u16_sdwa s[4:5], v0, v34 src0_sel:BYTE_0 src1_sel:DWORD
	s_and_saveexec_b64 s[40:41], s[4:5]
	s_cbranch_execz .LBB296_84
; %bb.79:                               ;   in Loop: Header=BB296_13 Depth=1
	v_cmp_ne_u16_sdwa s[4:5], v21, s52 src0_sel:BYTE_0 src1_sel:DWORD
	v_bfrev_b32_e32 v48, 1
	s_and_saveexec_b64 s[42:43], s[4:5]
	s_cbranch_execz .LBB296_83
; %bb.80:                               ;   in Loop: Header=BB296_13 Depth=1
	v_and_b32_e32 v0, 0x7f, v21
	v_cmp_ne_u32_e64 s[4:5], s53, v0
	v_mov_b32_e32 v48, 0x7f800001
	s_and_saveexec_b64 s[44:45], s[4:5]
	s_cbranch_execz .LBB296_82
; %bb.81:                               ;   in Loop: Header=BB296_13 Depth=1
	v_and_b32_e32 v22, 7, v21
	v_ffbh_u32_e32 v13, v22
	v_min_u32_e32 v26, 32, v13
	v_subrev_u32_e32 v13, 28, v26
	v_lshlrev_b64 v[13:14], v13, v[21:22]
	v_lshrrev_b32_e32 v25, 3, v0
	v_sub_u32_e32 v14, 29, v26
	v_and_b32_e32 v13, 7, v13
	v_cmp_gt_u32_e64 s[4:5], 8, v0
	v_cndmask_b32_e64 v0, v25, v14, s[4:5]
	v_cndmask_b32_e64 v13, v22, v13, s[4:5]
	v_lshlrev_b32_e32 v14, 24, v21
	v_bfrev_b32_e32 v22, 60
	v_lshlrev_b32_e32 v13, 20, v13
	v_and_b32_e32 v14, 0x80000000, v14
	v_lshl_add_u32 v0, v0, 23, v22
	v_or3_b32 v48, v14, v0, v13
.LBB296_82:                             ;   in Loop: Header=BB296_13 Depth=1
	s_or_b64 exec, exec, s[44:45]
.LBB296_83:                             ;   in Loop: Header=BB296_13 Depth=1
	s_or_b64 exec, exec, s[42:43]
.LBB296_84:                             ;   in Loop: Header=BB296_13 Depth=1
	s_or_b64 exec, exec, s[40:41]
	v_lshrrev_b16_e32 v22, 8, v21
	v_cmp_ne_u16_e64 s[4:5], 0, v22
	s_and_saveexec_b64 s[40:41], s[4:5]
	s_cbranch_execz .LBB296_90
; %bb.85:                               ;   in Loop: Header=BB296_13 Depth=1
	v_cmp_ne_u16_e64 s[4:5], s52, v22
	v_bfrev_b32_e32 v49, 1
	s_and_saveexec_b64 s[42:43], s[4:5]
	s_cbranch_execz .LBB296_89
; %bb.86:                               ;   in Loop: Header=BB296_13 Depth=1
	v_and_b32_e32 v0, 0x7f, v22
	v_cmp_ne_u32_e64 s[4:5], s53, v0
	v_mov_b32_e32 v49, 0x7f800001
	s_and_saveexec_b64 s[44:45], s[4:5]
	s_cbranch_execz .LBB296_88
; %bb.87:                               ;   in Loop: Header=BB296_13 Depth=1
	v_and_b32_e32 v25, 7, v22
	v_ffbh_u32_e32 v13, v25
	v_min_u32_e32 v28, 32, v13
	v_subrev_u32_e32 v13, 28, v28
	v_lshlrev_b64 v[13:14], v13, v[22:23]
	v_lshrrev_b32_e32 v26, 3, v0
	v_sub_u32_e32 v14, 29, v28
	v_and_b32_e32 v13, 7, v13
	v_cmp_gt_u32_e64 s[4:5], 8, v0
	v_cndmask_b32_e64 v0, v26, v14, s[4:5]
	v_cndmask_b32_e64 v13, v25, v13, s[4:5]
	v_lshlrev_b32_e32 v14, 16, v21
	v_bfrev_b32_e32 v21, 60
	v_lshlrev_b32_e32 v13, 20, v13
	v_and_b32_e32 v14, 0x80000000, v14
	v_lshl_add_u32 v0, v0, 23, v21
	v_or3_b32 v49, v14, v0, v13
.LBB296_88:                             ;   in Loop: Header=BB296_13 Depth=1
	s_or_b64 exec, exec, s[44:45]
.LBB296_89:                             ;   in Loop: Header=BB296_13 Depth=1
	s_or_b64 exec, exec, s[42:43]
.LBB296_90:                             ;   in Loop: Header=BB296_13 Depth=1
	s_or_b64 exec, exec, s[40:41]
	global_load_ushort v0, v[19:20], off offset:768
	v_mov_b32_e32 v51, 0
	v_mov_b32_e32 v50, 0
	s_waitcnt vmcnt(0)
	v_and_b32_e32 v21, 0xffff, v0
	v_cmp_ne_u16_sdwa s[4:5], v0, v34 src0_sel:BYTE_0 src1_sel:DWORD
	s_and_saveexec_b64 s[40:41], s[4:5]
	s_cbranch_execz .LBB296_96
; %bb.91:                               ;   in Loop: Header=BB296_13 Depth=1
	v_cmp_ne_u16_sdwa s[4:5], v21, s52 src0_sel:BYTE_0 src1_sel:DWORD
	v_bfrev_b32_e32 v50, 1
	s_and_saveexec_b64 s[42:43], s[4:5]
	s_cbranch_execz .LBB296_95
; %bb.92:                               ;   in Loop: Header=BB296_13 Depth=1
	v_and_b32_e32 v0, 0x7f, v21
	v_cmp_ne_u32_e64 s[4:5], s53, v0
	v_mov_b32_e32 v50, 0x7f800001
	s_and_saveexec_b64 s[44:45], s[4:5]
	s_cbranch_execz .LBB296_94
; %bb.93:                               ;   in Loop: Header=BB296_13 Depth=1
	v_and_b32_e32 v22, 7, v21
	v_ffbh_u32_e32 v13, v22
	v_min_u32_e32 v26, 32, v13
	v_subrev_u32_e32 v13, 28, v26
	v_lshlrev_b64 v[13:14], v13, v[21:22]
	v_lshrrev_b32_e32 v25, 3, v0
	v_sub_u32_e32 v14, 29, v26
	v_and_b32_e32 v13, 7, v13
	v_cmp_gt_u32_e64 s[4:5], 8, v0
	v_cndmask_b32_e64 v0, v25, v14, s[4:5]
	v_cndmask_b32_e64 v13, v22, v13, s[4:5]
	v_lshlrev_b32_e32 v14, 24, v21
	v_bfrev_b32_e32 v22, 60
	v_lshlrev_b32_e32 v13, 20, v13
	v_and_b32_e32 v14, 0x80000000, v14
	v_lshl_add_u32 v0, v0, 23, v22
	v_or3_b32 v50, v14, v0, v13
.LBB296_94:                             ;   in Loop: Header=BB296_13 Depth=1
	s_or_b64 exec, exec, s[44:45]
.LBB296_95:                             ;   in Loop: Header=BB296_13 Depth=1
	s_or_b64 exec, exec, s[42:43]
.LBB296_96:                             ;   in Loop: Header=BB296_13 Depth=1
	s_or_b64 exec, exec, s[40:41]
	v_lshrrev_b16_e32 v22, 8, v21
	v_cmp_ne_u16_e64 s[4:5], 0, v22
	s_and_saveexec_b64 s[40:41], s[4:5]
	s_cbranch_execz .LBB296_102
; %bb.97:                               ;   in Loop: Header=BB296_13 Depth=1
	v_cmp_ne_u16_e64 s[4:5], s52, v22
	v_bfrev_b32_e32 v51, 1
	s_and_saveexec_b64 s[42:43], s[4:5]
	s_cbranch_execz .LBB296_101
; %bb.98:                               ;   in Loop: Header=BB296_13 Depth=1
	v_and_b32_e32 v0, 0x7f, v22
	v_cmp_ne_u32_e64 s[4:5], s53, v0
	v_mov_b32_e32 v51, 0x7f800001
	s_and_saveexec_b64 s[44:45], s[4:5]
	s_cbranch_execz .LBB296_100
; %bb.99:                               ;   in Loop: Header=BB296_13 Depth=1
	v_and_b32_e32 v25, 7, v22
	v_ffbh_u32_e32 v13, v25
	v_min_u32_e32 v28, 32, v13
	v_subrev_u32_e32 v13, 28, v28
	v_lshlrev_b64 v[13:14], v13, v[22:23]
	v_lshrrev_b32_e32 v26, 3, v0
	v_sub_u32_e32 v14, 29, v28
	v_and_b32_e32 v13, 7, v13
	v_cmp_gt_u32_e64 s[4:5], 8, v0
	v_cndmask_b32_e64 v0, v26, v14, s[4:5]
	v_cndmask_b32_e64 v13, v25, v13, s[4:5]
	v_lshlrev_b32_e32 v14, 16, v21
	v_bfrev_b32_e32 v21, 60
	v_lshlrev_b32_e32 v13, 20, v13
	v_and_b32_e32 v14, 0x80000000, v14
	v_lshl_add_u32 v0, v0, 23, v21
	v_or3_b32 v51, v14, v0, v13
.LBB296_100:                            ;   in Loop: Header=BB296_13 Depth=1
	s_or_b64 exec, exec, s[44:45]
.LBB296_101:                            ;   in Loop: Header=BB296_13 Depth=1
	s_or_b64 exec, exec, s[42:43]
.LBB296_102:                            ;   in Loop: Header=BB296_13 Depth=1
	s_or_b64 exec, exec, s[40:41]
	global_load_ushort v0, v[19:20], off offset:776
	v_mov_b32_e32 v53, 0
	v_mov_b32_e32 v52, 0
	s_waitcnt vmcnt(0)
	v_and_b32_e32 v21, 0xffff, v0
	v_cmp_ne_u16_sdwa s[4:5], v0, v34 src0_sel:BYTE_0 src1_sel:DWORD
	s_and_saveexec_b64 s[40:41], s[4:5]
	s_cbranch_execz .LBB296_108
; %bb.103:                              ;   in Loop: Header=BB296_13 Depth=1
	v_cmp_ne_u16_sdwa s[4:5], v21, s52 src0_sel:BYTE_0 src1_sel:DWORD
	v_bfrev_b32_e32 v52, 1
	s_and_saveexec_b64 s[42:43], s[4:5]
	s_cbranch_execz .LBB296_107
; %bb.104:                              ;   in Loop: Header=BB296_13 Depth=1
	v_and_b32_e32 v0, 0x7f, v21
	v_cmp_ne_u32_e64 s[4:5], s53, v0
	v_mov_b32_e32 v52, 0x7f800001
	s_and_saveexec_b64 s[44:45], s[4:5]
	s_cbranch_execz .LBB296_106
; %bb.105:                              ;   in Loop: Header=BB296_13 Depth=1
	v_and_b32_e32 v22, 7, v21
	v_ffbh_u32_e32 v13, v22
	v_min_u32_e32 v26, 32, v13
	v_subrev_u32_e32 v13, 28, v26
	v_lshlrev_b64 v[13:14], v13, v[21:22]
	v_lshrrev_b32_e32 v25, 3, v0
	v_sub_u32_e32 v14, 29, v26
	v_and_b32_e32 v13, 7, v13
	v_cmp_gt_u32_e64 s[4:5], 8, v0
	v_cndmask_b32_e64 v0, v25, v14, s[4:5]
	v_cndmask_b32_e64 v13, v22, v13, s[4:5]
	v_lshlrev_b32_e32 v14, 24, v21
	v_bfrev_b32_e32 v22, 60
	v_lshlrev_b32_e32 v13, 20, v13
	v_and_b32_e32 v14, 0x80000000, v14
	v_lshl_add_u32 v0, v0, 23, v22
	v_or3_b32 v52, v14, v0, v13
.LBB296_106:                            ;   in Loop: Header=BB296_13 Depth=1
	s_or_b64 exec, exec, s[44:45]
.LBB296_107:                            ;   in Loop: Header=BB296_13 Depth=1
	s_or_b64 exec, exec, s[42:43]
.LBB296_108:                            ;   in Loop: Header=BB296_13 Depth=1
	s_or_b64 exec, exec, s[40:41]
	v_lshrrev_b16_e32 v22, 8, v21
	v_cmp_ne_u16_e64 s[4:5], 0, v22
	s_and_saveexec_b64 s[40:41], s[4:5]
	s_cbranch_execz .LBB296_114
; %bb.109:                              ;   in Loop: Header=BB296_13 Depth=1
	v_cmp_ne_u16_e64 s[4:5], s52, v22
	v_bfrev_b32_e32 v53, 1
	s_and_saveexec_b64 s[42:43], s[4:5]
	s_cbranch_execz .LBB296_113
; %bb.110:                              ;   in Loop: Header=BB296_13 Depth=1
	v_and_b32_e32 v0, 0x7f, v22
	v_cmp_ne_u32_e64 s[4:5], s53, v0
	v_mov_b32_e32 v53, 0x7f800001
	s_and_saveexec_b64 s[44:45], s[4:5]
	s_cbranch_execz .LBB296_112
; %bb.111:                              ;   in Loop: Header=BB296_13 Depth=1
	v_and_b32_e32 v25, 7, v22
	v_ffbh_u32_e32 v13, v25
	v_min_u32_e32 v28, 32, v13
	v_subrev_u32_e32 v13, 28, v28
	v_lshlrev_b64 v[13:14], v13, v[22:23]
	v_lshrrev_b32_e32 v26, 3, v0
	v_sub_u32_e32 v14, 29, v28
	v_and_b32_e32 v13, 7, v13
	v_cmp_gt_u32_e64 s[4:5], 8, v0
	v_cndmask_b32_e64 v0, v26, v14, s[4:5]
	v_cndmask_b32_e64 v13, v25, v13, s[4:5]
	v_lshlrev_b32_e32 v14, 16, v21
	v_bfrev_b32_e32 v21, 60
	v_lshlrev_b32_e32 v13, 20, v13
	v_and_b32_e32 v14, 0x80000000, v14
	v_lshl_add_u32 v0, v0, 23, v21
	v_or3_b32 v53, v14, v0, v13
.LBB296_112:                            ;   in Loop: Header=BB296_13 Depth=1
	s_or_b64 exec, exec, s[44:45]
.LBB296_113:                            ;   in Loop: Header=BB296_13 Depth=1
	s_or_b64 exec, exec, s[42:43]
.LBB296_114:                            ;   in Loop: Header=BB296_13 Depth=1
	s_or_b64 exec, exec, s[40:41]
	global_load_ushort v0, v[19:20], off offset:1024
	v_mov_b32_e32 v55, 0
	v_mov_b32_e32 v54, 0
	s_waitcnt vmcnt(0)
	v_and_b32_e32 v21, 0xffff, v0
	v_cmp_ne_u16_sdwa s[4:5], v0, v34 src0_sel:BYTE_0 src1_sel:DWORD
	s_and_saveexec_b64 s[40:41], s[4:5]
	s_cbranch_execz .LBB296_120
; %bb.115:                              ;   in Loop: Header=BB296_13 Depth=1
	v_cmp_ne_u16_sdwa s[4:5], v21, s52 src0_sel:BYTE_0 src1_sel:DWORD
	v_bfrev_b32_e32 v54, 1
	s_and_saveexec_b64 s[42:43], s[4:5]
	s_cbranch_execz .LBB296_119
; %bb.116:                              ;   in Loop: Header=BB296_13 Depth=1
	v_and_b32_e32 v0, 0x7f, v21
	v_cmp_ne_u32_e64 s[4:5], s53, v0
	v_mov_b32_e32 v54, 0x7f800001
	s_and_saveexec_b64 s[44:45], s[4:5]
	s_cbranch_execz .LBB296_118
; %bb.117:                              ;   in Loop: Header=BB296_13 Depth=1
	v_and_b32_e32 v22, 7, v21
	v_ffbh_u32_e32 v13, v22
	v_min_u32_e32 v26, 32, v13
	v_subrev_u32_e32 v13, 28, v26
	v_lshlrev_b64 v[13:14], v13, v[21:22]
	v_lshrrev_b32_e32 v25, 3, v0
	v_sub_u32_e32 v14, 29, v26
	v_and_b32_e32 v13, 7, v13
	v_cmp_gt_u32_e64 s[4:5], 8, v0
	v_cndmask_b32_e64 v0, v25, v14, s[4:5]
	v_cndmask_b32_e64 v13, v22, v13, s[4:5]
	v_lshlrev_b32_e32 v14, 24, v21
	v_bfrev_b32_e32 v22, 60
	v_lshlrev_b32_e32 v13, 20, v13
	v_and_b32_e32 v14, 0x80000000, v14
	v_lshl_add_u32 v0, v0, 23, v22
	v_or3_b32 v54, v14, v0, v13
.LBB296_118:                            ;   in Loop: Header=BB296_13 Depth=1
	s_or_b64 exec, exec, s[44:45]
.LBB296_119:                            ;   in Loop: Header=BB296_13 Depth=1
	s_or_b64 exec, exec, s[42:43]
.LBB296_120:                            ;   in Loop: Header=BB296_13 Depth=1
	s_or_b64 exec, exec, s[40:41]
	v_lshrrev_b16_e32 v22, 8, v21
	v_cmp_ne_u16_e64 s[4:5], 0, v22
	s_and_saveexec_b64 s[40:41], s[4:5]
	s_cbranch_execz .LBB296_126
; %bb.121:                              ;   in Loop: Header=BB296_13 Depth=1
	v_cmp_ne_u16_e64 s[4:5], s52, v22
	v_bfrev_b32_e32 v55, 1
	s_and_saveexec_b64 s[42:43], s[4:5]
	s_cbranch_execz .LBB296_125
; %bb.122:                              ;   in Loop: Header=BB296_13 Depth=1
	v_and_b32_e32 v0, 0x7f, v22
	v_cmp_ne_u32_e64 s[4:5], s53, v0
	v_mov_b32_e32 v55, 0x7f800001
	s_and_saveexec_b64 s[44:45], s[4:5]
	s_cbranch_execz .LBB296_124
; %bb.123:                              ;   in Loop: Header=BB296_13 Depth=1
	v_and_b32_e32 v25, 7, v22
	v_ffbh_u32_e32 v13, v25
	v_min_u32_e32 v28, 32, v13
	v_subrev_u32_e32 v13, 28, v28
	v_lshlrev_b64 v[13:14], v13, v[22:23]
	v_lshrrev_b32_e32 v26, 3, v0
	v_sub_u32_e32 v14, 29, v28
	v_and_b32_e32 v13, 7, v13
	v_cmp_gt_u32_e64 s[4:5], 8, v0
	v_cndmask_b32_e64 v0, v26, v14, s[4:5]
	v_cndmask_b32_e64 v13, v25, v13, s[4:5]
	v_lshlrev_b32_e32 v14, 16, v21
	v_bfrev_b32_e32 v21, 60
	v_lshlrev_b32_e32 v13, 20, v13
	v_and_b32_e32 v14, 0x80000000, v14
	v_lshl_add_u32 v0, v0, 23, v21
	v_or3_b32 v55, v14, v0, v13
.LBB296_124:                            ;   in Loop: Header=BB296_13 Depth=1
	s_or_b64 exec, exec, s[44:45]
.LBB296_125:                            ;   in Loop: Header=BB296_13 Depth=1
	s_or_b64 exec, exec, s[42:43]
.LBB296_126:                            ;   in Loop: Header=BB296_13 Depth=1
	s_or_b64 exec, exec, s[40:41]
	global_load_ushort v0, v[19:20], off offset:1032
	v_mov_b32_e32 v57, 0
	v_mov_b32_e32 v56, 0
	s_waitcnt vmcnt(0)
	v_and_b32_e32 v21, 0xffff, v0
	v_cmp_ne_u16_sdwa s[4:5], v0, v34 src0_sel:BYTE_0 src1_sel:DWORD
	s_and_saveexec_b64 s[40:41], s[4:5]
	s_cbranch_execz .LBB296_132
; %bb.127:                              ;   in Loop: Header=BB296_13 Depth=1
	v_cmp_ne_u16_sdwa s[4:5], v21, s52 src0_sel:BYTE_0 src1_sel:DWORD
	v_bfrev_b32_e32 v56, 1
	s_and_saveexec_b64 s[42:43], s[4:5]
	s_cbranch_execz .LBB296_131
; %bb.128:                              ;   in Loop: Header=BB296_13 Depth=1
	v_and_b32_e32 v0, 0x7f, v21
	v_cmp_ne_u32_e64 s[4:5], s53, v0
	v_mov_b32_e32 v56, 0x7f800001
	s_and_saveexec_b64 s[44:45], s[4:5]
	s_cbranch_execz .LBB296_130
; %bb.129:                              ;   in Loop: Header=BB296_13 Depth=1
	v_and_b32_e32 v22, 7, v21
	v_ffbh_u32_e32 v13, v22
	v_min_u32_e32 v26, 32, v13
	v_subrev_u32_e32 v13, 28, v26
	v_lshlrev_b64 v[13:14], v13, v[21:22]
	v_lshrrev_b32_e32 v25, 3, v0
	v_sub_u32_e32 v14, 29, v26
	v_and_b32_e32 v13, 7, v13
	v_cmp_gt_u32_e64 s[4:5], 8, v0
	v_cndmask_b32_e64 v0, v25, v14, s[4:5]
	v_cndmask_b32_e64 v13, v22, v13, s[4:5]
	v_lshlrev_b32_e32 v14, 24, v21
	v_bfrev_b32_e32 v22, 60
	v_lshlrev_b32_e32 v13, 20, v13
	v_and_b32_e32 v14, 0x80000000, v14
	v_lshl_add_u32 v0, v0, 23, v22
	v_or3_b32 v56, v14, v0, v13
.LBB296_130:                            ;   in Loop: Header=BB296_13 Depth=1
	s_or_b64 exec, exec, s[44:45]
.LBB296_131:                            ;   in Loop: Header=BB296_13 Depth=1
	s_or_b64 exec, exec, s[42:43]
.LBB296_132:                            ;   in Loop: Header=BB296_13 Depth=1
	s_or_b64 exec, exec, s[40:41]
	v_lshrrev_b16_e32 v22, 8, v21
	v_cmp_ne_u16_e64 s[4:5], 0, v22
	s_and_saveexec_b64 s[40:41], s[4:5]
	s_cbranch_execz .LBB296_138
; %bb.133:                              ;   in Loop: Header=BB296_13 Depth=1
	v_cmp_ne_u16_e64 s[4:5], s52, v22
	v_bfrev_b32_e32 v57, 1
	s_and_saveexec_b64 s[42:43], s[4:5]
	s_cbranch_execz .LBB296_137
; %bb.134:                              ;   in Loop: Header=BB296_13 Depth=1
	v_and_b32_e32 v0, 0x7f, v22
	v_cmp_ne_u32_e64 s[4:5], s53, v0
	v_mov_b32_e32 v57, 0x7f800001
	s_and_saveexec_b64 s[44:45], s[4:5]
	s_cbranch_execz .LBB296_136
; %bb.135:                              ;   in Loop: Header=BB296_13 Depth=1
	v_and_b32_e32 v25, 7, v22
	v_lshrrev_b32_e32 v26, 3, v0
	v_cmp_gt_u32_e64 s[4:5], 8, v0
	v_ffbh_u32_e32 v0, v25
	v_min_u32_e32 v0, 32, v0
	v_subrev_u32_e32 v13, 28, v0
	v_lshlrev_b64 v[13:14], v13, v[22:23]
	v_sub_u32_e32 v0, 29, v0
	v_and_b32_e32 v13, 7, v13
	v_cndmask_b32_e64 v0, v26, v0, s[4:5]
	v_cndmask_b32_e64 v13, v25, v13, s[4:5]
	v_lshlrev_b32_e32 v14, 16, v21
	v_bfrev_b32_e32 v21, 60
	v_lshlrev_b32_e32 v13, 20, v13
	v_and_b32_e32 v14, 0x80000000, v14
	v_lshl_add_u32 v0, v0, 23, v21
	v_or3_b32 v57, v14, v0, v13
.LBB296_136:                            ;   in Loop: Header=BB296_13 Depth=1
	s_or_b64 exec, exec, s[44:45]
.LBB296_137:                            ;   in Loop: Header=BB296_13 Depth=1
	s_or_b64 exec, exec, s[42:43]
.LBB296_138:                            ;   in Loop: Header=BB296_13 Depth=1
	s_or_b64 exec, exec, s[40:41]
	global_load_ushort v0, v[19:20], off offset:1280
	v_mov_b32_e32 v59, 0
	v_mov_b32_e32 v58, 0
	s_waitcnt vmcnt(0)
	v_and_b32_e32 v21, 0xffff, v0
	v_cmp_ne_u16_sdwa s[4:5], v0, v34 src0_sel:BYTE_0 src1_sel:DWORD
	s_and_saveexec_b64 s[40:41], s[4:5]
	s_cbranch_execz .LBB296_144
; %bb.139:                              ;   in Loop: Header=BB296_13 Depth=1
	v_cmp_ne_u16_sdwa s[4:5], v21, s52 src0_sel:BYTE_0 src1_sel:DWORD
	v_bfrev_b32_e32 v58, 1
	s_and_saveexec_b64 s[42:43], s[4:5]
	s_cbranch_execz .LBB296_143
; %bb.140:                              ;   in Loop: Header=BB296_13 Depth=1
	v_and_b32_e32 v0, 0x7f, v21
	v_cmp_ne_u32_e64 s[4:5], s53, v0
	v_mov_b32_e32 v58, 0x7f800001
	s_and_saveexec_b64 s[44:45], s[4:5]
	s_cbranch_execz .LBB296_142
; %bb.141:                              ;   in Loop: Header=BB296_13 Depth=1
	v_and_b32_e32 v22, 7, v21
	v_lshrrev_b32_e32 v25, 3, v0
	v_cmp_gt_u32_e64 s[4:5], 8, v0
	v_ffbh_u32_e32 v0, v22
	v_min_u32_e32 v0, 32, v0
	v_subrev_u32_e32 v13, 28, v0
	v_lshlrev_b64 v[13:14], v13, v[21:22]
	v_sub_u32_e32 v0, 29, v0
	v_and_b32_e32 v13, 7, v13
	v_cndmask_b32_e64 v0, v25, v0, s[4:5]
	v_cndmask_b32_e64 v13, v22, v13, s[4:5]
	v_lshlrev_b32_e32 v14, 24, v21
	v_bfrev_b32_e32 v22, 60
	v_lshlrev_b32_e32 v13, 20, v13
	v_and_b32_e32 v14, 0x80000000, v14
	v_lshl_add_u32 v0, v0, 23, v22
	v_or3_b32 v58, v14, v0, v13
.LBB296_142:                            ;   in Loop: Header=BB296_13 Depth=1
	s_or_b64 exec, exec, s[44:45]
.LBB296_143:                            ;   in Loop: Header=BB296_13 Depth=1
	s_or_b64 exec, exec, s[42:43]
.LBB296_144:                            ;   in Loop: Header=BB296_13 Depth=1
	s_or_b64 exec, exec, s[40:41]
	v_lshrrev_b16_e32 v22, 8, v21
	v_cmp_ne_u16_e64 s[4:5], 0, v22
	s_and_saveexec_b64 s[40:41], s[4:5]
	s_cbranch_execz .LBB296_150
; %bb.145:                              ;   in Loop: Header=BB296_13 Depth=1
	v_cmp_ne_u16_e64 s[4:5], s52, v22
	v_bfrev_b32_e32 v59, 1
	s_and_saveexec_b64 s[42:43], s[4:5]
	s_cbranch_execz .LBB296_149
; %bb.146:                              ;   in Loop: Header=BB296_13 Depth=1
	v_and_b32_e32 v0, 0x7f, v22
	v_cmp_ne_u32_e64 s[4:5], s53, v0
	v_mov_b32_e32 v59, 0x7f800001
	s_and_saveexec_b64 s[44:45], s[4:5]
	s_cbranch_execz .LBB296_148
; %bb.147:                              ;   in Loop: Header=BB296_13 Depth=1
	v_and_b32_e32 v25, 7, v22
	v_lshrrev_b32_e32 v26, 3, v0
	v_cmp_gt_u32_e64 s[4:5], 8, v0
	v_ffbh_u32_e32 v0, v25
	v_min_u32_e32 v0, 32, v0
	v_subrev_u32_e32 v13, 28, v0
	v_lshlrev_b64 v[13:14], v13, v[22:23]
	v_sub_u32_e32 v0, 29, v0
	v_and_b32_e32 v13, 7, v13
	v_cndmask_b32_e64 v0, v26, v0, s[4:5]
	v_cndmask_b32_e64 v13, v25, v13, s[4:5]
	v_lshlrev_b32_e32 v14, 16, v21
	v_bfrev_b32_e32 v21, 60
	v_lshlrev_b32_e32 v13, 20, v13
	v_and_b32_e32 v14, 0x80000000, v14
	v_lshl_add_u32 v0, v0, 23, v21
	v_or3_b32 v59, v14, v0, v13
.LBB296_148:                            ;   in Loop: Header=BB296_13 Depth=1
	s_or_b64 exec, exec, s[44:45]
.LBB296_149:                            ;   in Loop: Header=BB296_13 Depth=1
	s_or_b64 exec, exec, s[42:43]
.LBB296_150:                            ;   in Loop: Header=BB296_13 Depth=1
	s_or_b64 exec, exec, s[40:41]
	global_load_ushort v0, v[19:20], off offset:1288
	v_mov_b32_e32 v61, 0
	v_mov_b32_e32 v60, 0
	s_waitcnt vmcnt(0)
	v_and_b32_e32 v21, 0xffff, v0
	v_cmp_ne_u16_sdwa s[4:5], v0, v34 src0_sel:BYTE_0 src1_sel:DWORD
	s_and_saveexec_b64 s[40:41], s[4:5]
	s_cbranch_execz .LBB296_156
; %bb.151:                              ;   in Loop: Header=BB296_13 Depth=1
	v_cmp_ne_u16_sdwa s[4:5], v21, s52 src0_sel:BYTE_0 src1_sel:DWORD
	v_bfrev_b32_e32 v60, 1
	s_and_saveexec_b64 s[42:43], s[4:5]
	s_cbranch_execz .LBB296_155
; %bb.152:                              ;   in Loop: Header=BB296_13 Depth=1
	v_and_b32_e32 v0, 0x7f, v21
	v_cmp_ne_u32_e64 s[4:5], s53, v0
	v_mov_b32_e32 v60, 0x7f800001
	s_and_saveexec_b64 s[44:45], s[4:5]
	s_cbranch_execz .LBB296_154
; %bb.153:                              ;   in Loop: Header=BB296_13 Depth=1
	v_and_b32_e32 v22, 7, v21
	v_lshrrev_b32_e32 v25, 3, v0
	v_cmp_gt_u32_e64 s[4:5], 8, v0
	v_ffbh_u32_e32 v0, v22
	v_min_u32_e32 v0, 32, v0
	v_subrev_u32_e32 v13, 28, v0
	v_lshlrev_b64 v[13:14], v13, v[21:22]
	v_sub_u32_e32 v0, 29, v0
	v_and_b32_e32 v13, 7, v13
	v_cndmask_b32_e64 v0, v25, v0, s[4:5]
	v_cndmask_b32_e64 v13, v22, v13, s[4:5]
	v_lshlrev_b32_e32 v14, 24, v21
	v_bfrev_b32_e32 v22, 60
	v_lshlrev_b32_e32 v13, 20, v13
	v_and_b32_e32 v14, 0x80000000, v14
	v_lshl_add_u32 v0, v0, 23, v22
	v_or3_b32 v60, v14, v0, v13
.LBB296_154:                            ;   in Loop: Header=BB296_13 Depth=1
	s_or_b64 exec, exec, s[44:45]
.LBB296_155:                            ;   in Loop: Header=BB296_13 Depth=1
	s_or_b64 exec, exec, s[42:43]
.LBB296_156:                            ;   in Loop: Header=BB296_13 Depth=1
	s_or_b64 exec, exec, s[40:41]
	v_lshrrev_b16_e32 v22, 8, v21
	v_cmp_ne_u16_e64 s[4:5], 0, v22
	s_and_saveexec_b64 s[40:41], s[4:5]
	s_cbranch_execz .LBB296_162
; %bb.157:                              ;   in Loop: Header=BB296_13 Depth=1
	v_cmp_ne_u16_e64 s[4:5], s52, v22
	v_bfrev_b32_e32 v61, 1
	s_and_saveexec_b64 s[42:43], s[4:5]
	s_cbranch_execz .LBB296_161
; %bb.158:                              ;   in Loop: Header=BB296_13 Depth=1
	v_and_b32_e32 v0, 0x7f, v22
	v_cmp_ne_u32_e64 s[4:5], s53, v0
	v_mov_b32_e32 v61, 0x7f800001
	s_and_saveexec_b64 s[44:45], s[4:5]
	s_cbranch_execz .LBB296_160
; %bb.159:                              ;   in Loop: Header=BB296_13 Depth=1
	v_and_b32_e32 v25, 7, v22
	v_lshrrev_b32_e32 v26, 3, v0
	v_cmp_gt_u32_e64 s[4:5], 8, v0
	v_ffbh_u32_e32 v0, v25
	v_min_u32_e32 v0, 32, v0
	v_subrev_u32_e32 v13, 28, v0
	v_lshlrev_b64 v[13:14], v13, v[22:23]
	v_sub_u32_e32 v0, 29, v0
	v_and_b32_e32 v13, 7, v13
	v_cndmask_b32_e64 v0, v26, v0, s[4:5]
	v_cndmask_b32_e64 v13, v25, v13, s[4:5]
	v_lshlrev_b32_e32 v14, 16, v21
	v_bfrev_b32_e32 v21, 60
	v_lshlrev_b32_e32 v13, 20, v13
	v_and_b32_e32 v14, 0x80000000, v14
	v_lshl_add_u32 v0, v0, 23, v21
	v_or3_b32 v61, v14, v0, v13
.LBB296_160:                            ;   in Loop: Header=BB296_13 Depth=1
	s_or_b64 exec, exec, s[44:45]
.LBB296_161:                            ;   in Loop: Header=BB296_13 Depth=1
	s_or_b64 exec, exec, s[42:43]
.LBB296_162:                            ;   in Loop: Header=BB296_13 Depth=1
	s_or_b64 exec, exec, s[40:41]
	global_load_ushort v0, v[19:20], off offset:1536
	v_mov_b32_e32 v63, 0
	v_mov_b32_e32 v62, 0
	s_waitcnt vmcnt(0)
	v_and_b32_e32 v21, 0xffff, v0
	v_cmp_ne_u16_sdwa s[4:5], v0, v34 src0_sel:BYTE_0 src1_sel:DWORD
	s_and_saveexec_b64 s[40:41], s[4:5]
	s_cbranch_execz .LBB296_168
; %bb.163:                              ;   in Loop: Header=BB296_13 Depth=1
	v_cmp_ne_u16_sdwa s[4:5], v21, s52 src0_sel:BYTE_0 src1_sel:DWORD
	v_bfrev_b32_e32 v62, 1
	s_and_saveexec_b64 s[42:43], s[4:5]
	s_cbranch_execz .LBB296_167
; %bb.164:                              ;   in Loop: Header=BB296_13 Depth=1
	v_and_b32_e32 v0, 0x7f, v21
	v_cmp_ne_u32_e64 s[4:5], s53, v0
	v_mov_b32_e32 v62, 0x7f800001
	s_and_saveexec_b64 s[44:45], s[4:5]
	s_cbranch_execz .LBB296_166
; %bb.165:                              ;   in Loop: Header=BB296_13 Depth=1
	v_and_b32_e32 v22, 7, v21
	v_lshrrev_b32_e32 v25, 3, v0
	v_cmp_gt_u32_e64 s[4:5], 8, v0
	v_ffbh_u32_e32 v0, v22
	v_min_u32_e32 v0, 32, v0
	v_subrev_u32_e32 v13, 28, v0
	v_lshlrev_b64 v[13:14], v13, v[21:22]
	v_sub_u32_e32 v0, 29, v0
	v_and_b32_e32 v13, 7, v13
	v_cndmask_b32_e64 v0, v25, v0, s[4:5]
	v_cndmask_b32_e64 v13, v22, v13, s[4:5]
	v_lshlrev_b32_e32 v14, 24, v21
	v_bfrev_b32_e32 v22, 60
	v_lshlrev_b32_e32 v13, 20, v13
	v_and_b32_e32 v14, 0x80000000, v14
	v_lshl_add_u32 v0, v0, 23, v22
	v_or3_b32 v62, v14, v0, v13
.LBB296_166:                            ;   in Loop: Header=BB296_13 Depth=1
	s_or_b64 exec, exec, s[44:45]
.LBB296_167:                            ;   in Loop: Header=BB296_13 Depth=1
	s_or_b64 exec, exec, s[42:43]
.LBB296_168:                            ;   in Loop: Header=BB296_13 Depth=1
	s_or_b64 exec, exec, s[40:41]
	v_lshrrev_b16_e32 v22, 8, v21
	v_cmp_ne_u16_e64 s[4:5], 0, v22
	s_and_saveexec_b64 s[40:41], s[4:5]
	s_cbranch_execz .LBB296_174
; %bb.169:                              ;   in Loop: Header=BB296_13 Depth=1
	v_cmp_ne_u16_e64 s[4:5], s52, v22
	v_bfrev_b32_e32 v63, 1
	s_and_saveexec_b64 s[42:43], s[4:5]
	s_cbranch_execz .LBB296_173
; %bb.170:                              ;   in Loop: Header=BB296_13 Depth=1
	v_and_b32_e32 v0, 0x7f, v22
	v_cmp_ne_u32_e64 s[4:5], s53, v0
	v_mov_b32_e32 v63, 0x7f800001
	s_and_saveexec_b64 s[44:45], s[4:5]
	s_cbranch_execz .LBB296_172
; %bb.171:                              ;   in Loop: Header=BB296_13 Depth=1
	v_and_b32_e32 v25, 7, v22
	v_lshrrev_b32_e32 v26, 3, v0
	v_cmp_gt_u32_e64 s[4:5], 8, v0
	v_ffbh_u32_e32 v0, v25
	v_min_u32_e32 v0, 32, v0
	v_subrev_u32_e32 v13, 28, v0
	v_lshlrev_b64 v[13:14], v13, v[22:23]
	v_sub_u32_e32 v0, 29, v0
	v_and_b32_e32 v13, 7, v13
	v_cndmask_b32_e64 v0, v26, v0, s[4:5]
	v_cndmask_b32_e64 v13, v25, v13, s[4:5]
	v_lshlrev_b32_e32 v14, 16, v21
	v_bfrev_b32_e32 v21, 60
	v_lshlrev_b32_e32 v13, 20, v13
	v_and_b32_e32 v14, 0x80000000, v14
	v_lshl_add_u32 v0, v0, 23, v21
	v_or3_b32 v63, v14, v0, v13
.LBB296_172:                            ;   in Loop: Header=BB296_13 Depth=1
	s_or_b64 exec, exec, s[44:45]
.LBB296_173:                            ;   in Loop: Header=BB296_13 Depth=1
	s_or_b64 exec, exec, s[42:43]
.LBB296_174:                            ;   in Loop: Header=BB296_13 Depth=1
	s_or_b64 exec, exec, s[40:41]
	global_load_ushort v0, v[19:20], off offset:1544
	v_mov_b32_e32 v21, 0
	v_mov_b32_e32 v22, 0
	s_waitcnt vmcnt(0)
	v_and_b32_e32 v19, 0xffff, v0
	v_cmp_ne_u16_sdwa s[4:5], v0, v34 src0_sel:BYTE_0 src1_sel:DWORD
	s_and_saveexec_b64 s[40:41], s[4:5]
	s_cbranch_execz .LBB296_180
; %bb.175:                              ;   in Loop: Header=BB296_13 Depth=1
	v_cmp_ne_u16_sdwa s[4:5], v19, s52 src0_sel:BYTE_0 src1_sel:DWORD
	v_bfrev_b32_e32 v22, 1
	s_and_saveexec_b64 s[42:43], s[4:5]
	s_cbranch_execz .LBB296_179
; %bb.176:                              ;   in Loop: Header=BB296_13 Depth=1
	v_and_b32_e32 v0, 0x7f, v19
	v_cmp_ne_u32_e64 s[4:5], s53, v0
	v_mov_b32_e32 v22, 0x7f800001
	s_and_saveexec_b64 s[44:45], s[4:5]
	s_cbranch_execz .LBB296_178
; %bb.177:                              ;   in Loop: Header=BB296_13 Depth=1
	v_and_b32_e32 v20, 7, v19
	v_lshrrev_b32_e32 v22, 3, v0
	v_cmp_gt_u32_e64 s[4:5], 8, v0
	v_ffbh_u32_e32 v0, v20
	v_min_u32_e32 v0, 32, v0
	v_subrev_u32_e32 v13, 28, v0
	v_lshlrev_b64 v[13:14], v13, v[19:20]
	v_sub_u32_e32 v0, 29, v0
	v_and_b32_e32 v13, 7, v13
	v_cndmask_b32_e64 v0, v22, v0, s[4:5]
	v_cndmask_b32_e64 v13, v20, v13, s[4:5]
	v_lshlrev_b32_e32 v14, 24, v19
	v_bfrev_b32_e32 v20, 60
	v_lshlrev_b32_e32 v13, 20, v13
	v_and_b32_e32 v14, 0x80000000, v14
	v_lshl_add_u32 v0, v0, 23, v20
	v_or3_b32 v22, v14, v0, v13
.LBB296_178:                            ;   in Loop: Header=BB296_13 Depth=1
	s_or_b64 exec, exec, s[44:45]
.LBB296_179:                            ;   in Loop: Header=BB296_13 Depth=1
	s_or_b64 exec, exec, s[42:43]
.LBB296_180:                            ;   in Loop: Header=BB296_13 Depth=1
	s_or_b64 exec, exec, s[40:41]
	v_lshrrev_b16_e32 v20, 8, v19
	v_cmp_ne_u16_e64 s[4:5], 0, v20
	s_and_saveexec_b64 s[40:41], s[4:5]
	s_cbranch_execz .LBB296_186
; %bb.181:                              ;   in Loop: Header=BB296_13 Depth=1
	v_cmp_ne_u16_e64 s[4:5], s52, v20
	v_bfrev_b32_e32 v21, 1
	s_and_saveexec_b64 s[42:43], s[4:5]
	s_cbranch_execz .LBB296_185
; %bb.182:                              ;   in Loop: Header=BB296_13 Depth=1
	v_and_b32_e32 v0, 0x7f, v20
	v_cmp_ne_u32_e64 s[4:5], s53, v0
	v_mov_b32_e32 v21, 0x7f800001
	s_and_saveexec_b64 s[44:45], s[4:5]
	s_cbranch_execz .LBB296_184
; %bb.183:                              ;   in Loop: Header=BB296_13 Depth=1
	v_and_b32_e32 v21, 7, v20
	v_lshrrev_b32_e32 v25, 3, v0
	v_cmp_gt_u32_e64 s[4:5], 8, v0
	v_ffbh_u32_e32 v0, v21
	v_min_u32_e32 v0, 32, v0
	v_subrev_u32_e32 v13, 28, v0
	v_lshlrev_b64 v[13:14], v13, v[20:21]
	v_sub_u32_e32 v0, 29, v0
	v_and_b32_e32 v13, 7, v13
	v_cndmask_b32_e64 v0, v25, v0, s[4:5]
	v_cndmask_b32_e64 v13, v21, v13, s[4:5]
	v_lshlrev_b32_e32 v14, 16, v19
	v_bfrev_b32_e32 v19, 60
	v_lshlrev_b32_e32 v13, 20, v13
	v_and_b32_e32 v14, 0x80000000, v14
	v_lshl_add_u32 v0, v0, 23, v19
	v_or3_b32 v21, v14, v0, v13
.LBB296_184:                            ;   in Loop: Header=BB296_13 Depth=1
	s_or_b64 exec, exec, s[44:45]
.LBB296_185:                            ;   in Loop: Header=BB296_13 Depth=1
	s_or_b64 exec, exec, s[42:43]
.LBB296_186:                            ;   in Loop: Header=BB296_13 Depth=1
	s_or_b64 exec, exec, s[40:41]
	v_lshlrev_b32_e32 v38, 16, v5
	v_lshlrev_b32_e32 v39, 16, v6
	v_and_b32_e32 v28, 0xffff0000, v5
	v_and_b32_e32 v36, 0xffff0000, v6
	v_lshlrev_b32_e32 v5, 16, v10
	v_and_b32_e32 v6, 0xffff0000, v10
	v_mul_f32_e32 v10, s55, v43
	v_lshlrev_b32_e32 v29, 16, v8
	v_lshlrev_b32_e32 v19, 16, v3
	v_and_b32_e32 v0, 0xffff0000, v8
	v_lshlrev_b32_e32 v8, 16, v4
	v_and_b32_e32 v13, 0xffff0000, v3
	v_and_b32_e32 v32, 0xffff0000, v4
	v_lshlrev_b32_e32 v3, 16, v11
	v_and_b32_e32 v4, 0xffff0000, v11
	v_bfe_u32 v11, v10, 16, 1
	v_lshlrev_b32_e32 v25, 16, v1
	v_lshlrev_b32_e32 v20, 16, v2
	v_and_b32_e32 v35, 0xffff0000, v1
	v_and_b32_e32 v14, 0xffff0000, v2
	v_lshlrev_b32_e32 v1, 16, v12
	v_and_b32_e32 v2, 0xffff0000, v12
	v_add3_u32 v11, v11, v10, s54
	v_or_b32_e32 v12, 0x400000, v10
	v_cmp_u_f32_e64 s[4:5], v10, v10
	v_cndmask_b32_e64 v10, v11, v12, s[4:5]
	v_mul_f32_e32 v11, s55, v40
	v_bfe_u32 v12, v11, 16, 1
	v_add3_u32 v12, v12, v11, s54
	v_or_b32_e32 v40, 0x400000, v11
	v_cmp_u_f32_e64 s[4:5], v11, v11
	v_cndmask_b32_e64 v11, v12, v40, s[4:5]
	v_and_b32_e32 v10, 0xffff0000, v10
	v_mul_f32_e32 v10, v39, v10
	v_and_b32_e32 v11, 0xffff0000, v11
	v_fmac_f32_e32 v10, v38, v11
	v_mul_f32_e32 v11, s55, v22
	v_bfe_u32 v12, v11, 16, 1
	v_add3_u32 v12, v12, v11, s54
	v_or_b32_e32 v22, 0x400000, v11
	v_cmp_u_f32_e64 s[4:5], v11, v11
	v_cndmask_b32_e64 v11, v12, v22, s[4:5]
	v_mul_f32_e32 v12, s55, v63
	v_bfe_u32 v22, v12, 16, 1
	v_add3_u32 v22, v22, v12, s54
	v_or_b32_e32 v38, 0x400000, v12
	v_cmp_u_f32_e64 s[4:5], v12, v12
	v_cndmask_b32_e64 v12, v22, v38, s[4:5]
	;; [unrolled: 6-line block ×3, first 2 shown]
	v_mul_f32_e32 v38, s55, v61
	v_bfe_u32 v39, v38, 16, 1
	v_add3_u32 v39, v39, v38, s54
	v_or_b32_e32 v40, 0x400000, v38
	v_cmp_u_f32_e64 s[4:5], v38, v38
	v_mul_f32_e32 v38, s55, v60
	v_cndmask_b32_e64 v40, v39, v40, s[4:5]
	v_bfe_u32 v39, v38, 16, 1
	v_add3_u32 v39, v39, v38, s54
	v_or_b32_e32 v43, 0x400000, v38
	v_cmp_u_f32_e64 s[4:5], v38, v38
	v_mul_f32_e32 v38, s55, v59
	v_cndmask_b32_e64 v43, v39, v43, s[4:5]
	;; [unrolled: 6-line block ×10, first 2 shown]
	v_bfe_u32 v39, v38, 16, 1
	v_add3_u32 v39, v39, v38, s54
	v_or_b32_e32 v51, 0x400000, v38
	v_cmp_u_f32_e64 s[4:5], v38, v38
	v_cndmask_b32_e64 v38, v39, v51, s[4:5]
	v_mul_f32_e32 v39, s55, v50
	v_bfe_u32 v50, v39, 16, 1
	v_add3_u32 v50, v50, v39, s54
	v_or_b32_e32 v51, 0x400000, v39
	v_cmp_u_f32_e64 s[4:5], v39, v39
	v_mul_f32_e32 v49, s55, v49
	v_cndmask_b32_e64 v39, v50, v51, s[4:5]
	v_bfe_u32 v50, v49, 16, 1
	v_add3_u32 v50, v50, v49, s54
	v_or_b32_e32 v51, 0x400000, v49
	v_cmp_u_f32_e64 s[4:5], v49, v49
	v_mul_f32_e32 v48, s55, v48
	v_cndmask_b32_e64 v49, v50, v51, s[4:5]
	;; [unrolled: 6-line block ×8, first 2 shown]
	v_bfe_u32 v50, v41, 16, 1
	v_add3_u32 v50, v50, v41, s54
	v_or_b32_e32 v51, 0x400000, v41
	v_cmp_u_f32_e64 s[4:5], v41, v41
	v_cndmask_b32_e64 v41, v50, v51, s[4:5]
	v_mul_f32_e32 v50, s55, v27
	v_bfe_u32 v51, v50, 16, 1
	v_add3_u32 v51, v51, v50, s54
	v_or_b32_e32 v60, 0x400000, v50
	v_cmp_u_f32_e64 s[4:5], v50, v50
	v_cndmask_b32_e64 v50, v51, v60, s[4:5]
	v_mul_f32_e32 v51, s55, v17
	buffer_load_dword v17, off, s[56:59], 0 offset:4 ; 4-byte Folded Reload
	buffer_load_dword v18, off, s[56:59], 0 offset:8 ; 4-byte Folded Reload
	;; [unrolled: 1-line block ×3, first 2 shown]
	v_bfe_u32 v60, v51, 16, 1
	v_add3_u32 v60, v60, v51, s54
	v_or_b32_e32 v61, 0x400000, v51
	v_cmp_u_f32_e64 s[4:5], v51, v51
	v_cndmask_b32_e64 v51, v60, v61, s[4:5]
	v_and_b32_e32 v50, 0xffff0000, v50
	v_mul_f32_e32 v36, v36, v50
	v_and_b32_e32 v51, 0xffff0000, v51
	v_lshlrev_b32_e32 v26, 16, v7
	v_and_b32_e32 v30, 0xffff0000, v7
	v_fmac_f32_e32 v36, v28, v51
	v_and_b32_e32 v41, 0xffff0000, v41
	v_and_b32_e32 v42, 0xffff0000, v42
	v_fmac_f32_e32 v10, v26, v41
	v_fmac_f32_e32 v36, v30, v42
	v_and_b32_e32 v26, 0xffff0000, v44
	v_and_b32_e32 v30, 0xffff0000, v45
	v_fmac_f32_e32 v10, v29, v26
	;; [unrolled: 4-line block ×5, first 2 shown]
	v_fmac_f32_e32 v36, v13, v14
	v_and_b32_e32 v0, 0xffff0000, v52
	v_and_b32_e32 v13, 0xffff0000, v53
	v_lshlrev_b32_e32 v7, 16, v9
	v_and_b32_e32 v9, 0xffff0000, v9
	v_fmac_f32_e32 v10, v8, v0
	v_fmac_f32_e32 v36, v32, v13
	v_and_b32_e32 v0, 0xffff0000, v54
	v_and_b32_e32 v8, 0xffff0000, v55
	v_mul_f32_e32 v21, s55, v21
	v_fmac_f32_e32 v10, v7, v0
	v_fmac_f32_e32 v36, v9, v8
	v_and_b32_e32 v0, 0xffff0000, v56
	v_and_b32_e32 v7, 0xffff0000, v57
	v_bfe_u32 v51, v21, 16, 1
	v_fmac_f32_e32 v10, v5, v0
	v_fmac_f32_e32 v36, v6, v7
	v_and_b32_e32 v0, 0xffff0000, v58
	v_and_b32_e32 v5, 0xffff0000, v59
	v_add3_u32 v51, v51, v21, s54
	v_or_b32_e32 v61, 0x400000, v21
	v_cmp_u_f32_e64 s[4:5], v21, v21
	v_fmac_f32_e32 v10, v3, v0
	v_fmac_f32_e32 v36, v4, v5
	v_and_b32_e32 v0, 0xffff0000, v43
	v_and_b32_e32 v3, 0xffff0000, v40
	v_cndmask_b32_e64 v21, v51, v61, s[4:5]
	v_fmac_f32_e32 v10, v1, v0
	v_fmac_f32_e32 v36, v2, v3
	v_and_b32_e32 v0, 0xffff0000, v22
	v_and_b32_e32 v1, 0xffff0000, v12
	s_waitcnt vmcnt(2)
	v_lshlrev_b32_e32 v60, 16, v17
	v_and_b32_e32 v17, 0xffff0000, v17
	s_waitcnt vmcnt(0)
	v_and_b32_e32 v28, 64, v62
	v_add_u32_e32 v28, 64, v28
	v_xor_b32_e32 v51, 2, v62
	v_lshlrev_b32_e32 v50, 16, v18
	v_and_b32_e32 v18, 0xffff0000, v18
	v_cmp_lt_i32_e64 s[4:5], v51, v28
	v_fmac_f32_e32 v10, v60, v0
	v_fmac_f32_e32 v36, v17, v1
	v_and_b32_e32 v0, 0xffff0000, v11
	v_and_b32_e32 v1, 0xffff0000, v21
	v_cndmask_b32_e64 v51, v62, v51, s[4:5]
	v_fmac_f32_e32 v10, v50, v0
	v_fmac_f32_e32 v36, v18, v1
	v_lshlrev_b32_e32 v51, 2, v51
	v_add_f32_e32 v0, v10, v36
	ds_bpermute_b32 v1, v51, v0
	v_xor_b32_e32 v2, 1, v62
	v_cmp_lt_i32_e64 s[4:5], v2, v28
	v_cndmask_b32_e64 v2, v62, v2, s[4:5]
	v_lshlrev_b32_e32 v2, 2, v2
	s_waitcnt lgkmcnt(0)
	v_add_f32_e32 v0, v0, v1
	ds_bpermute_b32 v1, v2, v0
	s_and_saveexec_b64 s[40:41], vcc
	s_cbranch_execz .LBB296_11
; %bb.187:                              ;   in Loop: Header=BB296_13 Depth=1
	buffer_load_dword v2, off, s[56:59], 0 offset:36 ; 4-byte Folded Reload
	buffer_load_dword v3, off, s[56:59], 0 offset:32 ; 4-byte Folded Reload
	s_waitcnt lgkmcnt(0)
	v_add_f32_e32 v0, v0, v1
	s_waitcnt vmcnt(1)
	v_add_u32_e32 v2, v2, v31
	v_cvt_f32_i32_e32 v2, v2
	v_mul_f32_e32 v1, s49, v2
	buffer_load_dword v2, off, s[56:59], 0 offset:12 ; 4-byte Folded Reload
	s_waitcnt vmcnt(1)
	v_add_u32_e32 v3, v3, v31
	v_cndmask_b32_e64 v1, 0, v1, s[2:3]
	v_fmac_f32_e32 v1, s37, v0
	v_cmp_gt_i32_e64 s[4:5], s33, v3
	v_cndmask_b32_e64 v0, 0, v1, s[4:5]
	ds_write_b32 v33, v0
	s_waitcnt vmcnt(0)
	v_max_f32_e32 v0, v2, v2
	v_max_f32_e32 v0, v0, v1
	v_cndmask_b32_e64 v2, v2, v0, s[4:5]
	buffer_store_dword v2, off, s[56:59], 0 offset:12 ; 4-byte Folded Spill
	s_branch .LBB296_11
.LBB296_188:
	s_or_b64 exec, exec, s[38:39]
	buffer_load_dword v14, off, s[56:59], 0 offset:40 ; 4-byte Folded Reload
	buffer_load_dword v15, off, s[56:59], 0 offset:44 ; 4-byte Folded Reload
	;; [unrolled: 1-line block ×3, first 2 shown]
	v_mbcnt_lo_u32_b32 v5, -1, 0
.LBB296_189:
	s_or_b64 exec, exec, s[18:19]
	s_waitcnt lgkmcnt(0)
	v_mbcnt_hi_u32_b32 v1, -1, v5
	v_and_b32_e32 v9, 64, v1
	v_add_u32_e32 v2, 64, v9
	v_xor_b32_e32 v0, 32, v1
	v_cmp_lt_i32_e32 vcc, v0, v2
	v_cndmask_b32_e32 v0, v1, v0, vcc
	v_lshlrev_b32_e32 v3, 2, v0
	s_waitcnt vmcnt(0)
	ds_bpermute_b32 v0, v3, v4
	v_xor_b32_e32 v5, 16, v1
	v_max_f32_e32 v4, v4, v4
	v_cmp_lt_i32_e32 vcc, v5, v2
	v_xor_b32_e32 v6, 8, v1
	s_waitcnt lgkmcnt(0)
	v_max_f32_e32 v0, v0, v0
	v_max_f32_e32 v0, v4, v0
	v_cndmask_b32_e32 v4, v1, v5, vcc
	v_lshlrev_b32_e32 v4, 2, v4
	ds_bpermute_b32 v5, v4, v0
	v_cmp_lt_i32_e32 vcc, v6, v2
	v_xor_b32_e32 v8, 4, v1
	s_waitcnt lgkmcnt(0)
	v_max_f32_e32 v5, v5, v5
	v_max_f32_e32 v0, v0, v5
	v_cndmask_b32_e32 v5, v1, v6, vcc
	v_lshlrev_b32_e32 v7, 2, v5
	ds_bpermute_b32 v5, v7, v0
	v_cmp_lt_i32_e32 vcc, v8, v2
	s_waitcnt lgkmcnt(0)
	v_max_f32_e32 v5, v5, v5
	v_max_f32_e32 v6, v0, v5
	v_cndmask_b32_e32 v0, v1, v8, vcc
	v_lshlrev_b32_e32 v8, 2, v0
	ds_bpermute_b32 v10, v8, v6
	v_and_b32_e32 v0, 63, v14
	v_cmp_eq_u32_e32 vcc, 0, v0
	v_lshlrev_b32_e32 v5, 2, v23
	s_and_saveexec_b64 s[2:3], vcc
	s_cbranch_execz .LBB296_191
; %bb.190:
	s_waitcnt lgkmcnt(0)
	v_max_f32_e32 v10, v10, v10
	v_max_f32_e32 v6, v6, v6
	;; [unrolled: 1-line block ×3, first 2 shown]
	ds_write_b32 v5, v6 offset:224
.LBB296_191:
	s_or_b64 exec, exec, s[2:3]
	v_cmp_gt_u32_e64 s[2:3], 2, v0
	s_waitcnt lgkmcnt(0)
	v_mov_b32_e32 v10, 0xff7fffff
	v_lshlrev_b32_e32 v6, 2, v0
	s_barrier
	s_and_saveexec_b64 s[4:5], s[2:3]
; %bb.192:
	ds_read_b32 v10, v6 offset:224
; %bb.193:
	s_or_b64 exec, exec, s[4:5]
	v_xor_b32_e32 v11, 1, v1
	v_cmp_lt_i32_e64 s[4:5], v11, v2
	v_cndmask_b32_e64 v11, v1, v11, s[4:5]
	v_lshlrev_b32_e32 v20, 2, v11
	s_waitcnt lgkmcnt(0)
	ds_bpermute_b32 v11, v20, v10
	v_max_f32_e32 v10, v10, v10
	v_lshlrev_b32_e32 v9, 2, v9
	s_lshl_b32 s4, s48, 4
	s_min_i32 s23, s4, s33
	s_waitcnt lgkmcnt(0)
	v_max_f32_e32 v11, v11, v11
	v_max_f32_e32 v10, v10, v11
	ds_bpermute_b32 v10, v9, v10
	v_cmp_gt_i32_e64 s[4:5], s23, v14
	v_mov_b32_e32 v9, 0
	s_and_saveexec_b64 s[12:13], s[4:5]
	s_cbranch_execz .LBB296_197
; %bb.194:
	v_mov_b32_e32 v9, 0xf0
	v_lshl_add_u32 v11, v14, 2, v9
	v_mov_b32_e32 v9, 0
	s_mov_b64 s[18:19], 0
	v_mov_b32_e32 v12, v14
.LBB296_195:                            ; =>This Inner Loop Header: Depth=1
	ds_read_b32 v13, v11
	v_add_u32_e32 v12, 0x80, v12
	v_cmp_le_i32_e64 s[6:7], s23, v12
	s_or_b64 s[18:19], s[6:7], s[18:19]
	s_waitcnt lgkmcnt(0)
	v_sub_f32_e32 v13, v13, v10
	v_mul_f32_e32 v13, 0x3fb8aa3b, v13
	v_exp_f32_e32 v13, v13
	ds_write_b32 v11, v13
	v_add_f32_e32 v9, v9, v13
	v_add_u32_e32 v11, 0x200, v11
	s_andn2_b64 exec, exec, s[18:19]
	s_cbranch_execnz .LBB296_195
; %bb.196:
	s_or_b64 exec, exec, s[18:19]
.LBB296_197:
	s_or_b64 exec, exec, s[12:13]
	ds_bpermute_b32 v3, v3, v9
	s_waitcnt lgkmcnt(0)
	v_add_f32_e32 v3, v9, v3
	ds_bpermute_b32 v4, v4, v3
	s_waitcnt lgkmcnt(0)
	v_add_f32_e32 v3, v3, v4
	ds_bpermute_b32 v4, v7, v3
	v_xor_b32_e32 v7, 2, v1
	v_cmp_lt_i32_e64 s[6:7], v7, v2
	v_cndmask_b32_e64 v2, v1, v7, s[6:7]
	v_lshlrev_b32_e32 v2, 2, v2
	s_waitcnt lgkmcnt(0)
	v_add_f32_e32 v3, v3, v4
	ds_bpermute_b32 v4, v8, v3
	s_waitcnt lgkmcnt(0)
	v_add_f32_e32 v3, v3, v4
	ds_bpermute_b32 v2, v2, v3
	;; [unrolled: 3-line block ×3, first 2 shown]
	s_waitcnt lgkmcnt(0)
	v_add_f32_e32 v2, v2, v3
	s_and_saveexec_b64 s[6:7], vcc
; %bb.198:
	ds_write_b32 v5, v2 offset:232
; %bb.199:
	s_or_b64 exec, exec, s[6:7]
	s_waitcnt lgkmcnt(0)
	s_barrier
	s_and_saveexec_b64 s[6:7], s[2:3]
; %bb.200:
	ds_read_b32 v2, v6 offset:232
; %bb.201:
	s_or_b64 exec, exec, s[6:7]
	s_waitcnt lgkmcnt(0)
	ds_bpermute_b32 v3, v20, v2
	v_lshlrev_b32_e32 v1, 2, v1
	v_and_b32_e32 v1, 0x100, v1
	s_waitcnt lgkmcnt(0)
	v_add_f32_e32 v2, v2, v3
	ds_bpermute_b32 v1, v1, v2
	s_and_saveexec_b64 s[2:3], s[4:5]
	s_cbranch_execz .LBB296_204
; %bb.202:
	s_waitcnt lgkmcnt(0)
	v_add_f32_e32 v2, 0x358637bd, v1
	v_div_scale_f32 v1, s[4:5], v2, v2, 1.0
	v_div_scale_f32 v3, vcc, 1.0, v2, 1.0
	s_mov_b64 s[4:5], 0
	v_rcp_f32_e32 v4, v1
	v_fma_f32 v5, -v1, v4, 1.0
	v_fmac_f32_e32 v4, v5, v4
	v_mul_f32_e32 v5, v3, v4
	v_fma_f32 v6, -v1, v5, v3
	v_fmac_f32_e32 v5, v6, v4
	v_fma_f32 v1, -v1, v5, v3
	v_div_fmas_f32 v3, v1, v4, v5
	v_mov_b32_e32 v1, 0xf0
	v_lshl_add_u32 v1, v14, 2, v1
	v_div_fixup_f32 v2, v3, v2, 1.0
	v_mov_b32_e32 v3, v14
.LBB296_203:                            ; =>This Inner Loop Header: Depth=1
	ds_read_b32 v4, v1
	v_add_u32_e32 v3, 0x80, v3
	v_cmp_le_i32_e32 vcc, s23, v3
	s_or_b64 s[4:5], vcc, s[4:5]
	s_waitcnt lgkmcnt(0)
	v_mul_f32_e32 v4, v2, v4
	ds_write_b32 v1, v4
	v_add_u32_e32 v1, 0x200, v1
	s_andn2_b64 exec, exec, s[4:5]
	s_cbranch_execnz .LBB296_203
.LBB296_204:
	s_or_b64 exec, exec, s[2:3]
	v_lshrrev_b32_e32 v21, 1, v0
	s_waitcnt lgkmcnt(0)
	s_barrier
	s_and_saveexec_b64 s[2:3], s[0:1]
	s_xor_b64 s[0:1], exec, s[2:3]
; %bb.205:
	v_lshrrev_b32_e32 v21, 1, v0
                                        ; implicit-def: $vgpr24
                                        ; implicit-def: $vgpr23
                                        ; implicit-def: $vgpr15
; %bb.206:
	s_or_saveexec_b64 s[4:5], s[0:1]
	v_mov_b32_e32 v26, 0
	v_and_b32_e32 v22, 1, v14
	v_mov_b32_e32 v27, 0
	v_mov_b32_e32 v25, 0
	;; [unrolled: 1-line block ×3, first 2 shown]
	s_xor_b64 exec, exec, s[4:5]
	s_cbranch_execz .LBB296_414
; %bb.207:
	s_sub_i32 s37, s16, s21
	s_ashr_i32 s0, s20, 31
	s_add_u32 s6, s34, s20
	s_addc_u32 s7, s35, s0
	s_abs_i32 s34, s22
	v_cvt_f32_u32_e32 v0, s34
	s_sub_i32 s1, 0, s34
	v_lshlrev_b32_e32 v1, 3, v14
	v_or_b32_e32 v2, 0x60, v21
	v_rcp_iflag_f32_e32 v0, v0
	s_movk_i32 s0, 0x70
	v_and_b32_e32 v29, 8, v1
	v_cmp_gt_u32_e32 vcc, s0, v2
	v_mul_f32_e32 v0, 0x4f7ffffe, v0
	v_cvt_u32_f32_e32 v0, v0
	s_add_i32 s38, s48, -1
	v_and_b32_e32 v4, 60, v15
	s_mov_b32 s12, -1
	v_mul_lo_u32 v3, s1, v0
	s_lshl_b64 s[0:1], s[30:31], 2
	s_add_u32 s0, s28, s0
	s_addc_u32 s1, s29, s1
	v_mul_hi_u32 v1, v0, v3
	v_mov_b32_e32 v62, v14
	s_mov_b32 s35, s17
	s_mov_b32 s13, 0xffffff
	v_add_u32_e32 v32, v0, v1
	v_mov_b32_e32 v0, s1
	v_add_co_u32_e64 v11, s[0:1], s0, v4
	v_addc_co_u32_e64 v12, s[0:1], 0, v0, s[0:1]
	v_lshlrev_b32_e32 v0, 5, v22
	v_lshl_or_b32 v0, v23, 6, v0
	v_mov_b32_e32 v10, 0
	v_lshl_or_b32 v30, v21, 4, v29
	v_lshl_or_b32 v31, v2, 4, v29
	v_add_u32_e32 v33, 0xf0, v0
	s_mov_b64 s[16:17], 0
	s_movk_i32 s39, 0x80
	s_movk_i32 s40, 0x7f
	;; [unrolled: 1-line block ×3, first 2 shown]
	s_mov_b32 s42, 0x7060302
	v_bfrev_b32_e32 v34, 60
	v_mov_b32_e32 v28, 0
	v_mov_b32_e32 v25, 0
	;; [unrolled: 1-line block ×4, first 2 shown]
	s_branch .LBB296_211
.LBB296_208:                            ;   in Loop: Header=BB296_211 Depth=1
	s_or_b64 exec, exec, s[2:3]
	v_lshlrev_b32_e32 v9, 16, v7
	v_lshlrev_b32_e32 v43, 16, v55
	v_mul_f32_e32 v9, v9, v43
	v_bfe_u32 v43, v9, 16, 1
	v_add3_u32 v43, v43, v9, s41
	v_or_b32_e32 v55, 0x400000, v9
	v_cmp_u_f32_e64 s[0:1], v9, v9
	v_cndmask_b32_e64 v9, v43, v55, s[0:1]
	v_and_b32_e32 v43, 0xffff0000, v7
	v_lshlrev_b32_e32 v13, 16, v13
	v_mul_f32_e32 v13, v43, v13
	v_bfe_u32 v43, v13, 16, 1
	v_add3_u32 v43, v43, v13, s41
	v_or_b32_e32 v55, 0x400000, v13
	v_cmp_u_f32_e64 s[0:1], v13, v13
	v_cndmask_b32_e64 v13, v43, v55, s[0:1]
	v_lshlrev_b32_e32 v43, 16, v6
	v_lshlrev_b32_e32 v14, 16, v14
	v_mul_f32_e32 v14, v43, v14
	v_bfe_u32 v43, v14, 16, 1
	v_add3_u32 v43, v43, v14, s41
	v_or_b32_e32 v55, 0x400000, v14
	v_cmp_u_f32_e64 s[0:1], v14, v14
	v_cndmask_b32_e64 v14, v43, v55, s[0:1]
	v_and_b32_e32 v43, 0xffff0000, v6
	v_lshlrev_b32_e32 v2, 16, v2
	v_mul_f32_e32 v2, v43, v2
	v_bfe_u32 v43, v2, 16, 1
	v_add3_u32 v43, v43, v2, s41
	v_or_b32_e32 v55, 0x400000, v2
	v_cmp_u_f32_e64 s[0:1], v2, v2
	v_cndmask_b32_e64 v2, v43, v55, s[0:1]
	;; [unrolled: 16-line block ×3, first 2 shown]
	v_lshlrev_b32_e32 v43, 16, v4
	v_lshlrev_b32_e32 v8, 16, v8
	v_mul_f32_e32 v8, v43, v8
	v_bfe_u32 v43, v8, 16, 1
	v_add3_u32 v43, v43, v8, s41
	v_or_b32_e32 v55, 0x400000, v8
	v_cmp_u_f32_e64 s[0:1], v8, v8
	v_cndmask_b32_e64 v8, v43, v55, s[0:1]
	v_and_b32_e32 v43, 0xffff0000, v4
	v_lshlrev_b32_e32 v3, 16, v3
	v_mul_f32_e32 v3, v43, v3
	v_and_b32_e32 v13, 0xffff0000, v13
	v_and_b32_e32 v9, 0xffff0000, v9
	v_bfe_u32 v43, v3, 16, 1
	v_add_f32_e32 v9, v9, v13
	v_and_b32_e32 v2, 0xffff0000, v2
	v_and_b32_e32 v13, 0xffff0000, v14
	v_add3_u32 v43, v43, v3, s41
	v_or_b32_e32 v55, 0x400000, v3
	v_cmp_u_f32_e64 s[0:1], v3, v3
	v_add_f32_e32 v2, v13, v2
	v_and_b32_e32 v1, 0xffff0000, v1
	v_and_b32_e32 v0, 0xffff0000, v0
	v_cndmask_b32_e64 v3, v43, v55, s[0:1]
	v_add_f32_e32 v2, v2, v9
	v_add_f32_e32 v0, v0, v1
	;; [unrolled: 1-line block ×3, first 2 shown]
	v_and_b32_e32 v1, 0xffff0000, v3
	v_and_b32_e32 v2, 0xffff0000, v8
	v_add_f32_e32 v1, v2, v1
	v_add_f32_e32 v0, v1, v0
	;; [unrolled: 1-line block ×3, first 2 shown]
.LBB296_209:                            ;   in Loop: Header=BB296_211 Depth=1
	s_or_b64 exec, exec, s[20:21]
	v_and_b32_e32 v0, 0xffff0000, v7
	v_lshlrev_b32_e32 v1, 16, v53
	v_mul_f32_e32 v1, v0, v1
	v_bfe_u32 v2, v1, 16, 1
	v_add3_u32 v2, v2, v1, s41
	v_or_b32_e32 v3, 0x400000, v1
	v_cmp_u_f32_e64 s[0:1], v1, v1
	v_cndmask_b32_e64 v8, v2, v3, s[0:1]
	v_lshlrev_b32_e32 v1, 16, v7
	v_lshlrev_b32_e32 v2, 16, v54
	v_mul_f32_e32 v2, v1, v2
	v_bfe_u32 v3, v2, 16, 1
	v_add3_u32 v3, v3, v2, s41
	v_or_b32_e32 v7, 0x400000, v2
	v_cmp_u_f32_e64 s[0:1], v2, v2
	v_cndmask_b32_e64 v9, v3, v7, s[0:1]
	v_and_b32_e32 v2, 0xffff0000, v6
	v_lshlrev_b32_e32 v3, 16, v50
	v_mul_f32_e32 v3, v2, v3
	v_bfe_u32 v7, v3, 16, 1
	v_add3_u32 v7, v7, v3, s41
	v_or_b32_e32 v13, 0x400000, v3
	v_cmp_u_f32_e64 s[0:1], v3, v3
	v_lshlrev_b32_e32 v3, 16, v6
	v_lshlrev_b32_e32 v6, 16, v51
	v_mul_f32_e32 v6, v3, v6
	v_cndmask_b32_e64 v13, v7, v13, s[0:1]
	v_bfe_u32 v7, v6, 16, 1
	v_add3_u32 v7, v7, v6, s41
	v_or_b32_e32 v14, 0x400000, v6
	v_cmp_u_f32_e64 s[0:1], v6, v6
	v_cndmask_b32_e64 v14, v7, v14, s[0:1]
	v_and_b32_e32 v6, 0xffff0000, v5
	v_lshlrev_b32_e32 v7, 16, v15
	v_mul_f32_e32 v7, v6, v7
	v_bfe_u32 v15, v7, 16, 1
	v_add3_u32 v15, v15, v7, s41
	v_or_b32_e32 v43, 0x400000, v7
	v_cmp_u_f32_e64 s[0:1], v7, v7
	v_lshlrev_b32_e32 v5, 16, v5
	v_lshlrev_b32_e32 v7, 16, v16
	v_mul_f32_e32 v7, v5, v7
	v_bfe_u32 v16, v7, 16, 1
	v_cndmask_b32_e64 v15, v15, v43, s[0:1]
	v_add3_u32 v16, v16, v7, s41
	v_or_b32_e32 v43, 0x400000, v7
	v_cmp_u_f32_e64 s[0:1], v7, v7
	v_cndmask_b32_e64 v16, v16, v43, s[0:1]
	v_and_b32_e32 v7, 0xffff0000, v4
	v_lshlrev_b32_e32 v43, 16, v52
	v_mul_f32_e32 v43, v7, v43
	v_bfe_u32 v50, v43, 16, 1
	v_lshlrev_b32_e32 v4, 16, v4
	v_lshlrev_b32_e32 v17, 16, v17
	v_and_b32_e32 v9, 0xffff0000, v9
	v_and_b32_e32 v8, 0xffff0000, v8
	v_add3_u32 v50, v50, v43, s41
	v_or_b32_e32 v51, 0x400000, v43
	v_cmp_u_f32_e64 s[0:1], v43, v43
	v_mul_f32_e32 v17, v4, v17
	v_add_f32_e32 v8, v9, v8
	v_and_b32_e32 v9, 0xffff0000, v14
	v_and_b32_e32 v13, 0xffff0000, v13
	v_cndmask_b32_e64 v43, v50, v51, s[0:1]
	v_bfe_u32 v50, v17, 16, 1
	v_add_f32_e32 v9, v9, v13
	v_add3_u32 v50, v50, v17, s41
	v_or_b32_e32 v51, 0x400000, v17
	v_cmp_u_f32_e64 s[0:1], v17, v17
	v_add_f32_e32 v8, v9, v8
	v_and_b32_e32 v9, 0xffff0000, v16
	v_and_b32_e32 v13, 0xffff0000, v15
	v_cndmask_b32_e64 v17, v50, v51, s[0:1]
	v_add_f32_e32 v9, v9, v13
	v_add_f32_e32 v8, v9, v8
	v_and_b32_e32 v9, 0xffff0000, v17
	v_and_b32_e32 v13, 0xffff0000, v43
	v_add_f32_e32 v9, v9, v13
	v_add_f32_e32 v8, v9, v8
	;; [unrolled: 1-line block ×3, first 2 shown]
	v_lshlrev_b32_e32 v8, 16, v48
	v_mul_f32_e32 v8, v0, v8
	v_bfe_u32 v9, v8, 16, 1
	v_add3_u32 v9, v9, v8, s41
	v_or_b32_e32 v13, 0x400000, v8
	v_cmp_u_f32_e64 s[0:1], v8, v8
	v_cndmask_b32_e64 v8, v9, v13, s[0:1]
	v_lshlrev_b32_e32 v9, 16, v49
	v_mul_f32_e32 v9, v1, v9
	v_bfe_u32 v13, v9, 16, 1
	v_add3_u32 v13, v13, v9, s41
	v_or_b32_e32 v14, 0x400000, v9
	v_cmp_u_f32_e64 s[0:1], v9, v9
	v_cndmask_b32_e64 v9, v13, v14, s[0:1]
	;; [unrolled: 7-line block ×7, first 2 shown]
	v_lshlrev_b32_e32 v18, 16, v44
	v_and_b32_e32 v9, 0xffff0000, v9
	v_and_b32_e32 v8, 0xffff0000, v8
	v_mul_f32_e32 v18, v4, v18
	v_add_f32_e32 v8, v9, v8
	v_and_b32_e32 v9, 0xffff0000, v14
	v_and_b32_e32 v13, 0xffff0000, v13
	v_bfe_u32 v19, v18, 16, 1
	v_add_f32_e32 v9, v9, v13
	v_add3_u32 v19, v19, v18, s41
	v_or_b32_e32 v43, 0x400000, v18
	v_cmp_u_f32_e64 s[0:1], v18, v18
	v_add_f32_e32 v8, v9, v8
	v_and_b32_e32 v9, 0xffff0000, v16
	v_and_b32_e32 v13, 0xffff0000, v15
	v_cndmask_b32_e64 v18, v19, v43, s[0:1]
	v_add_f32_e32 v9, v9, v13
	v_add_f32_e32 v8, v9, v8
	v_and_b32_e32 v9, 0xffff0000, v18
	v_and_b32_e32 v13, 0xffff0000, v17
	v_add_f32_e32 v9, v9, v13
	v_add_f32_e32 v8, v9, v8
	;; [unrolled: 1-line block ×3, first 2 shown]
	v_lshlrev_b32_e32 v8, 16, v41
	v_mul_f32_e32 v0, v0, v8
	v_bfe_u32 v8, v0, 16, 1
	v_add3_u32 v8, v8, v0, s41
	v_or_b32_e32 v9, 0x400000, v0
	v_cmp_u_f32_e64 s[0:1], v0, v0
	v_cndmask_b32_e64 v0, v8, v9, s[0:1]
	v_lshlrev_b32_e32 v8, 16, v42
	v_mul_f32_e32 v1, v1, v8
	v_bfe_u32 v8, v1, 16, 1
	v_add3_u32 v8, v8, v1, s41
	v_or_b32_e32 v9, 0x400000, v1
	v_cmp_u_f32_e64 s[0:1], v1, v1
	v_cndmask_b32_e64 v1, v8, v9, s[0:1]
	;; [unrolled: 7-line block ×7, first 2 shown]
	v_lshlrev_b32_e32 v8, 16, v37
	v_and_b32_e32 v1, 0xffff0000, v1
	v_and_b32_e32 v0, 0xffff0000, v0
	v_mul_f32_e32 v4, v4, v8
	v_add_f32_e32 v0, v1, v0
	v_and_b32_e32 v1, 0xffff0000, v3
	v_and_b32_e32 v2, 0xffff0000, v2
	v_bfe_u32 v8, v4, 16, 1
	v_add_f32_e32 v1, v1, v2
	v_add3_u32 v8, v8, v4, s41
	v_or_b32_e32 v9, 0x400000, v4
	v_cmp_u_f32_e64 s[0:1], v4, v4
	v_add_f32_e32 v0, v1, v0
	v_and_b32_e32 v1, 0xffff0000, v5
	v_and_b32_e32 v2, 0xffff0000, v6
	v_cndmask_b32_e64 v4, v8, v9, s[0:1]
	v_add_f32_e32 v1, v1, v2
	v_add_f32_e32 v0, v1, v0
	v_and_b32_e32 v1, 0xffff0000, v4
	v_and_b32_e32 v2, 0xffff0000, v7
	v_add_f32_e32 v1, v1, v2
	v_add_f32_e32 v0, v1, v0
	;; [unrolled: 1-line block ×3, first 2 shown]
.LBB296_210:                            ;   in Loop: Header=BB296_211 Depth=1
	s_or_b64 exec, exec, s[18:19]
	v_add_co_u32_e64 v11, s[0:1], 8, v11
	v_add_u32_e32 v23, 2, v23
	v_addc_co_u32_e64 v12, s[0:1], 0, v12, s[0:1]
	v_cmp_le_i32_e64 s[0:1], s48, v23
	v_add_u32_e32 v24, 32, v24
	s_or_b64 s[16:17], s[0:1], s[16:17]
	v_add_u32_e32 v33, 0x80, v33
	s_andn2_b64 exec, exec, s[16:17]
	s_cbranch_execz .LBB296_413
.LBB296_211:                            ; =>This Inner Loop Header: Depth=1
	v_mul_hi_u32 v0, v24, s46
	v_mul_lo_u32 v1, v0, s25
	v_add_u32_e32 v2, 1, v0
	v_sub_u32_e32 v1, v24, v1
	v_cmp_le_u32_e64 s[0:1], s25, v1
	v_cndmask_b32_e64 v0, v0, v2, s[0:1]
	v_subrev_u32_e32 v2, s25, v1
	v_cndmask_b32_e64 v1, v1, v2, s[0:1]
	v_add_u32_e32 v2, 1, v0
	v_cmp_le_u32_e64 s[0:1], s25, v1
	v_cndmask_b32_e64 v0, v0, v2, s[0:1]
	v_xor_b32_e32 v0, s47, v0
	v_subrev_u32_e32 v0, s47, v0
	v_add_u32_e32 v1, s36, v0
	v_sub_u32_e32 v2, 0, v1
	v_max_i32_e32 v2, v1, v2
	v_mul_hi_u32 v3, v2, v32
	v_ashrrev_i32_e32 v1, 31, v1
	v_cmp_lt_i32_e64 s[2:3], s37, v0
	v_mul_lo_u32 v3, v3, s34
	v_sub_u32_e32 v2, v2, v3
	v_subrev_u32_e32 v3, s34, v2
	v_cmp_le_u32_e64 s[0:1], s34, v2
	v_cndmask_b32_e64 v2, v2, v3, s[0:1]
	v_subrev_u32_e32 v3, s34, v2
	v_cmp_le_u32_e64 s[0:1], s34, v2
	v_cndmask_b32_e64 v2, v2, v3, s[0:1]
	v_xor_b32_e32 v2, v2, v1
	v_sub_u32_e32 v1, v2, v1
	v_cmp_eq_u32_e64 s[0:1], 0, v1
	s_or_b64 s[0:1], s[0:1], s[2:3]
	s_and_saveexec_b64 s[18:19], s[0:1]
	s_cbranch_execz .LBB296_210
; %bb.212:                              ;   in Loop: Header=BB296_211 Depth=1
	global_load_dword v2, v[11:12], off
	v_mov_b32_e32 v0, s6
	v_mov_b32_e32 v1, s7
	;; [unrolled: 1-line block ×4, first 2 shown]
	s_waitcnt vmcnt(0)
	v_mad_i64_i32 v[13:14], s[0:1], v2, s35, v[0:1]
	v_add_co_u32_e64 v15, s[0:1], v13, v30
	v_addc_co_u32_e64 v16, s[0:1], 0, v14, s[0:1]
	global_load_dwordx2 v[17:18], v[15:16], off
	ds_read2_b64 v[5:8], v33 offset1:1
	ds_read2_b64 v[1:4], v33 offset0:2 offset1:3
	s_load_dword s43, s[14:15], 0x0
	s_waitcnt vmcnt(0)
	v_cmp_ne_u16_sdwa s[0:1], v17, v10 src0_sel:BYTE_0 src1_sel:DWORD
	s_and_saveexec_b64 s[2:3], s[0:1]
	s_cbranch_execz .LBB296_218
; %bb.213:                              ;   in Loop: Header=BB296_211 Depth=1
	v_cmp_ne_u16_sdwa s[0:1], v17, s39 src0_sel:BYTE_0 src1_sel:DWORD
	v_bfrev_b32_e32 v37, 1
	s_and_saveexec_b64 s[20:21], s[0:1]
	s_cbranch_execz .LBB296_217
; %bb.214:                              ;   in Loop: Header=BB296_211 Depth=1
	v_and_b32_e32 v0, 0x7f, v17
	v_cmp_ne_u32_e64 s[0:1], s40, v0
	v_mov_b32_e32 v37, 0x7f800001
	s_and_saveexec_b64 s[22:23], s[0:1]
	s_cbranch_execz .LBB296_216
; %bb.215:                              ;   in Loop: Header=BB296_211 Depth=1
	v_and_b32_e32 v9, 7, v17
	v_ffbh_u32_e32 v9, v9
	v_min_u32_e32 v9, 32, v9
	v_lshrrev_b32_e32 v19, 3, v0
	v_subrev_u32_e32 v35, 28, v9
	v_sub_u32_e32 v9, 29, v9
	v_cmp_gt_u32_e64 s[0:1], 8, v0
	v_cndmask_b32_e64 v0, v19, v9, s[0:1]
	v_cndmask_b32_e64 v9, 0, v35, s[0:1]
	v_lshlrev_b64 v[35:36], v9, v[17:18]
	v_lshlrev_b32_e32 v19, 24, v17
	v_lshlrev_b32_e32 v9, 20, v35
	v_and_b32_e32 v9, 0x700000, v9
	v_and_b32_e32 v19, 0x80000000, v19
	v_lshl_add_u32 v0, v0, 23, v34
	v_or3_b32 v37, v19, v0, v9
.LBB296_216:                            ;   in Loop: Header=BB296_211 Depth=1
	s_or_b64 exec, exec, s[22:23]
.LBB296_217:                            ;   in Loop: Header=BB296_211 Depth=1
	s_or_b64 exec, exec, s[20:21]
.LBB296_218:                            ;   in Loop: Header=BB296_211 Depth=1
	s_or_b64 exec, exec, s[2:3]
	v_lshrrev_b16_e32 v9, 8, v17
	v_cmp_ne_u16_e64 s[0:1], 0, v9
	s_and_saveexec_b64 s[2:3], s[0:1]
	s_cbranch_execz .LBB296_224
; %bb.219:                              ;   in Loop: Header=BB296_211 Depth=1
	v_cmp_ne_u16_e64 s[0:1], s39, v9
	v_bfrev_b32_e32 v40, 1
	s_and_saveexec_b64 s[20:21], s[0:1]
	s_cbranch_execz .LBB296_223
; %bb.220:                              ;   in Loop: Header=BB296_211 Depth=1
	v_and_b32_e32 v0, 0x7f, v9
	v_cmp_ne_u32_e64 s[0:1], s40, v0
	v_mov_b32_e32 v40, 0x7f800001
	s_and_saveexec_b64 s[22:23], s[0:1]
	s_cbranch_execz .LBB296_222
; %bb.221:                              ;   in Loop: Header=BB296_211 Depth=1
	v_and_b32_e32 v19, 7, v9
	v_ffbh_u32_e32 v35, v19
	v_min_u32_e32 v39, 32, v35
	v_subrev_u32_e32 v35, 28, v39
	v_lshlrev_b64 v[35:36], v35, v[9:10]
	v_lshrrev_b32_e32 v38, 3, v0
	v_sub_u32_e32 v9, 29, v39
	v_and_b32_e32 v35, 7, v35
	v_cmp_gt_u32_e64 s[0:1], 8, v0
	v_cndmask_b32_e64 v0, v38, v9, s[0:1]
	v_cndmask_b32_e64 v9, v19, v35, s[0:1]
	v_lshlrev_b32_e32 v19, 16, v17
	v_lshlrev_b32_e32 v9, 20, v9
	v_and_b32_e32 v19, 0x80000000, v19
	v_lshl_add_u32 v0, v0, 23, v34
	v_or3_b32 v40, v19, v0, v9
.LBB296_222:                            ;   in Loop: Header=BB296_211 Depth=1
	s_or_b64 exec, exec, s[22:23]
.LBB296_223:                            ;   in Loop: Header=BB296_211 Depth=1
	s_or_b64 exec, exec, s[20:21]
.LBB296_224:                            ;   in Loop: Header=BB296_211 Depth=1
	s_or_b64 exec, exec, s[2:3]
	v_lshrrev_b32_e32 v9, 16, v17
	v_cmp_ne_u16_sdwa s[0:1], v9, v10 src0_sel:BYTE_0 src1_sel:DWORD
	v_mov_b32_e32 v38, 0
	v_mov_b32_e32 v39, 0
	s_and_saveexec_b64 s[2:3], s[0:1]
	s_cbranch_execz .LBB296_230
; %bb.225:                              ;   in Loop: Header=BB296_211 Depth=1
	v_cmp_ne_u16_sdwa s[0:1], v9, s39 src0_sel:BYTE_0 src1_sel:DWORD
	v_bfrev_b32_e32 v39, 1
	s_and_saveexec_b64 s[20:21], s[0:1]
	s_cbranch_execz .LBB296_229
; %bb.226:                              ;   in Loop: Header=BB296_211 Depth=1
	v_bfe_u32 v0, v17, 16, 7
	v_cmp_ne_u32_e64 s[0:1], s40, v0
	v_mov_b32_e32 v39, 0x7f800001
	s_and_saveexec_b64 s[22:23], s[0:1]
	s_cbranch_execz .LBB296_228
; %bb.227:                              ;   in Loop: Header=BB296_211 Depth=1
	v_and_b32_e32 v19, 7, v9
	v_ffbh_u32_e32 v35, v19
	v_min_u32_e32 v41, 32, v35
	v_subrev_u32_e32 v35, 28, v41
	v_lshlrev_b64 v[35:36], v35, v[9:10]
	v_lshrrev_b32_e32 v39, 3, v0
	v_sub_u32_e32 v36, 29, v41
	v_and_b32_e32 v35, 7, v35
	v_cmp_gt_u32_e64 s[0:1], 8, v0
	v_cndmask_b32_e64 v0, v39, v36, s[0:1]
	v_cndmask_b32_e64 v19, v19, v35, s[0:1]
	v_lshlrev_b32_e32 v9, 24, v9
	v_lshlrev_b32_e32 v19, 20, v19
	v_and_b32_e32 v9, 0x80000000, v9
	v_lshl_add_u32 v0, v0, 23, v34
	v_or3_b32 v39, v9, v0, v19
.LBB296_228:                            ;   in Loop: Header=BB296_211 Depth=1
	s_or_b64 exec, exec, s[22:23]
.LBB296_229:                            ;   in Loop: Header=BB296_211 Depth=1
	s_or_b64 exec, exec, s[20:21]
.LBB296_230:                            ;   in Loop: Header=BB296_211 Depth=1
	s_or_b64 exec, exec, s[2:3]
	v_cmp_lt_u32_e64 s[0:1], s13, v17
	s_and_saveexec_b64 s[2:3], s[0:1]
	s_cbranch_execz .LBB296_236
; %bb.231:                              ;   in Loop: Header=BB296_211 Depth=1
	v_lshrrev_b32_e32 v9, 24, v17
	v_cmp_ne_u32_e64 s[0:1], s39, v9
	v_bfrev_b32_e32 v38, 1
	s_and_saveexec_b64 s[20:21], s[0:1]
	s_cbranch_execz .LBB296_235
; %bb.232:                              ;   in Loop: Header=BB296_211 Depth=1
	v_bfe_u32 v0, v17, 24, 7
	v_cmp_ne_u32_e64 s[0:1], s40, v0
	v_mov_b32_e32 v38, 0x7f800001
	s_and_saveexec_b64 s[22:23], s[0:1]
	s_cbranch_execz .LBB296_234
; %bb.233:                              ;   in Loop: Header=BB296_211 Depth=1
	v_and_b32_e32 v19, 7, v9
	v_ffbh_u32_e32 v35, v19
	v_min_u32_e32 v41, 32, v35
	v_subrev_u32_e32 v35, 28, v41
	v_lshlrev_b64 v[35:36], v35, v[9:10]
	v_lshrrev_b32_e32 v38, 3, v0
	v_sub_u32_e32 v36, 29, v41
	v_and_b32_e32 v35, 7, v35
	v_cmp_gt_u32_e64 s[0:1], 8, v0
	v_cndmask_b32_e64 v0, v38, v36, s[0:1]
	v_cndmask_b32_e64 v19, v19, v35, s[0:1]
	v_lshlrev_b32_e32 v9, 24, v9
	v_lshlrev_b32_e32 v19, 20, v19
	v_and_b32_e32 v9, 0x80000000, v9
	v_lshl_add_u32 v0, v0, 23, v34
	v_or3_b32 v38, v9, v0, v19
.LBB296_234:                            ;   in Loop: Header=BB296_211 Depth=1
	s_or_b64 exec, exec, s[22:23]
.LBB296_235:                            ;   in Loop: Header=BB296_211 Depth=1
	s_or_b64 exec, exec, s[20:21]
.LBB296_236:                            ;   in Loop: Header=BB296_211 Depth=1
	s_or_b64 exec, exec, s[2:3]
	v_mov_b32_e32 v9, v18
	v_cmp_ne_u16_sdwa s[0:1], v18, v10 src0_sel:BYTE_0 src1_sel:DWORD
	v_mov_b32_e32 v35, 0
	v_mov_b32_e32 v0, 0
	s_and_saveexec_b64 s[2:3], s[0:1]
	s_cbranch_execz .LBB296_242
; %bb.237:                              ;   in Loop: Header=BB296_211 Depth=1
	v_cmp_ne_u16_sdwa s[0:1], v18, s39 src0_sel:BYTE_0 src1_sel:DWORD
	v_bfrev_b32_e32 v0, 1
	s_and_saveexec_b64 s[20:21], s[0:1]
	s_cbranch_execz .LBB296_241
; %bb.238:                              ;   in Loop: Header=BB296_211 Depth=1
	v_and_b32_e32 v19, 0x7f, v18
	v_cmp_ne_u32_e64 s[0:1], s40, v19
	v_mov_b32_e32 v0, 0x7f800001
	s_and_saveexec_b64 s[22:23], s[0:1]
	s_cbranch_execz .LBB296_240
; %bb.239:                              ;   in Loop: Header=BB296_211 Depth=1
	v_and_b32_e32 v0, 7, v18
	v_ffbh_u32_e32 v0, v0
	v_min_u32_e32 v0, 32, v0
	v_subrev_u32_e32 v41, 28, v0
	v_cmp_gt_u32_e64 s[0:1], 8, v19
	v_lshrrev_b32_e32 v36, 3, v19
	v_cndmask_b32_e64 v19, 0, v41, s[0:1]
	v_lshlrev_b64 v[41:42], v19, v[9:10]
	v_sub_u32_e32 v0, 29, v0
	v_cndmask_b32_e64 v0, v36, v0, s[0:1]
	v_lshlrev_b32_e32 v19, 20, v41
	v_lshlrev_b32_e32 v36, 24, v9
	v_and_b32_e32 v19, 0x700000, v19
	v_and_b32_e32 v36, 0x80000000, v36
	v_lshl_add_u32 v0, v0, 23, v34
	v_or3_b32 v0, v36, v0, v19
.LBB296_240:                            ;   in Loop: Header=BB296_211 Depth=1
	s_or_b64 exec, exec, s[22:23]
.LBB296_241:                            ;   in Loop: Header=BB296_211 Depth=1
	s_or_b64 exec, exec, s[20:21]
.LBB296_242:                            ;   in Loop: Header=BB296_211 Depth=1
	s_or_b64 exec, exec, s[2:3]
	v_lshrrev_b16_e32 v19, 8, v9
	v_cmp_ne_u16_e64 s[0:1], 0, v19
	s_and_saveexec_b64 s[2:3], s[0:1]
	s_cbranch_execz .LBB296_248
; %bb.243:                              ;   in Loop: Header=BB296_211 Depth=1
	v_cmp_ne_u16_e64 s[0:1], s39, v19
	v_bfrev_b32_e32 v35, 1
	s_and_saveexec_b64 s[20:21], s[0:1]
	s_cbranch_execz .LBB296_247
; %bb.244:                              ;   in Loop: Header=BB296_211 Depth=1
	v_and_b32_e32 v36, 0x7f, v19
	v_cmp_ne_u32_e64 s[0:1], s40, v36
	v_mov_b32_e32 v35, 0x7f800001
	s_and_saveexec_b64 s[22:23], s[0:1]
	s_cbranch_execz .LBB296_246
; %bb.245:                              ;   in Loop: Header=BB296_211 Depth=1
	v_and_b32_e32 v35, 7, v19
	v_ffbh_u32_e32 v41, v35
	v_min_u32_e32 v44, 32, v41
	v_subrev_u32_e32 v41, 28, v44
	v_lshlrev_b64 v[41:42], v41, v[19:20]
	v_lshrrev_b32_e32 v43, 3, v36
	v_sub_u32_e32 v19, 29, v44
	v_and_b32_e32 v41, 7, v41
	v_cmp_gt_u32_e64 s[0:1], 8, v36
	v_cndmask_b32_e64 v19, v43, v19, s[0:1]
	v_cndmask_b32_e64 v35, v35, v41, s[0:1]
	v_lshlrev_b32_e32 v9, 16, v9
	v_lshlrev_b32_e32 v35, 20, v35
	v_and_b32_e32 v9, 0x80000000, v9
	v_lshl_add_u32 v19, v19, 23, v34
	v_or3_b32 v35, v9, v19, v35
.LBB296_246:                            ;   in Loop: Header=BB296_211 Depth=1
	s_or_b64 exec, exec, s[22:23]
.LBB296_247:                            ;   in Loop: Header=BB296_211 Depth=1
	s_or_b64 exec, exec, s[20:21]
.LBB296_248:                            ;   in Loop: Header=BB296_211 Depth=1
	s_or_b64 exec, exec, s[2:3]
	v_lshrrev_b32_e32 v9, 16, v18
	v_cmp_ne_u16_sdwa s[0:1], v9, v10 src0_sel:BYTE_0 src1_sel:DWORD
	v_mov_b32_e32 v19, 0
	v_mov_b32_e32 v44, 0
	s_and_saveexec_b64 s[2:3], s[0:1]
	s_cbranch_execz .LBB296_254
; %bb.249:                              ;   in Loop: Header=BB296_211 Depth=1
	v_cmp_ne_u16_sdwa s[0:1], v9, s39 src0_sel:BYTE_0 src1_sel:DWORD
	v_bfrev_b32_e32 v44, 1
	s_and_saveexec_b64 s[20:21], s[0:1]
	s_cbranch_execz .LBB296_253
; %bb.250:                              ;   in Loop: Header=BB296_211 Depth=1
	v_bfe_u32 v36, v18, 16, 7
	v_cmp_ne_u32_e64 s[0:1], s40, v36
	v_mov_b32_e32 v44, 0x7f800001
	s_and_saveexec_b64 s[22:23], s[0:1]
	s_cbranch_execz .LBB296_252
; %bb.251:                              ;   in Loop: Header=BB296_211 Depth=1
	v_and_b32_e32 v43, 7, v9
	v_ffbh_u32_e32 v41, v43
	v_min_u32_e32 v45, 32, v41
	v_subrev_u32_e32 v41, 28, v45
	v_lshlrev_b64 v[41:42], v41, v[9:10]
	v_lshrrev_b32_e32 v44, 3, v36
	v_sub_u32_e32 v42, 29, v45
	v_and_b32_e32 v41, 7, v41
	v_cmp_gt_u32_e64 s[0:1], 8, v36
	v_cndmask_b32_e64 v36, v44, v42, s[0:1]
	v_cndmask_b32_e64 v41, v43, v41, s[0:1]
	v_lshlrev_b32_e32 v9, 24, v9
	v_lshlrev_b32_e32 v41, 20, v41
	v_and_b32_e32 v9, 0x80000000, v9
	v_lshl_add_u32 v36, v36, 23, v34
	v_or3_b32 v44, v9, v36, v41
.LBB296_252:                            ;   in Loop: Header=BB296_211 Depth=1
	s_or_b64 exec, exec, s[22:23]
.LBB296_253:                            ;   in Loop: Header=BB296_211 Depth=1
	s_or_b64 exec, exec, s[20:21]
.LBB296_254:                            ;   in Loop: Header=BB296_211 Depth=1
	s_or_b64 exec, exec, s[2:3]
	v_cmp_lt_u64_e64 s[0:1], s[12:13], v[17:18]
	s_and_saveexec_b64 s[2:3], s[0:1]
	s_cbranch_execz .LBB296_260
; %bb.255:                              ;   in Loop: Header=BB296_211 Depth=1
	v_lshrrev_b32_e32 v9, 24, v18
	v_cmp_ne_u32_e64 s[0:1], s39, v9
	v_bfrev_b32_e32 v19, 1
	s_and_saveexec_b64 s[20:21], s[0:1]
	s_cbranch_execz .LBB296_259
; %bb.256:                              ;   in Loop: Header=BB296_211 Depth=1
	v_bfe_u32 v17, v18, 24, 7
	v_cmp_ne_u32_e64 s[0:1], s40, v17
	v_mov_b32_e32 v19, 0x7f800001
	s_and_saveexec_b64 s[22:23], s[0:1]
	s_cbranch_execz .LBB296_258
; %bb.257:                              ;   in Loop: Header=BB296_211 Depth=1
	v_and_b32_e32 v36, 7, v9
	v_ffbh_u32_e32 v18, v36
	v_min_u32_e32 v42, 32, v18
	v_subrev_u32_e32 v18, 28, v42
	v_lshlrev_b64 v[18:19], v18, v[9:10]
	v_lshrrev_b32_e32 v41, 3, v17
	v_sub_u32_e32 v19, 29, v42
	v_and_b32_e32 v18, 7, v18
	v_cmp_gt_u32_e64 s[0:1], 8, v17
	v_cndmask_b32_e64 v17, v41, v19, s[0:1]
	v_cndmask_b32_e64 v18, v36, v18, s[0:1]
	v_lshlrev_b32_e32 v9, 24, v9
	v_lshlrev_b32_e32 v18, 20, v18
	v_and_b32_e32 v9, 0x80000000, v9
	v_lshl_add_u32 v17, v17, 23, v34
	v_or3_b32 v19, v9, v17, v18
.LBB296_258:                            ;   in Loop: Header=BB296_211 Depth=1
	s_or_b64 exec, exec, s[22:23]
.LBB296_259:                            ;   in Loop: Header=BB296_211 Depth=1
	s_or_b64 exec, exec, s[20:21]
.LBB296_260:                            ;   in Loop: Header=BB296_211 Depth=1
	s_or_b64 exec, exec, s[2:3]
	s_waitcnt lgkmcnt(0)
	v_mul_f32_e32 v9, s43, v35
	v_bfe_u32 v17, v9, 16, 1
	v_add3_u32 v17, v17, v9, s41
	v_or_b32_e32 v18, 0x400000, v9
	v_cmp_u_f32_e64 s[2:3], v9, v9
	v_cndmask_b32_e64 v9, v17, v18, s[2:3]
	v_mul_f32_e32 v0, s43, v0
	v_lshrrev_b32_e32 v35, 16, v9
	v_bfe_u32 v9, v0, 16, 1
	v_add3_u32 v9, v9, v0, s41
	v_or_b32_e32 v17, 0x400000, v0
	v_cmp_u_f32_e64 s[2:3], v0, v0
	v_cndmask_b32_e64 v0, v9, v17, s[2:3]
	v_lshrrev_b32_e32 v36, 16, v0
	v_mul_f32_e32 v0, s43, v38
	v_bfe_u32 v9, v0, 16, 1
	v_add3_u32 v9, v9, v0, s41
	v_or_b32_e32 v17, 0x400000, v0
	v_cmp_u_f32_e64 s[2:3], v0, v0
	v_cndmask_b32_e64 v0, v9, v17, s[2:3]
	v_lshrrev_b32_e32 v38, 16, v0
	v_mul_f32_e32 v0, s43, v39
	;; [unrolled: 7-line block ×6, first 2 shown]
	v_bfe_u32 v9, v0, 16, 1
	v_add3_u32 v9, v9, v0, s41
	v_or_b32_e32 v17, 0x400000, v0
	v_cmp_u_f32_e64 s[2:3], v0, v0
	v_cndmask_b32_e64 v0, v9, v17, s[2:3]
	v_add_u32_e32 v43, v29, v24
	v_cmp_eq_u32_e64 s[0:1], s38, v23
	v_lshrrev_b32_e32 v40, 16, v0
	s_and_saveexec_b64 s[20:21], s[0:1]
	s_cbranch_execz .LBB296_262
; %bb.261:                              ;   in Loop: Header=BB296_211 Depth=1
	v_cmp_gt_i32_e64 s[2:3], s33, v43
	v_add_u32_e32 v0, 1, v43
	v_cndmask_b32_e64 v42, 0, v42, s[2:3]
	v_cmp_gt_i32_e64 s[2:3], s33, v0
	v_add_u32_e32 v0, 2, v43
	v_cndmask_b32_e64 v41, 0, v41, s[2:3]
	v_cmp_gt_i32_e64 s[2:3], s33, v0
	v_add_u32_e32 v0, 3, v43
	v_cndmask_b32_e64 v39, 0, v39, s[2:3]
	v_cmp_gt_i32_e64 s[2:3], s33, v0
	v_add_u32_e32 v0, 4, v43
	v_cndmask_b32_e64 v38, 0, v38, s[2:3]
	v_cmp_gt_i32_e64 s[2:3], s33, v0
	v_add_u32_e32 v0, 5, v43
	v_cndmask_b32_e64 v36, 0, v36, s[2:3]
	v_cmp_gt_i32_e64 s[2:3], s33, v0
	v_add_u32_e32 v0, 6, v43
	v_cndmask_b32_e64 v35, 0, v35, s[2:3]
	v_cmp_gt_i32_e64 s[2:3], s33, v0
	v_add_u32_e32 v0, 7, v43
	v_cndmask_b32_e64 v37, 0, v37, s[2:3]
	v_cmp_gt_i32_e64 s[2:3], s33, v0
	v_cndmask_b32_e64 v40, 0, v40, s[2:3]
.LBB296_262:                            ;   in Loop: Header=BB296_211 Depth=1
	s_or_b64 exec, exec, s[20:21]
	global_load_dwordx2 v[17:18], v[15:16], off offset:512
	v_mov_b32_e32 v47, 0
	v_mov_b32_e32 v44, 0
	s_waitcnt vmcnt(0)
	v_cmp_ne_u16_sdwa s[2:3], v17, v10 src0_sel:BYTE_0 src1_sel:DWORD
	s_and_saveexec_b64 s[20:21], s[2:3]
	s_cbranch_execz .LBB296_268
; %bb.263:                              ;   in Loop: Header=BB296_211 Depth=1
	v_cmp_ne_u16_sdwa s[2:3], v17, s39 src0_sel:BYTE_0 src1_sel:DWORD
	v_bfrev_b32_e32 v44, 1
	s_and_saveexec_b64 s[22:23], s[2:3]
	s_cbranch_execz .LBB296_267
; %bb.264:                              ;   in Loop: Header=BB296_211 Depth=1
	v_and_b32_e32 v0, 0x7f, v17
	v_cmp_ne_u32_e64 s[2:3], s40, v0
	v_mov_b32_e32 v44, 0x7f800001
	s_and_saveexec_b64 s[28:29], s[2:3]
	s_cbranch_execz .LBB296_266
; %bb.265:                              ;   in Loop: Header=BB296_211 Depth=1
	v_and_b32_e32 v9, 7, v17
	v_ffbh_u32_e32 v9, v9
	v_min_u32_e32 v9, 32, v9
	v_lshrrev_b32_e32 v19, 3, v0
	v_subrev_u32_e32 v44, 28, v9
	v_sub_u32_e32 v9, 29, v9
	v_cmp_gt_u32_e64 s[2:3], 8, v0
	v_cndmask_b32_e64 v0, v19, v9, s[2:3]
	v_cndmask_b32_e64 v9, 0, v44, s[2:3]
	v_lshlrev_b64 v[44:45], v9, v[17:18]
	v_lshlrev_b32_e32 v19, 24, v17
	v_lshlrev_b32_e32 v9, 20, v44
	v_and_b32_e32 v9, 0x700000, v9
	v_and_b32_e32 v19, 0x80000000, v19
	v_lshl_add_u32 v0, v0, 23, v34
	v_or3_b32 v44, v19, v0, v9
.LBB296_266:                            ;   in Loop: Header=BB296_211 Depth=1
	s_or_b64 exec, exec, s[28:29]
.LBB296_267:                            ;   in Loop: Header=BB296_211 Depth=1
	s_or_b64 exec, exec, s[22:23]
.LBB296_268:                            ;   in Loop: Header=BB296_211 Depth=1
	s_or_b64 exec, exec, s[20:21]
	v_lshrrev_b16_e32 v9, 8, v17
	v_cmp_ne_u16_e64 s[2:3], 0, v9
	s_and_saveexec_b64 s[20:21], s[2:3]
	s_cbranch_execz .LBB296_274
; %bb.269:                              ;   in Loop: Header=BB296_211 Depth=1
	v_cmp_ne_u16_e64 s[2:3], s39, v9
	v_bfrev_b32_e32 v47, 1
	s_and_saveexec_b64 s[22:23], s[2:3]
	s_cbranch_execz .LBB296_273
; %bb.270:                              ;   in Loop: Header=BB296_211 Depth=1
	v_and_b32_e32 v0, 0x7f, v9
	v_cmp_ne_u32_e64 s[2:3], s40, v0
	v_mov_b32_e32 v47, 0x7f800001
	s_and_saveexec_b64 s[28:29], s[2:3]
	s_cbranch_execz .LBB296_272
; %bb.271:                              ;   in Loop: Header=BB296_211 Depth=1
	v_and_b32_e32 v19, 7, v9
	v_ffbh_u32_e32 v45, v19
	v_min_u32_e32 v48, 32, v45
	v_subrev_u32_e32 v45, 28, v48
	v_lshlrev_b64 v[45:46], v45, v[9:10]
	v_lshrrev_b32_e32 v47, 3, v0
	v_sub_u32_e32 v9, 29, v48
	v_and_b32_e32 v45, 7, v45
	v_cmp_gt_u32_e64 s[2:3], 8, v0
	v_cndmask_b32_e64 v0, v47, v9, s[2:3]
	v_cndmask_b32_e64 v9, v19, v45, s[2:3]
	v_lshlrev_b32_e32 v19, 16, v17
	v_lshlrev_b32_e32 v9, 20, v9
	v_and_b32_e32 v19, 0x80000000, v19
	v_lshl_add_u32 v0, v0, 23, v34
	v_or3_b32 v47, v19, v0, v9
.LBB296_272:                            ;   in Loop: Header=BB296_211 Depth=1
	s_or_b64 exec, exec, s[28:29]
.LBB296_273:                            ;   in Loop: Header=BB296_211 Depth=1
	s_or_b64 exec, exec, s[22:23]
.LBB296_274:                            ;   in Loop: Header=BB296_211 Depth=1
	s_or_b64 exec, exec, s[20:21]
	v_lshrrev_b32_e32 v9, 16, v17
	v_cmp_ne_u16_sdwa s[2:3], v9, v10 src0_sel:BYTE_0 src1_sel:DWORD
	v_mov_b32_e32 v45, 0
	v_mov_b32_e32 v46, 0
	s_and_saveexec_b64 s[20:21], s[2:3]
	s_cbranch_execz .LBB296_280
; %bb.275:                              ;   in Loop: Header=BB296_211 Depth=1
	v_cmp_ne_u16_sdwa s[2:3], v9, s39 src0_sel:BYTE_0 src1_sel:DWORD
	v_bfrev_b32_e32 v46, 1
	s_and_saveexec_b64 s[22:23], s[2:3]
	s_cbranch_execz .LBB296_279
; %bb.276:                              ;   in Loop: Header=BB296_211 Depth=1
	v_bfe_u32 v0, v17, 16, 7
	v_cmp_ne_u32_e64 s[2:3], s40, v0
	v_mov_b32_e32 v46, 0x7f800001
	s_and_saveexec_b64 s[28:29], s[2:3]
	s_cbranch_execz .LBB296_278
; %bb.277:                              ;   in Loop: Header=BB296_211 Depth=1
	v_and_b32_e32 v19, 7, v9
	v_ffbh_u32_e32 v48, v19
	v_min_u32_e32 v50, 32, v48
	v_subrev_u32_e32 v48, 28, v50
	v_lshlrev_b64 v[48:49], v48, v[9:10]
	v_lshrrev_b32_e32 v46, 3, v0
	v_sub_u32_e32 v49, 29, v50
	v_and_b32_e32 v48, 7, v48
	v_cmp_gt_u32_e64 s[2:3], 8, v0
	v_cndmask_b32_e64 v0, v46, v49, s[2:3]
	v_cndmask_b32_e64 v19, v19, v48, s[2:3]
	v_lshlrev_b32_e32 v9, 24, v9
	v_lshlrev_b32_e32 v19, 20, v19
	v_and_b32_e32 v9, 0x80000000, v9
	v_lshl_add_u32 v0, v0, 23, v34
	v_or3_b32 v46, v9, v0, v19
.LBB296_278:                            ;   in Loop: Header=BB296_211 Depth=1
	s_or_b64 exec, exec, s[28:29]
.LBB296_279:                            ;   in Loop: Header=BB296_211 Depth=1
	s_or_b64 exec, exec, s[22:23]
.LBB296_280:                            ;   in Loop: Header=BB296_211 Depth=1
	s_or_b64 exec, exec, s[20:21]
	v_cmp_lt_u32_e64 s[2:3], s13, v17
	s_and_saveexec_b64 s[20:21], s[2:3]
	s_cbranch_execz .LBB296_286
; %bb.281:                              ;   in Loop: Header=BB296_211 Depth=1
	v_lshrrev_b32_e32 v9, 24, v17
	v_cmp_ne_u32_e64 s[2:3], s39, v9
	v_bfrev_b32_e32 v45, 1
	s_and_saveexec_b64 s[22:23], s[2:3]
	s_cbranch_execz .LBB296_285
; %bb.282:                              ;   in Loop: Header=BB296_211 Depth=1
	v_bfe_u32 v0, v17, 24, 7
	v_cmp_ne_u32_e64 s[2:3], s40, v0
	v_mov_b32_e32 v45, 0x7f800001
	s_and_saveexec_b64 s[28:29], s[2:3]
	s_cbranch_execz .LBB296_284
; %bb.283:                              ;   in Loop: Header=BB296_211 Depth=1
	v_and_b32_e32 v19, 7, v9
	v_ffbh_u32_e32 v48, v19
	v_min_u32_e32 v50, 32, v48
	v_subrev_u32_e32 v48, 28, v50
	v_lshlrev_b64 v[48:49], v48, v[9:10]
	v_lshrrev_b32_e32 v45, 3, v0
	v_sub_u32_e32 v49, 29, v50
	v_and_b32_e32 v48, 7, v48
	v_cmp_gt_u32_e64 s[2:3], 8, v0
	v_cndmask_b32_e64 v0, v45, v49, s[2:3]
	v_cndmask_b32_e64 v19, v19, v48, s[2:3]
	v_lshlrev_b32_e32 v9, 24, v9
	v_lshlrev_b32_e32 v19, 20, v19
	v_and_b32_e32 v9, 0x80000000, v9
	v_lshl_add_u32 v0, v0, 23, v34
	v_or3_b32 v45, v9, v0, v19
.LBB296_284:                            ;   in Loop: Header=BB296_211 Depth=1
	s_or_b64 exec, exec, s[28:29]
.LBB296_285:                            ;   in Loop: Header=BB296_211 Depth=1
	s_or_b64 exec, exec, s[22:23]
.LBB296_286:                            ;   in Loop: Header=BB296_211 Depth=1
	s_or_b64 exec, exec, s[20:21]
	v_mov_b32_e32 v9, v18
	v_cmp_ne_u16_sdwa s[2:3], v18, v10 src0_sel:BYTE_0 src1_sel:DWORD
	v_mov_b32_e32 v48, 0
	v_mov_b32_e32 v0, 0
	s_and_saveexec_b64 s[20:21], s[2:3]
	s_cbranch_execz .LBB296_292
; %bb.287:                              ;   in Loop: Header=BB296_211 Depth=1
	v_cmp_ne_u16_sdwa s[2:3], v18, s39 src0_sel:BYTE_0 src1_sel:DWORD
	v_bfrev_b32_e32 v0, 1
	s_and_saveexec_b64 s[22:23], s[2:3]
	s_cbranch_execz .LBB296_291
; %bb.288:                              ;   in Loop: Header=BB296_211 Depth=1
	v_and_b32_e32 v19, 0x7f, v18
	v_cmp_ne_u32_e64 s[2:3], s40, v19
	v_mov_b32_e32 v0, 0x7f800001
	s_and_saveexec_b64 s[28:29], s[2:3]
	s_cbranch_execz .LBB296_290
; %bb.289:                              ;   in Loop: Header=BB296_211 Depth=1
	v_and_b32_e32 v0, 7, v18
	v_ffbh_u32_e32 v0, v0
	v_min_u32_e32 v0, 32, v0
	v_subrev_u32_e32 v50, 28, v0
	v_cmp_gt_u32_e64 s[2:3], 8, v19
	v_lshrrev_b32_e32 v49, 3, v19
	v_sub_u32_e32 v0, 29, v0
	v_cndmask_b32_e64 v19, 0, v50, s[2:3]
	v_cndmask_b32_e64 v0, v49, v0, s[2:3]
	v_lshlrev_b64 v[49:50], v19, v[9:10]
	v_lshl_add_u32 v0, v0, 23, v34
	v_lshlrev_b32_e32 v19, 20, v49
	v_lshlrev_b32_e32 v49, 24, v9
	v_and_b32_e32 v19, 0x700000, v19
	v_and_b32_e32 v49, 0x80000000, v49
	v_or3_b32 v0, v49, v0, v19
.LBB296_290:                            ;   in Loop: Header=BB296_211 Depth=1
	s_or_b64 exec, exec, s[28:29]
.LBB296_291:                            ;   in Loop: Header=BB296_211 Depth=1
	s_or_b64 exec, exec, s[22:23]
.LBB296_292:                            ;   in Loop: Header=BB296_211 Depth=1
	s_or_b64 exec, exec, s[20:21]
	v_lshrrev_b16_e32 v19, 8, v9
	v_cmp_ne_u16_e64 s[2:3], 0, v19
	s_and_saveexec_b64 s[20:21], s[2:3]
	s_cbranch_execz .LBB296_298
; %bb.293:                              ;   in Loop: Header=BB296_211 Depth=1
	v_cmp_ne_u16_e64 s[2:3], s39, v19
	v_bfrev_b32_e32 v48, 1
	s_and_saveexec_b64 s[22:23], s[2:3]
	s_cbranch_execz .LBB296_297
; %bb.294:                              ;   in Loop: Header=BB296_211 Depth=1
	v_and_b32_e32 v49, 0x7f, v19
	v_cmp_ne_u32_e64 s[2:3], s40, v49
	v_mov_b32_e32 v48, 0x7f800001
	s_and_saveexec_b64 s[28:29], s[2:3]
	s_cbranch_execz .LBB296_296
; %bb.295:                              ;   in Loop: Header=BB296_211 Depth=1
	v_and_b32_e32 v48, 7, v19
	v_ffbh_u32_e32 v50, v48
	v_min_u32_e32 v53, 32, v50
	v_subrev_u32_e32 v50, 28, v53
	v_lshlrev_b64 v[50:51], v50, v[19:20]
	v_lshrrev_b32_e32 v52, 3, v49
	v_sub_u32_e32 v19, 29, v53
	v_and_b32_e32 v50, 7, v50
	v_cmp_gt_u32_e64 s[2:3], 8, v49
	v_cndmask_b32_e64 v19, v52, v19, s[2:3]
	v_cndmask_b32_e64 v48, v48, v50, s[2:3]
	v_lshlrev_b32_e32 v9, 16, v9
	v_lshlrev_b32_e32 v48, 20, v48
	v_and_b32_e32 v9, 0x80000000, v9
	v_lshl_add_u32 v19, v19, 23, v34
	v_or3_b32 v48, v9, v19, v48
.LBB296_296:                            ;   in Loop: Header=BB296_211 Depth=1
	s_or_b64 exec, exec, s[28:29]
.LBB296_297:                            ;   in Loop: Header=BB296_211 Depth=1
	s_or_b64 exec, exec, s[22:23]
.LBB296_298:                            ;   in Loop: Header=BB296_211 Depth=1
	s_or_b64 exec, exec, s[20:21]
	v_lshrrev_b32_e32 v9, 16, v18
	v_cmp_ne_u16_sdwa s[2:3], v9, v10 src0_sel:BYTE_0 src1_sel:DWORD
	v_mov_b32_e32 v50, 0
	v_mov_b32_e32 v51, 0
	s_and_saveexec_b64 s[20:21], s[2:3]
	s_cbranch_execz .LBB296_304
; %bb.299:                              ;   in Loop: Header=BB296_211 Depth=1
	v_cmp_ne_u16_sdwa s[2:3], v9, s39 src0_sel:BYTE_0 src1_sel:DWORD
	v_bfrev_b32_e32 v51, 1
	s_and_saveexec_b64 s[22:23], s[2:3]
	s_cbranch_execz .LBB296_303
; %bb.300:                              ;   in Loop: Header=BB296_211 Depth=1
	v_bfe_u32 v19, v18, 16, 7
	v_cmp_ne_u32_e64 s[2:3], s40, v19
	v_mov_b32_e32 v51, 0x7f800001
	s_and_saveexec_b64 s[28:29], s[2:3]
	s_cbranch_execz .LBB296_302
; %bb.301:                              ;   in Loop: Header=BB296_211 Depth=1
	v_and_b32_e32 v49, 7, v9
	v_ffbh_u32_e32 v51, v49
	v_min_u32_e32 v54, 32, v51
	v_subrev_u32_e32 v51, 28, v54
	v_lshlrev_b64 v[51:52], v51, v[9:10]
	v_lshrrev_b32_e32 v53, 3, v19
	v_sub_u32_e32 v52, 29, v54
	v_and_b32_e32 v51, 7, v51
	v_cmp_gt_u32_e64 s[2:3], 8, v19
	v_cndmask_b32_e64 v19, v53, v52, s[2:3]
	v_cndmask_b32_e64 v49, v49, v51, s[2:3]
	v_lshlrev_b32_e32 v9, 24, v9
	v_lshlrev_b32_e32 v49, 20, v49
	v_and_b32_e32 v9, 0x80000000, v9
	v_lshl_add_u32 v19, v19, 23, v34
	v_or3_b32 v51, v9, v19, v49
.LBB296_302:                            ;   in Loop: Header=BB296_211 Depth=1
	s_or_b64 exec, exec, s[28:29]
.LBB296_303:                            ;   in Loop: Header=BB296_211 Depth=1
	s_or_b64 exec, exec, s[22:23]
.LBB296_304:                            ;   in Loop: Header=BB296_211 Depth=1
	s_or_b64 exec, exec, s[20:21]
	v_cmp_lt_u64_e64 s[2:3], s[12:13], v[17:18]
	s_and_saveexec_b64 s[20:21], s[2:3]
	s_cbranch_execz .LBB296_310
; %bb.305:                              ;   in Loop: Header=BB296_211 Depth=1
	v_lshrrev_b32_e32 v9, 24, v18
	v_cmp_ne_u32_e64 s[2:3], s39, v9
	v_bfrev_b32_e32 v50, 1
	s_and_saveexec_b64 s[22:23], s[2:3]
	s_cbranch_execz .LBB296_309
; %bb.306:                              ;   in Loop: Header=BB296_211 Depth=1
	v_bfe_u32 v17, v18, 24, 7
	v_cmp_ne_u32_e64 s[2:3], s40, v17
	v_mov_b32_e32 v50, 0x7f800001
	s_and_saveexec_b64 s[28:29], s[2:3]
	s_cbranch_execz .LBB296_308
; %bb.307:                              ;   in Loop: Header=BB296_211 Depth=1
	v_and_b32_e32 v49, 7, v9
	v_ffbh_u32_e32 v18, v49
	v_min_u32_e32 v52, 32, v18
	v_subrev_u32_e32 v18, 28, v52
	v_lshlrev_b64 v[18:19], v18, v[9:10]
	v_lshrrev_b32_e32 v50, 3, v17
	v_sub_u32_e32 v19, 29, v52
	v_and_b32_e32 v18, 7, v18
	v_cmp_gt_u32_e64 s[2:3], 8, v17
	v_cndmask_b32_e64 v17, v50, v19, s[2:3]
	v_cndmask_b32_e64 v18, v49, v18, s[2:3]
	v_lshlrev_b32_e32 v9, 24, v9
	v_lshlrev_b32_e32 v18, 20, v18
	v_and_b32_e32 v9, 0x80000000, v9
	v_lshl_add_u32 v17, v17, 23, v34
	v_or3_b32 v50, v9, v17, v18
.LBB296_308:                            ;   in Loop: Header=BB296_211 Depth=1
	s_or_b64 exec, exec, s[28:29]
.LBB296_309:                            ;   in Loop: Header=BB296_211 Depth=1
	s_or_b64 exec, exec, s[22:23]
.LBB296_310:                            ;   in Loop: Header=BB296_211 Depth=1
	s_or_b64 exec, exec, s[20:21]
	v_mul_f32_e32 v9, s43, v48
	v_bfe_u32 v17, v9, 16, 1
	v_add3_u32 v17, v17, v9, s41
	v_or_b32_e32 v18, 0x400000, v9
	v_cmp_u_f32_e64 s[2:3], v9, v9
	v_cndmask_b32_e64 v9, v17, v18, s[2:3]
	v_mul_f32_e32 v0, s43, v0
	v_lshrrev_b32_e32 v18, 16, v9
	v_bfe_u32 v9, v0, 16, 1
	v_add3_u32 v9, v9, v0, s41
	v_or_b32_e32 v17, 0x400000, v0
	v_cmp_u_f32_e64 s[2:3], v0, v0
	v_cndmask_b32_e64 v0, v9, v17, s[2:3]
	v_lshrrev_b32_e32 v19, 16, v0
	v_mul_f32_e32 v0, s43, v45
	v_bfe_u32 v9, v0, 16, 1
	v_add3_u32 v9, v9, v0, s41
	v_or_b32_e32 v17, 0x400000, v0
	v_cmp_u_f32_e64 s[2:3], v0, v0
	v_cndmask_b32_e64 v0, v9, v17, s[2:3]
	v_lshrrev_b32_e32 v45, 16, v0
	v_mul_f32_e32 v0, s43, v46
	;; [unrolled: 7-line block ×6, first 2 shown]
	v_bfe_u32 v9, v0, 16, 1
	v_add3_u32 v9, v9, v0, s41
	v_or_b32_e32 v17, 0x400000, v0
	v_cmp_u_f32_e64 s[2:3], v0, v0
	v_cndmask_b32_e64 v0, v9, v17, s[2:3]
	v_lshrrev_b32_e32 v47, 16, v0
	s_and_saveexec_b64 s[20:21], s[0:1]
	s_cbranch_execz .LBB296_312
; %bb.311:                              ;   in Loop: Header=BB296_211 Depth=1
	v_cmp_gt_i32_e64 s[2:3], s33, v43
	v_add_u32_e32 v0, 1, v43
	v_cndmask_b32_e64 v49, 0, v49, s[2:3]
	v_cmp_gt_i32_e64 s[2:3], s33, v0
	v_add_u32_e32 v0, 2, v43
	v_cndmask_b32_e64 v48, 0, v48, s[2:3]
	;; [unrolled: 3-line block ×7, first 2 shown]
	v_cmp_gt_i32_e64 s[2:3], s33, v0
	v_cndmask_b32_e64 v47, 0, v47, s[2:3]
.LBB296_312:                            ;   in Loop: Header=BB296_211 Depth=1
	s_or_b64 exec, exec, s[20:21]
	global_load_dwordx2 v[15:16], v[15:16], off offset:1024
	v_mov_b32_e32 v53, 0
	v_mov_b32_e32 v52, 0
	s_waitcnt vmcnt(0)
	v_cmp_ne_u16_sdwa s[2:3], v15, v10 src0_sel:BYTE_0 src1_sel:DWORD
	s_and_saveexec_b64 s[20:21], s[2:3]
	s_cbranch_execz .LBB296_318
; %bb.313:                              ;   in Loop: Header=BB296_211 Depth=1
	v_cmp_ne_u16_sdwa s[2:3], v15, s39 src0_sel:BYTE_0 src1_sel:DWORD
	v_bfrev_b32_e32 v52, 1
	s_and_saveexec_b64 s[22:23], s[2:3]
	s_cbranch_execz .LBB296_317
; %bb.314:                              ;   in Loop: Header=BB296_211 Depth=1
	v_and_b32_e32 v0, 0x7f, v15
	v_cmp_ne_u32_e64 s[2:3], s40, v0
	v_mov_b32_e32 v52, 0x7f800001
	s_and_saveexec_b64 s[28:29], s[2:3]
	s_cbranch_execz .LBB296_316
; %bb.315:                              ;   in Loop: Header=BB296_211 Depth=1
	v_and_b32_e32 v9, 7, v15
	v_ffbh_u32_e32 v9, v9
	v_min_u32_e32 v9, 32, v9
	v_lshrrev_b32_e32 v17, 3, v0
	v_subrev_u32_e32 v50, 28, v9
	v_sub_u32_e32 v9, 29, v9
	v_cmp_gt_u32_e64 s[2:3], 8, v0
	v_cndmask_b32_e64 v0, v17, v9, s[2:3]
	v_cndmask_b32_e64 v9, 0, v50, s[2:3]
	v_lshlrev_b64 v[50:51], v9, v[15:16]
	v_lshlrev_b32_e32 v17, 24, v15
	v_lshlrev_b32_e32 v9, 20, v50
	v_and_b32_e32 v9, 0x700000, v9
	v_and_b32_e32 v17, 0x80000000, v17
	v_lshl_add_u32 v0, v0, 23, v34
	v_or3_b32 v52, v17, v0, v9
.LBB296_316:                            ;   in Loop: Header=BB296_211 Depth=1
	s_or_b64 exec, exec, s[28:29]
.LBB296_317:                            ;   in Loop: Header=BB296_211 Depth=1
	s_or_b64 exec, exec, s[22:23]
.LBB296_318:                            ;   in Loop: Header=BB296_211 Depth=1
	s_or_b64 exec, exec, s[20:21]
	v_lshrrev_b16_e32 v9, 8, v15
	v_cmp_ne_u16_e64 s[2:3], 0, v9
	s_and_saveexec_b64 s[20:21], s[2:3]
	s_cbranch_execz .LBB296_324
; %bb.319:                              ;   in Loop: Header=BB296_211 Depth=1
	v_cmp_ne_u16_e64 s[2:3], s39, v9
	v_bfrev_b32_e32 v53, 1
	s_and_saveexec_b64 s[22:23], s[2:3]
	s_cbranch_execz .LBB296_323
; %bb.320:                              ;   in Loop: Header=BB296_211 Depth=1
	v_and_b32_e32 v0, 0x7f, v9
	v_cmp_ne_u32_e64 s[2:3], s40, v0
	v_mov_b32_e32 v53, 0x7f800001
	s_and_saveexec_b64 s[28:29], s[2:3]
	s_cbranch_execz .LBB296_322
; %bb.321:                              ;   in Loop: Header=BB296_211 Depth=1
	v_and_b32_e32 v17, 7, v9
	v_ffbh_u32_e32 v50, v17
	v_min_u32_e32 v54, 32, v50
	v_subrev_u32_e32 v50, 28, v54
	v_lshlrev_b64 v[50:51], v50, v[9:10]
	v_lshrrev_b32_e32 v53, 3, v0
	v_sub_u32_e32 v9, 29, v54
	v_and_b32_e32 v50, 7, v50
	v_cmp_gt_u32_e64 s[2:3], 8, v0
	v_cndmask_b32_e64 v0, v53, v9, s[2:3]
	v_cndmask_b32_e64 v9, v17, v50, s[2:3]
	v_lshlrev_b32_e32 v17, 16, v15
	v_lshlrev_b32_e32 v9, 20, v9
	v_and_b32_e32 v17, 0x80000000, v17
	v_lshl_add_u32 v0, v0, 23, v34
	v_or3_b32 v53, v17, v0, v9
.LBB296_322:                            ;   in Loop: Header=BB296_211 Depth=1
	s_or_b64 exec, exec, s[28:29]
.LBB296_323:                            ;   in Loop: Header=BB296_211 Depth=1
	s_or_b64 exec, exec, s[22:23]
.LBB296_324:                            ;   in Loop: Header=BB296_211 Depth=1
	s_or_b64 exec, exec, s[20:21]
	v_lshrrev_b32_e32 v9, 16, v15
	v_cmp_ne_u16_sdwa s[2:3], v9, v10 src0_sel:BYTE_0 src1_sel:DWORD
	v_mov_b32_e32 v50, 0
	v_mov_b32_e32 v51, 0
	s_and_saveexec_b64 s[20:21], s[2:3]
	s_cbranch_execz .LBB296_330
; %bb.325:                              ;   in Loop: Header=BB296_211 Depth=1
	v_cmp_ne_u16_sdwa s[2:3], v9, s39 src0_sel:BYTE_0 src1_sel:DWORD
	v_bfrev_b32_e32 v51, 1
	s_and_saveexec_b64 s[22:23], s[2:3]
	s_cbranch_execz .LBB296_329
; %bb.326:                              ;   in Loop: Header=BB296_211 Depth=1
	v_bfe_u32 v0, v15, 16, 7
	v_cmp_ne_u32_e64 s[2:3], s40, v0
	v_mov_b32_e32 v51, 0x7f800001
	s_and_saveexec_b64 s[28:29], s[2:3]
	s_cbranch_execz .LBB296_328
; %bb.327:                              ;   in Loop: Header=BB296_211 Depth=1
	v_and_b32_e32 v17, 7, v9
	v_ffbh_u32_e32 v54, v17
	v_min_u32_e32 v56, 32, v54
	v_subrev_u32_e32 v54, 28, v56
	v_lshlrev_b64 v[54:55], v54, v[9:10]
	v_lshrrev_b32_e32 v51, 3, v0
	v_sub_u32_e32 v55, 29, v56
	v_and_b32_e32 v54, 7, v54
	v_cmp_gt_u32_e64 s[2:3], 8, v0
	v_cndmask_b32_e64 v0, v51, v55, s[2:3]
	v_cndmask_b32_e64 v17, v17, v54, s[2:3]
	v_lshlrev_b32_e32 v9, 24, v9
	v_lshlrev_b32_e32 v17, 20, v17
	v_and_b32_e32 v9, 0x80000000, v9
	v_lshl_add_u32 v0, v0, 23, v34
	v_or3_b32 v51, v9, v0, v17
.LBB296_328:                            ;   in Loop: Header=BB296_211 Depth=1
	s_or_b64 exec, exec, s[28:29]
.LBB296_329:                            ;   in Loop: Header=BB296_211 Depth=1
	s_or_b64 exec, exec, s[22:23]
.LBB296_330:                            ;   in Loop: Header=BB296_211 Depth=1
	s_or_b64 exec, exec, s[20:21]
	v_cmp_lt_u32_e64 s[2:3], s13, v15
	s_and_saveexec_b64 s[20:21], s[2:3]
	s_cbranch_execz .LBB296_336
; %bb.331:                              ;   in Loop: Header=BB296_211 Depth=1
	v_lshrrev_b32_e32 v9, 24, v15
	v_cmp_ne_u32_e64 s[2:3], s39, v9
	v_bfrev_b32_e32 v50, 1
	s_and_saveexec_b64 s[22:23], s[2:3]
	s_cbranch_execz .LBB296_335
; %bb.332:                              ;   in Loop: Header=BB296_211 Depth=1
	v_bfe_u32 v0, v15, 24, 7
	v_cmp_ne_u32_e64 s[2:3], s40, v0
	v_mov_b32_e32 v50, 0x7f800001
	s_and_saveexec_b64 s[28:29], s[2:3]
	s_cbranch_execz .LBB296_334
; %bb.333:                              ;   in Loop: Header=BB296_211 Depth=1
	v_and_b32_e32 v17, 7, v9
	v_ffbh_u32_e32 v54, v17
	v_min_u32_e32 v56, 32, v54
	v_subrev_u32_e32 v54, 28, v56
	v_lshlrev_b64 v[54:55], v54, v[9:10]
	v_lshrrev_b32_e32 v50, 3, v0
	v_sub_u32_e32 v55, 29, v56
	v_and_b32_e32 v54, 7, v54
	v_cmp_gt_u32_e64 s[2:3], 8, v0
	v_cndmask_b32_e64 v0, v50, v55, s[2:3]
	v_cndmask_b32_e64 v17, v17, v54, s[2:3]
	v_lshlrev_b32_e32 v9, 24, v9
	v_lshlrev_b32_e32 v17, 20, v17
	v_and_b32_e32 v9, 0x80000000, v9
	v_lshl_add_u32 v0, v0, 23, v34
	v_or3_b32 v50, v9, v0, v17
.LBB296_334:                            ;   in Loop: Header=BB296_211 Depth=1
	s_or_b64 exec, exec, s[28:29]
.LBB296_335:                            ;   in Loop: Header=BB296_211 Depth=1
	s_or_b64 exec, exec, s[22:23]
.LBB296_336:                            ;   in Loop: Header=BB296_211 Depth=1
	s_or_b64 exec, exec, s[20:21]
	v_mov_b32_e32 v9, v16
	v_cmp_ne_u16_sdwa s[2:3], v16, v10 src0_sel:BYTE_0 src1_sel:DWORD
	v_mov_b32_e32 v54, 0
	v_mov_b32_e32 v0, 0
	s_and_saveexec_b64 s[20:21], s[2:3]
	s_cbranch_execz .LBB296_342
; %bb.337:                              ;   in Loop: Header=BB296_211 Depth=1
	v_cmp_ne_u16_sdwa s[2:3], v16, s39 src0_sel:BYTE_0 src1_sel:DWORD
	v_bfrev_b32_e32 v0, 1
	s_and_saveexec_b64 s[22:23], s[2:3]
	s_cbranch_execz .LBB296_341
; %bb.338:                              ;   in Loop: Header=BB296_211 Depth=1
	v_and_b32_e32 v17, 0x7f, v16
	v_cmp_ne_u32_e64 s[2:3], s40, v17
	v_mov_b32_e32 v0, 0x7f800001
	s_and_saveexec_b64 s[28:29], s[2:3]
	s_cbranch_execz .LBB296_340
; %bb.339:                              ;   in Loop: Header=BB296_211 Depth=1
	v_and_b32_e32 v0, 7, v16
	v_ffbh_u32_e32 v0, v0
	v_min_u32_e32 v0, 32, v0
	v_subrev_u32_e32 v56, 28, v0
	v_cmp_gt_u32_e64 s[2:3], 8, v17
	v_lshrrev_b32_e32 v55, 3, v17
	v_sub_u32_e32 v0, 29, v0
	v_cndmask_b32_e64 v17, 0, v56, s[2:3]
	v_cndmask_b32_e64 v0, v55, v0, s[2:3]
	v_lshlrev_b64 v[55:56], v17, v[9:10]
	v_lshl_add_u32 v0, v0, 23, v34
	v_lshlrev_b32_e32 v17, 20, v55
	v_lshlrev_b32_e32 v55, 24, v9
	v_and_b32_e32 v17, 0x700000, v17
	v_and_b32_e32 v55, 0x80000000, v55
	v_or3_b32 v0, v55, v0, v17
.LBB296_340:                            ;   in Loop: Header=BB296_211 Depth=1
	s_or_b64 exec, exec, s[28:29]
.LBB296_341:                            ;   in Loop: Header=BB296_211 Depth=1
	s_or_b64 exec, exec, s[22:23]
.LBB296_342:                            ;   in Loop: Header=BB296_211 Depth=1
	s_or_b64 exec, exec, s[20:21]
	v_lshrrev_b16_e32 v17, 8, v9
	v_cmp_ne_u16_e64 s[2:3], 0, v17
	s_and_saveexec_b64 s[20:21], s[2:3]
	s_cbranch_execz .LBB296_348
; %bb.343:                              ;   in Loop: Header=BB296_211 Depth=1
	v_cmp_ne_u16_e64 s[2:3], s39, v17
	v_bfrev_b32_e32 v54, 1
	s_and_saveexec_b64 s[22:23], s[2:3]
	s_cbranch_execz .LBB296_347
; %bb.344:                              ;   in Loop: Header=BB296_211 Depth=1
	v_and_b32_e32 v55, 0x7f, v17
	v_cmp_ne_u32_e64 s[2:3], s40, v55
	v_mov_b32_e32 v54, 0x7f800001
	s_and_saveexec_b64 s[28:29], s[2:3]
	s_cbranch_execz .LBB296_346
; %bb.345:                              ;   in Loop: Header=BB296_211 Depth=1
	v_and_b32_e32 v54, 7, v17
	v_ffbh_u32_e32 v56, v54
	v_min_u32_e32 v59, 32, v56
	v_subrev_u32_e32 v56, 28, v59
	v_lshlrev_b64 v[56:57], v56, v[17:18]
	v_lshrrev_b32_e32 v58, 3, v55
	v_sub_u32_e32 v17, 29, v59
	v_and_b32_e32 v56, 7, v56
	v_cmp_gt_u32_e64 s[2:3], 8, v55
	v_cndmask_b32_e64 v17, v58, v17, s[2:3]
	v_cndmask_b32_e64 v54, v54, v56, s[2:3]
	v_lshlrev_b32_e32 v9, 16, v9
	v_lshlrev_b32_e32 v54, 20, v54
	v_and_b32_e32 v9, 0x80000000, v9
	v_lshl_add_u32 v17, v17, 23, v34
	v_or3_b32 v54, v9, v17, v54
.LBB296_346:                            ;   in Loop: Header=BB296_211 Depth=1
	s_or_b64 exec, exec, s[28:29]
.LBB296_347:                            ;   in Loop: Header=BB296_211 Depth=1
	s_or_b64 exec, exec, s[22:23]
.LBB296_348:                            ;   in Loop: Header=BB296_211 Depth=1
	s_or_b64 exec, exec, s[20:21]
	v_lshrrev_b32_e32 v9, 16, v16
	v_cmp_ne_u16_sdwa s[2:3], v9, v10 src0_sel:BYTE_0 src1_sel:DWORD
	v_mov_b32_e32 v55, 0
	v_mov_b32_e32 v17, 0
	s_and_saveexec_b64 s[20:21], s[2:3]
	s_cbranch_execz .LBB296_354
; %bb.349:                              ;   in Loop: Header=BB296_211 Depth=1
	v_cmp_ne_u16_sdwa s[2:3], v9, s39 src0_sel:BYTE_0 src1_sel:DWORD
	v_bfrev_b32_e32 v17, 1
	s_and_saveexec_b64 s[22:23], s[2:3]
	s_cbranch_execz .LBB296_353
; %bb.350:                              ;   in Loop: Header=BB296_211 Depth=1
	v_bfe_u32 v56, v16, 16, 7
	v_cmp_ne_u32_e64 s[2:3], s40, v56
	v_mov_b32_e32 v17, 0x7f800001
	s_and_saveexec_b64 s[28:29], s[2:3]
	s_cbranch_execz .LBB296_352
; %bb.351:                              ;   in Loop: Header=BB296_211 Depth=1
	v_and_b32_e32 v17, 7, v9
	v_ffbh_u32_e32 v57, v17
	v_min_u32_e32 v60, 32, v57
	v_subrev_u32_e32 v57, 28, v60
	v_lshlrev_b64 v[57:58], v57, v[9:10]
	v_lshrrev_b32_e32 v59, 3, v56
	v_sub_u32_e32 v58, 29, v60
	v_and_b32_e32 v57, 7, v57
	v_cmp_gt_u32_e64 s[2:3], 8, v56
	v_cndmask_b32_e64 v56, v59, v58, s[2:3]
	v_cndmask_b32_e64 v17, v17, v57, s[2:3]
	v_lshlrev_b32_e32 v9, 24, v9
	v_lshlrev_b32_e32 v17, 20, v17
	v_and_b32_e32 v9, 0x80000000, v9
	v_lshl_add_u32 v56, v56, 23, v34
	v_or3_b32 v17, v9, v56, v17
.LBB296_352:                            ;   in Loop: Header=BB296_211 Depth=1
	s_or_b64 exec, exec, s[28:29]
.LBB296_353:                            ;   in Loop: Header=BB296_211 Depth=1
	s_or_b64 exec, exec, s[22:23]
.LBB296_354:                            ;   in Loop: Header=BB296_211 Depth=1
	s_or_b64 exec, exec, s[20:21]
	v_cmp_lt_u64_e64 s[2:3], s[12:13], v[15:16]
	s_and_saveexec_b64 s[20:21], s[2:3]
	s_cbranch_execz .LBB296_360
; %bb.355:                              ;   in Loop: Header=BB296_211 Depth=1
	v_lshrrev_b32_e32 v9, 24, v16
	v_cmp_ne_u32_e64 s[2:3], s39, v9
	v_bfrev_b32_e32 v55, 1
	s_and_saveexec_b64 s[22:23], s[2:3]
	s_cbranch_execz .LBB296_359
; %bb.356:                              ;   in Loop: Header=BB296_211 Depth=1
	v_bfe_u32 v15, v16, 24, 7
	v_cmp_ne_u32_e64 s[2:3], s40, v15
	v_mov_b32_e32 v55, 0x7f800001
	s_and_saveexec_b64 s[28:29], s[2:3]
	s_cbranch_execz .LBB296_358
; %bb.357:                              ;   in Loop: Header=BB296_211 Depth=1
	v_and_b32_e32 v16, 7, v9
	v_ffbh_u32_e32 v55, v16
	v_min_u32_e32 v58, 32, v55
	v_subrev_u32_e32 v55, 28, v58
	v_lshlrev_b64 v[55:56], v55, v[9:10]
	v_lshrrev_b32_e32 v57, 3, v15
	v_sub_u32_e32 v56, 29, v58
	v_and_b32_e32 v55, 7, v55
	v_cmp_gt_u32_e64 s[2:3], 8, v15
	v_cndmask_b32_e64 v15, v57, v56, s[2:3]
	v_cndmask_b32_e64 v16, v16, v55, s[2:3]
	v_lshlrev_b32_e32 v9, 24, v9
	v_lshlrev_b32_e32 v16, 20, v16
	v_and_b32_e32 v9, 0x80000000, v9
	v_lshl_add_u32 v15, v15, 23, v34
	v_or3_b32 v55, v9, v15, v16
.LBB296_358:                            ;   in Loop: Header=BB296_211 Depth=1
	s_or_b64 exec, exec, s[28:29]
.LBB296_359:                            ;   in Loop: Header=BB296_211 Depth=1
	s_or_b64 exec, exec, s[22:23]
.LBB296_360:                            ;   in Loop: Header=BB296_211 Depth=1
	s_or_b64 exec, exec, s[20:21]
	v_mul_f32_e32 v9, s43, v54
	v_bfe_u32 v15, v9, 16, 1
	v_add3_u32 v15, v15, v9, s41
	v_or_b32_e32 v16, 0x400000, v9
	v_cmp_u_f32_e64 s[2:3], v9, v9
	v_cndmask_b32_e64 v9, v15, v16, s[2:3]
	v_mul_f32_e32 v0, s43, v0
	v_lshrrev_b32_e32 v15, 16, v9
	v_bfe_u32 v9, v0, 16, 1
	v_add3_u32 v9, v9, v0, s41
	v_or_b32_e32 v16, 0x400000, v0
	v_cmp_u_f32_e64 s[2:3], v0, v0
	v_cndmask_b32_e64 v0, v9, v16, s[2:3]
	v_lshrrev_b32_e32 v16, 16, v0
	v_mul_f32_e32 v0, s43, v50
	v_bfe_u32 v9, v0, 16, 1
	v_add3_u32 v9, v9, v0, s41
	v_or_b32_e32 v50, 0x400000, v0
	v_cmp_u_f32_e64 s[2:3], v0, v0
	v_cndmask_b32_e64 v0, v9, v50, s[2:3]
	v_lshrrev_b32_e32 v50, 16, v0
	v_mul_f32_e32 v0, s43, v51
	;; [unrolled: 7-line block ×6, first 2 shown]
	v_bfe_u32 v9, v0, 16, 1
	v_add3_u32 v9, v9, v0, s41
	v_or_b32_e32 v52, 0x400000, v0
	v_cmp_u_f32_e64 s[2:3], v0, v0
	v_cndmask_b32_e64 v0, v9, v52, s[2:3]
	v_lshrrev_b32_e32 v52, 16, v0
	s_and_saveexec_b64 s[20:21], s[0:1]
	s_cbranch_execz .LBB296_362
; %bb.361:                              ;   in Loop: Header=BB296_211 Depth=1
	v_cmp_gt_i32_e64 s[2:3], s33, v43
	v_add_u32_e32 v0, 1, v43
	v_cndmask_b32_e64 v54, 0, v54, s[2:3]
	v_cmp_gt_i32_e64 s[2:3], s33, v0
	v_add_u32_e32 v0, 2, v43
	v_cndmask_b32_e64 v53, 0, v53, s[2:3]
	;; [unrolled: 3-line block ×7, first 2 shown]
	v_cmp_gt_i32_e64 s[2:3], s33, v0
	v_cndmask_b32_e64 v52, 0, v52, s[2:3]
.LBB296_362:                            ;   in Loop: Header=BB296_211 Depth=1
	s_or_b64 exec, exec, s[20:21]
	v_bfe_u32 v0, v5, 16, 1
	v_add3_u32 v0, v0, v5, s41
	v_or_b32_e32 v9, 0x400000, v5
	v_cmp_u_f32_e64 s[2:3], v5, v5
	v_bfe_u32 v5, v6, 16, 1
	v_cndmask_b32_e64 v0, v0, v9, s[2:3]
	v_add3_u32 v5, v5, v6, s41
	v_or_b32_e32 v9, 0x400000, v6
	v_cmp_u_f32_e64 s[2:3], v6, v6
	v_bfe_u32 v6, v7, 16, 1
	v_cndmask_b32_e64 v5, v5, v9, s[2:3]
	;; [unrolled: 5-line block ×3, first 2 shown]
	v_add3_u32 v7, v7, v8, s41
	v_or_b32_e32 v9, 0x400000, v8
	v_cmp_u_f32_e64 s[2:3], v8, v8
	v_cndmask_b32_e64 v8, v7, v9, s[2:3]
	v_bfe_u32 v7, v1, 16, 1
	v_add3_u32 v7, v7, v1, s41
	v_or_b32_e32 v9, 0x400000, v1
	v_cmp_u_f32_e64 s[2:3], v1, v1
	v_cndmask_b32_e64 v1, v7, v9, s[2:3]
	v_bfe_u32 v7, v2, 16, 1
	;; [unrolled: 5-line block ×4, first 2 shown]
	v_add3_u32 v7, v7, v4, s41
	v_or_b32_e32 v9, 0x400000, v4
	v_cmp_u_f32_e64 s[2:3], v4, v4
	v_cndmask_b32_e64 v4, v7, v9, s[2:3]
	v_perm_b32 v7, v5, v0, s42
	v_perm_b32 v6, v8, v6, s42
	;; [unrolled: 1-line block ×4, first 2 shown]
	s_and_saveexec_b64 s[20:21], vcc
	s_cbranch_execz .LBB296_209
; %bb.363:                              ;   in Loop: Header=BB296_211 Depth=1
	v_add_co_u32_e64 v0, s[2:3], v13, v31
	v_addc_co_u32_e64 v1, s[2:3], 0, v14, s[2:3]
	global_load_dwordx2 v[1:2], v[0:1], off
	v_mov_b32_e32 v13, 0
	v_mov_b32_e32 v8, 0
	s_waitcnt vmcnt(0)
	v_cmp_ne_u16_sdwa s[2:3], v1, v10 src0_sel:BYTE_0 src1_sel:DWORD
	s_and_saveexec_b64 s[22:23], s[2:3]
	s_cbranch_execz .LBB296_369
; %bb.364:                              ;   in Loop: Header=BB296_211 Depth=1
	v_cmp_ne_u16_sdwa s[2:3], v1, s39 src0_sel:BYTE_0 src1_sel:DWORD
	v_bfrev_b32_e32 v8, 1
	s_and_saveexec_b64 s[28:29], s[2:3]
	s_cbranch_execz .LBB296_368
; %bb.365:                              ;   in Loop: Header=BB296_211 Depth=1
	v_and_b32_e32 v0, 0x7f, v1
	v_cmp_ne_u32_e64 s[2:3], s40, v0
	v_mov_b32_e32 v8, 0x7f800001
	s_and_saveexec_b64 s[30:31], s[2:3]
	s_cbranch_execz .LBB296_367
; %bb.366:                              ;   in Loop: Header=BB296_211 Depth=1
	v_and_b32_e32 v3, 7, v1
	v_ffbh_u32_e32 v3, v3
	v_min_u32_e32 v3, 32, v3
	v_lshrrev_b32_e32 v8, 3, v0
	v_subrev_u32_e32 v9, 28, v3
	v_sub_u32_e32 v3, 29, v3
	v_cmp_gt_u32_e64 s[2:3], 8, v0
	v_cndmask_b32_e64 v0, v8, v3, s[2:3]
	v_cndmask_b32_e64 v3, 0, v9, s[2:3]
	v_lshlrev_b64 v[8:9], v3, v[1:2]
	v_lshl_add_u32 v0, v0, 23, v34
	v_lshlrev_b32_e32 v3, 20, v8
	v_lshlrev_b32_e32 v8, 24, v1
	v_and_b32_e32 v3, 0x700000, v3
	v_and_b32_e32 v8, 0x80000000, v8
	v_or3_b32 v8, v8, v0, v3
.LBB296_367:                            ;   in Loop: Header=BB296_211 Depth=1
	s_or_b64 exec, exec, s[30:31]
.LBB296_368:                            ;   in Loop: Header=BB296_211 Depth=1
	s_or_b64 exec, exec, s[28:29]
.LBB296_369:                            ;   in Loop: Header=BB296_211 Depth=1
	s_or_b64 exec, exec, s[22:23]
	v_lshrrev_b16_e32 v3, 8, v1
	v_cmp_ne_u16_e64 s[2:3], 0, v3
	s_and_saveexec_b64 s[22:23], s[2:3]
	s_cbranch_execz .LBB296_375
; %bb.370:                              ;   in Loop: Header=BB296_211 Depth=1
	v_cmp_ne_u16_e64 s[2:3], s39, v3
	v_bfrev_b32_e32 v13, 1
	s_and_saveexec_b64 s[28:29], s[2:3]
	s_cbranch_execz .LBB296_374
; %bb.371:                              ;   in Loop: Header=BB296_211 Depth=1
	v_and_b32_e32 v0, 0x7f, v3
	v_cmp_ne_u32_e64 s[2:3], s40, v0
	v_mov_b32_e32 v13, 0x7f800001
	s_and_saveexec_b64 s[30:31], s[2:3]
	s_cbranch_execz .LBB296_373
; %bb.372:                              ;   in Loop: Header=BB296_211 Depth=1
	v_and_b32_e32 v9, 7, v3
	v_ffbh_u32_e32 v13, v9
	v_min_u32_e32 v56, 32, v13
	v_subrev_u32_e32 v13, 28, v56
	v_lshlrev_b64 v[13:14], v13, v[3:4]
	v_lshrrev_b32_e32 v55, 3, v0
	v_sub_u32_e32 v3, 29, v56
	v_and_b32_e32 v13, 7, v13
	v_cmp_gt_u32_e64 s[2:3], 8, v0
	v_cndmask_b32_e64 v0, v55, v3, s[2:3]
	v_cndmask_b32_e64 v3, v9, v13, s[2:3]
	v_lshlrev_b32_e32 v9, 16, v1
	v_lshlrev_b32_e32 v3, 20, v3
	v_and_b32_e32 v9, 0x80000000, v9
	v_lshl_add_u32 v0, v0, 23, v34
	v_or3_b32 v13, v9, v0, v3
.LBB296_373:                            ;   in Loop: Header=BB296_211 Depth=1
	s_or_b64 exec, exec, s[30:31]
.LBB296_374:                            ;   in Loop: Header=BB296_211 Depth=1
	s_or_b64 exec, exec, s[28:29]
.LBB296_375:                            ;   in Loop: Header=BB296_211 Depth=1
	s_or_b64 exec, exec, s[22:23]
	v_lshrrev_b32_e32 v3, 16, v1
	v_cmp_ne_u16_sdwa s[2:3], v3, v10 src0_sel:BYTE_0 src1_sel:DWORD
	v_mov_b32_e32 v55, 0
	v_mov_b32_e32 v14, 0
	s_and_saveexec_b64 s[22:23], s[2:3]
	s_cbranch_execz .LBB296_381
; %bb.376:                              ;   in Loop: Header=BB296_211 Depth=1
	v_cmp_ne_u16_sdwa s[2:3], v3, s39 src0_sel:BYTE_0 src1_sel:DWORD
	v_bfrev_b32_e32 v14, 1
	s_and_saveexec_b64 s[28:29], s[2:3]
	s_cbranch_execz .LBB296_380
; %bb.377:                              ;   in Loop: Header=BB296_211 Depth=1
	v_bfe_u32 v0, v1, 16, 7
	v_cmp_ne_u32_e64 s[2:3], s40, v0
	v_mov_b32_e32 v14, 0x7f800001
	s_and_saveexec_b64 s[30:31], s[2:3]
	s_cbranch_execz .LBB296_379
; %bb.378:                              ;   in Loop: Header=BB296_211 Depth=1
	v_and_b32_e32 v9, 7, v3
	v_ffbh_u32_e32 v56, v9
	v_min_u32_e32 v58, 32, v56
	v_subrev_u32_e32 v56, 28, v58
	v_lshlrev_b64 v[56:57], v56, v[3:4]
	v_lshrrev_b32_e32 v14, 3, v0
	v_sub_u32_e32 v57, 29, v58
	v_and_b32_e32 v56, 7, v56
	v_cmp_gt_u32_e64 s[2:3], 8, v0
	v_cndmask_b32_e64 v0, v14, v57, s[2:3]
	v_cndmask_b32_e64 v9, v9, v56, s[2:3]
	v_lshlrev_b32_e32 v3, 24, v3
	v_lshlrev_b32_e32 v9, 20, v9
	v_and_b32_e32 v3, 0x80000000, v3
	v_lshl_add_u32 v0, v0, 23, v34
	v_or3_b32 v14, v3, v0, v9
.LBB296_379:                            ;   in Loop: Header=BB296_211 Depth=1
	s_or_b64 exec, exec, s[30:31]
.LBB296_380:                            ;   in Loop: Header=BB296_211 Depth=1
	s_or_b64 exec, exec, s[28:29]
.LBB296_381:                            ;   in Loop: Header=BB296_211 Depth=1
	s_or_b64 exec, exec, s[22:23]
	v_cmp_lt_u32_e64 s[2:3], s13, v1
	s_and_saveexec_b64 s[22:23], s[2:3]
	s_cbranch_execz .LBB296_387
; %bb.382:                              ;   in Loop: Header=BB296_211 Depth=1
	v_lshrrev_b32_e32 v3, 24, v1
	v_cmp_ne_u32_e64 s[2:3], s39, v3
	v_bfrev_b32_e32 v55, 1
	s_and_saveexec_b64 s[28:29], s[2:3]
	s_cbranch_execz .LBB296_386
; %bb.383:                              ;   in Loop: Header=BB296_211 Depth=1
	v_bfe_u32 v0, v1, 24, 7
	v_cmp_ne_u32_e64 s[2:3], s40, v0
	v_mov_b32_e32 v55, 0x7f800001
	s_and_saveexec_b64 s[30:31], s[2:3]
	s_cbranch_execz .LBB296_385
; %bb.384:                              ;   in Loop: Header=BB296_211 Depth=1
	v_and_b32_e32 v9, 7, v3
	v_ffbh_u32_e32 v55, v9
	v_min_u32_e32 v58, 32, v55
	v_subrev_u32_e32 v55, 28, v58
	v_lshlrev_b64 v[55:56], v55, v[3:4]
	v_lshrrev_b32_e32 v57, 3, v0
	v_sub_u32_e32 v56, 29, v58
	v_and_b32_e32 v55, 7, v55
	v_cmp_gt_u32_e64 s[2:3], 8, v0
	v_cndmask_b32_e64 v0, v57, v56, s[2:3]
	v_cndmask_b32_e64 v9, v9, v55, s[2:3]
	v_lshlrev_b32_e32 v3, 24, v3
	v_lshlrev_b32_e32 v9, 20, v9
	v_and_b32_e32 v3, 0x80000000, v3
	v_lshl_add_u32 v0, v0, 23, v34
	v_or3_b32 v55, v3, v0, v9
.LBB296_385:                            ;   in Loop: Header=BB296_211 Depth=1
	s_or_b64 exec, exec, s[30:31]
.LBB296_386:                            ;   in Loop: Header=BB296_211 Depth=1
	s_or_b64 exec, exec, s[28:29]
.LBB296_387:                            ;   in Loop: Header=BB296_211 Depth=1
	s_or_b64 exec, exec, s[22:23]
	v_mov_b32_e32 v9, v2
	v_cmp_ne_u16_sdwa s[2:3], v2, v10 src0_sel:BYTE_0 src1_sel:DWORD
	v_mov_b32_e32 v56, 0
	v_mov_b32_e32 v0, 0
	s_and_saveexec_b64 s[22:23], s[2:3]
	s_cbranch_execz .LBB296_393
; %bb.388:                              ;   in Loop: Header=BB296_211 Depth=1
	v_cmp_ne_u16_sdwa s[2:3], v2, s39 src0_sel:BYTE_0 src1_sel:DWORD
	v_bfrev_b32_e32 v0, 1
	s_and_saveexec_b64 s[28:29], s[2:3]
	s_cbranch_execz .LBB296_392
; %bb.389:                              ;   in Loop: Header=BB296_211 Depth=1
	v_and_b32_e32 v3, 0x7f, v2
	v_cmp_ne_u32_e64 s[2:3], s40, v3
	v_mov_b32_e32 v0, 0x7f800001
	s_and_saveexec_b64 s[30:31], s[2:3]
	s_cbranch_execz .LBB296_391
; %bb.390:                              ;   in Loop: Header=BB296_211 Depth=1
	v_and_b32_e32 v0, 7, v2
	v_ffbh_u32_e32 v0, v0
	v_min_u32_e32 v0, 32, v0
	v_subrev_u32_e32 v58, 28, v0
	v_cmp_gt_u32_e64 s[2:3], 8, v3
	v_lshrrev_b32_e32 v57, 3, v3
	v_sub_u32_e32 v0, 29, v0
	v_cndmask_b32_e64 v3, 0, v58, s[2:3]
	v_cndmask_b32_e64 v0, v57, v0, s[2:3]
	v_lshlrev_b64 v[57:58], v3, v[9:10]
	v_lshl_add_u32 v0, v0, 23, v34
	v_lshlrev_b32_e32 v3, 20, v57
	v_lshlrev_b32_e32 v57, 24, v9
	v_and_b32_e32 v3, 0x700000, v3
	v_and_b32_e32 v57, 0x80000000, v57
	v_or3_b32 v0, v57, v0, v3
.LBB296_391:                            ;   in Loop: Header=BB296_211 Depth=1
	s_or_b64 exec, exec, s[30:31]
.LBB296_392:                            ;   in Loop: Header=BB296_211 Depth=1
	s_or_b64 exec, exec, s[28:29]
.LBB296_393:                            ;   in Loop: Header=BB296_211 Depth=1
	s_or_b64 exec, exec, s[22:23]
	v_lshrrev_b16_e32 v3, 8, v9
	v_cmp_ne_u16_e64 s[2:3], 0, v3
	s_and_saveexec_b64 s[22:23], s[2:3]
	s_cbranch_execz .LBB296_399
; %bb.394:                              ;   in Loop: Header=BB296_211 Depth=1
	v_cmp_ne_u16_e64 s[2:3], s39, v3
	v_bfrev_b32_e32 v56, 1
	s_and_saveexec_b64 s[28:29], s[2:3]
	s_cbranch_execz .LBB296_398
; %bb.395:                              ;   in Loop: Header=BB296_211 Depth=1
	v_and_b32_e32 v57, 0x7f, v3
	v_cmp_ne_u32_e64 s[2:3], s40, v57
	v_mov_b32_e32 v56, 0x7f800001
	s_and_saveexec_b64 s[30:31], s[2:3]
	s_cbranch_execz .LBB296_397
; %bb.396:                              ;   in Loop: Header=BB296_211 Depth=1
	v_and_b32_e32 v56, 7, v3
	v_ffbh_u32_e32 v58, v56
	v_min_u32_e32 v61, 32, v58
	v_subrev_u32_e32 v58, 28, v61
	v_lshlrev_b64 v[58:59], v58, v[3:4]
	v_lshrrev_b32_e32 v60, 3, v57
	v_sub_u32_e32 v3, 29, v61
	v_and_b32_e32 v58, 7, v58
	v_cmp_gt_u32_e64 s[2:3], 8, v57
	v_cndmask_b32_e64 v3, v60, v3, s[2:3]
	v_cndmask_b32_e64 v56, v56, v58, s[2:3]
	v_lshlrev_b32_e32 v9, 16, v9
	v_lshlrev_b32_e32 v56, 20, v56
	v_and_b32_e32 v9, 0x80000000, v9
	v_lshl_add_u32 v3, v3, 23, v34
	v_or3_b32 v56, v9, v3, v56
.LBB296_397:                            ;   in Loop: Header=BB296_211 Depth=1
	s_or_b64 exec, exec, s[30:31]
.LBB296_398:                            ;   in Loop: Header=BB296_211 Depth=1
	s_or_b64 exec, exec, s[28:29]
.LBB296_399:                            ;   in Loop: Header=BB296_211 Depth=1
	s_or_b64 exec, exec, s[22:23]
	v_lshrrev_b32_e32 v3, 16, v2
	v_cmp_ne_u16_sdwa s[2:3], v3, v10 src0_sel:BYTE_0 src1_sel:DWORD
	v_mov_b32_e32 v9, 0
	v_mov_b32_e32 v57, 0
	s_and_saveexec_b64 s[22:23], s[2:3]
	s_cbranch_execz .LBB296_405
; %bb.400:                              ;   in Loop: Header=BB296_211 Depth=1
	v_cmp_ne_u16_sdwa s[2:3], v3, s39 src0_sel:BYTE_0 src1_sel:DWORD
	v_bfrev_b32_e32 v57, 1
	s_and_saveexec_b64 s[28:29], s[2:3]
	s_cbranch_execz .LBB296_404
; %bb.401:                              ;   in Loop: Header=BB296_211 Depth=1
	v_bfe_u32 v58, v2, 16, 7
	v_cmp_ne_u32_e64 s[2:3], s40, v58
	v_mov_b32_e32 v57, 0x7f800001
	s_and_saveexec_b64 s[30:31], s[2:3]
	s_cbranch_execz .LBB296_403
; %bb.402:                              ;   in Loop: Header=BB296_211 Depth=1
	v_and_b32_e32 v59, 7, v3
	v_ffbh_u32_e32 v57, v59
	v_min_u32_e32 v61, 32, v57
	v_subrev_u32_e32 v57, 28, v61
	v_lshrrev_b32_e32 v60, 3, v58
	v_cmp_gt_u32_e64 s[2:3], 8, v58
	v_lshlrev_b64 v[57:58], v57, v[3:4]
	v_sub_u32_e32 v58, 29, v61
	v_and_b32_e32 v57, 7, v57
	v_cndmask_b32_e64 v58, v60, v58, s[2:3]
	v_cndmask_b32_e64 v57, v59, v57, s[2:3]
	v_lshlrev_b32_e32 v3, 24, v3
	v_lshlrev_b32_e32 v57, 20, v57
	v_and_b32_e32 v3, 0x80000000, v3
	v_lshl_add_u32 v58, v58, 23, v34
	v_or3_b32 v57, v3, v58, v57
.LBB296_403:                            ;   in Loop: Header=BB296_211 Depth=1
	s_or_b64 exec, exec, s[30:31]
.LBB296_404:                            ;   in Loop: Header=BB296_211 Depth=1
	s_or_b64 exec, exec, s[28:29]
.LBB296_405:                            ;   in Loop: Header=BB296_211 Depth=1
	s_or_b64 exec, exec, s[22:23]
	v_cmp_lt_u64_e64 s[2:3], s[12:13], v[1:2]
	s_and_saveexec_b64 s[22:23], s[2:3]
	s_cbranch_execz .LBB296_411
; %bb.406:                              ;   in Loop: Header=BB296_211 Depth=1
	v_lshrrev_b32_e32 v1, 24, v2
	v_cmp_ne_u32_e64 s[2:3], s39, v1
	v_bfrev_b32_e32 v9, 1
	s_and_saveexec_b64 s[28:29], s[2:3]
	s_cbranch_execz .LBB296_410
; %bb.407:                              ;   in Loop: Header=BB296_211 Depth=1
	v_bfe_u32 v2, v2, 24, 7
	v_cmp_ne_u32_e64 s[2:3], s40, v2
	v_mov_b32_e32 v9, 0x7f800001
	s_and_saveexec_b64 s[30:31], s[2:3]
	s_cbranch_execz .LBB296_409
; %bb.408:                              ;   in Loop: Header=BB296_211 Depth=1
	v_and_b32_e32 v3, 7, v1
	v_ffbh_u32_e32 v58, v3
	v_min_u32_e32 v60, 32, v58
	v_subrev_u32_e32 v58, 28, v60
	v_lshlrev_b64 v[58:59], v58, v[1:2]
	v_lshrrev_b32_e32 v9, 3, v2
	v_sub_u32_e32 v59, 29, v60
	v_and_b32_e32 v58, 7, v58
	v_cmp_gt_u32_e64 s[2:3], 8, v2
	v_cndmask_b32_e64 v2, v9, v59, s[2:3]
	v_cndmask_b32_e64 v3, v3, v58, s[2:3]
	v_lshlrev_b32_e32 v1, 24, v1
	v_lshlrev_b32_e32 v3, 20, v3
	v_and_b32_e32 v1, 0x80000000, v1
	v_lshl_add_u32 v2, v2, 23, v34
	v_or3_b32 v9, v1, v2, v3
.LBB296_409:                            ;   in Loop: Header=BB296_211 Depth=1
	s_or_b64 exec, exec, s[30:31]
.LBB296_410:                            ;   in Loop: Header=BB296_211 Depth=1
	s_or_b64 exec, exec, s[28:29]
.LBB296_411:                            ;   in Loop: Header=BB296_211 Depth=1
	s_or_b64 exec, exec, s[22:23]
	v_mul_f32_e32 v1, s43, v56
	v_bfe_u32 v2, v1, 16, 1
	v_add3_u32 v2, v2, v1, s41
	v_or_b32_e32 v3, 0x400000, v1
	v_cmp_u_f32_e64 s[2:3], v1, v1
	v_mul_f32_e32 v0, s43, v0
	v_cndmask_b32_e64 v1, v2, v3, s[2:3]
	v_bfe_u32 v2, v0, 16, 1
	v_add3_u32 v2, v2, v0, s41
	v_or_b32_e32 v3, 0x400000, v0
	v_cmp_u_f32_e64 s[2:3], v0, v0
	v_cndmask_b32_e64 v0, v2, v3, s[2:3]
	v_mul_f32_e32 v2, s43, v55
	v_bfe_u32 v3, v2, 16, 1
	v_add3_u32 v3, v3, v2, s41
	v_or_b32_e32 v55, 0x400000, v2
	v_cmp_u_f32_e64 s[2:3], v2, v2
	v_cndmask_b32_e64 v2, v3, v55, s[2:3]
	v_mul_f32_e32 v3, s43, v14
	v_bfe_u32 v14, v3, 16, 1
	v_add3_u32 v14, v14, v3, s41
	v_or_b32_e32 v55, 0x400000, v3
	v_cmp_u_f32_e64 s[2:3], v3, v3
	v_cndmask_b32_e64 v3, v14, v55, s[2:3]
	v_lshrrev_b32_e32 v14, 16, v3
	v_mul_f32_e32 v3, s43, v13
	v_bfe_u32 v13, v3, 16, 1
	v_add3_u32 v13, v13, v3, s41
	v_or_b32_e32 v55, 0x400000, v3
	v_cmp_u_f32_e64 s[2:3], v3, v3
	v_cndmask_b32_e64 v3, v13, v55, s[2:3]
	v_lshrrev_b32_e32 v13, 16, v3
	;; [unrolled: 7-line block ×5, first 2 shown]
	v_lshrrev_b32_e32 v0, 16, v0
	v_lshrrev_b32_e32 v2, 16, v2
	;; [unrolled: 1-line block ×3, first 2 shown]
	s_and_saveexec_b64 s[2:3], s[0:1]
	s_cbranch_execz .LBB296_208
; %bb.412:                              ;   in Loop: Header=BB296_211 Depth=1
	v_cmp_gt_i32_e64 s[0:1], s33, v43
	v_add_u32_e32 v9, 1, v43
	v_cndmask_b32_e64 v55, 0, v55, s[0:1]
	v_cmp_gt_i32_e64 s[0:1], s33, v9
	v_add_u32_e32 v9, 2, v43
	v_cndmask_b32_e64 v13, 0, v13, s[0:1]
	;; [unrolled: 3-line block ×7, first 2 shown]
	v_cmp_gt_i32_e64 s[0:1], s33, v9
	v_cndmask_b32_e64 v3, 0, v3, s[0:1]
	s_branch .LBB296_208
.LBB296_413:
	s_or_b64 exec, exec, s[16:17]
	v_mov_b32_e32 v14, v62
.LBB296_414:
	s_or_b64 exec, exec, s[4:5]
	ds_bpermute_b32 v1, v20, v27
	ds_bpermute_b32 v4, v20, v25
	;; [unrolled: 1-line block ×4, first 2 shown]
	v_cmp_eq_u32_e32 vcc, 0, v22
	s_waitcnt lgkmcnt(3)
	v_add_f32_e32 v2, v27, v1
	s_waitcnt lgkmcnt(2)
	v_add_f32_e32 v1, v25, v4
	v_and_b32_e32 v4, 0x3c0, v14
	s_waitcnt lgkmcnt(1)
	v_add_f32_e32 v3, v26, v0
	s_waitcnt lgkmcnt(0)
	v_add_f32_e32 v0, v28, v5
	v_cmp_eq_u32_e64 s[0:1], 64, v4
	s_barrier
	s_and_saveexec_b64 s[2:3], s[0:1]
	s_cbranch_execz .LBB296_419
; %bb.415:
	s_and_saveexec_b64 s[0:1], vcc
	s_cbranch_execz .LBB296_417
; %bb.416:
	v_mov_b32_e32 v4, 0xf0
	v_lshl_add_u32 v4, v21, 2, v4
	ds_write2_b32 v4, v3, v2 offset1:32
	ds_write_b32 v4, v1 offset:256
.LBB296_417:
	s_or_b64 exec, exec, s[0:1]
	v_or_b32_e32 v4, 0x60, v21
	s_movk_i32 s0, 0x70
	v_cmp_gt_u32_e64 s[0:1], s0, v4
	s_and_b64 s[0:1], vcc, s[0:1]
	s_and_b64 exec, exec, s[0:1]
; %bb.418:
	v_mov_b32_e32 v4, 0xf0
	v_lshl_add_u32 v4, v21, 2, v4
	ds_write_b32 v4, v0 offset:384
.LBB296_419:
	s_or_b64 exec, exec, s[2:3]
	v_cmp_gt_u32_e64 s[0:1], 64, v14
	v_lshrrev_b32_e32 v4, 1, v14
	s_waitcnt lgkmcnt(0)
	s_barrier
	s_and_saveexec_b64 s[4:5], s[0:1]
	s_cbranch_execz .LBB296_429
; %bb.420:
	s_and_saveexec_b64 s[2:3], vcc
	s_cbranch_execz .LBB296_422
; %bb.421:
	v_mov_b32_e32 v5, 0xf0
	v_lshl_add_u32 v5, v4, 2, v5
	ds_read_b32 v5, v5
	s_waitcnt lgkmcnt(0)
	v_add_f32_e32 v3, v3, v5
.LBB296_422:
	s_or_b64 exec, exec, s[2:3]
	v_or_b32_e32 v5, 32, v4
	s_movk_i32 s6, 0x70
	v_cmp_gt_u32_e64 s[2:3], s6, v5
	s_and_b64 s[12:13], vcc, s[2:3]
	s_and_saveexec_b64 s[2:3], s[12:13]
	s_cbranch_execz .LBB296_424
; %bb.423:
	v_mov_b32_e32 v5, 0xf0
	v_lshl_add_u32 v5, v4, 2, v5
	ds_read_b32 v5, v5 offset:128
	s_waitcnt lgkmcnt(0)
	v_add_f32_e32 v2, v2, v5
.LBB296_424:
	s_or_b64 exec, exec, s[2:3]
	v_or_b32_e32 v5, 64, v4
	v_cmp_gt_u32_e64 s[2:3], s6, v5
	s_and_b64 s[6:7], vcc, s[2:3]
	s_and_saveexec_b64 s[2:3], s[6:7]
	s_cbranch_execz .LBB296_426
; %bb.425:
	v_mov_b32_e32 v5, 0xf0
	v_lshl_add_u32 v5, v4, 2, v5
	ds_read_b32 v5, v5 offset:256
	s_waitcnt lgkmcnt(0)
	v_add_f32_e32 v1, v1, v5
.LBB296_426:
	s_or_b64 exec, exec, s[2:3]
	v_or_b32_e32 v5, 0x60, v4
	s_movk_i32 s2, 0x70
	v_cmp_gt_u32_e64 s[2:3], s2, v5
	s_and_b64 s[6:7], vcc, s[2:3]
	s_and_saveexec_b64 s[2:3], s[6:7]
	s_cbranch_execz .LBB296_428
; %bb.427:
	v_mov_b32_e32 v5, 0xf0
	v_lshl_add_u32 v5, v4, 2, v5
	ds_read_b32 v5, v5 offset:384
	s_waitcnt lgkmcnt(0)
	v_add_f32_e32 v0, v0, v5
.LBB296_428:
	s_or_b64 exec, exec, s[2:3]
.LBB296_429:
	s_or_b64 exec, exec, s[4:5]
	s_barrier
	s_and_saveexec_b64 s[2:3], s[0:1]
	s_cbranch_execz .LBB296_438
; %bb.430:
	s_mul_i32 s0, s10, s11
	s_mul_i32 s0, s0, s9
	s_mulk_i32 s0, 0x70
	s_ashr_i32 s1, s0, 31
	s_lshl_b64 s[0:1], s[0:1], 1
	s_add_u32 s2, s26, s0
	s_mul_i32 s0, s11, s24
	s_addc_u32 s3, s27, s1
	s_ashr_i32 s1, s0, 31
	s_lshl_b64 s[0:1], s[0:1], 1
	s_add_u32 s2, s2, s0
	s_mul_i32 s0, s8, 0x70
	s_addc_u32 s3, s3, s1
	s_ashr_i32 s1, s0, 31
	s_lshl_b64 s[0:1], s[0:1], 1
	s_add_u32 s2, s2, s0
	s_movk_i32 s6, 0x70
	s_addc_u32 s3, s3, s1
	v_lshlrev_b32_e32 v5, 1, v4
	s_and_saveexec_b64 s[4:5], vcc
	s_cbranch_execz .LBB296_432
; %bb.431:
	v_bfe_u32 v6, v3, 16, 1
	s_movk_i32 s0, 0x7fff
	v_add3_u32 v6, v6, v3, s0
	v_or_b32_e32 v7, 0x400000, v3
	v_cmp_u_f32_e64 s[0:1], v3, v3
	v_cndmask_b32_e64 v3, v6, v7, s[0:1]
	global_store_short_d16_hi v5, v3, s[2:3]
.LBB296_432:
	s_or_b64 exec, exec, s[4:5]
	v_or_b32_e32 v3, 32, v4
	v_cmp_gt_u32_e64 s[0:1], s6, v3
	s_and_b64 s[0:1], vcc, s[0:1]
	s_and_saveexec_b64 s[4:5], s[0:1]
	s_cbranch_execz .LBB296_434
; %bb.433:
	v_bfe_u32 v3, v2, 16, 1
	s_movk_i32 s0, 0x7fff
	v_add3_u32 v3, v3, v2, s0
	v_or_b32_e32 v6, 0x400000, v2
	v_cmp_u_f32_e64 s[0:1], v2, v2
	v_cndmask_b32_e64 v2, v3, v6, s[0:1]
	global_store_short_d16_hi v5, v2, s[2:3] offset:64
.LBB296_434:
	s_or_b64 exec, exec, s[4:5]
	v_or_b32_e32 v2, 64, v4
	v_cmp_gt_u32_e64 s[0:1], s6, v2
	s_and_b64 s[0:1], vcc, s[0:1]
	s_and_saveexec_b64 s[4:5], s[0:1]
	s_cbranch_execz .LBB296_436
; %bb.435:
	v_bfe_u32 v2, v1, 16, 1
	s_movk_i32 s0, 0x7fff
	v_add3_u32 v2, v2, v1, s0
	v_or_b32_e32 v3, 0x400000, v1
	v_cmp_u_f32_e64 s[0:1], v1, v1
	v_cndmask_b32_e64 v1, v2, v3, s[0:1]
	global_store_short_d16_hi v5, v1, s[2:3] offset:128
.LBB296_436:
	s_or_b64 exec, exec, s[4:5]
	v_or_b32_e32 v1, 0x60, v4
	v_cmp_gt_u32_e64 s[0:1], s6, v1
	s_and_b64 s[0:1], vcc, s[0:1]
	s_and_b64 exec, exec, s[0:1]
	s_cbranch_execz .LBB296_438
; %bb.437:
	v_bfe_u32 v1, v0, 16, 1
	s_movk_i32 s0, 0x7fff
	v_add3_u32 v1, v1, v0, s0
	v_or_b32_e32 v2, 0x400000, v0
	v_cmp_u_f32_e32 vcc, v0, v0
	v_cndmask_b32_e32 v0, v1, v2, vcc
	global_store_short_d16_hi v5, v0, s[2:3] offset:192
.LBB296_438:
	s_endpgm
	.section	.rodata,"a",@progbits
	.p2align	6, 0x0
	.amdhsa_kernel _ZN4vllm25paged_attention_v1_kernelI14__hip_bfloat16hLi112ELi16ELi128ELNS_18Fp8KVCacheDataTypeE1ELb1EEEvPT_PKS3_PKT0_S9_ifPKiSB_iPKfiiiSD_SD_iiiii
		.amdhsa_group_segment_fixed_size 240
		.amdhsa_private_segment_fixed_size 52
		.amdhsa_kernarg_size 384
		.amdhsa_user_sgpr_count 6
		.amdhsa_user_sgpr_private_segment_buffer 1
		.amdhsa_user_sgpr_dispatch_ptr 0
		.amdhsa_user_sgpr_queue_ptr 0
		.amdhsa_user_sgpr_kernarg_segment_ptr 1
		.amdhsa_user_sgpr_dispatch_id 0
		.amdhsa_user_sgpr_flat_scratch_init 0
		.amdhsa_user_sgpr_private_segment_size 0
		.amdhsa_uses_dynamic_stack 0
		.amdhsa_system_sgpr_private_segment_wavefront_offset 1
		.amdhsa_system_sgpr_workgroup_id_x 1
		.amdhsa_system_sgpr_workgroup_id_y 1
		.amdhsa_system_sgpr_workgroup_id_z 1
		.amdhsa_system_sgpr_workgroup_info 0
		.amdhsa_system_vgpr_workitem_id 0
		.amdhsa_next_free_vgpr 64
		.amdhsa_next_free_sgpr 60
		.amdhsa_reserve_vcc 1
		.amdhsa_reserve_flat_scratch 0
		.amdhsa_float_round_mode_32 0
		.amdhsa_float_round_mode_16_64 0
		.amdhsa_float_denorm_mode_32 3
		.amdhsa_float_denorm_mode_16_64 3
		.amdhsa_dx10_clamp 1
		.amdhsa_ieee_mode 1
		.amdhsa_fp16_overflow 0
		.amdhsa_exception_fp_ieee_invalid_op 0
		.amdhsa_exception_fp_denorm_src 0
		.amdhsa_exception_fp_ieee_div_zero 0
		.amdhsa_exception_fp_ieee_overflow 0
		.amdhsa_exception_fp_ieee_underflow 0
		.amdhsa_exception_fp_ieee_inexact 0
		.amdhsa_exception_int_div_zero 0
	.end_amdhsa_kernel
	.section	.text._ZN4vllm25paged_attention_v1_kernelI14__hip_bfloat16hLi112ELi16ELi128ELNS_18Fp8KVCacheDataTypeE1ELb1EEEvPT_PKS3_PKT0_S9_ifPKiSB_iPKfiiiSD_SD_iiiii,"axG",@progbits,_ZN4vllm25paged_attention_v1_kernelI14__hip_bfloat16hLi112ELi16ELi128ELNS_18Fp8KVCacheDataTypeE1ELb1EEEvPT_PKS3_PKT0_S9_ifPKiSB_iPKfiiiSD_SD_iiiii,comdat
.Lfunc_end296:
	.size	_ZN4vllm25paged_attention_v1_kernelI14__hip_bfloat16hLi112ELi16ELi128ELNS_18Fp8KVCacheDataTypeE1ELb1EEEvPT_PKS3_PKT0_S9_ifPKiSB_iPKfiiiSD_SD_iiiii, .Lfunc_end296-_ZN4vllm25paged_attention_v1_kernelI14__hip_bfloat16hLi112ELi16ELi128ELNS_18Fp8KVCacheDataTypeE1ELb1EEEvPT_PKS3_PKT0_S9_ifPKiSB_iPKfiiiSD_SD_iiiii
                                        ; -- End function
	.set _ZN4vllm25paged_attention_v1_kernelI14__hip_bfloat16hLi112ELi16ELi128ELNS_18Fp8KVCacheDataTypeE1ELb1EEEvPT_PKS3_PKT0_S9_ifPKiSB_iPKfiiiSD_SD_iiiii.num_vgpr, 64
	.set _ZN4vllm25paged_attention_v1_kernelI14__hip_bfloat16hLi112ELi16ELi128ELNS_18Fp8KVCacheDataTypeE1ELb1EEEvPT_PKS3_PKT0_S9_ifPKiSB_iPKfiiiSD_SD_iiiii.num_agpr, 0
	.set _ZN4vllm25paged_attention_v1_kernelI14__hip_bfloat16hLi112ELi16ELi128ELNS_18Fp8KVCacheDataTypeE1ELb1EEEvPT_PKS3_PKT0_S9_ifPKiSB_iPKfiiiSD_SD_iiiii.numbered_sgpr, 60
	.set _ZN4vllm25paged_attention_v1_kernelI14__hip_bfloat16hLi112ELi16ELi128ELNS_18Fp8KVCacheDataTypeE1ELb1EEEvPT_PKS3_PKT0_S9_ifPKiSB_iPKfiiiSD_SD_iiiii.num_named_barrier, 0
	.set _ZN4vllm25paged_attention_v1_kernelI14__hip_bfloat16hLi112ELi16ELi128ELNS_18Fp8KVCacheDataTypeE1ELb1EEEvPT_PKS3_PKT0_S9_ifPKiSB_iPKfiiiSD_SD_iiiii.private_seg_size, 52
	.set _ZN4vllm25paged_attention_v1_kernelI14__hip_bfloat16hLi112ELi16ELi128ELNS_18Fp8KVCacheDataTypeE1ELb1EEEvPT_PKS3_PKT0_S9_ifPKiSB_iPKfiiiSD_SD_iiiii.uses_vcc, 1
	.set _ZN4vllm25paged_attention_v1_kernelI14__hip_bfloat16hLi112ELi16ELi128ELNS_18Fp8KVCacheDataTypeE1ELb1EEEvPT_PKS3_PKT0_S9_ifPKiSB_iPKfiiiSD_SD_iiiii.uses_flat_scratch, 0
	.set _ZN4vllm25paged_attention_v1_kernelI14__hip_bfloat16hLi112ELi16ELi128ELNS_18Fp8KVCacheDataTypeE1ELb1EEEvPT_PKS3_PKT0_S9_ifPKiSB_iPKfiiiSD_SD_iiiii.has_dyn_sized_stack, 0
	.set _ZN4vllm25paged_attention_v1_kernelI14__hip_bfloat16hLi112ELi16ELi128ELNS_18Fp8KVCacheDataTypeE1ELb1EEEvPT_PKS3_PKT0_S9_ifPKiSB_iPKfiiiSD_SD_iiiii.has_recursion, 0
	.set _ZN4vllm25paged_attention_v1_kernelI14__hip_bfloat16hLi112ELi16ELi128ELNS_18Fp8KVCacheDataTypeE1ELb1EEEvPT_PKS3_PKT0_S9_ifPKiSB_iPKfiiiSD_SD_iiiii.has_indirect_call, 0
	.section	.AMDGPU.csdata,"",@progbits
; Kernel info:
; codeLenInByte = 21716
; TotalNumSgprs: 64
; NumVgprs: 64
; ScratchSize: 52
; MemoryBound: 0
; FloatMode: 240
; IeeeMode: 1
; LDSByteSize: 240 bytes/workgroup (compile time only)
; SGPRBlocks: 7
; VGPRBlocks: 15
; NumSGPRsForWavesPerEU: 64
; NumVGPRsForWavesPerEU: 64
; Occupancy: 4
; WaveLimiterHint : 1
; COMPUTE_PGM_RSRC2:SCRATCH_EN: 1
; COMPUTE_PGM_RSRC2:USER_SGPR: 6
; COMPUTE_PGM_RSRC2:TRAP_HANDLER: 0
; COMPUTE_PGM_RSRC2:TGID_X_EN: 1
; COMPUTE_PGM_RSRC2:TGID_Y_EN: 1
; COMPUTE_PGM_RSRC2:TGID_Z_EN: 1
; COMPUTE_PGM_RSRC2:TIDIG_COMP_CNT: 0
	.section	.text._ZN4vllm25paged_attention_v1_kernelI14__hip_bfloat16hLi120ELi16ELi128ELNS_18Fp8KVCacheDataTypeE1ELb1EEEvPT_PKS3_PKT0_S9_ifPKiSB_iPKfiiiSD_SD_iiiii,"axG",@progbits,_ZN4vllm25paged_attention_v1_kernelI14__hip_bfloat16hLi120ELi16ELi128ELNS_18Fp8KVCacheDataTypeE1ELb1EEEvPT_PKS3_PKT0_S9_ifPKiSB_iPKfiiiSD_SD_iiiii,comdat
	.protected	_ZN4vllm25paged_attention_v1_kernelI14__hip_bfloat16hLi120ELi16ELi128ELNS_18Fp8KVCacheDataTypeE1ELb1EEEvPT_PKS3_PKT0_S9_ifPKiSB_iPKfiiiSD_SD_iiiii ; -- Begin function _ZN4vllm25paged_attention_v1_kernelI14__hip_bfloat16hLi120ELi16ELi128ELNS_18Fp8KVCacheDataTypeE1ELb1EEEvPT_PKS3_PKT0_S9_ifPKiSB_iPKfiiiSD_SD_iiiii
	.globl	_ZN4vllm25paged_attention_v1_kernelI14__hip_bfloat16hLi120ELi16ELi128ELNS_18Fp8KVCacheDataTypeE1ELb1EEEvPT_PKS3_PKT0_S9_ifPKiSB_iPKfiiiSD_SD_iiiii
	.p2align	8
	.type	_ZN4vllm25paged_attention_v1_kernelI14__hip_bfloat16hLi120ELi16ELi128ELNS_18Fp8KVCacheDataTypeE1ELb1EEEvPT_PKS3_PKT0_S9_ifPKiSB_iPKfiiiSD_SD_iiiii,@function
_ZN4vllm25paged_attention_v1_kernelI14__hip_bfloat16hLi120ELi16ELi128ELNS_18Fp8KVCacheDataTypeE1ELb1EEEvPT_PKS3_PKT0_S9_ifPKiSB_iPKfiiiSD_SD_iiiii: ; @_ZN4vllm25paged_attention_v1_kernelI14__hip_bfloat16hLi120ELi16ELi128ELNS_18Fp8KVCacheDataTypeE1ELb1EEEvPT_PKS3_PKT0_S9_ifPKiSB_iPKfiiiSD_SD_iiiii
; %bb.0:
	s_mov_b64 s[58:59], s[2:3]
	s_mov_b64 s[56:57], s[0:1]
	s_add_u32 s56, s56, s9
	s_load_dword s9, s[4:5], 0x80
	s_load_dwordx2 s[0:1], s[4:5], 0x30
	s_load_dwordx2 s[36:37], s[4:5], 0x20
	s_addc_u32 s57, s57, 0
	s_mov_b32 s10, s7
	s_ashr_i32 s11, s7, 31
	s_lshl_b64 s[2:3], s[10:11], 2
	s_waitcnt lgkmcnt(0)
	s_add_u32 s0, s0, s2
	s_addc_u32 s1, s1, s3
	s_abs_i32 s2, s36
	v_cvt_f32_u32_e32 v1, s2
	s_sub_i32 s11, 0, s2
	s_abs_i32 s7, s9
	s_xor_b32 s3, s9, s36
	v_rcp_iflag_f32_e32 v1, v1
	s_ashr_i32 s3, s3, 31
	v_mov_b32_e32 v14, v0
	s_mov_b32 s49, 0
	v_mul_f32_e32 v1, 0x4f7ffffe, v1
	v_cvt_u32_f32_e32 v1, v1
	v_readfirstlane_b32 s12, v1
	s_mul_i32 s11, s11, s12
	s_mul_hi_u32 s11, s12, s11
	s_add_i32 s12, s12, s11
	s_mul_hi_u32 s11, s7, s12
	s_mul_i32 s12, s11, s2
	s_sub_i32 s7, s7, s12
	s_add_i32 s12, s11, 1
	s_sub_i32 s13, s7, s2
	s_cmp_ge_u32 s7, s2
	s_cselect_b32 s11, s12, s11
	s_cselect_b32 s7, s13, s7
	s_add_i32 s12, s11, 1
	s_cmp_ge_u32 s7, s2
	s_cselect_b32 s2, s12, s11
	s_xor_b32 s2, s2, s3
	s_sub_i32 s14, s2, s3
	s_abs_i32 s11, s14
	v_cvt_f32_u32_e32 v1, s11
	s_load_dwordx2 s[2:3], s[4:5], 0x40
	s_sub_i32 s7, 0, s11
	s_abs_i32 s12, s6
	v_rcp_iflag_f32_e32 v1, v1
	v_mul_f32_e32 v1, 0x4f7ffffe, v1
	v_cvt_u32_f32_e32 v1, v1
	v_readfirstlane_b32 s13, v1
	s_mul_i32 s7, s7, s13
	s_mul_hi_u32 s7, s13, s7
	s_add_i32 s13, s13, s7
	s_waitcnt lgkmcnt(0)
	s_cmp_eq_u64 s[2:3], 0
	s_mul_hi_u32 s13, s12, s13
	s_cbranch_scc1 .LBB297_2
; %bb.1:
	s_ashr_i32 s7, s6, 31
	s_lshl_b64 s[16:17], s[6:7], 2
	s_add_u32 s2, s2, s16
	s_addc_u32 s3, s3, s17
	s_load_dword s49, s[2:3], 0x0
.LBB297_2:
	s_load_dword s33, s[0:1], 0x0
	s_load_dwordx4 s[16:19], s[4:5], 0x48
	s_ashr_i32 s2, s6, 31
	s_ashr_i32 s7, s14, 31
	v_and_b32_e32 v1, 3, v14
	s_mul_i32 s24, s6, 0x78
	v_cmp_gt_u32_e32 vcc, 60, v14
	s_and_saveexec_b64 s[0:1], vcc
	s_cbranch_execz .LBB297_4
; %bb.3:
	s_load_dwordx2 s[14:15], s[4:5], 0x8
	s_waitcnt lgkmcnt(0)
	s_mul_i32 s20, s16, s10
	s_ashr_i32 s21, s20, 31
	s_lshl_b64 s[20:21], s[20:21], 1
	v_lshlrev_b32_e32 v2, 2, v14
	s_add_u32 s3, s14, s20
	s_addc_u32 s16, s15, s21
	s_ashr_i32 s25, s24, 31
	s_lshl_b64 s[14:15], s[24:25], 1
	s_add_u32 s14, s3, s14
	s_addc_u32 s15, s16, s15
	global_load_dword v2, v2, s[14:15]
	v_and_b32_e32 v3, 0x3fc, v14
	v_mad_u32_u24 v3, v1, 60, v3
	s_waitcnt vmcnt(0)
	ds_write_b32 v3, v2
.LBB297_4:
	s_or_b64 exec, exec, s[0:1]
	s_mul_i32 s1, s13, s11
	s_sub_i32 s1, s12, s1
	s_xor_b32 s0, s2, s7
	s_add_i32 s2, s13, 1
	s_sub_i32 s7, s1, s11
	s_load_dwordx4 s[20:23], s[4:5], 0x68
	s_load_dword s3, s[4:5], 0x78
	s_cmp_ge_u32 s1, s11
	s_cselect_b32 s2, s2, s13
	s_cselect_b32 s1, s7, s1
	s_add_i32 s7, s2, 1
	s_cmp_ge_u32 s1, s11
	s_cselect_b32 s1, s7, s2
	s_waitcnt lgkmcnt(0)
	s_abs_i32 s25, s23
	v_cvt_f32_u32_e32 v2, s25
	s_xor_b32 s1, s1, s0
	s_sub_i32 s2, s1, s0
	s_sub_i32 s0, 0, s25
	v_rcp_iflag_f32_e32 v2, v2
	s_add_i32 s11, s33, -1
	s_abs_i32 s7, s11
	v_mul_f32_e32 v2, 0x4f7ffffe, v2
	v_cvt_u32_f32_e32 v2, v2
	s_barrier
	v_readfirstlane_b32 s46, v2
	s_mul_i32 s0, s0, s46
	s_mul_hi_u32 s0, s46, s0
	s_add_i32 s46, s46, s0
	s_cmp_lt_i32 s3, 0
	s_mul_hi_u32 s16, s7, s46
	s_cbranch_scc0 .LBB297_6
; %bb.5:
	s_mul_i32 s0, s20, s36
	s_add_i32 s0, s2, s0
	s_mul_i32 s0, s0, s3
	s_sub_i32 s36, 1, s0
	s_mov_b64 s[0:1], 0
	s_branch .LBB297_7
.LBB297_6:
	s_mov_b64 s[0:1], -1
                                        ; implicit-def: $sgpr36
.LBB297_7:
	s_load_dwordx2 s[28:29], s[4:5], 0x28
	s_ashr_i32 s19, s11, 31
	s_andn2_b64 vcc, exec, s[0:1]
	s_ashr_i32 s47, s23, 31
	s_cbranch_vccnz .LBB297_9
; %bb.8:
	s_mul_i32 s0, s9, s20
	s_add_i32 s0, s0, s6
	s_mul_i32 s0, s0, s3
	s_add_i32 s36, s0, 1
.LBB297_9:
	s_load_dword s0, s[4:5], 0x38
	s_load_dwordx2 s[26:27], s[4:5], 0x0
	s_load_dwordx2 s[34:35], s[4:5], 0x18
	s_load_dword s11, s[4:5], 0x88
	s_load_dwordx4 s[12:15], s[4:5], 0x58
	s_mul_i32 s1, s16, s25
	s_waitcnt lgkmcnt(0)
	s_mul_i32 s30, s0, s10
	s_sub_i32 s1, s7, s1
	s_ashr_i32 s31, s30, 31
	s_xor_b32 s0, s19, s47
	s_add_i32 s3, s16, 1
	s_sub_i32 s6, s1, s25
	s_cmp_ge_u32 s1, s25
	s_cselect_b32 s3, s3, s16
	s_cselect_b32 s1, s6, s1
	s_add_i32 s6, s3, 1
	s_cmp_ge_u32 s1, s25
	s_cselect_b32 s1, s6, s3
	s_xor_b32 s1, s1, s0
	s_sub_i32 s16, s1, s0
	s_add_i32 s0, s33, 15
	s_ashr_i32 s1, s0, 31
	s_lshr_b32 s1, s1, 28
	s_add_i32 s0, s0, s1
	s_ashr_i32 s48, s0, 4
	v_lshrrev_b32_e32 v23, 6, v14
	v_cmp_le_i32_e64 s[0:1], s48, v23
	v_cmp_gt_i32_e32 vcc, s48, v23
	v_mov_b32_e32 v30, 0xff7fffff
	s_mul_i32 s20, s2, s18
	v_lshrrev_b32_e32 v15, 4, v14
	v_lshlrev_b32_e32 v24, 4, v23
	v_mbcnt_lo_u32_b32 v0, -1, 0
	s_and_saveexec_b64 s[18:19], vcc
	s_cbranch_execz .LBB297_201
; %bb.10:
	s_load_dwordx2 s[2:3], s[4:5], 0x10
	s_sub_i32 s23, s16, s21
	s_ashr_i32 s4, s20, 31
	v_cmp_eq_u32_e32 vcc, 0, v1
	v_lshlrev_b32_e32 v3, 1, v1
	s_waitcnt lgkmcnt(0)
	s_add_u32 s5, s2, s20
	s_addc_u32 s4, s3, s4
	s_abs_i32 s50, s22
	v_cvt_f32_u32_e32 v2, s50
	s_sub_i32 s2, 0, s50
	v_mul_u32_u24_e32 v27, 60, v1
	v_bfe_u32 v6, v14, 2, 4
	v_rcp_iflag_f32_e32 v2, v2
	v_lshlrev_b32_e32 v4, 4, v6
	v_mov_b32_e32 v5, s4
	v_add_co_u32_e64 v4, s[4:5], s5, v4
	v_mul_f32_e32 v2, 0x4f7ffffe, v2
	v_cvt_u32_f32_e32 v2, v2
	v_addc_co_u32_e64 v5, s[4:5], 0, v5, s[4:5]
	buffer_store_dword v14, off, s[56:59], 0 offset:16 ; 4-byte Folded Spill
	v_mul_lo_u32 v1, s2, v2
	s_mov_b32 s51, s17
	v_cmp_neq_f32_e64 s[2:3], s49, 0
	v_lshlrev_b32_e32 v31, 4, v23
	v_mul_hi_u32 v1, v2, v1
	s_mov_b64 s[38:39], 0
	s_movk_i32 s52, 0x80
	s_movk_i32 s53, 0x7f
	v_add_u32_e32 v28, v2, v1
	v_add_co_u32_e64 v1, s[4:5], v4, v3
	v_addc_co_u32_e64 v2, s[4:5], 0, v5, s[4:5]
	s_lshl_b64 s[4:5], s[30:31], 2
	buffer_store_dword v1, off, s[56:59], 0 ; 4-byte Folded Spill
	s_nop 0
	buffer_store_dword v2, off, s[56:59], 0 offset:4 ; 4-byte Folded Spill
	buffer_store_dword v15, off, s[56:59], 0 offset:20 ; 4-byte Folded Spill
	s_add_u32 s4, s28, s4
	v_and_b32_e32 v1, 60, v15
	s_addc_u32 s5, s29, s5
	v_mov_b32_e32 v2, s5
	v_add_co_u32_e64 v3, s[4:5], s4, v1
	v_subrev_u32_e32 v1, s33, v6
	v_add_u32_e32 v1, 1, v1
	buffer_store_dword v1, off, s[56:59], 0 offset:12 ; 4-byte Folded Spill
	buffer_store_dword v6, off, s[56:59], 0 offset:8 ; 4-byte Folded Spill
	v_lshlrev_b32_e32 v1, 2, v6
	v_lshl_or_b32 v1, v23, 6, v1
	v_addc_co_u32_e64 v4, s[4:5], 0, v2, s[4:5]
	v_add_u32_e32 v33, 0x100, v1
	s_movk_i32 s54, 0x7fff
	v_mov_b32_e32 v34, 0
	v_mbcnt_hi_u32_b32 v36, -1, v0
	v_mov_b32_e32 v30, 0xff7fffff
	v_mov_b32_e32 v37, v23
	s_branch .LBB297_13
.LBB297_11:                             ;   in Loop: Header=BB297_13 Depth=1
	s_or_b64 exec, exec, s[40:41]
.LBB297_12:                             ;   in Loop: Header=BB297_13 Depth=1
	s_or_b64 exec, exec, s[6:7]
	v_add_co_u32_e64 v3, s[4:5], 8, v3
	v_add_u32_e32 v37, 2, v37
	v_addc_co_u32_e64 v4, s[4:5], 0, v4, s[4:5]
	v_cmp_le_i32_e64 s[4:5], s48, v37
	v_add_u32_e32 v31, 32, v31
	s_or_b64 s[38:39], s[4:5], s[38:39]
	v_add_u32_e32 v33, 0x80, v33
	s_andn2_b64 exec, exec, s[38:39]
	s_cbranch_execz .LBB297_200
.LBB297_13:                             ; =>This Inner Loop Header: Depth=1
	v_mul_hi_u32 v1, v31, s46
	v_mul_lo_u32 v2, v1, s25
	v_add_u32_e32 v5, 1, v1
	v_sub_u32_e32 v2, v31, v2
	v_cmp_le_u32_e64 s[4:5], s25, v2
	v_cndmask_b32_e64 v1, v1, v5, s[4:5]
	v_subrev_u32_e32 v5, s25, v2
	v_cndmask_b32_e64 v2, v2, v5, s[4:5]
	v_add_u32_e32 v5, 1, v1
	v_cmp_le_u32_e64 s[4:5], s25, v2
	v_cndmask_b32_e64 v1, v1, v5, s[4:5]
	v_xor_b32_e32 v1, s47, v1
	v_subrev_u32_e32 v1, s47, v1
	v_add_u32_e32 v2, s36, v1
	v_sub_u32_e32 v5, 0, v2
	v_max_i32_e32 v5, v2, v5
	s_waitcnt lgkmcnt(0)
	v_mul_hi_u32 v6, v5, v28
	v_ashrrev_i32_e32 v2, 31, v2
	v_cmp_ge_i32_e64 s[6:7], s23, v1
	v_mul_lo_u32 v6, v6, s50
	v_sub_u32_e32 v5, v5, v6
	v_subrev_u32_e32 v6, s50, v5
	v_cmp_le_u32_e64 s[4:5], s50, v5
	v_cndmask_b32_e64 v5, v5, v6, s[4:5]
	v_subrev_u32_e32 v6, s50, v5
	v_cmp_le_u32_e64 s[4:5], s50, v5
	v_cndmask_b32_e64 v5, v5, v6, s[4:5]
	v_xor_b32_e32 v5, v5, v2
	v_sub_u32_e32 v2, v5, v2
	v_cmp_ne_u32_e64 s[4:5], 0, v2
	s_and_b64 s[4:5], s[4:5], s[6:7]
	s_and_saveexec_b64 s[6:7], s[4:5]
	s_xor_b64 s[4:5], exec, s[6:7]
	s_cbranch_execz .LBB297_17
; %bb.14:                               ;   in Loop: Header=BB297_13 Depth=1
	s_and_saveexec_b64 s[6:7], vcc
; %bb.15:                               ;   in Loop: Header=BB297_13 Depth=1
	v_mov_b32_e32 v1, 0xff7fffff
	ds_write_b32 v33, v1
; %bb.16:                               ;   in Loop: Header=BB297_13 Depth=1
	s_or_b64 exec, exec, s[6:7]
.LBB297_17:                             ;   in Loop: Header=BB297_13 Depth=1
	s_andn2_saveexec_b64 s[6:7], s[4:5]
	s_cbranch_execz .LBB297_12
; %bb.18:                               ;   in Loop: Header=BB297_13 Depth=1
	global_load_dword v1, v[3:4], off
	buffer_load_dword v5, off, s[56:59], 0  ; 4-byte Folded Reload
	buffer_load_dword v6, off, s[56:59], 0 offset:4 ; 4-byte Folded Reload
	v_mov_b32_e32 v40, 0
	v_mov_b32_e32 v39, 0
	s_waitcnt vmcnt(0)
	v_mad_i64_i32 v[19:20], s[4:5], v1, s51, v[5:6]
	global_load_ushort v1, v[19:20], off
	ds_read2_b32 v[9:10], v27 offset0:8 offset1:9
	ds_read2_b32 v[7:8], v27 offset0:10 offset1:11
	;; [unrolled: 1-line block ×3, first 2 shown]
	ds_read_b32 v38, v27 offset:56
	s_load_dword s55, s[12:13], 0x0
	ds_read2_b32 v[17:18], v27 offset1:1
	ds_read2_b32 v[15:16], v27 offset0:2 offset1:3
	ds_read2_b32 v[13:14], v27 offset0:4 offset1:5
	;; [unrolled: 1-line block ×3, first 2 shown]
	s_waitcnt vmcnt(0)
	v_and_b32_e32 v21, 0xffff, v1
	v_cmp_ne_u16_sdwa s[4:5], v1, v34 src0_sel:BYTE_0 src1_sel:DWORD
	s_and_saveexec_b64 s[40:41], s[4:5]
	s_cbranch_execz .LBB297_24
; %bb.19:                               ;   in Loop: Header=BB297_13 Depth=1
	v_cmp_ne_u16_sdwa s[4:5], v21, s52 src0_sel:BYTE_0 src1_sel:DWORD
	v_bfrev_b32_e32 v39, 1
	s_and_saveexec_b64 s[42:43], s[4:5]
	s_cbranch_execz .LBB297_23
; %bb.20:                               ;   in Loop: Header=BB297_13 Depth=1
	v_and_b32_e32 v22, 0x7f, v21
	v_cmp_ne_u32_e64 s[4:5], s53, v22
	v_mov_b32_e32 v39, 0x7f800001
	s_and_saveexec_b64 s[44:45], s[4:5]
	s_cbranch_execz .LBB297_22
; %bb.21:                               ;   in Loop: Header=BB297_13 Depth=1
	v_and_b32_e32 v1, 7, v21
	v_ffbh_u32_e32 v25, v1
	v_min_u32_e32 v29, 32, v25
	v_subrev_u32_e32 v25, 28, v29
	v_lshlrev_b64 v[25:26], v25, v[21:22]
	v_lshrrev_b32_e32 v2, 3, v22
	v_sub_u32_e32 v26, 29, v29
	v_and_b32_e32 v25, 7, v25
	v_cmp_gt_u32_e64 s[4:5], 8, v22
	v_cndmask_b32_e64 v2, v2, v26, s[4:5]
	v_cndmask_b32_e64 v1, v1, v25, s[4:5]
	v_lshlrev_b32_e32 v22, 24, v21
	v_bfrev_b32_e32 v0, 60
	v_lshlrev_b32_e32 v1, 20, v1
	v_and_b32_e32 v22, 0x80000000, v22
	v_lshl_add_u32 v2, v2, 23, v0
	v_or3_b32 v39, v22, v2, v1
.LBB297_22:                             ;   in Loop: Header=BB297_13 Depth=1
	s_or_b64 exec, exec, s[44:45]
.LBB297_23:                             ;   in Loop: Header=BB297_13 Depth=1
	s_or_b64 exec, exec, s[42:43]
.LBB297_24:                             ;   in Loop: Header=BB297_13 Depth=1
	s_or_b64 exec, exec, s[40:41]
	v_lshrrev_b16_e32 v22, 8, v21
	v_cmp_ne_u16_e64 s[4:5], 0, v22
	s_and_saveexec_b64 s[40:41], s[4:5]
	s_cbranch_execz .LBB297_30
; %bb.25:                               ;   in Loop: Header=BB297_13 Depth=1
	v_cmp_ne_u16_e64 s[4:5], s52, v22
	v_bfrev_b32_e32 v40, 1
	s_and_saveexec_b64 s[42:43], s[4:5]
	s_cbranch_execz .LBB297_29
; %bb.26:                               ;   in Loop: Header=BB297_13 Depth=1
	v_and_b32_e32 v25, 0x7f, v22
	v_cmp_ne_u32_e64 s[4:5], s53, v25
	v_mov_b32_e32 v40, 0x7f800001
	s_and_saveexec_b64 s[44:45], s[4:5]
	s_cbranch_execz .LBB297_28
; %bb.27:                               ;   in Loop: Header=BB297_13 Depth=1
	v_and_b32_e32 v1, 7, v22
	v_ffbh_u32_e32 v26, v1
	v_min_u32_e32 v26, 32, v26
	v_subrev_u32_e32 v29, 28, v26
	v_lshlrev_b64 v[40:41], v29, v[22:23]
	v_lshrrev_b32_e32 v2, 3, v25
	v_sub_u32_e32 v22, 29, v26
	v_and_b32_e32 v26, 7, v40
	v_cmp_gt_u32_e64 s[4:5], 8, v25
	v_cndmask_b32_e64 v2, v2, v22, s[4:5]
	v_cndmask_b32_e64 v1, v1, v26, s[4:5]
	v_lshlrev_b32_e32 v21, 16, v21
	v_bfrev_b32_e32 v0, 60
	v_lshlrev_b32_e32 v1, 20, v1
	v_and_b32_e32 v21, 0x80000000, v21
	v_lshl_add_u32 v2, v2, 23, v0
	v_or3_b32 v40, v21, v2, v1
.LBB297_28:                             ;   in Loop: Header=BB297_13 Depth=1
	s_or_b64 exec, exec, s[44:45]
.LBB297_29:                             ;   in Loop: Header=BB297_13 Depth=1
	s_or_b64 exec, exec, s[42:43]
.LBB297_30:                             ;   in Loop: Header=BB297_13 Depth=1
	s_or_b64 exec, exec, s[40:41]
	global_load_ushort v1, v[19:20], off offset:8
	v_mov_b32_e32 v42, 0
	v_mov_b32_e32 v41, 0
	s_waitcnt vmcnt(0)
	v_and_b32_e32 v21, 0xffff, v1
	v_cmp_ne_u16_sdwa s[4:5], v1, v34 src0_sel:BYTE_0 src1_sel:DWORD
	s_and_saveexec_b64 s[40:41], s[4:5]
	s_cbranch_execz .LBB297_36
; %bb.31:                               ;   in Loop: Header=BB297_13 Depth=1
	v_cmp_ne_u16_sdwa s[4:5], v21, s52 src0_sel:BYTE_0 src1_sel:DWORD
	v_bfrev_b32_e32 v41, 1
	s_and_saveexec_b64 s[42:43], s[4:5]
	s_cbranch_execz .LBB297_35
; %bb.32:                               ;   in Loop: Header=BB297_13 Depth=1
	v_and_b32_e32 v22, 0x7f, v21
	v_cmp_ne_u32_e64 s[4:5], s53, v22
	v_mov_b32_e32 v41, 0x7f800001
	s_and_saveexec_b64 s[44:45], s[4:5]
	s_cbranch_execz .LBB297_34
; %bb.33:                               ;   in Loop: Header=BB297_13 Depth=1
	v_and_b32_e32 v1, 7, v21
	v_ffbh_u32_e32 v25, v1
	v_min_u32_e32 v29, 32, v25
	v_subrev_u32_e32 v25, 28, v29
	v_lshlrev_b64 v[25:26], v25, v[21:22]
	v_lshrrev_b32_e32 v2, 3, v22
	v_sub_u32_e32 v26, 29, v29
	v_and_b32_e32 v25, 7, v25
	v_cmp_gt_u32_e64 s[4:5], 8, v22
	v_cndmask_b32_e64 v2, v2, v26, s[4:5]
	v_cndmask_b32_e64 v1, v1, v25, s[4:5]
	v_lshlrev_b32_e32 v22, 24, v21
	v_bfrev_b32_e32 v0, 60
	v_lshlrev_b32_e32 v1, 20, v1
	v_and_b32_e32 v22, 0x80000000, v22
	v_lshl_add_u32 v2, v2, 23, v0
	v_or3_b32 v41, v22, v2, v1
.LBB297_34:                             ;   in Loop: Header=BB297_13 Depth=1
	s_or_b64 exec, exec, s[44:45]
.LBB297_35:                             ;   in Loop: Header=BB297_13 Depth=1
	s_or_b64 exec, exec, s[42:43]
.LBB297_36:                             ;   in Loop: Header=BB297_13 Depth=1
	s_or_b64 exec, exec, s[40:41]
	v_lshrrev_b16_e32 v22, 8, v21
	v_cmp_ne_u16_e64 s[4:5], 0, v22
	s_and_saveexec_b64 s[40:41], s[4:5]
	s_cbranch_execz .LBB297_42
; %bb.37:                               ;   in Loop: Header=BB297_13 Depth=1
	v_cmp_ne_u16_e64 s[4:5], s52, v22
	v_bfrev_b32_e32 v42, 1
	s_and_saveexec_b64 s[42:43], s[4:5]
	s_cbranch_execz .LBB297_41
; %bb.38:                               ;   in Loop: Header=BB297_13 Depth=1
	v_and_b32_e32 v25, 0x7f, v22
	v_cmp_ne_u32_e64 s[4:5], s53, v25
	v_mov_b32_e32 v42, 0x7f800001
	s_and_saveexec_b64 s[44:45], s[4:5]
	s_cbranch_execz .LBB297_40
; %bb.39:                               ;   in Loop: Header=BB297_13 Depth=1
	v_and_b32_e32 v1, 7, v22
	v_ffbh_u32_e32 v26, v1
	v_min_u32_e32 v26, 32, v26
	v_subrev_u32_e32 v29, 28, v26
	v_lshlrev_b64 v[42:43], v29, v[22:23]
	v_lshrrev_b32_e32 v2, 3, v25
	v_sub_u32_e32 v22, 29, v26
	v_and_b32_e32 v26, 7, v42
	v_cmp_gt_u32_e64 s[4:5], 8, v25
	v_cndmask_b32_e64 v2, v2, v22, s[4:5]
	v_cndmask_b32_e64 v1, v1, v26, s[4:5]
	v_lshlrev_b32_e32 v21, 16, v21
	v_bfrev_b32_e32 v0, 60
	v_lshlrev_b32_e32 v1, 20, v1
	v_and_b32_e32 v21, 0x80000000, v21
	v_lshl_add_u32 v2, v2, 23, v0
	v_or3_b32 v42, v21, v2, v1
.LBB297_40:                             ;   in Loop: Header=BB297_13 Depth=1
	s_or_b64 exec, exec, s[44:45]
.LBB297_41:                             ;   in Loop: Header=BB297_13 Depth=1
	s_or_b64 exec, exec, s[42:43]
.LBB297_42:                             ;   in Loop: Header=BB297_13 Depth=1
	s_or_b64 exec, exec, s[40:41]
	global_load_ushort v1, v[19:20], off offset:256
	v_mov_b32_e32 v44, 0
	v_mov_b32_e32 v43, 0
	s_waitcnt vmcnt(0)
	v_and_b32_e32 v21, 0xffff, v1
	v_cmp_ne_u16_sdwa s[4:5], v1, v34 src0_sel:BYTE_0 src1_sel:DWORD
	s_and_saveexec_b64 s[40:41], s[4:5]
	s_cbranch_execz .LBB297_48
; %bb.43:                               ;   in Loop: Header=BB297_13 Depth=1
	v_cmp_ne_u16_sdwa s[4:5], v21, s52 src0_sel:BYTE_0 src1_sel:DWORD
	v_bfrev_b32_e32 v43, 1
	s_and_saveexec_b64 s[42:43], s[4:5]
	s_cbranch_execz .LBB297_47
; %bb.44:                               ;   in Loop: Header=BB297_13 Depth=1
	v_and_b32_e32 v22, 0x7f, v21
	v_cmp_ne_u32_e64 s[4:5], s53, v22
	v_mov_b32_e32 v43, 0x7f800001
	s_and_saveexec_b64 s[44:45], s[4:5]
	s_cbranch_execz .LBB297_46
; %bb.45:                               ;   in Loop: Header=BB297_13 Depth=1
	v_and_b32_e32 v1, 7, v21
	v_ffbh_u32_e32 v25, v1
	v_min_u32_e32 v29, 32, v25
	v_subrev_u32_e32 v25, 28, v29
	v_lshlrev_b64 v[25:26], v25, v[21:22]
	v_lshrrev_b32_e32 v2, 3, v22
	v_sub_u32_e32 v26, 29, v29
	v_and_b32_e32 v25, 7, v25
	v_cmp_gt_u32_e64 s[4:5], 8, v22
	v_cndmask_b32_e64 v2, v2, v26, s[4:5]
	v_cndmask_b32_e64 v1, v1, v25, s[4:5]
	v_lshlrev_b32_e32 v22, 24, v21
	v_bfrev_b32_e32 v0, 60
	v_lshlrev_b32_e32 v1, 20, v1
	v_and_b32_e32 v22, 0x80000000, v22
	v_lshl_add_u32 v2, v2, 23, v0
	v_or3_b32 v43, v22, v2, v1
.LBB297_46:                             ;   in Loop: Header=BB297_13 Depth=1
	s_or_b64 exec, exec, s[44:45]
.LBB297_47:                             ;   in Loop: Header=BB297_13 Depth=1
	s_or_b64 exec, exec, s[42:43]
.LBB297_48:                             ;   in Loop: Header=BB297_13 Depth=1
	s_or_b64 exec, exec, s[40:41]
	v_lshrrev_b16_e32 v22, 8, v21
	v_cmp_ne_u16_e64 s[4:5], 0, v22
	s_and_saveexec_b64 s[40:41], s[4:5]
	s_cbranch_execz .LBB297_54
; %bb.49:                               ;   in Loop: Header=BB297_13 Depth=1
	v_cmp_ne_u16_e64 s[4:5], s52, v22
	v_bfrev_b32_e32 v44, 1
	s_and_saveexec_b64 s[42:43], s[4:5]
	s_cbranch_execz .LBB297_53
; %bb.50:                               ;   in Loop: Header=BB297_13 Depth=1
	v_and_b32_e32 v25, 0x7f, v22
	v_cmp_ne_u32_e64 s[4:5], s53, v25
	v_mov_b32_e32 v44, 0x7f800001
	s_and_saveexec_b64 s[44:45], s[4:5]
	s_cbranch_execz .LBB297_52
; %bb.51:                               ;   in Loop: Header=BB297_13 Depth=1
	v_and_b32_e32 v1, 7, v22
	v_ffbh_u32_e32 v26, v1
	v_min_u32_e32 v26, 32, v26
	v_subrev_u32_e32 v29, 28, v26
	v_lshlrev_b64 v[44:45], v29, v[22:23]
	v_lshrrev_b32_e32 v2, 3, v25
	v_sub_u32_e32 v22, 29, v26
	v_and_b32_e32 v26, 7, v44
	v_cmp_gt_u32_e64 s[4:5], 8, v25
	v_cndmask_b32_e64 v2, v2, v22, s[4:5]
	v_cndmask_b32_e64 v1, v1, v26, s[4:5]
	v_lshlrev_b32_e32 v21, 16, v21
	v_bfrev_b32_e32 v0, 60
	v_lshlrev_b32_e32 v1, 20, v1
	v_and_b32_e32 v21, 0x80000000, v21
	v_lshl_add_u32 v2, v2, 23, v0
	v_or3_b32 v44, v21, v2, v1
.LBB297_52:                             ;   in Loop: Header=BB297_13 Depth=1
	s_or_b64 exec, exec, s[44:45]
.LBB297_53:                             ;   in Loop: Header=BB297_13 Depth=1
	s_or_b64 exec, exec, s[42:43]
.LBB297_54:                             ;   in Loop: Header=BB297_13 Depth=1
	s_or_b64 exec, exec, s[40:41]
	global_load_ushort v1, v[19:20], off offset:264
	v_mov_b32_e32 v46, 0
	v_mov_b32_e32 v45, 0
	s_waitcnt vmcnt(0)
	v_and_b32_e32 v21, 0xffff, v1
	v_cmp_ne_u16_sdwa s[4:5], v1, v34 src0_sel:BYTE_0 src1_sel:DWORD
	s_and_saveexec_b64 s[40:41], s[4:5]
	s_cbranch_execz .LBB297_60
; %bb.55:                               ;   in Loop: Header=BB297_13 Depth=1
	v_cmp_ne_u16_sdwa s[4:5], v21, s52 src0_sel:BYTE_0 src1_sel:DWORD
	v_bfrev_b32_e32 v45, 1
	s_and_saveexec_b64 s[42:43], s[4:5]
	s_cbranch_execz .LBB297_59
; %bb.56:                               ;   in Loop: Header=BB297_13 Depth=1
	v_and_b32_e32 v22, 0x7f, v21
	v_cmp_ne_u32_e64 s[4:5], s53, v22
	v_mov_b32_e32 v45, 0x7f800001
	s_and_saveexec_b64 s[44:45], s[4:5]
	s_cbranch_execz .LBB297_58
; %bb.57:                               ;   in Loop: Header=BB297_13 Depth=1
	v_and_b32_e32 v1, 7, v21
	v_ffbh_u32_e32 v25, v1
	v_min_u32_e32 v29, 32, v25
	v_subrev_u32_e32 v25, 28, v29
	v_lshlrev_b64 v[25:26], v25, v[21:22]
	v_lshrrev_b32_e32 v2, 3, v22
	v_sub_u32_e32 v26, 29, v29
	v_and_b32_e32 v25, 7, v25
	v_cmp_gt_u32_e64 s[4:5], 8, v22
	v_cndmask_b32_e64 v2, v2, v26, s[4:5]
	v_cndmask_b32_e64 v1, v1, v25, s[4:5]
	v_lshlrev_b32_e32 v22, 24, v21
	v_bfrev_b32_e32 v0, 60
	v_lshlrev_b32_e32 v1, 20, v1
	v_and_b32_e32 v22, 0x80000000, v22
	v_lshl_add_u32 v2, v2, 23, v0
	v_or3_b32 v45, v22, v2, v1
.LBB297_58:                             ;   in Loop: Header=BB297_13 Depth=1
	s_or_b64 exec, exec, s[44:45]
.LBB297_59:                             ;   in Loop: Header=BB297_13 Depth=1
	s_or_b64 exec, exec, s[42:43]
.LBB297_60:                             ;   in Loop: Header=BB297_13 Depth=1
	s_or_b64 exec, exec, s[40:41]
	v_lshrrev_b16_e32 v22, 8, v21
	v_cmp_ne_u16_e64 s[4:5], 0, v22
	s_and_saveexec_b64 s[40:41], s[4:5]
	s_cbranch_execz .LBB297_66
; %bb.61:                               ;   in Loop: Header=BB297_13 Depth=1
	v_cmp_ne_u16_e64 s[4:5], s52, v22
	v_bfrev_b32_e32 v46, 1
	s_and_saveexec_b64 s[42:43], s[4:5]
	s_cbranch_execz .LBB297_65
; %bb.62:                               ;   in Loop: Header=BB297_13 Depth=1
	v_and_b32_e32 v25, 0x7f, v22
	v_cmp_ne_u32_e64 s[4:5], s53, v25
	v_mov_b32_e32 v46, 0x7f800001
	s_and_saveexec_b64 s[44:45], s[4:5]
	s_cbranch_execz .LBB297_64
; %bb.63:                               ;   in Loop: Header=BB297_13 Depth=1
	v_and_b32_e32 v1, 7, v22
	v_ffbh_u32_e32 v26, v1
	v_min_u32_e32 v26, 32, v26
	v_subrev_u32_e32 v29, 28, v26
	v_lshlrev_b64 v[46:47], v29, v[22:23]
	v_lshrrev_b32_e32 v2, 3, v25
	v_sub_u32_e32 v22, 29, v26
	v_and_b32_e32 v26, 7, v46
	v_cmp_gt_u32_e64 s[4:5], 8, v25
	v_cndmask_b32_e64 v2, v2, v22, s[4:5]
	v_cndmask_b32_e64 v1, v1, v26, s[4:5]
	v_lshlrev_b32_e32 v21, 16, v21
	v_bfrev_b32_e32 v0, 60
	v_lshlrev_b32_e32 v1, 20, v1
	v_and_b32_e32 v21, 0x80000000, v21
	v_lshl_add_u32 v2, v2, 23, v0
	v_or3_b32 v46, v21, v2, v1
.LBB297_64:                             ;   in Loop: Header=BB297_13 Depth=1
	s_or_b64 exec, exec, s[44:45]
.LBB297_65:                             ;   in Loop: Header=BB297_13 Depth=1
	s_or_b64 exec, exec, s[42:43]
.LBB297_66:                             ;   in Loop: Header=BB297_13 Depth=1
	s_or_b64 exec, exec, s[40:41]
	global_load_ushort v1, v[19:20], off offset:512
	v_mov_b32_e32 v48, 0
	v_mov_b32_e32 v47, 0
	s_waitcnt vmcnt(0)
	v_and_b32_e32 v21, 0xffff, v1
	v_cmp_ne_u16_sdwa s[4:5], v1, v34 src0_sel:BYTE_0 src1_sel:DWORD
	s_and_saveexec_b64 s[40:41], s[4:5]
	s_cbranch_execz .LBB297_72
; %bb.67:                               ;   in Loop: Header=BB297_13 Depth=1
	v_cmp_ne_u16_sdwa s[4:5], v21, s52 src0_sel:BYTE_0 src1_sel:DWORD
	v_bfrev_b32_e32 v47, 1
	s_and_saveexec_b64 s[42:43], s[4:5]
	s_cbranch_execz .LBB297_71
; %bb.68:                               ;   in Loop: Header=BB297_13 Depth=1
	v_and_b32_e32 v22, 0x7f, v21
	v_cmp_ne_u32_e64 s[4:5], s53, v22
	v_mov_b32_e32 v47, 0x7f800001
	s_and_saveexec_b64 s[44:45], s[4:5]
	s_cbranch_execz .LBB297_70
; %bb.69:                               ;   in Loop: Header=BB297_13 Depth=1
	v_and_b32_e32 v1, 7, v21
	v_ffbh_u32_e32 v25, v1
	v_min_u32_e32 v29, 32, v25
	v_subrev_u32_e32 v25, 28, v29
	v_lshlrev_b64 v[25:26], v25, v[21:22]
	v_lshrrev_b32_e32 v2, 3, v22
	v_sub_u32_e32 v26, 29, v29
	v_and_b32_e32 v25, 7, v25
	v_cmp_gt_u32_e64 s[4:5], 8, v22
	v_cndmask_b32_e64 v2, v2, v26, s[4:5]
	v_cndmask_b32_e64 v1, v1, v25, s[4:5]
	v_lshlrev_b32_e32 v22, 24, v21
	v_bfrev_b32_e32 v0, 60
	v_lshlrev_b32_e32 v1, 20, v1
	v_and_b32_e32 v22, 0x80000000, v22
	v_lshl_add_u32 v2, v2, 23, v0
	v_or3_b32 v47, v22, v2, v1
.LBB297_70:                             ;   in Loop: Header=BB297_13 Depth=1
	s_or_b64 exec, exec, s[44:45]
.LBB297_71:                             ;   in Loop: Header=BB297_13 Depth=1
	s_or_b64 exec, exec, s[42:43]
.LBB297_72:                             ;   in Loop: Header=BB297_13 Depth=1
	s_or_b64 exec, exec, s[40:41]
	v_lshrrev_b16_e32 v22, 8, v21
	v_cmp_ne_u16_e64 s[4:5], 0, v22
	s_and_saveexec_b64 s[40:41], s[4:5]
	s_cbranch_execz .LBB297_78
; %bb.73:                               ;   in Loop: Header=BB297_13 Depth=1
	v_cmp_ne_u16_e64 s[4:5], s52, v22
	v_bfrev_b32_e32 v48, 1
	s_and_saveexec_b64 s[42:43], s[4:5]
	s_cbranch_execz .LBB297_77
; %bb.74:                               ;   in Loop: Header=BB297_13 Depth=1
	v_and_b32_e32 v25, 0x7f, v22
	v_cmp_ne_u32_e64 s[4:5], s53, v25
	v_mov_b32_e32 v48, 0x7f800001
	s_and_saveexec_b64 s[44:45], s[4:5]
	s_cbranch_execz .LBB297_76
; %bb.75:                               ;   in Loop: Header=BB297_13 Depth=1
	v_and_b32_e32 v1, 7, v22
	v_ffbh_u32_e32 v26, v1
	v_min_u32_e32 v26, 32, v26
	v_subrev_u32_e32 v29, 28, v26
	v_lshlrev_b64 v[48:49], v29, v[22:23]
	v_lshrrev_b32_e32 v2, 3, v25
	v_sub_u32_e32 v22, 29, v26
	v_and_b32_e32 v26, 7, v48
	v_cmp_gt_u32_e64 s[4:5], 8, v25
	v_cndmask_b32_e64 v2, v2, v22, s[4:5]
	v_cndmask_b32_e64 v1, v1, v26, s[4:5]
	v_lshlrev_b32_e32 v21, 16, v21
	v_bfrev_b32_e32 v0, 60
	v_lshlrev_b32_e32 v1, 20, v1
	v_and_b32_e32 v21, 0x80000000, v21
	v_lshl_add_u32 v2, v2, 23, v0
	v_or3_b32 v48, v21, v2, v1
.LBB297_76:                             ;   in Loop: Header=BB297_13 Depth=1
	s_or_b64 exec, exec, s[44:45]
.LBB297_77:                             ;   in Loop: Header=BB297_13 Depth=1
	s_or_b64 exec, exec, s[42:43]
.LBB297_78:                             ;   in Loop: Header=BB297_13 Depth=1
	s_or_b64 exec, exec, s[40:41]
	global_load_ushort v1, v[19:20], off offset:520
	v_mov_b32_e32 v50, 0
	v_mov_b32_e32 v49, 0
	s_waitcnt vmcnt(0)
	v_and_b32_e32 v21, 0xffff, v1
	v_cmp_ne_u16_sdwa s[4:5], v1, v34 src0_sel:BYTE_0 src1_sel:DWORD
	s_and_saveexec_b64 s[40:41], s[4:5]
	s_cbranch_execz .LBB297_84
; %bb.79:                               ;   in Loop: Header=BB297_13 Depth=1
	v_cmp_ne_u16_sdwa s[4:5], v21, s52 src0_sel:BYTE_0 src1_sel:DWORD
	v_bfrev_b32_e32 v49, 1
	s_and_saveexec_b64 s[42:43], s[4:5]
	s_cbranch_execz .LBB297_83
; %bb.80:                               ;   in Loop: Header=BB297_13 Depth=1
	v_and_b32_e32 v22, 0x7f, v21
	v_cmp_ne_u32_e64 s[4:5], s53, v22
	v_mov_b32_e32 v49, 0x7f800001
	s_and_saveexec_b64 s[44:45], s[4:5]
	s_cbranch_execz .LBB297_82
; %bb.81:                               ;   in Loop: Header=BB297_13 Depth=1
	v_and_b32_e32 v1, 7, v21
	v_ffbh_u32_e32 v25, v1
	v_min_u32_e32 v29, 32, v25
	v_subrev_u32_e32 v25, 28, v29
	v_lshlrev_b64 v[25:26], v25, v[21:22]
	v_lshrrev_b32_e32 v2, 3, v22
	v_sub_u32_e32 v26, 29, v29
	v_and_b32_e32 v25, 7, v25
	v_cmp_gt_u32_e64 s[4:5], 8, v22
	v_cndmask_b32_e64 v2, v2, v26, s[4:5]
	v_cndmask_b32_e64 v1, v1, v25, s[4:5]
	v_lshlrev_b32_e32 v22, 24, v21
	v_bfrev_b32_e32 v0, 60
	v_lshlrev_b32_e32 v1, 20, v1
	v_and_b32_e32 v22, 0x80000000, v22
	v_lshl_add_u32 v2, v2, 23, v0
	v_or3_b32 v49, v22, v2, v1
.LBB297_82:                             ;   in Loop: Header=BB297_13 Depth=1
	s_or_b64 exec, exec, s[44:45]
.LBB297_83:                             ;   in Loop: Header=BB297_13 Depth=1
	s_or_b64 exec, exec, s[42:43]
.LBB297_84:                             ;   in Loop: Header=BB297_13 Depth=1
	s_or_b64 exec, exec, s[40:41]
	v_lshrrev_b16_e32 v22, 8, v21
	v_cmp_ne_u16_e64 s[4:5], 0, v22
	s_and_saveexec_b64 s[40:41], s[4:5]
	s_cbranch_execz .LBB297_90
; %bb.85:                               ;   in Loop: Header=BB297_13 Depth=1
	v_cmp_ne_u16_e64 s[4:5], s52, v22
	v_bfrev_b32_e32 v50, 1
	s_and_saveexec_b64 s[42:43], s[4:5]
	s_cbranch_execz .LBB297_89
; %bb.86:                               ;   in Loop: Header=BB297_13 Depth=1
	v_and_b32_e32 v25, 0x7f, v22
	v_cmp_ne_u32_e64 s[4:5], s53, v25
	v_mov_b32_e32 v50, 0x7f800001
	s_and_saveexec_b64 s[44:45], s[4:5]
	s_cbranch_execz .LBB297_88
; %bb.87:                               ;   in Loop: Header=BB297_13 Depth=1
	v_and_b32_e32 v1, 7, v22
	v_ffbh_u32_e32 v26, v1
	v_min_u32_e32 v26, 32, v26
	v_subrev_u32_e32 v29, 28, v26
	v_lshlrev_b64 v[50:51], v29, v[22:23]
	v_lshrrev_b32_e32 v2, 3, v25
	v_sub_u32_e32 v22, 29, v26
	v_and_b32_e32 v26, 7, v50
	v_cmp_gt_u32_e64 s[4:5], 8, v25
	v_cndmask_b32_e64 v2, v2, v22, s[4:5]
	v_cndmask_b32_e64 v1, v1, v26, s[4:5]
	v_lshlrev_b32_e32 v21, 16, v21
	v_bfrev_b32_e32 v0, 60
	v_lshlrev_b32_e32 v1, 20, v1
	v_and_b32_e32 v21, 0x80000000, v21
	v_lshl_add_u32 v2, v2, 23, v0
	v_or3_b32 v50, v21, v2, v1
.LBB297_88:                             ;   in Loop: Header=BB297_13 Depth=1
	s_or_b64 exec, exec, s[44:45]
.LBB297_89:                             ;   in Loop: Header=BB297_13 Depth=1
	s_or_b64 exec, exec, s[42:43]
.LBB297_90:                             ;   in Loop: Header=BB297_13 Depth=1
	s_or_b64 exec, exec, s[40:41]
	global_load_ushort v1, v[19:20], off offset:768
	v_mov_b32_e32 v52, 0
	v_mov_b32_e32 v51, 0
	s_waitcnt vmcnt(0)
	v_and_b32_e32 v21, 0xffff, v1
	v_cmp_ne_u16_sdwa s[4:5], v1, v34 src0_sel:BYTE_0 src1_sel:DWORD
	s_and_saveexec_b64 s[40:41], s[4:5]
	s_cbranch_execz .LBB297_96
; %bb.91:                               ;   in Loop: Header=BB297_13 Depth=1
	v_cmp_ne_u16_sdwa s[4:5], v21, s52 src0_sel:BYTE_0 src1_sel:DWORD
	v_bfrev_b32_e32 v51, 1
	s_and_saveexec_b64 s[42:43], s[4:5]
	s_cbranch_execz .LBB297_95
; %bb.92:                               ;   in Loop: Header=BB297_13 Depth=1
	v_and_b32_e32 v22, 0x7f, v21
	v_cmp_ne_u32_e64 s[4:5], s53, v22
	v_mov_b32_e32 v51, 0x7f800001
	s_and_saveexec_b64 s[44:45], s[4:5]
	s_cbranch_execz .LBB297_94
; %bb.93:                               ;   in Loop: Header=BB297_13 Depth=1
	v_and_b32_e32 v1, 7, v21
	v_ffbh_u32_e32 v25, v1
	v_min_u32_e32 v29, 32, v25
	v_subrev_u32_e32 v25, 28, v29
	v_lshlrev_b64 v[25:26], v25, v[21:22]
	v_lshrrev_b32_e32 v2, 3, v22
	v_sub_u32_e32 v26, 29, v29
	v_and_b32_e32 v25, 7, v25
	v_cmp_gt_u32_e64 s[4:5], 8, v22
	v_cndmask_b32_e64 v2, v2, v26, s[4:5]
	v_cndmask_b32_e64 v1, v1, v25, s[4:5]
	v_lshlrev_b32_e32 v22, 24, v21
	v_bfrev_b32_e32 v0, 60
	v_lshlrev_b32_e32 v1, 20, v1
	v_and_b32_e32 v22, 0x80000000, v22
	v_lshl_add_u32 v2, v2, 23, v0
	v_or3_b32 v51, v22, v2, v1
.LBB297_94:                             ;   in Loop: Header=BB297_13 Depth=1
	s_or_b64 exec, exec, s[44:45]
.LBB297_95:                             ;   in Loop: Header=BB297_13 Depth=1
	s_or_b64 exec, exec, s[42:43]
.LBB297_96:                             ;   in Loop: Header=BB297_13 Depth=1
	s_or_b64 exec, exec, s[40:41]
	v_lshrrev_b16_e32 v22, 8, v21
	v_cmp_ne_u16_e64 s[4:5], 0, v22
	s_and_saveexec_b64 s[40:41], s[4:5]
	s_cbranch_execz .LBB297_102
; %bb.97:                               ;   in Loop: Header=BB297_13 Depth=1
	v_cmp_ne_u16_e64 s[4:5], s52, v22
	v_bfrev_b32_e32 v52, 1
	s_and_saveexec_b64 s[42:43], s[4:5]
	s_cbranch_execz .LBB297_101
; %bb.98:                               ;   in Loop: Header=BB297_13 Depth=1
	v_and_b32_e32 v25, 0x7f, v22
	v_cmp_ne_u32_e64 s[4:5], s53, v25
	v_mov_b32_e32 v52, 0x7f800001
	s_and_saveexec_b64 s[44:45], s[4:5]
	s_cbranch_execz .LBB297_100
; %bb.99:                               ;   in Loop: Header=BB297_13 Depth=1
	v_and_b32_e32 v1, 7, v22
	v_ffbh_u32_e32 v26, v1
	v_min_u32_e32 v26, 32, v26
	v_subrev_u32_e32 v29, 28, v26
	v_lshlrev_b64 v[52:53], v29, v[22:23]
	v_lshrrev_b32_e32 v2, 3, v25
	v_sub_u32_e32 v22, 29, v26
	v_and_b32_e32 v26, 7, v52
	v_cmp_gt_u32_e64 s[4:5], 8, v25
	v_cndmask_b32_e64 v2, v2, v22, s[4:5]
	v_cndmask_b32_e64 v1, v1, v26, s[4:5]
	v_lshlrev_b32_e32 v21, 16, v21
	v_bfrev_b32_e32 v0, 60
	v_lshlrev_b32_e32 v1, 20, v1
	v_and_b32_e32 v21, 0x80000000, v21
	v_lshl_add_u32 v2, v2, 23, v0
	v_or3_b32 v52, v21, v2, v1
.LBB297_100:                            ;   in Loop: Header=BB297_13 Depth=1
	s_or_b64 exec, exec, s[44:45]
.LBB297_101:                            ;   in Loop: Header=BB297_13 Depth=1
	s_or_b64 exec, exec, s[42:43]
.LBB297_102:                            ;   in Loop: Header=BB297_13 Depth=1
	s_or_b64 exec, exec, s[40:41]
	global_load_ushort v1, v[19:20], off offset:776
	v_mov_b32_e32 v54, 0
	v_mov_b32_e32 v53, 0
	s_waitcnt vmcnt(0)
	v_and_b32_e32 v21, 0xffff, v1
	v_cmp_ne_u16_sdwa s[4:5], v1, v34 src0_sel:BYTE_0 src1_sel:DWORD
	s_and_saveexec_b64 s[40:41], s[4:5]
	s_cbranch_execz .LBB297_108
; %bb.103:                              ;   in Loop: Header=BB297_13 Depth=1
	v_cmp_ne_u16_sdwa s[4:5], v21, s52 src0_sel:BYTE_0 src1_sel:DWORD
	v_bfrev_b32_e32 v53, 1
	s_and_saveexec_b64 s[42:43], s[4:5]
	s_cbranch_execz .LBB297_107
; %bb.104:                              ;   in Loop: Header=BB297_13 Depth=1
	v_and_b32_e32 v22, 0x7f, v21
	v_cmp_ne_u32_e64 s[4:5], s53, v22
	v_mov_b32_e32 v53, 0x7f800001
	s_and_saveexec_b64 s[44:45], s[4:5]
	s_cbranch_execz .LBB297_106
; %bb.105:                              ;   in Loop: Header=BB297_13 Depth=1
	v_and_b32_e32 v1, 7, v21
	v_ffbh_u32_e32 v25, v1
	v_min_u32_e32 v29, 32, v25
	v_subrev_u32_e32 v25, 28, v29
	v_lshlrev_b64 v[25:26], v25, v[21:22]
	v_lshrrev_b32_e32 v2, 3, v22
	v_sub_u32_e32 v26, 29, v29
	v_and_b32_e32 v25, 7, v25
	v_cmp_gt_u32_e64 s[4:5], 8, v22
	v_cndmask_b32_e64 v2, v2, v26, s[4:5]
	v_cndmask_b32_e64 v1, v1, v25, s[4:5]
	v_lshlrev_b32_e32 v22, 24, v21
	v_bfrev_b32_e32 v0, 60
	v_lshlrev_b32_e32 v1, 20, v1
	v_and_b32_e32 v22, 0x80000000, v22
	v_lshl_add_u32 v2, v2, 23, v0
	v_or3_b32 v53, v22, v2, v1
.LBB297_106:                            ;   in Loop: Header=BB297_13 Depth=1
	s_or_b64 exec, exec, s[44:45]
.LBB297_107:                            ;   in Loop: Header=BB297_13 Depth=1
	s_or_b64 exec, exec, s[42:43]
.LBB297_108:                            ;   in Loop: Header=BB297_13 Depth=1
	s_or_b64 exec, exec, s[40:41]
	v_lshrrev_b16_e32 v22, 8, v21
	v_cmp_ne_u16_e64 s[4:5], 0, v22
	s_and_saveexec_b64 s[40:41], s[4:5]
	s_cbranch_execz .LBB297_114
; %bb.109:                              ;   in Loop: Header=BB297_13 Depth=1
	v_cmp_ne_u16_e64 s[4:5], s52, v22
	v_bfrev_b32_e32 v54, 1
	s_and_saveexec_b64 s[42:43], s[4:5]
	s_cbranch_execz .LBB297_113
; %bb.110:                              ;   in Loop: Header=BB297_13 Depth=1
	v_and_b32_e32 v25, 0x7f, v22
	v_cmp_ne_u32_e64 s[4:5], s53, v25
	v_mov_b32_e32 v54, 0x7f800001
	s_and_saveexec_b64 s[44:45], s[4:5]
	s_cbranch_execz .LBB297_112
; %bb.111:                              ;   in Loop: Header=BB297_13 Depth=1
	v_and_b32_e32 v1, 7, v22
	v_ffbh_u32_e32 v26, v1
	v_min_u32_e32 v26, 32, v26
	v_subrev_u32_e32 v29, 28, v26
	v_lshlrev_b64 v[54:55], v29, v[22:23]
	v_lshrrev_b32_e32 v2, 3, v25
	v_sub_u32_e32 v22, 29, v26
	v_and_b32_e32 v26, 7, v54
	v_cmp_gt_u32_e64 s[4:5], 8, v25
	v_cndmask_b32_e64 v2, v2, v22, s[4:5]
	v_cndmask_b32_e64 v1, v1, v26, s[4:5]
	v_lshlrev_b32_e32 v21, 16, v21
	v_bfrev_b32_e32 v0, 60
	v_lshlrev_b32_e32 v1, 20, v1
	v_and_b32_e32 v21, 0x80000000, v21
	v_lshl_add_u32 v2, v2, 23, v0
	v_or3_b32 v54, v21, v2, v1
.LBB297_112:                            ;   in Loop: Header=BB297_13 Depth=1
	s_or_b64 exec, exec, s[44:45]
.LBB297_113:                            ;   in Loop: Header=BB297_13 Depth=1
	s_or_b64 exec, exec, s[42:43]
.LBB297_114:                            ;   in Loop: Header=BB297_13 Depth=1
	s_or_b64 exec, exec, s[40:41]
	global_load_ushort v1, v[19:20], off offset:1024
	v_mov_b32_e32 v56, 0
	v_mov_b32_e32 v55, 0
	s_waitcnt vmcnt(0)
	v_and_b32_e32 v21, 0xffff, v1
	v_cmp_ne_u16_sdwa s[4:5], v1, v34 src0_sel:BYTE_0 src1_sel:DWORD
	s_and_saveexec_b64 s[40:41], s[4:5]
	s_cbranch_execz .LBB297_120
; %bb.115:                              ;   in Loop: Header=BB297_13 Depth=1
	v_cmp_ne_u16_sdwa s[4:5], v21, s52 src0_sel:BYTE_0 src1_sel:DWORD
	v_bfrev_b32_e32 v55, 1
	s_and_saveexec_b64 s[42:43], s[4:5]
	s_cbranch_execz .LBB297_119
; %bb.116:                              ;   in Loop: Header=BB297_13 Depth=1
	v_and_b32_e32 v22, 0x7f, v21
	v_cmp_ne_u32_e64 s[4:5], s53, v22
	v_mov_b32_e32 v55, 0x7f800001
	s_and_saveexec_b64 s[44:45], s[4:5]
	s_cbranch_execz .LBB297_118
; %bb.117:                              ;   in Loop: Header=BB297_13 Depth=1
	v_and_b32_e32 v1, 7, v21
	v_ffbh_u32_e32 v25, v1
	v_min_u32_e32 v29, 32, v25
	v_subrev_u32_e32 v25, 28, v29
	v_lshlrev_b64 v[25:26], v25, v[21:22]
	v_lshrrev_b32_e32 v2, 3, v22
	v_sub_u32_e32 v26, 29, v29
	v_and_b32_e32 v25, 7, v25
	v_cmp_gt_u32_e64 s[4:5], 8, v22
	v_cndmask_b32_e64 v2, v2, v26, s[4:5]
	v_cndmask_b32_e64 v1, v1, v25, s[4:5]
	v_lshlrev_b32_e32 v22, 24, v21
	v_bfrev_b32_e32 v0, 60
	v_lshlrev_b32_e32 v1, 20, v1
	v_and_b32_e32 v22, 0x80000000, v22
	v_lshl_add_u32 v2, v2, 23, v0
	v_or3_b32 v55, v22, v2, v1
.LBB297_118:                            ;   in Loop: Header=BB297_13 Depth=1
	s_or_b64 exec, exec, s[44:45]
.LBB297_119:                            ;   in Loop: Header=BB297_13 Depth=1
	s_or_b64 exec, exec, s[42:43]
.LBB297_120:                            ;   in Loop: Header=BB297_13 Depth=1
	s_or_b64 exec, exec, s[40:41]
	v_lshrrev_b16_e32 v22, 8, v21
	v_cmp_ne_u16_e64 s[4:5], 0, v22
	s_and_saveexec_b64 s[40:41], s[4:5]
	s_cbranch_execz .LBB297_126
; %bb.121:                              ;   in Loop: Header=BB297_13 Depth=1
	v_cmp_ne_u16_e64 s[4:5], s52, v22
	v_bfrev_b32_e32 v56, 1
	s_and_saveexec_b64 s[42:43], s[4:5]
	s_cbranch_execz .LBB297_125
; %bb.122:                              ;   in Loop: Header=BB297_13 Depth=1
	v_and_b32_e32 v25, 0x7f, v22
	v_cmp_ne_u32_e64 s[4:5], s53, v25
	v_mov_b32_e32 v56, 0x7f800001
	s_and_saveexec_b64 s[44:45], s[4:5]
	s_cbranch_execz .LBB297_124
; %bb.123:                              ;   in Loop: Header=BB297_13 Depth=1
	v_and_b32_e32 v1, 7, v22
	v_ffbh_u32_e32 v26, v1
	v_min_u32_e32 v26, 32, v26
	v_subrev_u32_e32 v29, 28, v26
	v_lshlrev_b64 v[56:57], v29, v[22:23]
	v_lshrrev_b32_e32 v2, 3, v25
	v_sub_u32_e32 v22, 29, v26
	v_and_b32_e32 v26, 7, v56
	v_cmp_gt_u32_e64 s[4:5], 8, v25
	v_cndmask_b32_e64 v2, v2, v22, s[4:5]
	v_cndmask_b32_e64 v1, v1, v26, s[4:5]
	v_lshlrev_b32_e32 v21, 16, v21
	v_bfrev_b32_e32 v0, 60
	v_lshlrev_b32_e32 v1, 20, v1
	v_and_b32_e32 v21, 0x80000000, v21
	v_lshl_add_u32 v2, v2, 23, v0
	v_or3_b32 v56, v21, v2, v1
.LBB297_124:                            ;   in Loop: Header=BB297_13 Depth=1
	s_or_b64 exec, exec, s[44:45]
.LBB297_125:                            ;   in Loop: Header=BB297_13 Depth=1
	s_or_b64 exec, exec, s[42:43]
.LBB297_126:                            ;   in Loop: Header=BB297_13 Depth=1
	s_or_b64 exec, exec, s[40:41]
	global_load_ushort v1, v[19:20], off offset:1032
	v_mov_b32_e32 v58, 0
	v_mov_b32_e32 v57, 0
	s_waitcnt vmcnt(0)
	v_and_b32_e32 v21, 0xffff, v1
	v_cmp_ne_u16_sdwa s[4:5], v1, v34 src0_sel:BYTE_0 src1_sel:DWORD
	s_and_saveexec_b64 s[40:41], s[4:5]
	s_cbranch_execz .LBB297_132
; %bb.127:                              ;   in Loop: Header=BB297_13 Depth=1
	v_cmp_ne_u16_sdwa s[4:5], v21, s52 src0_sel:BYTE_0 src1_sel:DWORD
	v_bfrev_b32_e32 v57, 1
	s_and_saveexec_b64 s[42:43], s[4:5]
	s_cbranch_execz .LBB297_131
; %bb.128:                              ;   in Loop: Header=BB297_13 Depth=1
	v_and_b32_e32 v22, 0x7f, v21
	v_cmp_ne_u32_e64 s[4:5], s53, v22
	v_mov_b32_e32 v57, 0x7f800001
	s_and_saveexec_b64 s[44:45], s[4:5]
	s_cbranch_execz .LBB297_130
; %bb.129:                              ;   in Loop: Header=BB297_13 Depth=1
	v_and_b32_e32 v1, 7, v21
	v_lshrrev_b32_e32 v2, 3, v22
	v_cmp_gt_u32_e64 s[4:5], 8, v22
	v_ffbh_u32_e32 v22, v1
	v_min_u32_e32 v22, 32, v22
	v_subrev_u32_e32 v25, 28, v22
	v_lshlrev_b64 v[25:26], v25, v[21:22]
	v_sub_u32_e32 v22, 29, v22
	v_and_b32_e32 v25, 7, v25
	v_cndmask_b32_e64 v2, v2, v22, s[4:5]
	v_cndmask_b32_e64 v1, v1, v25, s[4:5]
	v_lshlrev_b32_e32 v22, 24, v21
	v_bfrev_b32_e32 v0, 60
	v_lshlrev_b32_e32 v1, 20, v1
	v_and_b32_e32 v22, 0x80000000, v22
	v_lshl_add_u32 v2, v2, 23, v0
	v_or3_b32 v57, v22, v2, v1
.LBB297_130:                            ;   in Loop: Header=BB297_13 Depth=1
	s_or_b64 exec, exec, s[44:45]
.LBB297_131:                            ;   in Loop: Header=BB297_13 Depth=1
	s_or_b64 exec, exec, s[42:43]
.LBB297_132:                            ;   in Loop: Header=BB297_13 Depth=1
	s_or_b64 exec, exec, s[40:41]
	v_lshrrev_b16_e32 v22, 8, v21
	v_cmp_ne_u16_e64 s[4:5], 0, v22
	s_and_saveexec_b64 s[40:41], s[4:5]
	s_cbranch_execz .LBB297_138
; %bb.133:                              ;   in Loop: Header=BB297_13 Depth=1
	v_cmp_ne_u16_e64 s[4:5], s52, v22
	v_bfrev_b32_e32 v58, 1
	s_and_saveexec_b64 s[42:43], s[4:5]
	s_cbranch_execz .LBB297_137
; %bb.134:                              ;   in Loop: Header=BB297_13 Depth=1
	v_and_b32_e32 v25, 0x7f, v22
	v_cmp_ne_u32_e64 s[4:5], s53, v25
	v_mov_b32_e32 v58, 0x7f800001
	s_and_saveexec_b64 s[44:45], s[4:5]
	s_cbranch_execz .LBB297_136
; %bb.135:                              ;   in Loop: Header=BB297_13 Depth=1
	v_and_b32_e32 v1, 7, v22
	v_lshrrev_b32_e32 v2, 3, v25
	v_cmp_gt_u32_e64 s[4:5], 8, v25
	v_ffbh_u32_e32 v25, v1
	v_min_u32_e32 v29, 32, v25
	v_subrev_u32_e32 v25, 28, v29
	v_lshlrev_b64 v[25:26], v25, v[22:23]
	v_sub_u32_e32 v22, 29, v29
	v_and_b32_e32 v25, 7, v25
	v_cndmask_b32_e64 v2, v2, v22, s[4:5]
	v_cndmask_b32_e64 v1, v1, v25, s[4:5]
	v_lshlrev_b32_e32 v21, 16, v21
	v_bfrev_b32_e32 v0, 60
	v_lshlrev_b32_e32 v1, 20, v1
	v_and_b32_e32 v21, 0x80000000, v21
	v_lshl_add_u32 v2, v2, 23, v0
	v_or3_b32 v58, v21, v2, v1
.LBB297_136:                            ;   in Loop: Header=BB297_13 Depth=1
	s_or_b64 exec, exec, s[44:45]
.LBB297_137:                            ;   in Loop: Header=BB297_13 Depth=1
	s_or_b64 exec, exec, s[42:43]
.LBB297_138:                            ;   in Loop: Header=BB297_13 Depth=1
	s_or_b64 exec, exec, s[40:41]
	global_load_ushort v1, v[19:20], off offset:1280
	v_mov_b32_e32 v60, 0
	v_mov_b32_e32 v59, 0
	s_waitcnt vmcnt(0)
	v_and_b32_e32 v21, 0xffff, v1
	v_cmp_ne_u16_sdwa s[4:5], v1, v34 src0_sel:BYTE_0 src1_sel:DWORD
	s_and_saveexec_b64 s[40:41], s[4:5]
	s_cbranch_execz .LBB297_144
; %bb.139:                              ;   in Loop: Header=BB297_13 Depth=1
	v_cmp_ne_u16_sdwa s[4:5], v21, s52 src0_sel:BYTE_0 src1_sel:DWORD
	v_bfrev_b32_e32 v59, 1
	s_and_saveexec_b64 s[42:43], s[4:5]
	s_cbranch_execz .LBB297_143
; %bb.140:                              ;   in Loop: Header=BB297_13 Depth=1
	v_and_b32_e32 v22, 0x7f, v21
	v_cmp_ne_u32_e64 s[4:5], s53, v22
	v_mov_b32_e32 v59, 0x7f800001
	s_and_saveexec_b64 s[44:45], s[4:5]
	s_cbranch_execz .LBB297_142
; %bb.141:                              ;   in Loop: Header=BB297_13 Depth=1
	v_and_b32_e32 v1, 7, v21
	v_lshrrev_b32_e32 v2, 3, v22
	v_cmp_gt_u32_e64 s[4:5], 8, v22
	v_ffbh_u32_e32 v22, v1
	v_min_u32_e32 v22, 32, v22
	v_subrev_u32_e32 v25, 28, v22
	v_lshlrev_b64 v[25:26], v25, v[21:22]
	v_sub_u32_e32 v22, 29, v22
	v_and_b32_e32 v25, 7, v25
	v_cndmask_b32_e64 v2, v2, v22, s[4:5]
	v_cndmask_b32_e64 v1, v1, v25, s[4:5]
	v_lshlrev_b32_e32 v22, 24, v21
	v_bfrev_b32_e32 v0, 60
	v_lshlrev_b32_e32 v1, 20, v1
	v_and_b32_e32 v22, 0x80000000, v22
	v_lshl_add_u32 v2, v2, 23, v0
	v_or3_b32 v59, v22, v2, v1
.LBB297_142:                            ;   in Loop: Header=BB297_13 Depth=1
	s_or_b64 exec, exec, s[44:45]
.LBB297_143:                            ;   in Loop: Header=BB297_13 Depth=1
	s_or_b64 exec, exec, s[42:43]
.LBB297_144:                            ;   in Loop: Header=BB297_13 Depth=1
	s_or_b64 exec, exec, s[40:41]
	v_lshrrev_b16_e32 v22, 8, v21
	v_cmp_ne_u16_e64 s[4:5], 0, v22
	s_and_saveexec_b64 s[40:41], s[4:5]
	s_cbranch_execz .LBB297_150
; %bb.145:                              ;   in Loop: Header=BB297_13 Depth=1
	v_cmp_ne_u16_e64 s[4:5], s52, v22
	v_bfrev_b32_e32 v60, 1
	s_and_saveexec_b64 s[42:43], s[4:5]
	s_cbranch_execz .LBB297_149
; %bb.146:                              ;   in Loop: Header=BB297_13 Depth=1
	v_and_b32_e32 v25, 0x7f, v22
	v_cmp_ne_u32_e64 s[4:5], s53, v25
	v_mov_b32_e32 v60, 0x7f800001
	s_and_saveexec_b64 s[44:45], s[4:5]
	s_cbranch_execz .LBB297_148
; %bb.147:                              ;   in Loop: Header=BB297_13 Depth=1
	v_and_b32_e32 v1, 7, v22
	v_lshrrev_b32_e32 v2, 3, v25
	v_cmp_gt_u32_e64 s[4:5], 8, v25
	v_ffbh_u32_e32 v25, v1
	v_min_u32_e32 v29, 32, v25
	v_subrev_u32_e32 v25, 28, v29
	v_lshlrev_b64 v[25:26], v25, v[22:23]
	v_sub_u32_e32 v22, 29, v29
	v_and_b32_e32 v25, 7, v25
	v_cndmask_b32_e64 v2, v2, v22, s[4:5]
	v_cndmask_b32_e64 v1, v1, v25, s[4:5]
	v_lshlrev_b32_e32 v21, 16, v21
	v_bfrev_b32_e32 v0, 60
	v_lshlrev_b32_e32 v1, 20, v1
	v_and_b32_e32 v21, 0x80000000, v21
	v_lshl_add_u32 v2, v2, 23, v0
	v_or3_b32 v60, v21, v2, v1
.LBB297_148:                            ;   in Loop: Header=BB297_13 Depth=1
	s_or_b64 exec, exec, s[44:45]
.LBB297_149:                            ;   in Loop: Header=BB297_13 Depth=1
	s_or_b64 exec, exec, s[42:43]
.LBB297_150:                            ;   in Loop: Header=BB297_13 Depth=1
	s_or_b64 exec, exec, s[40:41]
	global_load_ushort v1, v[19:20], off offset:1288
	v_mov_b32_e32 v62, 0
	v_mov_b32_e32 v61, 0
	s_waitcnt vmcnt(0)
	v_and_b32_e32 v21, 0xffff, v1
	v_cmp_ne_u16_sdwa s[4:5], v1, v34 src0_sel:BYTE_0 src1_sel:DWORD
	s_and_saveexec_b64 s[40:41], s[4:5]
	s_cbranch_execz .LBB297_156
; %bb.151:                              ;   in Loop: Header=BB297_13 Depth=1
	v_cmp_ne_u16_sdwa s[4:5], v21, s52 src0_sel:BYTE_0 src1_sel:DWORD
	v_bfrev_b32_e32 v61, 1
	s_and_saveexec_b64 s[42:43], s[4:5]
	s_cbranch_execz .LBB297_155
; %bb.152:                              ;   in Loop: Header=BB297_13 Depth=1
	v_and_b32_e32 v22, 0x7f, v21
	v_cmp_ne_u32_e64 s[4:5], s53, v22
	v_mov_b32_e32 v61, 0x7f800001
	s_and_saveexec_b64 s[44:45], s[4:5]
	s_cbranch_execz .LBB297_154
; %bb.153:                              ;   in Loop: Header=BB297_13 Depth=1
	v_and_b32_e32 v1, 7, v21
	v_lshrrev_b32_e32 v2, 3, v22
	v_cmp_gt_u32_e64 s[4:5], 8, v22
	v_ffbh_u32_e32 v22, v1
	v_min_u32_e32 v22, 32, v22
	v_subrev_u32_e32 v25, 28, v22
	v_lshlrev_b64 v[25:26], v25, v[21:22]
	v_sub_u32_e32 v22, 29, v22
	v_and_b32_e32 v25, 7, v25
	v_cndmask_b32_e64 v2, v2, v22, s[4:5]
	v_cndmask_b32_e64 v1, v1, v25, s[4:5]
	v_lshlrev_b32_e32 v22, 24, v21
	v_bfrev_b32_e32 v0, 60
	v_lshlrev_b32_e32 v1, 20, v1
	v_and_b32_e32 v22, 0x80000000, v22
	v_lshl_add_u32 v2, v2, 23, v0
	v_or3_b32 v61, v22, v2, v1
.LBB297_154:                            ;   in Loop: Header=BB297_13 Depth=1
	s_or_b64 exec, exec, s[44:45]
.LBB297_155:                            ;   in Loop: Header=BB297_13 Depth=1
	s_or_b64 exec, exec, s[42:43]
.LBB297_156:                            ;   in Loop: Header=BB297_13 Depth=1
	s_or_b64 exec, exec, s[40:41]
	v_lshrrev_b16_e32 v22, 8, v21
	v_cmp_ne_u16_e64 s[4:5], 0, v22
	s_and_saveexec_b64 s[40:41], s[4:5]
	s_cbranch_execz .LBB297_162
; %bb.157:                              ;   in Loop: Header=BB297_13 Depth=1
	v_cmp_ne_u16_e64 s[4:5], s52, v22
	v_bfrev_b32_e32 v62, 1
	s_and_saveexec_b64 s[42:43], s[4:5]
	s_cbranch_execz .LBB297_161
; %bb.158:                              ;   in Loop: Header=BB297_13 Depth=1
	v_and_b32_e32 v25, 0x7f, v22
	v_cmp_ne_u32_e64 s[4:5], s53, v25
	v_mov_b32_e32 v62, 0x7f800001
	s_and_saveexec_b64 s[44:45], s[4:5]
	s_cbranch_execz .LBB297_160
; %bb.159:                              ;   in Loop: Header=BB297_13 Depth=1
	v_and_b32_e32 v1, 7, v22
	v_lshrrev_b32_e32 v2, 3, v25
	v_cmp_gt_u32_e64 s[4:5], 8, v25
	v_ffbh_u32_e32 v25, v1
	v_min_u32_e32 v29, 32, v25
	v_subrev_u32_e32 v25, 28, v29
	v_lshlrev_b64 v[25:26], v25, v[22:23]
	v_sub_u32_e32 v22, 29, v29
	v_and_b32_e32 v25, 7, v25
	v_cndmask_b32_e64 v2, v2, v22, s[4:5]
	v_cndmask_b32_e64 v1, v1, v25, s[4:5]
	v_lshlrev_b32_e32 v21, 16, v21
	v_bfrev_b32_e32 v0, 60
	v_lshlrev_b32_e32 v1, 20, v1
	v_and_b32_e32 v21, 0x80000000, v21
	v_lshl_add_u32 v2, v2, 23, v0
	v_or3_b32 v62, v21, v2, v1
.LBB297_160:                            ;   in Loop: Header=BB297_13 Depth=1
	s_or_b64 exec, exec, s[44:45]
.LBB297_161:                            ;   in Loop: Header=BB297_13 Depth=1
	s_or_b64 exec, exec, s[42:43]
.LBB297_162:                            ;   in Loop: Header=BB297_13 Depth=1
	s_or_b64 exec, exec, s[40:41]
	global_load_ushort v1, v[19:20], off offset:1536
	v_mov_b32_e32 v25, 0
	v_mov_b32_e32 v63, 0
	s_waitcnt vmcnt(0)
	v_and_b32_e32 v21, 0xffff, v1
	v_cmp_ne_u16_sdwa s[4:5], v1, v34 src0_sel:BYTE_0 src1_sel:DWORD
	s_and_saveexec_b64 s[40:41], s[4:5]
	s_cbranch_execz .LBB297_168
; %bb.163:                              ;   in Loop: Header=BB297_13 Depth=1
	v_cmp_ne_u16_sdwa s[4:5], v21, s52 src0_sel:BYTE_0 src1_sel:DWORD
	v_bfrev_b32_e32 v63, 1
	s_and_saveexec_b64 s[42:43], s[4:5]
	s_cbranch_execz .LBB297_167
; %bb.164:                              ;   in Loop: Header=BB297_13 Depth=1
	v_and_b32_e32 v22, 0x7f, v21
	v_cmp_ne_u32_e64 s[4:5], s53, v22
	v_mov_b32_e32 v63, 0x7f800001
	s_and_saveexec_b64 s[44:45], s[4:5]
	s_cbranch_execz .LBB297_166
; %bb.165:                              ;   in Loop: Header=BB297_13 Depth=1
	v_and_b32_e32 v26, 7, v21
	v_ffbh_u32_e32 v1, v26
	v_lshrrev_b32_e32 v29, 3, v22
	v_cmp_gt_u32_e64 s[4:5], 8, v22
	v_min_u32_e32 v22, 32, v1
	v_subrev_u32_e32 v1, 28, v22
	v_lshlrev_b64 v[1:2], v1, v[21:22]
	v_sub_u32_e32 v2, 29, v22
	v_and_b32_e32 v1, 7, v1
	v_cndmask_b32_e64 v2, v29, v2, s[4:5]
	v_cndmask_b32_e64 v1, v26, v1, s[4:5]
	v_lshlrev_b32_e32 v22, 24, v21
	v_bfrev_b32_e32 v0, 60
	v_lshlrev_b32_e32 v1, 20, v1
	v_and_b32_e32 v22, 0x80000000, v22
	v_lshl_add_u32 v2, v2, 23, v0
	v_or3_b32 v63, v22, v2, v1
.LBB297_166:                            ;   in Loop: Header=BB297_13 Depth=1
	s_or_b64 exec, exec, s[44:45]
.LBB297_167:                            ;   in Loop: Header=BB297_13 Depth=1
	s_or_b64 exec, exec, s[42:43]
.LBB297_168:                            ;   in Loop: Header=BB297_13 Depth=1
	s_or_b64 exec, exec, s[40:41]
	v_lshrrev_b16_e32 v22, 8, v21
	v_cmp_ne_u16_e64 s[4:5], 0, v22
	s_and_saveexec_b64 s[40:41], s[4:5]
	s_cbranch_execz .LBB297_174
; %bb.169:                              ;   in Loop: Header=BB297_13 Depth=1
	v_cmp_ne_u16_e64 s[4:5], s52, v22
	v_bfrev_b32_e32 v25, 1
	s_and_saveexec_b64 s[42:43], s[4:5]
	s_cbranch_execz .LBB297_173
; %bb.170:                              ;   in Loop: Header=BB297_13 Depth=1
	v_and_b32_e32 v26, 0x7f, v22
	v_cmp_ne_u32_e64 s[4:5], s53, v26
	v_mov_b32_e32 v25, 0x7f800001
	s_and_saveexec_b64 s[44:45], s[4:5]
	s_cbranch_execz .LBB297_172
; %bb.171:                              ;   in Loop: Header=BB297_13 Depth=1
	v_and_b32_e32 v25, 7, v22
	v_ffbh_u32_e32 v1, v25
	v_lshrrev_b32_e32 v29, 3, v26
	v_cmp_gt_u32_e64 s[4:5], 8, v26
	v_min_u32_e32 v26, 32, v1
	v_subrev_u32_e32 v1, 28, v26
	v_lshlrev_b64 v[1:2], v1, v[22:23]
	v_sub_u32_e32 v2, 29, v26
	v_and_b32_e32 v1, 7, v1
	v_cndmask_b32_e64 v2, v29, v2, s[4:5]
	v_cndmask_b32_e64 v1, v25, v1, s[4:5]
	v_lshlrev_b32_e32 v21, 16, v21
	v_bfrev_b32_e32 v0, 60
	v_lshlrev_b32_e32 v1, 20, v1
	v_and_b32_e32 v21, 0x80000000, v21
	v_lshl_add_u32 v2, v2, 23, v0
	v_or3_b32 v25, v21, v2, v1
.LBB297_172:                            ;   in Loop: Header=BB297_13 Depth=1
	s_or_b64 exec, exec, s[44:45]
.LBB297_173:                            ;   in Loop: Header=BB297_13 Depth=1
	s_or_b64 exec, exec, s[42:43]
.LBB297_174:                            ;   in Loop: Header=BB297_13 Depth=1
	s_or_b64 exec, exec, s[40:41]
	global_load_ushort v1, v[19:20], off offset:1544
	v_mov_b32_e32 v26, 0
	v_mov_b32_e32 v29, 0
	s_waitcnt vmcnt(0)
	v_and_b32_e32 v21, 0xffff, v1
	v_cmp_ne_u16_sdwa s[4:5], v1, v34 src0_sel:BYTE_0 src1_sel:DWORD
	s_and_saveexec_b64 s[40:41], s[4:5]
	s_cbranch_execz .LBB297_180
; %bb.175:                              ;   in Loop: Header=BB297_13 Depth=1
	v_cmp_ne_u16_sdwa s[4:5], v21, s52 src0_sel:BYTE_0 src1_sel:DWORD
	v_bfrev_b32_e32 v29, 1
	s_and_saveexec_b64 s[42:43], s[4:5]
	s_cbranch_execz .LBB297_179
; %bb.176:                              ;   in Loop: Header=BB297_13 Depth=1
	v_and_b32_e32 v22, 0x7f, v21
	v_cmp_ne_u32_e64 s[4:5], s53, v22
	v_mov_b32_e32 v29, 0x7f800001
	s_and_saveexec_b64 s[44:45], s[4:5]
	s_cbranch_execz .LBB297_178
; %bb.177:                              ;   in Loop: Header=BB297_13 Depth=1
	v_and_b32_e32 v29, 7, v21
	v_ffbh_u32_e32 v1, v29
	v_lshrrev_b32_e32 v32, 3, v22
	v_cmp_gt_u32_e64 s[4:5], 8, v22
	v_min_u32_e32 v22, 32, v1
	v_subrev_u32_e32 v1, 28, v22
	v_lshlrev_b64 v[1:2], v1, v[21:22]
	v_sub_u32_e32 v2, 29, v22
	v_and_b32_e32 v1, 7, v1
	v_cndmask_b32_e64 v2, v32, v2, s[4:5]
	v_cndmask_b32_e64 v1, v29, v1, s[4:5]
	v_lshlrev_b32_e32 v22, 24, v21
	v_bfrev_b32_e32 v0, 60
	v_lshlrev_b32_e32 v1, 20, v1
	v_and_b32_e32 v22, 0x80000000, v22
	v_lshl_add_u32 v2, v2, 23, v0
	v_or3_b32 v29, v22, v2, v1
.LBB297_178:                            ;   in Loop: Header=BB297_13 Depth=1
	s_or_b64 exec, exec, s[44:45]
.LBB297_179:                            ;   in Loop: Header=BB297_13 Depth=1
	s_or_b64 exec, exec, s[42:43]
.LBB297_180:                            ;   in Loop: Header=BB297_13 Depth=1
	s_or_b64 exec, exec, s[40:41]
	v_lshrrev_b16_e32 v22, 8, v21
	v_cmp_ne_u16_e64 s[4:5], 0, v22
	s_and_saveexec_b64 s[40:41], s[4:5]
	s_cbranch_execz .LBB297_186
; %bb.181:                              ;   in Loop: Header=BB297_13 Depth=1
	v_cmp_ne_u16_e64 s[4:5], s52, v22
	v_bfrev_b32_e32 v26, 1
	s_and_saveexec_b64 s[42:43], s[4:5]
	s_cbranch_execz .LBB297_185
; %bb.182:                              ;   in Loop: Header=BB297_13 Depth=1
	v_and_b32_e32 v32, 0x7f, v22
	v_cmp_ne_u32_e64 s[4:5], s53, v32
	v_mov_b32_e32 v26, 0x7f800001
	s_and_saveexec_b64 s[44:45], s[4:5]
	s_cbranch_execz .LBB297_184
; %bb.183:                              ;   in Loop: Header=BB297_13 Depth=1
	v_and_b32_e32 v26, 7, v22
	v_ffbh_u32_e32 v1, v26
	v_lshrrev_b32_e32 v35, 3, v32
	v_cmp_gt_u32_e64 s[4:5], 8, v32
	v_min_u32_e32 v32, 32, v1
	v_subrev_u32_e32 v1, 28, v32
	v_lshlrev_b64 v[1:2], v1, v[22:23]
	v_sub_u32_e32 v2, 29, v32
	v_and_b32_e32 v1, 7, v1
	v_cndmask_b32_e64 v2, v35, v2, s[4:5]
	v_cndmask_b32_e64 v1, v26, v1, s[4:5]
	v_lshlrev_b32_e32 v21, 16, v21
	v_bfrev_b32_e32 v0, 60
	v_lshlrev_b32_e32 v1, 20, v1
	v_and_b32_e32 v21, 0x80000000, v21
	v_lshl_add_u32 v2, v2, 23, v0
	v_or3_b32 v26, v21, v2, v1
.LBB297_184:                            ;   in Loop: Header=BB297_13 Depth=1
	s_or_b64 exec, exec, s[44:45]
.LBB297_185:                            ;   in Loop: Header=BB297_13 Depth=1
	s_or_b64 exec, exec, s[42:43]
.LBB297_186:                            ;   in Loop: Header=BB297_13 Depth=1
	s_or_b64 exec, exec, s[40:41]
	global_load_ushort v1, v[19:20], off offset:1792
	v_mov_b32_e32 v21, 0
	v_mov_b32_e32 v22, 0
	s_waitcnt vmcnt(0)
	v_and_b32_e32 v19, 0xffff, v1
	v_cmp_ne_u16_sdwa s[4:5], v1, v34 src0_sel:BYTE_0 src1_sel:DWORD
	s_and_saveexec_b64 s[40:41], s[4:5]
	s_cbranch_execz .LBB297_192
; %bb.187:                              ;   in Loop: Header=BB297_13 Depth=1
	v_cmp_ne_u16_sdwa s[4:5], v19, s52 src0_sel:BYTE_0 src1_sel:DWORD
	v_bfrev_b32_e32 v22, 1
	s_and_saveexec_b64 s[42:43], s[4:5]
	s_cbranch_execz .LBB297_191
; %bb.188:                              ;   in Loop: Header=BB297_13 Depth=1
	v_and_b32_e32 v20, 0x7f, v19
	v_cmp_ne_u32_e64 s[4:5], s53, v20
	v_mov_b32_e32 v22, 0x7f800001
	s_and_saveexec_b64 s[44:45], s[4:5]
	s_cbranch_execz .LBB297_190
; %bb.189:                              ;   in Loop: Header=BB297_13 Depth=1
	v_and_b32_e32 v22, 7, v19
	v_ffbh_u32_e32 v1, v22
	v_lshrrev_b32_e32 v32, 3, v20
	v_cmp_gt_u32_e64 s[4:5], 8, v20
	v_min_u32_e32 v20, 32, v1
	v_subrev_u32_e32 v1, 28, v20
	v_lshlrev_b64 v[1:2], v1, v[19:20]
	v_sub_u32_e32 v2, 29, v20
	v_and_b32_e32 v1, 7, v1
	v_cndmask_b32_e64 v2, v32, v2, s[4:5]
	v_cndmask_b32_e64 v1, v22, v1, s[4:5]
	v_lshlrev_b32_e32 v20, 24, v19
	v_bfrev_b32_e32 v0, 60
	v_lshlrev_b32_e32 v1, 20, v1
	v_and_b32_e32 v20, 0x80000000, v20
	v_lshl_add_u32 v2, v2, 23, v0
	v_or3_b32 v22, v20, v2, v1
.LBB297_190:                            ;   in Loop: Header=BB297_13 Depth=1
	s_or_b64 exec, exec, s[44:45]
.LBB297_191:                            ;   in Loop: Header=BB297_13 Depth=1
	s_or_b64 exec, exec, s[42:43]
.LBB297_192:                            ;   in Loop: Header=BB297_13 Depth=1
	s_or_b64 exec, exec, s[40:41]
	v_lshrrev_b16_e32 v20, 8, v19
	v_cmp_ne_u16_e64 s[4:5], 0, v20
	s_and_saveexec_b64 s[40:41], s[4:5]
	s_cbranch_execz .LBB297_198
; %bb.193:                              ;   in Loop: Header=BB297_13 Depth=1
	v_cmp_ne_u16_e64 s[4:5], s52, v20
	v_bfrev_b32_e32 v21, 1
	s_and_saveexec_b64 s[42:43], s[4:5]
	s_cbranch_execz .LBB297_197
; %bb.194:                              ;   in Loop: Header=BB297_13 Depth=1
	v_and_b32_e32 v32, 0x7f, v20
	v_cmp_ne_u32_e64 s[4:5], s53, v32
	v_mov_b32_e32 v21, 0x7f800001
	s_and_saveexec_b64 s[44:45], s[4:5]
	s_cbranch_execz .LBB297_196
; %bb.195:                              ;   in Loop: Header=BB297_13 Depth=1
	v_and_b32_e32 v21, 7, v20
	v_ffbh_u32_e32 v1, v21
	v_lshrrev_b32_e32 v35, 3, v32
	v_cmp_gt_u32_e64 s[4:5], 8, v32
	v_min_u32_e32 v32, 32, v1
	v_subrev_u32_e32 v1, 28, v32
	v_lshlrev_b64 v[1:2], v1, v[20:21]
	v_sub_u32_e32 v2, 29, v32
	v_and_b32_e32 v1, 7, v1
	v_cndmask_b32_e64 v2, v35, v2, s[4:5]
	v_cndmask_b32_e64 v1, v21, v1, s[4:5]
	v_lshlrev_b32_e32 v19, 16, v19
	v_bfrev_b32_e32 v0, 60
	v_lshlrev_b32_e32 v1, 20, v1
	v_and_b32_e32 v19, 0x80000000, v19
	v_lshl_add_u32 v2, v2, 23, v0
	v_or3_b32 v21, v19, v2, v1
.LBB297_196:                            ;   in Loop: Header=BB297_13 Depth=1
	s_or_b64 exec, exec, s[44:45]
.LBB297_197:                            ;   in Loop: Header=BB297_13 Depth=1
	s_or_b64 exec, exec, s[42:43]
.LBB297_198:                            ;   in Loop: Header=BB297_13 Depth=1
	s_or_b64 exec, exec, s[40:41]
	s_waitcnt lgkmcnt(0)
	v_mul_f32_e32 v1, s55, v22
	v_bfe_u32 v2, v1, 16, 1
	v_add3_u32 v2, v2, v1, s54
	v_or_b32_e32 v19, 0x400000, v1
	v_cmp_u_f32_e64 s[4:5], v1, v1
	v_mul_f32_e32 v1, s55, v26
	v_cndmask_b32_e64 v19, v2, v19, s[4:5]
	v_bfe_u32 v2, v1, 16, 1
	v_add3_u32 v2, v2, v1, s54
	v_or_b32_e32 v20, 0x400000, v1
	v_cmp_u_f32_e64 s[4:5], v1, v1
	v_mul_f32_e32 v1, s55, v29
	v_cndmask_b32_e64 v20, v2, v20, s[4:5]
	;; [unrolled: 6-line block ×24, first 2 shown]
	v_bfe_u32 v2, v1, 16, 1
	v_add3_u32 v2, v2, v1, s54
	v_or_b32_e32 v32, 0x400000, v1
	v_cmp_u_f32_e64 s[4:5], v1, v1
	v_cndmask_b32_e64 v1, v2, v32, s[4:5]
	v_mul_f32_e32 v2, s55, v42
	v_bfe_u32 v32, v2, 16, 1
	v_add3_u32 v32, v32, v2, s54
	v_or_b32_e32 v35, 0x400000, v2
	v_cmp_u_f32_e64 s[4:5], v2, v2
	v_cndmask_b32_e64 v2, v32, v35, s[4:5]
	v_mul_f32_e32 v32, s55, v41
	;; [unrolled: 6-line block ×3, first 2 shown]
	v_bfe_u32 v40, v35, 16, 1
	v_add3_u32 v40, v40, v35, s54
	v_or_b32_e32 v41, 0x400000, v35
	v_cmp_u_f32_e64 s[4:5], v35, v35
	v_mul_f32_e32 v39, s55, v39
	v_cndmask_b32_e64 v35, v40, v41, s[4:5]
	v_bfe_u32 v40, v39, 16, 1
	v_add3_u32 v40, v40, v39, s54
	v_or_b32_e32 v41, 0x400000, v39
	v_cmp_u_f32_e64 s[4:5], v39, v39
	v_cndmask_b32_e64 v51, v40, v41, s[4:5]
	v_lshlrev_b32_e32 v39, 16, v18
	v_and_b32_e32 v32, 0xffff0000, v32
	v_lshlrev_b32_e32 v52, 16, v17
	v_mul_f32_e32 v39, v39, v32
	v_and_b32_e32 v51, 0xffff0000, v51
	v_and_b32_e32 v18, 0xffff0000, v18
	;; [unrolled: 1-line block ×3, first 2 shown]
	v_lshlrev_b32_e32 v0, 16, v15
	v_fmac_f32_e32 v39, v52, v51
	v_and_b32_e32 v17, 0xffff0000, v17
	v_mul_f32_e32 v2, v18, v2
	v_and_b32_e32 v35, 0xffff0000, v35
	v_and_b32_e32 v1, 0xffff0000, v1
	v_fmac_f32_e32 v2, v17, v35
	v_fmac_f32_e32 v39, v0, v1
	v_and_b32_e32 v1, 0xffff0000, v15
	v_and_b32_e32 v15, 0xffff0000, v44
	v_lshlrev_b32_e32 v43, 16, v16
	v_fmac_f32_e32 v2, v1, v15
	v_and_b32_e32 v16, 0xffff0000, v16
	v_and_b32_e32 v45, 0xffff0000, v45
	;; [unrolled: 1-line block ×3, first 2 shown]
	v_lshlrev_b32_e32 v42, 16, v13
	v_and_b32_e32 v13, 0xffff0000, v13
	v_fmac_f32_e32 v39, v43, v45
	v_fmac_f32_e32 v2, v16, v46
	v_and_b32_e32 v16, 0xffff0000, v47
	v_and_b32_e32 v43, 0xffff0000, v48
	v_lshlrev_b32_e32 v41, 16, v14
	v_and_b32_e32 v14, 0xffff0000, v14
	v_fmac_f32_e32 v39, v42, v16
	v_fmac_f32_e32 v2, v13, v43
	v_and_b32_e32 v13, 0xffff0000, v49
	v_and_b32_e32 v16, 0xffff0000, v50
	;; [unrolled: 6-line block ×5, first 2 shown]
	v_lshlrev_b32_e32 v52, 16, v10
	v_mul_f32_e32 v15, s55, v21
	v_and_b32_e32 v10, 0xffff0000, v10
	v_fmac_f32_e32 v39, v51, v11
	v_fmac_f32_e32 v2, v9, v12
	v_and_b32_e32 v9, 0xffff0000, v57
	v_and_b32_e32 v11, 0xffff0000, v58
	v_lshlrev_b32_e32 v18, 16, v7
	v_bfe_u32 v21, v15, 16, 1
	v_and_b32_e32 v7, 0xffff0000, v7
	v_fmac_f32_e32 v39, v52, v9
	v_fmac_f32_e32 v2, v10, v11
	v_and_b32_e32 v9, 0xffff0000, v59
	v_and_b32_e32 v10, 0xffff0000, v60
	v_lshlrev_b32_e32 v17, 16, v8
	v_add3_u32 v21, v21, v15, s54
	v_or_b32_e32 v44, 0x400000, v15
	v_cmp_u_f32_e64 s[4:5], v15, v15
	v_and_b32_e32 v8, 0xffff0000, v8
	v_fmac_f32_e32 v39, v18, v9
	v_fmac_f32_e32 v2, v7, v10
	v_and_b32_e32 v7, 0xffff0000, v61
	v_and_b32_e32 v9, 0xffff0000, v62
	v_lshlrev_b32_e32 v35, 16, v5
	v_cndmask_b32_e64 v15, v21, v44, s[4:5]
	v_and_b32_e32 v21, 64, v36
	v_and_b32_e32 v5, 0xffff0000, v5
	v_fmac_f32_e32 v39, v17, v7
	v_fmac_f32_e32 v2, v8, v9
	v_and_b32_e32 v7, 0xffff0000, v63
	v_and_b32_e32 v8, 0xffff0000, v25
	v_lshlrev_b32_e32 v0, 16, v6
	v_add_u32_e32 v21, 64, v21
	v_and_b32_e32 v6, 0xffff0000, v6
	v_xor_b32_e32 v44, 2, v36
	v_fmac_f32_e32 v39, v35, v7
	v_fmac_f32_e32 v2, v5, v8
	v_and_b32_e32 v5, 0xffff0000, v22
	v_and_b32_e32 v7, 0xffff0000, v20
	v_lshlrev_b32_e32 v1, 16, v38
	v_cmp_lt_i32_e64 s[4:5], v44, v21
	v_and_b32_e32 v38, 0xffff0000, v38
	v_fmac_f32_e32 v39, v0, v5
	v_fmac_f32_e32 v2, v6, v7
	v_and_b32_e32 v0, 0xffff0000, v19
	v_and_b32_e32 v5, 0xffff0000, v15
	v_cndmask_b32_e64 v44, v36, v44, s[4:5]
	v_fmac_f32_e32 v39, v1, v0
	v_fmac_f32_e32 v2, v38, v5
	v_lshlrev_b32_e32 v44, 2, v44
	v_add_f32_e32 v0, v39, v2
	ds_bpermute_b32 v1, v44, v0
	v_xor_b32_e32 v2, 1, v36
	v_cmp_lt_i32_e64 s[4:5], v2, v21
	v_cndmask_b32_e64 v2, v36, v2, s[4:5]
	v_lshlrev_b32_e32 v2, 2, v2
	s_waitcnt lgkmcnt(0)
	v_add_f32_e32 v5, v0, v1
	ds_bpermute_b32 v6, v2, v5
	s_and_saveexec_b64 s[40:41], vcc
	s_cbranch_execz .LBB297_11
; %bb.199:                              ;   in Loop: Header=BB297_13 Depth=1
	buffer_load_dword v0, off, s[56:59], 0 offset:12 ; 4-byte Folded Reload
	buffer_load_dword v1, off, s[56:59], 0 offset:8 ; 4-byte Folded Reload
	s_waitcnt lgkmcnt(0)
	v_add_f32_e32 v2, v5, v6
	s_waitcnt vmcnt(1)
	v_add_u32_e32 v0, v0, v31
	v_cvt_f32_i32_e32 v0, v0
	s_waitcnt vmcnt(0)
	v_add_u32_e32 v1, v1, v31
	v_cmp_gt_i32_e64 s[4:5], s33, v1
	v_mul_f32_e32 v0, s49, v0
	v_cndmask_b32_e64 v0, 0, v0, s[2:3]
	v_fmac_f32_e32 v0, s37, v2
	v_cndmask_b32_e64 v1, 0, v0, s[4:5]
	ds_write_b32 v33, v1
	v_max_f32_e32 v1, v30, v30
	v_max_f32_e32 v0, v1, v0
	v_cndmask_b32_e64 v30, v30, v0, s[4:5]
	s_branch .LBB297_11
.LBB297_200:
	s_or_b64 exec, exec, s[38:39]
	buffer_load_dword v14, off, s[56:59], 0 offset:16 ; 4-byte Folded Reload
	buffer_load_dword v15, off, s[56:59], 0 offset:20 ; 4-byte Folded Reload
	v_mbcnt_lo_u32_b32 v0, -1, 0
.LBB297_201:
	s_or_b64 exec, exec, s[18:19]
	v_mbcnt_hi_u32_b32 v2, -1, v0
	v_and_b32_e32 v10, 64, v2
	v_add_u32_e32 v3, 64, v10
	v_xor_b32_e32 v1, 32, v2
	v_cmp_lt_i32_e32 vcc, v1, v3
	v_cndmask_b32_e32 v1, v2, v1, vcc
	v_lshlrev_b32_e32 v4, 2, v1
	ds_bpermute_b32 v1, v4, v30
	s_waitcnt lgkmcnt(1)
	v_xor_b32_e32 v6, 16, v2
	v_max_f32_e32 v5, v30, v30
	v_cmp_lt_i32_e32 vcc, v6, v3
	v_xor_b32_e32 v7, 8, v2
	s_waitcnt lgkmcnt(0)
	v_max_f32_e32 v1, v1, v1
	v_max_f32_e32 v1, v5, v1
	v_cndmask_b32_e32 v5, v2, v6, vcc
	v_lshlrev_b32_e32 v5, 2, v5
	ds_bpermute_b32 v6, v5, v1
	v_cmp_lt_i32_e32 vcc, v7, v3
	v_xor_b32_e32 v9, 4, v2
	s_waitcnt lgkmcnt(0)
	v_max_f32_e32 v6, v6, v6
	v_max_f32_e32 v1, v1, v6
	v_cndmask_b32_e32 v6, v2, v7, vcc
	v_lshlrev_b32_e32 v8, 2, v6
	ds_bpermute_b32 v6, v8, v1
	v_cmp_lt_i32_e32 vcc, v9, v3
	s_waitcnt lgkmcnt(0)
	v_max_f32_e32 v6, v6, v6
	v_max_f32_e32 v7, v1, v6
	v_cndmask_b32_e32 v1, v2, v9, vcc
	v_lshlrev_b32_e32 v9, 2, v1
	ds_bpermute_b32 v11, v9, v7
	s_waitcnt vmcnt(1)
	v_and_b32_e32 v1, 63, v14
	v_cmp_eq_u32_e32 vcc, 0, v1
	v_lshlrev_b32_e32 v6, 2, v23
	s_and_saveexec_b64 s[2:3], vcc
	s_cbranch_execz .LBB297_203
; %bb.202:
	s_waitcnt lgkmcnt(0)
	v_max_f32_e32 v0, v11, v11
	v_max_f32_e32 v7, v7, v7
	;; [unrolled: 1-line block ×3, first 2 shown]
	ds_write_b32 v6, v0 offset:240
.LBB297_203:
	s_or_b64 exec, exec, s[2:3]
	v_cmp_gt_u32_e64 s[2:3], 2, v1
	s_waitcnt lgkmcnt(0)
	v_mov_b32_e32 v11, 0xff7fffff
	v_lshlrev_b32_e32 v7, 2, v1
	s_waitcnt vmcnt(0)
	s_barrier
	s_and_saveexec_b64 s[4:5], s[2:3]
; %bb.204:
	ds_read_b32 v11, v7 offset:240
; %bb.205:
	s_or_b64 exec, exec, s[4:5]
	v_xor_b32_e32 v0, 1, v2
	v_cmp_lt_i32_e64 s[4:5], v0, v3
	v_cndmask_b32_e64 v0, v2, v0, s[4:5]
	v_lshlrev_b32_e32 v20, 2, v0
	s_waitcnt lgkmcnt(0)
	ds_bpermute_b32 v0, v20, v11
	v_max_f32_e32 v11, v11, v11
	v_lshlrev_b32_e32 v10, 2, v10
	s_lshl_b32 s4, s48, 4
	s_min_i32 s23, s4, s33
	s_waitcnt lgkmcnt(0)
	v_max_f32_e32 v0, v0, v0
	v_max_f32_e32 v0, v11, v0
	ds_bpermute_b32 v11, v10, v0
	v_cmp_gt_i32_e64 s[4:5], s23, v14
	v_mov_b32_e32 v10, 0
	s_and_saveexec_b64 s[12:13], s[4:5]
	s_cbranch_execz .LBB297_209
; %bb.206:
	v_mov_b32_e32 v0, 0x100
	v_lshl_add_u32 v12, v14, 2, v0
	v_mov_b32_e32 v10, 0
	s_mov_b64 s[18:19], 0
	v_mov_b32_e32 v13, v14
.LBB297_207:                            ; =>This Inner Loop Header: Depth=1
	ds_read_b32 v0, v12
	v_add_u32_e32 v13, 0x80, v13
	v_cmp_le_i32_e64 s[6:7], s23, v13
	s_or_b64 s[18:19], s[6:7], s[18:19]
	s_waitcnt lgkmcnt(0)
	v_sub_f32_e32 v0, v0, v11
	v_mul_f32_e32 v0, 0x3fb8aa3b, v0
	v_exp_f32_e32 v0, v0
	ds_write_b32 v12, v0
	v_add_f32_e32 v10, v10, v0
	v_add_u32_e32 v12, 0x200, v12
	s_andn2_b64 exec, exec, s[18:19]
	s_cbranch_execnz .LBB297_207
; %bb.208:
	s_or_b64 exec, exec, s[18:19]
.LBB297_209:
	s_or_b64 exec, exec, s[12:13]
	ds_bpermute_b32 v0, v4, v10
	s_waitcnt lgkmcnt(0)
	v_add_f32_e32 v0, v10, v0
	ds_bpermute_b32 v4, v5, v0
	v_xor_b32_e32 v5, 2, v2
	v_cmp_lt_i32_e64 s[6:7], v5, v3
	v_cndmask_b32_e64 v3, v2, v5, s[6:7]
	v_lshlrev_b32_e32 v3, 2, v3
	s_waitcnt lgkmcnt(0)
	v_add_f32_e32 v0, v0, v4
	ds_bpermute_b32 v4, v8, v0
	s_waitcnt lgkmcnt(0)
	v_add_f32_e32 v0, v0, v4
	ds_bpermute_b32 v4, v9, v0
	;; [unrolled: 3-line block ×4, first 2 shown]
	s_waitcnt lgkmcnt(0)
	v_add_f32_e32 v3, v0, v3
	s_and_saveexec_b64 s[6:7], vcc
; %bb.210:
	ds_write_b32 v6, v3 offset:248
; %bb.211:
	s_or_b64 exec, exec, s[6:7]
	s_waitcnt lgkmcnt(0)
	s_barrier
	s_and_saveexec_b64 s[6:7], s[2:3]
; %bb.212:
	ds_read_b32 v3, v7 offset:248
; %bb.213:
	s_or_b64 exec, exec, s[6:7]
	s_waitcnt lgkmcnt(0)
	ds_bpermute_b32 v0, v20, v3
	v_lshlrev_b32_e32 v2, 2, v2
	v_and_b32_e32 v2, 0x100, v2
	s_waitcnt lgkmcnt(0)
	v_add_f32_e32 v0, v3, v0
	ds_bpermute_b32 v2, v2, v0
	s_and_saveexec_b64 s[2:3], s[4:5]
	s_cbranch_execz .LBB297_216
; %bb.214:
	s_waitcnt lgkmcnt(0)
	v_add_f32_e32 v0, 0x358637bd, v2
	v_div_scale_f32 v2, s[4:5], v0, v0, 1.0
	v_div_scale_f32 v3, vcc, 1.0, v0, 1.0
	s_mov_b64 s[4:5], 0
	v_rcp_f32_e32 v4, v2
	v_fma_f32 v5, -v2, v4, 1.0
	v_fmac_f32_e32 v4, v5, v4
	v_mul_f32_e32 v5, v3, v4
	v_fma_f32 v6, -v2, v5, v3
	v_fmac_f32_e32 v5, v6, v4
	v_fma_f32 v2, -v2, v5, v3
	v_div_fmas_f32 v3, v2, v4, v5
	v_mov_b32_e32 v2, 0x100
	v_lshl_add_u32 v2, v14, 2, v2
	v_mov_b32_e32 v4, v14
	v_div_fixup_f32 v3, v3, v0, 1.0
.LBB297_215:                            ; =>This Inner Loop Header: Depth=1
	ds_read_b32 v0, v2
	v_add_u32_e32 v4, 0x80, v4
	v_cmp_le_i32_e32 vcc, s23, v4
	s_or_b64 s[4:5], vcc, s[4:5]
	s_waitcnt lgkmcnt(0)
	v_mul_f32_e32 v0, v3, v0
	ds_write_b32 v2, v0
	v_add_u32_e32 v2, 0x200, v2
	s_andn2_b64 exec, exec, s[4:5]
	s_cbranch_execnz .LBB297_215
.LBB297_216:
	s_or_b64 exec, exec, s[2:3]
	v_lshrrev_b32_e32 v21, 1, v1
	s_waitcnt lgkmcnt(0)
	s_barrier
	s_and_saveexec_b64 s[2:3], s[0:1]
	s_xor_b64 s[0:1], exec, s[2:3]
; %bb.217:
	v_lshrrev_b32_e32 v21, 1, v1
                                        ; implicit-def: $vgpr24
                                        ; implicit-def: $vgpr23
                                        ; implicit-def: $vgpr15
; %bb.218:
	s_or_saveexec_b64 s[4:5], s[0:1]
	v_mov_b32_e32 v26, 0
	v_and_b32_e32 v22, 1, v14
	v_mov_b32_e32 v27, 0
	v_mov_b32_e32 v25, 0
	;; [unrolled: 1-line block ×3, first 2 shown]
	s_xor_b64 exec, exec, s[4:5]
	s_cbranch_execz .LBB297_426
; %bb.219:
	s_sub_i32 s37, s16, s21
	s_ashr_i32 s0, s20, 31
	s_add_u32 s6, s34, s20
	s_addc_u32 s7, s35, s0
	s_abs_i32 s34, s22
	v_cvt_f32_u32_e32 v0, s34
	s_sub_i32 s1, 0, s34
	v_lshlrev_b32_e32 v1, 3, v14
	v_or_b32_e32 v2, 0x60, v21
	v_rcp_iflag_f32_e32 v0, v0
	s_movk_i32 s0, 0x78
	v_and_b32_e32 v29, 8, v1
	v_cmp_gt_u32_e32 vcc, s0, v2
	v_mul_f32_e32 v0, 0x4f7ffffe, v0
	v_cvt_u32_f32_e32 v0, v0
	s_add_i32 s38, s48, -1
	v_and_b32_e32 v4, 60, v15
	s_mov_b32 s12, -1
	v_mul_lo_u32 v3, s1, v0
	s_lshl_b64 s[0:1], s[30:31], 2
	s_add_u32 s0, s28, s0
	s_addc_u32 s1, s29, s1
	v_mul_hi_u32 v1, v0, v3
	v_mov_b32_e32 v62, v14
	s_mov_b32 s35, s17
	s_mov_b32 s13, 0xffffff
	v_add_u32_e32 v32, v0, v1
	v_mov_b32_e32 v0, s1
	v_add_co_u32_e64 v11, s[0:1], s0, v4
	v_addc_co_u32_e64 v12, s[0:1], 0, v0, s[0:1]
	v_lshlrev_b32_e32 v0, 5, v22
	v_lshl_or_b32 v0, v23, 6, v0
	v_mov_b32_e32 v10, 0
	v_lshl_or_b32 v30, v21, 4, v29
	v_lshl_or_b32 v31, v2, 4, v29
	v_add_u32_e32 v33, 0x100, v0
	s_mov_b64 s[16:17], 0
	s_movk_i32 s39, 0x80
	s_movk_i32 s40, 0x7f
	;; [unrolled: 1-line block ×3, first 2 shown]
	s_mov_b32 s42, 0x7060302
	v_bfrev_b32_e32 v34, 60
	v_mov_b32_e32 v28, 0
	v_mov_b32_e32 v25, 0
	;; [unrolled: 1-line block ×4, first 2 shown]
	s_branch .LBB297_223
.LBB297_220:                            ;   in Loop: Header=BB297_223 Depth=1
	s_or_b64 exec, exec, s[2:3]
	v_lshlrev_b32_e32 v0, 16, v7
	v_lshlrev_b32_e32 v9, 16, v56
	v_mul_f32_e32 v0, v0, v9
	v_bfe_u32 v9, v0, 16, 1
	v_add3_u32 v9, v9, v0, s41
	v_or_b32_e32 v43, 0x400000, v0
	v_cmp_u_f32_e64 s[0:1], v0, v0
	v_cndmask_b32_e64 v0, v9, v43, s[0:1]
	v_and_b32_e32 v9, 0xffff0000, v7
	v_lshlrev_b32_e32 v43, 16, v55
	v_mul_f32_e32 v9, v9, v43
	v_bfe_u32 v43, v9, 16, 1
	v_add3_u32 v43, v43, v9, s41
	v_or_b32_e32 v55, 0x400000, v9
	v_cmp_u_f32_e64 s[0:1], v9, v9
	v_cndmask_b32_e64 v9, v43, v55, s[0:1]
	v_lshlrev_b32_e32 v43, 16, v6
	v_lshlrev_b32_e32 v14, 16, v14
	v_mul_f32_e32 v14, v43, v14
	v_bfe_u32 v43, v14, 16, 1
	v_add3_u32 v43, v43, v14, s41
	v_or_b32_e32 v55, 0x400000, v14
	v_cmp_u_f32_e64 s[0:1], v14, v14
	v_cndmask_b32_e64 v14, v43, v55, s[0:1]
	v_and_b32_e32 v43, 0xffff0000, v6
	v_lshlrev_b32_e32 v3, 16, v3
	v_mul_f32_e32 v3, v43, v3
	v_bfe_u32 v43, v3, 16, 1
	v_add3_u32 v43, v43, v3, s41
	v_or_b32_e32 v55, 0x400000, v3
	v_cmp_u_f32_e64 s[0:1], v3, v3
	v_cndmask_b32_e64 v3, v43, v55, s[0:1]
	;; [unrolled: 16-line block ×3, first 2 shown]
	v_lshlrev_b32_e32 v43, 16, v4
	v_lshlrev_b32_e32 v13, 16, v13
	v_mul_f32_e32 v13, v43, v13
	v_bfe_u32 v43, v13, 16, 1
	v_add3_u32 v43, v43, v13, s41
	v_or_b32_e32 v55, 0x400000, v13
	v_cmp_u_f32_e64 s[0:1], v13, v13
	v_cndmask_b32_e64 v13, v43, v55, s[0:1]
	v_and_b32_e32 v43, 0xffff0000, v4
	v_lshlrev_b32_e32 v8, 16, v8
	v_mul_f32_e32 v8, v43, v8
	v_and_b32_e32 v9, 0xffff0000, v9
	v_and_b32_e32 v0, 0xffff0000, v0
	v_bfe_u32 v43, v8, 16, 1
	v_add_f32_e32 v0, v0, v9
	v_and_b32_e32 v3, 0xffff0000, v3
	v_and_b32_e32 v9, 0xffff0000, v14
	v_add3_u32 v43, v43, v8, s41
	v_or_b32_e32 v55, 0x400000, v8
	v_cmp_u_f32_e64 s[0:1], v8, v8
	v_add_f32_e32 v3, v9, v3
	v_and_b32_e32 v1, 0xffff0000, v1
	v_and_b32_e32 v2, 0xffff0000, v2
	v_cndmask_b32_e64 v8, v43, v55, s[0:1]
	v_add_f32_e32 v0, v3, v0
	v_add_f32_e32 v1, v2, v1
	v_add_f32_e32 v0, v1, v0
	v_and_b32_e32 v1, 0xffff0000, v8
	v_and_b32_e32 v2, 0xffff0000, v13
	v_add_f32_e32 v1, v2, v1
	v_add_f32_e32 v0, v1, v0
	v_add_f32_e32 v28, v28, v0
.LBB297_221:                            ;   in Loop: Header=BB297_223 Depth=1
	s_or_b64 exec, exec, s[20:21]
	v_and_b32_e32 v1, 0xffff0000, v7
	v_lshlrev_b32_e32 v0, 16, v53
	v_mul_f32_e32 v0, v1, v0
	v_bfe_u32 v2, v0, 16, 1
	v_add3_u32 v2, v2, v0, s41
	v_or_b32_e32 v3, 0x400000, v0
	v_cmp_u_f32_e64 s[0:1], v0, v0
	v_cndmask_b32_e64 v0, v2, v3, s[0:1]
	v_lshlrev_b32_e32 v2, 16, v7
	v_lshlrev_b32_e32 v3, 16, v54
	v_mul_f32_e32 v3, v2, v3
	v_bfe_u32 v7, v3, 16, 1
	v_add3_u32 v7, v7, v3, s41
	v_or_b32_e32 v8, 0x400000, v3
	v_cmp_u_f32_e64 s[0:1], v3, v3
	v_cndmask_b32_e64 v9, v7, v8, s[0:1]
	v_and_b32_e32 v3, 0xffff0000, v6
	v_lshlrev_b32_e32 v7, 16, v50
	v_mul_f32_e32 v7, v3, v7
	v_bfe_u32 v8, v7, 16, 1
	v_add3_u32 v8, v8, v7, s41
	v_or_b32_e32 v13, 0x400000, v7
	v_cmp_u_f32_e64 s[0:1], v7, v7
	v_lshlrev_b32_e32 v6, 16, v6
	v_lshlrev_b32_e32 v7, 16, v51
	v_mul_f32_e32 v7, v6, v7
	v_cndmask_b32_e64 v13, v8, v13, s[0:1]
	v_bfe_u32 v8, v7, 16, 1
	v_add3_u32 v8, v8, v7, s41
	v_or_b32_e32 v14, 0x400000, v7
	v_cmp_u_f32_e64 s[0:1], v7, v7
	v_cndmask_b32_e64 v14, v8, v14, s[0:1]
	v_and_b32_e32 v7, 0xffff0000, v5
	v_lshlrev_b32_e32 v8, 16, v15
	v_mul_f32_e32 v8, v7, v8
	v_bfe_u32 v15, v8, 16, 1
	v_add3_u32 v15, v15, v8, s41
	v_or_b32_e32 v43, 0x400000, v8
	v_cmp_u_f32_e64 s[0:1], v8, v8
	v_lshlrev_b32_e32 v5, 16, v5
	v_lshlrev_b32_e32 v8, 16, v16
	v_mul_f32_e32 v8, v5, v8
	v_bfe_u32 v16, v8, 16, 1
	v_cndmask_b32_e64 v15, v15, v43, s[0:1]
	v_add3_u32 v16, v16, v8, s41
	v_or_b32_e32 v43, 0x400000, v8
	v_cmp_u_f32_e64 s[0:1], v8, v8
	v_cndmask_b32_e64 v16, v16, v43, s[0:1]
	v_and_b32_e32 v8, 0xffff0000, v4
	v_lshlrev_b32_e32 v43, 16, v52
	v_mul_f32_e32 v43, v8, v43
	v_bfe_u32 v50, v43, 16, 1
	v_lshlrev_b32_e32 v4, 16, v4
	v_lshlrev_b32_e32 v17, 16, v17
	v_and_b32_e32 v9, 0xffff0000, v9
	v_and_b32_e32 v0, 0xffff0000, v0
	v_add3_u32 v50, v50, v43, s41
	v_or_b32_e32 v51, 0x400000, v43
	v_cmp_u_f32_e64 s[0:1], v43, v43
	v_mul_f32_e32 v17, v4, v17
	v_add_f32_e32 v0, v9, v0
	v_and_b32_e32 v9, 0xffff0000, v14
	v_and_b32_e32 v13, 0xffff0000, v13
	v_cndmask_b32_e64 v43, v50, v51, s[0:1]
	v_bfe_u32 v50, v17, 16, 1
	v_add_f32_e32 v9, v9, v13
	v_add3_u32 v50, v50, v17, s41
	v_or_b32_e32 v51, 0x400000, v17
	v_cmp_u_f32_e64 s[0:1], v17, v17
	v_add_f32_e32 v0, v9, v0
	v_and_b32_e32 v9, 0xffff0000, v16
	v_and_b32_e32 v13, 0xffff0000, v15
	v_cndmask_b32_e64 v17, v50, v51, s[0:1]
	v_add_f32_e32 v9, v9, v13
	v_add_f32_e32 v0, v9, v0
	v_and_b32_e32 v9, 0xffff0000, v17
	v_and_b32_e32 v13, 0xffff0000, v43
	v_add_f32_e32 v9, v9, v13
	v_add_f32_e32 v0, v9, v0
	;; [unrolled: 1-line block ×3, first 2 shown]
	v_lshlrev_b32_e32 v0, 16, v48
	v_mul_f32_e32 v0, v1, v0
	v_bfe_u32 v9, v0, 16, 1
	v_add3_u32 v9, v9, v0, s41
	v_or_b32_e32 v13, 0x400000, v0
	v_cmp_u_f32_e64 s[0:1], v0, v0
	v_cndmask_b32_e64 v0, v9, v13, s[0:1]
	v_lshlrev_b32_e32 v9, 16, v49
	v_mul_f32_e32 v9, v2, v9
	v_bfe_u32 v13, v9, 16, 1
	v_add3_u32 v13, v13, v9, s41
	v_or_b32_e32 v14, 0x400000, v9
	v_cmp_u_f32_e64 s[0:1], v9, v9
	v_cndmask_b32_e64 v9, v13, v14, s[0:1]
	;; [unrolled: 7-line block ×7, first 2 shown]
	v_lshlrev_b32_e32 v18, 16, v44
	v_and_b32_e32 v9, 0xffff0000, v9
	v_and_b32_e32 v0, 0xffff0000, v0
	v_mul_f32_e32 v18, v4, v18
	v_add_f32_e32 v0, v9, v0
	v_and_b32_e32 v9, 0xffff0000, v14
	v_and_b32_e32 v13, 0xffff0000, v13
	v_bfe_u32 v19, v18, 16, 1
	v_add_f32_e32 v9, v9, v13
	v_add3_u32 v19, v19, v18, s41
	v_or_b32_e32 v43, 0x400000, v18
	v_cmp_u_f32_e64 s[0:1], v18, v18
	v_add_f32_e32 v0, v9, v0
	v_and_b32_e32 v9, 0xffff0000, v16
	v_and_b32_e32 v13, 0xffff0000, v15
	v_cndmask_b32_e64 v18, v19, v43, s[0:1]
	v_add_f32_e32 v9, v9, v13
	v_add_f32_e32 v0, v9, v0
	v_and_b32_e32 v9, 0xffff0000, v18
	v_and_b32_e32 v13, 0xffff0000, v17
	v_add_f32_e32 v9, v9, v13
	v_add_f32_e32 v0, v9, v0
	;; [unrolled: 1-line block ×3, first 2 shown]
	v_lshlrev_b32_e32 v0, 16, v41
	v_mul_f32_e32 v0, v1, v0
	v_bfe_u32 v1, v0, 16, 1
	v_add3_u32 v1, v1, v0, s41
	v_or_b32_e32 v9, 0x400000, v0
	v_cmp_u_f32_e64 s[0:1], v0, v0
	v_cndmask_b32_e64 v0, v1, v9, s[0:1]
	v_lshlrev_b32_e32 v1, 16, v42
	v_mul_f32_e32 v1, v2, v1
	v_bfe_u32 v2, v1, 16, 1
	v_add3_u32 v2, v2, v1, s41
	v_or_b32_e32 v9, 0x400000, v1
	v_cmp_u_f32_e64 s[0:1], v1, v1
	v_cndmask_b32_e64 v1, v2, v9, s[0:1]
	;; [unrolled: 7-line block ×7, first 2 shown]
	v_lshlrev_b32_e32 v8, 16, v37
	v_and_b32_e32 v1, 0xffff0000, v1
	v_and_b32_e32 v0, 0xffff0000, v0
	v_mul_f32_e32 v4, v4, v8
	v_add_f32_e32 v0, v1, v0
	v_and_b32_e32 v1, 0xffff0000, v3
	v_and_b32_e32 v2, 0xffff0000, v2
	v_bfe_u32 v8, v4, 16, 1
	v_add_f32_e32 v1, v1, v2
	v_add3_u32 v8, v8, v4, s41
	v_or_b32_e32 v9, 0x400000, v4
	v_cmp_u_f32_e64 s[0:1], v4, v4
	v_add_f32_e32 v0, v1, v0
	v_and_b32_e32 v1, 0xffff0000, v5
	v_and_b32_e32 v2, 0xffff0000, v6
	v_cndmask_b32_e64 v4, v8, v9, s[0:1]
	v_add_f32_e32 v1, v1, v2
	v_add_f32_e32 v0, v1, v0
	v_and_b32_e32 v1, 0xffff0000, v4
	v_and_b32_e32 v2, 0xffff0000, v7
	v_add_f32_e32 v1, v1, v2
	v_add_f32_e32 v0, v1, v0
	;; [unrolled: 1-line block ×3, first 2 shown]
.LBB297_222:                            ;   in Loop: Header=BB297_223 Depth=1
	s_or_b64 exec, exec, s[18:19]
	v_add_co_u32_e64 v11, s[0:1], 8, v11
	v_add_u32_e32 v23, 2, v23
	v_addc_co_u32_e64 v12, s[0:1], 0, v12, s[0:1]
	v_cmp_le_i32_e64 s[0:1], s48, v23
	v_add_u32_e32 v24, 32, v24
	s_or_b64 s[16:17], s[0:1], s[16:17]
	v_add_u32_e32 v33, 0x80, v33
	s_andn2_b64 exec, exec, s[16:17]
	s_cbranch_execz .LBB297_425
.LBB297_223:                            ; =>This Inner Loop Header: Depth=1
	v_mul_hi_u32 v0, v24, s46
	v_mul_lo_u32 v1, v0, s25
	v_add_u32_e32 v2, 1, v0
	v_sub_u32_e32 v1, v24, v1
	v_cmp_le_u32_e64 s[0:1], s25, v1
	v_cndmask_b32_e64 v0, v0, v2, s[0:1]
	v_subrev_u32_e32 v2, s25, v1
	v_cndmask_b32_e64 v1, v1, v2, s[0:1]
	v_add_u32_e32 v2, 1, v0
	v_cmp_le_u32_e64 s[0:1], s25, v1
	v_cndmask_b32_e64 v0, v0, v2, s[0:1]
	v_xor_b32_e32 v0, s47, v0
	v_subrev_u32_e32 v0, s47, v0
	v_add_u32_e32 v1, s36, v0
	v_sub_u32_e32 v2, 0, v1
	v_max_i32_e32 v2, v1, v2
	v_mul_hi_u32 v3, v2, v32
	v_ashrrev_i32_e32 v1, 31, v1
	v_cmp_lt_i32_e64 s[2:3], s37, v0
	v_mul_lo_u32 v3, v3, s34
	v_sub_u32_e32 v2, v2, v3
	v_subrev_u32_e32 v3, s34, v2
	v_cmp_le_u32_e64 s[0:1], s34, v2
	v_cndmask_b32_e64 v2, v2, v3, s[0:1]
	v_subrev_u32_e32 v3, s34, v2
	v_cmp_le_u32_e64 s[0:1], s34, v2
	v_cndmask_b32_e64 v2, v2, v3, s[0:1]
	v_xor_b32_e32 v2, v2, v1
	v_sub_u32_e32 v1, v2, v1
	v_cmp_eq_u32_e64 s[0:1], 0, v1
	s_or_b64 s[0:1], s[0:1], s[2:3]
	s_and_saveexec_b64 s[18:19], s[0:1]
	s_cbranch_execz .LBB297_222
; %bb.224:                              ;   in Loop: Header=BB297_223 Depth=1
	global_load_dword v0, v[11:12], off
	v_mov_b32_e32 v1, s6
	v_mov_b32_e32 v2, s7
	;; [unrolled: 1-line block ×4, first 2 shown]
	s_waitcnt vmcnt(0)
	v_mad_i64_i32 v[13:14], s[0:1], v0, s35, v[1:2]
	v_add_co_u32_e64 v15, s[0:1], v13, v30
	v_addc_co_u32_e64 v16, s[0:1], 0, v14, s[0:1]
	global_load_dwordx2 v[17:18], v[15:16], off
	ds_read2_b64 v[5:8], v33 offset1:1
	ds_read2_b64 v[1:4], v33 offset0:2 offset1:3
	s_load_dword s43, s[14:15], 0x0
	s_waitcnt vmcnt(0)
	v_cmp_ne_u16_sdwa s[0:1], v17, v10 src0_sel:BYTE_0 src1_sel:DWORD
	s_and_saveexec_b64 s[2:3], s[0:1]
	s_cbranch_execz .LBB297_230
; %bb.225:                              ;   in Loop: Header=BB297_223 Depth=1
	v_cmp_ne_u16_sdwa s[0:1], v17, s39 src0_sel:BYTE_0 src1_sel:DWORD
	v_bfrev_b32_e32 v37, 1
	s_and_saveexec_b64 s[20:21], s[0:1]
	s_cbranch_execz .LBB297_229
; %bb.226:                              ;   in Loop: Header=BB297_223 Depth=1
	v_and_b32_e32 v9, 0x7f, v17
	v_cmp_ne_u32_e64 s[0:1], s40, v9
	v_mov_b32_e32 v37, 0x7f800001
	s_and_saveexec_b64 s[22:23], s[0:1]
	s_cbranch_execz .LBB297_228
; %bb.227:                              ;   in Loop: Header=BB297_223 Depth=1
	v_and_b32_e32 v0, 7, v17
	v_ffbh_u32_e32 v0, v0
	v_min_u32_e32 v0, 32, v0
	v_subrev_u32_e32 v35, 28, v0
	v_cmp_gt_u32_e64 s[0:1], 8, v9
	v_lshrrev_b32_e32 v19, 3, v9
	v_cndmask_b32_e64 v9, 0, v35, s[0:1]
	v_lshlrev_b64 v[35:36], v9, v[17:18]
	v_sub_u32_e32 v0, 29, v0
	v_cndmask_b32_e64 v0, v19, v0, s[0:1]
	v_lshlrev_b32_e32 v9, 20, v35
	v_lshlrev_b32_e32 v19, 24, v17
	v_and_b32_e32 v9, 0x700000, v9
	v_and_b32_e32 v19, 0x80000000, v19
	v_lshl_add_u32 v0, v0, 23, v34
	v_or3_b32 v37, v19, v0, v9
.LBB297_228:                            ;   in Loop: Header=BB297_223 Depth=1
	s_or_b64 exec, exec, s[22:23]
.LBB297_229:                            ;   in Loop: Header=BB297_223 Depth=1
	s_or_b64 exec, exec, s[20:21]
.LBB297_230:                            ;   in Loop: Header=BB297_223 Depth=1
	s_or_b64 exec, exec, s[2:3]
	v_lshrrev_b16_e32 v9, 8, v17
	v_cmp_ne_u16_e64 s[0:1], 0, v9
	s_and_saveexec_b64 s[2:3], s[0:1]
	s_cbranch_execz .LBB297_236
; %bb.231:                              ;   in Loop: Header=BB297_223 Depth=1
	v_cmp_ne_u16_e64 s[0:1], s39, v9
	v_bfrev_b32_e32 v40, 1
	s_and_saveexec_b64 s[20:21], s[0:1]
	s_cbranch_execz .LBB297_235
; %bb.232:                              ;   in Loop: Header=BB297_223 Depth=1
	v_and_b32_e32 v19, 0x7f, v9
	v_cmp_ne_u32_e64 s[0:1], s40, v19
	v_mov_b32_e32 v40, 0x7f800001
	s_and_saveexec_b64 s[22:23], s[0:1]
	s_cbranch_execz .LBB297_234
; %bb.233:                              ;   in Loop: Header=BB297_223 Depth=1
	v_and_b32_e32 v0, 7, v9
	v_ffbh_u32_e32 v35, v0
	v_min_u32_e32 v39, 32, v35
	v_subrev_u32_e32 v35, 28, v39
	v_lshlrev_b64 v[35:36], v35, v[9:10]
	v_lshrrev_b32_e32 v38, 3, v19
	v_sub_u32_e32 v9, 29, v39
	v_and_b32_e32 v35, 7, v35
	v_cmp_gt_u32_e64 s[0:1], 8, v19
	v_cndmask_b32_e64 v9, v38, v9, s[0:1]
	v_cndmask_b32_e64 v0, v0, v35, s[0:1]
	v_lshlrev_b32_e32 v19, 16, v17
	v_lshlrev_b32_e32 v0, 20, v0
	v_and_b32_e32 v19, 0x80000000, v19
	v_lshl_add_u32 v9, v9, 23, v34
	v_or3_b32 v40, v19, v9, v0
.LBB297_234:                            ;   in Loop: Header=BB297_223 Depth=1
	s_or_b64 exec, exec, s[22:23]
.LBB297_235:                            ;   in Loop: Header=BB297_223 Depth=1
	s_or_b64 exec, exec, s[20:21]
.LBB297_236:                            ;   in Loop: Header=BB297_223 Depth=1
	s_or_b64 exec, exec, s[2:3]
	v_lshrrev_b32_e32 v9, 16, v17
	v_cmp_ne_u16_sdwa s[0:1], v9, v10 src0_sel:BYTE_0 src1_sel:DWORD
	v_mov_b32_e32 v38, 0
	v_mov_b32_e32 v39, 0
	s_and_saveexec_b64 s[2:3], s[0:1]
	s_cbranch_execz .LBB297_242
; %bb.237:                              ;   in Loop: Header=BB297_223 Depth=1
	v_cmp_ne_u16_sdwa s[0:1], v9, s39 src0_sel:BYTE_0 src1_sel:DWORD
	v_bfrev_b32_e32 v39, 1
	s_and_saveexec_b64 s[20:21], s[0:1]
	s_cbranch_execz .LBB297_241
; %bb.238:                              ;   in Loop: Header=BB297_223 Depth=1
	v_bfe_u32 v19, v17, 16, 7
	v_cmp_ne_u32_e64 s[0:1], s40, v19
	v_mov_b32_e32 v39, 0x7f800001
	s_and_saveexec_b64 s[22:23], s[0:1]
	s_cbranch_execz .LBB297_240
; %bb.239:                              ;   in Loop: Header=BB297_223 Depth=1
	v_and_b32_e32 v0, 7, v9
	v_ffbh_u32_e32 v35, v0
	v_min_u32_e32 v41, 32, v35
	v_subrev_u32_e32 v35, 28, v41
	v_lshlrev_b64 v[35:36], v35, v[9:10]
	v_lshrrev_b32_e32 v39, 3, v19
	v_sub_u32_e32 v36, 29, v41
	v_and_b32_e32 v35, 7, v35
	v_cmp_gt_u32_e64 s[0:1], 8, v19
	v_cndmask_b32_e64 v19, v39, v36, s[0:1]
	v_cndmask_b32_e64 v0, v0, v35, s[0:1]
	v_lshlrev_b32_e32 v9, 24, v9
	v_lshlrev_b32_e32 v0, 20, v0
	v_and_b32_e32 v9, 0x80000000, v9
	v_lshl_add_u32 v19, v19, 23, v34
	v_or3_b32 v39, v9, v19, v0
.LBB297_240:                            ;   in Loop: Header=BB297_223 Depth=1
	s_or_b64 exec, exec, s[22:23]
.LBB297_241:                            ;   in Loop: Header=BB297_223 Depth=1
	s_or_b64 exec, exec, s[20:21]
.LBB297_242:                            ;   in Loop: Header=BB297_223 Depth=1
	s_or_b64 exec, exec, s[2:3]
	v_cmp_lt_u32_e64 s[0:1], s13, v17
	s_and_saveexec_b64 s[2:3], s[0:1]
	s_cbranch_execz .LBB297_248
; %bb.243:                              ;   in Loop: Header=BB297_223 Depth=1
	v_lshrrev_b32_e32 v9, 24, v17
	v_cmp_ne_u32_e64 s[0:1], s39, v9
	v_bfrev_b32_e32 v38, 1
	s_and_saveexec_b64 s[20:21], s[0:1]
	s_cbranch_execz .LBB297_247
; %bb.244:                              ;   in Loop: Header=BB297_223 Depth=1
	v_bfe_u32 v19, v17, 24, 7
	v_cmp_ne_u32_e64 s[0:1], s40, v19
	v_mov_b32_e32 v38, 0x7f800001
	s_and_saveexec_b64 s[22:23], s[0:1]
	s_cbranch_execz .LBB297_246
; %bb.245:                              ;   in Loop: Header=BB297_223 Depth=1
	v_and_b32_e32 v0, 7, v9
	v_ffbh_u32_e32 v35, v0
	v_min_u32_e32 v41, 32, v35
	v_subrev_u32_e32 v35, 28, v41
	v_lshlrev_b64 v[35:36], v35, v[9:10]
	v_lshrrev_b32_e32 v38, 3, v19
	v_sub_u32_e32 v36, 29, v41
	v_and_b32_e32 v35, 7, v35
	v_cmp_gt_u32_e64 s[0:1], 8, v19
	v_cndmask_b32_e64 v19, v38, v36, s[0:1]
	v_cndmask_b32_e64 v0, v0, v35, s[0:1]
	v_lshlrev_b32_e32 v9, 24, v9
	v_lshlrev_b32_e32 v0, 20, v0
	v_and_b32_e32 v9, 0x80000000, v9
	v_lshl_add_u32 v19, v19, 23, v34
	v_or3_b32 v38, v9, v19, v0
.LBB297_246:                            ;   in Loop: Header=BB297_223 Depth=1
	s_or_b64 exec, exec, s[22:23]
.LBB297_247:                            ;   in Loop: Header=BB297_223 Depth=1
	s_or_b64 exec, exec, s[20:21]
.LBB297_248:                            ;   in Loop: Header=BB297_223 Depth=1
	s_or_b64 exec, exec, s[2:3]
	v_mov_b32_e32 v9, v18
	v_cmp_ne_u16_sdwa s[0:1], v18, v10 src0_sel:BYTE_0 src1_sel:DWORD
	v_mov_b32_e32 v35, 0
	v_mov_b32_e32 v36, 0
	s_and_saveexec_b64 s[2:3], s[0:1]
	s_cbranch_execz .LBB297_254
; %bb.249:                              ;   in Loop: Header=BB297_223 Depth=1
	v_cmp_ne_u16_sdwa s[0:1], v18, s39 src0_sel:BYTE_0 src1_sel:DWORD
	v_bfrev_b32_e32 v36, 1
	s_and_saveexec_b64 s[20:21], s[0:1]
	s_cbranch_execz .LBB297_253
; %bb.250:                              ;   in Loop: Header=BB297_223 Depth=1
	v_and_b32_e32 v19, 0x7f, v18
	v_cmp_ne_u32_e64 s[0:1], s40, v19
	v_mov_b32_e32 v36, 0x7f800001
	s_and_saveexec_b64 s[22:23], s[0:1]
	s_cbranch_execz .LBB297_252
; %bb.251:                              ;   in Loop: Header=BB297_223 Depth=1
	v_and_b32_e32 v0, 7, v18
	v_ffbh_u32_e32 v0, v0
	v_min_u32_e32 v0, 32, v0
	v_subrev_u32_e32 v41, 28, v0
	v_cmp_gt_u32_e64 s[0:1], 8, v19
	v_lshrrev_b32_e32 v36, 3, v19
	v_cndmask_b32_e64 v19, 0, v41, s[0:1]
	v_lshlrev_b64 v[41:42], v19, v[9:10]
	v_sub_u32_e32 v0, 29, v0
	v_cndmask_b32_e64 v0, v36, v0, s[0:1]
	v_lshlrev_b32_e32 v19, 20, v41
	v_lshlrev_b32_e32 v36, 24, v9
	v_and_b32_e32 v19, 0x700000, v19
	v_and_b32_e32 v36, 0x80000000, v36
	v_lshl_add_u32 v0, v0, 23, v34
	v_or3_b32 v36, v36, v0, v19
.LBB297_252:                            ;   in Loop: Header=BB297_223 Depth=1
	s_or_b64 exec, exec, s[22:23]
.LBB297_253:                            ;   in Loop: Header=BB297_223 Depth=1
	s_or_b64 exec, exec, s[20:21]
.LBB297_254:                            ;   in Loop: Header=BB297_223 Depth=1
	s_or_b64 exec, exec, s[2:3]
	v_lshrrev_b16_e32 v19, 8, v9
	v_cmp_ne_u16_e64 s[0:1], 0, v19
	s_and_saveexec_b64 s[2:3], s[0:1]
	s_cbranch_execz .LBB297_260
; %bb.255:                              ;   in Loop: Header=BB297_223 Depth=1
	v_cmp_ne_u16_e64 s[0:1], s39, v19
	v_bfrev_b32_e32 v35, 1
	s_and_saveexec_b64 s[20:21], s[0:1]
	s_cbranch_execz .LBB297_259
; %bb.256:                              ;   in Loop: Header=BB297_223 Depth=1
	v_and_b32_e32 v41, 0x7f, v19
	v_cmp_ne_u32_e64 s[0:1], s40, v41
	v_mov_b32_e32 v35, 0x7f800001
	s_and_saveexec_b64 s[22:23], s[0:1]
	s_cbranch_execz .LBB297_258
; %bb.257:                              ;   in Loop: Header=BB297_223 Depth=1
	v_and_b32_e32 v0, 7, v19
	v_ffbh_u32_e32 v42, v0
	v_min_u32_e32 v44, 32, v42
	v_subrev_u32_e32 v42, 28, v44
	v_lshlrev_b64 v[42:43], v42, v[19:20]
	v_lshrrev_b32_e32 v35, 3, v41
	v_sub_u32_e32 v19, 29, v44
	v_and_b32_e32 v42, 7, v42
	v_cmp_gt_u32_e64 s[0:1], 8, v41
	v_cndmask_b32_e64 v19, v35, v19, s[0:1]
	v_cndmask_b32_e64 v0, v0, v42, s[0:1]
	v_lshlrev_b32_e32 v9, 16, v9
	v_lshlrev_b32_e32 v0, 20, v0
	v_and_b32_e32 v9, 0x80000000, v9
	v_lshl_add_u32 v19, v19, 23, v34
	v_or3_b32 v35, v9, v19, v0
.LBB297_258:                            ;   in Loop: Header=BB297_223 Depth=1
	s_or_b64 exec, exec, s[22:23]
.LBB297_259:                            ;   in Loop: Header=BB297_223 Depth=1
	s_or_b64 exec, exec, s[20:21]
.LBB297_260:                            ;   in Loop: Header=BB297_223 Depth=1
	s_or_b64 exec, exec, s[2:3]
	v_lshrrev_b32_e32 v9, 16, v18
	v_cmp_ne_u16_sdwa s[0:1], v9, v10 src0_sel:BYTE_0 src1_sel:DWORD
	v_mov_b32_e32 v19, 0
	v_mov_b32_e32 v44, 0
	s_and_saveexec_b64 s[2:3], s[0:1]
	s_cbranch_execz .LBB297_266
; %bb.261:                              ;   in Loop: Header=BB297_223 Depth=1
	v_cmp_ne_u16_sdwa s[0:1], v9, s39 src0_sel:BYTE_0 src1_sel:DWORD
	v_bfrev_b32_e32 v44, 1
	s_and_saveexec_b64 s[20:21], s[0:1]
	s_cbranch_execz .LBB297_265
; %bb.262:                              ;   in Loop: Header=BB297_223 Depth=1
	v_bfe_u32 v41, v18, 16, 7
	v_cmp_ne_u32_e64 s[0:1], s40, v41
	v_mov_b32_e32 v44, 0x7f800001
	s_and_saveexec_b64 s[22:23], s[0:1]
	s_cbranch_execz .LBB297_264
; %bb.263:                              ;   in Loop: Header=BB297_223 Depth=1
	v_and_b32_e32 v0, 7, v9
	v_ffbh_u32_e32 v42, v0
	v_min_u32_e32 v45, 32, v42
	v_subrev_u32_e32 v42, 28, v45
	v_lshlrev_b64 v[42:43], v42, v[9:10]
	v_lshrrev_b32_e32 v44, 3, v41
	v_sub_u32_e32 v43, 29, v45
	v_and_b32_e32 v42, 7, v42
	v_cmp_gt_u32_e64 s[0:1], 8, v41
	v_cndmask_b32_e64 v41, v44, v43, s[0:1]
	v_cndmask_b32_e64 v0, v0, v42, s[0:1]
	v_lshlrev_b32_e32 v9, 24, v9
	v_lshlrev_b32_e32 v0, 20, v0
	v_and_b32_e32 v9, 0x80000000, v9
	v_lshl_add_u32 v41, v41, 23, v34
	v_or3_b32 v44, v9, v41, v0
.LBB297_264:                            ;   in Loop: Header=BB297_223 Depth=1
	s_or_b64 exec, exec, s[22:23]
.LBB297_265:                            ;   in Loop: Header=BB297_223 Depth=1
	s_or_b64 exec, exec, s[20:21]
.LBB297_266:                            ;   in Loop: Header=BB297_223 Depth=1
	s_or_b64 exec, exec, s[2:3]
	v_cmp_lt_u64_e64 s[0:1], s[12:13], v[17:18]
	s_and_saveexec_b64 s[2:3], s[0:1]
	s_cbranch_execz .LBB297_272
; %bb.267:                              ;   in Loop: Header=BB297_223 Depth=1
	v_lshrrev_b32_e32 v9, 24, v18
	v_cmp_ne_u32_e64 s[0:1], s39, v9
	v_bfrev_b32_e32 v19, 1
	s_and_saveexec_b64 s[20:21], s[0:1]
	s_cbranch_execz .LBB297_271
; %bb.268:                              ;   in Loop: Header=BB297_223 Depth=1
	v_bfe_u32 v17, v18, 24, 7
	v_cmp_ne_u32_e64 s[0:1], s40, v17
	v_mov_b32_e32 v19, 0x7f800001
	s_and_saveexec_b64 s[22:23], s[0:1]
	s_cbranch_execz .LBB297_270
; %bb.269:                              ;   in Loop: Header=BB297_223 Depth=1
	v_and_b32_e32 v0, 7, v9
	v_ffbh_u32_e32 v18, v0
	v_min_u32_e32 v42, 32, v18
	v_subrev_u32_e32 v18, 28, v42
	v_lshlrev_b64 v[18:19], v18, v[9:10]
	v_lshrrev_b32_e32 v41, 3, v17
	v_sub_u32_e32 v19, 29, v42
	v_and_b32_e32 v18, 7, v18
	v_cmp_gt_u32_e64 s[0:1], 8, v17
	v_cndmask_b32_e64 v17, v41, v19, s[0:1]
	v_cndmask_b32_e64 v0, v0, v18, s[0:1]
	v_lshlrev_b32_e32 v9, 24, v9
	v_lshlrev_b32_e32 v0, 20, v0
	v_and_b32_e32 v9, 0x80000000, v9
	v_lshl_add_u32 v17, v17, 23, v34
	v_or3_b32 v19, v9, v17, v0
.LBB297_270:                            ;   in Loop: Header=BB297_223 Depth=1
	s_or_b64 exec, exec, s[22:23]
.LBB297_271:                            ;   in Loop: Header=BB297_223 Depth=1
	s_or_b64 exec, exec, s[20:21]
.LBB297_272:                            ;   in Loop: Header=BB297_223 Depth=1
	s_or_b64 exec, exec, s[2:3]
	s_waitcnt lgkmcnt(0)
	v_mul_f32_e32 v0, s43, v35
	v_bfe_u32 v9, v0, 16, 1
	v_add3_u32 v9, v9, v0, s41
	v_or_b32_e32 v17, 0x400000, v0
	v_cmp_u_f32_e64 s[2:3], v0, v0
	v_cndmask_b32_e64 v0, v9, v17, s[2:3]
	v_lshrrev_b32_e32 v35, 16, v0
	v_mul_f32_e32 v0, s43, v36
	v_bfe_u32 v9, v0, 16, 1
	v_add3_u32 v9, v9, v0, s41
	v_or_b32_e32 v17, 0x400000, v0
	v_cmp_u_f32_e64 s[2:3], v0, v0
	v_cndmask_b32_e64 v0, v9, v17, s[2:3]
	v_lshrrev_b32_e32 v36, 16, v0
	;; [unrolled: 7-line block ×7, first 2 shown]
	v_mul_f32_e32 v0, s43, v19
	v_bfe_u32 v9, v0, 16, 1
	v_add3_u32 v9, v9, v0, s41
	v_or_b32_e32 v17, 0x400000, v0
	v_cmp_u_f32_e64 s[2:3], v0, v0
	v_cndmask_b32_e64 v0, v9, v17, s[2:3]
	v_add_u32_e32 v43, v29, v24
	v_cmp_eq_u32_e64 s[0:1], s38, v23
	v_lshrrev_b32_e32 v40, 16, v0
	s_and_saveexec_b64 s[20:21], s[0:1]
	s_cbranch_execz .LBB297_274
; %bb.273:                              ;   in Loop: Header=BB297_223 Depth=1
	v_cmp_gt_i32_e64 s[2:3], s33, v43
	v_add_u32_e32 v0, 1, v43
	v_cndmask_b32_e64 v42, 0, v42, s[2:3]
	v_cmp_gt_i32_e64 s[2:3], s33, v0
	v_add_u32_e32 v0, 2, v43
	v_cndmask_b32_e64 v41, 0, v41, s[2:3]
	;; [unrolled: 3-line block ×7, first 2 shown]
	v_cmp_gt_i32_e64 s[2:3], s33, v0
	v_cndmask_b32_e64 v40, 0, v40, s[2:3]
.LBB297_274:                            ;   in Loop: Header=BB297_223 Depth=1
	s_or_b64 exec, exec, s[20:21]
	global_load_dwordx2 v[17:18], v[15:16], off offset:512
	v_mov_b32_e32 v47, 0
	v_mov_b32_e32 v44, 0
	s_waitcnt vmcnt(0)
	v_cmp_ne_u16_sdwa s[2:3], v17, v10 src0_sel:BYTE_0 src1_sel:DWORD
	s_and_saveexec_b64 s[20:21], s[2:3]
	s_cbranch_execz .LBB297_280
; %bb.275:                              ;   in Loop: Header=BB297_223 Depth=1
	v_cmp_ne_u16_sdwa s[2:3], v17, s39 src0_sel:BYTE_0 src1_sel:DWORD
	v_bfrev_b32_e32 v44, 1
	s_and_saveexec_b64 s[22:23], s[2:3]
	s_cbranch_execz .LBB297_279
; %bb.276:                              ;   in Loop: Header=BB297_223 Depth=1
	v_and_b32_e32 v9, 0x7f, v17
	v_cmp_ne_u32_e64 s[2:3], s40, v9
	v_mov_b32_e32 v44, 0x7f800001
	s_and_saveexec_b64 s[28:29], s[2:3]
	s_cbranch_execz .LBB297_278
; %bb.277:                              ;   in Loop: Header=BB297_223 Depth=1
	v_and_b32_e32 v0, 7, v17
	v_ffbh_u32_e32 v0, v0
	v_min_u32_e32 v0, 32, v0
	v_subrev_u32_e32 v44, 28, v0
	v_cmp_gt_u32_e64 s[2:3], 8, v9
	v_lshrrev_b32_e32 v19, 3, v9
	v_cndmask_b32_e64 v9, 0, v44, s[2:3]
	v_lshlrev_b64 v[44:45], v9, v[17:18]
	v_sub_u32_e32 v0, 29, v0
	v_cndmask_b32_e64 v0, v19, v0, s[2:3]
	v_lshlrev_b32_e32 v9, 20, v44
	v_lshlrev_b32_e32 v19, 24, v17
	v_and_b32_e32 v9, 0x700000, v9
	v_and_b32_e32 v19, 0x80000000, v19
	v_lshl_add_u32 v0, v0, 23, v34
	v_or3_b32 v44, v19, v0, v9
.LBB297_278:                            ;   in Loop: Header=BB297_223 Depth=1
	s_or_b64 exec, exec, s[28:29]
.LBB297_279:                            ;   in Loop: Header=BB297_223 Depth=1
	s_or_b64 exec, exec, s[22:23]
.LBB297_280:                            ;   in Loop: Header=BB297_223 Depth=1
	s_or_b64 exec, exec, s[20:21]
	v_lshrrev_b16_e32 v9, 8, v17
	v_cmp_ne_u16_e64 s[2:3], 0, v9
	s_and_saveexec_b64 s[20:21], s[2:3]
	s_cbranch_execz .LBB297_286
; %bb.281:                              ;   in Loop: Header=BB297_223 Depth=1
	v_cmp_ne_u16_e64 s[2:3], s39, v9
	v_bfrev_b32_e32 v47, 1
	s_and_saveexec_b64 s[22:23], s[2:3]
	s_cbranch_execz .LBB297_285
; %bb.282:                              ;   in Loop: Header=BB297_223 Depth=1
	v_and_b32_e32 v19, 0x7f, v9
	v_cmp_ne_u32_e64 s[2:3], s40, v19
	v_mov_b32_e32 v47, 0x7f800001
	s_and_saveexec_b64 s[28:29], s[2:3]
	s_cbranch_execz .LBB297_284
; %bb.283:                              ;   in Loop: Header=BB297_223 Depth=1
	v_and_b32_e32 v0, 7, v9
	v_ffbh_u32_e32 v45, v0
	v_min_u32_e32 v48, 32, v45
	v_subrev_u32_e32 v45, 28, v48
	v_lshlrev_b64 v[45:46], v45, v[9:10]
	v_lshrrev_b32_e32 v47, 3, v19
	v_sub_u32_e32 v9, 29, v48
	v_and_b32_e32 v45, 7, v45
	v_cmp_gt_u32_e64 s[2:3], 8, v19
	v_cndmask_b32_e64 v9, v47, v9, s[2:3]
	v_cndmask_b32_e64 v0, v0, v45, s[2:3]
	v_lshlrev_b32_e32 v19, 16, v17
	v_lshlrev_b32_e32 v0, 20, v0
	v_and_b32_e32 v19, 0x80000000, v19
	v_lshl_add_u32 v9, v9, 23, v34
	v_or3_b32 v47, v19, v9, v0
.LBB297_284:                            ;   in Loop: Header=BB297_223 Depth=1
	s_or_b64 exec, exec, s[28:29]
.LBB297_285:                            ;   in Loop: Header=BB297_223 Depth=1
	s_or_b64 exec, exec, s[22:23]
.LBB297_286:                            ;   in Loop: Header=BB297_223 Depth=1
	s_or_b64 exec, exec, s[20:21]
	v_lshrrev_b32_e32 v9, 16, v17
	v_cmp_ne_u16_sdwa s[2:3], v9, v10 src0_sel:BYTE_0 src1_sel:DWORD
	v_mov_b32_e32 v45, 0
	v_mov_b32_e32 v46, 0
	s_and_saveexec_b64 s[20:21], s[2:3]
	s_cbranch_execz .LBB297_292
; %bb.287:                              ;   in Loop: Header=BB297_223 Depth=1
	v_cmp_ne_u16_sdwa s[2:3], v9, s39 src0_sel:BYTE_0 src1_sel:DWORD
	v_bfrev_b32_e32 v46, 1
	s_and_saveexec_b64 s[22:23], s[2:3]
	s_cbranch_execz .LBB297_291
; %bb.288:                              ;   in Loop: Header=BB297_223 Depth=1
	v_bfe_u32 v19, v17, 16, 7
	v_cmp_ne_u32_e64 s[2:3], s40, v19
	v_mov_b32_e32 v46, 0x7f800001
	s_and_saveexec_b64 s[28:29], s[2:3]
	s_cbranch_execz .LBB297_290
; %bb.289:                              ;   in Loop: Header=BB297_223 Depth=1
	v_and_b32_e32 v0, 7, v9
	v_ffbh_u32_e32 v48, v0
	v_min_u32_e32 v50, 32, v48
	v_subrev_u32_e32 v48, 28, v50
	v_lshlrev_b64 v[48:49], v48, v[9:10]
	v_lshrrev_b32_e32 v46, 3, v19
	v_sub_u32_e32 v49, 29, v50
	v_and_b32_e32 v48, 7, v48
	v_cmp_gt_u32_e64 s[2:3], 8, v19
	v_cndmask_b32_e64 v19, v46, v49, s[2:3]
	v_cndmask_b32_e64 v0, v0, v48, s[2:3]
	v_lshlrev_b32_e32 v9, 24, v9
	v_lshlrev_b32_e32 v0, 20, v0
	v_and_b32_e32 v9, 0x80000000, v9
	v_lshl_add_u32 v19, v19, 23, v34
	v_or3_b32 v46, v9, v19, v0
.LBB297_290:                            ;   in Loop: Header=BB297_223 Depth=1
	s_or_b64 exec, exec, s[28:29]
.LBB297_291:                            ;   in Loop: Header=BB297_223 Depth=1
	s_or_b64 exec, exec, s[22:23]
.LBB297_292:                            ;   in Loop: Header=BB297_223 Depth=1
	s_or_b64 exec, exec, s[20:21]
	v_cmp_lt_u32_e64 s[2:3], s13, v17
	s_and_saveexec_b64 s[20:21], s[2:3]
	s_cbranch_execz .LBB297_298
; %bb.293:                              ;   in Loop: Header=BB297_223 Depth=1
	v_lshrrev_b32_e32 v9, 24, v17
	v_cmp_ne_u32_e64 s[2:3], s39, v9
	v_bfrev_b32_e32 v45, 1
	s_and_saveexec_b64 s[22:23], s[2:3]
	s_cbranch_execz .LBB297_297
; %bb.294:                              ;   in Loop: Header=BB297_223 Depth=1
	v_bfe_u32 v19, v17, 24, 7
	v_cmp_ne_u32_e64 s[2:3], s40, v19
	v_mov_b32_e32 v45, 0x7f800001
	s_and_saveexec_b64 s[28:29], s[2:3]
	s_cbranch_execz .LBB297_296
; %bb.295:                              ;   in Loop: Header=BB297_223 Depth=1
	v_and_b32_e32 v0, 7, v9
	v_ffbh_u32_e32 v48, v0
	v_min_u32_e32 v50, 32, v48
	v_subrev_u32_e32 v48, 28, v50
	v_lshlrev_b64 v[48:49], v48, v[9:10]
	v_lshrrev_b32_e32 v45, 3, v19
	v_sub_u32_e32 v49, 29, v50
	v_and_b32_e32 v48, 7, v48
	v_cmp_gt_u32_e64 s[2:3], 8, v19
	v_cndmask_b32_e64 v19, v45, v49, s[2:3]
	v_cndmask_b32_e64 v0, v0, v48, s[2:3]
	v_lshlrev_b32_e32 v9, 24, v9
	v_lshlrev_b32_e32 v0, 20, v0
	v_and_b32_e32 v9, 0x80000000, v9
	v_lshl_add_u32 v19, v19, 23, v34
	v_or3_b32 v45, v9, v19, v0
.LBB297_296:                            ;   in Loop: Header=BB297_223 Depth=1
	s_or_b64 exec, exec, s[28:29]
.LBB297_297:                            ;   in Loop: Header=BB297_223 Depth=1
	s_or_b64 exec, exec, s[22:23]
.LBB297_298:                            ;   in Loop: Header=BB297_223 Depth=1
	s_or_b64 exec, exec, s[20:21]
	v_mov_b32_e32 v9, v18
	v_cmp_ne_u16_sdwa s[2:3], v18, v10 src0_sel:BYTE_0 src1_sel:DWORD
	v_mov_b32_e32 v49, 0
	v_mov_b32_e32 v48, 0
	s_and_saveexec_b64 s[20:21], s[2:3]
	s_cbranch_execz .LBB297_304
; %bb.299:                              ;   in Loop: Header=BB297_223 Depth=1
	v_cmp_ne_u16_sdwa s[2:3], v18, s39 src0_sel:BYTE_0 src1_sel:DWORD
	v_bfrev_b32_e32 v48, 1
	s_and_saveexec_b64 s[22:23], s[2:3]
	s_cbranch_execz .LBB297_303
; %bb.300:                              ;   in Loop: Header=BB297_223 Depth=1
	v_and_b32_e32 v19, 0x7f, v18
	v_cmp_ne_u32_e64 s[2:3], s40, v19
	v_mov_b32_e32 v48, 0x7f800001
	s_and_saveexec_b64 s[28:29], s[2:3]
	s_cbranch_execz .LBB297_302
; %bb.301:                              ;   in Loop: Header=BB297_223 Depth=1
	v_and_b32_e32 v0, 7, v18
	v_ffbh_u32_e32 v0, v0
	v_min_u32_e32 v0, 32, v0
	v_subrev_u32_e32 v50, 28, v0
	v_cmp_gt_u32_e64 s[2:3], 8, v19
	v_lshrrev_b32_e32 v48, 3, v19
	v_cndmask_b32_e64 v19, 0, v50, s[2:3]
	v_lshlrev_b64 v[50:51], v19, v[9:10]
	v_sub_u32_e32 v0, 29, v0
	v_cndmask_b32_e64 v0, v48, v0, s[2:3]
	v_lshlrev_b32_e32 v19, 20, v50
	v_lshlrev_b32_e32 v48, 24, v9
	v_and_b32_e32 v19, 0x700000, v19
	v_and_b32_e32 v48, 0x80000000, v48
	v_lshl_add_u32 v0, v0, 23, v34
	v_or3_b32 v48, v48, v0, v19
.LBB297_302:                            ;   in Loop: Header=BB297_223 Depth=1
	s_or_b64 exec, exec, s[28:29]
.LBB297_303:                            ;   in Loop: Header=BB297_223 Depth=1
	s_or_b64 exec, exec, s[22:23]
.LBB297_304:                            ;   in Loop: Header=BB297_223 Depth=1
	s_or_b64 exec, exec, s[20:21]
	v_lshrrev_b16_e32 v19, 8, v9
	v_cmp_ne_u16_e64 s[2:3], 0, v19
	s_and_saveexec_b64 s[20:21], s[2:3]
	s_cbranch_execz .LBB297_310
; %bb.305:                              ;   in Loop: Header=BB297_223 Depth=1
	v_cmp_ne_u16_e64 s[2:3], s39, v19
	v_bfrev_b32_e32 v49, 1
	s_and_saveexec_b64 s[22:23], s[2:3]
	s_cbranch_execz .LBB297_309
; %bb.306:                              ;   in Loop: Header=BB297_223 Depth=1
	v_and_b32_e32 v50, 0x7f, v19
	v_cmp_ne_u32_e64 s[2:3], s40, v50
	v_mov_b32_e32 v49, 0x7f800001
	s_and_saveexec_b64 s[28:29], s[2:3]
	s_cbranch_execz .LBB297_308
; %bb.307:                              ;   in Loop: Header=BB297_223 Depth=1
	v_and_b32_e32 v0, 7, v19
	v_ffbh_u32_e32 v51, v0
	v_min_u32_e32 v53, 32, v51
	v_subrev_u32_e32 v51, 28, v53
	v_lshlrev_b64 v[51:52], v51, v[19:20]
	v_lshrrev_b32_e32 v49, 3, v50
	v_sub_u32_e32 v19, 29, v53
	v_and_b32_e32 v51, 7, v51
	v_cmp_gt_u32_e64 s[2:3], 8, v50
	v_cndmask_b32_e64 v19, v49, v19, s[2:3]
	v_cndmask_b32_e64 v0, v0, v51, s[2:3]
	v_lshlrev_b32_e32 v9, 16, v9
	v_lshlrev_b32_e32 v0, 20, v0
	v_and_b32_e32 v9, 0x80000000, v9
	v_lshl_add_u32 v19, v19, 23, v34
	v_or3_b32 v49, v9, v19, v0
.LBB297_308:                            ;   in Loop: Header=BB297_223 Depth=1
	s_or_b64 exec, exec, s[28:29]
.LBB297_309:                            ;   in Loop: Header=BB297_223 Depth=1
	s_or_b64 exec, exec, s[22:23]
.LBB297_310:                            ;   in Loop: Header=BB297_223 Depth=1
	s_or_b64 exec, exec, s[20:21]
	v_lshrrev_b32_e32 v9, 16, v18
	v_cmp_ne_u16_sdwa s[2:3], v9, v10 src0_sel:BYTE_0 src1_sel:DWORD
	v_mov_b32_e32 v50, 0
	v_mov_b32_e32 v51, 0
	s_and_saveexec_b64 s[20:21], s[2:3]
	s_cbranch_execz .LBB297_316
; %bb.311:                              ;   in Loop: Header=BB297_223 Depth=1
	v_cmp_ne_u16_sdwa s[2:3], v9, s39 src0_sel:BYTE_0 src1_sel:DWORD
	v_bfrev_b32_e32 v51, 1
	s_and_saveexec_b64 s[22:23], s[2:3]
	s_cbranch_execz .LBB297_315
; %bb.312:                              ;   in Loop: Header=BB297_223 Depth=1
	v_bfe_u32 v19, v18, 16, 7
	v_cmp_ne_u32_e64 s[2:3], s40, v19
	v_mov_b32_e32 v51, 0x7f800001
	s_and_saveexec_b64 s[28:29], s[2:3]
	s_cbranch_execz .LBB297_314
; %bb.313:                              ;   in Loop: Header=BB297_223 Depth=1
	v_and_b32_e32 v0, 7, v9
	v_ffbh_u32_e32 v51, v0
	v_min_u32_e32 v54, 32, v51
	v_subrev_u32_e32 v51, 28, v54
	v_lshlrev_b64 v[51:52], v51, v[9:10]
	v_lshrrev_b32_e32 v53, 3, v19
	v_sub_u32_e32 v52, 29, v54
	v_and_b32_e32 v51, 7, v51
	v_cmp_gt_u32_e64 s[2:3], 8, v19
	v_cndmask_b32_e64 v19, v53, v52, s[2:3]
	v_cndmask_b32_e64 v0, v0, v51, s[2:3]
	v_lshlrev_b32_e32 v9, 24, v9
	v_lshlrev_b32_e32 v0, 20, v0
	v_and_b32_e32 v9, 0x80000000, v9
	v_lshl_add_u32 v19, v19, 23, v34
	v_or3_b32 v51, v9, v19, v0
.LBB297_314:                            ;   in Loop: Header=BB297_223 Depth=1
	s_or_b64 exec, exec, s[28:29]
.LBB297_315:                            ;   in Loop: Header=BB297_223 Depth=1
	s_or_b64 exec, exec, s[22:23]
.LBB297_316:                            ;   in Loop: Header=BB297_223 Depth=1
	s_or_b64 exec, exec, s[20:21]
	v_cmp_lt_u64_e64 s[2:3], s[12:13], v[17:18]
	s_and_saveexec_b64 s[20:21], s[2:3]
	s_cbranch_execz .LBB297_322
; %bb.317:                              ;   in Loop: Header=BB297_223 Depth=1
	v_lshrrev_b32_e32 v9, 24, v18
	v_cmp_ne_u32_e64 s[2:3], s39, v9
	v_bfrev_b32_e32 v50, 1
	s_and_saveexec_b64 s[22:23], s[2:3]
	s_cbranch_execz .LBB297_321
; %bb.318:                              ;   in Loop: Header=BB297_223 Depth=1
	v_bfe_u32 v17, v18, 24, 7
	v_cmp_ne_u32_e64 s[2:3], s40, v17
	v_mov_b32_e32 v50, 0x7f800001
	s_and_saveexec_b64 s[28:29], s[2:3]
	s_cbranch_execz .LBB297_320
; %bb.319:                              ;   in Loop: Header=BB297_223 Depth=1
	v_and_b32_e32 v0, 7, v9
	v_ffbh_u32_e32 v18, v0
	v_min_u32_e32 v52, 32, v18
	v_subrev_u32_e32 v18, 28, v52
	v_lshlrev_b64 v[18:19], v18, v[9:10]
	v_lshrrev_b32_e32 v50, 3, v17
	v_sub_u32_e32 v19, 29, v52
	v_and_b32_e32 v18, 7, v18
	v_cmp_gt_u32_e64 s[2:3], 8, v17
	v_cndmask_b32_e64 v17, v50, v19, s[2:3]
	v_cndmask_b32_e64 v0, v0, v18, s[2:3]
	v_lshlrev_b32_e32 v9, 24, v9
	v_lshlrev_b32_e32 v0, 20, v0
	v_and_b32_e32 v9, 0x80000000, v9
	v_lshl_add_u32 v17, v17, 23, v34
	v_or3_b32 v50, v9, v17, v0
.LBB297_320:                            ;   in Loop: Header=BB297_223 Depth=1
	s_or_b64 exec, exec, s[28:29]
.LBB297_321:                            ;   in Loop: Header=BB297_223 Depth=1
	s_or_b64 exec, exec, s[22:23]
.LBB297_322:                            ;   in Loop: Header=BB297_223 Depth=1
	s_or_b64 exec, exec, s[20:21]
	v_mul_f32_e32 v0, s43, v49
	v_bfe_u32 v9, v0, 16, 1
	v_add3_u32 v9, v9, v0, s41
	v_or_b32_e32 v17, 0x400000, v0
	v_cmp_u_f32_e64 s[2:3], v0, v0
	v_cndmask_b32_e64 v0, v9, v17, s[2:3]
	v_lshrrev_b32_e32 v18, 16, v0
	v_mul_f32_e32 v0, s43, v48
	v_bfe_u32 v9, v0, 16, 1
	v_add3_u32 v9, v9, v0, s41
	v_or_b32_e32 v17, 0x400000, v0
	v_cmp_u_f32_e64 s[2:3], v0, v0
	v_cndmask_b32_e64 v0, v9, v17, s[2:3]
	v_lshrrev_b32_e32 v19, 16, v0
	;; [unrolled: 7-line block ×8, first 2 shown]
	s_and_saveexec_b64 s[20:21], s[0:1]
	s_cbranch_execz .LBB297_324
; %bb.323:                              ;   in Loop: Header=BB297_223 Depth=1
	v_cmp_gt_i32_e64 s[2:3], s33, v43
	v_add_u32_e32 v0, 1, v43
	v_cndmask_b32_e64 v49, 0, v49, s[2:3]
	v_cmp_gt_i32_e64 s[2:3], s33, v0
	v_add_u32_e32 v0, 2, v43
	v_cndmask_b32_e64 v48, 0, v48, s[2:3]
	;; [unrolled: 3-line block ×7, first 2 shown]
	v_cmp_gt_i32_e64 s[2:3], s33, v0
	v_cndmask_b32_e64 v47, 0, v47, s[2:3]
.LBB297_324:                            ;   in Loop: Header=BB297_223 Depth=1
	s_or_b64 exec, exec, s[20:21]
	global_load_dwordx2 v[15:16], v[15:16], off offset:1024
	v_mov_b32_e32 v53, 0
	v_mov_b32_e32 v52, 0
	s_waitcnt vmcnt(0)
	v_cmp_ne_u16_sdwa s[2:3], v15, v10 src0_sel:BYTE_0 src1_sel:DWORD
	s_and_saveexec_b64 s[20:21], s[2:3]
	s_cbranch_execz .LBB297_330
; %bb.325:                              ;   in Loop: Header=BB297_223 Depth=1
	v_cmp_ne_u16_sdwa s[2:3], v15, s39 src0_sel:BYTE_0 src1_sel:DWORD
	v_bfrev_b32_e32 v52, 1
	s_and_saveexec_b64 s[22:23], s[2:3]
	s_cbranch_execz .LBB297_329
; %bb.326:                              ;   in Loop: Header=BB297_223 Depth=1
	v_and_b32_e32 v9, 0x7f, v15
	v_cmp_ne_u32_e64 s[2:3], s40, v9
	v_mov_b32_e32 v52, 0x7f800001
	s_and_saveexec_b64 s[28:29], s[2:3]
	s_cbranch_execz .LBB297_328
; %bb.327:                              ;   in Loop: Header=BB297_223 Depth=1
	v_and_b32_e32 v0, 7, v15
	v_ffbh_u32_e32 v0, v0
	v_min_u32_e32 v0, 32, v0
	v_subrev_u32_e32 v50, 28, v0
	v_cmp_gt_u32_e64 s[2:3], 8, v9
	v_lshrrev_b32_e32 v17, 3, v9
	v_cndmask_b32_e64 v9, 0, v50, s[2:3]
	v_lshlrev_b64 v[50:51], v9, v[15:16]
	v_sub_u32_e32 v0, 29, v0
	v_cndmask_b32_e64 v0, v17, v0, s[2:3]
	v_lshlrev_b32_e32 v9, 20, v50
	v_lshlrev_b32_e32 v17, 24, v15
	v_and_b32_e32 v9, 0x700000, v9
	v_and_b32_e32 v17, 0x80000000, v17
	v_lshl_add_u32 v0, v0, 23, v34
	v_or3_b32 v52, v17, v0, v9
.LBB297_328:                            ;   in Loop: Header=BB297_223 Depth=1
	s_or_b64 exec, exec, s[28:29]
.LBB297_329:                            ;   in Loop: Header=BB297_223 Depth=1
	s_or_b64 exec, exec, s[22:23]
.LBB297_330:                            ;   in Loop: Header=BB297_223 Depth=1
	s_or_b64 exec, exec, s[20:21]
	v_lshrrev_b16_e32 v9, 8, v15
	v_cmp_ne_u16_e64 s[2:3], 0, v9
	s_and_saveexec_b64 s[20:21], s[2:3]
	s_cbranch_execz .LBB297_336
; %bb.331:                              ;   in Loop: Header=BB297_223 Depth=1
	v_cmp_ne_u16_e64 s[2:3], s39, v9
	v_bfrev_b32_e32 v53, 1
	s_and_saveexec_b64 s[22:23], s[2:3]
	s_cbranch_execz .LBB297_335
; %bb.332:                              ;   in Loop: Header=BB297_223 Depth=1
	v_and_b32_e32 v17, 0x7f, v9
	v_cmp_ne_u32_e64 s[2:3], s40, v17
	v_mov_b32_e32 v53, 0x7f800001
	s_and_saveexec_b64 s[28:29], s[2:3]
	s_cbranch_execz .LBB297_334
; %bb.333:                              ;   in Loop: Header=BB297_223 Depth=1
	v_and_b32_e32 v0, 7, v9
	v_ffbh_u32_e32 v50, v0
	v_min_u32_e32 v54, 32, v50
	v_subrev_u32_e32 v50, 28, v54
	v_lshlrev_b64 v[50:51], v50, v[9:10]
	v_lshrrev_b32_e32 v53, 3, v17
	v_sub_u32_e32 v9, 29, v54
	v_and_b32_e32 v50, 7, v50
	v_cmp_gt_u32_e64 s[2:3], 8, v17
	v_cndmask_b32_e64 v9, v53, v9, s[2:3]
	v_cndmask_b32_e64 v0, v0, v50, s[2:3]
	v_lshlrev_b32_e32 v17, 16, v15
	v_lshlrev_b32_e32 v0, 20, v0
	v_and_b32_e32 v17, 0x80000000, v17
	v_lshl_add_u32 v9, v9, 23, v34
	v_or3_b32 v53, v17, v9, v0
.LBB297_334:                            ;   in Loop: Header=BB297_223 Depth=1
	s_or_b64 exec, exec, s[28:29]
.LBB297_335:                            ;   in Loop: Header=BB297_223 Depth=1
	s_or_b64 exec, exec, s[22:23]
.LBB297_336:                            ;   in Loop: Header=BB297_223 Depth=1
	s_or_b64 exec, exec, s[20:21]
	v_lshrrev_b32_e32 v9, 16, v15
	v_cmp_ne_u16_sdwa s[2:3], v9, v10 src0_sel:BYTE_0 src1_sel:DWORD
	v_mov_b32_e32 v50, 0
	v_mov_b32_e32 v51, 0
	s_and_saveexec_b64 s[20:21], s[2:3]
	s_cbranch_execz .LBB297_342
; %bb.337:                              ;   in Loop: Header=BB297_223 Depth=1
	v_cmp_ne_u16_sdwa s[2:3], v9, s39 src0_sel:BYTE_0 src1_sel:DWORD
	v_bfrev_b32_e32 v51, 1
	s_and_saveexec_b64 s[22:23], s[2:3]
	s_cbranch_execz .LBB297_341
; %bb.338:                              ;   in Loop: Header=BB297_223 Depth=1
	v_bfe_u32 v17, v15, 16, 7
	v_cmp_ne_u32_e64 s[2:3], s40, v17
	v_mov_b32_e32 v51, 0x7f800001
	s_and_saveexec_b64 s[28:29], s[2:3]
	s_cbranch_execz .LBB297_340
; %bb.339:                              ;   in Loop: Header=BB297_223 Depth=1
	v_and_b32_e32 v0, 7, v9
	v_ffbh_u32_e32 v54, v0
	v_min_u32_e32 v56, 32, v54
	v_subrev_u32_e32 v54, 28, v56
	v_lshlrev_b64 v[54:55], v54, v[9:10]
	v_lshrrev_b32_e32 v51, 3, v17
	v_sub_u32_e32 v55, 29, v56
	v_and_b32_e32 v54, 7, v54
	v_cmp_gt_u32_e64 s[2:3], 8, v17
	v_cndmask_b32_e64 v17, v51, v55, s[2:3]
	v_cndmask_b32_e64 v0, v0, v54, s[2:3]
	v_lshlrev_b32_e32 v9, 24, v9
	v_lshlrev_b32_e32 v0, 20, v0
	v_and_b32_e32 v9, 0x80000000, v9
	v_lshl_add_u32 v17, v17, 23, v34
	v_or3_b32 v51, v9, v17, v0
.LBB297_340:                            ;   in Loop: Header=BB297_223 Depth=1
	s_or_b64 exec, exec, s[28:29]
.LBB297_341:                            ;   in Loop: Header=BB297_223 Depth=1
	s_or_b64 exec, exec, s[22:23]
.LBB297_342:                            ;   in Loop: Header=BB297_223 Depth=1
	s_or_b64 exec, exec, s[20:21]
	v_cmp_lt_u32_e64 s[2:3], s13, v15
	s_and_saveexec_b64 s[20:21], s[2:3]
	s_cbranch_execz .LBB297_348
; %bb.343:                              ;   in Loop: Header=BB297_223 Depth=1
	v_lshrrev_b32_e32 v9, 24, v15
	v_cmp_ne_u32_e64 s[2:3], s39, v9
	v_bfrev_b32_e32 v50, 1
	s_and_saveexec_b64 s[22:23], s[2:3]
	s_cbranch_execz .LBB297_347
; %bb.344:                              ;   in Loop: Header=BB297_223 Depth=1
	v_bfe_u32 v17, v15, 24, 7
	v_cmp_ne_u32_e64 s[2:3], s40, v17
	v_mov_b32_e32 v50, 0x7f800001
	s_and_saveexec_b64 s[28:29], s[2:3]
	s_cbranch_execz .LBB297_346
; %bb.345:                              ;   in Loop: Header=BB297_223 Depth=1
	v_and_b32_e32 v0, 7, v9
	v_ffbh_u32_e32 v54, v0
	v_min_u32_e32 v56, 32, v54
	v_subrev_u32_e32 v54, 28, v56
	v_lshlrev_b64 v[54:55], v54, v[9:10]
	v_lshrrev_b32_e32 v50, 3, v17
	v_sub_u32_e32 v55, 29, v56
	v_and_b32_e32 v54, 7, v54
	v_cmp_gt_u32_e64 s[2:3], 8, v17
	v_cndmask_b32_e64 v17, v50, v55, s[2:3]
	v_cndmask_b32_e64 v0, v0, v54, s[2:3]
	v_lshlrev_b32_e32 v9, 24, v9
	v_lshlrev_b32_e32 v0, 20, v0
	v_and_b32_e32 v9, 0x80000000, v9
	v_lshl_add_u32 v17, v17, 23, v34
	v_or3_b32 v50, v9, v17, v0
.LBB297_346:                            ;   in Loop: Header=BB297_223 Depth=1
	s_or_b64 exec, exec, s[28:29]
.LBB297_347:                            ;   in Loop: Header=BB297_223 Depth=1
	s_or_b64 exec, exec, s[22:23]
.LBB297_348:                            ;   in Loop: Header=BB297_223 Depth=1
	s_or_b64 exec, exec, s[20:21]
	v_mov_b32_e32 v9, v16
	v_cmp_ne_u16_sdwa s[2:3], v16, v10 src0_sel:BYTE_0 src1_sel:DWORD
	v_mov_b32_e32 v55, 0
	v_mov_b32_e32 v54, 0
	s_and_saveexec_b64 s[20:21], s[2:3]
	s_cbranch_execz .LBB297_354
; %bb.349:                              ;   in Loop: Header=BB297_223 Depth=1
	v_cmp_ne_u16_sdwa s[2:3], v16, s39 src0_sel:BYTE_0 src1_sel:DWORD
	v_bfrev_b32_e32 v54, 1
	s_and_saveexec_b64 s[22:23], s[2:3]
	s_cbranch_execz .LBB297_353
; %bb.350:                              ;   in Loop: Header=BB297_223 Depth=1
	v_and_b32_e32 v17, 0x7f, v16
	v_cmp_ne_u32_e64 s[2:3], s40, v17
	v_mov_b32_e32 v54, 0x7f800001
	s_and_saveexec_b64 s[28:29], s[2:3]
	s_cbranch_execz .LBB297_352
; %bb.351:                              ;   in Loop: Header=BB297_223 Depth=1
	v_and_b32_e32 v0, 7, v16
	v_ffbh_u32_e32 v0, v0
	v_min_u32_e32 v0, 32, v0
	v_subrev_u32_e32 v56, 28, v0
	v_cmp_gt_u32_e64 s[2:3], 8, v17
	v_lshrrev_b32_e32 v54, 3, v17
	v_cndmask_b32_e64 v17, 0, v56, s[2:3]
	v_lshlrev_b64 v[56:57], v17, v[9:10]
	v_sub_u32_e32 v0, 29, v0
	v_cndmask_b32_e64 v0, v54, v0, s[2:3]
	v_lshlrev_b32_e32 v17, 20, v56
	v_lshlrev_b32_e32 v54, 24, v9
	v_and_b32_e32 v17, 0x700000, v17
	v_and_b32_e32 v54, 0x80000000, v54
	v_lshl_add_u32 v0, v0, 23, v34
	v_or3_b32 v54, v54, v0, v17
.LBB297_352:                            ;   in Loop: Header=BB297_223 Depth=1
	s_or_b64 exec, exec, s[28:29]
.LBB297_353:                            ;   in Loop: Header=BB297_223 Depth=1
	s_or_b64 exec, exec, s[22:23]
.LBB297_354:                            ;   in Loop: Header=BB297_223 Depth=1
	s_or_b64 exec, exec, s[20:21]
	v_lshrrev_b16_e32 v17, 8, v9
	v_cmp_ne_u16_e64 s[2:3], 0, v17
	s_and_saveexec_b64 s[20:21], s[2:3]
	s_cbranch_execz .LBB297_360
; %bb.355:                              ;   in Loop: Header=BB297_223 Depth=1
	v_cmp_ne_u16_e64 s[2:3], s39, v17
	v_bfrev_b32_e32 v55, 1
	s_and_saveexec_b64 s[22:23], s[2:3]
	s_cbranch_execz .LBB297_359
; %bb.356:                              ;   in Loop: Header=BB297_223 Depth=1
	v_and_b32_e32 v56, 0x7f, v17
	v_cmp_ne_u32_e64 s[2:3], s40, v56
	v_mov_b32_e32 v55, 0x7f800001
	s_and_saveexec_b64 s[28:29], s[2:3]
	s_cbranch_execz .LBB297_358
; %bb.357:                              ;   in Loop: Header=BB297_223 Depth=1
	v_and_b32_e32 v0, 7, v17
	v_ffbh_u32_e32 v57, v0
	v_min_u32_e32 v59, 32, v57
	v_subrev_u32_e32 v57, 28, v59
	v_lshlrev_b64 v[57:58], v57, v[17:18]
	v_lshrrev_b32_e32 v55, 3, v56
	v_sub_u32_e32 v17, 29, v59
	v_and_b32_e32 v57, 7, v57
	v_cmp_gt_u32_e64 s[2:3], 8, v56
	v_cndmask_b32_e64 v17, v55, v17, s[2:3]
	v_cndmask_b32_e64 v0, v0, v57, s[2:3]
	v_lshlrev_b32_e32 v9, 16, v9
	v_lshlrev_b32_e32 v0, 20, v0
	v_and_b32_e32 v9, 0x80000000, v9
	v_lshl_add_u32 v17, v17, 23, v34
	v_or3_b32 v55, v9, v17, v0
.LBB297_358:                            ;   in Loop: Header=BB297_223 Depth=1
	s_or_b64 exec, exec, s[28:29]
.LBB297_359:                            ;   in Loop: Header=BB297_223 Depth=1
	s_or_b64 exec, exec, s[22:23]
.LBB297_360:                            ;   in Loop: Header=BB297_223 Depth=1
	s_or_b64 exec, exec, s[20:21]
	v_lshrrev_b32_e32 v9, 16, v16
	v_cmp_ne_u16_sdwa s[2:3], v9, v10 src0_sel:BYTE_0 src1_sel:DWORD
	v_mov_b32_e32 v56, 0
	v_mov_b32_e32 v17, 0
	s_and_saveexec_b64 s[20:21], s[2:3]
	s_cbranch_execz .LBB297_366
; %bb.361:                              ;   in Loop: Header=BB297_223 Depth=1
	v_cmp_ne_u16_sdwa s[2:3], v9, s39 src0_sel:BYTE_0 src1_sel:DWORD
	v_bfrev_b32_e32 v17, 1
	s_and_saveexec_b64 s[22:23], s[2:3]
	s_cbranch_execz .LBB297_365
; %bb.362:                              ;   in Loop: Header=BB297_223 Depth=1
	v_bfe_u32 v57, v16, 16, 7
	v_cmp_ne_u32_e64 s[2:3], s40, v57
	v_mov_b32_e32 v17, 0x7f800001
	s_and_saveexec_b64 s[28:29], s[2:3]
	s_cbranch_execz .LBB297_364
; %bb.363:                              ;   in Loop: Header=BB297_223 Depth=1
	v_and_b32_e32 v0, 7, v9
	v_ffbh_u32_e32 v58, v0
	v_min_u32_e32 v60, 32, v58
	v_subrev_u32_e32 v58, 28, v60
	v_lshlrev_b64 v[58:59], v58, v[9:10]
	v_lshrrev_b32_e32 v17, 3, v57
	v_sub_u32_e32 v59, 29, v60
	v_and_b32_e32 v58, 7, v58
	v_cmp_gt_u32_e64 s[2:3], 8, v57
	v_cndmask_b32_e64 v17, v17, v59, s[2:3]
	v_cndmask_b32_e64 v0, v0, v58, s[2:3]
	v_lshlrev_b32_e32 v9, 24, v9
	v_lshlrev_b32_e32 v0, 20, v0
	v_and_b32_e32 v9, 0x80000000, v9
	v_lshl_add_u32 v17, v17, 23, v34
	v_or3_b32 v17, v9, v17, v0
.LBB297_364:                            ;   in Loop: Header=BB297_223 Depth=1
	s_or_b64 exec, exec, s[28:29]
.LBB297_365:                            ;   in Loop: Header=BB297_223 Depth=1
	s_or_b64 exec, exec, s[22:23]
.LBB297_366:                            ;   in Loop: Header=BB297_223 Depth=1
	s_or_b64 exec, exec, s[20:21]
	v_cmp_lt_u64_e64 s[2:3], s[12:13], v[15:16]
	s_and_saveexec_b64 s[20:21], s[2:3]
	s_cbranch_execz .LBB297_372
; %bb.367:                              ;   in Loop: Header=BB297_223 Depth=1
	v_lshrrev_b32_e32 v9, 24, v16
	v_cmp_ne_u32_e64 s[2:3], s39, v9
	v_bfrev_b32_e32 v56, 1
	s_and_saveexec_b64 s[22:23], s[2:3]
	s_cbranch_execz .LBB297_371
; %bb.368:                              ;   in Loop: Header=BB297_223 Depth=1
	v_bfe_u32 v15, v16, 24, 7
	v_cmp_ne_u32_e64 s[2:3], s40, v15
	v_mov_b32_e32 v56, 0x7f800001
	s_and_saveexec_b64 s[28:29], s[2:3]
	s_cbranch_execz .LBB297_370
; %bb.369:                              ;   in Loop: Header=BB297_223 Depth=1
	v_and_b32_e32 v0, 7, v9
	v_ffbh_u32_e32 v56, v0
	v_min_u32_e32 v58, 32, v56
	v_subrev_u32_e32 v56, 28, v58
	v_lshlrev_b64 v[56:57], v56, v[9:10]
	v_lshrrev_b32_e32 v16, 3, v15
	v_sub_u32_e32 v57, 29, v58
	v_and_b32_e32 v56, 7, v56
	v_cmp_gt_u32_e64 s[2:3], 8, v15
	v_cndmask_b32_e64 v15, v16, v57, s[2:3]
	v_cndmask_b32_e64 v0, v0, v56, s[2:3]
	v_lshlrev_b32_e32 v9, 24, v9
	v_lshlrev_b32_e32 v0, 20, v0
	v_and_b32_e32 v9, 0x80000000, v9
	v_lshl_add_u32 v15, v15, 23, v34
	v_or3_b32 v56, v9, v15, v0
.LBB297_370:                            ;   in Loop: Header=BB297_223 Depth=1
	s_or_b64 exec, exec, s[28:29]
.LBB297_371:                            ;   in Loop: Header=BB297_223 Depth=1
	s_or_b64 exec, exec, s[22:23]
.LBB297_372:                            ;   in Loop: Header=BB297_223 Depth=1
	s_or_b64 exec, exec, s[20:21]
	v_mul_f32_e32 v0, s43, v55
	v_bfe_u32 v9, v0, 16, 1
	v_add3_u32 v9, v9, v0, s41
	v_or_b32_e32 v15, 0x400000, v0
	v_cmp_u_f32_e64 s[2:3], v0, v0
	v_cndmask_b32_e64 v0, v9, v15, s[2:3]
	v_lshrrev_b32_e32 v15, 16, v0
	v_mul_f32_e32 v0, s43, v54
	v_bfe_u32 v9, v0, 16, 1
	v_add3_u32 v9, v9, v0, s41
	v_or_b32_e32 v16, 0x400000, v0
	v_cmp_u_f32_e64 s[2:3], v0, v0
	v_cndmask_b32_e64 v0, v9, v16, s[2:3]
	v_lshrrev_b32_e32 v16, 16, v0
	;; [unrolled: 7-line block ×8, first 2 shown]
	s_and_saveexec_b64 s[20:21], s[0:1]
	s_cbranch_execz .LBB297_374
; %bb.373:                              ;   in Loop: Header=BB297_223 Depth=1
	v_cmp_gt_i32_e64 s[2:3], s33, v43
	v_add_u32_e32 v0, 1, v43
	v_cndmask_b32_e64 v54, 0, v54, s[2:3]
	v_cmp_gt_i32_e64 s[2:3], s33, v0
	v_add_u32_e32 v0, 2, v43
	v_cndmask_b32_e64 v53, 0, v53, s[2:3]
	;; [unrolled: 3-line block ×7, first 2 shown]
	v_cmp_gt_i32_e64 s[2:3], s33, v0
	v_cndmask_b32_e64 v52, 0, v52, s[2:3]
.LBB297_374:                            ;   in Loop: Header=BB297_223 Depth=1
	s_or_b64 exec, exec, s[20:21]
	v_bfe_u32 v0, v5, 16, 1
	v_add3_u32 v0, v0, v5, s41
	v_or_b32_e32 v9, 0x400000, v5
	v_cmp_u_f32_e64 s[2:3], v5, v5
	v_bfe_u32 v5, v6, 16, 1
	v_cndmask_b32_e64 v0, v0, v9, s[2:3]
	v_add3_u32 v5, v5, v6, s41
	v_or_b32_e32 v9, 0x400000, v6
	v_cmp_u_f32_e64 s[2:3], v6, v6
	v_bfe_u32 v6, v7, 16, 1
	v_cndmask_b32_e64 v5, v5, v9, s[2:3]
	;; [unrolled: 5-line block ×3, first 2 shown]
	v_add3_u32 v7, v7, v8, s41
	v_or_b32_e32 v9, 0x400000, v8
	v_cmp_u_f32_e64 s[2:3], v8, v8
	v_cndmask_b32_e64 v8, v7, v9, s[2:3]
	v_bfe_u32 v7, v1, 16, 1
	v_add3_u32 v7, v7, v1, s41
	v_or_b32_e32 v9, 0x400000, v1
	v_cmp_u_f32_e64 s[2:3], v1, v1
	v_cndmask_b32_e64 v1, v7, v9, s[2:3]
	v_bfe_u32 v7, v2, 16, 1
	;; [unrolled: 5-line block ×4, first 2 shown]
	v_add3_u32 v7, v7, v4, s41
	v_or_b32_e32 v9, 0x400000, v4
	v_cmp_u_f32_e64 s[2:3], v4, v4
	v_cndmask_b32_e64 v4, v7, v9, s[2:3]
	v_perm_b32 v7, v5, v0, s42
	v_perm_b32 v6, v8, v6, s42
	;; [unrolled: 1-line block ×4, first 2 shown]
	s_and_saveexec_b64 s[20:21], vcc
	s_cbranch_execz .LBB297_221
; %bb.375:                              ;   in Loop: Header=BB297_223 Depth=1
	v_add_co_u32_e64 v1, s[2:3], v13, v31
	v_addc_co_u32_e64 v2, s[2:3], 0, v14, s[2:3]
	global_load_dwordx2 v[1:2], v[1:2], off
	v_mov_b32_e32 v13, 0
	v_mov_b32_e32 v8, 0
	s_waitcnt vmcnt(0)
	v_cmp_ne_u16_sdwa s[2:3], v1, v10 src0_sel:BYTE_0 src1_sel:DWORD
	s_and_saveexec_b64 s[22:23], s[2:3]
	s_cbranch_execz .LBB297_381
; %bb.376:                              ;   in Loop: Header=BB297_223 Depth=1
	v_cmp_ne_u16_sdwa s[2:3], v1, s39 src0_sel:BYTE_0 src1_sel:DWORD
	v_bfrev_b32_e32 v8, 1
	s_and_saveexec_b64 s[28:29], s[2:3]
	s_cbranch_execz .LBB297_380
; %bb.377:                              ;   in Loop: Header=BB297_223 Depth=1
	v_and_b32_e32 v3, 0x7f, v1
	v_cmp_ne_u32_e64 s[2:3], s40, v3
	v_mov_b32_e32 v8, 0x7f800001
	s_and_saveexec_b64 s[30:31], s[2:3]
	s_cbranch_execz .LBB297_379
; %bb.378:                              ;   in Loop: Header=BB297_223 Depth=1
	v_and_b32_e32 v0, 7, v1
	v_ffbh_u32_e32 v0, v0
	v_min_u32_e32 v0, 32, v0
	v_subrev_u32_e32 v9, 28, v0
	v_cmp_gt_u32_e64 s[2:3], 8, v3
	v_lshrrev_b32_e32 v8, 3, v3
	v_sub_u32_e32 v0, 29, v0
	v_cndmask_b32_e64 v3, 0, v9, s[2:3]
	v_cndmask_b32_e64 v0, v8, v0, s[2:3]
	v_lshlrev_b64 v[8:9], v3, v[1:2]
	v_lshl_add_u32 v0, v0, 23, v34
	v_lshlrev_b32_e32 v3, 20, v8
	v_lshlrev_b32_e32 v8, 24, v1
	v_and_b32_e32 v3, 0x700000, v3
	v_and_b32_e32 v8, 0x80000000, v8
	v_or3_b32 v8, v8, v0, v3
.LBB297_379:                            ;   in Loop: Header=BB297_223 Depth=1
	s_or_b64 exec, exec, s[30:31]
.LBB297_380:                            ;   in Loop: Header=BB297_223 Depth=1
	s_or_b64 exec, exec, s[28:29]
.LBB297_381:                            ;   in Loop: Header=BB297_223 Depth=1
	s_or_b64 exec, exec, s[22:23]
	v_lshrrev_b16_e32 v3, 8, v1
	v_cmp_ne_u16_e64 s[2:3], 0, v3
	s_and_saveexec_b64 s[22:23], s[2:3]
	s_cbranch_execz .LBB297_387
; %bb.382:                              ;   in Loop: Header=BB297_223 Depth=1
	v_cmp_ne_u16_e64 s[2:3], s39, v3
	v_bfrev_b32_e32 v13, 1
	s_and_saveexec_b64 s[28:29], s[2:3]
	s_cbranch_execz .LBB297_386
; %bb.383:                              ;   in Loop: Header=BB297_223 Depth=1
	v_and_b32_e32 v9, 0x7f, v3
	v_cmp_ne_u32_e64 s[2:3], s40, v9
	v_mov_b32_e32 v13, 0x7f800001
	s_and_saveexec_b64 s[30:31], s[2:3]
	s_cbranch_execz .LBB297_385
; %bb.384:                              ;   in Loop: Header=BB297_223 Depth=1
	v_and_b32_e32 v0, 7, v3
	v_ffbh_u32_e32 v13, v0
	v_min_u32_e32 v56, 32, v13
	v_subrev_u32_e32 v13, 28, v56
	v_lshlrev_b64 v[13:14], v13, v[3:4]
	v_lshrrev_b32_e32 v55, 3, v9
	v_sub_u32_e32 v3, 29, v56
	v_and_b32_e32 v13, 7, v13
	v_cmp_gt_u32_e64 s[2:3], 8, v9
	v_cndmask_b32_e64 v3, v55, v3, s[2:3]
	v_cndmask_b32_e64 v0, v0, v13, s[2:3]
	v_lshlrev_b32_e32 v9, 16, v1
	v_lshlrev_b32_e32 v0, 20, v0
	v_and_b32_e32 v9, 0x80000000, v9
	v_lshl_add_u32 v3, v3, 23, v34
	v_or3_b32 v13, v9, v3, v0
.LBB297_385:                            ;   in Loop: Header=BB297_223 Depth=1
	s_or_b64 exec, exec, s[30:31]
.LBB297_386:                            ;   in Loop: Header=BB297_223 Depth=1
	s_or_b64 exec, exec, s[28:29]
.LBB297_387:                            ;   in Loop: Header=BB297_223 Depth=1
	s_or_b64 exec, exec, s[22:23]
	v_lshrrev_b32_e32 v3, 16, v1
	v_cmp_ne_u16_sdwa s[2:3], v3, v10 src0_sel:BYTE_0 src1_sel:DWORD
	v_mov_b32_e32 v55, 0
	v_mov_b32_e32 v14, 0
	s_and_saveexec_b64 s[22:23], s[2:3]
	s_cbranch_execz .LBB297_393
; %bb.388:                              ;   in Loop: Header=BB297_223 Depth=1
	v_cmp_ne_u16_sdwa s[2:3], v3, s39 src0_sel:BYTE_0 src1_sel:DWORD
	v_bfrev_b32_e32 v14, 1
	s_and_saveexec_b64 s[28:29], s[2:3]
	s_cbranch_execz .LBB297_392
; %bb.389:                              ;   in Loop: Header=BB297_223 Depth=1
	v_bfe_u32 v9, v1, 16, 7
	v_cmp_ne_u32_e64 s[2:3], s40, v9
	v_mov_b32_e32 v14, 0x7f800001
	s_and_saveexec_b64 s[30:31], s[2:3]
	s_cbranch_execz .LBB297_391
; %bb.390:                              ;   in Loop: Header=BB297_223 Depth=1
	v_and_b32_e32 v0, 7, v3
	v_ffbh_u32_e32 v56, v0
	v_min_u32_e32 v58, 32, v56
	v_subrev_u32_e32 v56, 28, v58
	v_lshlrev_b64 v[56:57], v56, v[3:4]
	v_lshrrev_b32_e32 v14, 3, v9
	v_sub_u32_e32 v57, 29, v58
	v_and_b32_e32 v56, 7, v56
	v_cmp_gt_u32_e64 s[2:3], 8, v9
	v_cndmask_b32_e64 v9, v14, v57, s[2:3]
	v_cndmask_b32_e64 v0, v0, v56, s[2:3]
	v_lshlrev_b32_e32 v3, 24, v3
	v_lshlrev_b32_e32 v0, 20, v0
	v_and_b32_e32 v3, 0x80000000, v3
	v_lshl_add_u32 v9, v9, 23, v34
	v_or3_b32 v14, v3, v9, v0
.LBB297_391:                            ;   in Loop: Header=BB297_223 Depth=1
	s_or_b64 exec, exec, s[30:31]
.LBB297_392:                            ;   in Loop: Header=BB297_223 Depth=1
	s_or_b64 exec, exec, s[28:29]
.LBB297_393:                            ;   in Loop: Header=BB297_223 Depth=1
	s_or_b64 exec, exec, s[22:23]
	v_cmp_lt_u32_e64 s[2:3], s13, v1
	s_and_saveexec_b64 s[22:23], s[2:3]
	s_cbranch_execz .LBB297_399
; %bb.394:                              ;   in Loop: Header=BB297_223 Depth=1
	v_lshrrev_b32_e32 v3, 24, v1
	v_cmp_ne_u32_e64 s[2:3], s39, v3
	v_bfrev_b32_e32 v55, 1
	s_and_saveexec_b64 s[28:29], s[2:3]
	s_cbranch_execz .LBB297_398
; %bb.395:                              ;   in Loop: Header=BB297_223 Depth=1
	v_bfe_u32 v9, v1, 24, 7
	v_cmp_ne_u32_e64 s[2:3], s40, v9
	v_mov_b32_e32 v55, 0x7f800001
	s_and_saveexec_b64 s[30:31], s[2:3]
	s_cbranch_execz .LBB297_397
; %bb.396:                              ;   in Loop: Header=BB297_223 Depth=1
	v_and_b32_e32 v0, 7, v3
	v_ffbh_u32_e32 v55, v0
	v_min_u32_e32 v58, 32, v55
	v_subrev_u32_e32 v55, 28, v58
	v_lshlrev_b64 v[55:56], v55, v[3:4]
	v_lshrrev_b32_e32 v57, 3, v9
	v_sub_u32_e32 v56, 29, v58
	v_and_b32_e32 v55, 7, v55
	v_cmp_gt_u32_e64 s[2:3], 8, v9
	v_cndmask_b32_e64 v9, v57, v56, s[2:3]
	v_cndmask_b32_e64 v0, v0, v55, s[2:3]
	v_lshlrev_b32_e32 v3, 24, v3
	v_lshlrev_b32_e32 v0, 20, v0
	v_and_b32_e32 v3, 0x80000000, v3
	v_lshl_add_u32 v9, v9, 23, v34
	v_or3_b32 v55, v3, v9, v0
.LBB297_397:                            ;   in Loop: Header=BB297_223 Depth=1
	s_or_b64 exec, exec, s[30:31]
.LBB297_398:                            ;   in Loop: Header=BB297_223 Depth=1
	s_or_b64 exec, exec, s[28:29]
.LBB297_399:                            ;   in Loop: Header=BB297_223 Depth=1
	s_or_b64 exec, exec, s[22:23]
	v_mov_b32_e32 v9, v2
	v_cmp_ne_u16_sdwa s[2:3], v2, v10 src0_sel:BYTE_0 src1_sel:DWORD
	v_mov_b32_e32 v57, 0
	v_mov_b32_e32 v56, 0
	s_and_saveexec_b64 s[22:23], s[2:3]
	s_cbranch_execz .LBB297_405
; %bb.400:                              ;   in Loop: Header=BB297_223 Depth=1
	v_cmp_ne_u16_sdwa s[2:3], v2, s39 src0_sel:BYTE_0 src1_sel:DWORD
	v_bfrev_b32_e32 v56, 1
	s_and_saveexec_b64 s[28:29], s[2:3]
	s_cbranch_execz .LBB297_404
; %bb.401:                              ;   in Loop: Header=BB297_223 Depth=1
	v_and_b32_e32 v3, 0x7f, v2
	v_cmp_ne_u32_e64 s[2:3], s40, v3
	v_mov_b32_e32 v56, 0x7f800001
	s_and_saveexec_b64 s[30:31], s[2:3]
	s_cbranch_execz .LBB297_403
; %bb.402:                              ;   in Loop: Header=BB297_223 Depth=1
	v_and_b32_e32 v0, 7, v2
	v_ffbh_u32_e32 v0, v0
	v_min_u32_e32 v0, 32, v0
	v_subrev_u32_e32 v58, 28, v0
	v_cmp_gt_u32_e64 s[2:3], 8, v3
	v_lshrrev_b32_e32 v56, 3, v3
	v_cndmask_b32_e64 v3, 0, v58, s[2:3]
	v_lshlrev_b64 v[58:59], v3, v[9:10]
	v_sub_u32_e32 v0, 29, v0
	v_cndmask_b32_e64 v0, v56, v0, s[2:3]
	v_lshlrev_b32_e32 v3, 20, v58
	v_lshlrev_b32_e32 v56, 24, v9
	v_and_b32_e32 v3, 0x700000, v3
	v_and_b32_e32 v56, 0x80000000, v56
	v_lshl_add_u32 v0, v0, 23, v34
	v_or3_b32 v56, v56, v0, v3
.LBB297_403:                            ;   in Loop: Header=BB297_223 Depth=1
	s_or_b64 exec, exec, s[30:31]
.LBB297_404:                            ;   in Loop: Header=BB297_223 Depth=1
	s_or_b64 exec, exec, s[28:29]
.LBB297_405:                            ;   in Loop: Header=BB297_223 Depth=1
	s_or_b64 exec, exec, s[22:23]
	v_lshrrev_b16_e32 v3, 8, v9
	v_cmp_ne_u16_e64 s[2:3], 0, v3
	s_and_saveexec_b64 s[22:23], s[2:3]
	s_cbranch_execz .LBB297_411
; %bb.406:                              ;   in Loop: Header=BB297_223 Depth=1
	v_cmp_ne_u16_e64 s[2:3], s39, v3
	v_bfrev_b32_e32 v57, 1
	s_and_saveexec_b64 s[28:29], s[2:3]
	s_cbranch_execz .LBB297_410
; %bb.407:                              ;   in Loop: Header=BB297_223 Depth=1
	v_and_b32_e32 v58, 0x7f, v3
	v_cmp_ne_u32_e64 s[2:3], s40, v58
	v_mov_b32_e32 v57, 0x7f800001
	s_and_saveexec_b64 s[30:31], s[2:3]
	s_cbranch_execz .LBB297_409
; %bb.408:                              ;   in Loop: Header=BB297_223 Depth=1
	v_and_b32_e32 v0, 7, v3
	v_ffbh_u32_e32 v59, v0
	v_min_u32_e32 v61, 32, v59
	v_subrev_u32_e32 v59, 28, v61
	v_lshlrev_b64 v[59:60], v59, v[3:4]
	v_lshrrev_b32_e32 v57, 3, v58
	v_sub_u32_e32 v3, 29, v61
	v_and_b32_e32 v59, 7, v59
	v_cmp_gt_u32_e64 s[2:3], 8, v58
	v_cndmask_b32_e64 v3, v57, v3, s[2:3]
	v_cndmask_b32_e64 v0, v0, v59, s[2:3]
	v_lshlrev_b32_e32 v9, 16, v9
	v_lshlrev_b32_e32 v0, 20, v0
	v_and_b32_e32 v9, 0x80000000, v9
	v_lshl_add_u32 v3, v3, 23, v34
	v_or3_b32 v57, v9, v3, v0
.LBB297_409:                            ;   in Loop: Header=BB297_223 Depth=1
	s_or_b64 exec, exec, s[30:31]
.LBB297_410:                            ;   in Loop: Header=BB297_223 Depth=1
	s_or_b64 exec, exec, s[28:29]
.LBB297_411:                            ;   in Loop: Header=BB297_223 Depth=1
	s_or_b64 exec, exec, s[22:23]
	v_lshrrev_b32_e32 v3, 16, v2
	v_cmp_ne_u16_sdwa s[2:3], v3, v10 src0_sel:BYTE_0 src1_sel:DWORD
	v_mov_b32_e32 v9, 0
	v_mov_b32_e32 v58, 0
	s_and_saveexec_b64 s[22:23], s[2:3]
	s_cbranch_execz .LBB297_417
; %bb.412:                              ;   in Loop: Header=BB297_223 Depth=1
	v_cmp_ne_u16_sdwa s[2:3], v3, s39 src0_sel:BYTE_0 src1_sel:DWORD
	v_bfrev_b32_e32 v58, 1
	s_and_saveexec_b64 s[28:29], s[2:3]
	s_cbranch_execz .LBB297_416
; %bb.413:                              ;   in Loop: Header=BB297_223 Depth=1
	v_bfe_u32 v59, v2, 16, 7
	v_cmp_ne_u32_e64 s[2:3], s40, v59
	v_mov_b32_e32 v58, 0x7f800001
	s_and_saveexec_b64 s[30:31], s[2:3]
	s_cbranch_execz .LBB297_415
; %bb.414:                              ;   in Loop: Header=BB297_223 Depth=1
	v_and_b32_e32 v0, 7, v3
	v_ffbh_u32_e32 v58, v0
	v_min_u32_e32 v61, 32, v58
	v_subrev_u32_e32 v58, 28, v61
	v_lshrrev_b32_e32 v60, 3, v59
	v_cmp_gt_u32_e64 s[2:3], 8, v59
	v_lshlrev_b64 v[58:59], v58, v[3:4]
	v_sub_u32_e32 v59, 29, v61
	v_and_b32_e32 v58, 7, v58
	v_cndmask_b32_e64 v59, v60, v59, s[2:3]
	v_cndmask_b32_e64 v0, v0, v58, s[2:3]
	v_lshlrev_b32_e32 v3, 24, v3
	v_lshlrev_b32_e32 v0, 20, v0
	v_and_b32_e32 v3, 0x80000000, v3
	v_lshl_add_u32 v58, v59, 23, v34
	v_or3_b32 v58, v3, v58, v0
.LBB297_415:                            ;   in Loop: Header=BB297_223 Depth=1
	s_or_b64 exec, exec, s[30:31]
.LBB297_416:                            ;   in Loop: Header=BB297_223 Depth=1
	s_or_b64 exec, exec, s[28:29]
.LBB297_417:                            ;   in Loop: Header=BB297_223 Depth=1
	s_or_b64 exec, exec, s[22:23]
	v_cmp_lt_u64_e64 s[2:3], s[12:13], v[1:2]
	s_and_saveexec_b64 s[22:23], s[2:3]
	s_cbranch_execz .LBB297_423
; %bb.418:                              ;   in Loop: Header=BB297_223 Depth=1
	v_lshrrev_b32_e32 v1, 24, v2
	v_cmp_ne_u32_e64 s[2:3], s39, v1
	v_bfrev_b32_e32 v9, 1
	s_and_saveexec_b64 s[28:29], s[2:3]
	s_cbranch_execz .LBB297_422
; %bb.419:                              ;   in Loop: Header=BB297_223 Depth=1
	v_bfe_u32 v2, v2, 24, 7
	v_cmp_ne_u32_e64 s[2:3], s40, v2
	v_mov_b32_e32 v9, 0x7f800001
	s_and_saveexec_b64 s[30:31], s[2:3]
	s_cbranch_execz .LBB297_421
; %bb.420:                              ;   in Loop: Header=BB297_223 Depth=1
	v_and_b32_e32 v0, 7, v1
	v_ffbh_u32_e32 v9, v0
	v_min_u32_e32 v9, 32, v9
	v_subrev_u32_e32 v59, 28, v9
	v_lshlrev_b64 v[59:60], v59, v[1:2]
	v_lshrrev_b32_e32 v3, 3, v2
	v_sub_u32_e32 v9, 29, v9
	v_and_b32_e32 v59, 7, v59
	v_cmp_gt_u32_e64 s[2:3], 8, v2
	v_cndmask_b32_e64 v2, v3, v9, s[2:3]
	v_cndmask_b32_e64 v0, v0, v59, s[2:3]
	v_lshlrev_b32_e32 v1, 24, v1
	v_lshlrev_b32_e32 v0, 20, v0
	v_and_b32_e32 v1, 0x80000000, v1
	v_lshl_add_u32 v2, v2, 23, v34
	v_or3_b32 v9, v1, v2, v0
.LBB297_421:                            ;   in Loop: Header=BB297_223 Depth=1
	s_or_b64 exec, exec, s[30:31]
.LBB297_422:                            ;   in Loop: Header=BB297_223 Depth=1
	s_or_b64 exec, exec, s[28:29]
.LBB297_423:                            ;   in Loop: Header=BB297_223 Depth=1
	s_or_b64 exec, exec, s[22:23]
	v_mul_f32_e32 v0, s43, v57
	v_bfe_u32 v1, v0, 16, 1
	v_add3_u32 v1, v1, v0, s41
	v_or_b32_e32 v2, 0x400000, v0
	v_cmp_u_f32_e64 s[2:3], v0, v0
	v_cndmask_b32_e64 v0, v1, v2, s[2:3]
	v_lshrrev_b32_e32 v1, 16, v0
	v_mul_f32_e32 v0, s43, v56
	v_bfe_u32 v2, v0, 16, 1
	v_add3_u32 v2, v2, v0, s41
	v_or_b32_e32 v3, 0x400000, v0
	v_cmp_u_f32_e64 s[2:3], v0, v0
	v_cndmask_b32_e64 v0, v2, v3, s[2:3]
	v_lshrrev_b32_e32 v2, 16, v0
	;; [unrolled: 7-line block ×8, first 2 shown]
	s_and_saveexec_b64 s[2:3], s[0:1]
	s_cbranch_execz .LBB297_220
; %bb.424:                              ;   in Loop: Header=BB297_223 Depth=1
	v_cmp_gt_i32_e64 s[0:1], s33, v43
	v_add_u32_e32 v0, 1, v43
	v_cndmask_b32_e64 v56, 0, v56, s[0:1]
	v_cmp_gt_i32_e64 s[0:1], s33, v0
	v_add_u32_e32 v0, 2, v43
	v_cndmask_b32_e64 v55, 0, v55, s[0:1]
	;; [unrolled: 3-line block ×7, first 2 shown]
	v_cmp_gt_i32_e64 s[0:1], s33, v0
	v_cndmask_b32_e64 v8, 0, v8, s[0:1]
	s_branch .LBB297_220
.LBB297_425:
	s_or_b64 exec, exec, s[16:17]
	v_mov_b32_e32 v14, v62
.LBB297_426:
	s_or_b64 exec, exec, s[4:5]
	ds_bpermute_b32 v0, v20, v26
	ds_bpermute_b32 v1, v20, v27
	ds_bpermute_b32 v2, v20, v25
	ds_bpermute_b32 v5, v20, v28
	v_cmp_eq_u32_e32 vcc, 0, v22
	s_waitcnt lgkmcnt(3)
	v_add_f32_e32 v4, v26, v0
	v_and_b32_e32 v0, 0x3c0, v14
	s_waitcnt lgkmcnt(2)
	v_add_f32_e32 v3, v27, v1
	s_waitcnt lgkmcnt(1)
	v_add_f32_e32 v2, v25, v2
	;; [unrolled: 2-line block ×3, first 2 shown]
	v_cmp_eq_u32_e64 s[0:1], 64, v0
	s_barrier
	s_and_saveexec_b64 s[2:3], s[0:1]
	s_cbranch_execz .LBB297_431
; %bb.427:
	s_and_saveexec_b64 s[0:1], vcc
	s_cbranch_execz .LBB297_429
; %bb.428:
	v_mov_b32_e32 v0, 0x100
	v_lshl_add_u32 v0, v21, 2, v0
	ds_write2_b32 v0, v4, v3 offset1:32
	ds_write_b32 v0, v2 offset:256
.LBB297_429:
	s_or_b64 exec, exec, s[0:1]
	v_or_b32_e32 v0, 0x60, v21
	s_movk_i32 s0, 0x78
	v_cmp_gt_u32_e64 s[0:1], s0, v0
	s_and_b64 s[0:1], vcc, s[0:1]
	s_and_b64 exec, exec, s[0:1]
; %bb.430:
	v_mov_b32_e32 v0, 0x100
	v_lshl_add_u32 v0, v21, 2, v0
	ds_write_b32 v0, v1 offset:384
.LBB297_431:
	s_or_b64 exec, exec, s[2:3]
	v_cmp_gt_u32_e64 s[0:1], 64, v14
	v_lshrrev_b32_e32 v0, 1, v14
	s_waitcnt lgkmcnt(0)
	s_barrier
	s_and_saveexec_b64 s[4:5], s[0:1]
	s_cbranch_execz .LBB297_441
; %bb.432:
	s_and_saveexec_b64 s[2:3], vcc
	s_cbranch_execz .LBB297_434
; %bb.433:
	v_mov_b32_e32 v5, 0x100
	v_lshl_add_u32 v5, v0, 2, v5
	ds_read_b32 v5, v5
	s_waitcnt lgkmcnt(0)
	v_add_f32_e32 v4, v4, v5
.LBB297_434:
	s_or_b64 exec, exec, s[2:3]
	v_or_b32_e32 v5, 32, v0
	s_movk_i32 s6, 0x78
	v_cmp_gt_u32_e64 s[2:3], s6, v5
	s_and_b64 s[12:13], vcc, s[2:3]
	s_and_saveexec_b64 s[2:3], s[12:13]
	s_cbranch_execz .LBB297_436
; %bb.435:
	v_mov_b32_e32 v5, 0x100
	v_lshl_add_u32 v5, v0, 2, v5
	ds_read_b32 v5, v5 offset:128
	s_waitcnt lgkmcnt(0)
	v_add_f32_e32 v3, v3, v5
.LBB297_436:
	s_or_b64 exec, exec, s[2:3]
	v_or_b32_e32 v5, 64, v0
	v_cmp_gt_u32_e64 s[2:3], s6, v5
	s_and_b64 s[6:7], vcc, s[2:3]
	s_and_saveexec_b64 s[2:3], s[6:7]
	s_cbranch_execz .LBB297_438
; %bb.437:
	v_mov_b32_e32 v5, 0x100
	v_lshl_add_u32 v5, v0, 2, v5
	ds_read_b32 v5, v5 offset:256
	s_waitcnt lgkmcnt(0)
	v_add_f32_e32 v2, v2, v5
.LBB297_438:
	s_or_b64 exec, exec, s[2:3]
	v_or_b32_e32 v5, 0x60, v0
	s_movk_i32 s2, 0x78
	v_cmp_gt_u32_e64 s[2:3], s2, v5
	s_and_b64 s[6:7], vcc, s[2:3]
	s_and_saveexec_b64 s[2:3], s[6:7]
	s_cbranch_execz .LBB297_440
; %bb.439:
	v_mov_b32_e32 v5, 0x100
	v_lshl_add_u32 v5, v0, 2, v5
	ds_read_b32 v5, v5 offset:384
	s_waitcnt lgkmcnt(0)
	v_add_f32_e32 v1, v1, v5
.LBB297_440:
	s_or_b64 exec, exec, s[2:3]
.LBB297_441:
	s_or_b64 exec, exec, s[4:5]
	s_barrier
	s_and_saveexec_b64 s[2:3], s[0:1]
	s_cbranch_execz .LBB297_450
; %bb.442:
	s_mul_i32 s0, s10, s11
	s_mul_i32 s0, s0, s9
	s_mulk_i32 s0, 0x78
	s_ashr_i32 s1, s0, 31
	s_lshl_b64 s[0:1], s[0:1], 1
	s_add_u32 s2, s26, s0
	s_mul_i32 s0, s11, s24
	s_addc_u32 s3, s27, s1
	s_ashr_i32 s1, s0, 31
	s_lshl_b64 s[0:1], s[0:1], 1
	s_add_u32 s2, s2, s0
	s_mul_i32 s0, s8, 0x78
	s_addc_u32 s3, s3, s1
	s_ashr_i32 s1, s0, 31
	s_lshl_b64 s[0:1], s[0:1], 1
	s_add_u32 s2, s2, s0
	s_movk_i32 s6, 0x78
	s_addc_u32 s3, s3, s1
	v_lshlrev_b32_e32 v5, 1, v0
	s_and_saveexec_b64 s[4:5], vcc
	s_cbranch_execz .LBB297_444
; %bb.443:
	v_bfe_u32 v6, v4, 16, 1
	s_movk_i32 s0, 0x7fff
	v_add3_u32 v6, v6, v4, s0
	v_or_b32_e32 v7, 0x400000, v4
	v_cmp_u_f32_e64 s[0:1], v4, v4
	v_cndmask_b32_e64 v4, v6, v7, s[0:1]
	global_store_short_d16_hi v5, v4, s[2:3]
.LBB297_444:
	s_or_b64 exec, exec, s[4:5]
	v_or_b32_e32 v4, 32, v0
	v_cmp_gt_u32_e64 s[0:1], s6, v4
	s_and_b64 s[0:1], vcc, s[0:1]
	s_and_saveexec_b64 s[4:5], s[0:1]
	s_cbranch_execz .LBB297_446
; %bb.445:
	v_bfe_u32 v4, v3, 16, 1
	s_movk_i32 s0, 0x7fff
	v_add3_u32 v4, v4, v3, s0
	v_or_b32_e32 v6, 0x400000, v3
	v_cmp_u_f32_e64 s[0:1], v3, v3
	v_cndmask_b32_e64 v3, v4, v6, s[0:1]
	global_store_short_d16_hi v5, v3, s[2:3] offset:64
.LBB297_446:
	s_or_b64 exec, exec, s[4:5]
	v_or_b32_e32 v3, 64, v0
	v_cmp_gt_u32_e64 s[0:1], s6, v3
	s_and_b64 s[0:1], vcc, s[0:1]
	s_and_saveexec_b64 s[4:5], s[0:1]
	s_cbranch_execz .LBB297_448
; %bb.447:
	v_bfe_u32 v3, v2, 16, 1
	s_movk_i32 s0, 0x7fff
	v_add3_u32 v3, v3, v2, s0
	v_or_b32_e32 v4, 0x400000, v2
	v_cmp_u_f32_e64 s[0:1], v2, v2
	v_cndmask_b32_e64 v2, v3, v4, s[0:1]
	global_store_short_d16_hi v5, v2, s[2:3] offset:128
.LBB297_448:
	s_or_b64 exec, exec, s[4:5]
	v_or_b32_e32 v0, 0x60, v0
	v_cmp_gt_u32_e64 s[0:1], s6, v0
	s_and_b64 s[0:1], vcc, s[0:1]
	s_and_b64 exec, exec, s[0:1]
	s_cbranch_execz .LBB297_450
; %bb.449:
	v_bfe_u32 v0, v1, 16, 1
	s_movk_i32 s0, 0x7fff
	v_add3_u32 v0, v0, v1, s0
	v_or_b32_e32 v2, 0x400000, v1
	v_cmp_u_f32_e32 vcc, v1, v1
	v_cndmask_b32_e32 v0, v0, v2, vcc
	global_store_short_d16_hi v5, v0, s[2:3] offset:192
.LBB297_450:
	s_endpgm
	.section	.rodata,"a",@progbits
	.p2align	6, 0x0
	.amdhsa_kernel _ZN4vllm25paged_attention_v1_kernelI14__hip_bfloat16hLi120ELi16ELi128ELNS_18Fp8KVCacheDataTypeE1ELb1EEEvPT_PKS3_PKT0_S9_ifPKiSB_iPKfiiiSD_SD_iiiii
		.amdhsa_group_segment_fixed_size 256
		.amdhsa_private_segment_fixed_size 28
		.amdhsa_kernarg_size 384
		.amdhsa_user_sgpr_count 6
		.amdhsa_user_sgpr_private_segment_buffer 1
		.amdhsa_user_sgpr_dispatch_ptr 0
		.amdhsa_user_sgpr_queue_ptr 0
		.amdhsa_user_sgpr_kernarg_segment_ptr 1
		.amdhsa_user_sgpr_dispatch_id 0
		.amdhsa_user_sgpr_flat_scratch_init 0
		.amdhsa_user_sgpr_private_segment_size 0
		.amdhsa_uses_dynamic_stack 0
		.amdhsa_system_sgpr_private_segment_wavefront_offset 1
		.amdhsa_system_sgpr_workgroup_id_x 1
		.amdhsa_system_sgpr_workgroup_id_y 1
		.amdhsa_system_sgpr_workgroup_id_z 1
		.amdhsa_system_sgpr_workgroup_info 0
		.amdhsa_system_vgpr_workitem_id 0
		.amdhsa_next_free_vgpr 64
		.amdhsa_next_free_sgpr 60
		.amdhsa_reserve_vcc 1
		.amdhsa_reserve_flat_scratch 0
		.amdhsa_float_round_mode_32 0
		.amdhsa_float_round_mode_16_64 0
		.amdhsa_float_denorm_mode_32 3
		.amdhsa_float_denorm_mode_16_64 3
		.amdhsa_dx10_clamp 1
		.amdhsa_ieee_mode 1
		.amdhsa_fp16_overflow 0
		.amdhsa_exception_fp_ieee_invalid_op 0
		.amdhsa_exception_fp_denorm_src 0
		.amdhsa_exception_fp_ieee_div_zero 0
		.amdhsa_exception_fp_ieee_overflow 0
		.amdhsa_exception_fp_ieee_underflow 0
		.amdhsa_exception_fp_ieee_inexact 0
		.amdhsa_exception_int_div_zero 0
	.end_amdhsa_kernel
	.section	.text._ZN4vllm25paged_attention_v1_kernelI14__hip_bfloat16hLi120ELi16ELi128ELNS_18Fp8KVCacheDataTypeE1ELb1EEEvPT_PKS3_PKT0_S9_ifPKiSB_iPKfiiiSD_SD_iiiii,"axG",@progbits,_ZN4vllm25paged_attention_v1_kernelI14__hip_bfloat16hLi120ELi16ELi128ELNS_18Fp8KVCacheDataTypeE1ELb1EEEvPT_PKS3_PKT0_S9_ifPKiSB_iPKfiiiSD_SD_iiiii,comdat
.Lfunc_end297:
	.size	_ZN4vllm25paged_attention_v1_kernelI14__hip_bfloat16hLi120ELi16ELi128ELNS_18Fp8KVCacheDataTypeE1ELb1EEEvPT_PKS3_PKT0_S9_ifPKiSB_iPKfiiiSD_SD_iiiii, .Lfunc_end297-_ZN4vllm25paged_attention_v1_kernelI14__hip_bfloat16hLi120ELi16ELi128ELNS_18Fp8KVCacheDataTypeE1ELb1EEEvPT_PKS3_PKT0_S9_ifPKiSB_iPKfiiiSD_SD_iiiii
                                        ; -- End function
	.set _ZN4vllm25paged_attention_v1_kernelI14__hip_bfloat16hLi120ELi16ELi128ELNS_18Fp8KVCacheDataTypeE1ELb1EEEvPT_PKS3_PKT0_S9_ifPKiSB_iPKfiiiSD_SD_iiiii.num_vgpr, 64
	.set _ZN4vllm25paged_attention_v1_kernelI14__hip_bfloat16hLi120ELi16ELi128ELNS_18Fp8KVCacheDataTypeE1ELb1EEEvPT_PKS3_PKT0_S9_ifPKiSB_iPKfiiiSD_SD_iiiii.num_agpr, 0
	.set _ZN4vllm25paged_attention_v1_kernelI14__hip_bfloat16hLi120ELi16ELi128ELNS_18Fp8KVCacheDataTypeE1ELb1EEEvPT_PKS3_PKT0_S9_ifPKiSB_iPKfiiiSD_SD_iiiii.numbered_sgpr, 60
	.set _ZN4vllm25paged_attention_v1_kernelI14__hip_bfloat16hLi120ELi16ELi128ELNS_18Fp8KVCacheDataTypeE1ELb1EEEvPT_PKS3_PKT0_S9_ifPKiSB_iPKfiiiSD_SD_iiiii.num_named_barrier, 0
	.set _ZN4vllm25paged_attention_v1_kernelI14__hip_bfloat16hLi120ELi16ELi128ELNS_18Fp8KVCacheDataTypeE1ELb1EEEvPT_PKS3_PKT0_S9_ifPKiSB_iPKfiiiSD_SD_iiiii.private_seg_size, 28
	.set _ZN4vllm25paged_attention_v1_kernelI14__hip_bfloat16hLi120ELi16ELi128ELNS_18Fp8KVCacheDataTypeE1ELb1EEEvPT_PKS3_PKT0_S9_ifPKiSB_iPKfiiiSD_SD_iiiii.uses_vcc, 1
	.set _ZN4vllm25paged_attention_v1_kernelI14__hip_bfloat16hLi120ELi16ELi128ELNS_18Fp8KVCacheDataTypeE1ELb1EEEvPT_PKS3_PKT0_S9_ifPKiSB_iPKfiiiSD_SD_iiiii.uses_flat_scratch, 0
	.set _ZN4vllm25paged_attention_v1_kernelI14__hip_bfloat16hLi120ELi16ELi128ELNS_18Fp8KVCacheDataTypeE1ELb1EEEvPT_PKS3_PKT0_S9_ifPKiSB_iPKfiiiSD_SD_iiiii.has_dyn_sized_stack, 0
	.set _ZN4vllm25paged_attention_v1_kernelI14__hip_bfloat16hLi120ELi16ELi128ELNS_18Fp8KVCacheDataTypeE1ELb1EEEvPT_PKS3_PKT0_S9_ifPKiSB_iPKfiiiSD_SD_iiiii.has_recursion, 0
	.set _ZN4vllm25paged_attention_v1_kernelI14__hip_bfloat16hLi120ELi16ELi128ELNS_18Fp8KVCacheDataTypeE1ELb1EEEvPT_PKS3_PKT0_S9_ifPKiSB_iPKfiiiSD_SD_iiiii.has_indirect_call, 0
	.section	.AMDGPU.csdata,"",@progbits
; Kernel info:
; codeLenInByte = 22124
; TotalNumSgprs: 64
; NumVgprs: 64
; ScratchSize: 28
; MemoryBound: 0
; FloatMode: 240
; IeeeMode: 1
; LDSByteSize: 256 bytes/workgroup (compile time only)
; SGPRBlocks: 7
; VGPRBlocks: 15
; NumSGPRsForWavesPerEU: 64
; NumVGPRsForWavesPerEU: 64
; Occupancy: 4
; WaveLimiterHint : 1
; COMPUTE_PGM_RSRC2:SCRATCH_EN: 1
; COMPUTE_PGM_RSRC2:USER_SGPR: 6
; COMPUTE_PGM_RSRC2:TRAP_HANDLER: 0
; COMPUTE_PGM_RSRC2:TGID_X_EN: 1
; COMPUTE_PGM_RSRC2:TGID_Y_EN: 1
; COMPUTE_PGM_RSRC2:TGID_Z_EN: 1
; COMPUTE_PGM_RSRC2:TIDIG_COMP_CNT: 0
	.section	.text._ZN4vllm25paged_attention_v1_kernelI14__hip_bfloat16hLi128ELi16ELi128ELNS_18Fp8KVCacheDataTypeE1ELb1EEEvPT_PKS3_PKT0_S9_ifPKiSB_iPKfiiiSD_SD_iiiii,"axG",@progbits,_ZN4vllm25paged_attention_v1_kernelI14__hip_bfloat16hLi128ELi16ELi128ELNS_18Fp8KVCacheDataTypeE1ELb1EEEvPT_PKS3_PKT0_S9_ifPKiSB_iPKfiiiSD_SD_iiiii,comdat
	.protected	_ZN4vllm25paged_attention_v1_kernelI14__hip_bfloat16hLi128ELi16ELi128ELNS_18Fp8KVCacheDataTypeE1ELb1EEEvPT_PKS3_PKT0_S9_ifPKiSB_iPKfiiiSD_SD_iiiii ; -- Begin function _ZN4vllm25paged_attention_v1_kernelI14__hip_bfloat16hLi128ELi16ELi128ELNS_18Fp8KVCacheDataTypeE1ELb1EEEvPT_PKS3_PKT0_S9_ifPKiSB_iPKfiiiSD_SD_iiiii
	.globl	_ZN4vllm25paged_attention_v1_kernelI14__hip_bfloat16hLi128ELi16ELi128ELNS_18Fp8KVCacheDataTypeE1ELb1EEEvPT_PKS3_PKT0_S9_ifPKiSB_iPKfiiiSD_SD_iiiii
	.p2align	8
	.type	_ZN4vllm25paged_attention_v1_kernelI14__hip_bfloat16hLi128ELi16ELi128ELNS_18Fp8KVCacheDataTypeE1ELb1EEEvPT_PKS3_PKT0_S9_ifPKiSB_iPKfiiiSD_SD_iiiii,@function
_ZN4vllm25paged_attention_v1_kernelI14__hip_bfloat16hLi128ELi16ELi128ELNS_18Fp8KVCacheDataTypeE1ELb1EEEvPT_PKS3_PKT0_S9_ifPKiSB_iPKfiiiSD_SD_iiiii: ; @_ZN4vllm25paged_attention_v1_kernelI14__hip_bfloat16hLi128ELi16ELi128ELNS_18Fp8KVCacheDataTypeE1ELb1EEEvPT_PKS3_PKT0_S9_ifPKiSB_iPKfiiiSD_SD_iiiii
; %bb.0:
	s_mov_b64 s[62:63], s[2:3]
	s_mov_b64 s[60:61], s[0:1]
	s_add_u32 s60, s60, s9
	s_addc_u32 s61, s61, 0
	buffer_store_dword v0, off, s[60:63], 0 offset:44 ; 4-byte Folded Spill
	s_load_dword s9, s[4:5], 0x80
	s_load_dwordx2 s[0:1], s[4:5], 0x30
	s_load_dwordx2 s[38:39], s[4:5], 0x20
	s_mov_b32 s24, s7
	s_ashr_i32 s25, s7, 31
	s_lshl_b64 s[2:3], s[24:25], 2
	s_waitcnt lgkmcnt(0)
	s_add_u32 s0, s0, s2
	s_addc_u32 s1, s1, s3
	s_abs_i32 s2, s38
	v_cvt_f32_u32_e32 v0, s2
	s_sub_i32 s10, 0, s2
	s_abs_i32 s7, s9
	s_xor_b32 s3, s9, s38
	v_rcp_iflag_f32_e32 v0, v0
	s_ashr_i32 s3, s3, 31
	s_mov_b32 s50, 0
	v_mul_f32_e32 v0, 0x4f7ffffe, v0
	v_cvt_u32_f32_e32 v0, v0
	v_readfirstlane_b32 s11, v0
	s_mul_i32 s10, s10, s11
	s_mul_hi_u32 s10, s11, s10
	s_add_i32 s11, s11, s10
	s_mul_hi_u32 s10, s7, s11
	s_mul_i32 s11, s10, s2
	s_sub_i32 s7, s7, s11
	s_add_i32 s11, s10, 1
	s_sub_i32 s12, s7, s2
	s_cmp_ge_u32 s7, s2
	s_cselect_b32 s10, s11, s10
	s_cselect_b32 s7, s12, s7
	s_add_i32 s11, s10, 1
	s_cmp_ge_u32 s7, s2
	s_cselect_b32 s2, s11, s10
	s_xor_b32 s2, s2, s3
	s_sub_i32 s12, s2, s3
	s_abs_i32 s10, s12
	v_cvt_f32_u32_e32 v0, s10
	s_load_dwordx2 s[2:3], s[4:5], 0x40
	s_sub_i32 s7, 0, s10
	s_abs_i32 s11, s6
	v_rcp_iflag_f32_e32 v0, v0
	v_mul_f32_e32 v0, 0x4f7ffffe, v0
	v_cvt_u32_f32_e32 v0, v0
	v_readfirstlane_b32 s13, v0
	s_mul_i32 s7, s7, s13
	s_mul_hi_u32 s7, s13, s7
	s_add_i32 s13, s13, s7
	s_waitcnt lgkmcnt(0)
	s_cmp_eq_u64 s[2:3], 0
	s_mul_hi_u32 s13, s11, s13
	s_cbranch_scc1 .LBB298_2
; %bb.1:
	s_ashr_i32 s7, s6, 31
	s_lshl_b64 s[14:15], s[6:7], 2
	s_add_u32 s2, s2, s14
	s_addc_u32 s3, s3, s15
	s_load_dword s50, s[2:3], 0x0
.LBB298_2:
	buffer_load_dword v1, off, s[60:63], 0 offset:44 ; 4-byte Folded Reload
	s_load_dword s25, s[0:1], 0x0
	s_load_dwordx4 s[16:19], s[4:5], 0x48
	s_ashr_i32 s7, s6, 31
	s_ashr_i32 s14, s12, 31
	s_lshl_b32 s26, s6, 7
	s_waitcnt vmcnt(0)
	v_and_b32_e32 v0, 3, v1
	v_cmp_gt_u32_e64 s[0:1], 64, v1
	s_and_saveexec_b64 s[2:3], s[0:1]
	s_cbranch_execz .LBB298_4
; %bb.3:
	buffer_load_dword v2, off, s[60:63], 0 offset:44 ; 4-byte Folded Reload
	s_load_dwordx2 s[20:21], s[4:5], 0x8
	s_waitcnt lgkmcnt(0)
	s_mul_i32 s22, s16, s24
	s_ashr_i32 s23, s22, 31
	s_lshl_b64 s[22:23], s[22:23], 1
	s_add_u32 s12, s20, s22
	s_addc_u32 s15, s21, s23
	s_ashr_i32 s27, s26, 31
	s_lshl_b64 s[20:21], s[26:27], 1
	s_add_u32 s20, s12, s20
	s_addc_u32 s21, s15, s21
	s_waitcnt vmcnt(0)
	v_lshlrev_b32_e32 v1, 2, v2
	global_load_dword v1, v1, s[20:21]
	v_and_b32_e32 v2, 0x3fc, v2
	v_lshl_add_u32 v2, v0, 6, v2
	s_waitcnt vmcnt(0)
	ds_write_b32 v2, v1
.LBB298_4:
	s_or_b64 exec, exec, s[2:3]
	s_mul_i32 s3, s13, s10
	s_sub_i32 s3, s11, s3
	s_xor_b32 s2, s7, s14
	s_add_i32 s7, s13, 1
	s_sub_i32 s11, s3, s10
	s_load_dwordx4 s[20:23], s[4:5], 0x68
	s_load_dword s12, s[4:5], 0x78
	s_cmp_ge_u32 s3, s10
	s_cselect_b32 s7, s7, s13
	s_cselect_b32 s3, s11, s3
	s_add_i32 s11, s7, 1
	s_cmp_ge_u32 s3, s10
	s_cselect_b32 s3, s11, s7
	s_waitcnt lgkmcnt(0)
	s_abs_i32 s27, s23
	v_cvt_f32_u32_e32 v1, s27
	s_xor_b32 s3, s3, s2
	s_sub_i32 s7, s3, s2
	s_sub_i32 s2, 0, s27
	v_rcp_iflag_f32_e32 v1, v1
	s_add_i32 s13, s25, -1
	s_abs_i32 s10, s13
	v_mul_f32_e32 v1, 0x4f7ffffe, v1
	v_cvt_u32_f32_e32 v1, v1
	s_barrier
	v_readfirstlane_b32 s33, v1
	s_mul_i32 s2, s2, s33
	s_mul_hi_u32 s2, s33, s2
	s_add_i32 s33, s33, s2
	s_cmp_lt_i32 s12, 0
	s_mul_hi_u32 s11, s10, s33
	s_cbranch_scc0 .LBB298_6
; %bb.5:
	s_mul_i32 s2, s20, s38
	s_add_i32 s2, s7, s2
	s_mul_i32 s2, s2, s12
	s_sub_i32 s38, 1, s2
	s_mov_b64 s[2:3], 0
	s_branch .LBB298_7
.LBB298_6:
	s_mov_b64 s[2:3], -1
                                        ; implicit-def: $sgpr38
.LBB298_7:
	s_load_dwordx2 s[30:31], s[4:5], 0x28
	s_ashr_i32 s16, s13, 31
	s_andn2_b64 vcc, exec, s[2:3]
	s_ashr_i32 s48, s23, 31
	s_cbranch_vccnz .LBB298_9
; %bb.8:
	s_mul_i32 s2, s9, s20
	s_add_i32 s2, s2, s6
	s_mul_i32 s2, s2, s12
	s_add_i32 s38, s2, 1
.LBB298_9:
	s_load_dword s2, s[4:5], 0x38
	s_load_dwordx2 s[28:29], s[4:5], 0x0
	s_load_dwordx2 s[36:37], s[4:5], 0x18
	s_load_dword s23, s[4:5], 0x88
	s_load_dwordx4 s[12:15], s[4:5], 0x58
	buffer_load_dword v1, off, s[60:63], 0 offset:44 ; 4-byte Folded Reload
	s_mul_i32 s3, s11, s27
	s_waitcnt lgkmcnt(0)
	s_mul_i32 s34, s2, s24
	s_sub_i32 s3, s10, s3
	s_ashr_i32 s35, s34, 31
	s_xor_b32 s2, s16, s48
	s_add_i32 s6, s11, 1
	s_sub_i32 s10, s3, s27
	s_cmp_ge_u32 s3, s27
	s_cselect_b32 s6, s6, s11
	s_cselect_b32 s3, s10, s3
	s_add_i32 s10, s6, 1
	s_cmp_ge_u32 s3, s27
	s_cselect_b32 s3, s10, s6
	s_xor_b32 s3, s3, s2
	s_sub_i32 s16, s3, s2
	s_add_i32 s2, s25, 15
	s_ashr_i32 s3, s2, 31
	s_lshr_b32 s3, s3, 28
	s_add_i32 s2, s2, s3
	s_ashr_i32 s49, s2, 4
	v_mov_b32_e32 v4, 0xff7fffff
	s_mul_i32 s20, s7, s18
	v_mbcnt_lo_u32_b32 v5, -1, 0
	s_waitcnt vmcnt(0)
	v_lshrrev_b32_e32 v2, 6, v1
	v_cmp_gt_i32_e64 s[2:3], s49, v2
	v_lshrrev_b32_e32 v13, 4, v1
	v_lshlrev_b32_e32 v1, 4, v2
	buffer_store_dword v2, off, s[60:63], 0 ; 4-byte Folded Spill
	buffer_store_dword v1, off, s[60:63], 0 offset:76 ; 4-byte Folded Spill
	s_and_saveexec_b64 s[18:19], s[2:3]
	s_cbranch_execz .LBB298_213
; %bb.10:
	buffer_load_dword v2, off, s[60:63], 0 offset:44 ; 4-byte Folded Reload
	s_load_dwordx2 s[4:5], s[4:5], 0x10
	s_sub_i32 s51, s16, s21
	s_ashr_i32 s6, s20, 31
	v_cmp_eq_u32_e32 vcc, 0, v0
	s_mov_b32 s53, s17
	s_waitcnt lgkmcnt(0)
	s_add_u32 s7, s4, s20
	s_addc_u32 s6, s5, s6
	s_abs_i32 s52, s22
	v_cvt_f32_u32_e32 v1, s52
	s_sub_i32 s4, 0, s52
	v_mov_b32_e32 v4, s6
	s_mov_b64 s[40:41], 0
	v_rcp_iflag_f32_e32 v1, v1
	s_movk_i32 s54, 0x80
	s_movk_i32 s55, 0x7f
	;; [unrolled: 1-line block ×3, first 2 shown]
	v_mul_f32_e32 v1, 0x4f7ffffe, v1
	v_cvt_u32_f32_e32 v1, v1
	s_waitcnt vmcnt(0)
	v_bfe_u32 v6, v2, 2, 4
	v_lshlrev_b32_e32 v2, 1, v0
	v_lshlrev_b32_e32 v0, 6, v0
	buffer_store_dword v0, off, s[60:63], 0 offset:52 ; 4-byte Folded Spill
	v_mul_lo_u32 v0, s4, v1
	v_lshlrev_b32_e32 v3, 4, v6
	v_add_co_u32_e64 v3, s[6:7], s7, v3
	v_mul_hi_u32 v0, v1, v0
	v_addc_co_u32_e64 v4, s[6:7], 0, v4, s[6:7]
	v_cmp_neq_f32_e64 s[4:5], s50, 0
	v_add_u32_e32 v0, v1, v0
	buffer_store_dword v0, off, s[60:63], 0 offset:4 ; 4-byte Folded Spill
	v_add_co_u32_e64 v0, s[6:7], v3, v2
	v_addc_co_u32_e64 v1, s[6:7], 0, v4, s[6:7]
	buffer_store_dword v0, off, s[60:63], 0 offset:56 ; 4-byte Folded Spill
	s_nop 0
	buffer_store_dword v1, off, s[60:63], 0 offset:60 ; 4-byte Folded Spill
	buffer_store_dword v13, off, s[60:63], 0 offset:80 ; 4-byte Folded Spill
	buffer_load_dword v39, off, s[60:63], 0 ; 4-byte Folded Reload
	s_lshl_b64 s[6:7], s[34:35], 2
	s_add_u32 s6, s30, s6
	v_and_b32_e32 v0, 60, v13
	s_addc_u32 s7, s31, s7
	v_mov_b32_e32 v1, s7
	v_add_co_u32_e64 v19, s[6:7], s6, v0
	v_subrev_u32_e32 v0, s25, v6
	v_add_u32_e32 v0, 1, v0
	buffer_store_dword v0, off, s[60:63], 0 offset:72 ; 4-byte Folded Spill
	buffer_store_dword v6, off, s[60:63], 0 offset:68 ; 4-byte Folded Spill
	v_lshlrev_b32_e32 v0, 2, v6
	v_addc_co_u32_e64 v20, s[6:7], 0, v1, s[6:7]
	s_waitcnt vmcnt(2)
	v_lshl_or_b32 v0, v39, 6, v0
	v_add_u32_e32 v35, 0x110, v0
	v_mbcnt_hi_u32_b32 v0, -1, v5
	v_lshlrev_b32_e32 v33, 4, v39
	buffer_store_dword v0, off, s[60:63], 0 offset:64 ; 4-byte Folded Spill
	v_mov_b32_e32 v0, 0xff7fffff
	buffer_store_dword v0, off, s[60:63], 0 offset:48 ; 4-byte Folded Spill
	s_branch .LBB298_13
.LBB298_11:                             ;   in Loop: Header=BB298_13 Depth=1
	s_or_b64 exec, exec, s[42:43]
.LBB298_12:                             ;   in Loop: Header=BB298_13 Depth=1
	s_or_b64 exec, exec, s[10:11]
	v_add_co_u32_e64 v19, s[6:7], 8, v19
	v_add_u32_e32 v39, 2, v39
	v_addc_co_u32_e64 v20, s[6:7], 0, v20, s[6:7]
	v_cmp_le_i32_e64 s[6:7], s49, v39
	v_add_u32_e32 v33, 32, v33
	s_or_b64 s[40:41], s[6:7], s[40:41]
	v_add_u32_e32 v35, 0x80, v35
	s_andn2_b64 exec, exec, s[40:41]
	s_cbranch_execz .LBB298_212
.LBB298_13:                             ; =>This Inner Loop Header: Depth=1
	buffer_load_dword v3, off, s[60:63], 0 offset:4 ; 4-byte Folded Reload
	v_mul_hi_u32 v0, v33, s33
	s_waitcnt lgkmcnt(0)
	v_mul_lo_u32 v1, v0, s27
	v_add_u32_e32 v2, 1, v0
	v_sub_u32_e32 v1, v33, v1
	v_cmp_le_u32_e64 s[6:7], s27, v1
	v_cndmask_b32_e64 v0, v0, v2, s[6:7]
	v_subrev_u32_e32 v2, s27, v1
	v_cndmask_b32_e64 v1, v1, v2, s[6:7]
	v_add_u32_e32 v2, 1, v0
	v_cmp_le_u32_e64 s[6:7], s27, v1
	v_cndmask_b32_e64 v0, v0, v2, s[6:7]
	v_xor_b32_e32 v0, s48, v0
	v_subrev_u32_e32 v0, s48, v0
	v_add_u32_e32 v1, s38, v0
	v_sub_u32_e32 v2, 0, v1
	v_max_i32_e32 v2, v1, v2
	v_ashrrev_i32_e32 v1, 31, v1
	v_cmp_ge_i32_e64 s[10:11], s51, v0
	s_waitcnt vmcnt(0)
	v_mul_hi_u32 v3, v2, v3
	v_mul_lo_u32 v3, v3, s52
	v_sub_u32_e32 v2, v2, v3
	v_subrev_u32_e32 v3, s52, v2
	v_cmp_le_u32_e64 s[6:7], s52, v2
	v_cndmask_b32_e64 v2, v2, v3, s[6:7]
	v_subrev_u32_e32 v3, s52, v2
	v_cmp_le_u32_e64 s[6:7], s52, v2
	v_cndmask_b32_e64 v2, v2, v3, s[6:7]
	v_xor_b32_e32 v2, v2, v1
	v_sub_u32_e32 v1, v2, v1
	v_cmp_ne_u32_e64 s[6:7], 0, v1
	s_and_b64 s[6:7], s[6:7], s[10:11]
	s_and_saveexec_b64 s[10:11], s[6:7]
	s_xor_b64 s[6:7], exec, s[10:11]
	s_cbranch_execz .LBB298_17
; %bb.14:                               ;   in Loop: Header=BB298_13 Depth=1
	s_and_saveexec_b64 s[10:11], vcc
; %bb.15:                               ;   in Loop: Header=BB298_13 Depth=1
	v_mov_b32_e32 v0, 0xff7fffff
	ds_write_b32 v35, v0
; %bb.16:                               ;   in Loop: Header=BB298_13 Depth=1
	s_or_b64 exec, exec, s[10:11]
.LBB298_17:                             ;   in Loop: Header=BB298_13 Depth=1
	s_andn2_saveexec_b64 s[10:11], s[6:7]
	s_cbranch_execz .LBB298_12
; %bb.18:                               ;   in Loop: Header=BB298_13 Depth=1
	global_load_dword v0, v[19:20], off
	buffer_load_dword v1, off, s[60:63], 0 offset:56 ; 4-byte Folded Reload
	buffer_load_dword v2, off, s[60:63], 0 offset:60 ; 4-byte Folded Reload
	v_mov_b32_e32 v40, 0
	v_mov_b32_e32 v47, 0
	s_waitcnt vmcnt(0)
	v_mad_i64_i32 v[21:22], s[6:7], v0, s53, v[1:2]
	buffer_load_dword v1, off, s[60:63], 0 offset:52 ; 4-byte Folded Reload
	v_mov_b32_e32 v2, 0
	global_load_ushort v0, v[21:22], off
	s_waitcnt vmcnt(1)
	ds_read_b128 v[13:16], v1
	ds_read_b128 v[5:8], v1 offset:16
	s_load_dword s57, s[12:13], 0x0
	s_waitcnt vmcnt(0)
	v_cmp_ne_u16_sdwa s[6:7], v0, v2 src0_sel:BYTE_0 src1_sel:DWORD
	ds_read_b128 v[9:12], v1 offset:32
	ds_read_b128 v[1:4], v1 offset:48
	v_and_b32_e32 v23, 0xffff, v0
	s_and_saveexec_b64 s[42:43], s[6:7]
	s_cbranch_execz .LBB298_24
; %bb.19:                               ;   in Loop: Header=BB298_13 Depth=1
	v_cmp_ne_u16_sdwa s[6:7], v23, s54 src0_sel:BYTE_0 src1_sel:DWORD
	v_bfrev_b32_e32 v47, 1
	s_and_saveexec_b64 s[44:45], s[6:7]
	s_cbranch_execz .LBB298_23
; %bb.20:                               ;   in Loop: Header=BB298_13 Depth=1
	v_and_b32_e32 v0, 0x7f, v23
	v_cmp_ne_u32_e64 s[6:7], s55, v0
	v_mov_b32_e32 v47, 0x7f800001
	s_and_saveexec_b64 s[46:47], s[6:7]
	s_cbranch_execz .LBB298_22
; %bb.21:                               ;   in Loop: Header=BB298_13 Depth=1
	v_and_b32_e32 v24, 7, v23
	v_ffbh_u32_e32 v17, v24
	v_min_u32_e32 v28, 32, v17
	v_subrev_u32_e32 v17, 28, v28
	v_lshlrev_b64 v[17:18], v17, v[23:24]
	v_lshrrev_b32_e32 v27, 3, v0
	v_sub_u32_e32 v18, 29, v28
	v_and_b32_e32 v17, 7, v17
	v_cmp_gt_u32_e64 s[6:7], 8, v0
	v_cndmask_b32_e64 v0, v27, v18, s[6:7]
	v_cndmask_b32_e64 v17, v24, v17, s[6:7]
	v_lshlrev_b32_e32 v18, 24, v23
	v_bfrev_b32_e32 v24, 60
	v_lshlrev_b32_e32 v17, 20, v17
	v_and_b32_e32 v18, 0x80000000, v18
	v_lshl_add_u32 v0, v0, 23, v24
	v_or3_b32 v47, v18, v0, v17
.LBB298_22:                             ;   in Loop: Header=BB298_13 Depth=1
	s_or_b64 exec, exec, s[46:47]
.LBB298_23:                             ;   in Loop: Header=BB298_13 Depth=1
	s_or_b64 exec, exec, s[44:45]
.LBB298_24:                             ;   in Loop: Header=BB298_13 Depth=1
	s_or_b64 exec, exec, s[42:43]
	v_lshrrev_b16_e32 v24, 8, v23
	v_cmp_ne_u16_e64 s[6:7], 0, v24
	s_and_saveexec_b64 s[42:43], s[6:7]
	s_cbranch_execz .LBB298_30
; %bb.25:                               ;   in Loop: Header=BB298_13 Depth=1
	v_cmp_ne_u16_e64 s[6:7], s54, v24
	v_bfrev_b32_e32 v40, 1
	s_and_saveexec_b64 s[44:45], s[6:7]
	s_cbranch_execz .LBB298_29
; %bb.26:                               ;   in Loop: Header=BB298_13 Depth=1
	v_and_b32_e32 v0, 0x7f, v24
	v_cmp_ne_u32_e64 s[6:7], s55, v0
	v_mov_b32_e32 v40, 0x7f800001
	s_and_saveexec_b64 s[46:47], s[6:7]
	s_cbranch_execz .LBB298_28
; %bb.27:                               ;   in Loop: Header=BB298_13 Depth=1
	v_and_b32_e32 v27, 7, v24
	v_ffbh_u32_e32 v17, v27
	v_min_u32_e32 v29, 32, v17
	v_subrev_u32_e32 v17, 28, v29
	v_lshlrev_b64 v[17:18], v17, v[24:25]
	v_lshrrev_b32_e32 v28, 3, v0
	v_sub_u32_e32 v18, 29, v29
	v_and_b32_e32 v17, 7, v17
	v_cmp_gt_u32_e64 s[6:7], 8, v0
	v_cndmask_b32_e64 v0, v28, v18, s[6:7]
	v_cndmask_b32_e64 v17, v27, v17, s[6:7]
	v_lshlrev_b32_e32 v18, 16, v23
	v_bfrev_b32_e32 v23, 60
	v_lshlrev_b32_e32 v17, 20, v17
	v_and_b32_e32 v18, 0x80000000, v18
	v_lshl_add_u32 v0, v0, 23, v23
	v_or3_b32 v40, v18, v0, v17
.LBB298_28:                             ;   in Loop: Header=BB298_13 Depth=1
	s_or_b64 exec, exec, s[46:47]
.LBB298_29:                             ;   in Loop: Header=BB298_13 Depth=1
	s_or_b64 exec, exec, s[44:45]
.LBB298_30:                             ;   in Loop: Header=BB298_13 Depth=1
	s_or_b64 exec, exec, s[42:43]
	global_load_ushort v0, v[21:22], off offset:8
	v_mov_b32_e32 v17, 0
	v_mov_b32_e32 v45, 0
	;; [unrolled: 1-line block ×3, first 2 shown]
	s_waitcnt vmcnt(0)
	v_and_b32_e32 v23, 0xffff, v0
	v_cmp_ne_u16_sdwa s[6:7], v0, v17 src0_sel:BYTE_0 src1_sel:DWORD
	s_and_saveexec_b64 s[42:43], s[6:7]
	s_cbranch_execz .LBB298_36
; %bb.31:                               ;   in Loop: Header=BB298_13 Depth=1
	v_cmp_ne_u16_sdwa s[6:7], v23, s54 src0_sel:BYTE_0 src1_sel:DWORD
	v_bfrev_b32_e32 v46, 1
	s_and_saveexec_b64 s[44:45], s[6:7]
	s_cbranch_execz .LBB298_35
; %bb.32:                               ;   in Loop: Header=BB298_13 Depth=1
	v_and_b32_e32 v0, 0x7f, v23
	v_cmp_ne_u32_e64 s[6:7], s55, v0
	v_mov_b32_e32 v46, 0x7f800001
	s_and_saveexec_b64 s[46:47], s[6:7]
	s_cbranch_execz .LBB298_34
; %bb.33:                               ;   in Loop: Header=BB298_13 Depth=1
	v_and_b32_e32 v24, 7, v23
	v_ffbh_u32_e32 v17, v24
	v_min_u32_e32 v28, 32, v17
	v_subrev_u32_e32 v17, 28, v28
	v_lshlrev_b64 v[17:18], v17, v[23:24]
	v_lshrrev_b32_e32 v27, 3, v0
	v_sub_u32_e32 v18, 29, v28
	v_and_b32_e32 v17, 7, v17
	v_cmp_gt_u32_e64 s[6:7], 8, v0
	v_cndmask_b32_e64 v0, v27, v18, s[6:7]
	v_cndmask_b32_e64 v17, v24, v17, s[6:7]
	v_lshlrev_b32_e32 v18, 24, v23
	v_bfrev_b32_e32 v24, 60
	v_lshlrev_b32_e32 v17, 20, v17
	v_and_b32_e32 v18, 0x80000000, v18
	v_lshl_add_u32 v0, v0, 23, v24
	v_or3_b32 v46, v18, v0, v17
.LBB298_34:                             ;   in Loop: Header=BB298_13 Depth=1
	s_or_b64 exec, exec, s[46:47]
.LBB298_35:                             ;   in Loop: Header=BB298_13 Depth=1
	s_or_b64 exec, exec, s[44:45]
.LBB298_36:                             ;   in Loop: Header=BB298_13 Depth=1
	s_or_b64 exec, exec, s[42:43]
	v_lshrrev_b16_e32 v24, 8, v23
	v_cmp_ne_u16_e64 s[6:7], 0, v24
	s_and_saveexec_b64 s[42:43], s[6:7]
	s_cbranch_execz .LBB298_42
; %bb.37:                               ;   in Loop: Header=BB298_13 Depth=1
	v_cmp_ne_u16_e64 s[6:7], s54, v24
	v_bfrev_b32_e32 v45, 1
	s_and_saveexec_b64 s[44:45], s[6:7]
	s_cbranch_execz .LBB298_41
; %bb.38:                               ;   in Loop: Header=BB298_13 Depth=1
	v_and_b32_e32 v0, 0x7f, v24
	v_cmp_ne_u32_e64 s[6:7], s55, v0
	v_mov_b32_e32 v45, 0x7f800001
	s_and_saveexec_b64 s[46:47], s[6:7]
	s_cbranch_execz .LBB298_40
; %bb.39:                               ;   in Loop: Header=BB298_13 Depth=1
	v_and_b32_e32 v27, 7, v24
	v_ffbh_u32_e32 v17, v27
	v_min_u32_e32 v29, 32, v17
	v_subrev_u32_e32 v17, 28, v29
	v_lshlrev_b64 v[17:18], v17, v[24:25]
	v_lshrrev_b32_e32 v28, 3, v0
	v_sub_u32_e32 v18, 29, v29
	v_and_b32_e32 v17, 7, v17
	v_cmp_gt_u32_e64 s[6:7], 8, v0
	v_cndmask_b32_e64 v0, v28, v18, s[6:7]
	v_cndmask_b32_e64 v17, v27, v17, s[6:7]
	v_lshlrev_b32_e32 v18, 16, v23
	v_bfrev_b32_e32 v23, 60
	v_lshlrev_b32_e32 v17, 20, v17
	v_and_b32_e32 v18, 0x80000000, v18
	v_lshl_add_u32 v0, v0, 23, v23
	v_or3_b32 v45, v18, v0, v17
.LBB298_40:                             ;   in Loop: Header=BB298_13 Depth=1
	s_or_b64 exec, exec, s[46:47]
.LBB298_41:                             ;   in Loop: Header=BB298_13 Depth=1
	s_or_b64 exec, exec, s[44:45]
.LBB298_42:                             ;   in Loop: Header=BB298_13 Depth=1
	s_or_b64 exec, exec, s[42:43]
	global_load_ushort v0, v[21:22], off offset:256
	v_mov_b32_e32 v17, 0
	v_mov_b32_e32 v41, 0
	;; [unrolled: 1-line block ×3, first 2 shown]
	s_waitcnt vmcnt(0)
	v_and_b32_e32 v23, 0xffff, v0
	v_cmp_ne_u16_sdwa s[6:7], v0, v17 src0_sel:BYTE_0 src1_sel:DWORD
	s_and_saveexec_b64 s[42:43], s[6:7]
	s_cbranch_execz .LBB298_48
; %bb.43:                               ;   in Loop: Header=BB298_13 Depth=1
	v_cmp_ne_u16_sdwa s[6:7], v23, s54 src0_sel:BYTE_0 src1_sel:DWORD
	v_bfrev_b32_e32 v42, 1
	s_and_saveexec_b64 s[44:45], s[6:7]
	s_cbranch_execz .LBB298_47
; %bb.44:                               ;   in Loop: Header=BB298_13 Depth=1
	v_and_b32_e32 v0, 0x7f, v23
	v_cmp_ne_u32_e64 s[6:7], s55, v0
	v_mov_b32_e32 v42, 0x7f800001
	s_and_saveexec_b64 s[46:47], s[6:7]
	s_cbranch_execz .LBB298_46
; %bb.45:                               ;   in Loop: Header=BB298_13 Depth=1
	v_and_b32_e32 v24, 7, v23
	v_ffbh_u32_e32 v17, v24
	v_min_u32_e32 v28, 32, v17
	v_subrev_u32_e32 v17, 28, v28
	v_lshlrev_b64 v[17:18], v17, v[23:24]
	v_lshrrev_b32_e32 v27, 3, v0
	v_sub_u32_e32 v18, 29, v28
	v_and_b32_e32 v17, 7, v17
	v_cmp_gt_u32_e64 s[6:7], 8, v0
	v_cndmask_b32_e64 v0, v27, v18, s[6:7]
	v_cndmask_b32_e64 v17, v24, v17, s[6:7]
	v_lshlrev_b32_e32 v18, 24, v23
	v_bfrev_b32_e32 v24, 60
	v_lshlrev_b32_e32 v17, 20, v17
	v_and_b32_e32 v18, 0x80000000, v18
	v_lshl_add_u32 v0, v0, 23, v24
	v_or3_b32 v42, v18, v0, v17
.LBB298_46:                             ;   in Loop: Header=BB298_13 Depth=1
	s_or_b64 exec, exec, s[46:47]
.LBB298_47:                             ;   in Loop: Header=BB298_13 Depth=1
	s_or_b64 exec, exec, s[44:45]
.LBB298_48:                             ;   in Loop: Header=BB298_13 Depth=1
	s_or_b64 exec, exec, s[42:43]
	v_lshrrev_b16_e32 v24, 8, v23
	v_cmp_ne_u16_e64 s[6:7], 0, v24
	s_and_saveexec_b64 s[42:43], s[6:7]
	s_cbranch_execz .LBB298_54
; %bb.49:                               ;   in Loop: Header=BB298_13 Depth=1
	v_cmp_ne_u16_e64 s[6:7], s54, v24
	v_bfrev_b32_e32 v41, 1
	s_and_saveexec_b64 s[44:45], s[6:7]
	s_cbranch_execz .LBB298_53
; %bb.50:                               ;   in Loop: Header=BB298_13 Depth=1
	v_and_b32_e32 v0, 0x7f, v24
	v_cmp_ne_u32_e64 s[6:7], s55, v0
	v_mov_b32_e32 v41, 0x7f800001
	s_and_saveexec_b64 s[46:47], s[6:7]
	s_cbranch_execz .LBB298_52
; %bb.51:                               ;   in Loop: Header=BB298_13 Depth=1
	v_and_b32_e32 v27, 7, v24
	v_ffbh_u32_e32 v17, v27
	v_min_u32_e32 v29, 32, v17
	v_subrev_u32_e32 v17, 28, v29
	v_lshlrev_b64 v[17:18], v17, v[24:25]
	v_lshrrev_b32_e32 v28, 3, v0
	v_sub_u32_e32 v18, 29, v29
	v_and_b32_e32 v17, 7, v17
	v_cmp_gt_u32_e64 s[6:7], 8, v0
	v_cndmask_b32_e64 v0, v28, v18, s[6:7]
	v_cndmask_b32_e64 v17, v27, v17, s[6:7]
	v_lshlrev_b32_e32 v18, 16, v23
	v_bfrev_b32_e32 v23, 60
	v_lshlrev_b32_e32 v17, 20, v17
	v_and_b32_e32 v18, 0x80000000, v18
	v_lshl_add_u32 v0, v0, 23, v23
	v_or3_b32 v41, v18, v0, v17
.LBB298_52:                             ;   in Loop: Header=BB298_13 Depth=1
	s_or_b64 exec, exec, s[46:47]
.LBB298_53:                             ;   in Loop: Header=BB298_13 Depth=1
	s_or_b64 exec, exec, s[44:45]
.LBB298_54:                             ;   in Loop: Header=BB298_13 Depth=1
	s_or_b64 exec, exec, s[42:43]
	global_load_ushort v0, v[21:22], off offset:264
	v_mov_b32_e32 v17, 0
	v_mov_b32_e32 v38, 0
	;; [unrolled: 1-line block ×3, first 2 shown]
	s_waitcnt vmcnt(0)
	v_and_b32_e32 v23, 0xffff, v0
	v_cmp_ne_u16_sdwa s[6:7], v0, v17 src0_sel:BYTE_0 src1_sel:DWORD
	s_and_saveexec_b64 s[42:43], s[6:7]
	s_cbranch_execz .LBB298_60
; %bb.55:                               ;   in Loop: Header=BB298_13 Depth=1
	v_cmp_ne_u16_sdwa s[6:7], v23, s54 src0_sel:BYTE_0 src1_sel:DWORD
	v_bfrev_b32_e32 v48, 1
	s_and_saveexec_b64 s[44:45], s[6:7]
	s_cbranch_execz .LBB298_59
; %bb.56:                               ;   in Loop: Header=BB298_13 Depth=1
	v_and_b32_e32 v0, 0x7f, v23
	v_cmp_ne_u32_e64 s[6:7], s55, v0
	v_mov_b32_e32 v48, 0x7f800001
	s_and_saveexec_b64 s[46:47], s[6:7]
	s_cbranch_execz .LBB298_58
; %bb.57:                               ;   in Loop: Header=BB298_13 Depth=1
	v_and_b32_e32 v24, 7, v23
	v_ffbh_u32_e32 v17, v24
	v_min_u32_e32 v28, 32, v17
	v_subrev_u32_e32 v17, 28, v28
	v_lshlrev_b64 v[17:18], v17, v[23:24]
	v_lshrrev_b32_e32 v27, 3, v0
	v_sub_u32_e32 v18, 29, v28
	v_and_b32_e32 v17, 7, v17
	v_cmp_gt_u32_e64 s[6:7], 8, v0
	v_cndmask_b32_e64 v0, v27, v18, s[6:7]
	v_cndmask_b32_e64 v17, v24, v17, s[6:7]
	v_lshlrev_b32_e32 v18, 24, v23
	v_bfrev_b32_e32 v24, 60
	v_lshlrev_b32_e32 v17, 20, v17
	v_and_b32_e32 v18, 0x80000000, v18
	v_lshl_add_u32 v0, v0, 23, v24
	v_or3_b32 v48, v18, v0, v17
.LBB298_58:                             ;   in Loop: Header=BB298_13 Depth=1
	s_or_b64 exec, exec, s[46:47]
.LBB298_59:                             ;   in Loop: Header=BB298_13 Depth=1
	s_or_b64 exec, exec, s[44:45]
.LBB298_60:                             ;   in Loop: Header=BB298_13 Depth=1
	s_or_b64 exec, exec, s[42:43]
	v_lshrrev_b16_e32 v24, 8, v23
	v_cmp_ne_u16_e64 s[6:7], 0, v24
	s_and_saveexec_b64 s[42:43], s[6:7]
	s_cbranch_execz .LBB298_66
; %bb.61:                               ;   in Loop: Header=BB298_13 Depth=1
	v_cmp_ne_u16_e64 s[6:7], s54, v24
	v_bfrev_b32_e32 v38, 1
	s_and_saveexec_b64 s[44:45], s[6:7]
	s_cbranch_execz .LBB298_65
; %bb.62:                               ;   in Loop: Header=BB298_13 Depth=1
	v_and_b32_e32 v0, 0x7f, v24
	v_cmp_ne_u32_e64 s[6:7], s55, v0
	v_mov_b32_e32 v38, 0x7f800001
	s_and_saveexec_b64 s[46:47], s[6:7]
	s_cbranch_execz .LBB298_64
; %bb.63:                               ;   in Loop: Header=BB298_13 Depth=1
	v_and_b32_e32 v27, 7, v24
	v_ffbh_u32_e32 v17, v27
	v_min_u32_e32 v29, 32, v17
	v_subrev_u32_e32 v17, 28, v29
	v_lshlrev_b64 v[17:18], v17, v[24:25]
	v_lshrrev_b32_e32 v28, 3, v0
	v_sub_u32_e32 v18, 29, v29
	v_and_b32_e32 v17, 7, v17
	v_cmp_gt_u32_e64 s[6:7], 8, v0
	v_cndmask_b32_e64 v0, v28, v18, s[6:7]
	v_cndmask_b32_e64 v17, v27, v17, s[6:7]
	v_lshlrev_b32_e32 v18, 16, v23
	v_bfrev_b32_e32 v23, 60
	v_lshlrev_b32_e32 v17, 20, v17
	v_and_b32_e32 v18, 0x80000000, v18
	v_lshl_add_u32 v0, v0, 23, v23
	v_or3_b32 v38, v18, v0, v17
.LBB298_64:                             ;   in Loop: Header=BB298_13 Depth=1
	s_or_b64 exec, exec, s[46:47]
.LBB298_65:                             ;   in Loop: Header=BB298_13 Depth=1
	s_or_b64 exec, exec, s[44:45]
.LBB298_66:                             ;   in Loop: Header=BB298_13 Depth=1
	s_or_b64 exec, exec, s[42:43]
	global_load_ushort v0, v[21:22], off offset:512
	v_mov_b32_e32 v17, 0
	v_mov_b32_e32 v44, 0
	;; [unrolled: 1-line block ×3, first 2 shown]
	s_waitcnt vmcnt(0)
	v_and_b32_e32 v23, 0xffff, v0
	v_cmp_ne_u16_sdwa s[6:7], v0, v17 src0_sel:BYTE_0 src1_sel:DWORD
	s_and_saveexec_b64 s[42:43], s[6:7]
	s_cbranch_execz .LBB298_72
; %bb.67:                               ;   in Loop: Header=BB298_13 Depth=1
	v_cmp_ne_u16_sdwa s[6:7], v23, s54 src0_sel:BYTE_0 src1_sel:DWORD
	v_bfrev_b32_e32 v43, 1
	s_and_saveexec_b64 s[44:45], s[6:7]
	s_cbranch_execz .LBB298_71
; %bb.68:                               ;   in Loop: Header=BB298_13 Depth=1
	v_and_b32_e32 v0, 0x7f, v23
	v_cmp_ne_u32_e64 s[6:7], s55, v0
	v_mov_b32_e32 v43, 0x7f800001
	s_and_saveexec_b64 s[46:47], s[6:7]
	s_cbranch_execz .LBB298_70
; %bb.69:                               ;   in Loop: Header=BB298_13 Depth=1
	v_and_b32_e32 v24, 7, v23
	v_ffbh_u32_e32 v17, v24
	v_min_u32_e32 v28, 32, v17
	v_subrev_u32_e32 v17, 28, v28
	v_lshlrev_b64 v[17:18], v17, v[23:24]
	v_lshrrev_b32_e32 v27, 3, v0
	v_sub_u32_e32 v18, 29, v28
	v_and_b32_e32 v17, 7, v17
	v_cmp_gt_u32_e64 s[6:7], 8, v0
	v_cndmask_b32_e64 v0, v27, v18, s[6:7]
	v_cndmask_b32_e64 v17, v24, v17, s[6:7]
	v_lshlrev_b32_e32 v18, 24, v23
	v_bfrev_b32_e32 v24, 60
	v_lshlrev_b32_e32 v17, 20, v17
	v_and_b32_e32 v18, 0x80000000, v18
	v_lshl_add_u32 v0, v0, 23, v24
	v_or3_b32 v43, v18, v0, v17
.LBB298_70:                             ;   in Loop: Header=BB298_13 Depth=1
	s_or_b64 exec, exec, s[46:47]
.LBB298_71:                             ;   in Loop: Header=BB298_13 Depth=1
	s_or_b64 exec, exec, s[44:45]
.LBB298_72:                             ;   in Loop: Header=BB298_13 Depth=1
	s_or_b64 exec, exec, s[42:43]
	v_lshrrev_b16_e32 v24, 8, v23
	v_cmp_ne_u16_e64 s[6:7], 0, v24
	s_and_saveexec_b64 s[42:43], s[6:7]
	s_cbranch_execz .LBB298_78
; %bb.73:                               ;   in Loop: Header=BB298_13 Depth=1
	v_cmp_ne_u16_e64 s[6:7], s54, v24
	v_bfrev_b32_e32 v44, 1
	s_and_saveexec_b64 s[44:45], s[6:7]
	s_cbranch_execz .LBB298_77
; %bb.74:                               ;   in Loop: Header=BB298_13 Depth=1
	v_and_b32_e32 v0, 0x7f, v24
	v_cmp_ne_u32_e64 s[6:7], s55, v0
	v_mov_b32_e32 v44, 0x7f800001
	s_and_saveexec_b64 s[46:47], s[6:7]
	s_cbranch_execz .LBB298_76
; %bb.75:                               ;   in Loop: Header=BB298_13 Depth=1
	v_and_b32_e32 v27, 7, v24
	v_ffbh_u32_e32 v17, v27
	v_min_u32_e32 v29, 32, v17
	v_subrev_u32_e32 v17, 28, v29
	v_lshlrev_b64 v[17:18], v17, v[24:25]
	v_lshrrev_b32_e32 v28, 3, v0
	v_sub_u32_e32 v18, 29, v29
	v_and_b32_e32 v17, 7, v17
	v_cmp_gt_u32_e64 s[6:7], 8, v0
	v_cndmask_b32_e64 v0, v28, v18, s[6:7]
	v_cndmask_b32_e64 v17, v27, v17, s[6:7]
	v_lshlrev_b32_e32 v18, 16, v23
	v_bfrev_b32_e32 v23, 60
	v_lshlrev_b32_e32 v17, 20, v17
	v_and_b32_e32 v18, 0x80000000, v18
	v_lshl_add_u32 v0, v0, 23, v23
	v_or3_b32 v44, v18, v0, v17
.LBB298_76:                             ;   in Loop: Header=BB298_13 Depth=1
	s_or_b64 exec, exec, s[46:47]
.LBB298_77:                             ;   in Loop: Header=BB298_13 Depth=1
	s_or_b64 exec, exec, s[44:45]
.LBB298_78:                             ;   in Loop: Header=BB298_13 Depth=1
	s_or_b64 exec, exec, s[42:43]
	global_load_ushort v0, v[21:22], off offset:520
	v_mov_b32_e32 v17, 0
	v_mov_b32_e32 v50, 0
	;; [unrolled: 1-line block ×3, first 2 shown]
	s_waitcnt vmcnt(0)
	v_and_b32_e32 v23, 0xffff, v0
	v_cmp_ne_u16_sdwa s[6:7], v0, v17 src0_sel:BYTE_0 src1_sel:DWORD
	s_and_saveexec_b64 s[42:43], s[6:7]
	s_cbranch_execz .LBB298_84
; %bb.79:                               ;   in Loop: Header=BB298_13 Depth=1
	v_cmp_ne_u16_sdwa s[6:7], v23, s54 src0_sel:BYTE_0 src1_sel:DWORD
	v_bfrev_b32_e32 v49, 1
	s_and_saveexec_b64 s[44:45], s[6:7]
	s_cbranch_execz .LBB298_83
; %bb.80:                               ;   in Loop: Header=BB298_13 Depth=1
	v_and_b32_e32 v0, 0x7f, v23
	v_cmp_ne_u32_e64 s[6:7], s55, v0
	v_mov_b32_e32 v49, 0x7f800001
	s_and_saveexec_b64 s[46:47], s[6:7]
	s_cbranch_execz .LBB298_82
; %bb.81:                               ;   in Loop: Header=BB298_13 Depth=1
	v_and_b32_e32 v24, 7, v23
	v_ffbh_u32_e32 v17, v24
	v_min_u32_e32 v28, 32, v17
	v_subrev_u32_e32 v17, 28, v28
	v_lshlrev_b64 v[17:18], v17, v[23:24]
	v_lshrrev_b32_e32 v27, 3, v0
	v_sub_u32_e32 v18, 29, v28
	v_and_b32_e32 v17, 7, v17
	v_cmp_gt_u32_e64 s[6:7], 8, v0
	v_cndmask_b32_e64 v0, v27, v18, s[6:7]
	v_cndmask_b32_e64 v17, v24, v17, s[6:7]
	v_lshlrev_b32_e32 v18, 24, v23
	v_bfrev_b32_e32 v24, 60
	v_lshlrev_b32_e32 v17, 20, v17
	v_and_b32_e32 v18, 0x80000000, v18
	v_lshl_add_u32 v0, v0, 23, v24
	v_or3_b32 v49, v18, v0, v17
.LBB298_82:                             ;   in Loop: Header=BB298_13 Depth=1
	s_or_b64 exec, exec, s[46:47]
.LBB298_83:                             ;   in Loop: Header=BB298_13 Depth=1
	s_or_b64 exec, exec, s[44:45]
.LBB298_84:                             ;   in Loop: Header=BB298_13 Depth=1
	s_or_b64 exec, exec, s[42:43]
	v_lshrrev_b16_e32 v24, 8, v23
	v_cmp_ne_u16_e64 s[6:7], 0, v24
	s_and_saveexec_b64 s[42:43], s[6:7]
	s_cbranch_execz .LBB298_90
; %bb.85:                               ;   in Loop: Header=BB298_13 Depth=1
	v_cmp_ne_u16_e64 s[6:7], s54, v24
	v_bfrev_b32_e32 v50, 1
	s_and_saveexec_b64 s[44:45], s[6:7]
	s_cbranch_execz .LBB298_89
; %bb.86:                               ;   in Loop: Header=BB298_13 Depth=1
	v_and_b32_e32 v0, 0x7f, v24
	v_cmp_ne_u32_e64 s[6:7], s55, v0
	v_mov_b32_e32 v50, 0x7f800001
	s_and_saveexec_b64 s[46:47], s[6:7]
	s_cbranch_execz .LBB298_88
; %bb.87:                               ;   in Loop: Header=BB298_13 Depth=1
	v_and_b32_e32 v27, 7, v24
	v_ffbh_u32_e32 v17, v27
	v_min_u32_e32 v29, 32, v17
	v_subrev_u32_e32 v17, 28, v29
	v_lshlrev_b64 v[17:18], v17, v[24:25]
	v_lshrrev_b32_e32 v28, 3, v0
	v_sub_u32_e32 v18, 29, v29
	v_and_b32_e32 v17, 7, v17
	v_cmp_gt_u32_e64 s[6:7], 8, v0
	v_cndmask_b32_e64 v0, v28, v18, s[6:7]
	v_cndmask_b32_e64 v17, v27, v17, s[6:7]
	v_lshlrev_b32_e32 v18, 16, v23
	v_bfrev_b32_e32 v23, 60
	v_lshlrev_b32_e32 v17, 20, v17
	v_and_b32_e32 v18, 0x80000000, v18
	v_lshl_add_u32 v0, v0, 23, v23
	v_or3_b32 v50, v18, v0, v17
.LBB298_88:                             ;   in Loop: Header=BB298_13 Depth=1
	s_or_b64 exec, exec, s[46:47]
.LBB298_89:                             ;   in Loop: Header=BB298_13 Depth=1
	s_or_b64 exec, exec, s[44:45]
.LBB298_90:                             ;   in Loop: Header=BB298_13 Depth=1
	s_or_b64 exec, exec, s[42:43]
	global_load_ushort v0, v[21:22], off offset:768
	v_mov_b32_e32 v17, 0
	v_mov_b32_e32 v51, 0
	v_mov_b32_e32 v58, 0
	s_waitcnt vmcnt(0)
	v_and_b32_e32 v23, 0xffff, v0
	v_cmp_ne_u16_sdwa s[6:7], v0, v17 src0_sel:BYTE_0 src1_sel:DWORD
	s_and_saveexec_b64 s[42:43], s[6:7]
	s_cbranch_execz .LBB298_96
; %bb.91:                               ;   in Loop: Header=BB298_13 Depth=1
	v_cmp_ne_u16_sdwa s[6:7], v23, s54 src0_sel:BYTE_0 src1_sel:DWORD
	v_bfrev_b32_e32 v58, 1
	s_and_saveexec_b64 s[44:45], s[6:7]
	s_cbranch_execz .LBB298_95
; %bb.92:                               ;   in Loop: Header=BB298_13 Depth=1
	v_and_b32_e32 v0, 0x7f, v23
	v_cmp_ne_u32_e64 s[6:7], s55, v0
	v_mov_b32_e32 v58, 0x7f800001
	s_and_saveexec_b64 s[46:47], s[6:7]
	s_cbranch_execz .LBB298_94
; %bb.93:                               ;   in Loop: Header=BB298_13 Depth=1
	v_and_b32_e32 v24, 7, v23
	v_ffbh_u32_e32 v17, v24
	v_min_u32_e32 v28, 32, v17
	v_subrev_u32_e32 v17, 28, v28
	v_lshlrev_b64 v[17:18], v17, v[23:24]
	v_lshrrev_b32_e32 v27, 3, v0
	v_sub_u32_e32 v18, 29, v28
	v_and_b32_e32 v17, 7, v17
	v_cmp_gt_u32_e64 s[6:7], 8, v0
	v_cndmask_b32_e64 v0, v27, v18, s[6:7]
	v_cndmask_b32_e64 v17, v24, v17, s[6:7]
	v_lshlrev_b32_e32 v18, 24, v23
	v_bfrev_b32_e32 v24, 60
	v_lshlrev_b32_e32 v17, 20, v17
	v_and_b32_e32 v18, 0x80000000, v18
	v_lshl_add_u32 v0, v0, 23, v24
	v_or3_b32 v58, v18, v0, v17
.LBB298_94:                             ;   in Loop: Header=BB298_13 Depth=1
	s_or_b64 exec, exec, s[46:47]
.LBB298_95:                             ;   in Loop: Header=BB298_13 Depth=1
	s_or_b64 exec, exec, s[44:45]
.LBB298_96:                             ;   in Loop: Header=BB298_13 Depth=1
	s_or_b64 exec, exec, s[42:43]
	v_lshrrev_b16_e32 v24, 8, v23
	v_cmp_ne_u16_e64 s[6:7], 0, v24
	s_and_saveexec_b64 s[42:43], s[6:7]
	s_cbranch_execz .LBB298_102
; %bb.97:                               ;   in Loop: Header=BB298_13 Depth=1
	v_cmp_ne_u16_e64 s[6:7], s54, v24
	v_bfrev_b32_e32 v51, 1
	s_and_saveexec_b64 s[44:45], s[6:7]
	s_cbranch_execz .LBB298_101
; %bb.98:                               ;   in Loop: Header=BB298_13 Depth=1
	v_and_b32_e32 v0, 0x7f, v24
	v_cmp_ne_u32_e64 s[6:7], s55, v0
	v_mov_b32_e32 v51, 0x7f800001
	s_and_saveexec_b64 s[46:47], s[6:7]
	s_cbranch_execz .LBB298_100
; %bb.99:                               ;   in Loop: Header=BB298_13 Depth=1
	v_and_b32_e32 v27, 7, v24
	v_ffbh_u32_e32 v17, v27
	v_min_u32_e32 v29, 32, v17
	v_subrev_u32_e32 v17, 28, v29
	v_lshlrev_b64 v[17:18], v17, v[24:25]
	v_lshrrev_b32_e32 v28, 3, v0
	v_sub_u32_e32 v18, 29, v29
	v_and_b32_e32 v17, 7, v17
	v_cmp_gt_u32_e64 s[6:7], 8, v0
	v_cndmask_b32_e64 v0, v28, v18, s[6:7]
	v_cndmask_b32_e64 v17, v27, v17, s[6:7]
	v_lshlrev_b32_e32 v18, 16, v23
	v_bfrev_b32_e32 v23, 60
	v_lshlrev_b32_e32 v17, 20, v17
	v_and_b32_e32 v18, 0x80000000, v18
	v_lshl_add_u32 v0, v0, 23, v23
	v_or3_b32 v51, v18, v0, v17
.LBB298_100:                            ;   in Loop: Header=BB298_13 Depth=1
	s_or_b64 exec, exec, s[46:47]
.LBB298_101:                            ;   in Loop: Header=BB298_13 Depth=1
	s_or_b64 exec, exec, s[44:45]
.LBB298_102:                            ;   in Loop: Header=BB298_13 Depth=1
	s_or_b64 exec, exec, s[42:43]
	global_load_ushort v0, v[21:22], off offset:776
	v_mov_b32_e32 v17, 0
	v_mov_b32_e32 v52, 0
	;; [unrolled: 1-line block ×3, first 2 shown]
	s_waitcnt vmcnt(0)
	v_and_b32_e32 v23, 0xffff, v0
	v_cmp_ne_u16_sdwa s[6:7], v0, v17 src0_sel:BYTE_0 src1_sel:DWORD
	s_and_saveexec_b64 s[42:43], s[6:7]
	s_cbranch_execz .LBB298_108
; %bb.103:                              ;   in Loop: Header=BB298_13 Depth=1
	v_cmp_ne_u16_sdwa s[6:7], v23, s54 src0_sel:BYTE_0 src1_sel:DWORD
	v_bfrev_b32_e32 v62, 1
	s_and_saveexec_b64 s[44:45], s[6:7]
	s_cbranch_execz .LBB298_107
; %bb.104:                              ;   in Loop: Header=BB298_13 Depth=1
	v_and_b32_e32 v0, 0x7f, v23
	v_cmp_ne_u32_e64 s[6:7], s55, v0
	v_mov_b32_e32 v62, 0x7f800001
	s_and_saveexec_b64 s[46:47], s[6:7]
	s_cbranch_execz .LBB298_106
; %bb.105:                              ;   in Loop: Header=BB298_13 Depth=1
	v_and_b32_e32 v24, 7, v23
	v_ffbh_u32_e32 v17, v24
	v_min_u32_e32 v28, 32, v17
	v_subrev_u32_e32 v17, 28, v28
	v_lshlrev_b64 v[17:18], v17, v[23:24]
	v_lshrrev_b32_e32 v27, 3, v0
	v_sub_u32_e32 v18, 29, v28
	v_and_b32_e32 v17, 7, v17
	v_cmp_gt_u32_e64 s[6:7], 8, v0
	v_cndmask_b32_e64 v0, v27, v18, s[6:7]
	v_cndmask_b32_e64 v17, v24, v17, s[6:7]
	v_lshlrev_b32_e32 v18, 24, v23
	v_bfrev_b32_e32 v24, 60
	v_lshlrev_b32_e32 v17, 20, v17
	v_and_b32_e32 v18, 0x80000000, v18
	v_lshl_add_u32 v0, v0, 23, v24
	v_or3_b32 v62, v18, v0, v17
.LBB298_106:                            ;   in Loop: Header=BB298_13 Depth=1
	s_or_b64 exec, exec, s[46:47]
.LBB298_107:                            ;   in Loop: Header=BB298_13 Depth=1
	s_or_b64 exec, exec, s[44:45]
.LBB298_108:                            ;   in Loop: Header=BB298_13 Depth=1
	s_or_b64 exec, exec, s[42:43]
	v_lshrrev_b16_e32 v24, 8, v23
	v_cmp_ne_u16_e64 s[6:7], 0, v24
	s_and_saveexec_b64 s[42:43], s[6:7]
	s_cbranch_execz .LBB298_114
; %bb.109:                              ;   in Loop: Header=BB298_13 Depth=1
	v_cmp_ne_u16_e64 s[6:7], s54, v24
	v_bfrev_b32_e32 v52, 1
	s_and_saveexec_b64 s[44:45], s[6:7]
	s_cbranch_execz .LBB298_113
; %bb.110:                              ;   in Loop: Header=BB298_13 Depth=1
	v_and_b32_e32 v0, 0x7f, v24
	v_cmp_ne_u32_e64 s[6:7], s55, v0
	v_mov_b32_e32 v52, 0x7f800001
	s_and_saveexec_b64 s[46:47], s[6:7]
	s_cbranch_execz .LBB298_112
; %bb.111:                              ;   in Loop: Header=BB298_13 Depth=1
	v_and_b32_e32 v27, 7, v24
	v_ffbh_u32_e32 v17, v27
	v_min_u32_e32 v29, 32, v17
	v_subrev_u32_e32 v17, 28, v29
	v_lshlrev_b64 v[17:18], v17, v[24:25]
	v_lshrrev_b32_e32 v28, 3, v0
	v_sub_u32_e32 v18, 29, v29
	v_and_b32_e32 v17, 7, v17
	v_cmp_gt_u32_e64 s[6:7], 8, v0
	v_cndmask_b32_e64 v0, v28, v18, s[6:7]
	v_cndmask_b32_e64 v17, v27, v17, s[6:7]
	v_lshlrev_b32_e32 v18, 16, v23
	v_bfrev_b32_e32 v23, 60
	v_lshlrev_b32_e32 v17, 20, v17
	v_and_b32_e32 v18, 0x80000000, v18
	v_lshl_add_u32 v0, v0, 23, v23
	v_or3_b32 v52, v18, v0, v17
.LBB298_112:                            ;   in Loop: Header=BB298_13 Depth=1
	s_or_b64 exec, exec, s[46:47]
.LBB298_113:                            ;   in Loop: Header=BB298_13 Depth=1
	s_or_b64 exec, exec, s[44:45]
.LBB298_114:                            ;   in Loop: Header=BB298_13 Depth=1
	s_or_b64 exec, exec, s[42:43]
	global_load_ushort v0, v[21:22], off offset:1024
	v_mov_b32_e32 v17, 0
	v_mov_b32_e32 v53, 0
	;; [unrolled: 1-line block ×3, first 2 shown]
	s_waitcnt vmcnt(0)
	v_and_b32_e32 v23, 0xffff, v0
	v_cmp_ne_u16_sdwa s[6:7], v0, v17 src0_sel:BYTE_0 src1_sel:DWORD
	s_and_saveexec_b64 s[42:43], s[6:7]
	s_cbranch_execz .LBB298_120
; %bb.115:                              ;   in Loop: Header=BB298_13 Depth=1
	v_cmp_ne_u16_sdwa s[6:7], v23, s54 src0_sel:BYTE_0 src1_sel:DWORD
	v_bfrev_b32_e32 v36, 1
	s_and_saveexec_b64 s[44:45], s[6:7]
	s_cbranch_execz .LBB298_119
; %bb.116:                              ;   in Loop: Header=BB298_13 Depth=1
	v_and_b32_e32 v0, 0x7f, v23
	v_cmp_ne_u32_e64 s[6:7], s55, v0
	v_mov_b32_e32 v36, 0x7f800001
	s_and_saveexec_b64 s[46:47], s[6:7]
	s_cbranch_execz .LBB298_118
; %bb.117:                              ;   in Loop: Header=BB298_13 Depth=1
	v_and_b32_e32 v24, 7, v23
	v_ffbh_u32_e32 v17, v24
	v_min_u32_e32 v28, 32, v17
	v_subrev_u32_e32 v17, 28, v28
	v_lshlrev_b64 v[17:18], v17, v[23:24]
	v_lshrrev_b32_e32 v27, 3, v0
	v_sub_u32_e32 v18, 29, v28
	v_and_b32_e32 v17, 7, v17
	v_cmp_gt_u32_e64 s[6:7], 8, v0
	v_cndmask_b32_e64 v0, v27, v18, s[6:7]
	v_cndmask_b32_e64 v17, v24, v17, s[6:7]
	v_lshlrev_b32_e32 v18, 24, v23
	v_bfrev_b32_e32 v24, 60
	v_lshlrev_b32_e32 v17, 20, v17
	v_and_b32_e32 v18, 0x80000000, v18
	v_lshl_add_u32 v0, v0, 23, v24
	v_or3_b32 v36, v18, v0, v17
.LBB298_118:                            ;   in Loop: Header=BB298_13 Depth=1
	s_or_b64 exec, exec, s[46:47]
.LBB298_119:                            ;   in Loop: Header=BB298_13 Depth=1
	s_or_b64 exec, exec, s[44:45]
.LBB298_120:                            ;   in Loop: Header=BB298_13 Depth=1
	s_or_b64 exec, exec, s[42:43]
	v_lshrrev_b16_e32 v24, 8, v23
	v_cmp_ne_u16_e64 s[6:7], 0, v24
	s_and_saveexec_b64 s[42:43], s[6:7]
	s_cbranch_execz .LBB298_126
; %bb.121:                              ;   in Loop: Header=BB298_13 Depth=1
	v_cmp_ne_u16_e64 s[6:7], s54, v24
	v_bfrev_b32_e32 v53, 1
	s_and_saveexec_b64 s[44:45], s[6:7]
	s_cbranch_execz .LBB298_125
; %bb.122:                              ;   in Loop: Header=BB298_13 Depth=1
	v_and_b32_e32 v0, 0x7f, v24
	v_cmp_ne_u32_e64 s[6:7], s55, v0
	v_mov_b32_e32 v53, 0x7f800001
	s_and_saveexec_b64 s[46:47], s[6:7]
	s_cbranch_execz .LBB298_124
; %bb.123:                              ;   in Loop: Header=BB298_13 Depth=1
	v_and_b32_e32 v27, 7, v24
	v_lshrrev_b32_e32 v28, 3, v0
	v_cmp_gt_u32_e64 s[6:7], 8, v0
	v_ffbh_u32_e32 v0, v27
	v_min_u32_e32 v0, 32, v0
	v_subrev_u32_e32 v17, 28, v0
	v_lshlrev_b64 v[17:18], v17, v[24:25]
	v_sub_u32_e32 v0, 29, v0
	v_and_b32_e32 v17, 7, v17
	v_cndmask_b32_e64 v0, v28, v0, s[6:7]
	v_cndmask_b32_e64 v17, v27, v17, s[6:7]
	v_lshlrev_b32_e32 v18, 16, v23
	v_bfrev_b32_e32 v23, 60
	v_lshlrev_b32_e32 v17, 20, v17
	v_and_b32_e32 v18, 0x80000000, v18
	v_lshl_add_u32 v0, v0, 23, v23
	v_or3_b32 v53, v18, v0, v17
.LBB298_124:                            ;   in Loop: Header=BB298_13 Depth=1
	s_or_b64 exec, exec, s[46:47]
.LBB298_125:                            ;   in Loop: Header=BB298_13 Depth=1
	s_or_b64 exec, exec, s[44:45]
.LBB298_126:                            ;   in Loop: Header=BB298_13 Depth=1
	s_or_b64 exec, exec, s[42:43]
	global_load_ushort v0, v[21:22], off offset:1032
	v_mov_b32_e32 v17, 0
	v_mov_b32_e32 v26, 0
	;; [unrolled: 1-line block ×3, first 2 shown]
	s_waitcnt vmcnt(0)
	v_and_b32_e32 v23, 0xffff, v0
	v_cmp_ne_u16_sdwa s[6:7], v0, v17 src0_sel:BYTE_0 src1_sel:DWORD
	s_and_saveexec_b64 s[42:43], s[6:7]
	s_cbranch_execz .LBB298_132
; %bb.127:                              ;   in Loop: Header=BB298_13 Depth=1
	v_cmp_ne_u16_sdwa s[6:7], v23, s54 src0_sel:BYTE_0 src1_sel:DWORD
	v_bfrev_b32_e32 v63, 1
	s_and_saveexec_b64 s[44:45], s[6:7]
	s_cbranch_execz .LBB298_131
; %bb.128:                              ;   in Loop: Header=BB298_13 Depth=1
	v_and_b32_e32 v0, 0x7f, v23
	v_cmp_ne_u32_e64 s[6:7], s55, v0
	v_mov_b32_e32 v63, 0x7f800001
	s_and_saveexec_b64 s[46:47], s[6:7]
	s_cbranch_execz .LBB298_130
; %bb.129:                              ;   in Loop: Header=BB298_13 Depth=1
	v_and_b32_e32 v24, 7, v23
	v_lshrrev_b32_e32 v27, 3, v0
	v_cmp_gt_u32_e64 s[6:7], 8, v0
	v_ffbh_u32_e32 v0, v24
	v_min_u32_e32 v0, 32, v0
	v_subrev_u32_e32 v17, 28, v0
	v_lshlrev_b64 v[17:18], v17, v[23:24]
	v_sub_u32_e32 v0, 29, v0
	v_and_b32_e32 v17, 7, v17
	v_cndmask_b32_e64 v0, v27, v0, s[6:7]
	v_cndmask_b32_e64 v17, v24, v17, s[6:7]
	v_lshlrev_b32_e32 v18, 24, v23
	v_bfrev_b32_e32 v24, 60
	v_lshlrev_b32_e32 v17, 20, v17
	v_and_b32_e32 v18, 0x80000000, v18
	v_lshl_add_u32 v0, v0, 23, v24
	v_or3_b32 v63, v18, v0, v17
.LBB298_130:                            ;   in Loop: Header=BB298_13 Depth=1
	s_or_b64 exec, exec, s[46:47]
.LBB298_131:                            ;   in Loop: Header=BB298_13 Depth=1
	s_or_b64 exec, exec, s[44:45]
.LBB298_132:                            ;   in Loop: Header=BB298_13 Depth=1
	s_or_b64 exec, exec, s[42:43]
	v_lshrrev_b16_e32 v24, 8, v23
	v_cmp_ne_u16_e64 s[6:7], 0, v24
	s_and_saveexec_b64 s[42:43], s[6:7]
	s_cbranch_execz .LBB298_138
; %bb.133:                              ;   in Loop: Header=BB298_13 Depth=1
	v_cmp_ne_u16_e64 s[6:7], s54, v24
	v_bfrev_b32_e32 v26, 1
	s_and_saveexec_b64 s[44:45], s[6:7]
	s_cbranch_execz .LBB298_137
; %bb.134:                              ;   in Loop: Header=BB298_13 Depth=1
	v_and_b32_e32 v0, 0x7f, v24
	v_cmp_ne_u32_e64 s[6:7], s55, v0
	v_mov_b32_e32 v26, 0x7f800001
	s_and_saveexec_b64 s[46:47], s[6:7]
	s_cbranch_execz .LBB298_136
; %bb.135:                              ;   in Loop: Header=BB298_13 Depth=1
	v_and_b32_e32 v27, 7, v24
	v_lshrrev_b32_e32 v28, 3, v0
	v_cmp_gt_u32_e64 s[6:7], 8, v0
	v_ffbh_u32_e32 v0, v27
	v_min_u32_e32 v0, 32, v0
	v_subrev_u32_e32 v17, 28, v0
	v_lshlrev_b64 v[17:18], v17, v[24:25]
	v_sub_u32_e32 v0, 29, v0
	v_and_b32_e32 v17, 7, v17
	v_cndmask_b32_e64 v0, v28, v0, s[6:7]
	v_cndmask_b32_e64 v17, v27, v17, s[6:7]
	v_lshlrev_b32_e32 v18, 16, v23
	v_bfrev_b32_e32 v23, 60
	v_lshlrev_b32_e32 v17, 20, v17
	v_and_b32_e32 v18, 0x80000000, v18
	v_lshl_add_u32 v0, v0, 23, v23
	v_or3_b32 v26, v18, v0, v17
.LBB298_136:                            ;   in Loop: Header=BB298_13 Depth=1
	s_or_b64 exec, exec, s[46:47]
.LBB298_137:                            ;   in Loop: Header=BB298_13 Depth=1
	s_or_b64 exec, exec, s[44:45]
.LBB298_138:                            ;   in Loop: Header=BB298_13 Depth=1
	s_or_b64 exec, exec, s[42:43]
	global_load_ushort v0, v[21:22], off offset:1280
	v_mov_b32_e32 v17, 0
	v_mov_b32_e32 v60, 0
	;; [unrolled: 1-line block ×3, first 2 shown]
	s_waitcnt vmcnt(0)
	v_and_b32_e32 v23, 0xffff, v0
	v_cmp_ne_u16_sdwa s[6:7], v0, v17 src0_sel:BYTE_0 src1_sel:DWORD
	s_and_saveexec_b64 s[42:43], s[6:7]
	s_cbranch_execz .LBB298_144
; %bb.139:                              ;   in Loop: Header=BB298_13 Depth=1
	v_cmp_ne_u16_sdwa s[6:7], v23, s54 src0_sel:BYTE_0 src1_sel:DWORD
	v_bfrev_b32_e32 v61, 1
	s_and_saveexec_b64 s[44:45], s[6:7]
	s_cbranch_execz .LBB298_143
; %bb.140:                              ;   in Loop: Header=BB298_13 Depth=1
	v_and_b32_e32 v0, 0x7f, v23
	v_cmp_ne_u32_e64 s[6:7], s55, v0
	v_mov_b32_e32 v61, 0x7f800001
	s_and_saveexec_b64 s[46:47], s[6:7]
	s_cbranch_execz .LBB298_142
; %bb.141:                              ;   in Loop: Header=BB298_13 Depth=1
	v_and_b32_e32 v24, 7, v23
	v_lshrrev_b32_e32 v27, 3, v0
	v_cmp_gt_u32_e64 s[6:7], 8, v0
	v_ffbh_u32_e32 v0, v24
	v_min_u32_e32 v0, 32, v0
	v_subrev_u32_e32 v17, 28, v0
	v_lshlrev_b64 v[17:18], v17, v[23:24]
	v_sub_u32_e32 v0, 29, v0
	v_and_b32_e32 v17, 7, v17
	v_cndmask_b32_e64 v0, v27, v0, s[6:7]
	v_cndmask_b32_e64 v17, v24, v17, s[6:7]
	v_lshlrev_b32_e32 v18, 24, v23
	v_bfrev_b32_e32 v24, 60
	v_lshlrev_b32_e32 v17, 20, v17
	v_and_b32_e32 v18, 0x80000000, v18
	v_lshl_add_u32 v0, v0, 23, v24
	v_or3_b32 v61, v18, v0, v17
.LBB298_142:                            ;   in Loop: Header=BB298_13 Depth=1
	s_or_b64 exec, exec, s[46:47]
.LBB298_143:                            ;   in Loop: Header=BB298_13 Depth=1
	s_or_b64 exec, exec, s[44:45]
.LBB298_144:                            ;   in Loop: Header=BB298_13 Depth=1
	s_or_b64 exec, exec, s[42:43]
	v_lshrrev_b16_e32 v24, 8, v23
	v_cmp_ne_u16_e64 s[6:7], 0, v24
	s_and_saveexec_b64 s[42:43], s[6:7]
	s_cbranch_execz .LBB298_150
; %bb.145:                              ;   in Loop: Header=BB298_13 Depth=1
	v_cmp_ne_u16_e64 s[6:7], s54, v24
	v_bfrev_b32_e32 v60, 1
	s_and_saveexec_b64 s[44:45], s[6:7]
	s_cbranch_execz .LBB298_149
; %bb.146:                              ;   in Loop: Header=BB298_13 Depth=1
	v_and_b32_e32 v0, 0x7f, v24
	v_cmp_ne_u32_e64 s[6:7], s55, v0
	v_mov_b32_e32 v60, 0x7f800001
	s_and_saveexec_b64 s[46:47], s[6:7]
	s_cbranch_execz .LBB298_148
; %bb.147:                              ;   in Loop: Header=BB298_13 Depth=1
	v_and_b32_e32 v27, 7, v24
	v_lshrrev_b32_e32 v28, 3, v0
	v_cmp_gt_u32_e64 s[6:7], 8, v0
	v_ffbh_u32_e32 v0, v27
	v_min_u32_e32 v0, 32, v0
	v_subrev_u32_e32 v17, 28, v0
	v_lshlrev_b64 v[17:18], v17, v[24:25]
	v_sub_u32_e32 v0, 29, v0
	v_and_b32_e32 v17, 7, v17
	v_cndmask_b32_e64 v0, v28, v0, s[6:7]
	v_cndmask_b32_e64 v17, v27, v17, s[6:7]
	v_lshlrev_b32_e32 v18, 16, v23
	v_bfrev_b32_e32 v23, 60
	v_lshlrev_b32_e32 v17, 20, v17
	v_and_b32_e32 v18, 0x80000000, v18
	v_lshl_add_u32 v0, v0, 23, v23
	v_or3_b32 v60, v18, v0, v17
.LBB298_148:                            ;   in Loop: Header=BB298_13 Depth=1
	s_or_b64 exec, exec, s[46:47]
.LBB298_149:                            ;   in Loop: Header=BB298_13 Depth=1
	s_or_b64 exec, exec, s[44:45]
.LBB298_150:                            ;   in Loop: Header=BB298_13 Depth=1
	s_or_b64 exec, exec, s[42:43]
	global_load_ushort v0, v[21:22], off offset:1288
	v_mov_b32_e32 v17, 0
	v_mov_b32_e32 v59, 0
	;; [unrolled: 1-line block ×3, first 2 shown]
	s_waitcnt vmcnt(0)
	v_and_b32_e32 v23, 0xffff, v0
	v_cmp_ne_u16_sdwa s[6:7], v0, v17 src0_sel:BYTE_0 src1_sel:DWORD
	s_and_saveexec_b64 s[42:43], s[6:7]
	s_cbranch_execz .LBB298_156
; %bb.151:                              ;   in Loop: Header=BB298_13 Depth=1
	v_cmp_ne_u16_sdwa s[6:7], v23, s54 src0_sel:BYTE_0 src1_sel:DWORD
	v_bfrev_b32_e32 v25, 1
	s_and_saveexec_b64 s[44:45], s[6:7]
	s_cbranch_execz .LBB298_155
; %bb.152:                              ;   in Loop: Header=BB298_13 Depth=1
	v_and_b32_e32 v0, 0x7f, v23
	v_cmp_ne_u32_e64 s[6:7], s55, v0
	v_mov_b32_e32 v25, 0x7f800001
	s_and_saveexec_b64 s[46:47], s[6:7]
	s_cbranch_execz .LBB298_154
; %bb.153:                              ;   in Loop: Header=BB298_13 Depth=1
	v_and_b32_e32 v24, 7, v23
	v_lshrrev_b32_e32 v27, 3, v0
	v_cmp_gt_u32_e64 s[6:7], 8, v0
	v_ffbh_u32_e32 v0, v24
	v_min_u32_e32 v0, 32, v0
	v_subrev_u32_e32 v17, 28, v0
	v_lshlrev_b64 v[17:18], v17, v[23:24]
	v_sub_u32_e32 v0, 29, v0
	v_and_b32_e32 v17, 7, v17
	v_cndmask_b32_e64 v0, v27, v0, s[6:7]
	v_cndmask_b32_e64 v17, v24, v17, s[6:7]
	v_lshlrev_b32_e32 v18, 24, v23
	v_bfrev_b32_e32 v24, 60
	v_lshlrev_b32_e32 v17, 20, v17
	v_and_b32_e32 v18, 0x80000000, v18
	v_lshl_add_u32 v0, v0, 23, v24
	v_or3_b32 v25, v18, v0, v17
.LBB298_154:                            ;   in Loop: Header=BB298_13 Depth=1
	s_or_b64 exec, exec, s[46:47]
.LBB298_155:                            ;   in Loop: Header=BB298_13 Depth=1
	s_or_b64 exec, exec, s[44:45]
.LBB298_156:                            ;   in Loop: Header=BB298_13 Depth=1
	s_or_b64 exec, exec, s[42:43]
	v_lshrrev_b16_e32 v24, 8, v23
	v_cmp_ne_u16_e64 s[6:7], 0, v24
	s_and_saveexec_b64 s[42:43], s[6:7]
	s_cbranch_execz .LBB298_162
; %bb.157:                              ;   in Loop: Header=BB298_13 Depth=1
	v_cmp_ne_u16_e64 s[6:7], s54, v24
	v_bfrev_b32_e32 v59, 1
	s_and_saveexec_b64 s[44:45], s[6:7]
	s_cbranch_execz .LBB298_161
; %bb.158:                              ;   in Loop: Header=BB298_13 Depth=1
	v_and_b32_e32 v0, 0x7f, v24
	v_cmp_ne_u32_e64 s[6:7], s55, v0
	v_mov_b32_e32 v59, 0x7f800001
	s_and_saveexec_b64 s[46:47], s[6:7]
	s_cbranch_execz .LBB298_160
; %bb.159:                              ;   in Loop: Header=BB298_13 Depth=1
	v_and_b32_e32 v27, 7, v24
	v_lshrrev_b32_e32 v28, 3, v0
	v_cmp_gt_u32_e64 s[6:7], 8, v0
	v_ffbh_u32_e32 v0, v27
	v_min_u32_e32 v0, 32, v0
	v_subrev_u32_e32 v17, 28, v0
	v_lshlrev_b64 v[17:18], v17, v[24:25]
	v_sub_u32_e32 v0, 29, v0
	v_and_b32_e32 v17, 7, v17
	v_cndmask_b32_e64 v0, v28, v0, s[6:7]
	v_cndmask_b32_e64 v17, v27, v17, s[6:7]
	v_lshlrev_b32_e32 v18, 16, v23
	v_bfrev_b32_e32 v23, 60
	v_lshlrev_b32_e32 v17, 20, v17
	v_and_b32_e32 v18, 0x80000000, v18
	v_lshl_add_u32 v0, v0, 23, v23
	v_or3_b32 v59, v18, v0, v17
.LBB298_160:                            ;   in Loop: Header=BB298_13 Depth=1
	s_or_b64 exec, exec, s[46:47]
.LBB298_161:                            ;   in Loop: Header=BB298_13 Depth=1
	s_or_b64 exec, exec, s[44:45]
.LBB298_162:                            ;   in Loop: Header=BB298_13 Depth=1
	s_or_b64 exec, exec, s[42:43]
	global_load_ushort v0, v[21:22], off offset:1536
	v_mov_b32_e32 v17, 0
	v_mov_b32_e32 v28, 0
	;; [unrolled: 1-line block ×3, first 2 shown]
	s_waitcnt vmcnt(0)
	v_and_b32_e32 v23, 0xffff, v0
	v_cmp_ne_u16_sdwa s[6:7], v0, v17 src0_sel:BYTE_0 src1_sel:DWORD
	s_and_saveexec_b64 s[42:43], s[6:7]
	s_cbranch_execz .LBB298_168
; %bb.163:                              ;   in Loop: Header=BB298_13 Depth=1
	v_cmp_ne_u16_sdwa s[6:7], v23, s54 src0_sel:BYTE_0 src1_sel:DWORD
	v_bfrev_b32_e32 v27, 1
	s_and_saveexec_b64 s[44:45], s[6:7]
	s_cbranch_execz .LBB298_167
; %bb.164:                              ;   in Loop: Header=BB298_13 Depth=1
	v_and_b32_e32 v0, 0x7f, v23
	v_cmp_ne_u32_e64 s[6:7], s55, v0
	v_mov_b32_e32 v27, 0x7f800001
	s_and_saveexec_b64 s[46:47], s[6:7]
	s_cbranch_execz .LBB298_166
; %bb.165:                              ;   in Loop: Header=BB298_13 Depth=1
	v_and_b32_e32 v24, 7, v23
	v_lshrrev_b32_e32 v27, 3, v0
	v_cmp_gt_u32_e64 s[6:7], 8, v0
	v_ffbh_u32_e32 v0, v24
	v_min_u32_e32 v0, 32, v0
	v_subrev_u32_e32 v17, 28, v0
	v_lshlrev_b64 v[17:18], v17, v[23:24]
	v_sub_u32_e32 v0, 29, v0
	v_and_b32_e32 v17, 7, v17
	v_cndmask_b32_e64 v0, v27, v0, s[6:7]
	v_cndmask_b32_e64 v17, v24, v17, s[6:7]
	v_lshlrev_b32_e32 v18, 24, v23
	v_bfrev_b32_e32 v24, 60
	v_lshlrev_b32_e32 v17, 20, v17
	v_and_b32_e32 v18, 0x80000000, v18
	v_lshl_add_u32 v0, v0, 23, v24
	v_or3_b32 v27, v18, v0, v17
.LBB298_166:                            ;   in Loop: Header=BB298_13 Depth=1
	s_or_b64 exec, exec, s[46:47]
.LBB298_167:                            ;   in Loop: Header=BB298_13 Depth=1
	s_or_b64 exec, exec, s[44:45]
.LBB298_168:                            ;   in Loop: Header=BB298_13 Depth=1
	s_or_b64 exec, exec, s[42:43]
	v_lshrrev_b16_e32 v24, 8, v23
	v_cmp_ne_u16_e64 s[6:7], 0, v24
	s_and_saveexec_b64 s[42:43], s[6:7]
	s_cbranch_execz .LBB298_174
; %bb.169:                              ;   in Loop: Header=BB298_13 Depth=1
	v_cmp_ne_u16_e64 s[6:7], s54, v24
	v_bfrev_b32_e32 v28, 1
	s_and_saveexec_b64 s[44:45], s[6:7]
	s_cbranch_execz .LBB298_173
; %bb.170:                              ;   in Loop: Header=BB298_13 Depth=1
	v_and_b32_e32 v0, 0x7f, v24
	v_cmp_ne_u32_e64 s[6:7], s55, v0
	v_mov_b32_e32 v28, 0x7f800001
	s_and_saveexec_b64 s[46:47], s[6:7]
	s_cbranch_execz .LBB298_172
; %bb.171:                              ;   in Loop: Header=BB298_13 Depth=1
	v_and_b32_e32 v28, 7, v24
	v_lshrrev_b32_e32 v29, 3, v0
	v_cmp_gt_u32_e64 s[6:7], 8, v0
	v_ffbh_u32_e32 v0, v28
	v_min_u32_e32 v0, 32, v0
	v_subrev_u32_e32 v17, 28, v0
	v_lshlrev_b64 v[17:18], v17, v[24:25]
	v_sub_u32_e32 v0, 29, v0
	v_and_b32_e32 v17, 7, v17
	v_cndmask_b32_e64 v0, v29, v0, s[6:7]
	v_cndmask_b32_e64 v17, v28, v17, s[6:7]
	v_lshlrev_b32_e32 v18, 16, v23
	v_bfrev_b32_e32 v23, 60
	v_lshlrev_b32_e32 v17, 20, v17
	v_and_b32_e32 v18, 0x80000000, v18
	v_lshl_add_u32 v0, v0, 23, v23
	v_or3_b32 v28, v18, v0, v17
.LBB298_172:                            ;   in Loop: Header=BB298_13 Depth=1
	s_or_b64 exec, exec, s[46:47]
.LBB298_173:                            ;   in Loop: Header=BB298_13 Depth=1
	s_or_b64 exec, exec, s[44:45]
.LBB298_174:                            ;   in Loop: Header=BB298_13 Depth=1
	s_or_b64 exec, exec, s[42:43]
	global_load_ushort v0, v[21:22], off offset:1544
	v_mov_b32_e32 v17, 0
	v_mov_b32_e32 v34, 0
	;; [unrolled: 1-line block ×3, first 2 shown]
	s_waitcnt vmcnt(0)
	v_and_b32_e32 v23, 0xffff, v0
	v_cmp_ne_u16_sdwa s[6:7], v0, v17 src0_sel:BYTE_0 src1_sel:DWORD
	s_and_saveexec_b64 s[42:43], s[6:7]
	s_cbranch_execz .LBB298_180
; %bb.175:                              ;   in Loop: Header=BB298_13 Depth=1
	v_cmp_ne_u16_sdwa s[6:7], v23, s54 src0_sel:BYTE_0 src1_sel:DWORD
	v_bfrev_b32_e32 v29, 1
	s_and_saveexec_b64 s[44:45], s[6:7]
	s_cbranch_execz .LBB298_179
; %bb.176:                              ;   in Loop: Header=BB298_13 Depth=1
	v_and_b32_e32 v0, 0x7f, v23
	v_cmp_ne_u32_e64 s[6:7], s55, v0
	v_mov_b32_e32 v29, 0x7f800001
	s_and_saveexec_b64 s[46:47], s[6:7]
	s_cbranch_execz .LBB298_178
; %bb.177:                              ;   in Loop: Header=BB298_13 Depth=1
	v_and_b32_e32 v24, 7, v23
	v_lshrrev_b32_e32 v29, 3, v0
	v_cmp_gt_u32_e64 s[6:7], 8, v0
	v_ffbh_u32_e32 v0, v24
	v_min_u32_e32 v0, 32, v0
	v_subrev_u32_e32 v17, 28, v0
	v_lshlrev_b64 v[17:18], v17, v[23:24]
	v_sub_u32_e32 v0, 29, v0
	v_and_b32_e32 v17, 7, v17
	v_cndmask_b32_e64 v0, v29, v0, s[6:7]
	v_cndmask_b32_e64 v17, v24, v17, s[6:7]
	v_lshlrev_b32_e32 v18, 24, v23
	v_bfrev_b32_e32 v24, 60
	v_lshlrev_b32_e32 v17, 20, v17
	v_and_b32_e32 v18, 0x80000000, v18
	v_lshl_add_u32 v0, v0, 23, v24
	v_or3_b32 v29, v18, v0, v17
.LBB298_178:                            ;   in Loop: Header=BB298_13 Depth=1
	s_or_b64 exec, exec, s[46:47]
.LBB298_179:                            ;   in Loop: Header=BB298_13 Depth=1
	s_or_b64 exec, exec, s[44:45]
.LBB298_180:                            ;   in Loop: Header=BB298_13 Depth=1
	s_or_b64 exec, exec, s[42:43]
	v_lshrrev_b16_e32 v24, 8, v23
	v_cmp_ne_u16_e64 s[6:7], 0, v24
	s_and_saveexec_b64 s[42:43], s[6:7]
	s_cbranch_execz .LBB298_186
; %bb.181:                              ;   in Loop: Header=BB298_13 Depth=1
	v_cmp_ne_u16_e64 s[6:7], s54, v24
	v_bfrev_b32_e32 v34, 1
	s_and_saveexec_b64 s[44:45], s[6:7]
	s_cbranch_execz .LBB298_185
; %bb.182:                              ;   in Loop: Header=BB298_13 Depth=1
	v_and_b32_e32 v0, 0x7f, v24
	v_cmp_ne_u32_e64 s[6:7], s55, v0
	v_mov_b32_e32 v34, 0x7f800001
	s_and_saveexec_b64 s[46:47], s[6:7]
	s_cbranch_execz .LBB298_184
; %bb.183:                              ;   in Loop: Header=BB298_13 Depth=1
	v_and_b32_e32 v31, 7, v24
	v_lshrrev_b32_e32 v32, 3, v0
	v_cmp_gt_u32_e64 s[6:7], 8, v0
	v_ffbh_u32_e32 v0, v31
	v_min_u32_e32 v0, 32, v0
	v_subrev_u32_e32 v17, 28, v0
	v_lshlrev_b64 v[17:18], v17, v[24:25]
	v_sub_u32_e32 v0, 29, v0
	v_and_b32_e32 v17, 7, v17
	v_cndmask_b32_e64 v0, v32, v0, s[6:7]
	v_cndmask_b32_e64 v17, v31, v17, s[6:7]
	v_lshlrev_b32_e32 v18, 16, v23
	v_bfrev_b32_e32 v23, 60
	v_lshlrev_b32_e32 v17, 20, v17
	v_and_b32_e32 v18, 0x80000000, v18
	v_lshl_add_u32 v0, v0, 23, v23
	v_or3_b32 v34, v18, v0, v17
.LBB298_184:                            ;   in Loop: Header=BB298_13 Depth=1
	s_or_b64 exec, exec, s[46:47]
.LBB298_185:                            ;   in Loop: Header=BB298_13 Depth=1
	s_or_b64 exec, exec, s[44:45]
.LBB298_186:                            ;   in Loop: Header=BB298_13 Depth=1
	s_or_b64 exec, exec, s[42:43]
	global_load_ushort v0, v[21:22], off offset:1792
	v_mov_b32_e32 v17, 0
	v_mov_b32_e32 v18, 0
	s_waitcnt vmcnt(0)
	v_and_b32_e32 v23, 0xffff, v0
	v_cmp_ne_u16_sdwa s[6:7], v0, v17 src0_sel:BYTE_0 src1_sel:DWORD
	v_mov_b32_e32 v17, 0
	s_and_saveexec_b64 s[42:43], s[6:7]
	s_cbranch_execz .LBB298_192
; %bb.187:                              ;   in Loop: Header=BB298_13 Depth=1
	v_cmp_ne_u16_sdwa s[6:7], v23, s54 src0_sel:BYTE_0 src1_sel:DWORD
	v_bfrev_b32_e32 v17, 1
	s_and_saveexec_b64 s[44:45], s[6:7]
	s_cbranch_execz .LBB298_191
; %bb.188:                              ;   in Loop: Header=BB298_13 Depth=1
	v_and_b32_e32 v0, 0x7f, v23
	v_cmp_ne_u32_e64 s[6:7], s55, v0
	v_mov_b32_e32 v17, 0x7f800001
	s_and_saveexec_b64 s[46:47], s[6:7]
	s_cbranch_execz .LBB298_190
; %bb.189:                              ;   in Loop: Header=BB298_13 Depth=1
	v_and_b32_e32 v17, 7, v23
	v_lshrrev_b32_e32 v24, 3, v0
	v_cmp_gt_u32_e64 s[6:7], 8, v0
	v_ffbh_u32_e32 v0, v17
	v_min_u32_e32 v0, 32, v0
	v_subrev_u32_e32 v31, 28, v0
	v_lshlrev_b64 v[31:32], v31, v[23:24]
	v_sub_u32_e32 v0, 29, v0
	v_and_b32_e32 v31, 7, v31
	v_cndmask_b32_e64 v0, v24, v0, s[6:7]
	v_cndmask_b32_e64 v17, v17, v31, s[6:7]
	v_lshlrev_b32_e32 v24, 24, v23
	v_bfrev_b32_e32 v30, 60
	v_lshlrev_b32_e32 v17, 20, v17
	v_and_b32_e32 v24, 0x80000000, v24
	v_lshl_add_u32 v0, v0, 23, v30
	v_or3_b32 v17, v24, v0, v17
.LBB298_190:                            ;   in Loop: Header=BB298_13 Depth=1
	s_or_b64 exec, exec, s[46:47]
.LBB298_191:                            ;   in Loop: Header=BB298_13 Depth=1
	s_or_b64 exec, exec, s[44:45]
.LBB298_192:                            ;   in Loop: Header=BB298_13 Depth=1
	s_or_b64 exec, exec, s[42:43]
	v_lshrrev_b16_e32 v24, 8, v23
	v_cmp_ne_u16_e64 s[6:7], 0, v24
	s_and_saveexec_b64 s[42:43], s[6:7]
	s_cbranch_execz .LBB298_198
; %bb.193:                              ;   in Loop: Header=BB298_13 Depth=1
	v_cmp_ne_u16_e64 s[6:7], s54, v24
	v_bfrev_b32_e32 v18, 1
	s_and_saveexec_b64 s[44:45], s[6:7]
	s_cbranch_execz .LBB298_197
; %bb.194:                              ;   in Loop: Header=BB298_13 Depth=1
	v_and_b32_e32 v0, 0x7f, v24
	v_cmp_ne_u32_e64 s[6:7], s55, v0
	v_mov_b32_e32 v18, 0x7f800001
	s_and_saveexec_b64 s[46:47], s[6:7]
	s_cbranch_execz .LBB298_196
; %bb.195:                              ;   in Loop: Header=BB298_13 Depth=1
	v_and_b32_e32 v18, 7, v24
	v_lshrrev_b32_e32 v37, 3, v0
	v_cmp_gt_u32_e64 s[6:7], 8, v0
	v_ffbh_u32_e32 v0, v18
	v_min_u32_e32 v0, 32, v0
	v_subrev_u32_e32 v31, 28, v0
	v_lshlrev_b64 v[31:32], v31, v[24:25]
	v_sub_u32_e32 v0, 29, v0
	v_and_b32_e32 v24, 7, v31
	v_cndmask_b32_e64 v0, v37, v0, s[6:7]
	v_cndmask_b32_e64 v18, v18, v24, s[6:7]
	v_lshlrev_b32_e32 v23, 16, v23
	v_bfrev_b32_e32 v24, 60
	v_lshlrev_b32_e32 v18, 20, v18
	v_and_b32_e32 v23, 0x80000000, v23
	v_lshl_add_u32 v0, v0, 23, v24
	v_or3_b32 v18, v23, v0, v18
.LBB298_196:                            ;   in Loop: Header=BB298_13 Depth=1
	s_or_b64 exec, exec, s[46:47]
.LBB298_197:                            ;   in Loop: Header=BB298_13 Depth=1
	s_or_b64 exec, exec, s[44:45]
.LBB298_198:                            ;   in Loop: Header=BB298_13 Depth=1
	s_or_b64 exec, exec, s[42:43]
	global_load_ushort v0, v[21:22], off offset:1800
	v_mov_b32_e32 v22, 0
	v_mov_b32_e32 v23, 0
	;; [unrolled: 1-line block ×3, first 2 shown]
	s_waitcnt vmcnt(0)
	v_and_b32_e32 v21, 0xffff, v0
	v_cmp_ne_u16_sdwa s[6:7], v0, v22 src0_sel:BYTE_0 src1_sel:DWORD
	s_and_saveexec_b64 s[42:43], s[6:7]
	s_cbranch_execz .LBB298_204
; %bb.199:                              ;   in Loop: Header=BB298_13 Depth=1
	v_cmp_ne_u16_sdwa s[6:7], v21, s54 src0_sel:BYTE_0 src1_sel:DWORD
	v_bfrev_b32_e32 v24, 1
	s_and_saveexec_b64 s[44:45], s[6:7]
	s_cbranch_execz .LBB298_203
; %bb.200:                              ;   in Loop: Header=BB298_13 Depth=1
	v_and_b32_e32 v0, 0x7f, v21
	v_cmp_ne_u32_e64 s[6:7], s55, v0
	v_mov_b32_e32 v24, 0x7f800001
	s_and_saveexec_b64 s[46:47], s[6:7]
	s_cbranch_execz .LBB298_202
; %bb.201:                              ;   in Loop: Header=BB298_13 Depth=1
	v_and_b32_e32 v22, 7, v21
	v_lshrrev_b32_e32 v24, 3, v0
	v_cmp_gt_u32_e64 s[6:7], 8, v0
	v_ffbh_u32_e32 v0, v22
	v_min_u32_e32 v0, 32, v0
	v_subrev_u32_e32 v31, 28, v0
	v_lshlrev_b64 v[31:32], v31, v[21:22]
	v_sub_u32_e32 v0, 29, v0
	v_and_b32_e32 v31, 7, v31
	v_cndmask_b32_e64 v0, v24, v0, s[6:7]
	v_cndmask_b32_e64 v22, v22, v31, s[6:7]
	v_lshlrev_b32_e32 v24, 24, v21
	v_bfrev_b32_e32 v30, 60
	v_lshlrev_b32_e32 v22, 20, v22
	v_and_b32_e32 v24, 0x80000000, v24
	v_lshl_add_u32 v0, v0, 23, v30
	v_or3_b32 v24, v24, v0, v22
.LBB298_202:                            ;   in Loop: Header=BB298_13 Depth=1
	s_or_b64 exec, exec, s[46:47]
.LBB298_203:                            ;   in Loop: Header=BB298_13 Depth=1
	s_or_b64 exec, exec, s[44:45]
.LBB298_204:                            ;   in Loop: Header=BB298_13 Depth=1
	s_or_b64 exec, exec, s[42:43]
	v_lshrrev_b16_e32 v22, 8, v21
	buffer_store_dword v62, off, s[60:63], 0 offset:40 ; 4-byte Folded Spill
	buffer_store_dword v51, off, s[60:63], 0 offset:36 ; 4-byte Folded Spill
	;; [unrolled: 1-line block ×5, first 2 shown]
	v_mov_b32_e32 v56, v48
	v_mov_b32_e32 v57, v47
	;; [unrolled: 1-line block ×6, first 2 shown]
	v_cmp_ne_u16_e64 s[6:7], 0, v22
	buffer_store_dword v44, off, s[60:63], 0 offset:16 ; 4-byte Folded Spill
	buffer_store_dword v43, off, s[60:63], 0 offset:12 ; 4-byte Folded Spill
	;; [unrolled: 1-line block ×3, first 2 shown]
	s_and_saveexec_b64 s[42:43], s[6:7]
	s_cbranch_execz .LBB298_210
; %bb.205:                              ;   in Loop: Header=BB298_13 Depth=1
	v_cmp_ne_u16_e64 s[6:7], s54, v22
	v_bfrev_b32_e32 v23, 1
	s_and_saveexec_b64 s[44:45], s[6:7]
	s_cbranch_execz .LBB298_209
; %bb.206:                              ;   in Loop: Header=BB298_13 Depth=1
	v_and_b32_e32 v0, 0x7f, v22
	v_cmp_ne_u32_e64 s[6:7], s55, v0
	v_mov_b32_e32 v23, 0x7f800001
	s_and_saveexec_b64 s[46:47], s[6:7]
	s_cbranch_execz .LBB298_208
; %bb.207:                              ;   in Loop: Header=BB298_13 Depth=1
	v_and_b32_e32 v31, 7, v22
	v_lshrrev_b32_e32 v32, 3, v0
	v_cmp_gt_u32_e64 s[6:7], 8, v0
	v_ffbh_u32_e32 v0, v31
	v_min_u32_e32 v0, 32, v0
	v_subrev_u32_e32 v23, 28, v0
	v_lshlrev_b64 v[22:23], v23, v[22:23]
	v_sub_u32_e32 v0, 29, v0
	v_and_b32_e32 v22, 7, v22
	v_cndmask_b32_e64 v0, v32, v0, s[6:7]
	v_cndmask_b32_e64 v22, v31, v22, s[6:7]
	v_lshlrev_b32_e32 v21, 16, v21
	v_bfrev_b32_e32 v23, 60
	v_lshlrev_b32_e32 v22, 20, v22
	v_and_b32_e32 v21, 0x80000000, v21
	v_lshl_add_u32 v0, v0, 23, v23
	v_or3_b32 v23, v21, v0, v22
.LBB298_208:                            ;   in Loop: Header=BB298_13 Depth=1
	s_or_b64 exec, exec, s[46:47]
.LBB298_209:                            ;   in Loop: Header=BB298_13 Depth=1
	s_or_b64 exec, exec, s[44:45]
.LBB298_210:                            ;   in Loop: Header=BB298_13 Depth=1
	s_or_b64 exec, exec, s[42:43]
	s_waitcnt lgkmcnt(0)
	v_lshlrev_b32_e32 v62, 16, v6
	v_lshlrev_b32_e32 v31, 16, v7
	;; [unrolled: 1-line block ×3, first 2 shown]
	v_and_b32_e32 v41, 0xffff0000, v6
	v_and_b32_e32 v38, 0xffff0000, v7
	;; [unrolled: 1-line block ×3, first 2 shown]
	v_lshlrev_b32_e32 v7, 16, v2
	v_lshlrev_b32_e32 v6, 16, v3
	v_and_b32_e32 v8, 0xffff0000, v2
	v_and_b32_e32 v2, 0xffff0000, v3
	v_mul_f32_e32 v3, s57, v51
	v_lshlrev_b32_e32 v45, 16, v16
	v_and_b32_e32 v44, 0xffff0000, v16
	v_lshlrev_b32_e32 v42, 16, v5
	v_and_b32_e32 v43, 0xffff0000, v5
	v_lshlrev_b32_e32 v22, 16, v9
	v_lshlrev_b32_e32 v16, 16, v10
	v_and_b32_e32 v0, 0xffff0000, v9
	v_and_b32_e32 v21, 0xffff0000, v10
	v_lshlrev_b32_e32 v9, 16, v1
	v_lshlrev_b32_e32 v5, 16, v4
	v_and_b32_e32 v10, 0xffff0000, v1
	v_and_b32_e32 v1, 0xffff0000, v4
	v_bfe_u32 v4, v3, 16, 1
	v_lshlrev_b32_e32 v48, 16, v13
	v_lshlrev_b32_e32 v49, 16, v14
	;; [unrolled: 1-line block ×3, first 2 shown]
	v_and_b32_e32 v30, 0xffff0000, v13
	v_and_b32_e32 v50, 0xffff0000, v14
	;; [unrolled: 1-line block ×3, first 2 shown]
	v_lshlrev_b32_e32 v14, 16, v11
	v_lshlrev_b32_e32 v13, 16, v12
	v_and_b32_e32 v15, 0xffff0000, v11
	v_and_b32_e32 v11, 0xffff0000, v12
	v_add3_u32 v4, v4, v3, s56
	v_or_b32_e32 v12, 0x400000, v3
	v_cmp_u_f32_e64 s[6:7], v3, v3
	v_cndmask_b32_e64 v3, v4, v12, s[6:7]
	v_mul_f32_e32 v4, s57, v57
	v_bfe_u32 v12, v4, 16, 1
	v_add3_u32 v12, v12, v4, s56
	v_or_b32_e32 v51, 0x400000, v4
	v_cmp_u_f32_e64 s[6:7], v4, v4
	v_cndmask_b32_e64 v4, v12, v51, s[6:7]
	v_and_b32_e32 v3, 0xffff0000, v3
	v_mul_f32_e32 v3, v49, v3
	v_and_b32_e32 v4, 0xffff0000, v4
	v_fmac_f32_e32 v3, v48, v4
	v_mul_f32_e32 v4, s57, v58
	v_bfe_u32 v12, v4, 16, 1
	v_add3_u32 v12, v12, v4, s56
	v_or_b32_e32 v48, 0x400000, v4
	v_cmp_u_f32_e64 s[6:7], v4, v4
	v_cndmask_b32_e64 v4, v12, v48, s[6:7]
	v_mul_f32_e32 v12, s57, v40
	v_bfe_u32 v48, v12, 16, 1
	v_add3_u32 v48, v48, v12, s56
	v_or_b32_e32 v49, 0x400000, v12
	v_cmp_u_f32_e64 s[6:7], v12, v12
	v_cndmask_b32_e64 v12, v48, v49, s[6:7]
	v_and_b32_e32 v4, 0xffff0000, v4
	v_mul_f32_e32 v4, v50, v4
	v_and_b32_e32 v12, 0xffff0000, v12
	v_fmac_f32_e32 v4, v30, v12
	v_mul_f32_e32 v12, s57, v55
	v_bfe_u32 v30, v12, 16, 1
	v_add3_u32 v30, v30, v12, s56
	v_or_b32_e32 v48, 0x400000, v12
	v_cmp_u_f32_e64 s[6:7], v12, v12
	v_cndmask_b32_e64 v12, v30, v48, s[6:7]
	v_and_b32_e32 v12, 0xffff0000, v12
	v_fmac_f32_e32 v3, v46, v12
	v_mul_f32_e32 v12, s57, v54
	v_bfe_u32 v30, v12, 16, 1
	v_add3_u32 v30, v30, v12, s56
	v_or_b32_e32 v46, 0x400000, v12
	v_cmp_u_f32_e64 s[6:7], v12, v12
	v_cndmask_b32_e64 v12, v30, v46, s[6:7]
	;; [unrolled: 8-line block ×3, first 2 shown]
	v_and_b32_e32 v12, 0xffff0000, v12
	v_fmac_f32_e32 v3, v45, v12
	v_mul_f32_e32 v12, s57, v24
	v_bfe_u32 v24, v12, 16, 1
	v_add3_u32 v24, v24, v12, s56
	v_or_b32_e32 v30, 0x400000, v12
	v_cmp_u_f32_e64 s[6:7], v12, v12
	v_mul_f32_e32 v18, s57, v18
	v_cndmask_b32_e64 v12, v24, v30, s[6:7]
	v_bfe_u32 v24, v18, 16, 1
	v_add3_u32 v24, v24, v18, s56
	v_or_b32_e32 v30, 0x400000, v18
	v_cmp_u_f32_e64 s[6:7], v18, v18
	v_mul_f32_e32 v17, s57, v17
	v_cndmask_b32_e64 v18, v24, v30, s[6:7]
	v_bfe_u32 v24, v17, 16, 1
	v_add3_u32 v24, v24, v17, s56
	v_or_b32_e32 v30, 0x400000, v17
	v_cmp_u_f32_e64 s[6:7], v17, v17
	v_cndmask_b32_e64 v17, v24, v30, s[6:7]
	v_mul_f32_e32 v24, s57, v34
	v_bfe_u32 v30, v24, 16, 1
	v_add3_u32 v30, v30, v24, s56
	v_or_b32_e32 v34, 0x400000, v24
	v_cmp_u_f32_e64 s[6:7], v24, v24
	v_mul_f32_e32 v29, s57, v29
	v_cndmask_b32_e64 v24, v30, v34, s[6:7]
	v_bfe_u32 v30, v29, 16, 1
	v_add3_u32 v30, v30, v29, s56
	v_or_b32_e32 v34, 0x400000, v29
	v_cmp_u_f32_e64 s[6:7], v29, v29
	v_mul_f32_e32 v28, s57, v28
	v_cndmask_b32_e64 v29, v30, v34, s[6:7]
	;; [unrolled: 6-line block ×3, first 2 shown]
	v_bfe_u32 v30, v27, 16, 1
	v_add3_u32 v30, v30, v27, s56
	v_or_b32_e32 v34, 0x400000, v27
	v_cmp_u_f32_e64 s[6:7], v27, v27
	v_cndmask_b32_e64 v27, v30, v34, s[6:7]
	v_mul_f32_e32 v30, s57, v59
	v_bfe_u32 v34, v30, 16, 1
	v_add3_u32 v34, v34, v30, s56
	v_or_b32_e32 v45, 0x400000, v30
	v_cmp_u_f32_e64 s[6:7], v30, v30
	v_mul_f32_e32 v30, s57, v25
	buffer_load_dword v25, off, s[60:63], 0 offset:40 ; 4-byte Folded Reload
	v_cndmask_b32_e64 v34, v34, v45, s[6:7]
	v_bfe_u32 v45, v30, 16, 1
	v_add3_u32 v45, v45, v30, s56
	v_or_b32_e32 v46, 0x400000, v30
	v_cmp_u_f32_e64 s[6:7], v30, v30
	v_mul_f32_e32 v30, s57, v60
	v_cndmask_b32_e64 v45, v45, v46, s[6:7]
	v_bfe_u32 v46, v30, 16, 1
	v_add3_u32 v46, v46, v30, s56
	v_or_b32_e32 v47, 0x400000, v30
	v_cmp_u_f32_e64 s[6:7], v30, v30
	v_mul_f32_e32 v30, s57, v61
	;; [unrolled: 6-line block ×4, first 2 shown]
	v_cndmask_b32_e64 v48, v48, v49, s[6:7]
	v_bfe_u32 v49, v30, 16, 1
	v_add3_u32 v49, v49, v30, s56
	v_or_b32_e32 v50, 0x400000, v30
	v_cmp_u_f32_e64 s[6:7], v30, v30
	v_cndmask_b32_e64 v30, v49, v50, s[6:7]
	v_mul_f32_e32 v49, s57, v53
	v_bfe_u32 v50, v49, 16, 1
	v_add3_u32 v50, v50, v49, s56
	v_or_b32_e32 v51, 0x400000, v49
	v_cmp_u_f32_e64 s[6:7], v49, v49
	v_cndmask_b32_e64 v49, v50, v51, s[6:7]
	v_mul_f32_e32 v50, s57, v36
	;; [unrolled: 6-line block ×4, first 2 shown]
	s_waitcnt vmcnt(0)
	v_mul_f32_e32 v54, s57, v25
	buffer_load_dword v25, off, s[60:63], 0 offset:36 ; 4-byte Folded Reload
	v_bfe_u32 v55, v54, 16, 1
	v_add3_u32 v55, v55, v54, s56
	v_or_b32_e32 v56, 0x400000, v54
	v_cmp_u_f32_e64 s[6:7], v54, v54
	v_cndmask_b32_e64 v54, v55, v56, s[6:7]
	s_waitcnt vmcnt(0)
	v_mul_f32_e32 v53, s57, v25
	buffer_load_dword v25, off, s[60:63], 0 offset:32 ; 4-byte Folded Reload
	v_bfe_u32 v55, v53, 16, 1
	v_add3_u32 v55, v55, v53, s56
	v_or_b32_e32 v56, 0x400000, v53
	v_cmp_u_f32_e64 s[6:7], v53, v53
	v_cndmask_b32_e64 v53, v55, v56, s[6:7]
	;; [unrolled: 8-line block ×3, first 2 shown]
	v_and_b32_e32 v40, 0xffff0000, v52
	s_waitcnt vmcnt(0)
	v_mul_f32_e32 v55, s57, v25
	buffer_load_dword v25, off, s[60:63], 0 offset:24 ; 4-byte Folded Reload
	v_bfe_u32 v56, v55, 16, 1
	v_add3_u32 v56, v56, v55, s56
	v_or_b32_e32 v57, 0x400000, v55
	v_cmp_u_f32_e64 s[6:7], v55, v55
	v_cndmask_b32_e64 v55, v56, v57, s[6:7]
	s_waitcnt vmcnt(0)
	v_mul_f32_e32 v56, s57, v25
	buffer_load_dword v25, off, s[60:63], 0 offset:16 ; 4-byte Folded Reload
	v_bfe_u32 v57, v56, 16, 1
	v_add3_u32 v57, v57, v56, s56
	v_or_b32_e32 v58, 0x400000, v56
	v_cmp_u_f32_e64 s[6:7], v56, v56
	v_cndmask_b32_e64 v56, v57, v58, s[6:7]
	;; [unrolled: 8-line block ×3, first 2 shown]
	v_and_b32_e32 v57, 0xffff0000, v57
	s_waitcnt vmcnt(0)
	v_mul_f32_e32 v58, s57, v25
	buffer_load_dword v25, off, s[60:63], 0 offset:8 ; 4-byte Folded Reload
	v_bfe_u32 v59, v58, 16, 1
	v_add3_u32 v59, v59, v58, s56
	v_or_b32_e32 v60, 0x400000, v58
	v_cmp_u_f32_e64 s[6:7], v58, v58
	v_cndmask_b32_e64 v58, v59, v60, s[6:7]
	v_and_b32_e32 v58, 0xffff0000, v58
	v_fmac_f32_e32 v3, v42, v58
	v_and_b32_e32 v42, 0xffff0000, v56
	v_fmac_f32_e32 v3, v62, v42
	v_fmac_f32_e32 v3, v31, v40
	v_and_b32_e32 v31, 0xffff0000, v54
	v_fmac_f32_e32 v3, v32, v31
	v_and_b32_e32 v31, 0xffff0000, v50
	v_and_b32_e32 v32, 0xffff0000, v49
	v_fmac_f32_e32 v3, v22, v31
	v_and_b32_e32 v22, 0xffff0000, v48
	s_waitcnt vmcnt(0)
	v_mul_f32_e32 v59, s57, v25
	v_bfe_u32 v60, v59, 16, 1
	v_add3_u32 v60, v60, v59, s56
	v_or_b32_e32 v61, 0x400000, v59
	v_cmp_u_f32_e64 s[6:7], v59, v59
	v_cndmask_b32_e64 v59, v60, v61, s[6:7]
	buffer_load_dword v61, off, s[60:63], 0 offset:64 ; 4-byte Folded Reload
	v_and_b32_e32 v59, 0xffff0000, v59
	v_fmac_f32_e32 v4, v44, v59
	v_fmac_f32_e32 v4, v43, v57
	v_and_b32_e32 v43, 0xffff0000, v55
	v_fmac_f32_e32 v4, v41, v43
	v_and_b32_e32 v41, 0xffff0000, v53
	;; [unrolled: 2-line block ×3, first 2 shown]
	v_fmac_f32_e32 v4, v37, v38
	v_fmac_f32_e32 v4, v0, v32
	v_and_b32_e32 v0, 0xffff0000, v30
	v_fmac_f32_e32 v3, v16, v0
	v_fmac_f32_e32 v4, v21, v22
	v_and_b32_e32 v0, 0xffff0000, v47
	v_and_b32_e32 v16, 0xffff0000, v46
	v_fmac_f32_e32 v3, v14, v0
	v_fmac_f32_e32 v4, v15, v16
	v_and_b32_e32 v0, 0xffff0000, v45
	v_and_b32_e32 v14, 0xffff0000, v34
	v_bfe_u32 v59, v23, 16, 1
	v_fmac_f32_e32 v3, v13, v0
	v_fmac_f32_e32 v4, v11, v14
	v_and_b32_e32 v0, 0xffff0000, v27
	v_and_b32_e32 v11, 0xffff0000, v28
	v_add3_u32 v59, v59, v23, s56
	v_or_b32_e32 v60, 0x400000, v23
	v_cmp_u_f32_e64 s[6:7], v23, v23
	v_fmac_f32_e32 v3, v9, v0
	v_fmac_f32_e32 v4, v10, v11
	v_and_b32_e32 v0, 0xffff0000, v29
	v_and_b32_e32 v9, 0xffff0000, v24
	v_cndmask_b32_e64 v23, v59, v60, s[6:7]
	v_fmac_f32_e32 v3, v7, v0
	v_fmac_f32_e32 v4, v8, v9
	v_and_b32_e32 v0, 0xffff0000, v17
	v_and_b32_e32 v7, 0xffff0000, v18
	v_fmac_f32_e32 v3, v6, v0
	v_fmac_f32_e32 v4, v2, v7
	v_and_b32_e32 v0, 0xffff0000, v12
	v_and_b32_e32 v2, 0xffff0000, v23
	v_fmac_f32_e32 v3, v5, v0
	v_fmac_f32_e32 v4, v1, v2
	v_add_f32_e32 v0, v3, v4
	s_waitcnt vmcnt(0)
	v_and_b32_e32 v44, 64, v61
	v_add_u32_e32 v44, 64, v44
	v_xor_b32_e32 v59, 2, v61
	v_cmp_lt_i32_e64 s[6:7], v59, v44
	v_cndmask_b32_e64 v59, v61, v59, s[6:7]
	v_lshlrev_b32_e32 v59, 2, v59
	ds_bpermute_b32 v1, v59, v0
	v_xor_b32_e32 v2, 1, v61
	v_cmp_lt_i32_e64 s[6:7], v2, v44
	v_cndmask_b32_e64 v2, v61, v2, s[6:7]
	v_lshlrev_b32_e32 v2, 2, v2
	s_waitcnt lgkmcnt(0)
	v_add_f32_e32 v0, v0, v1
	ds_bpermute_b32 v1, v2, v0
	s_and_saveexec_b64 s[42:43], vcc
	s_cbranch_execz .LBB298_11
; %bb.211:                              ;   in Loop: Header=BB298_13 Depth=1
	buffer_load_dword v2, off, s[60:63], 0 offset:72 ; 4-byte Folded Reload
	buffer_load_dword v3, off, s[60:63], 0 offset:68 ; 4-byte Folded Reload
	s_waitcnt lgkmcnt(0)
	v_add_f32_e32 v0, v0, v1
	s_waitcnt vmcnt(1)
	v_add_u32_e32 v2, v2, v33
	v_cvt_f32_i32_e32 v2, v2
	v_mul_f32_e32 v1, s50, v2
	buffer_load_dword v2, off, s[60:63], 0 offset:48 ; 4-byte Folded Reload
	s_waitcnt vmcnt(1)
	v_add_u32_e32 v3, v3, v33
	v_cndmask_b32_e64 v1, 0, v1, s[4:5]
	v_fmac_f32_e32 v1, s39, v0
	v_cmp_gt_i32_e64 s[6:7], s25, v3
	v_cndmask_b32_e64 v0, 0, v1, s[6:7]
	ds_write_b32 v35, v0
	s_waitcnt vmcnt(0)
	v_max_f32_e32 v0, v2, v2
	v_max_f32_e32 v0, v0, v1
	v_cndmask_b32_e64 v2, v2, v0, s[6:7]
	buffer_store_dword v2, off, s[60:63], 0 offset:48 ; 4-byte Folded Spill
	s_branch .LBB298_11
.LBB298_212:
	s_or_b64 exec, exec, s[40:41]
	buffer_load_dword v13, off, s[60:63], 0 offset:80 ; 4-byte Folded Reload
	buffer_load_dword v4, off, s[60:63], 0 offset:48 ; 4-byte Folded Reload
	v_mbcnt_lo_u32_b32 v5, -1, 0
.LBB298_213:
	s_or_b64 exec, exec, s[18:19]
	v_mbcnt_hi_u32_b32 v0, -1, v5
	v_and_b32_e32 v8, 64, v0
	s_waitcnt lgkmcnt(0)
	v_add_u32_e32 v1, 64, v8
	v_xor_b32_e32 v2, 32, v0
	v_cmp_lt_i32_e32 vcc, v2, v1
	v_cndmask_b32_e32 v2, v0, v2, vcc
	v_lshlrev_b32_e32 v2, 2, v2
	s_waitcnt vmcnt(0)
	ds_bpermute_b32 v3, v2, v4
	v_xor_b32_e32 v5, 16, v0
	v_max_f32_e32 v4, v4, v4
	v_cmp_lt_i32_e32 vcc, v5, v1
	v_xor_b32_e32 v6, 8, v0
	s_waitcnt lgkmcnt(0)
	v_max_f32_e32 v3, v3, v3
	v_max_f32_e32 v4, v4, v3
	v_cndmask_b32_e32 v3, v0, v5, vcc
	v_lshlrev_b32_e32 v3, 2, v3
	ds_bpermute_b32 v5, v3, v4
	v_cmp_lt_i32_e32 vcc, v6, v1
	v_xor_b32_e32 v7, 4, v0
	s_waitcnt lgkmcnt(0)
	v_max_f32_e32 v5, v5, v5
	v_max_f32_e32 v4, v4, v5
	v_cndmask_b32_e32 v5, v0, v6, vcc
	v_lshlrev_b32_e32 v6, 2, v5
	ds_bpermute_b32 v5, v6, v4
	v_cmp_lt_i32_e32 vcc, v7, v1
	s_waitcnt lgkmcnt(0)
	v_max_f32_e32 v5, v5, v5
	v_max_f32_e32 v5, v4, v5
	v_cndmask_b32_e32 v4, v0, v7, vcc
	v_lshlrev_b32_e32 v7, 2, v4
	buffer_load_dword v4, off, s[60:63], 0 offset:44 ; 4-byte Folded Reload
	ds_bpermute_b32 v9, v7, v5
	s_waitcnt vmcnt(0)
	v_and_b32_e32 v14, 63, v4
	buffer_load_dword v4, off, s[60:63], 0  ; 4-byte Folded Reload
	v_cmp_eq_u32_e32 vcc, 0, v14
	s_waitcnt vmcnt(0)
	v_lshlrev_b32_e32 v4, 2, v4
	s_and_saveexec_b64 s[4:5], vcc
	s_cbranch_execz .LBB298_215
; %bb.214:
	s_waitcnt lgkmcnt(0)
	v_max_f32_e32 v9, v9, v9
	v_max_f32_e32 v5, v5, v5
	;; [unrolled: 1-line block ×3, first 2 shown]
	ds_write_b32 v4, v5 offset:256
.LBB298_215:
	s_or_b64 exec, exec, s[4:5]
	v_cmp_gt_u32_e64 s[4:5], 2, v14
	s_waitcnt lgkmcnt(0)
	v_mov_b32_e32 v9, 0xff7fffff
	v_lshlrev_b32_e32 v5, 2, v14
	s_barrier
	s_and_saveexec_b64 s[6:7], s[4:5]
; %bb.216:
	ds_read_b32 v9, v5 offset:256
; %bb.217:
	s_or_b64 exec, exec, s[6:7]
	v_xor_b32_e32 v10, 1, v0
	v_cmp_lt_i32_e64 s[6:7], v10, v1
	v_cndmask_b32_e64 v10, v0, v10, s[6:7]
	v_lshlrev_b32_e32 v15, 2, v10
	s_waitcnt lgkmcnt(0)
	ds_bpermute_b32 v10, v15, v9
	v_max_f32_e32 v9, v9, v9
	v_lshlrev_b32_e32 v8, 2, v8
	s_lshl_b32 s6, s49, 4
	s_min_i32 s39, s6, s25
	s_waitcnt lgkmcnt(0)
	v_max_f32_e32 v10, v10, v10
	v_max_f32_e32 v9, v9, v10
	ds_bpermute_b32 v9, v8, v9
	buffer_load_dword v8, off, s[60:63], 0 offset:44 ; 4-byte Folded Reload
	s_waitcnt vmcnt(0)
	v_cmp_gt_i32_e64 s[6:7], s39, v8
	v_mov_b32_e32 v8, 0
	s_and_saveexec_b64 s[12:13], s[6:7]
	s_cbranch_execz .LBB298_221
; %bb.218:
	buffer_load_dword v11, off, s[60:63], 0 offset:44 ; 4-byte Folded Reload
	v_mov_b32_e32 v8, 0x110
	s_mov_b64 s[18:19], 0
	s_waitcnt vmcnt(0)
	v_lshl_add_u32 v10, v11, 2, v8
	v_mov_b32_e32 v8, 0
.LBB298_219:                            ; =>This Inner Loop Header: Depth=1
	ds_read_b32 v12, v10
	v_add_u32_e32 v11, 0x80, v11
	v_cmp_le_i32_e64 s[10:11], s39, v11
	s_or_b64 s[18:19], s[10:11], s[18:19]
	s_waitcnt lgkmcnt(0)
	v_sub_f32_e32 v12, v12, v9
	v_mul_f32_e32 v12, 0x3fb8aa3b, v12
	v_exp_f32_e32 v12, v12
	ds_write_b32 v10, v12
	v_add_f32_e32 v8, v8, v12
	v_add_u32_e32 v10, 0x200, v10
	s_andn2_b64 exec, exec, s[18:19]
	s_cbranch_execnz .LBB298_219
; %bb.220:
	s_or_b64 exec, exec, s[18:19]
.LBB298_221:
	s_or_b64 exec, exec, s[12:13]
	ds_bpermute_b32 v2, v2, v8
	s_waitcnt lgkmcnt(0)
	v_add_f32_e32 v2, v8, v2
	ds_bpermute_b32 v3, v3, v2
	s_waitcnt lgkmcnt(0)
	v_add_f32_e32 v2, v2, v3
	ds_bpermute_b32 v3, v6, v2
	v_xor_b32_e32 v6, 2, v0
	v_cmp_lt_i32_e64 s[10:11], v6, v1
	v_cndmask_b32_e64 v1, v0, v6, s[10:11]
	v_lshlrev_b32_e32 v1, 2, v1
	s_waitcnt lgkmcnt(0)
	v_add_f32_e32 v2, v2, v3
	ds_bpermute_b32 v3, v7, v2
	s_waitcnt lgkmcnt(0)
	v_add_f32_e32 v2, v2, v3
	ds_bpermute_b32 v1, v1, v2
	;; [unrolled: 3-line block ×3, first 2 shown]
	s_waitcnt lgkmcnt(0)
	v_add_f32_e32 v1, v1, v2
	s_and_saveexec_b64 s[10:11], vcc
; %bb.222:
	ds_write_b32 v4, v1 offset:264
; %bb.223:
	s_or_b64 exec, exec, s[10:11]
	s_waitcnt lgkmcnt(0)
	s_barrier
	s_and_saveexec_b64 s[10:11], s[4:5]
; %bb.224:
	ds_read_b32 v1, v5 offset:264
; %bb.225:
	s_or_b64 exec, exec, s[10:11]
	s_waitcnt lgkmcnt(0)
	ds_bpermute_b32 v2, v15, v1
	v_lshlrev_b32_e32 v0, 2, v0
	v_and_b32_e32 v0, 0x100, v0
	s_waitcnt lgkmcnt(0)
	v_add_f32_e32 v1, v1, v2
	ds_bpermute_b32 v0, v0, v1
	s_and_saveexec_b64 s[4:5], s[6:7]
	s_cbranch_execz .LBB298_228
; %bb.226:
	s_waitcnt lgkmcnt(0)
	v_add_f32_e32 v1, 0x358637bd, v0
	v_div_scale_f32 v0, s[6:7], v1, v1, 1.0
	v_div_scale_f32 v2, vcc, 1.0, v1, 1.0
	s_mov_b64 s[6:7], 0
	v_rcp_f32_e32 v3, v0
	v_fma_f32 v4, -v0, v3, 1.0
	v_fmac_f32_e32 v3, v4, v3
	v_mul_f32_e32 v4, v2, v3
	v_fma_f32 v5, -v0, v4, v2
	v_fmac_f32_e32 v4, v5, v3
	v_fma_f32 v0, -v0, v4, v2
	v_div_fmas_f32 v2, v0, v3, v4
	buffer_load_dword v3, off, s[60:63], 0 offset:44 ; 4-byte Folded Reload
	v_mov_b32_e32 v0, 0x110
	v_div_fixup_f32 v1, v2, v1, 1.0
	s_waitcnt vmcnt(0)
	v_lshl_add_u32 v0, v3, 2, v0
	v_mov_b32_e32 v2, v3
.LBB298_227:                            ; =>This Inner Loop Header: Depth=1
	ds_read_b32 v3, v0
	v_add_u32_e32 v2, 0x80, v2
	v_cmp_le_i32_e32 vcc, s39, v2
	s_or_b64 s[6:7], vcc, s[6:7]
	s_waitcnt lgkmcnt(0)
	v_mul_f32_e32 v3, v1, v3
	ds_write_b32 v0, v3
	v_add_u32_e32 v0, 0x200, v0
	s_andn2_b64 exec, exec, s[6:7]
	s_cbranch_execnz .LBB298_227
.LBB298_228:
	s_or_b64 exec, exec, s[4:5]
	s_waitcnt lgkmcnt(0)
	s_barrier
	buffer_load_dword v0, off, s[60:63], 0 offset:44 ; 4-byte Folded Reload
	v_mov_b32_e32 v29, 0
	v_mov_b32_e32 v30, 0
	;; [unrolled: 1-line block ×4, first 2 shown]
	s_waitcnt vmcnt(0)
	v_and_b32_e32 v6, 1, v0
	s_and_saveexec_b64 s[4:5], s[2:3]
	s_cbranch_execz .LBB298_434
; %bb.229:
	buffer_store_dword v15, off, s[60:63], 0 offset:28 ; 4-byte Folded Spill
	buffer_store_dword v14, off, s[60:63], 0 offset:24 ; 4-byte Folded Spill
	buffer_load_dword v1, off, s[60:63], 0 offset:44 ; 4-byte Folded Reload
	s_sub_i32 s39, s16, s21
	s_ashr_i32 s2, s20, 31
	s_add_u32 s3, s36, s20
	s_addc_u32 s2, s37, s2
	s_abs_i32 s22, s22
	v_cvt_f32_u32_e32 v0, s22
	s_sub_i32 s10, 0, s22
	s_add_i32 s37, s49, -1
	v_mov_b32_e32 v3, s2
	v_rcp_iflag_f32_e32 v0, v0
	s_mov_b32 s6, -1
	s_mov_b32 s36, s17
	s_mov_b32 s7, 0xffffff
	v_mul_f32_e32 v0, 0x4f7ffffe, v0
	v_cvt_u32_f32_e32 v0, v0
	v_mov_b32_e32 v10, 0
	v_mov_b32_e32 v7, 0
	;; [unrolled: 1-line block ×5, first 2 shown]
	s_waitcnt vmcnt(0)
	v_lshlrev_b32_e32 v1, 3, v1
	v_and_b32_e32 v2, 8, v1
	buffer_store_dword v2, off, s[60:63], 0 offset:12 ; 4-byte Folded Spill
	v_mul_lo_u32 v2, s10, v0
	v_and_b32_e32 v1, 0x1f8, v1
	v_add_co_u32_e32 v4, vcc, s3, v1
	v_mul_hi_u32 v2, v0, v2
	s_lshl_b64 s[2:3], s[34:35], 2
	v_addc_co_u32_e32 v5, vcc, 0, v3, vcc
	v_add_u32_e32 v0, v0, v2
	s_add_u32 s2, s30, s2
	buffer_store_dword v4, off, s[60:63], 0 offset:16 ; 4-byte Folded Spill
	s_nop 0
	buffer_store_dword v5, off, s[60:63], 0 offset:20 ; 4-byte Folded Spill
	buffer_store_dword v0, off, s[60:63], 0 offset:4 ; 4-byte Folded Spill
	v_and_b32_e32 v0, 60, v13
	s_addc_u32 s3, s31, s3
	v_mov_b32_e32 v1, s3
	v_add_co_u32_e32 v13, vcc, s2, v0
	v_addc_co_u32_e32 v14, vcc, 0, v1, vcc
	buffer_load_dword v1, off, s[60:63], 0  ; 4-byte Folded Reload
	buffer_load_dword v3, off, s[60:63], 0 offset:76 ; 4-byte Folded Reload
	v_lshlrev_b32_e32 v0, 5, v6
	s_mov_b64 s[10:11], 0
	s_movk_i32 s30, 0x80
	s_movk_i32 s31, 0x7f
	;; [unrolled: 1-line block ×3, first 2 shown]
	buffer_store_dword v6, off, s[60:63], 0 offset:32 ; 4-byte Folded Spill
	s_waitcnt vmcnt(2)
	v_lshl_or_b32 v0, v1, 6, v0
	v_add_u32_e32 v27, 0x110, v0
	s_branch .LBB298_232
.LBB298_230:                            ;   in Loop: Header=BB298_232 Depth=1
	s_or_b64 exec, exec, s[2:3]
	v_bfe_u32 v11, v5, 16, 1
	v_add3_u32 v11, v11, v5, s34
	v_or_b32_e32 v12, 0x400000, v5
	v_cmp_u_f32_e32 vcc, v5, v5
	v_cndmask_b32_e32 v5, v11, v12, vcc
	v_bfe_u32 v11, v6, 16, 1
	v_add3_u32 v11, v11, v6, s34
	v_or_b32_e32 v12, 0x400000, v6
	v_cmp_u_f32_e32 vcc, v6, v6
	v_cndmask_b32_e32 v6, v11, v12, vcc
	;; [unrolled: 5-line block ×4, first 2 shown]
	v_bfe_u32 v11, v1, 16, 1
	v_add3_u32 v11, v11, v1, s34
	v_or_b32_e32 v12, 0x400000, v1
	v_cmp_u_f32_e32 vcc, v1, v1
	v_bfe_u32 v1, v2, 16, 1
	v_cndmask_b32_e32 v11, v11, v12, vcc
	v_add3_u32 v1, v1, v2, s34
	v_or_b32_e32 v12, 0x400000, v2
	v_cmp_u_f32_e32 vcc, v2, v2
	v_cndmask_b32_e32 v12, v1, v12, vcc
	v_bfe_u32 v1, v3, 16, 1
	v_add3_u32 v1, v1, v3, s34
	v_or_b32_e32 v2, 0x400000, v3
	v_cmp_u_f32_e32 vcc, v3, v3
	v_cndmask_b32_e32 v23, v1, v2, vcc
	v_bfe_u32 v1, v4, 16, 1
	v_add3_u32 v1, v1, v4, s34
	v_or_b32_e32 v2, 0x400000, v4
	v_cmp_u_f32_e32 vcc, v4, v4
	v_cndmask_b32_e32 v4, v1, v2, vcc
	v_and_b32_e32 v1, 0xffff0000, v6
	v_lshlrev_b32_e32 v2, 16, v61
	v_mul_f32_e32 v2, v1, v2
	v_bfe_u32 v3, v2, 16, 1
	v_add3_u32 v3, v3, v2, s34
	v_or_b32_e32 v6, 0x400000, v2
	v_cmp_u_f32_e32 vcc, v2, v2
	v_and_b32_e32 v5, 0xffff0000, v5
	v_lshlrev_b32_e32 v2, 16, v62
	v_mul_f32_e32 v2, v5, v2
	v_cndmask_b32_e32 v24, v3, v6, vcc
	v_bfe_u32 v3, v2, 16, 1
	v_add3_u32 v3, v3, v2, s34
	v_or_b32_e32 v6, 0x400000, v2
	v_cmp_u_f32_e32 vcc, v2, v2
	v_cndmask_b32_e32 v31, v3, v6, vcc
	v_and_b32_e32 v2, 0xffff0000, v8
	v_lshlrev_b32_e32 v3, 16, v58
	v_mul_f32_e32 v3, v2, v3
	v_bfe_u32 v6, v3, 16, 1
	v_add3_u32 v6, v6, v3, s34
	v_or_b32_e32 v8, 0x400000, v3
	v_cmp_u_f32_e32 vcc, v3, v3
	v_cndmask_b32_e32 v32, v6, v8, vcc
	v_and_b32_e32 v6, 0xffff0000, v7
	v_lshlrev_b32_e32 v3, 16, v59
	v_mul_f32_e32 v3, v6, v3
	;; [unrolled: 8-line block ×4, first 2 shown]
	v_bfe_u32 v11, v8, 16, 1
	v_add3_u32 v11, v11, v8, s34
	v_or_b32_e32 v18, 0x400000, v8
	v_cmp_u_f32_e32 vcc, v8, v8
	v_and_b32_e32 v4, 0xffff0000, v4
	v_lshlrev_b32_e32 v8, 16, v60
	v_mul_f32_e32 v8, v4, v8
	v_cndmask_b32_e32 v11, v11, v18, vcc
	v_bfe_u32 v18, v8, 16, 1
	v_add3_u32 v18, v18, v8, s34
	v_or_b32_e32 v19, 0x400000, v8
	v_cmp_u_f32_e32 vcc, v8, v8
	v_cndmask_b32_e32 v18, v18, v19, vcc
	v_and_b32_e32 v8, 0xffff0000, v23
	v_lshlrev_b32_e32 v19, 16, v57
	v_mul_f32_e32 v19, v8, v19
	v_bfe_u32 v23, v19, 16, 1
	v_add3_u32 v23, v23, v19, s34
	v_or_b32_e32 v42, 0x400000, v19
	v_cmp_u_f32_e32 vcc, v19, v19
	v_cndmask_b32_e32 v19, v23, v42, vcc
	v_and_b32_e32 v23, 0xffff0000, v31
	v_and_b32_e32 v24, 0xffff0000, v24
	v_add_f32_e32 v23, v23, v24
	v_and_b32_e32 v24, 0xffff0000, v41
	v_and_b32_e32 v31, 0xffff0000, v32
	v_add_f32_e32 v24, v24, v31
	;; [unrolled: 3-line block ×3, first 2 shown]
	v_add_f32_e32 v11, v11, v12
	v_and_b32_e32 v12, 0xffff0000, v19
	v_and_b32_e32 v18, 0xffff0000, v18
	v_add_f32_e32 v11, v11, v23
	v_add_f32_e32 v12, v12, v18
	v_add_f32_e32 v11, v12, v11
	v_add_f32_e32 v28, v28, v11
	v_lshlrev_b32_e32 v11, 16, v55
	v_mul_f32_e32 v11, v1, v11
	v_bfe_u32 v12, v11, 16, 1
	v_add3_u32 v12, v12, v11, s34
	v_or_b32_e32 v18, 0x400000, v11
	v_cmp_u_f32_e32 vcc, v11, v11
	v_cndmask_b32_e32 v11, v12, v18, vcc
	v_lshlrev_b32_e32 v12, 16, v56
	v_mul_f32_e32 v12, v5, v12
	v_bfe_u32 v18, v12, 16, 1
	v_add3_u32 v18, v18, v12, s34
	v_or_b32_e32 v19, 0x400000, v12
	v_cmp_u_f32_e32 vcc, v12, v12
	v_cndmask_b32_e32 v12, v18, v19, vcc
	;; [unrolled: 7-line block ×7, first 2 shown]
	v_lshlrev_b32_e32 v32, 16, v51
	v_and_b32_e32 v12, 0xffff0000, v12
	v_and_b32_e32 v11, 0xffff0000, v11
	v_mul_f32_e32 v32, v8, v32
	v_add_f32_e32 v11, v12, v11
	v_and_b32_e32 v12, 0xffff0000, v19
	v_and_b32_e32 v18, 0xffff0000, v18
	v_bfe_u32 v41, v32, 16, 1
	v_add_f32_e32 v12, v12, v18
	v_add3_u32 v41, v41, v32, s34
	v_or_b32_e32 v42, 0x400000, v32
	v_cmp_u_f32_e32 vcc, v32, v32
	v_add_f32_e32 v11, v12, v11
	v_and_b32_e32 v12, 0xffff0000, v24
	v_and_b32_e32 v18, 0xffff0000, v23
	v_cndmask_b32_e32 v32, v41, v42, vcc
	v_add_f32_e32 v12, v12, v18
	v_add_f32_e32 v11, v12, v11
	v_and_b32_e32 v12, 0xffff0000, v32
	v_and_b32_e32 v18, 0xffff0000, v31
	v_add_f32_e32 v12, v12, v18
	v_add_f32_e32 v11, v12, v11
	;; [unrolled: 1-line block ×3, first 2 shown]
	v_lshlrev_b32_e32 v11, 16, v39
	v_mul_f32_e32 v11, v1, v11
	v_bfe_u32 v12, v11, 16, 1
	v_add3_u32 v12, v12, v11, s34
	v_or_b32_e32 v18, 0x400000, v11
	v_cmp_u_f32_e32 vcc, v11, v11
	v_cndmask_b32_e32 v11, v12, v18, vcc
	v_lshlrev_b32_e32 v12, 16, v40
	v_mul_f32_e32 v12, v5, v12
	v_bfe_u32 v18, v12, 16, 1
	v_add3_u32 v18, v18, v12, s34
	v_or_b32_e32 v19, 0x400000, v12
	v_cmp_u_f32_e32 vcc, v12, v12
	v_cndmask_b32_e32 v12, v18, v19, vcc
	;; [unrolled: 7-line block ×7, first 2 shown]
	v_lshlrev_b32_e32 v32, 16, v35
	v_and_b32_e32 v12, 0xffff0000, v12
	v_and_b32_e32 v11, 0xffff0000, v11
	v_mul_f32_e32 v32, v8, v32
	v_add_f32_e32 v11, v12, v11
	v_and_b32_e32 v12, 0xffff0000, v19
	v_and_b32_e32 v18, 0xffff0000, v18
	v_bfe_u32 v33, v32, 16, 1
	v_add_f32_e32 v12, v12, v18
	v_add3_u32 v33, v33, v32, s34
	v_or_b32_e32 v34, 0x400000, v32
	v_cmp_u_f32_e32 vcc, v32, v32
	v_add_f32_e32 v11, v12, v11
	v_and_b32_e32 v12, 0xffff0000, v24
	v_and_b32_e32 v18, 0xffff0000, v23
	v_cndmask_b32_e32 v32, v33, v34, vcc
	v_add_f32_e32 v12, v12, v18
	v_add_f32_e32 v11, v12, v11
	v_and_b32_e32 v12, 0xffff0000, v32
	v_and_b32_e32 v18, 0xffff0000, v31
	v_add_f32_e32 v12, v12, v18
	v_add_f32_e32 v11, v12, v11
	;; [unrolled: 1-line block ×3, first 2 shown]
	v_lshlrev_b32_e32 v11, 16, v22
	v_mul_f32_e32 v5, v5, v11
	v_bfe_u32 v11, v5, 16, 1
	v_add3_u32 v11, v11, v5, s34
	v_or_b32_e32 v12, 0x400000, v5
	v_cmp_u_f32_e32 vcc, v5, v5
	v_cndmask_b32_e32 v5, v11, v12, vcc
	v_lshlrev_b32_e32 v11, 16, v21
	v_mul_f32_e32 v1, v1, v11
	v_bfe_u32 v11, v1, 16, 1
	v_add3_u32 v11, v11, v1, s34
	v_or_b32_e32 v12, 0x400000, v1
	v_cmp_u_f32_e32 vcc, v1, v1
	v_cndmask_b32_e32 v1, v11, v12, vcc
	;; [unrolled: 7-line block ×3, first 2 shown]
	v_lshlrev_b32_e32 v11, 16, v15
	v_mul_f32_e32 v2, v2, v11
	v_bfe_u32 v11, v2, 16, 1
	v_lshlrev_b32_e32 v9, 16, v9
	v_add3_u32 v11, v11, v2, s34
	v_or_b32_e32 v12, 0x400000, v2
	v_cmp_u_f32_e32 vcc, v2, v2
	v_mul_f32_e32 v7, v7, v9
	v_cndmask_b32_e32 v2, v11, v12, vcc
	v_bfe_u32 v9, v7, 16, 1
	v_and_b32_e32 v1, 0xffff0000, v1
	v_and_b32_e32 v5, 0xffff0000, v5
	v_add3_u32 v9, v9, v7, s34
	v_or_b32_e32 v11, 0x400000, v7
	v_cmp_u_f32_e32 vcc, v7, v7
	v_add_f32_e32 v1, v5, v1
	v_and_b32_e32 v2, 0xffff0000, v2
	v_and_b32_e32 v5, 0xffff0000, v6
	v_cndmask_b32_e32 v7, v9, v11, vcc
	v_add_f32_e32 v2, v5, v2
	v_add_f32_e32 v1, v2, v1
	v_and_b32_e32 v2, 0xffff0000, v7
	buffer_load_dword v7, off, s[60:63], 0 offset:8 ; 4-byte Folded Reload
	v_lshlrev_b32_e32 v0, 16, v0
	v_mul_f32_e32 v0, v3, v0
	v_bfe_u32 v3, v0, 16, 1
	v_add3_u32 v3, v3, v0, s34
	v_or_b32_e32 v9, 0x400000, v0
	v_cmp_u_f32_e32 vcc, v0, v0
	v_cndmask_b32_e32 v0, v3, v9, vcc
	v_lshlrev_b32_e32 v3, 16, v16
	v_mul_f32_e32 v3, v8, v3
	v_bfe_u32 v8, v3, 16, 1
	v_add3_u32 v8, v8, v3, s34
	v_or_b32_e32 v9, 0x400000, v3
	v_cmp_u_f32_e32 vcc, v3, v3
	v_cndmask_b32_e32 v3, v8, v9, vcc
	v_lshlrev_b32_e32 v8, 16, v17
	v_mul_f32_e32 v4, v4, v8
	v_bfe_u32 v8, v4, 16, 1
	v_add3_u32 v8, v8, v4, s34
	v_or_b32_e32 v9, 0x400000, v4
	v_cmp_u_f32_e32 vcc, v4, v4
	v_and_b32_e32 v0, 0xffff0000, v0
	v_cndmask_b32_e32 v4, v8, v9, vcc
	v_add_f32_e32 v0, v2, v0
	v_add_f32_e32 v0, v0, v1
	v_and_b32_e32 v1, 0xffff0000, v4
	v_and_b32_e32 v2, 0xffff0000, v3
	v_add_f32_e32 v1, v2, v1
	v_add_f32_e32 v0, v1, v0
	s_waitcnt vmcnt(0)
	v_add_f32_e32 v7, v7, v0
.LBB298_231:                            ;   in Loop: Header=BB298_232 Depth=1
	s_or_b64 exec, exec, s[12:13]
	buffer_load_dword v0, off, s[60:63], 0  ; 4-byte Folded Reload
	v_add_co_u32_e32 v13, vcc, 8, v13
	v_addc_co_u32_e32 v14, vcc, 0, v14, vcc
	v_mov_b32_e32 v3, v25
	v_add_u32_e32 v3, 32, v3
	v_add_u32_e32 v27, 0x80, v27
	s_waitcnt vmcnt(0)
	v_add_u32_e32 v0, 2, v0
	v_cmp_le_i32_e32 vcc, s49, v0
	s_or_b64 s[10:11], vcc, s[10:11]
	buffer_store_dword v0, off, s[60:63], 0 ; 4-byte Folded Spill
	s_andn2_b64 exec, exec, s[10:11]
	s_cbranch_execz .LBB298_433
.LBB298_232:                            ; =>This Inner Loop Header: Depth=1
	s_waitcnt vmcnt(1)
	v_mul_hi_u32 v0, v3, s33
	v_mov_b32_e32 v25, v3
	v_mul_lo_u32 v1, v0, s27
	v_add_u32_e32 v2, 1, v0
	v_sub_u32_e32 v1, v3, v1
	buffer_load_dword v3, off, s[60:63], 0 offset:4 ; 4-byte Folded Reload
	v_cmp_le_u32_e32 vcc, s27, v1
	v_cndmask_b32_e32 v0, v0, v2, vcc
	v_subrev_u32_e32 v2, s27, v1
	v_cndmask_b32_e32 v1, v1, v2, vcc
	v_add_u32_e32 v2, 1, v0
	v_cmp_le_u32_e32 vcc, s27, v1
	v_cndmask_b32_e32 v0, v0, v2, vcc
	v_xor_b32_e32 v0, s48, v0
	v_subrev_u32_e32 v0, s48, v0
	v_add_u32_e32 v1, s38, v0
	v_sub_u32_e32 v2, 0, v1
	v_max_i32_e32 v2, v1, v2
	v_ashrrev_i32_e32 v1, 31, v1
	v_cmp_lt_i32_e64 s[2:3], s39, v0
	s_waitcnt vmcnt(0)
	v_mul_hi_u32 v3, v2, v3
	v_mul_lo_u32 v3, v3, s22
	v_sub_u32_e32 v2, v2, v3
	v_subrev_u32_e32 v3, s22, v2
	v_cmp_le_u32_e32 vcc, s22, v2
	v_cndmask_b32_e32 v2, v2, v3, vcc
	v_subrev_u32_e32 v3, s22, v2
	v_cmp_le_u32_e32 vcc, s22, v2
	v_cndmask_b32_e32 v2, v2, v3, vcc
	v_xor_b32_e32 v2, v2, v1
	v_sub_u32_e32 v1, v2, v1
	v_cmp_eq_u32_e32 vcc, 0, v1
	s_or_b64 s[2:3], vcc, s[2:3]
	s_and_saveexec_b64 s[12:13], s[2:3]
	s_cbranch_execz .LBB298_231
; %bb.233:                              ;   in Loop: Header=BB298_232 Depth=1
	buffer_store_dword v7, off, s[60:63], 0 offset:8 ; 4-byte Folded Spill
	global_load_dword v0, v[13:14], off
	buffer_load_dword v1, off, s[60:63], 0 offset:16 ; 4-byte Folded Reload
	buffer_load_dword v2, off, s[60:63], 0 offset:20 ; 4-byte Folded Reload
	v_mov_b32_e32 v35, 0
	v_mov_b32_e32 v22, 0
	s_waitcnt vmcnt(0)
	v_mad_i64_i32 v[15:16], s[2:3], v0, s36, v[1:2]
	global_load_dwordx2 v[17:18], v[15:16], off
	ds_read2_b64 v[5:8], v27 offset1:1
	ds_read2_b64 v[1:4], v27 offset0:2 offset1:3
	s_load_dword s35, s[14:15], 0x0
	s_waitcnt vmcnt(0)
	v_cmp_ne_u16_sdwa s[16:17], v17, v10 src0_sel:BYTE_0 src1_sel:DWORD
	s_and_saveexec_b64 s[2:3], s[16:17]
	s_cbranch_execz .LBB298_239
; %bb.234:                              ;   in Loop: Header=BB298_232 Depth=1
	v_cmp_ne_u16_sdwa s[18:19], v17, s30 src0_sel:BYTE_0 src1_sel:DWORD
	v_bfrev_b32_e32 v22, 1
	s_and_saveexec_b64 s[16:17], s[18:19]
	s_cbranch_execz .LBB298_238
; %bb.235:                              ;   in Loop: Header=BB298_232 Depth=1
	v_and_b32_e32 v0, 0x7f, v17
	v_cmp_ne_u32_e32 vcc, s31, v0
	v_mov_b32_e32 v22, 0x7f800001
	s_and_saveexec_b64 s[18:19], vcc
	s_cbranch_execz .LBB298_237
; %bb.236:                              ;   in Loop: Header=BB298_232 Depth=1
	v_and_b32_e32 v9, 7, v17
	v_ffbh_u32_e32 v9, v9
	v_min_u32_e32 v9, 32, v9
	v_lshrrev_b32_e32 v11, 3, v0
	v_subrev_u32_e32 v12, 28, v9
	v_sub_u32_e32 v9, 29, v9
	v_cmp_gt_u32_e32 vcc, 8, v0
	v_cndmask_b32_e32 v0, v11, v9, vcc
	v_cndmask_b32_e32 v9, 0, v12, vcc
	v_lshlrev_b64 v[11:12], v9, v[17:18]
	v_bfrev_b32_e32 v12, 60
	v_lshlrev_b32_e32 v9, 20, v11
	v_lshlrev_b32_e32 v11, 24, v17
	v_and_b32_e32 v9, 0x700000, v9
	v_and_b32_e32 v11, 0x80000000, v11
	v_lshl_add_u32 v0, v0, 23, v12
	v_or3_b32 v22, v11, v0, v9
.LBB298_237:                            ;   in Loop: Header=BB298_232 Depth=1
	s_or_b64 exec, exec, s[18:19]
.LBB298_238:                            ;   in Loop: Header=BB298_232 Depth=1
	s_or_b64 exec, exec, s[16:17]
.LBB298_239:                            ;   in Loop: Header=BB298_232 Depth=1
	s_or_b64 exec, exec, s[2:3]
	v_lshrrev_b16_e32 v9, 8, v17
	v_cmp_ne_u16_e32 vcc, 0, v9
	s_and_saveexec_b64 s[2:3], vcc
	s_cbranch_execz .LBB298_245
; %bb.240:                              ;   in Loop: Header=BB298_232 Depth=1
	v_cmp_ne_u16_e32 vcc, s30, v9
	v_bfrev_b32_e32 v35, 1
	s_and_saveexec_b64 s[16:17], vcc
	s_cbranch_execz .LBB298_244
; %bb.241:                              ;   in Loop: Header=BB298_232 Depth=1
	v_and_b32_e32 v0, 0x7f, v9
	v_cmp_ne_u32_e32 vcc, s31, v0
	v_mov_b32_e32 v35, 0x7f800001
	s_and_saveexec_b64 s[18:19], vcc
	s_cbranch_execz .LBB298_243
; %bb.242:                              ;   in Loop: Header=BB298_232 Depth=1
	v_and_b32_e32 v19, 7, v9
	v_ffbh_u32_e32 v11, v19
	v_min_u32_e32 v21, 32, v11
	v_subrev_u32_e32 v11, 28, v21
	v_lshlrev_b64 v[11:12], v11, v[9:10]
	v_lshrrev_b32_e32 v20, 3, v0
	v_sub_u32_e32 v9, 29, v21
	v_and_b32_e32 v11, 7, v11
	v_cmp_gt_u32_e32 vcc, 8, v0
	v_cndmask_b32_e32 v0, v20, v9, vcc
	v_cndmask_b32_e32 v9, v19, v11, vcc
	v_lshlrev_b32_e32 v11, 16, v17
	v_bfrev_b32_e32 v12, 60
	v_lshlrev_b32_e32 v9, 20, v9
	v_and_b32_e32 v11, 0x80000000, v11
	v_lshl_add_u32 v0, v0, 23, v12
	v_or3_b32 v35, v11, v0, v9
.LBB298_243:                            ;   in Loop: Header=BB298_232 Depth=1
	s_or_b64 exec, exec, s[18:19]
.LBB298_244:                            ;   in Loop: Header=BB298_232 Depth=1
	s_or_b64 exec, exec, s[16:17]
.LBB298_245:                            ;   in Loop: Header=BB298_232 Depth=1
	s_or_b64 exec, exec, s[2:3]
	v_lshrrev_b32_e32 v9, 16, v17
	v_cmp_ne_u16_sdwa s[16:17], v9, v10 src0_sel:BYTE_0 src1_sel:DWORD
	v_mov_b32_e32 v20, 0
	v_mov_b32_e32 v0, 0
	s_and_saveexec_b64 s[2:3], s[16:17]
	s_cbranch_execz .LBB298_251
; %bb.246:                              ;   in Loop: Header=BB298_232 Depth=1
	v_cmp_ne_u16_sdwa s[18:19], v9, s30 src0_sel:BYTE_0 src1_sel:DWORD
	v_bfrev_b32_e32 v0, 1
	s_and_saveexec_b64 s[16:17], s[18:19]
	s_cbranch_execz .LBB298_250
; %bb.247:                              ;   in Loop: Header=BB298_232 Depth=1
	v_bfe_u32 v11, v17, 16, 7
	v_cmp_ne_u32_e32 vcc, s31, v11
	v_mov_b32_e32 v0, 0x7f800001
	s_and_saveexec_b64 s[18:19], vcc
	s_cbranch_execz .LBB298_249
; %bb.248:                              ;   in Loop: Header=BB298_232 Depth=1
	v_and_b32_e32 v0, 7, v9
	v_ffbh_u32_e32 v19, v0
	v_min_u32_e32 v19, 32, v19
	v_subrev_u32_e32 v21, 28, v19
	v_lshlrev_b64 v[33:34], v21, v[9:10]
	v_lshrrev_b32_e32 v12, 3, v11
	v_sub_u32_e32 v19, 29, v19
	v_and_b32_e32 v21, 7, v33
	v_cmp_gt_u32_e32 vcc, 8, v11
	v_cndmask_b32_e32 v11, v12, v19, vcc
	v_cndmask_b32_e32 v0, v0, v21, vcc
	v_lshlrev_b32_e32 v9, 24, v9
	v_bfrev_b32_e32 v12, 60
	v_lshlrev_b32_e32 v0, 20, v0
	v_and_b32_e32 v9, 0x80000000, v9
	v_lshl_add_u32 v11, v11, 23, v12
	v_or3_b32 v0, v9, v11, v0
.LBB298_249:                            ;   in Loop: Header=BB298_232 Depth=1
	s_or_b64 exec, exec, s[18:19]
.LBB298_250:                            ;   in Loop: Header=BB298_232 Depth=1
	s_or_b64 exec, exec, s[16:17]
.LBB298_251:                            ;   in Loop: Header=BB298_232 Depth=1
	s_or_b64 exec, exec, s[2:3]
	v_cmp_lt_u32_e32 vcc, s7, v17
	s_and_saveexec_b64 s[2:3], vcc
	s_cbranch_execz .LBB298_257
; %bb.252:                              ;   in Loop: Header=BB298_232 Depth=1
	v_lshrrev_b32_e32 v9, 24, v17
	v_cmp_ne_u32_e32 vcc, s30, v9
	v_bfrev_b32_e32 v20, 1
	s_and_saveexec_b64 s[16:17], vcc
	s_cbranch_execz .LBB298_256
; %bb.253:                              ;   in Loop: Header=BB298_232 Depth=1
	v_bfe_u32 v11, v17, 24, 7
	v_cmp_ne_u32_e32 vcc, s31, v11
	v_mov_b32_e32 v20, 0x7f800001
	s_and_saveexec_b64 s[18:19], vcc
	s_cbranch_execz .LBB298_255
; %bb.254:                              ;   in Loop: Header=BB298_232 Depth=1
	v_and_b32_e32 v12, 7, v9
	v_ffbh_u32_e32 v19, v12
	v_min_u32_e32 v23, 32, v19
	v_subrev_u32_e32 v19, 28, v23
	v_lshlrev_b64 v[19:20], v19, v[9:10]
	v_lshrrev_b32_e32 v21, 3, v11
	v_sub_u32_e32 v20, 29, v23
	v_and_b32_e32 v19, 7, v19
	v_cmp_gt_u32_e32 vcc, 8, v11
	v_cndmask_b32_e32 v11, v21, v20, vcc
	v_cndmask_b32_e32 v12, v12, v19, vcc
	v_lshlrev_b32_e32 v9, 24, v9
	v_bfrev_b32_e32 v19, 60
	v_lshlrev_b32_e32 v12, 20, v12
	v_and_b32_e32 v9, 0x80000000, v9
	v_lshl_add_u32 v11, v11, 23, v19
	v_or3_b32 v20, v9, v11, v12
.LBB298_255:                            ;   in Loop: Header=BB298_232 Depth=1
	s_or_b64 exec, exec, s[18:19]
.LBB298_256:                            ;   in Loop: Header=BB298_232 Depth=1
	s_or_b64 exec, exec, s[16:17]
.LBB298_257:                            ;   in Loop: Header=BB298_232 Depth=1
	s_or_b64 exec, exec, s[2:3]
	v_mov_b32_e32 v9, v18
	v_cmp_ne_u16_sdwa s[16:17], v18, v10 src0_sel:BYTE_0 src1_sel:DWORD
	v_mov_b32_e32 v23, 0
	v_mov_b32_e32 v21, 0
	s_and_saveexec_b64 s[2:3], s[16:17]
	s_cbranch_execz .LBB298_263
; %bb.258:                              ;   in Loop: Header=BB298_232 Depth=1
	v_cmp_ne_u16_sdwa s[18:19], v18, s30 src0_sel:BYTE_0 src1_sel:DWORD
	v_bfrev_b32_e32 v21, 1
	s_and_saveexec_b64 s[16:17], s[18:19]
	s_cbranch_execz .LBB298_262
; %bb.259:                              ;   in Loop: Header=BB298_232 Depth=1
	v_and_b32_e32 v11, 0x7f, v18
	v_cmp_ne_u32_e32 vcc, s31, v11
	v_mov_b32_e32 v21, 0x7f800001
	s_and_saveexec_b64 s[18:19], vcc
	s_cbranch_execz .LBB298_261
; %bb.260:                              ;   in Loop: Header=BB298_232 Depth=1
	v_and_b32_e32 v12, 7, v18
	v_ffbh_u32_e32 v12, v12
	v_min_u32_e32 v12, 32, v12
	v_subrev_u32_e32 v21, 28, v12
	v_cmp_gt_u32_e32 vcc, 8, v11
	v_lshrrev_b32_e32 v19, 3, v11
	v_sub_u32_e32 v12, 29, v12
	v_cndmask_b32_e32 v11, 0, v21, vcc
	v_cndmask_b32_e32 v19, v19, v12, vcc
	v_lshlrev_b64 v[11:12], v11, v[9:10]
	v_lshlrev_b32_e32 v12, 24, v9
	v_lshlrev_b32_e32 v11, 20, v11
	v_bfrev_b32_e32 v21, 60
	v_and_b32_e32 v11, 0x700000, v11
	v_and_b32_e32 v12, 0x80000000, v12
	v_lshl_add_u32 v19, v19, 23, v21
	v_or3_b32 v21, v12, v19, v11
.LBB298_261:                            ;   in Loop: Header=BB298_232 Depth=1
	s_or_b64 exec, exec, s[18:19]
.LBB298_262:                            ;   in Loop: Header=BB298_232 Depth=1
	s_or_b64 exec, exec, s[16:17]
.LBB298_263:                            ;   in Loop: Header=BB298_232 Depth=1
	s_or_b64 exec, exec, s[2:3]
	v_lshrrev_b16_e32 v19, 8, v9
	v_cmp_ne_u16_e32 vcc, 0, v19
	s_and_saveexec_b64 s[2:3], vcc
	s_cbranch_execz .LBB298_269
; %bb.264:                              ;   in Loop: Header=BB298_232 Depth=1
	v_cmp_ne_u16_e32 vcc, s30, v19
	v_bfrev_b32_e32 v23, 1
	s_and_saveexec_b64 s[16:17], vcc
	s_cbranch_execz .LBB298_268
; %bb.265:                              ;   in Loop: Header=BB298_232 Depth=1
	v_and_b32_e32 v11, 0x7f, v19
	v_cmp_ne_u32_e32 vcc, s31, v11
	v_mov_b32_e32 v23, 0x7f800001
	s_and_saveexec_b64 s[18:19], vcc
	s_cbranch_execz .LBB298_267
; %bb.266:                              ;   in Loop: Header=BB298_232 Depth=1
	v_and_b32_e32 v12, 7, v19
	v_ffbh_u32_e32 v33, v12
	v_min_u32_e32 v36, 32, v33
	v_subrev_u32_e32 v33, 28, v36
	v_lshlrev_b64 v[33:34], v33, v[19:20]
	v_lshrrev_b32_e32 v23, 3, v11
	v_sub_u32_e32 v19, 29, v36
	v_and_b32_e32 v33, 7, v33
	v_cmp_gt_u32_e32 vcc, 8, v11
	v_cndmask_b32_e32 v11, v23, v19, vcc
	v_cndmask_b32_e32 v12, v12, v33, vcc
	v_lshlrev_b32_e32 v9, 16, v9
	v_bfrev_b32_e32 v19, 60
	v_lshlrev_b32_e32 v12, 20, v12
	v_and_b32_e32 v9, 0x80000000, v9
	v_lshl_add_u32 v11, v11, 23, v19
	v_or3_b32 v23, v9, v11, v12
.LBB298_267:                            ;   in Loop: Header=BB298_232 Depth=1
	s_or_b64 exec, exec, s[18:19]
.LBB298_268:                            ;   in Loop: Header=BB298_232 Depth=1
	s_or_b64 exec, exec, s[16:17]
.LBB298_269:                            ;   in Loop: Header=BB298_232 Depth=1
	s_or_b64 exec, exec, s[2:3]
	v_lshrrev_b32_e32 v9, 16, v18
	v_cmp_ne_u16_sdwa s[16:17], v9, v10 src0_sel:BYTE_0 src1_sel:DWORD
	v_mov_b32_e32 v19, 0
	v_mov_b32_e32 v11, 0
	s_and_saveexec_b64 s[2:3], s[16:17]
	s_cbranch_execz .LBB298_275
; %bb.270:                              ;   in Loop: Header=BB298_232 Depth=1
	v_cmp_ne_u16_sdwa s[18:19], v9, s30 src0_sel:BYTE_0 src1_sel:DWORD
	v_bfrev_b32_e32 v11, 1
	s_and_saveexec_b64 s[16:17], s[18:19]
	s_cbranch_execz .LBB298_274
; %bb.271:                              ;   in Loop: Header=BB298_232 Depth=1
	v_bfe_u32 v12, v18, 16, 7
	v_cmp_ne_u32_e32 vcc, s31, v12
	v_mov_b32_e32 v11, 0x7f800001
	s_and_saveexec_b64 s[18:19], vcc
	s_cbranch_execz .LBB298_273
; %bb.272:                              ;   in Loop: Header=BB298_232 Depth=1
	v_and_b32_e32 v11, 7, v9
	v_ffbh_u32_e32 v33, v11
	v_min_u32_e32 v37, 32, v33
	v_subrev_u32_e32 v33, 28, v37
	v_lshlrev_b64 v[33:34], v33, v[9:10]
	v_lshrrev_b32_e32 v36, 3, v12
	v_sub_u32_e32 v34, 29, v37
	v_and_b32_e32 v33, 7, v33
	v_cmp_gt_u32_e32 vcc, 8, v12
	v_cndmask_b32_e32 v12, v36, v34, vcc
	v_cndmask_b32_e32 v11, v11, v33, vcc
	v_lshlrev_b32_e32 v9, 24, v9
	v_bfrev_b32_e32 v24, 60
	v_lshlrev_b32_e32 v11, 20, v11
	v_and_b32_e32 v9, 0x80000000, v9
	v_lshl_add_u32 v12, v12, 23, v24
	v_or3_b32 v11, v9, v12, v11
.LBB298_273:                            ;   in Loop: Header=BB298_232 Depth=1
	s_or_b64 exec, exec, s[18:19]
.LBB298_274:                            ;   in Loop: Header=BB298_232 Depth=1
	s_or_b64 exec, exec, s[16:17]
.LBB298_275:                            ;   in Loop: Header=BB298_232 Depth=1
	s_or_b64 exec, exec, s[2:3]
	v_cmp_lt_u64_e32 vcc, s[6:7], v[17:18]
	s_and_saveexec_b64 s[2:3], vcc
	s_cbranch_execz .LBB298_281
; %bb.276:                              ;   in Loop: Header=BB298_232 Depth=1
	v_lshrrev_b32_e32 v9, 24, v18
	v_cmp_ne_u32_e32 vcc, s30, v9
	v_bfrev_b32_e32 v19, 1
	s_and_saveexec_b64 s[16:17], vcc
	s_cbranch_execz .LBB298_280
; %bb.277:                              ;   in Loop: Header=BB298_232 Depth=1
	v_bfe_u32 v12, v18, 24, 7
	v_cmp_ne_u32_e32 vcc, s31, v12
	v_mov_b32_e32 v19, 0x7f800001
	s_and_saveexec_b64 s[18:19], vcc
	s_cbranch_execz .LBB298_279
; %bb.278:                              ;   in Loop: Header=BB298_232 Depth=1
	v_and_b32_e32 v19, 7, v9
	v_ffbh_u32_e32 v17, v19
	v_min_u32_e32 v34, 32, v17
	v_subrev_u32_e32 v17, 28, v34
	v_lshlrev_b64 v[17:18], v17, v[9:10]
	v_lshrrev_b32_e32 v33, 3, v12
	v_sub_u32_e32 v18, 29, v34
	v_and_b32_e32 v17, 7, v17
	v_cmp_gt_u32_e32 vcc, 8, v12
	v_cndmask_b32_e32 v12, v33, v18, vcc
	v_cndmask_b32_e32 v17, v19, v17, vcc
	v_lshlrev_b32_e32 v9, 24, v9
	v_bfrev_b32_e32 v18, 60
	v_lshlrev_b32_e32 v17, 20, v17
	v_and_b32_e32 v9, 0x80000000, v9
	v_lshl_add_u32 v12, v12, 23, v18
	v_or3_b32 v19, v9, v12, v17
.LBB298_279:                            ;   in Loop: Header=BB298_232 Depth=1
	s_or_b64 exec, exec, s[18:19]
.LBB298_280:                            ;   in Loop: Header=BB298_232 Depth=1
	s_or_b64 exec, exec, s[16:17]
.LBB298_281:                            ;   in Loop: Header=BB298_232 Depth=1
	s_or_b64 exec, exec, s[2:3]
	buffer_load_dword v9, off, s[60:63], 0 offset:12 ; 4-byte Folded Reload
	s_waitcnt lgkmcnt(0)
	v_mul_f32_e32 v0, s35, v0
	s_waitcnt vmcnt(0)
	v_add_u32_e32 v41, v9, v25
	buffer_load_dword v9, off, s[60:63], 0  ; 4-byte Folded Reload
	v_add_u32_e32 v48, 1, v41
	v_add_u32_e32 v47, 2, v41
	;; [unrolled: 1-line block ×7, first 2 shown]
	s_waitcnt vmcnt(0)
	v_cmp_eq_u32_e32 vcc, s37, v9
	v_mul_f32_e32 v9, s35, v23
	v_bfe_u32 v12, v9, 16, 1
	v_add3_u32 v12, v12, v9, s34
	v_or_b32_e32 v17, 0x400000, v9
	v_cmp_u_f32_e64 s[2:3], v9, v9
	v_cndmask_b32_e64 v9, v12, v17, s[2:3]
	v_lshrrev_b32_e32 v33, 16, v9
	v_mul_f32_e32 v9, s35, v21
	v_bfe_u32 v12, v9, 16, 1
	v_add3_u32 v12, v12, v9, s34
	v_or_b32_e32 v17, 0x400000, v9
	v_cmp_u_f32_e64 s[2:3], v9, v9
	v_cndmask_b32_e64 v9, v12, v17, s[2:3]
	v_lshrrev_b32_e32 v34, 16, v9
	;; [unrolled: 7-line block ×3, first 2 shown]
	v_bfe_u32 v9, v0, 16, 1
	v_add3_u32 v9, v9, v0, s34
	v_or_b32_e32 v12, 0x400000, v0
	v_cmp_u_f32_e64 s[2:3], v0, v0
	v_cndmask_b32_e64 v0, v9, v12, s[2:3]
	v_lshrrev_b32_e32 v37, 16, v0
	v_mul_f32_e32 v0, s35, v35
	v_bfe_u32 v9, v0, 16, 1
	v_add3_u32 v9, v9, v0, s34
	v_or_b32_e32 v12, 0x400000, v0
	v_cmp_u_f32_e64 s[2:3], v0, v0
	v_cndmask_b32_e64 v0, v9, v12, s[2:3]
	v_lshrrev_b32_e32 v39, 16, v0
	v_mul_f32_e32 v0, s35, v22
	;; [unrolled: 7-line block ×4, first 2 shown]
	v_bfe_u32 v9, v0, 16, 1
	v_add3_u32 v9, v9, v0, s34
	v_or_b32_e32 v11, 0x400000, v0
	v_cmp_u_f32_e64 s[2:3], v0, v0
	v_cndmask_b32_e64 v0, v9, v11, s[2:3]
	v_lshrrev_b32_e32 v38, 16, v0
	s_and_saveexec_b64 s[16:17], vcc
	s_cbranch_execz .LBB298_283
; %bb.282:                              ;   in Loop: Header=BB298_232 Depth=1
	v_cmp_gt_i32_e64 s[2:3], s25, v41
	v_cndmask_b32_e64 v40, 0, v40, s[2:3]
	v_cmp_gt_i32_e64 s[2:3], s25, v48
	v_cndmask_b32_e64 v39, 0, v39, s[2:3]
	;; [unrolled: 2-line block ×8, first 2 shown]
.LBB298_283:                            ;   in Loop: Header=BB298_232 Depth=1
	s_or_b64 exec, exec, s[16:17]
	global_load_dwordx2 v[17:18], v[15:16], off offset:512
	v_mov_b32_e32 v51, 0
	v_mov_b32_e32 v22, 0
	s_waitcnt vmcnt(0)
	v_cmp_ne_u16_sdwa s[2:3], v17, v10 src0_sel:BYTE_0 src1_sel:DWORD
	s_and_saveexec_b64 s[16:17], s[2:3]
	s_cbranch_execz .LBB298_289
; %bb.284:                              ;   in Loop: Header=BB298_232 Depth=1
	v_cmp_ne_u16_sdwa s[2:3], v17, s30 src0_sel:BYTE_0 src1_sel:DWORD
	v_bfrev_b32_e32 v22, 1
	s_and_saveexec_b64 s[18:19], s[2:3]
	s_cbranch_execz .LBB298_288
; %bb.285:                              ;   in Loop: Header=BB298_232 Depth=1
	v_and_b32_e32 v0, 0x7f, v17
	v_cmp_ne_u32_e64 s[2:3], s31, v0
	v_mov_b32_e32 v22, 0x7f800001
	s_and_saveexec_b64 s[20:21], s[2:3]
	s_cbranch_execz .LBB298_287
; %bb.286:                              ;   in Loop: Header=BB298_232 Depth=1
	v_and_b32_e32 v9, 7, v17
	v_ffbh_u32_e32 v9, v9
	v_min_u32_e32 v9, 32, v9
	v_lshrrev_b32_e32 v11, 3, v0
	v_subrev_u32_e32 v12, 28, v9
	v_sub_u32_e32 v9, 29, v9
	v_cmp_gt_u32_e64 s[2:3], 8, v0
	v_cndmask_b32_e64 v0, v11, v9, s[2:3]
	v_cndmask_b32_e64 v9, 0, v12, s[2:3]
	v_lshlrev_b64 v[11:12], v9, v[17:18]
	v_bfrev_b32_e32 v12, 60
	v_lshlrev_b32_e32 v9, 20, v11
	v_lshlrev_b32_e32 v11, 24, v17
	v_and_b32_e32 v9, 0x700000, v9
	v_and_b32_e32 v11, 0x80000000, v11
	v_lshl_add_u32 v0, v0, 23, v12
	v_or3_b32 v22, v11, v0, v9
.LBB298_287:                            ;   in Loop: Header=BB298_232 Depth=1
	s_or_b64 exec, exec, s[20:21]
.LBB298_288:                            ;   in Loop: Header=BB298_232 Depth=1
	s_or_b64 exec, exec, s[18:19]
.LBB298_289:                            ;   in Loop: Header=BB298_232 Depth=1
	s_or_b64 exec, exec, s[16:17]
	v_lshrrev_b16_e32 v9, 8, v17
	v_cmp_ne_u16_e64 s[2:3], 0, v9
	s_and_saveexec_b64 s[16:17], s[2:3]
	s_cbranch_execz .LBB298_295
; %bb.290:                              ;   in Loop: Header=BB298_232 Depth=1
	v_cmp_ne_u16_e64 s[2:3], s30, v9
	v_bfrev_b32_e32 v51, 1
	s_and_saveexec_b64 s[18:19], s[2:3]
	s_cbranch_execz .LBB298_294
; %bb.291:                              ;   in Loop: Header=BB298_232 Depth=1
	v_and_b32_e32 v0, 0x7f, v9
	v_cmp_ne_u32_e64 s[2:3], s31, v0
	v_mov_b32_e32 v51, 0x7f800001
	s_and_saveexec_b64 s[20:21], s[2:3]
	s_cbranch_execz .LBB298_293
; %bb.292:                              ;   in Loop: Header=BB298_232 Depth=1
	v_and_b32_e32 v19, 7, v9
	v_ffbh_u32_e32 v11, v19
	v_min_u32_e32 v21, 32, v11
	v_subrev_u32_e32 v11, 28, v21
	v_lshlrev_b64 v[11:12], v11, v[9:10]
	v_lshrrev_b32_e32 v20, 3, v0
	v_sub_u32_e32 v9, 29, v21
	v_and_b32_e32 v11, 7, v11
	v_cmp_gt_u32_e64 s[2:3], 8, v0
	v_cndmask_b32_e64 v0, v20, v9, s[2:3]
	v_cndmask_b32_e64 v9, v19, v11, s[2:3]
	v_lshlrev_b32_e32 v11, 16, v17
	v_bfrev_b32_e32 v12, 60
	v_lshlrev_b32_e32 v9, 20, v9
	v_and_b32_e32 v11, 0x80000000, v11
	v_lshl_add_u32 v0, v0, 23, v12
	v_or3_b32 v51, v11, v0, v9
.LBB298_293:                            ;   in Loop: Header=BB298_232 Depth=1
	s_or_b64 exec, exec, s[20:21]
.LBB298_294:                            ;   in Loop: Header=BB298_232 Depth=1
	s_or_b64 exec, exec, s[18:19]
.LBB298_295:                            ;   in Loop: Header=BB298_232 Depth=1
	s_or_b64 exec, exec, s[16:17]
	v_lshrrev_b32_e32 v9, 16, v17
	v_cmp_ne_u16_sdwa s[2:3], v9, v10 src0_sel:BYTE_0 src1_sel:DWORD
	v_mov_b32_e32 v20, 0
	v_mov_b32_e32 v0, 0
	s_and_saveexec_b64 s[16:17], s[2:3]
	s_cbranch_execz .LBB298_301
; %bb.296:                              ;   in Loop: Header=BB298_232 Depth=1
	v_cmp_ne_u16_sdwa s[2:3], v9, s30 src0_sel:BYTE_0 src1_sel:DWORD
	v_bfrev_b32_e32 v0, 1
	s_and_saveexec_b64 s[18:19], s[2:3]
	s_cbranch_execz .LBB298_300
; %bb.297:                              ;   in Loop: Header=BB298_232 Depth=1
	v_bfe_u32 v11, v17, 16, 7
	v_cmp_ne_u32_e64 s[2:3], s31, v11
	v_mov_b32_e32 v0, 0x7f800001
	s_and_saveexec_b64 s[20:21], s[2:3]
	s_cbranch_execz .LBB298_299
; %bb.298:                              ;   in Loop: Header=BB298_232 Depth=1
	v_and_b32_e32 v0, 7, v9
	v_ffbh_u32_e32 v19, v0
	v_min_u32_e32 v19, 32, v19
	v_subrev_u32_e32 v21, 28, v19
	v_lshlrev_b64 v[49:50], v21, v[9:10]
	v_lshrrev_b32_e32 v12, 3, v11
	v_sub_u32_e32 v19, 29, v19
	v_and_b32_e32 v21, 7, v49
	v_cmp_gt_u32_e64 s[2:3], 8, v11
	v_cndmask_b32_e64 v11, v12, v19, s[2:3]
	v_cndmask_b32_e64 v0, v0, v21, s[2:3]
	v_lshlrev_b32_e32 v9, 24, v9
	v_bfrev_b32_e32 v12, 60
	v_lshlrev_b32_e32 v0, 20, v0
	v_and_b32_e32 v9, 0x80000000, v9
	v_lshl_add_u32 v11, v11, 23, v12
	v_or3_b32 v0, v9, v11, v0
.LBB298_299:                            ;   in Loop: Header=BB298_232 Depth=1
	s_or_b64 exec, exec, s[20:21]
.LBB298_300:                            ;   in Loop: Header=BB298_232 Depth=1
	s_or_b64 exec, exec, s[18:19]
.LBB298_301:                            ;   in Loop: Header=BB298_232 Depth=1
	s_or_b64 exec, exec, s[16:17]
	v_cmp_lt_u32_e64 s[2:3], s7, v17
	s_and_saveexec_b64 s[16:17], s[2:3]
	s_cbranch_execz .LBB298_307
; %bb.302:                              ;   in Loop: Header=BB298_232 Depth=1
	v_lshrrev_b32_e32 v9, 24, v17
	v_cmp_ne_u32_e64 s[2:3], s30, v9
	v_bfrev_b32_e32 v20, 1
	s_and_saveexec_b64 s[18:19], s[2:3]
	s_cbranch_execz .LBB298_306
; %bb.303:                              ;   in Loop: Header=BB298_232 Depth=1
	v_bfe_u32 v11, v17, 24, 7
	v_cmp_ne_u32_e64 s[2:3], s31, v11
	v_mov_b32_e32 v20, 0x7f800001
	s_and_saveexec_b64 s[20:21], s[2:3]
	s_cbranch_execz .LBB298_305
; %bb.304:                              ;   in Loop: Header=BB298_232 Depth=1
	v_and_b32_e32 v12, 7, v9
	v_ffbh_u32_e32 v19, v12
	v_min_u32_e32 v23, 32, v19
	v_subrev_u32_e32 v19, 28, v23
	v_lshlrev_b64 v[19:20], v19, v[9:10]
	v_lshrrev_b32_e32 v21, 3, v11
	v_sub_u32_e32 v20, 29, v23
	v_and_b32_e32 v19, 7, v19
	v_cmp_gt_u32_e64 s[2:3], 8, v11
	v_cndmask_b32_e64 v11, v21, v20, s[2:3]
	v_cndmask_b32_e64 v12, v12, v19, s[2:3]
	v_lshlrev_b32_e32 v9, 24, v9
	v_bfrev_b32_e32 v19, 60
	v_lshlrev_b32_e32 v12, 20, v12
	v_and_b32_e32 v9, 0x80000000, v9
	v_lshl_add_u32 v11, v11, 23, v19
	v_or3_b32 v20, v9, v11, v12
.LBB298_305:                            ;   in Loop: Header=BB298_232 Depth=1
	s_or_b64 exec, exec, s[20:21]
.LBB298_306:                            ;   in Loop: Header=BB298_232 Depth=1
	s_or_b64 exec, exec, s[18:19]
.LBB298_307:                            ;   in Loop: Header=BB298_232 Depth=1
	s_or_b64 exec, exec, s[16:17]
	v_mov_b32_e32 v9, v18
	v_cmp_ne_u16_sdwa s[2:3], v18, v10 src0_sel:BYTE_0 src1_sel:DWORD
	v_mov_b32_e32 v23, 0
	v_mov_b32_e32 v21, 0
	s_and_saveexec_b64 s[16:17], s[2:3]
	s_cbranch_execz .LBB298_313
; %bb.308:                              ;   in Loop: Header=BB298_232 Depth=1
	v_cmp_ne_u16_sdwa s[2:3], v18, s30 src0_sel:BYTE_0 src1_sel:DWORD
	v_bfrev_b32_e32 v21, 1
	s_and_saveexec_b64 s[18:19], s[2:3]
	s_cbranch_execz .LBB298_312
; %bb.309:                              ;   in Loop: Header=BB298_232 Depth=1
	v_and_b32_e32 v11, 0x7f, v18
	v_cmp_ne_u32_e64 s[2:3], s31, v11
	v_mov_b32_e32 v21, 0x7f800001
	s_and_saveexec_b64 s[20:21], s[2:3]
	s_cbranch_execz .LBB298_311
; %bb.310:                              ;   in Loop: Header=BB298_232 Depth=1
	v_and_b32_e32 v12, 7, v18
	v_ffbh_u32_e32 v12, v12
	v_min_u32_e32 v12, 32, v12
	v_subrev_u32_e32 v21, 28, v12
	v_cmp_gt_u32_e64 s[2:3], 8, v11
	v_lshrrev_b32_e32 v19, 3, v11
	v_sub_u32_e32 v12, 29, v12
	v_cndmask_b32_e64 v11, 0, v21, s[2:3]
	v_cndmask_b32_e64 v19, v19, v12, s[2:3]
	v_lshlrev_b64 v[11:12], v11, v[9:10]
	v_lshlrev_b32_e32 v12, 24, v9
	v_lshlrev_b32_e32 v11, 20, v11
	v_bfrev_b32_e32 v21, 60
	v_and_b32_e32 v11, 0x700000, v11
	v_and_b32_e32 v12, 0x80000000, v12
	v_lshl_add_u32 v19, v19, 23, v21
	v_or3_b32 v21, v12, v19, v11
.LBB298_311:                            ;   in Loop: Header=BB298_232 Depth=1
	s_or_b64 exec, exec, s[20:21]
.LBB298_312:                            ;   in Loop: Header=BB298_232 Depth=1
	s_or_b64 exec, exec, s[18:19]
.LBB298_313:                            ;   in Loop: Header=BB298_232 Depth=1
	s_or_b64 exec, exec, s[16:17]
	v_lshrrev_b16_e32 v19, 8, v9
	v_cmp_ne_u16_e64 s[2:3], 0, v19
	s_and_saveexec_b64 s[16:17], s[2:3]
	s_cbranch_execz .LBB298_319
; %bb.314:                              ;   in Loop: Header=BB298_232 Depth=1
	v_cmp_ne_u16_e64 s[2:3], s30, v19
	v_bfrev_b32_e32 v23, 1
	s_and_saveexec_b64 s[18:19], s[2:3]
	s_cbranch_execz .LBB298_318
; %bb.315:                              ;   in Loop: Header=BB298_232 Depth=1
	v_and_b32_e32 v11, 0x7f, v19
	v_cmp_ne_u32_e64 s[2:3], s31, v11
	v_mov_b32_e32 v23, 0x7f800001
	s_and_saveexec_b64 s[20:21], s[2:3]
	s_cbranch_execz .LBB298_317
; %bb.316:                              ;   in Loop: Header=BB298_232 Depth=1
	v_and_b32_e32 v12, 7, v19
	v_ffbh_u32_e32 v49, v12
	v_min_u32_e32 v52, 32, v49
	v_subrev_u32_e32 v49, 28, v52
	v_lshlrev_b64 v[49:50], v49, v[19:20]
	v_lshrrev_b32_e32 v23, 3, v11
	v_sub_u32_e32 v19, 29, v52
	v_and_b32_e32 v49, 7, v49
	v_cmp_gt_u32_e64 s[2:3], 8, v11
	v_cndmask_b32_e64 v11, v23, v19, s[2:3]
	v_cndmask_b32_e64 v12, v12, v49, s[2:3]
	v_lshlrev_b32_e32 v9, 16, v9
	v_bfrev_b32_e32 v19, 60
	v_lshlrev_b32_e32 v12, 20, v12
	v_and_b32_e32 v9, 0x80000000, v9
	v_lshl_add_u32 v11, v11, 23, v19
	v_or3_b32 v23, v9, v11, v12
.LBB298_317:                            ;   in Loop: Header=BB298_232 Depth=1
	s_or_b64 exec, exec, s[20:21]
.LBB298_318:                            ;   in Loop: Header=BB298_232 Depth=1
	s_or_b64 exec, exec, s[18:19]
.LBB298_319:                            ;   in Loop: Header=BB298_232 Depth=1
	s_or_b64 exec, exec, s[16:17]
	v_lshrrev_b32_e32 v9, 16, v18
	v_cmp_ne_u16_sdwa s[2:3], v9, v10 src0_sel:BYTE_0 src1_sel:DWORD
	v_mov_b32_e32 v19, 0
	v_mov_b32_e32 v11, 0
	s_and_saveexec_b64 s[16:17], s[2:3]
	s_cbranch_execz .LBB298_325
; %bb.320:                              ;   in Loop: Header=BB298_232 Depth=1
	v_cmp_ne_u16_sdwa s[2:3], v9, s30 src0_sel:BYTE_0 src1_sel:DWORD
	v_bfrev_b32_e32 v11, 1
	s_and_saveexec_b64 s[18:19], s[2:3]
	s_cbranch_execz .LBB298_324
; %bb.321:                              ;   in Loop: Header=BB298_232 Depth=1
	v_bfe_u32 v12, v18, 16, 7
	v_cmp_ne_u32_e64 s[2:3], s31, v12
	v_mov_b32_e32 v11, 0x7f800001
	s_and_saveexec_b64 s[20:21], s[2:3]
	s_cbranch_execz .LBB298_323
; %bb.322:                              ;   in Loop: Header=BB298_232 Depth=1
	v_and_b32_e32 v11, 7, v9
	v_ffbh_u32_e32 v49, v11
	v_min_u32_e32 v53, 32, v49
	v_subrev_u32_e32 v49, 28, v53
	v_lshlrev_b64 v[49:50], v49, v[9:10]
	v_lshrrev_b32_e32 v52, 3, v12
	v_sub_u32_e32 v50, 29, v53
	v_and_b32_e32 v49, 7, v49
	v_cmp_gt_u32_e64 s[2:3], 8, v12
	v_cndmask_b32_e64 v12, v52, v50, s[2:3]
	v_cndmask_b32_e64 v11, v11, v49, s[2:3]
	v_lshlrev_b32_e32 v9, 24, v9
	v_bfrev_b32_e32 v24, 60
	v_lshlrev_b32_e32 v11, 20, v11
	v_and_b32_e32 v9, 0x80000000, v9
	v_lshl_add_u32 v12, v12, 23, v24
	v_or3_b32 v11, v9, v12, v11
.LBB298_323:                            ;   in Loop: Header=BB298_232 Depth=1
	s_or_b64 exec, exec, s[20:21]
.LBB298_324:                            ;   in Loop: Header=BB298_232 Depth=1
	s_or_b64 exec, exec, s[18:19]
.LBB298_325:                            ;   in Loop: Header=BB298_232 Depth=1
	s_or_b64 exec, exec, s[16:17]
	v_cmp_lt_u64_e64 s[2:3], s[6:7], v[17:18]
	s_and_saveexec_b64 s[16:17], s[2:3]
	s_cbranch_execz .LBB298_331
; %bb.326:                              ;   in Loop: Header=BB298_232 Depth=1
	v_lshrrev_b32_e32 v9, 24, v18
	v_cmp_ne_u32_e64 s[2:3], s30, v9
	v_bfrev_b32_e32 v19, 1
	s_and_saveexec_b64 s[18:19], s[2:3]
	s_cbranch_execz .LBB298_330
; %bb.327:                              ;   in Loop: Header=BB298_232 Depth=1
	v_bfe_u32 v12, v18, 24, 7
	v_cmp_ne_u32_e64 s[2:3], s31, v12
	v_mov_b32_e32 v19, 0x7f800001
	s_and_saveexec_b64 s[20:21], s[2:3]
	s_cbranch_execz .LBB298_329
; %bb.328:                              ;   in Loop: Header=BB298_232 Depth=1
	v_and_b32_e32 v19, 7, v9
	v_ffbh_u32_e32 v17, v19
	v_min_u32_e32 v50, 32, v17
	v_subrev_u32_e32 v17, 28, v50
	v_lshlrev_b64 v[17:18], v17, v[9:10]
	v_lshrrev_b32_e32 v49, 3, v12
	v_sub_u32_e32 v18, 29, v50
	v_and_b32_e32 v17, 7, v17
	v_cmp_gt_u32_e64 s[2:3], 8, v12
	v_cndmask_b32_e64 v12, v49, v18, s[2:3]
	v_cndmask_b32_e64 v17, v19, v17, s[2:3]
	v_lshlrev_b32_e32 v9, 24, v9
	v_bfrev_b32_e32 v18, 60
	v_lshlrev_b32_e32 v17, 20, v17
	v_and_b32_e32 v9, 0x80000000, v9
	v_lshl_add_u32 v12, v12, 23, v18
	v_or3_b32 v19, v9, v12, v17
.LBB298_329:                            ;   in Loop: Header=BB298_232 Depth=1
	s_or_b64 exec, exec, s[20:21]
.LBB298_330:                            ;   in Loop: Header=BB298_232 Depth=1
	s_or_b64 exec, exec, s[18:19]
.LBB298_331:                            ;   in Loop: Header=BB298_232 Depth=1
	s_or_b64 exec, exec, s[16:17]
	v_mul_f32_e32 v9, s35, v23
	v_bfe_u32 v12, v9, 16, 1
	v_add3_u32 v12, v12, v9, s34
	v_or_b32_e32 v17, 0x400000, v9
	v_cmp_u_f32_e64 s[2:3], v9, v9
	v_cndmask_b32_e64 v9, v12, v17, s[2:3]
	v_lshrrev_b32_e32 v49, 16, v9
	v_mul_f32_e32 v9, s35, v21
	v_bfe_u32 v12, v9, 16, 1
	v_add3_u32 v12, v12, v9, s34
	v_or_b32_e32 v17, 0x400000, v9
	v_cmp_u_f32_e64 s[2:3], v9, v9
	v_cndmask_b32_e64 v9, v12, v17, s[2:3]
	v_lshrrev_b32_e32 v50, 16, v9
	v_mul_f32_e32 v9, s35, v20
	v_bfe_u32 v12, v9, 16, 1
	v_add3_u32 v12, v12, v9, s34
	v_or_b32_e32 v17, 0x400000, v9
	v_cmp_u_f32_e64 s[2:3], v9, v9
	v_cndmask_b32_e64 v9, v12, v17, s[2:3]
	v_mul_f32_e32 v0, s35, v0
	v_lshrrev_b32_e32 v52, 16, v9
	v_bfe_u32 v9, v0, 16, 1
	v_add3_u32 v9, v9, v0, s34
	v_or_b32_e32 v12, 0x400000, v0
	v_cmp_u_f32_e64 s[2:3], v0, v0
	v_cndmask_b32_e64 v0, v9, v12, s[2:3]
	v_lshrrev_b32_e32 v53, 16, v0
	v_mul_f32_e32 v0, s35, v51
	v_bfe_u32 v9, v0, 16, 1
	v_add3_u32 v9, v9, v0, s34
	v_or_b32_e32 v12, 0x400000, v0
	v_cmp_u_f32_e64 s[2:3], v0, v0
	v_cndmask_b32_e64 v0, v9, v12, s[2:3]
	v_lshrrev_b32_e32 v55, 16, v0
	v_mul_f32_e32 v0, s35, v22
	;; [unrolled: 7-line block ×4, first 2 shown]
	v_bfe_u32 v9, v0, 16, 1
	v_add3_u32 v9, v9, v0, s34
	v_or_b32_e32 v11, 0x400000, v0
	v_cmp_u_f32_e64 s[2:3], v0, v0
	v_cndmask_b32_e64 v0, v9, v11, s[2:3]
	v_lshrrev_b32_e32 v54, 16, v0
	s_and_saveexec_b64 s[16:17], vcc
	s_cbranch_execz .LBB298_333
; %bb.332:                              ;   in Loop: Header=BB298_232 Depth=1
	v_cmp_gt_i32_e64 s[2:3], s25, v41
	v_cndmask_b32_e64 v56, 0, v56, s[2:3]
	v_cmp_gt_i32_e64 s[2:3], s25, v48
	v_cndmask_b32_e64 v55, 0, v55, s[2:3]
	;; [unrolled: 2-line block ×8, first 2 shown]
.LBB298_333:                            ;   in Loop: Header=BB298_232 Depth=1
	s_or_b64 exec, exec, s[16:17]
	global_load_dwordx2 v[17:18], v[15:16], off offset:1024
	v_mov_b32_e32 v22, 0
	v_mov_b32_e32 v57, 0
	s_waitcnt vmcnt(0)
	v_cmp_ne_u16_sdwa s[2:3], v17, v10 src0_sel:BYTE_0 src1_sel:DWORD
	s_and_saveexec_b64 s[16:17], s[2:3]
	s_cbranch_execz .LBB298_339
; %bb.334:                              ;   in Loop: Header=BB298_232 Depth=1
	v_cmp_ne_u16_sdwa s[2:3], v17, s30 src0_sel:BYTE_0 src1_sel:DWORD
	v_bfrev_b32_e32 v57, 1
	s_and_saveexec_b64 s[18:19], s[2:3]
	s_cbranch_execz .LBB298_338
; %bb.335:                              ;   in Loop: Header=BB298_232 Depth=1
	v_and_b32_e32 v0, 0x7f, v17
	v_cmp_ne_u32_e64 s[2:3], s31, v0
	v_mov_b32_e32 v57, 0x7f800001
	s_and_saveexec_b64 s[20:21], s[2:3]
	s_cbranch_execz .LBB298_337
; %bb.336:                              ;   in Loop: Header=BB298_232 Depth=1
	v_and_b32_e32 v9, 7, v17
	v_ffbh_u32_e32 v9, v9
	v_min_u32_e32 v9, 32, v9
	v_lshrrev_b32_e32 v11, 3, v0
	v_subrev_u32_e32 v12, 28, v9
	v_sub_u32_e32 v9, 29, v9
	v_cmp_gt_u32_e64 s[2:3], 8, v0
	v_cndmask_b32_e64 v0, v11, v9, s[2:3]
	v_cndmask_b32_e64 v9, 0, v12, s[2:3]
	v_lshlrev_b64 v[11:12], v9, v[17:18]
	v_bfrev_b32_e32 v12, 60
	v_lshlrev_b32_e32 v9, 20, v11
	v_lshlrev_b32_e32 v11, 24, v17
	v_and_b32_e32 v9, 0x700000, v9
	v_and_b32_e32 v11, 0x80000000, v11
	v_lshl_add_u32 v0, v0, 23, v12
	v_or3_b32 v57, v11, v0, v9
.LBB298_337:                            ;   in Loop: Header=BB298_232 Depth=1
	s_or_b64 exec, exec, s[20:21]
.LBB298_338:                            ;   in Loop: Header=BB298_232 Depth=1
	s_or_b64 exec, exec, s[18:19]
.LBB298_339:                            ;   in Loop: Header=BB298_232 Depth=1
	s_or_b64 exec, exec, s[16:17]
	v_lshrrev_b16_e32 v9, 8, v17
	v_cmp_ne_u16_e64 s[2:3], 0, v9
	s_and_saveexec_b64 s[16:17], s[2:3]
	s_cbranch_execz .LBB298_345
; %bb.340:                              ;   in Loop: Header=BB298_232 Depth=1
	v_cmp_ne_u16_e64 s[2:3], s30, v9
	v_bfrev_b32_e32 v22, 1
	s_and_saveexec_b64 s[18:19], s[2:3]
	s_cbranch_execz .LBB298_344
; %bb.341:                              ;   in Loop: Header=BB298_232 Depth=1
	v_and_b32_e32 v0, 0x7f, v9
	v_cmp_ne_u32_e64 s[2:3], s31, v0
	v_mov_b32_e32 v22, 0x7f800001
	s_and_saveexec_b64 s[20:21], s[2:3]
	s_cbranch_execz .LBB298_343
; %bb.342:                              ;   in Loop: Header=BB298_232 Depth=1
	v_and_b32_e32 v19, 7, v9
	v_ffbh_u32_e32 v11, v19
	v_min_u32_e32 v21, 32, v11
	v_subrev_u32_e32 v11, 28, v21
	v_lshlrev_b64 v[11:12], v11, v[9:10]
	v_lshrrev_b32_e32 v20, 3, v0
	v_sub_u32_e32 v9, 29, v21
	v_and_b32_e32 v11, 7, v11
	v_cmp_gt_u32_e64 s[2:3], 8, v0
	v_cndmask_b32_e64 v0, v20, v9, s[2:3]
	v_cndmask_b32_e64 v9, v19, v11, s[2:3]
	v_lshlrev_b32_e32 v11, 16, v17
	v_bfrev_b32_e32 v12, 60
	v_lshlrev_b32_e32 v9, 20, v9
	v_and_b32_e32 v11, 0x80000000, v11
	v_lshl_add_u32 v0, v0, 23, v12
	v_or3_b32 v22, v11, v0, v9
.LBB298_343:                            ;   in Loop: Header=BB298_232 Depth=1
	s_or_b64 exec, exec, s[20:21]
.LBB298_344:                            ;   in Loop: Header=BB298_232 Depth=1
	s_or_b64 exec, exec, s[18:19]
.LBB298_345:                            ;   in Loop: Header=BB298_232 Depth=1
	s_or_b64 exec, exec, s[16:17]
	v_lshrrev_b32_e32 v9, 16, v17
	v_cmp_ne_u16_sdwa s[2:3], v9, v10 src0_sel:BYTE_0 src1_sel:DWORD
	v_mov_b32_e32 v20, 0
	v_mov_b32_e32 v0, 0
	s_and_saveexec_b64 s[16:17], s[2:3]
	s_cbranch_execz .LBB298_351
; %bb.346:                              ;   in Loop: Header=BB298_232 Depth=1
	v_cmp_ne_u16_sdwa s[2:3], v9, s30 src0_sel:BYTE_0 src1_sel:DWORD
	v_bfrev_b32_e32 v0, 1
	s_and_saveexec_b64 s[18:19], s[2:3]
	s_cbranch_execz .LBB298_350
; %bb.347:                              ;   in Loop: Header=BB298_232 Depth=1
	v_bfe_u32 v11, v17, 16, 7
	v_cmp_ne_u32_e64 s[2:3], s31, v11
	v_mov_b32_e32 v0, 0x7f800001
	s_and_saveexec_b64 s[20:21], s[2:3]
	s_cbranch_execz .LBB298_349
; %bb.348:                              ;   in Loop: Header=BB298_232 Depth=1
	v_and_b32_e32 v0, 7, v9
	v_lshrrev_b32_e32 v19, 3, v11
	v_cmp_gt_u32_e64 s[2:3], 8, v11
	v_ffbh_u32_e32 v11, v0
	v_min_u32_e32 v21, 32, v11
	v_subrev_u32_e32 v11, 28, v21
	v_lshlrev_b64 v[11:12], v11, v[9:10]
	v_sub_u32_e32 v12, 29, v21
	v_and_b32_e32 v11, 7, v11
	v_cndmask_b32_e64 v12, v19, v12, s[2:3]
	v_cndmask_b32_e64 v0, v0, v11, s[2:3]
	v_lshlrev_b32_e32 v9, 24, v9
	v_bfrev_b32_e32 v11, 60
	v_lshlrev_b32_e32 v0, 20, v0
	v_and_b32_e32 v9, 0x80000000, v9
	v_lshl_add_u32 v11, v12, 23, v11
	v_or3_b32 v0, v9, v11, v0
.LBB298_349:                            ;   in Loop: Header=BB298_232 Depth=1
	s_or_b64 exec, exec, s[20:21]
.LBB298_350:                            ;   in Loop: Header=BB298_232 Depth=1
	s_or_b64 exec, exec, s[18:19]
.LBB298_351:                            ;   in Loop: Header=BB298_232 Depth=1
	s_or_b64 exec, exec, s[16:17]
	v_cmp_lt_u32_e64 s[2:3], s7, v17
	s_and_saveexec_b64 s[16:17], s[2:3]
	s_cbranch_execz .LBB298_357
; %bb.352:                              ;   in Loop: Header=BB298_232 Depth=1
	v_lshrrev_b32_e32 v9, 24, v17
	v_cmp_ne_u32_e64 s[2:3], s30, v9
	v_bfrev_b32_e32 v20, 1
	s_and_saveexec_b64 s[18:19], s[2:3]
	s_cbranch_execz .LBB298_356
; %bb.353:                              ;   in Loop: Header=BB298_232 Depth=1
	v_bfe_u32 v11, v17, 24, 7
	v_cmp_ne_u32_e64 s[2:3], s31, v11
	v_mov_b32_e32 v20, 0x7f800001
	s_and_saveexec_b64 s[20:21], s[2:3]
	s_cbranch_execz .LBB298_355
; %bb.354:                              ;   in Loop: Header=BB298_232 Depth=1
	v_and_b32_e32 v19, 7, v9
	v_lshrrev_b32_e32 v20, 3, v11
	v_cmp_gt_u32_e64 s[2:3], 8, v11
	v_ffbh_u32_e32 v11, v19
	v_min_u32_e32 v21, 32, v11
	v_subrev_u32_e32 v11, 28, v21
	v_lshlrev_b64 v[11:12], v11, v[9:10]
	v_sub_u32_e32 v12, 29, v21
	v_and_b32_e32 v11, 7, v11
	v_cndmask_b32_e64 v12, v20, v12, s[2:3]
	v_cndmask_b32_e64 v11, v19, v11, s[2:3]
	v_lshlrev_b32_e32 v9, 24, v9
	v_bfrev_b32_e32 v19, 60
	v_lshlrev_b32_e32 v11, 20, v11
	v_and_b32_e32 v9, 0x80000000, v9
	v_lshl_add_u32 v12, v12, 23, v19
	v_or3_b32 v20, v9, v12, v11
.LBB298_355:                            ;   in Loop: Header=BB298_232 Depth=1
	s_or_b64 exec, exec, s[20:21]
.LBB298_356:                            ;   in Loop: Header=BB298_232 Depth=1
	s_or_b64 exec, exec, s[18:19]
.LBB298_357:                            ;   in Loop: Header=BB298_232 Depth=1
	s_or_b64 exec, exec, s[16:17]
	v_mov_b32_e32 v9, v18
	v_cmp_ne_u16_sdwa s[2:3], v18, v10 src0_sel:BYTE_0 src1_sel:DWORD
	v_mov_b32_e32 v23, 0
	v_mov_b32_e32 v21, 0
	s_and_saveexec_b64 s[16:17], s[2:3]
	s_cbranch_execz .LBB298_363
; %bb.358:                              ;   in Loop: Header=BB298_232 Depth=1
	v_cmp_ne_u16_sdwa s[2:3], v18, s30 src0_sel:BYTE_0 src1_sel:DWORD
	v_bfrev_b32_e32 v21, 1
	s_and_saveexec_b64 s[18:19], s[2:3]
	s_cbranch_execz .LBB298_362
; %bb.359:                              ;   in Loop: Header=BB298_232 Depth=1
	v_and_b32_e32 v11, 0x7f, v18
	v_cmp_ne_u32_e64 s[2:3], s31, v11
	v_mov_b32_e32 v21, 0x7f800001
	s_and_saveexec_b64 s[20:21], s[2:3]
	s_cbranch_execz .LBB298_361
; %bb.360:                              ;   in Loop: Header=BB298_232 Depth=1
	v_and_b32_e32 v12, 7, v18
	v_lshrrev_b32_e32 v19, 3, v11
	v_cmp_gt_u32_e64 s[2:3], 8, v11
	v_ffbh_u32_e32 v11, v12
	v_min_u32_e32 v11, 32, v11
	v_subrev_u32_e32 v12, 28, v11
	v_sub_u32_e32 v11, 29, v11
	v_cndmask_b32_e64 v19, v19, v11, s[2:3]
	v_cndmask_b32_e64 v11, 0, v12, s[2:3]
	v_lshlrev_b64 v[11:12], v11, v[9:10]
	v_lshlrev_b32_e32 v12, 24, v9
	v_lshlrev_b32_e32 v11, 20, v11
	v_bfrev_b32_e32 v21, 60
	v_and_b32_e32 v11, 0x700000, v11
	v_and_b32_e32 v12, 0x80000000, v12
	v_lshl_add_u32 v19, v19, 23, v21
	v_or3_b32 v21, v12, v19, v11
.LBB298_361:                            ;   in Loop: Header=BB298_232 Depth=1
	s_or_b64 exec, exec, s[20:21]
.LBB298_362:                            ;   in Loop: Header=BB298_232 Depth=1
	s_or_b64 exec, exec, s[18:19]
.LBB298_363:                            ;   in Loop: Header=BB298_232 Depth=1
	s_or_b64 exec, exec, s[16:17]
	v_lshrrev_b16_e32 v19, 8, v9
	v_cmp_ne_u16_e64 s[2:3], 0, v19
	s_and_saveexec_b64 s[16:17], s[2:3]
	s_cbranch_execz .LBB298_369
; %bb.364:                              ;   in Loop: Header=BB298_232 Depth=1
	v_cmp_ne_u16_e64 s[2:3], s30, v19
	v_bfrev_b32_e32 v23, 1
	s_and_saveexec_b64 s[18:19], s[2:3]
	s_cbranch_execz .LBB298_368
; %bb.365:                              ;   in Loop: Header=BB298_232 Depth=1
	v_and_b32_e32 v11, 0x7f, v19
	v_cmp_ne_u32_e64 s[2:3], s31, v11
	v_mov_b32_e32 v23, 0x7f800001
	s_and_saveexec_b64 s[20:21], s[2:3]
	s_cbranch_execz .LBB298_367
; %bb.366:                              ;   in Loop: Header=BB298_232 Depth=1
	v_and_b32_e32 v23, 7, v19
	v_lshrrev_b32_e32 v58, 3, v11
	v_cmp_gt_u32_e64 s[2:3], 8, v11
	v_ffbh_u32_e32 v11, v23
	v_min_u32_e32 v59, 32, v11
	v_subrev_u32_e32 v11, 28, v59
	v_lshlrev_b64 v[11:12], v11, v[19:20]
	v_sub_u32_e32 v12, 29, v59
	v_and_b32_e32 v11, 7, v11
	v_cndmask_b32_e64 v12, v58, v12, s[2:3]
	v_cndmask_b32_e64 v11, v23, v11, s[2:3]
	v_lshlrev_b32_e32 v9, 16, v9
	v_bfrev_b32_e32 v19, 60
	v_lshlrev_b32_e32 v11, 20, v11
	v_and_b32_e32 v9, 0x80000000, v9
	v_lshl_add_u32 v12, v12, 23, v19
	v_or3_b32 v23, v9, v12, v11
.LBB298_367:                            ;   in Loop: Header=BB298_232 Depth=1
	s_or_b64 exec, exec, s[20:21]
.LBB298_368:                            ;   in Loop: Header=BB298_232 Depth=1
	s_or_b64 exec, exec, s[18:19]
.LBB298_369:                            ;   in Loop: Header=BB298_232 Depth=1
	s_or_b64 exec, exec, s[16:17]
	v_lshrrev_b32_e32 v9, 16, v18
	v_cmp_ne_u16_sdwa s[2:3], v9, v10 src0_sel:BYTE_0 src1_sel:DWORD
	v_mov_b32_e32 v60, 0
	v_mov_b32_e32 v63, 0
	s_and_saveexec_b64 s[16:17], s[2:3]
	s_cbranch_execz .LBB298_375
; %bb.370:                              ;   in Loop: Header=BB298_232 Depth=1
	v_cmp_ne_u16_sdwa s[2:3], v9, s30 src0_sel:BYTE_0 src1_sel:DWORD
	v_bfrev_b32_e32 v63, 1
	s_and_saveexec_b64 s[18:19], s[2:3]
	s_cbranch_execz .LBB298_374
; %bb.371:                              ;   in Loop: Header=BB298_232 Depth=1
	v_bfe_u32 v11, v18, 16, 7
	v_cmp_ne_u32_e64 s[2:3], s31, v11
	v_mov_b32_e32 v63, 0x7f800001
	s_and_saveexec_b64 s[20:21], s[2:3]
	s_cbranch_execz .LBB298_373
; %bb.372:                              ;   in Loop: Header=BB298_232 Depth=1
	v_and_b32_e32 v19, 7, v9
	v_lshrrev_b32_e32 v58, 3, v11
	v_cmp_gt_u32_e64 s[2:3], 8, v11
	v_ffbh_u32_e32 v11, v19
	v_min_u32_e32 v59, 32, v11
	v_subrev_u32_e32 v11, 28, v59
	v_lshlrev_b64 v[11:12], v11, v[9:10]
	v_sub_u32_e32 v12, 29, v59
	v_and_b32_e32 v11, 7, v11
	v_cndmask_b32_e64 v12, v58, v12, s[2:3]
	v_cndmask_b32_e64 v11, v19, v11, s[2:3]
	v_lshlrev_b32_e32 v9, 24, v9
	v_bfrev_b32_e32 v19, 60
	v_lshlrev_b32_e32 v11, 20, v11
	v_and_b32_e32 v9, 0x80000000, v9
	v_lshl_add_u32 v12, v12, 23, v19
	v_or3_b32 v63, v9, v12, v11
.LBB298_373:                            ;   in Loop: Header=BB298_232 Depth=1
	s_or_b64 exec, exec, s[20:21]
.LBB298_374:                            ;   in Loop: Header=BB298_232 Depth=1
	s_or_b64 exec, exec, s[18:19]
.LBB298_375:                            ;   in Loop: Header=BB298_232 Depth=1
	s_or_b64 exec, exec, s[16:17]
	v_cmp_lt_u64_e64 s[2:3], s[6:7], v[17:18]
	s_and_saveexec_b64 s[16:17], s[2:3]
	s_cbranch_execz .LBB298_381
; %bb.376:                              ;   in Loop: Header=BB298_232 Depth=1
	v_lshrrev_b32_e32 v9, 24, v18
	v_cmp_ne_u32_e64 s[2:3], s30, v9
	v_bfrev_b32_e32 v60, 1
	s_and_saveexec_b64 s[18:19], s[2:3]
	s_cbranch_execz .LBB298_380
; %bb.377:                              ;   in Loop: Header=BB298_232 Depth=1
	v_bfe_u32 v11, v18, 24, 7
	v_cmp_ne_u32_e64 s[2:3], s31, v11
	v_mov_b32_e32 v60, 0x7f800001
	s_and_saveexec_b64 s[20:21], s[2:3]
	s_cbranch_execz .LBB298_379
; %bb.378:                              ;   in Loop: Header=BB298_232 Depth=1
	v_and_b32_e32 v17, 7, v9
	v_lshrrev_b32_e32 v18, 3, v11
	v_cmp_gt_u32_e64 s[2:3], 8, v11
	v_ffbh_u32_e32 v11, v17
	v_min_u32_e32 v19, 32, v11
	v_subrev_u32_e32 v11, 28, v19
	v_lshlrev_b64 v[11:12], v11, v[9:10]
	v_sub_u32_e32 v12, 29, v19
	v_and_b32_e32 v11, 7, v11
	v_cndmask_b32_e64 v12, v18, v12, s[2:3]
	v_cndmask_b32_e64 v11, v17, v11, s[2:3]
	v_lshlrev_b32_e32 v9, 24, v9
	v_bfrev_b32_e32 v17, 60
	v_lshlrev_b32_e32 v11, 20, v11
	v_and_b32_e32 v9, 0x80000000, v9
	v_lshl_add_u32 v12, v12, 23, v17
	v_or3_b32 v60, v9, v12, v11
.LBB298_379:                            ;   in Loop: Header=BB298_232 Depth=1
	s_or_b64 exec, exec, s[20:21]
.LBB298_380:                            ;   in Loop: Header=BB298_232 Depth=1
	s_or_b64 exec, exec, s[18:19]
.LBB298_381:                            ;   in Loop: Header=BB298_232 Depth=1
	s_or_b64 exec, exec, s[16:17]
	v_mul_f32_e32 v9, s35, v23
	v_bfe_u32 v11, v9, 16, 1
	v_add3_u32 v11, v11, v9, s34
	v_or_b32_e32 v12, 0x400000, v9
	v_cmp_u_f32_e64 s[2:3], v9, v9
	v_cndmask_b32_e64 v9, v11, v12, s[2:3]
	v_lshrrev_b32_e32 v18, 16, v9
	v_mul_f32_e32 v9, s35, v21
	v_bfe_u32 v11, v9, 16, 1
	v_add3_u32 v11, v11, v9, s34
	v_or_b32_e32 v12, 0x400000, v9
	v_cmp_u_f32_e64 s[2:3], v9, v9
	v_cndmask_b32_e64 v9, v11, v12, s[2:3]
	v_lshrrev_b32_e32 v19, 16, v9
	v_mul_f32_e32 v9, s35, v20
	v_bfe_u32 v11, v9, 16, 1
	v_add3_u32 v11, v11, v9, s34
	v_or_b32_e32 v12, 0x400000, v9
	v_cmp_u_f32_e64 s[2:3], v9, v9
	v_cndmask_b32_e64 v9, v11, v12, s[2:3]
	v_mul_f32_e32 v0, s35, v0
	v_lshrrev_b32_e32 v58, 16, v9
	v_bfe_u32 v9, v0, 16, 1
	v_add3_u32 v9, v9, v0, s34
	v_or_b32_e32 v11, 0x400000, v0
	v_cmp_u_f32_e64 s[2:3], v0, v0
	v_cndmask_b32_e64 v0, v9, v11, s[2:3]
	v_lshrrev_b32_e32 v59, 16, v0
	v_mul_f32_e32 v0, s35, v22
	v_bfe_u32 v9, v0, 16, 1
	v_add3_u32 v9, v9, v0, s34
	v_or_b32_e32 v11, 0x400000, v0
	v_cmp_u_f32_e64 s[2:3], v0, v0
	v_cndmask_b32_e64 v0, v9, v11, s[2:3]
	v_lshrrev_b32_e32 v61, 16, v0
	v_mul_f32_e32 v0, s35, v57
	;; [unrolled: 7-line block ×4, first 2 shown]
	v_bfe_u32 v9, v0, 16, 1
	v_add3_u32 v9, v9, v0, s34
	v_or_b32_e32 v11, 0x400000, v0
	v_cmp_u_f32_e64 s[2:3], v0, v0
	v_cndmask_b32_e64 v0, v9, v11, s[2:3]
	v_lshrrev_b32_e32 v60, 16, v0
	s_and_saveexec_b64 s[16:17], vcc
	s_cbranch_execz .LBB298_383
; %bb.382:                              ;   in Loop: Header=BB298_232 Depth=1
	v_cmp_gt_i32_e64 s[2:3], s25, v41
	v_cndmask_b32_e64 v62, 0, v62, s[2:3]
	v_cmp_gt_i32_e64 s[2:3], s25, v48
	v_cndmask_b32_e64 v61, 0, v61, s[2:3]
	;; [unrolled: 2-line block ×8, first 2 shown]
.LBB298_383:                            ;   in Loop: Header=BB298_232 Depth=1
	s_or_b64 exec, exec, s[16:17]
	global_load_dwordx2 v[15:16], v[15:16], off offset:1536
	v_mov_b32_e32 v22, 0
	v_mov_b32_e32 v63, 0
	s_waitcnt vmcnt(0)
	v_cmp_ne_u16_sdwa s[2:3], v15, v10 src0_sel:BYTE_0 src1_sel:DWORD
	s_and_saveexec_b64 s[16:17], s[2:3]
	s_cbranch_execz .LBB298_389
; %bb.384:                              ;   in Loop: Header=BB298_232 Depth=1
	v_cmp_ne_u16_sdwa s[2:3], v15, s30 src0_sel:BYTE_0 src1_sel:DWORD
	v_bfrev_b32_e32 v63, 1
	s_and_saveexec_b64 s[18:19], s[2:3]
	s_cbranch_execz .LBB298_388
; %bb.385:                              ;   in Loop: Header=BB298_232 Depth=1
	v_and_b32_e32 v0, 0x7f, v15
	v_cmp_ne_u32_e64 s[2:3], s31, v0
	v_mov_b32_e32 v63, 0x7f800001
	s_and_saveexec_b64 s[20:21], s[2:3]
	s_cbranch_execz .LBB298_387
; %bb.386:                              ;   in Loop: Header=BB298_232 Depth=1
	v_and_b32_e32 v9, 7, v15
	v_lshrrev_b32_e32 v11, 3, v0
	v_cmp_gt_u32_e64 s[2:3], 8, v0
	v_ffbh_u32_e32 v0, v9
	v_min_u32_e32 v0, 32, v0
	v_subrev_u32_e32 v9, 28, v0
	v_sub_u32_e32 v0, 29, v0
	v_cndmask_b32_e64 v9, 0, v9, s[2:3]
	v_cndmask_b32_e64 v0, v11, v0, s[2:3]
	v_lshlrev_b64 v[11:12], v9, v[15:16]
	v_bfrev_b32_e32 v12, 60
	v_lshlrev_b32_e32 v9, 20, v11
	v_lshlrev_b32_e32 v11, 24, v15
	v_and_b32_e32 v9, 0x700000, v9
	v_and_b32_e32 v11, 0x80000000, v11
	v_lshl_add_u32 v0, v0, 23, v12
	v_or3_b32 v63, v11, v0, v9
.LBB298_387:                            ;   in Loop: Header=BB298_232 Depth=1
	s_or_b64 exec, exec, s[20:21]
.LBB298_388:                            ;   in Loop: Header=BB298_232 Depth=1
	s_or_b64 exec, exec, s[18:19]
.LBB298_389:                            ;   in Loop: Header=BB298_232 Depth=1
	s_or_b64 exec, exec, s[16:17]
	v_lshrrev_b16_e32 v9, 8, v15
	v_cmp_ne_u16_e64 s[2:3], 0, v9
	s_and_saveexec_b64 s[16:17], s[2:3]
	s_cbranch_execz .LBB298_395
; %bb.390:                              ;   in Loop: Header=BB298_232 Depth=1
	v_cmp_ne_u16_e64 s[2:3], s30, v9
	v_bfrev_b32_e32 v22, 1
	s_and_saveexec_b64 s[18:19], s[2:3]
	s_cbranch_execz .LBB298_394
; %bb.391:                              ;   in Loop: Header=BB298_232 Depth=1
	v_and_b32_e32 v0, 0x7f, v9
	v_cmp_ne_u32_e64 s[2:3], s31, v0
	v_mov_b32_e32 v22, 0x7f800001
	s_and_saveexec_b64 s[20:21], s[2:3]
	s_cbranch_execz .LBB298_393
; %bb.392:                              ;   in Loop: Header=BB298_232 Depth=1
	v_and_b32_e32 v17, 7, v9
	v_lshrrev_b32_e32 v20, 3, v0
	v_cmp_gt_u32_e64 s[2:3], 8, v0
	v_ffbh_u32_e32 v0, v17
	v_min_u32_e32 v0, 32, v0
	v_subrev_u32_e32 v11, 28, v0
	v_lshlrev_b64 v[11:12], v11, v[9:10]
	v_sub_u32_e32 v0, 29, v0
	v_and_b32_e32 v9, 7, v11
	v_cndmask_b32_e64 v0, v20, v0, s[2:3]
	v_cndmask_b32_e64 v9, v17, v9, s[2:3]
	v_lshlrev_b32_e32 v11, 16, v15
	v_bfrev_b32_e32 v12, 60
	v_lshlrev_b32_e32 v9, 20, v9
	v_and_b32_e32 v11, 0x80000000, v11
	v_lshl_add_u32 v0, v0, 23, v12
	v_or3_b32 v22, v11, v0, v9
.LBB298_393:                            ;   in Loop: Header=BB298_232 Depth=1
	s_or_b64 exec, exec, s[20:21]
.LBB298_394:                            ;   in Loop: Header=BB298_232 Depth=1
	s_or_b64 exec, exec, s[18:19]
.LBB298_395:                            ;   in Loop: Header=BB298_232 Depth=1
	s_or_b64 exec, exec, s[16:17]
	v_lshrrev_b32_e32 v9, 16, v15
	v_cmp_ne_u16_sdwa s[2:3], v9, v10 src0_sel:BYTE_0 src1_sel:DWORD
	v_mov_b32_e32 v21, 0
	v_mov_b32_e32 v20, 0
	s_and_saveexec_b64 s[16:17], s[2:3]
	s_cbranch_execz .LBB298_401
; %bb.396:                              ;   in Loop: Header=BB298_232 Depth=1
	v_cmp_ne_u16_sdwa s[2:3], v9, s30 src0_sel:BYTE_0 src1_sel:DWORD
	v_bfrev_b32_e32 v20, 1
	s_and_saveexec_b64 s[18:19], s[2:3]
	s_cbranch_execz .LBB298_400
; %bb.397:                              ;   in Loop: Header=BB298_232 Depth=1
	v_bfe_u32 v0, v15, 16, 7
	v_cmp_ne_u32_e64 s[2:3], s31, v0
	v_mov_b32_e32 v20, 0x7f800001
	s_and_saveexec_b64 s[20:21], s[2:3]
	s_cbranch_execz .LBB298_399
; %bb.398:                              ;   in Loop: Header=BB298_232 Depth=1
	v_and_b32_e32 v17, 7, v9
	v_lshrrev_b32_e32 v20, 3, v0
	v_cmp_gt_u32_e64 s[2:3], 8, v0
	v_ffbh_u32_e32 v0, v17
	v_min_u32_e32 v0, 32, v0
	v_subrev_u32_e32 v11, 28, v0
	v_lshlrev_b64 v[11:12], v11, v[9:10]
	v_sub_u32_e32 v0, 29, v0
	v_and_b32_e32 v11, 7, v11
	v_cndmask_b32_e64 v0, v20, v0, s[2:3]
	v_cndmask_b32_e64 v11, v17, v11, s[2:3]
	v_lshlrev_b32_e32 v9, 24, v9
	v_bfrev_b32_e32 v12, 60
	v_lshlrev_b32_e32 v11, 20, v11
	v_and_b32_e32 v9, 0x80000000, v9
	v_lshl_add_u32 v0, v0, 23, v12
	v_or3_b32 v20, v9, v0, v11
.LBB298_399:                            ;   in Loop: Header=BB298_232 Depth=1
	s_or_b64 exec, exec, s[20:21]
.LBB298_400:                            ;   in Loop: Header=BB298_232 Depth=1
	s_or_b64 exec, exec, s[18:19]
.LBB298_401:                            ;   in Loop: Header=BB298_232 Depth=1
	s_or_b64 exec, exec, s[16:17]
	v_cmp_lt_u32_e64 s[2:3], s7, v15
	s_and_saveexec_b64 s[16:17], s[2:3]
	s_cbranch_execz .LBB298_407
; %bb.402:                              ;   in Loop: Header=BB298_232 Depth=1
	v_lshrrev_b32_e32 v9, 24, v15
	v_cmp_ne_u32_e64 s[2:3], s30, v9
	v_bfrev_b32_e32 v21, 1
	s_and_saveexec_b64 s[18:19], s[2:3]
	s_cbranch_execz .LBB298_406
; %bb.403:                              ;   in Loop: Header=BB298_232 Depth=1
	v_bfe_u32 v0, v15, 24, 7
	v_cmp_ne_u32_e64 s[2:3], s31, v0
	v_mov_b32_e32 v21, 0x7f800001
	s_and_saveexec_b64 s[20:21], s[2:3]
	s_cbranch_execz .LBB298_405
; %bb.404:                              ;   in Loop: Header=BB298_232 Depth=1
	v_and_b32_e32 v17, 7, v9
	v_lshrrev_b32_e32 v21, 3, v0
	v_cmp_gt_u32_e64 s[2:3], 8, v0
	v_ffbh_u32_e32 v0, v17
	v_min_u32_e32 v0, 32, v0
	v_subrev_u32_e32 v11, 28, v0
	v_lshlrev_b64 v[11:12], v11, v[9:10]
	v_sub_u32_e32 v0, 29, v0
	v_and_b32_e32 v11, 7, v11
	v_cndmask_b32_e64 v0, v21, v0, s[2:3]
	v_cndmask_b32_e64 v11, v17, v11, s[2:3]
	v_lshlrev_b32_e32 v9, 24, v9
	v_bfrev_b32_e32 v12, 60
	v_lshlrev_b32_e32 v11, 20, v11
	v_and_b32_e32 v9, 0x80000000, v9
	v_lshl_add_u32 v0, v0, 23, v12
	v_or3_b32 v21, v9, v0, v11
.LBB298_405:                            ;   in Loop: Header=BB298_232 Depth=1
	s_or_b64 exec, exec, s[20:21]
.LBB298_406:                            ;   in Loop: Header=BB298_232 Depth=1
	s_or_b64 exec, exec, s[18:19]
.LBB298_407:                            ;   in Loop: Header=BB298_232 Depth=1
	s_or_b64 exec, exec, s[16:17]
	v_mov_b32_e32 v9, v16
	v_cmp_ne_u16_sdwa s[2:3], v16, v10 src0_sel:BYTE_0 src1_sel:DWORD
	v_mov_b32_e32 v0, 0
	v_mov_b32_e32 v23, 0
	s_and_saveexec_b64 s[16:17], s[2:3]
	s_cbranch_execz .LBB298_413
; %bb.408:                              ;   in Loop: Header=BB298_232 Depth=1
	v_cmp_ne_u16_sdwa s[2:3], v16, s30 src0_sel:BYTE_0 src1_sel:DWORD
	v_bfrev_b32_e32 v23, 1
	s_and_saveexec_b64 s[18:19], s[2:3]
	s_cbranch_execz .LBB298_412
; %bb.409:                              ;   in Loop: Header=BB298_232 Depth=1
	v_and_b32_e32 v11, 0x7f, v16
	v_cmp_ne_u32_e64 s[2:3], s31, v11
	v_mov_b32_e32 v23, 0x7f800001
	s_and_saveexec_b64 s[20:21], s[2:3]
	s_cbranch_execz .LBB298_411
; %bb.410:                              ;   in Loop: Header=BB298_232 Depth=1
	v_and_b32_e32 v12, 7, v16
	v_lshrrev_b32_e32 v17, 3, v11
	v_cmp_gt_u32_e64 s[2:3], 8, v11
	v_ffbh_u32_e32 v11, v12
	v_min_u32_e32 v11, 32, v11
	v_subrev_u32_e32 v12, 28, v11
	v_sub_u32_e32 v11, 29, v11
	v_cndmask_b32_e64 v17, v17, v11, s[2:3]
	v_cndmask_b32_e64 v11, 0, v12, s[2:3]
	v_lshlrev_b64 v[11:12], v11, v[9:10]
	v_lshlrev_b32_e32 v12, 24, v9
	v_lshlrev_b32_e32 v11, 20, v11
	v_bfrev_b32_e32 v23, 60
	v_and_b32_e32 v11, 0x700000, v11
	v_and_b32_e32 v12, 0x80000000, v12
	v_lshl_add_u32 v17, v17, 23, v23
	v_or3_b32 v23, v12, v17, v11
.LBB298_411:                            ;   in Loop: Header=BB298_232 Depth=1
	s_or_b64 exec, exec, s[20:21]
.LBB298_412:                            ;   in Loop: Header=BB298_232 Depth=1
	s_or_b64 exec, exec, s[18:19]
.LBB298_413:                            ;   in Loop: Header=BB298_232 Depth=1
	s_or_b64 exec, exec, s[16:17]
	v_lshrrev_b16_e32 v17, 8, v9
	v_cmp_ne_u16_e64 s[2:3], 0, v17
	s_and_saveexec_b64 s[16:17], s[2:3]
	s_cbranch_execz .LBB298_419
; %bb.414:                              ;   in Loop: Header=BB298_232 Depth=1
	v_cmp_ne_u16_e64 s[2:3], s30, v17
	v_bfrev_b32_e32 v0, 1
	s_and_saveexec_b64 s[18:19], s[2:3]
	s_cbranch_execz .LBB298_418
; %bb.415:                              ;   in Loop: Header=BB298_232 Depth=1
	v_and_b32_e32 v11, 0x7f, v17
	v_cmp_ne_u32_e64 s[2:3], s31, v11
	v_mov_b32_e32 v0, 0x7f800001
	s_and_saveexec_b64 s[20:21], s[2:3]
	s_cbranch_execz .LBB298_417
; %bb.416:                              ;   in Loop: Header=BB298_232 Depth=1
	v_and_b32_e32 v0, 7, v17
	v_lshrrev_b32_e32 v32, 3, v11
	v_cmp_gt_u32_e64 s[2:3], 8, v11
	v_ffbh_u32_e32 v11, v0
	v_min_u32_e32 v31, 32, v11
	v_subrev_u32_e32 v11, 28, v31
	v_lshlrev_b64 v[11:12], v11, v[17:18]
	v_sub_u32_e32 v12, 29, v31
	v_and_b32_e32 v11, 7, v11
	v_cndmask_b32_e64 v12, v32, v12, s[2:3]
	v_cndmask_b32_e64 v0, v0, v11, s[2:3]
	v_lshlrev_b32_e32 v9, 16, v9
	v_bfrev_b32_e32 v11, 60
	v_lshlrev_b32_e32 v0, 20, v0
	v_and_b32_e32 v9, 0x80000000, v9
	v_lshl_add_u32 v11, v12, 23, v11
	v_or3_b32 v0, v9, v11, v0
.LBB298_417:                            ;   in Loop: Header=BB298_232 Depth=1
	s_or_b64 exec, exec, s[20:21]
.LBB298_418:                            ;   in Loop: Header=BB298_232 Depth=1
	s_or_b64 exec, exec, s[18:19]
.LBB298_419:                            ;   in Loop: Header=BB298_232 Depth=1
	s_or_b64 exec, exec, s[16:17]
	v_lshrrev_b32_e32 v9, 16, v16
	v_cmp_ne_u16_sdwa s[2:3], v9, v10 src0_sel:BYTE_0 src1_sel:DWORD
	v_mov_b32_e32 v17, 0
	v_mov_b32_e32 v11, 0
	s_and_saveexec_b64 s[16:17], s[2:3]
	s_cbranch_execz .LBB298_425
; %bb.420:                              ;   in Loop: Header=BB298_232 Depth=1
	v_cmp_ne_u16_sdwa s[2:3], v9, s30 src0_sel:BYTE_0 src1_sel:DWORD
	v_bfrev_b32_e32 v11, 1
	s_and_saveexec_b64 s[18:19], s[2:3]
	s_cbranch_execz .LBB298_424
; %bb.421:                              ;   in Loop: Header=BB298_232 Depth=1
	v_bfe_u32 v12, v16, 16, 7
	v_cmp_ne_u32_e64 s[2:3], s31, v12
	v_mov_b32_e32 v11, 0x7f800001
	s_and_saveexec_b64 s[20:21], s[2:3]
	s_cbranch_execz .LBB298_423
; %bb.422:                              ;   in Loop: Header=BB298_232 Depth=1
	v_and_b32_e32 v31, 7, v9
	v_ffbh_u32_e32 v11, v31
	v_min_u32_e32 v24, 32, v11
	v_subrev_u32_e32 v11, 28, v24
	v_lshrrev_b32_e32 v32, 3, v12
	v_cmp_gt_u32_e64 s[2:3], 8, v12
	v_lshlrev_b64 v[11:12], v11, v[9:10]
	v_sub_u32_e32 v12, 29, v24
	v_and_b32_e32 v11, 7, v11
	v_cndmask_b32_e64 v12, v32, v12, s[2:3]
	v_cndmask_b32_e64 v11, v31, v11, s[2:3]
	v_lshlrev_b32_e32 v9, 24, v9
	v_bfrev_b32_e32 v24, 60
	v_lshlrev_b32_e32 v11, 20, v11
	v_and_b32_e32 v9, 0x80000000, v9
	v_lshl_add_u32 v12, v12, 23, v24
	v_or3_b32 v11, v9, v12, v11
.LBB298_423:                            ;   in Loop: Header=BB298_232 Depth=1
	s_or_b64 exec, exec, s[20:21]
.LBB298_424:                            ;   in Loop: Header=BB298_232 Depth=1
	s_or_b64 exec, exec, s[18:19]
.LBB298_425:                            ;   in Loop: Header=BB298_232 Depth=1
	s_or_b64 exec, exec, s[16:17]
	v_cmp_lt_u64_e64 s[2:3], s[6:7], v[15:16]
	s_and_saveexec_b64 s[16:17], s[2:3]
	s_cbranch_execz .LBB298_431
; %bb.426:                              ;   in Loop: Header=BB298_232 Depth=1
	v_lshrrev_b32_e32 v9, 24, v16
	v_cmp_ne_u32_e64 s[2:3], s30, v9
	v_bfrev_b32_e32 v17, 1
	s_and_saveexec_b64 s[18:19], s[2:3]
	s_cbranch_execz .LBB298_430
; %bb.427:                              ;   in Loop: Header=BB298_232 Depth=1
	v_bfe_u32 v12, v16, 24, 7
	v_cmp_ne_u32_e64 s[2:3], s31, v12
	v_mov_b32_e32 v17, 0x7f800001
	s_and_saveexec_b64 s[20:21], s[2:3]
	s_cbranch_execz .LBB298_429
; %bb.428:                              ;   in Loop: Header=BB298_232 Depth=1
	v_and_b32_e32 v17, 7, v9
	v_lshrrev_b32_e32 v24, 3, v12
	v_cmp_gt_u32_e64 s[2:3], 8, v12
	v_ffbh_u32_e32 v12, v17
	v_min_u32_e32 v12, 32, v12
	v_subrev_u32_e32 v15, 28, v12
	v_lshlrev_b64 v[15:16], v15, v[9:10]
	v_sub_u32_e32 v12, 29, v12
	v_and_b32_e32 v15, 7, v15
	v_cndmask_b32_e64 v12, v24, v12, s[2:3]
	v_cndmask_b32_e64 v15, v17, v15, s[2:3]
	v_lshlrev_b32_e32 v9, 24, v9
	v_bfrev_b32_e32 v16, 60
	v_lshlrev_b32_e32 v15, 20, v15
	v_and_b32_e32 v9, 0x80000000, v9
	v_lshl_add_u32 v12, v12, 23, v16
	v_or3_b32 v17, v9, v12, v15
.LBB298_429:                            ;   in Loop: Header=BB298_232 Depth=1
	s_or_b64 exec, exec, s[20:21]
.LBB298_430:                            ;   in Loop: Header=BB298_232 Depth=1
	s_or_b64 exec, exec, s[18:19]
.LBB298_431:                            ;   in Loop: Header=BB298_232 Depth=1
	s_or_b64 exec, exec, s[16:17]
	v_mul_f32_e32 v0, s35, v0
	v_bfe_u32 v9, v0, 16, 1
	v_add3_u32 v9, v9, v0, s34
	v_or_b32_e32 v12, 0x400000, v0
	v_cmp_u_f32_e64 s[2:3], v0, v0
	v_cndmask_b32_e64 v0, v9, v12, s[2:3]
	v_mul_f32_e32 v9, s35, v23
	v_bfe_u32 v12, v9, 16, 1
	v_add3_u32 v12, v12, v9, s34
	v_or_b32_e32 v15, 0x400000, v9
	v_cmp_u_f32_e64 s[2:3], v9, v9
	v_cndmask_b32_e64 v9, v12, v15, s[2:3]
	;; [unrolled: 6-line block ×3, first 2 shown]
	v_lshrrev_b32_e32 v15, 16, v12
	v_mul_f32_e32 v12, s35, v20
	v_bfe_u32 v16, v12, 16, 1
	v_add3_u32 v16, v16, v12, s34
	v_or_b32_e32 v20, 0x400000, v12
	v_cmp_u_f32_e64 s[2:3], v12, v12
	v_cndmask_b32_e64 v12, v16, v20, s[2:3]
	v_lshrrev_b32_e32 v20, 16, v12
	v_mul_f32_e32 v12, s35, v22
	v_bfe_u32 v16, v12, 16, 1
	v_add3_u32 v16, v16, v12, s34
	v_or_b32_e32 v21, 0x400000, v12
	v_cmp_u_f32_e64 s[2:3], v12, v12
	v_cndmask_b32_e64 v12, v16, v21, s[2:3]
	;; [unrolled: 7-line block ×3, first 2 shown]
	v_mul_f32_e32 v11, s35, v11
	v_lshrrev_b32_e32 v22, 16, v12
	v_bfe_u32 v12, v11, 16, 1
	v_add3_u32 v12, v12, v11, s34
	v_or_b32_e32 v16, 0x400000, v11
	v_cmp_u_f32_e64 s[2:3], v11, v11
	v_cndmask_b32_e64 v11, v12, v16, s[2:3]
	v_lshrrev_b32_e32 v16, 16, v11
	v_mul_f32_e32 v11, s35, v17
	v_bfe_u32 v12, v11, 16, 1
	v_add3_u32 v12, v12, v11, s34
	v_or_b32_e32 v17, 0x400000, v11
	v_cmp_u_f32_e64 s[2:3], v11, v11
	v_cndmask_b32_e64 v11, v12, v17, s[2:3]
	v_lshrrev_b32_e32 v0, 16, v0
	v_lshrrev_b32_e32 v9, 16, v9
	;; [unrolled: 1-line block ×3, first 2 shown]
	s_and_saveexec_b64 s[2:3], vcc
	s_cbranch_execz .LBB298_230
; %bb.432:                              ;   in Loop: Header=BB298_232 Depth=1
	v_cmp_gt_i32_e32 vcc, s25, v41
	v_cndmask_b32_e32 v22, 0, v22, vcc
	v_cmp_gt_i32_e32 vcc, s25, v48
	v_cndmask_b32_e32 v21, 0, v21, vcc
	;; [unrolled: 2-line block ×8, first 2 shown]
	s_branch .LBB298_230
.LBB298_433:
	s_or_b64 exec, exec, s[10:11]
	buffer_load_dword v14, off, s[60:63], 0 offset:24 ; 4-byte Folded Reload
	buffer_load_dword v15, off, s[60:63], 0 offset:28 ; 4-byte Folded Reload
	;; [unrolled: 1-line block ×3, first 2 shown]
.LBB298_434:
	s_or_b64 exec, exec, s[4:5]
	s_waitcnt vmcnt(1)
	ds_bpermute_b32 v1, v15, v30
	ds_bpermute_b32 v4, v15, v28
	s_waitcnt vmcnt(0) lgkmcnt(0)
	s_barrier
	v_add_f32_e32 v2, v30, v1
	v_add_f32_e32 v1, v28, v4
	buffer_load_dword v4, off, s[60:63], 0 offset:44 ; 4-byte Folded Reload
	ds_bpermute_b32 v0, v15, v29
	ds_bpermute_b32 v5, v15, v7
	s_waitcnt lgkmcnt(1)
	v_add_f32_e32 v3, v29, v0
	s_waitcnt lgkmcnt(0)
	v_add_f32_e32 v0, v7, v5
	s_waitcnt vmcnt(0)
	v_and_b32_e32 v5, 0x3c1, v4
	v_cmp_eq_u32_e32 vcc, 64, v5
	s_and_saveexec_b64 s[2:3], vcc
	s_cbranch_execz .LBB298_436
; %bb.435:
	v_mov_b32_e32 v4, 0x110
	v_lshl_add_u32 v4, v14, 1, v4
	ds_write2_b32 v4, v3, v2 offset1:32
	ds_write2_b32 v4, v1, v0 offset0:64 offset1:96
.LBB298_436:
	s_or_b64 exec, exec, s[2:3]
	buffer_load_dword v4, off, s[60:63], 0 offset:44 ; 4-byte Folded Reload
	s_waitcnt vmcnt(0) lgkmcnt(0)
	s_barrier
	v_lshrrev_b32_e32 v4, 1, v4
	s_and_saveexec_b64 s[2:3], s[0:1]
	s_cbranch_execz .LBB298_443
; %bb.437:
	v_cmp_eq_u32_e32 vcc, 0, v6
	v_mov_b32_e32 v6, 0x110
	v_lshl_add_u32 v6, v4, 2, v6
	s_and_saveexec_b64 s[0:1], vcc
	s_cbranch_execnz .LBB298_446
; %bb.438:
	s_or_b64 exec, exec, s[0:1]
	s_and_saveexec_b64 s[0:1], vcc
	s_cbranch_execnz .LBB298_447
.LBB298_439:
	s_or_b64 exec, exec, s[0:1]
	s_and_saveexec_b64 s[0:1], vcc
	s_cbranch_execnz .LBB298_448
.LBB298_440:
	s_or_b64 exec, exec, s[0:1]
	s_and_saveexec_b64 s[0:1], vcc
	s_cbranch_execz .LBB298_442
.LBB298_441:
	ds_read_b32 v6, v6 offset:384
	s_waitcnt lgkmcnt(0)
	v_add_f32_e32 v0, v0, v6
.LBB298_442:
	s_or_b64 exec, exec, s[0:1]
.LBB298_443:
	s_or_b64 exec, exec, s[2:3]
	v_cmp_eq_u32_e32 vcc, 0, v5
	s_barrier
	s_and_saveexec_b64 s[0:1], vcc
	s_cbranch_execz .LBB298_445
; %bb.444:
	s_mul_i32 s0, s24, s23
	s_mul_i32 s0, s0, s9
	s_lshl_b32 s0, s0, 7
	s_ashr_i32 s1, s0, 31
	s_lshl_b64 s[0:1], s[0:1], 1
	s_add_u32 s2, s28, s0
	s_mul_i32 s0, s23, s26
	s_addc_u32 s3, s29, s1
	s_ashr_i32 s1, s0, 31
	s_lshl_b64 s[0:1], s[0:1], 1
	s_add_u32 s2, s2, s0
	s_addc_u32 s3, s3, s1
	s_lshl_b32 s0, s8, 7
	s_ashr_i32 s1, s0, 31
	s_lshl_b64 s[0:1], s[0:1], 1
	s_add_u32 s0, s2, s0
	v_bfe_u32 v5, v3, 16, 1
	s_movk_i32 s2, 0x7fff
	v_add3_u32 v5, v5, v3, s2
	v_or_b32_e32 v6, 0x400000, v3
	v_cmp_u_f32_e32 vcc, v3, v3
	s_addc_u32 s1, s3, s1
	v_lshlrev_b32_e32 v4, 1, v4
	v_cndmask_b32_e32 v3, v5, v6, vcc
	global_store_short_d16_hi v4, v3, s[0:1]
	v_bfe_u32 v3, v2, 16, 1
	v_add3_u32 v3, v3, v2, s2
	v_or_b32_e32 v5, 0x400000, v2
	v_cmp_u_f32_e32 vcc, v2, v2
	v_cndmask_b32_e32 v2, v3, v5, vcc
	global_store_short_d16_hi v4, v2, s[0:1] offset:64
	v_bfe_u32 v2, v1, 16, 1
	v_add3_u32 v2, v2, v1, s2
	v_or_b32_e32 v3, 0x400000, v1
	v_cmp_u_f32_e32 vcc, v1, v1
	v_cndmask_b32_e32 v1, v2, v3, vcc
	global_store_short_d16_hi v4, v1, s[0:1] offset:128
	;; [unrolled: 6-line block ×3, first 2 shown]
.LBB298_445:
	s_endpgm
.LBB298_446:
	ds_read_b32 v7, v6
	s_waitcnt lgkmcnt(0)
	v_add_f32_e32 v3, v3, v7
	s_or_b64 exec, exec, s[0:1]
	s_and_saveexec_b64 s[0:1], vcc
	s_cbranch_execz .LBB298_439
.LBB298_447:
	ds_read_b32 v7, v6 offset:128
	s_waitcnt lgkmcnt(0)
	v_add_f32_e32 v2, v2, v7
	s_or_b64 exec, exec, s[0:1]
	s_and_saveexec_b64 s[0:1], vcc
	s_cbranch_execz .LBB298_440
.LBB298_448:
	ds_read_b32 v7, v6 offset:256
	s_waitcnt lgkmcnt(0)
	v_add_f32_e32 v1, v1, v7
	s_or_b64 exec, exec, s[0:1]
	s_and_saveexec_b64 s[0:1], vcc
	s_cbranch_execnz .LBB298_441
	s_branch .LBB298_442
	.section	.rodata,"a",@progbits
	.p2align	6, 0x0
	.amdhsa_kernel _ZN4vllm25paged_attention_v1_kernelI14__hip_bfloat16hLi128ELi16ELi128ELNS_18Fp8KVCacheDataTypeE1ELb1EEEvPT_PKS3_PKT0_S9_ifPKiSB_iPKfiiiSD_SD_iiiii
		.amdhsa_group_segment_fixed_size 272
		.amdhsa_private_segment_fixed_size 88
		.amdhsa_kernarg_size 384
		.amdhsa_user_sgpr_count 6
		.amdhsa_user_sgpr_private_segment_buffer 1
		.amdhsa_user_sgpr_dispatch_ptr 0
		.amdhsa_user_sgpr_queue_ptr 0
		.amdhsa_user_sgpr_kernarg_segment_ptr 1
		.amdhsa_user_sgpr_dispatch_id 0
		.amdhsa_user_sgpr_flat_scratch_init 0
		.amdhsa_user_sgpr_private_segment_size 0
		.amdhsa_uses_dynamic_stack 0
		.amdhsa_system_sgpr_private_segment_wavefront_offset 1
		.amdhsa_system_sgpr_workgroup_id_x 1
		.amdhsa_system_sgpr_workgroup_id_y 1
		.amdhsa_system_sgpr_workgroup_id_z 1
		.amdhsa_system_sgpr_workgroup_info 0
		.amdhsa_system_vgpr_workitem_id 0
		.amdhsa_next_free_vgpr 64
		.amdhsa_next_free_sgpr 64
		.amdhsa_reserve_vcc 1
		.amdhsa_reserve_flat_scratch 0
		.amdhsa_float_round_mode_32 0
		.amdhsa_float_round_mode_16_64 0
		.amdhsa_float_denorm_mode_32 3
		.amdhsa_float_denorm_mode_16_64 3
		.amdhsa_dx10_clamp 1
		.amdhsa_ieee_mode 1
		.amdhsa_fp16_overflow 0
		.amdhsa_exception_fp_ieee_invalid_op 0
		.amdhsa_exception_fp_denorm_src 0
		.amdhsa_exception_fp_ieee_div_zero 0
		.amdhsa_exception_fp_ieee_overflow 0
		.amdhsa_exception_fp_ieee_underflow 0
		.amdhsa_exception_fp_ieee_inexact 0
		.amdhsa_exception_int_div_zero 0
	.end_amdhsa_kernel
	.section	.text._ZN4vllm25paged_attention_v1_kernelI14__hip_bfloat16hLi128ELi16ELi128ELNS_18Fp8KVCacheDataTypeE1ELb1EEEvPT_PKS3_PKT0_S9_ifPKiSB_iPKfiiiSD_SD_iiiii,"axG",@progbits,_ZN4vllm25paged_attention_v1_kernelI14__hip_bfloat16hLi128ELi16ELi128ELNS_18Fp8KVCacheDataTypeE1ELb1EEEvPT_PKS3_PKT0_S9_ifPKiSB_iPKfiiiSD_SD_iiiii,comdat
.Lfunc_end298:
	.size	_ZN4vllm25paged_attention_v1_kernelI14__hip_bfloat16hLi128ELi16ELi128ELNS_18Fp8KVCacheDataTypeE1ELb1EEEvPT_PKS3_PKT0_S9_ifPKiSB_iPKfiiiSD_SD_iiiii, .Lfunc_end298-_ZN4vllm25paged_attention_v1_kernelI14__hip_bfloat16hLi128ELi16ELi128ELNS_18Fp8KVCacheDataTypeE1ELb1EEEvPT_PKS3_PKT0_S9_ifPKiSB_iPKfiiiSD_SD_iiiii
                                        ; -- End function
	.set _ZN4vllm25paged_attention_v1_kernelI14__hip_bfloat16hLi128ELi16ELi128ELNS_18Fp8KVCacheDataTypeE1ELb1EEEvPT_PKS3_PKT0_S9_ifPKiSB_iPKfiiiSD_SD_iiiii.num_vgpr, 64
	.set _ZN4vllm25paged_attention_v1_kernelI14__hip_bfloat16hLi128ELi16ELi128ELNS_18Fp8KVCacheDataTypeE1ELb1EEEvPT_PKS3_PKT0_S9_ifPKiSB_iPKfiiiSD_SD_iiiii.num_agpr, 0
	.set _ZN4vllm25paged_attention_v1_kernelI14__hip_bfloat16hLi128ELi16ELi128ELNS_18Fp8KVCacheDataTypeE1ELb1EEEvPT_PKS3_PKT0_S9_ifPKiSB_iPKfiiiSD_SD_iiiii.numbered_sgpr, 64
	.set _ZN4vllm25paged_attention_v1_kernelI14__hip_bfloat16hLi128ELi16ELi128ELNS_18Fp8KVCacheDataTypeE1ELb1EEEvPT_PKS3_PKT0_S9_ifPKiSB_iPKfiiiSD_SD_iiiii.num_named_barrier, 0
	.set _ZN4vllm25paged_attention_v1_kernelI14__hip_bfloat16hLi128ELi16ELi128ELNS_18Fp8KVCacheDataTypeE1ELb1EEEvPT_PKS3_PKT0_S9_ifPKiSB_iPKfiiiSD_SD_iiiii.private_seg_size, 88
	.set _ZN4vllm25paged_attention_v1_kernelI14__hip_bfloat16hLi128ELi16ELi128ELNS_18Fp8KVCacheDataTypeE1ELb1EEEvPT_PKS3_PKT0_S9_ifPKiSB_iPKfiiiSD_SD_iiiii.uses_vcc, 1
	.set _ZN4vllm25paged_attention_v1_kernelI14__hip_bfloat16hLi128ELi16ELi128ELNS_18Fp8KVCacheDataTypeE1ELb1EEEvPT_PKS3_PKT0_S9_ifPKiSB_iPKfiiiSD_SD_iiiii.uses_flat_scratch, 0
	.set _ZN4vllm25paged_attention_v1_kernelI14__hip_bfloat16hLi128ELi16ELi128ELNS_18Fp8KVCacheDataTypeE1ELb1EEEvPT_PKS3_PKT0_S9_ifPKiSB_iPKfiiiSD_SD_iiiii.has_dyn_sized_stack, 0
	.set _ZN4vllm25paged_attention_v1_kernelI14__hip_bfloat16hLi128ELi16ELi128ELNS_18Fp8KVCacheDataTypeE1ELb1EEEvPT_PKS3_PKT0_S9_ifPKiSB_iPKfiiiSD_SD_iiiii.has_recursion, 0
	.set _ZN4vllm25paged_attention_v1_kernelI14__hip_bfloat16hLi128ELi16ELi128ELNS_18Fp8KVCacheDataTypeE1ELb1EEEvPT_PKS3_PKT0_S9_ifPKiSB_iPKfiiiSD_SD_iiiii.has_indirect_call, 0
	.section	.AMDGPU.csdata,"",@progbits
; Kernel info:
; codeLenInByte = 22288
; TotalNumSgprs: 68
; NumVgprs: 64
; ScratchSize: 88
; MemoryBound: 0
; FloatMode: 240
; IeeeMode: 1
; LDSByteSize: 272 bytes/workgroup (compile time only)
; SGPRBlocks: 8
; VGPRBlocks: 15
; NumSGPRsForWavesPerEU: 68
; NumVGPRsForWavesPerEU: 64
; Occupancy: 4
; WaveLimiterHint : 1
; COMPUTE_PGM_RSRC2:SCRATCH_EN: 1
; COMPUTE_PGM_RSRC2:USER_SGPR: 6
; COMPUTE_PGM_RSRC2:TRAP_HANDLER: 0
; COMPUTE_PGM_RSRC2:TGID_X_EN: 1
; COMPUTE_PGM_RSRC2:TGID_Y_EN: 1
; COMPUTE_PGM_RSRC2:TGID_Z_EN: 1
; COMPUTE_PGM_RSRC2:TIDIG_COMP_CNT: 0
	.section	.text._ZN4vllm25paged_attention_v1_kernelI14__hip_bfloat16hLi192ELi16ELi128ELNS_18Fp8KVCacheDataTypeE1ELb1EEEvPT_PKS3_PKT0_S9_ifPKiSB_iPKfiiiSD_SD_iiiii,"axG",@progbits,_ZN4vllm25paged_attention_v1_kernelI14__hip_bfloat16hLi192ELi16ELi128ELNS_18Fp8KVCacheDataTypeE1ELb1EEEvPT_PKS3_PKT0_S9_ifPKiSB_iPKfiiiSD_SD_iiiii,comdat
	.protected	_ZN4vllm25paged_attention_v1_kernelI14__hip_bfloat16hLi192ELi16ELi128ELNS_18Fp8KVCacheDataTypeE1ELb1EEEvPT_PKS3_PKT0_S9_ifPKiSB_iPKfiiiSD_SD_iiiii ; -- Begin function _ZN4vllm25paged_attention_v1_kernelI14__hip_bfloat16hLi192ELi16ELi128ELNS_18Fp8KVCacheDataTypeE1ELb1EEEvPT_PKS3_PKT0_S9_ifPKiSB_iPKfiiiSD_SD_iiiii
	.globl	_ZN4vllm25paged_attention_v1_kernelI14__hip_bfloat16hLi192ELi16ELi128ELNS_18Fp8KVCacheDataTypeE1ELb1EEEvPT_PKS3_PKT0_S9_ifPKiSB_iPKfiiiSD_SD_iiiii
	.p2align	8
	.type	_ZN4vllm25paged_attention_v1_kernelI14__hip_bfloat16hLi192ELi16ELi128ELNS_18Fp8KVCacheDataTypeE1ELb1EEEvPT_PKS3_PKT0_S9_ifPKiSB_iPKfiiiSD_SD_iiiii,@function
_ZN4vllm25paged_attention_v1_kernelI14__hip_bfloat16hLi192ELi16ELi128ELNS_18Fp8KVCacheDataTypeE1ELb1EEEvPT_PKS3_PKT0_S9_ifPKiSB_iPKfiiiSD_SD_iiiii: ; @_ZN4vllm25paged_attention_v1_kernelI14__hip_bfloat16hLi192ELi16ELi128ELNS_18Fp8KVCacheDataTypeE1ELb1EEEvPT_PKS3_PKT0_S9_ifPKiSB_iPKfiiiSD_SD_iiiii
; %bb.0:
	s_mov_b64 s[58:59], s[2:3]
	s_mov_b64 s[56:57], s[0:1]
	s_add_u32 s56, s56, s9
	s_addc_u32 s57, s57, 0
	buffer_store_dword v0, off, s[56:59], 0 offset:224 ; 4-byte Folded Spill
	s_load_dword s9, s[4:5], 0x80
	s_load_dwordx2 s[0:1], s[4:5], 0x30
	s_load_dwordx2 s[36:37], s[4:5], 0x20
	s_mov_b32 s10, s7
	s_ashr_i32 s11, s7, 31
	s_lshl_b64 s[2:3], s[10:11], 2
	s_waitcnt lgkmcnt(0)
	s_add_u32 s0, s0, s2
	s_addc_u32 s1, s1, s3
	s_abs_i32 s2, s36
	v_cvt_f32_u32_e32 v0, s2
	s_sub_i32 s11, 0, s2
	s_abs_i32 s7, s9
	s_xor_b32 s3, s9, s36
	v_rcp_iflag_f32_e32 v0, v0
	s_ashr_i32 s3, s3, 31
	s_mov_b32 s48, 0
	v_mul_f32_e32 v0, 0x4f7ffffe, v0
	v_cvt_u32_f32_e32 v0, v0
	v_readfirstlane_b32 s12, v0
	s_mul_i32 s11, s11, s12
	s_mul_hi_u32 s11, s12, s11
	s_add_i32 s12, s12, s11
	s_mul_hi_u32 s11, s7, s12
	s_mul_i32 s12, s11, s2
	s_sub_i32 s7, s7, s12
	s_add_i32 s12, s11, 1
	s_sub_i32 s13, s7, s2
	s_cmp_ge_u32 s7, s2
	s_cselect_b32 s11, s12, s11
	s_cselect_b32 s7, s13, s7
	s_add_i32 s12, s11, 1
	s_cmp_ge_u32 s7, s2
	s_cselect_b32 s2, s12, s11
	s_xor_b32 s2, s2, s3
	s_sub_i32 s14, s2, s3
	s_abs_i32 s11, s14
	v_cvt_f32_u32_e32 v0, s11
	s_load_dwordx2 s[2:3], s[4:5], 0x40
	s_sub_i32 s7, 0, s11
	s_abs_i32 s12, s6
	v_rcp_iflag_f32_e32 v0, v0
	v_mul_f32_e32 v0, 0x4f7ffffe, v0
	v_cvt_u32_f32_e32 v0, v0
	v_readfirstlane_b32 s13, v0
	s_mul_i32 s7, s7, s13
	s_mul_hi_u32 s7, s13, s7
	s_add_i32 s13, s13, s7
	s_waitcnt lgkmcnt(0)
	s_cmp_eq_u64 s[2:3], 0
	s_mul_hi_u32 s13, s12, s13
	s_cbranch_scc1 .LBB299_2
; %bb.1:
	s_ashr_i32 s7, s6, 31
	s_lshl_b64 s[16:17], s[6:7], 2
	s_add_u32 s2, s2, s16
	s_addc_u32 s3, s3, s17
	s_load_dword s48, s[2:3], 0x0
.LBB299_2:
	buffer_load_dword v1, off, s[56:59], 0 offset:224 ; 4-byte Folded Reload
	s_load_dword s33, s[0:1], 0x0
	s_load_dwordx4 s[16:19], s[4:5], 0x48
	s_movk_i32 s3, 0x60
	s_ashr_i32 s2, s6, 31
	s_ashr_i32 s7, s14, 31
	s_mul_i32 s24, s6, 0xc0
	s_waitcnt vmcnt(0)
	v_and_b32_e32 v0, 3, v1
	v_cmp_gt_u32_e32 vcc, s3, v1
	s_and_saveexec_b64 s[0:1], vcc
	s_cbranch_execz .LBB299_4
; %bb.3:
	buffer_load_dword v2, off, s[56:59], 0 offset:224 ; 4-byte Folded Reload
	s_load_dwordx2 s[14:15], s[4:5], 0x8
	s_waitcnt lgkmcnt(0)
	s_mul_i32 s20, s16, s10
	s_ashr_i32 s21, s20, 31
	s_lshl_b64 s[20:21], s[20:21], 1
	s_add_u32 s16, s14, s20
	s_addc_u32 s19, s15, s21
	s_ashr_i32 s25, s24, 31
	s_lshl_b64 s[14:15], s[24:25], 1
	s_add_u32 s14, s16, s14
	s_addc_u32 s15, s19, s15
	s_waitcnt vmcnt(0)
	v_lshlrev_b32_e32 v1, 2, v2
	global_load_dword v1, v1, s[14:15]
	v_and_b32_e32 v2, 0x3fc, v2
	v_mad_u32_u24 v2, v0, s3, v2
	s_waitcnt vmcnt(0)
	ds_write_b32 v2, v1
.LBB299_4:
	s_or_b64 exec, exec, s[0:1]
	s_mul_i32 s1, s13, s11
	s_sub_i32 s1, s12, s1
	s_xor_b32 s0, s2, s7
	s_add_i32 s2, s13, 1
	s_sub_i32 s7, s1, s11
	s_load_dwordx4 s[20:23], s[4:5], 0x68
	s_load_dword s3, s[4:5], 0x78
	s_cmp_ge_u32 s1, s11
	s_cselect_b32 s2, s2, s13
	s_cselect_b32 s1, s7, s1
	s_add_i32 s7, s2, 1
	s_cmp_ge_u32 s1, s11
	s_cselect_b32 s1, s7, s2
	s_waitcnt lgkmcnt(0)
	s_abs_i32 s25, s23
	v_cvt_f32_u32_e32 v1, s25
	s_xor_b32 s1, s1, s0
	s_sub_i32 s2, s1, s0
	s_sub_i32 s0, 0, s25
	v_rcp_iflag_f32_e32 v1, v1
	s_add_i32 s11, s33, -1
	s_abs_i32 s7, s11
	v_mul_f32_e32 v1, 0x4f7ffffe, v1
	v_cvt_u32_f32_e32 v1, v1
	s_barrier
	v_readfirstlane_b32 s46, v1
	s_mul_i32 s0, s0, s46
	s_mul_hi_u32 s0, s46, s0
	s_add_i32 s46, s46, s0
	s_cmp_lt_i32 s3, 0
	s_mul_hi_u32 s16, s7, s46
	s_cbranch_scc0 .LBB299_6
; %bb.5:
	s_mul_i32 s0, s20, s36
	s_add_i32 s0, s2, s0
	s_mul_i32 s0, s0, s3
	s_sub_i32 s36, 1, s0
	s_mov_b64 s[0:1], 0
	s_branch .LBB299_7
.LBB299_6:
	s_mov_b64 s[0:1], -1
                                        ; implicit-def: $sgpr36
.LBB299_7:
	s_load_dwordx2 s[28:29], s[4:5], 0x28
	s_ashr_i32 s19, s11, 31
	s_andn2_b64 vcc, exec, s[0:1]
	s_ashr_i32 s23, s23, 31
	s_cbranch_vccnz .LBB299_9
; %bb.8:
	s_mul_i32 s0, s9, s20
	s_add_i32 s0, s0, s6
	s_mul_i32 s0, s0, s3
	s_add_i32 s36, s0, 1
.LBB299_9:
	s_load_dword s0, s[4:5], 0x38
	s_load_dwordx2 s[26:27], s[4:5], 0x0
	s_load_dwordx2 s[34:35], s[4:5], 0x18
	s_load_dword s11, s[4:5], 0x88
	s_load_dwordx4 s[12:15], s[4:5], 0x58
	buffer_load_dword v1, off, s[56:59], 0 offset:224 ; 4-byte Folded Reload
	s_mul_i32 s1, s16, s25
	s_waitcnt lgkmcnt(0)
	s_mul_i32 s30, s0, s10
	s_sub_i32 s1, s7, s1
	s_ashr_i32 s31, s30, 31
	s_xor_b32 s0, s19, s23
	s_add_i32 s3, s16, 1
	s_sub_i32 s6, s1, s25
	s_cmp_ge_u32 s1, s25
	s_cselect_b32 s3, s3, s16
	s_cselect_b32 s1, s6, s1
	s_add_i32 s6, s3, 1
	s_cmp_ge_u32 s1, s25
	s_cselect_b32 s1, s6, s3
	s_xor_b32 s1, s1, s0
	s_sub_i32 s16, s1, s0
	s_add_i32 s0, s33, 15
	s_ashr_i32 s1, s0, 31
	s_lshr_b32 s1, s1, 28
	s_add_i32 s0, s0, s1
	s_ashr_i32 s47, s0, 4
	v_mov_b32_e32 v4, 0xff7fffff
	s_mul_i32 s20, s2, s18
	v_mbcnt_lo_u32_b32 v5, -1, 0
	s_waitcnt vmcnt(0)
	v_lshrrev_b32_e32 v2, 6, v1
	v_cmp_gt_i32_e64 s[0:1], s47, v2
	v_lshrrev_b32_e32 v14, 4, v1
	v_lshlrev_b32_e32 v1, 4, v2
	buffer_store_dword v2, off, s[56:59], 0 ; 4-byte Folded Spill
	buffer_store_dword v1, off, s[56:59], 0 offset:4 ; 4-byte Folded Spill
	s_and_saveexec_b64 s[18:19], s[0:1]
	s_cbranch_execz .LBB299_309
; %bb.10:
	buffer_load_dword v2, off, s[56:59], 0 offset:224 ; 4-byte Folded Reload
	s_load_dwordx2 s[2:3], s[4:5], 0x10
	s_sub_i32 s49, s16, s21
	s_ashr_i32 s4, s20, 31
	v_cmp_eq_u32_e32 vcc, 0, v0
	s_mov_b32 s51, s17
	s_waitcnt lgkmcnt(0)
	s_add_u32 s5, s2, s20
	s_addc_u32 s4, s3, s4
	s_abs_i32 s50, s22
	v_cvt_f32_u32_e32 v1, s50
	s_sub_i32 s2, 0, s50
	v_mov_b32_e32 v4, s4
	s_mov_b64 s[38:39], 0
	v_rcp_iflag_f32_e32 v1, v1
	s_movk_i32 s52, 0x80
	s_movk_i32 s53, 0x7f
	;; [unrolled: 1-line block ×3, first 2 shown]
	v_mul_f32_e32 v1, 0x4f7ffffe, v1
	v_cvt_u32_f32_e32 v1, v1
	s_waitcnt vmcnt(0)
	v_bfe_u32 v6, v2, 2, 4
	v_lshlrev_b32_e32 v2, 1, v0
	v_mul_u32_u24_e32 v0, 0x60, v0
	buffer_store_dword v0, off, s[56:59], 0 offset:232 ; 4-byte Folded Spill
	v_mul_lo_u32 v0, s2, v1
	v_lshlrev_b32_e32 v3, 4, v6
	v_add_co_u32_e64 v3, s[4:5], s5, v3
	v_mul_hi_u32 v0, v1, v0
	v_addc_co_u32_e64 v4, s[4:5], 0, v4, s[4:5]
	v_cmp_neq_f32_e64 s[2:3], s48, 0
	v_add_u32_e32 v0, v1, v0
	buffer_store_dword v0, off, s[56:59], 0 offset:16 ; 4-byte Folded Spill
	v_add_co_u32_e64 v0, s[4:5], v3, v2
	v_addc_co_u32_e64 v1, s[4:5], 0, v4, s[4:5]
	buffer_store_dword v0, off, s[56:59], 0 offset:236 ; 4-byte Folded Spill
	s_nop 0
	buffer_store_dword v1, off, s[56:59], 0 offset:240 ; 4-byte Folded Spill
	buffer_store_dword v14, off, s[56:59], 0 offset:256 ; 4-byte Folded Spill
	buffer_load_dword v47, off, s[56:59], 0 ; 4-byte Folded Reload
	s_lshl_b64 s[4:5], s[30:31], 2
	s_add_u32 s4, s28, s4
	v_and_b32_e32 v0, 60, v14
	s_addc_u32 s5, s29, s5
	v_mov_b32_e32 v1, s5
	v_add_co_u32_e64 v27, s[4:5], s4, v0
	v_subrev_u32_e32 v0, s33, v6
	v_add_u32_e32 v0, 1, v0
	buffer_store_dword v0, off, s[56:59], 0 offset:252 ; 4-byte Folded Spill
	buffer_store_dword v6, off, s[56:59], 0 offset:248 ; 4-byte Folded Spill
	v_lshlrev_b32_e32 v0, 2, v6
	v_addc_co_u32_e64 v28, s[4:5], 0, v1, s[4:5]
	s_waitcnt vmcnt(2)
	v_lshl_or_b32 v0, v47, 6, v0
	v_add_u32_e32 v11, 0x190, v0
	v_mbcnt_hi_u32_b32 v0, -1, v5
	v_lshlrev_b32_e32 v41, 4, v47
	buffer_store_dword v0, off, s[56:59], 0 offset:244 ; 4-byte Folded Spill
	v_mov_b32_e32 v0, 0xff7fffff
	buffer_store_dword v0, off, s[56:59], 0 offset:228 ; 4-byte Folded Spill
	s_branch .LBB299_13
.LBB299_11:                             ;   in Loop: Header=BB299_13 Depth=1
	s_or_b64 exec, exec, s[40:41]
.LBB299_12:                             ;   in Loop: Header=BB299_13 Depth=1
	s_or_b64 exec, exec, s[6:7]
	v_add_co_u32_e64 v27, s[4:5], 8, v27
	v_add_u32_e32 v47, 2, v47
	v_addc_co_u32_e64 v28, s[4:5], 0, v28, s[4:5]
	v_cmp_le_i32_e64 s[4:5], s47, v47
	v_add_u32_e32 v41, 32, v41
	s_or_b64 s[38:39], s[4:5], s[38:39]
	v_add_u32_e32 v11, 0x80, v11
	s_andn2_b64 exec, exec, s[38:39]
	s_cbranch_execz .LBB299_308
.LBB299_13:                             ; =>This Inner Loop Header: Depth=1
	buffer_load_dword v3, off, s[56:59], 0 offset:16 ; 4-byte Folded Reload
	v_mul_hi_u32 v0, v41, s46
	s_waitcnt lgkmcnt(0)
	v_mul_lo_u32 v1, v0, s25
	v_add_u32_e32 v2, 1, v0
	v_sub_u32_e32 v1, v41, v1
	v_cmp_le_u32_e64 s[4:5], s25, v1
	v_cndmask_b32_e64 v0, v0, v2, s[4:5]
	v_subrev_u32_e32 v2, s25, v1
	v_cndmask_b32_e64 v1, v1, v2, s[4:5]
	v_add_u32_e32 v2, 1, v0
	v_cmp_le_u32_e64 s[4:5], s25, v1
	v_cndmask_b32_e64 v0, v0, v2, s[4:5]
	v_xor_b32_e32 v0, s23, v0
	v_subrev_u32_e32 v0, s23, v0
	v_add_u32_e32 v1, s36, v0
	v_sub_u32_e32 v2, 0, v1
	v_max_i32_e32 v2, v1, v2
	v_ashrrev_i32_e32 v1, 31, v1
	v_cmp_ge_i32_e64 s[6:7], s49, v0
	s_waitcnt vmcnt(0)
	v_mul_hi_u32 v3, v2, v3
	v_mul_lo_u32 v3, v3, s50
	v_sub_u32_e32 v2, v2, v3
	v_subrev_u32_e32 v3, s50, v2
	v_cmp_le_u32_e64 s[4:5], s50, v2
	v_cndmask_b32_e64 v2, v2, v3, s[4:5]
	v_subrev_u32_e32 v3, s50, v2
	v_cmp_le_u32_e64 s[4:5], s50, v2
	v_cndmask_b32_e64 v2, v2, v3, s[4:5]
	v_xor_b32_e32 v2, v2, v1
	v_sub_u32_e32 v1, v2, v1
	v_cmp_ne_u32_e64 s[4:5], 0, v1
	s_and_b64 s[4:5], s[4:5], s[6:7]
	s_and_saveexec_b64 s[6:7], s[4:5]
	s_xor_b64 s[4:5], exec, s[6:7]
	s_cbranch_execz .LBB299_17
; %bb.14:                               ;   in Loop: Header=BB299_13 Depth=1
	s_and_saveexec_b64 s[6:7], vcc
; %bb.15:                               ;   in Loop: Header=BB299_13 Depth=1
	v_mov_b32_e32 v0, 0xff7fffff
	ds_write_b32 v11, v0
; %bb.16:                               ;   in Loop: Header=BB299_13 Depth=1
	s_or_b64 exec, exec, s[6:7]
.LBB299_17:                             ;   in Loop: Header=BB299_13 Depth=1
	s_andn2_saveexec_b64 s[6:7], s[4:5]
	s_cbranch_execz .LBB299_12
; %bb.18:                               ;   in Loop: Header=BB299_13 Depth=1
	global_load_dword v0, v[27:28], off
	buffer_load_dword v1, off, s[56:59], 0 offset:236 ; 4-byte Folded Reload
	buffer_load_dword v2, off, s[56:59], 0 offset:240 ; 4-byte Folded Reload
	v_mov_b32_e32 v63, 0
	v_mov_b32_e32 v62, 0
	s_waitcnt vmcnt(0)
	v_mad_i64_i32 v[29:30], s[4:5], v0, s51, v[1:2]
	buffer_load_dword v1, off, s[56:59], 0 offset:232 ; 4-byte Folded Reload
	global_load_ushort v0, v[29:30], off
	s_waitcnt vmcnt(1)
	ds_read_b128 v[48:51], v1
	ds_read_b128 v[2:5], v1 offset:16
	s_waitcnt lgkmcnt(0)
	buffer_store_dword v2, off, s[56:59], 0 offset:52 ; 4-byte Folded Spill
	s_nop 0
	buffer_store_dword v3, off, s[56:59], 0 offset:56 ; 4-byte Folded Spill
	buffer_store_dword v4, off, s[56:59], 0 offset:60 ; 4-byte Folded Spill
	;; [unrolled: 1-line block ×3, first 2 shown]
	v_mov_b32_e32 v2, 0
	s_load_dword s55, s[12:13], 0x0
	s_waitcnt vmcnt(4)
	v_cmp_ne_u16_sdwa s[4:5], v0, v2 src0_sel:BYTE_0 src1_sel:DWORD
	ds_read_b128 v[6:9], v1 offset:32
	ds_read_b128 v[2:5], v1 offset:48
	s_waitcnt lgkmcnt(0)
	buffer_store_dword v2, off, s[56:59], 0 offset:80 ; 4-byte Folded Spill
	s_nop 0
	buffer_store_dword v3, off, s[56:59], 0 offset:84 ; 4-byte Folded Spill
	buffer_store_dword v4, off, s[56:59], 0 offset:88 ; 4-byte Folded Spill
	;; [unrolled: 1-line block ×3, first 2 shown]
	ds_read_b128 v[2:5], v1 offset:64
	s_waitcnt lgkmcnt(0)
	buffer_store_dword v2, off, s[56:59], 0 offset:20 ; 4-byte Folded Spill
	s_nop 0
	buffer_store_dword v3, off, s[56:59], 0 offset:24 ; 4-byte Folded Spill
	buffer_store_dword v4, off, s[56:59], 0 offset:28 ; 4-byte Folded Spill
	;; [unrolled: 1-line block ×3, first 2 shown]
	v_and_b32_e32 v31, 0xffff, v0
	ds_read_b128 v[0:3], v1 offset:80
	s_waitcnt lgkmcnt(0)
	buffer_store_dword v0, off, s[56:59], 0 offset:36 ; 4-byte Folded Spill
	s_nop 0
	buffer_store_dword v1, off, s[56:59], 0 offset:40 ; 4-byte Folded Spill
	buffer_store_dword v2, off, s[56:59], 0 offset:44 ; 4-byte Folded Spill
	;; [unrolled: 1-line block ×3, first 2 shown]
	s_and_saveexec_b64 s[40:41], s[4:5]
	s_cbranch_execz .LBB299_24
; %bb.19:                               ;   in Loop: Header=BB299_13 Depth=1
	v_cmp_ne_u16_sdwa s[4:5], v31, s52 src0_sel:BYTE_0 src1_sel:DWORD
	v_bfrev_b32_e32 v62, 1
	s_and_saveexec_b64 s[42:43], s[4:5]
	s_cbranch_execz .LBB299_23
; %bb.20:                               ;   in Loop: Header=BB299_13 Depth=1
	v_and_b32_e32 v0, 0x7f, v31
	v_cmp_ne_u32_e64 s[4:5], s53, v0
	v_mov_b32_e32 v62, 0x7f800001
	s_and_saveexec_b64 s[44:45], s[4:5]
	s_cbranch_execz .LBB299_22
; %bb.21:                               ;   in Loop: Header=BB299_13 Depth=1
	v_and_b32_e32 v32, 7, v31
	v_ffbh_u32_e32 v25, v32
	v_min_u32_e32 v35, 32, v25
	v_subrev_u32_e32 v25, 28, v35
	v_lshlrev_b64 v[25:26], v25, v[31:32]
	v_lshrrev_b32_e32 v33, 3, v0
	v_sub_u32_e32 v26, 29, v35
	v_and_b32_e32 v25, 7, v25
	v_cmp_gt_u32_e64 s[4:5], 8, v0
	v_cndmask_b32_e64 v0, v33, v26, s[4:5]
	v_cndmask_b32_e64 v25, v32, v25, s[4:5]
	v_lshlrev_b32_e32 v26, 24, v31
	v_bfrev_b32_e32 v32, 60
	v_lshlrev_b32_e32 v25, 20, v25
	v_and_b32_e32 v26, 0x80000000, v26
	v_lshl_add_u32 v0, v0, 23, v32
	v_or3_b32 v62, v26, v0, v25
.LBB299_22:                             ;   in Loop: Header=BB299_13 Depth=1
	s_or_b64 exec, exec, s[44:45]
.LBB299_23:                             ;   in Loop: Header=BB299_13 Depth=1
	s_or_b64 exec, exec, s[42:43]
.LBB299_24:                             ;   in Loop: Header=BB299_13 Depth=1
	s_or_b64 exec, exec, s[40:41]
	v_lshrrev_b16_e32 v32, 8, v31
	v_cmp_ne_u16_e64 s[4:5], 0, v32
	s_and_saveexec_b64 s[40:41], s[4:5]
	s_cbranch_execz .LBB299_30
; %bb.25:                               ;   in Loop: Header=BB299_13 Depth=1
	v_cmp_ne_u16_e64 s[4:5], s52, v32
	v_bfrev_b32_e32 v63, 1
	s_and_saveexec_b64 s[42:43], s[4:5]
	s_cbranch_execz .LBB299_29
; %bb.26:                               ;   in Loop: Header=BB299_13 Depth=1
	v_and_b32_e32 v0, 0x7f, v32
	v_cmp_ne_u32_e64 s[4:5], s53, v0
	v_mov_b32_e32 v63, 0x7f800001
	s_and_saveexec_b64 s[44:45], s[4:5]
	s_cbranch_execz .LBB299_28
; %bb.27:                               ;   in Loop: Header=BB299_13 Depth=1
	v_and_b32_e32 v33, 7, v32
	v_ffbh_u32_e32 v25, v33
	v_min_u32_e32 v36, 32, v25
	v_subrev_u32_e32 v25, 28, v36
	v_lshlrev_b64 v[25:26], v25, v[32:33]
	v_lshrrev_b32_e32 v35, 3, v0
	v_sub_u32_e32 v26, 29, v36
	v_and_b32_e32 v25, 7, v25
	v_cmp_gt_u32_e64 s[4:5], 8, v0
	v_cndmask_b32_e64 v0, v35, v26, s[4:5]
	v_cndmask_b32_e64 v25, v33, v25, s[4:5]
	v_lshlrev_b32_e32 v26, 16, v31
	v_bfrev_b32_e32 v31, 60
	v_lshlrev_b32_e32 v25, 20, v25
	v_and_b32_e32 v26, 0x80000000, v26
	v_lshl_add_u32 v0, v0, 23, v31
	v_or3_b32 v63, v26, v0, v25
.LBB299_28:                             ;   in Loop: Header=BB299_13 Depth=1
	s_or_b64 exec, exec, s[44:45]
.LBB299_29:                             ;   in Loop: Header=BB299_13 Depth=1
	s_or_b64 exec, exec, s[42:43]
.LBB299_30:                             ;   in Loop: Header=BB299_13 Depth=1
	s_or_b64 exec, exec, s[40:41]
	global_load_ushort v0, v[29:30], off offset:8
	v_mov_b32_e32 v25, 0
	v_mov_b32_e32 v38, 0
	v_mov_b32_e32 v61, 0
	s_waitcnt vmcnt(0)
	v_and_b32_e32 v31, 0xffff, v0
	v_cmp_ne_u16_sdwa s[4:5], v0, v25 src0_sel:BYTE_0 src1_sel:DWORD
	s_and_saveexec_b64 s[40:41], s[4:5]
	s_cbranch_execz .LBB299_36
; %bb.31:                               ;   in Loop: Header=BB299_13 Depth=1
	v_cmp_ne_u16_sdwa s[4:5], v31, s52 src0_sel:BYTE_0 src1_sel:DWORD
	v_bfrev_b32_e32 v61, 1
	s_and_saveexec_b64 s[42:43], s[4:5]
	s_cbranch_execz .LBB299_35
; %bb.32:                               ;   in Loop: Header=BB299_13 Depth=1
	v_and_b32_e32 v0, 0x7f, v31
	v_cmp_ne_u32_e64 s[4:5], s53, v0
	v_mov_b32_e32 v61, 0x7f800001
	s_and_saveexec_b64 s[44:45], s[4:5]
	s_cbranch_execz .LBB299_34
; %bb.33:                               ;   in Loop: Header=BB299_13 Depth=1
	v_and_b32_e32 v32, 7, v31
	v_ffbh_u32_e32 v25, v32
	v_min_u32_e32 v35, 32, v25
	v_subrev_u32_e32 v25, 28, v35
	v_lshlrev_b64 v[25:26], v25, v[31:32]
	v_lshrrev_b32_e32 v33, 3, v0
	v_sub_u32_e32 v26, 29, v35
	v_and_b32_e32 v25, 7, v25
	v_cmp_gt_u32_e64 s[4:5], 8, v0
	v_cndmask_b32_e64 v0, v33, v26, s[4:5]
	v_cndmask_b32_e64 v25, v32, v25, s[4:5]
	v_lshlrev_b32_e32 v26, 24, v31
	v_bfrev_b32_e32 v32, 60
	v_lshlrev_b32_e32 v25, 20, v25
	v_and_b32_e32 v26, 0x80000000, v26
	v_lshl_add_u32 v0, v0, 23, v32
	v_or3_b32 v61, v26, v0, v25
.LBB299_34:                             ;   in Loop: Header=BB299_13 Depth=1
	s_or_b64 exec, exec, s[44:45]
.LBB299_35:                             ;   in Loop: Header=BB299_13 Depth=1
	s_or_b64 exec, exec, s[42:43]
.LBB299_36:                             ;   in Loop: Header=BB299_13 Depth=1
	s_or_b64 exec, exec, s[40:41]
	v_lshrrev_b16_e32 v32, 8, v31
	v_cmp_ne_u16_e64 s[4:5], 0, v32
	s_and_saveexec_b64 s[40:41], s[4:5]
	s_cbranch_execz .LBB299_42
; %bb.37:                               ;   in Loop: Header=BB299_13 Depth=1
	v_cmp_ne_u16_e64 s[4:5], s52, v32
	v_bfrev_b32_e32 v38, 1
	s_and_saveexec_b64 s[42:43], s[4:5]
	s_cbranch_execz .LBB299_41
; %bb.38:                               ;   in Loop: Header=BB299_13 Depth=1
	v_and_b32_e32 v0, 0x7f, v32
	v_cmp_ne_u32_e64 s[4:5], s53, v0
	v_mov_b32_e32 v38, 0x7f800001
	s_and_saveexec_b64 s[44:45], s[4:5]
	s_cbranch_execz .LBB299_40
; %bb.39:                               ;   in Loop: Header=BB299_13 Depth=1
	v_and_b32_e32 v33, 7, v32
	v_ffbh_u32_e32 v25, v33
	v_min_u32_e32 v36, 32, v25
	v_subrev_u32_e32 v25, 28, v36
	v_lshlrev_b64 v[25:26], v25, v[32:33]
	v_lshrrev_b32_e32 v35, 3, v0
	v_sub_u32_e32 v26, 29, v36
	v_and_b32_e32 v25, 7, v25
	v_cmp_gt_u32_e64 s[4:5], 8, v0
	v_cndmask_b32_e64 v0, v35, v26, s[4:5]
	v_cndmask_b32_e64 v25, v33, v25, s[4:5]
	v_lshlrev_b32_e32 v26, 16, v31
	v_bfrev_b32_e32 v31, 60
	v_lshlrev_b32_e32 v25, 20, v25
	v_and_b32_e32 v26, 0x80000000, v26
	v_lshl_add_u32 v0, v0, 23, v31
	v_or3_b32 v38, v26, v0, v25
.LBB299_40:                             ;   in Loop: Header=BB299_13 Depth=1
	s_or_b64 exec, exec, s[44:45]
.LBB299_41:                             ;   in Loop: Header=BB299_13 Depth=1
	s_or_b64 exec, exec, s[42:43]
.LBB299_42:                             ;   in Loop: Header=BB299_13 Depth=1
	s_or_b64 exec, exec, s[40:41]
	global_load_ushort v0, v[29:30], off offset:256
	v_mov_b32_e32 v25, 0
	v_mov_b32_e32 v39, 0
	;; [unrolled: 1-line block ×3, first 2 shown]
	s_waitcnt vmcnt(0)
	v_and_b32_e32 v31, 0xffff, v0
	v_cmp_ne_u16_sdwa s[4:5], v0, v25 src0_sel:BYTE_0 src1_sel:DWORD
	s_and_saveexec_b64 s[40:41], s[4:5]
	s_cbranch_execz .LBB299_48
; %bb.43:                               ;   in Loop: Header=BB299_13 Depth=1
	v_cmp_ne_u16_sdwa s[4:5], v31, s52 src0_sel:BYTE_0 src1_sel:DWORD
	v_bfrev_b32_e32 v40, 1
	s_and_saveexec_b64 s[42:43], s[4:5]
	s_cbranch_execz .LBB299_47
; %bb.44:                               ;   in Loop: Header=BB299_13 Depth=1
	v_and_b32_e32 v0, 0x7f, v31
	v_cmp_ne_u32_e64 s[4:5], s53, v0
	v_mov_b32_e32 v40, 0x7f800001
	s_and_saveexec_b64 s[44:45], s[4:5]
	s_cbranch_execz .LBB299_46
; %bb.45:                               ;   in Loop: Header=BB299_13 Depth=1
	v_and_b32_e32 v32, 7, v31
	v_ffbh_u32_e32 v25, v32
	v_min_u32_e32 v35, 32, v25
	v_subrev_u32_e32 v25, 28, v35
	v_lshlrev_b64 v[25:26], v25, v[31:32]
	v_lshrrev_b32_e32 v33, 3, v0
	v_sub_u32_e32 v26, 29, v35
	v_and_b32_e32 v25, 7, v25
	v_cmp_gt_u32_e64 s[4:5], 8, v0
	v_cndmask_b32_e64 v0, v33, v26, s[4:5]
	v_cndmask_b32_e64 v25, v32, v25, s[4:5]
	v_lshlrev_b32_e32 v26, 24, v31
	v_bfrev_b32_e32 v32, 60
	v_lshlrev_b32_e32 v25, 20, v25
	v_and_b32_e32 v26, 0x80000000, v26
	v_lshl_add_u32 v0, v0, 23, v32
	v_or3_b32 v40, v26, v0, v25
.LBB299_46:                             ;   in Loop: Header=BB299_13 Depth=1
	s_or_b64 exec, exec, s[44:45]
.LBB299_47:                             ;   in Loop: Header=BB299_13 Depth=1
	s_or_b64 exec, exec, s[42:43]
.LBB299_48:                             ;   in Loop: Header=BB299_13 Depth=1
	s_or_b64 exec, exec, s[40:41]
	v_lshrrev_b16_e32 v32, 8, v31
	v_cmp_ne_u16_e64 s[4:5], 0, v32
	s_and_saveexec_b64 s[40:41], s[4:5]
	s_cbranch_execz .LBB299_54
; %bb.49:                               ;   in Loop: Header=BB299_13 Depth=1
	v_cmp_ne_u16_e64 s[4:5], s52, v32
	v_bfrev_b32_e32 v39, 1
	s_and_saveexec_b64 s[42:43], s[4:5]
	s_cbranch_execz .LBB299_53
; %bb.50:                               ;   in Loop: Header=BB299_13 Depth=1
	v_and_b32_e32 v0, 0x7f, v32
	v_cmp_ne_u32_e64 s[4:5], s53, v0
	v_mov_b32_e32 v39, 0x7f800001
	s_and_saveexec_b64 s[44:45], s[4:5]
	s_cbranch_execz .LBB299_52
; %bb.51:                               ;   in Loop: Header=BB299_13 Depth=1
	v_and_b32_e32 v33, 7, v32
	v_ffbh_u32_e32 v25, v33
	v_min_u32_e32 v36, 32, v25
	v_subrev_u32_e32 v25, 28, v36
	v_lshlrev_b64 v[25:26], v25, v[32:33]
	v_lshrrev_b32_e32 v35, 3, v0
	v_sub_u32_e32 v26, 29, v36
	v_and_b32_e32 v25, 7, v25
	v_cmp_gt_u32_e64 s[4:5], 8, v0
	v_cndmask_b32_e64 v0, v35, v26, s[4:5]
	v_cndmask_b32_e64 v25, v33, v25, s[4:5]
	v_lshlrev_b32_e32 v26, 16, v31
	v_bfrev_b32_e32 v31, 60
	v_lshlrev_b32_e32 v25, 20, v25
	v_and_b32_e32 v26, 0x80000000, v26
	v_lshl_add_u32 v0, v0, 23, v31
	v_or3_b32 v39, v26, v0, v25
.LBB299_52:                             ;   in Loop: Header=BB299_13 Depth=1
	s_or_b64 exec, exec, s[44:45]
.LBB299_53:                             ;   in Loop: Header=BB299_13 Depth=1
	s_or_b64 exec, exec, s[42:43]
.LBB299_54:                             ;   in Loop: Header=BB299_13 Depth=1
	s_or_b64 exec, exec, s[40:41]
	global_load_ushort v0, v[29:30], off offset:264
	v_mov_b32_e32 v25, 0
	v_mov_b32_e32 v36, 0
	;; [unrolled: 1-line block ×3, first 2 shown]
	s_waitcnt vmcnt(0)
	v_and_b32_e32 v31, 0xffff, v0
	v_cmp_ne_u16_sdwa s[4:5], v0, v25 src0_sel:BYTE_0 src1_sel:DWORD
	s_and_saveexec_b64 s[40:41], s[4:5]
	s_cbranch_execz .LBB299_60
; %bb.55:                               ;   in Loop: Header=BB299_13 Depth=1
	v_cmp_ne_u16_sdwa s[4:5], v31, s52 src0_sel:BYTE_0 src1_sel:DWORD
	v_bfrev_b32_e32 v42, 1
	s_and_saveexec_b64 s[42:43], s[4:5]
	s_cbranch_execz .LBB299_59
; %bb.56:                               ;   in Loop: Header=BB299_13 Depth=1
	v_and_b32_e32 v0, 0x7f, v31
	v_cmp_ne_u32_e64 s[4:5], s53, v0
	v_mov_b32_e32 v42, 0x7f800001
	s_and_saveexec_b64 s[44:45], s[4:5]
	s_cbranch_execz .LBB299_58
; %bb.57:                               ;   in Loop: Header=BB299_13 Depth=1
	v_and_b32_e32 v32, 7, v31
	v_ffbh_u32_e32 v25, v32
	v_min_u32_e32 v35, 32, v25
	v_subrev_u32_e32 v25, 28, v35
	v_lshlrev_b64 v[25:26], v25, v[31:32]
	v_lshrrev_b32_e32 v33, 3, v0
	v_sub_u32_e32 v26, 29, v35
	v_and_b32_e32 v25, 7, v25
	v_cmp_gt_u32_e64 s[4:5], 8, v0
	v_cndmask_b32_e64 v0, v33, v26, s[4:5]
	v_cndmask_b32_e64 v25, v32, v25, s[4:5]
	v_lshlrev_b32_e32 v26, 24, v31
	v_bfrev_b32_e32 v32, 60
	v_lshlrev_b32_e32 v25, 20, v25
	v_and_b32_e32 v26, 0x80000000, v26
	v_lshl_add_u32 v0, v0, 23, v32
	v_or3_b32 v42, v26, v0, v25
.LBB299_58:                             ;   in Loop: Header=BB299_13 Depth=1
	s_or_b64 exec, exec, s[44:45]
.LBB299_59:                             ;   in Loop: Header=BB299_13 Depth=1
	s_or_b64 exec, exec, s[42:43]
.LBB299_60:                             ;   in Loop: Header=BB299_13 Depth=1
	s_or_b64 exec, exec, s[40:41]
	v_lshrrev_b16_e32 v32, 8, v31
	v_cmp_ne_u16_e64 s[4:5], 0, v32
	s_and_saveexec_b64 s[40:41], s[4:5]
	s_cbranch_execz .LBB299_66
; %bb.61:                               ;   in Loop: Header=BB299_13 Depth=1
	v_cmp_ne_u16_e64 s[4:5], s52, v32
	v_bfrev_b32_e32 v36, 1
	s_and_saveexec_b64 s[42:43], s[4:5]
	s_cbranch_execz .LBB299_65
; %bb.62:                               ;   in Loop: Header=BB299_13 Depth=1
	v_and_b32_e32 v0, 0x7f, v32
	v_cmp_ne_u32_e64 s[4:5], s53, v0
	v_mov_b32_e32 v36, 0x7f800001
	s_and_saveexec_b64 s[44:45], s[4:5]
	s_cbranch_execz .LBB299_64
; %bb.63:                               ;   in Loop: Header=BB299_13 Depth=1
	v_and_b32_e32 v33, 7, v32
	v_ffbh_u32_e32 v25, v33
	v_min_u32_e32 v36, 32, v25
	v_subrev_u32_e32 v25, 28, v36
	v_lshlrev_b64 v[25:26], v25, v[32:33]
	v_lshrrev_b32_e32 v35, 3, v0
	v_sub_u32_e32 v26, 29, v36
	v_and_b32_e32 v25, 7, v25
	v_cmp_gt_u32_e64 s[4:5], 8, v0
	v_cndmask_b32_e64 v0, v35, v26, s[4:5]
	v_cndmask_b32_e64 v25, v33, v25, s[4:5]
	v_lshlrev_b32_e32 v26, 16, v31
	v_bfrev_b32_e32 v31, 60
	v_lshlrev_b32_e32 v25, 20, v25
	v_and_b32_e32 v26, 0x80000000, v26
	v_lshl_add_u32 v0, v0, 23, v31
	v_or3_b32 v36, v26, v0, v25
.LBB299_64:                             ;   in Loop: Header=BB299_13 Depth=1
	s_or_b64 exec, exec, s[44:45]
.LBB299_65:                             ;   in Loop: Header=BB299_13 Depth=1
	s_or_b64 exec, exec, s[42:43]
.LBB299_66:                             ;   in Loop: Header=BB299_13 Depth=1
	s_or_b64 exec, exec, s[40:41]
	global_load_ushort v0, v[29:30], off offset:512
	v_mov_b32_e32 v25, 0
	v_mov_b32_e32 v44, 0
	;; [unrolled: 1-line block ×3, first 2 shown]
	s_waitcnt vmcnt(0)
	v_and_b32_e32 v31, 0xffff, v0
	v_cmp_ne_u16_sdwa s[4:5], v0, v25 src0_sel:BYTE_0 src1_sel:DWORD
	s_and_saveexec_b64 s[40:41], s[4:5]
	s_cbranch_execz .LBB299_72
; %bb.67:                               ;   in Loop: Header=BB299_13 Depth=1
	v_cmp_ne_u16_sdwa s[4:5], v31, s52 src0_sel:BYTE_0 src1_sel:DWORD
	v_bfrev_b32_e32 v5, 1
	s_and_saveexec_b64 s[42:43], s[4:5]
	s_cbranch_execz .LBB299_71
; %bb.68:                               ;   in Loop: Header=BB299_13 Depth=1
	v_and_b32_e32 v0, 0x7f, v31
	v_cmp_ne_u32_e64 s[4:5], s53, v0
	v_mov_b32_e32 v5, 0x7f800001
	s_and_saveexec_b64 s[44:45], s[4:5]
	s_cbranch_execz .LBB299_70
; %bb.69:                               ;   in Loop: Header=BB299_13 Depth=1
	v_and_b32_e32 v32, 7, v31
	v_ffbh_u32_e32 v25, v32
	v_min_u32_e32 v35, 32, v25
	v_subrev_u32_e32 v25, 28, v35
	v_lshlrev_b64 v[25:26], v25, v[31:32]
	v_lshrrev_b32_e32 v33, 3, v0
	v_sub_u32_e32 v26, 29, v35
	v_and_b32_e32 v25, 7, v25
	v_cmp_gt_u32_e64 s[4:5], 8, v0
	v_cndmask_b32_e64 v0, v33, v26, s[4:5]
	v_cndmask_b32_e64 v25, v32, v25, s[4:5]
	v_lshlrev_b32_e32 v26, 24, v31
	v_bfrev_b32_e32 v32, 60
	v_lshlrev_b32_e32 v25, 20, v25
	v_and_b32_e32 v26, 0x80000000, v26
	v_lshl_add_u32 v0, v0, 23, v32
	v_or3_b32 v5, v26, v0, v25
.LBB299_70:                             ;   in Loop: Header=BB299_13 Depth=1
	s_or_b64 exec, exec, s[44:45]
.LBB299_71:                             ;   in Loop: Header=BB299_13 Depth=1
	s_or_b64 exec, exec, s[42:43]
.LBB299_72:                             ;   in Loop: Header=BB299_13 Depth=1
	s_or_b64 exec, exec, s[40:41]
	v_lshrrev_b16_e32 v32, 8, v31
	v_cmp_ne_u16_e64 s[4:5], 0, v32
	s_and_saveexec_b64 s[40:41], s[4:5]
	s_cbranch_execz .LBB299_78
; %bb.73:                               ;   in Loop: Header=BB299_13 Depth=1
	v_cmp_ne_u16_e64 s[4:5], s52, v32
	v_bfrev_b32_e32 v44, 1
	s_and_saveexec_b64 s[42:43], s[4:5]
	s_cbranch_execz .LBB299_77
; %bb.74:                               ;   in Loop: Header=BB299_13 Depth=1
	v_and_b32_e32 v0, 0x7f, v32
	v_cmp_ne_u32_e64 s[4:5], s53, v0
	v_mov_b32_e32 v44, 0x7f800001
	s_and_saveexec_b64 s[44:45], s[4:5]
	s_cbranch_execz .LBB299_76
; %bb.75:                               ;   in Loop: Header=BB299_13 Depth=1
	v_and_b32_e32 v33, 7, v32
	v_lshrrev_b32_e32 v35, 3, v0
	v_cmp_gt_u32_e64 s[4:5], 8, v0
	v_ffbh_u32_e32 v0, v33
	v_min_u32_e32 v0, 32, v0
	v_subrev_u32_e32 v25, 28, v0
	v_lshlrev_b64 v[25:26], v25, v[32:33]
	v_sub_u32_e32 v0, 29, v0
	v_and_b32_e32 v25, 7, v25
	v_cndmask_b32_e64 v0, v35, v0, s[4:5]
	v_cndmask_b32_e64 v25, v33, v25, s[4:5]
	v_lshlrev_b32_e32 v26, 16, v31
	v_bfrev_b32_e32 v31, 60
	v_lshlrev_b32_e32 v25, 20, v25
	v_and_b32_e32 v26, 0x80000000, v26
	v_lshl_add_u32 v0, v0, 23, v31
	v_or3_b32 v44, v26, v0, v25
.LBB299_76:                             ;   in Loop: Header=BB299_13 Depth=1
	s_or_b64 exec, exec, s[44:45]
.LBB299_77:                             ;   in Loop: Header=BB299_13 Depth=1
	s_or_b64 exec, exec, s[42:43]
.LBB299_78:                             ;   in Loop: Header=BB299_13 Depth=1
	s_or_b64 exec, exec, s[40:41]
	global_load_ushort v0, v[29:30], off offset:520
	v_mov_b32_e32 v25, 0
	v_mov_b32_e32 v1, 0
	;; [unrolled: 1-line block ×3, first 2 shown]
	s_waitcnt vmcnt(0)
	v_and_b32_e32 v31, 0xffff, v0
	v_cmp_ne_u16_sdwa s[4:5], v0, v25 src0_sel:BYTE_0 src1_sel:DWORD
	s_and_saveexec_b64 s[40:41], s[4:5]
	s_cbranch_execz .LBB299_84
; %bb.79:                               ;   in Loop: Header=BB299_13 Depth=1
	v_cmp_ne_u16_sdwa s[4:5], v31, s52 src0_sel:BYTE_0 src1_sel:DWORD
	v_bfrev_b32_e32 v2, 1
	s_and_saveexec_b64 s[42:43], s[4:5]
	s_cbranch_execz .LBB299_83
; %bb.80:                               ;   in Loop: Header=BB299_13 Depth=1
	v_and_b32_e32 v0, 0x7f, v31
	v_cmp_ne_u32_e64 s[4:5], s53, v0
	v_mov_b32_e32 v2, 0x7f800001
	s_and_saveexec_b64 s[44:45], s[4:5]
	s_cbranch_execz .LBB299_82
; %bb.81:                               ;   in Loop: Header=BB299_13 Depth=1
	v_and_b32_e32 v32, 7, v31
	v_lshrrev_b32_e32 v33, 3, v0
	v_cmp_gt_u32_e64 s[4:5], 8, v0
	v_ffbh_u32_e32 v0, v32
	v_min_u32_e32 v0, 32, v0
	v_subrev_u32_e32 v25, 28, v0
	v_lshlrev_b64 v[25:26], v25, v[31:32]
	v_sub_u32_e32 v0, 29, v0
	v_and_b32_e32 v25, 7, v25
	v_cndmask_b32_e64 v0, v33, v0, s[4:5]
	v_cndmask_b32_e64 v25, v32, v25, s[4:5]
	v_lshlrev_b32_e32 v26, 24, v31
	v_bfrev_b32_e32 v32, 60
	v_lshlrev_b32_e32 v25, 20, v25
	v_and_b32_e32 v26, 0x80000000, v26
	v_lshl_add_u32 v0, v0, 23, v32
	v_or3_b32 v2, v26, v0, v25
.LBB299_82:                             ;   in Loop: Header=BB299_13 Depth=1
	s_or_b64 exec, exec, s[44:45]
.LBB299_83:                             ;   in Loop: Header=BB299_13 Depth=1
	s_or_b64 exec, exec, s[42:43]
.LBB299_84:                             ;   in Loop: Header=BB299_13 Depth=1
	s_or_b64 exec, exec, s[40:41]
	v_lshrrev_b16_e32 v32, 8, v31
	v_cmp_ne_u16_e64 s[4:5], 0, v32
	s_and_saveexec_b64 s[40:41], s[4:5]
	s_cbranch_execz .LBB299_90
; %bb.85:                               ;   in Loop: Header=BB299_13 Depth=1
	v_cmp_ne_u16_e64 s[4:5], s52, v32
	v_bfrev_b32_e32 v1, 1
	s_and_saveexec_b64 s[42:43], s[4:5]
	s_cbranch_execz .LBB299_89
; %bb.86:                               ;   in Loop: Header=BB299_13 Depth=1
	v_and_b32_e32 v0, 0x7f, v32
	v_cmp_ne_u32_e64 s[4:5], s53, v0
	v_mov_b32_e32 v1, 0x7f800001
	s_and_saveexec_b64 s[44:45], s[4:5]
	s_cbranch_execz .LBB299_88
; %bb.87:                               ;   in Loop: Header=BB299_13 Depth=1
	v_and_b32_e32 v33, 7, v32
	v_lshrrev_b32_e32 v35, 3, v0
	v_cmp_gt_u32_e64 s[4:5], 8, v0
	v_ffbh_u32_e32 v0, v33
	v_min_u32_e32 v0, 32, v0
	v_subrev_u32_e32 v25, 28, v0
	v_lshlrev_b64 v[25:26], v25, v[32:33]
	v_sub_u32_e32 v0, 29, v0
	v_and_b32_e32 v25, 7, v25
	v_cndmask_b32_e64 v0, v35, v0, s[4:5]
	v_cndmask_b32_e64 v25, v33, v25, s[4:5]
	v_lshlrev_b32_e32 v26, 16, v31
	v_bfrev_b32_e32 v31, 60
	v_lshlrev_b32_e32 v25, 20, v25
	v_and_b32_e32 v26, 0x80000000, v26
	v_lshl_add_u32 v0, v0, 23, v31
	v_or3_b32 v1, v26, v0, v25
.LBB299_88:                             ;   in Loop: Header=BB299_13 Depth=1
	s_or_b64 exec, exec, s[44:45]
.LBB299_89:                             ;   in Loop: Header=BB299_13 Depth=1
	s_or_b64 exec, exec, s[42:43]
.LBB299_90:                             ;   in Loop: Header=BB299_13 Depth=1
	s_or_b64 exec, exec, s[40:41]
	global_load_ushort v0, v[29:30], off offset:768
	v_mov_b32_e32 v25, 0
	v_mov_b32_e32 v3, 0
	;; [unrolled: 1-line block ×3, first 2 shown]
	s_waitcnt vmcnt(0)
	v_and_b32_e32 v31, 0xffff, v0
	v_cmp_ne_u16_sdwa s[4:5], v0, v25 src0_sel:BYTE_0 src1_sel:DWORD
	s_and_saveexec_b64 s[40:41], s[4:5]
	s_cbranch_execz .LBB299_96
; %bb.91:                               ;   in Loop: Header=BB299_13 Depth=1
	v_cmp_ne_u16_sdwa s[4:5], v31, s52 src0_sel:BYTE_0 src1_sel:DWORD
	v_bfrev_b32_e32 v4, 1
	s_and_saveexec_b64 s[42:43], s[4:5]
	s_cbranch_execz .LBB299_95
; %bb.92:                               ;   in Loop: Header=BB299_13 Depth=1
	v_and_b32_e32 v0, 0x7f, v31
	v_cmp_ne_u32_e64 s[4:5], s53, v0
	v_mov_b32_e32 v4, 0x7f800001
	s_and_saveexec_b64 s[44:45], s[4:5]
	s_cbranch_execz .LBB299_94
; %bb.93:                               ;   in Loop: Header=BB299_13 Depth=1
	v_and_b32_e32 v32, 7, v31
	v_lshrrev_b32_e32 v33, 3, v0
	v_cmp_gt_u32_e64 s[4:5], 8, v0
	v_ffbh_u32_e32 v0, v32
	v_min_u32_e32 v0, 32, v0
	v_subrev_u32_e32 v25, 28, v0
	v_lshlrev_b64 v[25:26], v25, v[31:32]
	v_sub_u32_e32 v0, 29, v0
	v_and_b32_e32 v25, 7, v25
	v_cndmask_b32_e64 v0, v33, v0, s[4:5]
	v_cndmask_b32_e64 v25, v32, v25, s[4:5]
	v_lshlrev_b32_e32 v26, 24, v31
	v_bfrev_b32_e32 v32, 60
	v_lshlrev_b32_e32 v25, 20, v25
	v_and_b32_e32 v26, 0x80000000, v26
	v_lshl_add_u32 v0, v0, 23, v32
	v_or3_b32 v4, v26, v0, v25
.LBB299_94:                             ;   in Loop: Header=BB299_13 Depth=1
	s_or_b64 exec, exec, s[44:45]
.LBB299_95:                             ;   in Loop: Header=BB299_13 Depth=1
	s_or_b64 exec, exec, s[42:43]
.LBB299_96:                             ;   in Loop: Header=BB299_13 Depth=1
	s_or_b64 exec, exec, s[40:41]
	v_lshrrev_b16_e32 v32, 8, v31
	v_cmp_ne_u16_e64 s[4:5], 0, v32
	s_and_saveexec_b64 s[40:41], s[4:5]
	s_cbranch_execz .LBB299_102
; %bb.97:                               ;   in Loop: Header=BB299_13 Depth=1
	v_cmp_ne_u16_e64 s[4:5], s52, v32
	v_bfrev_b32_e32 v3, 1
	s_and_saveexec_b64 s[42:43], s[4:5]
	s_cbranch_execz .LBB299_101
; %bb.98:                               ;   in Loop: Header=BB299_13 Depth=1
	v_and_b32_e32 v0, 0x7f, v32
	v_cmp_ne_u32_e64 s[4:5], s53, v0
	v_mov_b32_e32 v3, 0x7f800001
	s_and_saveexec_b64 s[44:45], s[4:5]
	s_cbranch_execz .LBB299_100
; %bb.99:                               ;   in Loop: Header=BB299_13 Depth=1
	v_and_b32_e32 v33, 7, v32
	v_lshrrev_b32_e32 v35, 3, v0
	v_cmp_gt_u32_e64 s[4:5], 8, v0
	v_ffbh_u32_e32 v0, v33
	v_min_u32_e32 v0, 32, v0
	v_subrev_u32_e32 v25, 28, v0
	v_lshlrev_b64 v[25:26], v25, v[32:33]
	v_sub_u32_e32 v0, 29, v0
	v_and_b32_e32 v25, 7, v25
	v_cndmask_b32_e64 v0, v35, v0, s[4:5]
	v_cndmask_b32_e64 v25, v33, v25, s[4:5]
	v_lshlrev_b32_e32 v26, 16, v31
	v_bfrev_b32_e32 v31, 60
	v_lshlrev_b32_e32 v25, 20, v25
	v_and_b32_e32 v26, 0x80000000, v26
	v_lshl_add_u32 v0, v0, 23, v31
	v_or3_b32 v3, v26, v0, v25
.LBB299_100:                            ;   in Loop: Header=BB299_13 Depth=1
	s_or_b64 exec, exec, s[44:45]
.LBB299_101:                            ;   in Loop: Header=BB299_13 Depth=1
	s_or_b64 exec, exec, s[42:43]
.LBB299_102:                            ;   in Loop: Header=BB299_13 Depth=1
	s_or_b64 exec, exec, s[40:41]
	global_load_ushort v0, v[29:30], off offset:776
	v_mov_b32_e32 v25, 0
	v_mov_b32_e32 v10, 0
	;; [unrolled: 1-line block ×3, first 2 shown]
	s_waitcnt vmcnt(0)
	v_and_b32_e32 v31, 0xffff, v0
	v_cmp_ne_u16_sdwa s[4:5], v0, v25 src0_sel:BYTE_0 src1_sel:DWORD
	s_and_saveexec_b64 s[40:41], s[4:5]
	s_cbranch_execz .LBB299_108
; %bb.103:                              ;   in Loop: Header=BB299_13 Depth=1
	v_cmp_ne_u16_sdwa s[4:5], v31, s52 src0_sel:BYTE_0 src1_sel:DWORD
	v_bfrev_b32_e32 v12, 1
	s_and_saveexec_b64 s[42:43], s[4:5]
	s_cbranch_execz .LBB299_107
; %bb.104:                              ;   in Loop: Header=BB299_13 Depth=1
	v_and_b32_e32 v0, 0x7f, v31
	v_cmp_ne_u32_e64 s[4:5], s53, v0
	v_mov_b32_e32 v12, 0x7f800001
	s_and_saveexec_b64 s[44:45], s[4:5]
	s_cbranch_execz .LBB299_106
; %bb.105:                              ;   in Loop: Header=BB299_13 Depth=1
	v_and_b32_e32 v32, 7, v31
	v_lshrrev_b32_e32 v33, 3, v0
	v_cmp_gt_u32_e64 s[4:5], 8, v0
	v_ffbh_u32_e32 v0, v32
	v_min_u32_e32 v0, 32, v0
	v_subrev_u32_e32 v25, 28, v0
	v_lshlrev_b64 v[25:26], v25, v[31:32]
	v_sub_u32_e32 v0, 29, v0
	v_and_b32_e32 v25, 7, v25
	v_cndmask_b32_e64 v0, v33, v0, s[4:5]
	v_cndmask_b32_e64 v25, v32, v25, s[4:5]
	v_lshlrev_b32_e32 v26, 24, v31
	v_bfrev_b32_e32 v32, 60
	v_lshlrev_b32_e32 v25, 20, v25
	v_and_b32_e32 v26, 0x80000000, v26
	v_lshl_add_u32 v0, v0, 23, v32
	v_or3_b32 v12, v26, v0, v25
.LBB299_106:                            ;   in Loop: Header=BB299_13 Depth=1
	s_or_b64 exec, exec, s[44:45]
.LBB299_107:                            ;   in Loop: Header=BB299_13 Depth=1
	s_or_b64 exec, exec, s[42:43]
.LBB299_108:                            ;   in Loop: Header=BB299_13 Depth=1
	s_or_b64 exec, exec, s[40:41]
	v_lshrrev_b16_e32 v32, 8, v31
	v_cmp_ne_u16_e64 s[4:5], 0, v32
	s_and_saveexec_b64 s[40:41], s[4:5]
	s_cbranch_execz .LBB299_114
; %bb.109:                              ;   in Loop: Header=BB299_13 Depth=1
	v_cmp_ne_u16_e64 s[4:5], s52, v32
	v_bfrev_b32_e32 v10, 1
	s_and_saveexec_b64 s[42:43], s[4:5]
	s_cbranch_execz .LBB299_113
; %bb.110:                              ;   in Loop: Header=BB299_13 Depth=1
	v_and_b32_e32 v0, 0x7f, v32
	v_cmp_ne_u32_e64 s[4:5], s53, v0
	v_mov_b32_e32 v10, 0x7f800001
	s_and_saveexec_b64 s[44:45], s[4:5]
	s_cbranch_execz .LBB299_112
; %bb.111:                              ;   in Loop: Header=BB299_13 Depth=1
	v_and_b32_e32 v33, 7, v32
	v_lshrrev_b32_e32 v35, 3, v0
	v_cmp_gt_u32_e64 s[4:5], 8, v0
	v_ffbh_u32_e32 v0, v33
	v_min_u32_e32 v0, 32, v0
	v_subrev_u32_e32 v25, 28, v0
	v_lshlrev_b64 v[25:26], v25, v[32:33]
	v_sub_u32_e32 v0, 29, v0
	v_and_b32_e32 v25, 7, v25
	v_cndmask_b32_e64 v0, v35, v0, s[4:5]
	v_cndmask_b32_e64 v25, v33, v25, s[4:5]
	v_lshlrev_b32_e32 v26, 16, v31
	v_bfrev_b32_e32 v31, 60
	v_lshlrev_b32_e32 v25, 20, v25
	v_and_b32_e32 v26, 0x80000000, v26
	v_lshl_add_u32 v0, v0, 23, v31
	v_or3_b32 v10, v26, v0, v25
.LBB299_112:                            ;   in Loop: Header=BB299_13 Depth=1
	s_or_b64 exec, exec, s[44:45]
.LBB299_113:                            ;   in Loop: Header=BB299_13 Depth=1
	s_or_b64 exec, exec, s[42:43]
.LBB299_114:                            ;   in Loop: Header=BB299_13 Depth=1
	s_or_b64 exec, exec, s[40:41]
	global_load_ushort v0, v[29:30], off offset:1024
	v_mov_b32_e32 v25, 0
	v_mov_b32_e32 v14, 0
	v_mov_b32_e32 v15, 0
	s_waitcnt vmcnt(0)
	v_and_b32_e32 v31, 0xffff, v0
	v_cmp_ne_u16_sdwa s[4:5], v0, v25 src0_sel:BYTE_0 src1_sel:DWORD
	s_and_saveexec_b64 s[40:41], s[4:5]
	s_cbranch_execz .LBB299_120
; %bb.115:                              ;   in Loop: Header=BB299_13 Depth=1
	v_cmp_ne_u16_sdwa s[4:5], v31, s52 src0_sel:BYTE_0 src1_sel:DWORD
	v_bfrev_b32_e32 v15, 1
	s_and_saveexec_b64 s[42:43], s[4:5]
	s_cbranch_execz .LBB299_119
; %bb.116:                              ;   in Loop: Header=BB299_13 Depth=1
	v_and_b32_e32 v0, 0x7f, v31
	v_cmp_ne_u32_e64 s[4:5], s53, v0
	v_mov_b32_e32 v15, 0x7f800001
	s_and_saveexec_b64 s[44:45], s[4:5]
	s_cbranch_execz .LBB299_118
; %bb.117:                              ;   in Loop: Header=BB299_13 Depth=1
	v_and_b32_e32 v32, 7, v31
	v_lshrrev_b32_e32 v33, 3, v0
	v_cmp_gt_u32_e64 s[4:5], 8, v0
	v_ffbh_u32_e32 v0, v32
	v_min_u32_e32 v0, 32, v0
	v_subrev_u32_e32 v25, 28, v0
	v_lshlrev_b64 v[25:26], v25, v[31:32]
	v_sub_u32_e32 v0, 29, v0
	v_and_b32_e32 v25, 7, v25
	v_cndmask_b32_e64 v0, v33, v0, s[4:5]
	v_cndmask_b32_e64 v25, v32, v25, s[4:5]
	v_lshlrev_b32_e32 v26, 24, v31
	v_bfrev_b32_e32 v32, 60
	v_lshlrev_b32_e32 v25, 20, v25
	v_and_b32_e32 v26, 0x80000000, v26
	v_lshl_add_u32 v0, v0, 23, v32
	v_or3_b32 v15, v26, v0, v25
.LBB299_118:                            ;   in Loop: Header=BB299_13 Depth=1
	s_or_b64 exec, exec, s[44:45]
.LBB299_119:                            ;   in Loop: Header=BB299_13 Depth=1
	s_or_b64 exec, exec, s[42:43]
.LBB299_120:                            ;   in Loop: Header=BB299_13 Depth=1
	s_or_b64 exec, exec, s[40:41]
	v_lshrrev_b16_e32 v32, 8, v31
	v_cmp_ne_u16_e64 s[4:5], 0, v32
	s_and_saveexec_b64 s[40:41], s[4:5]
	s_cbranch_execz .LBB299_126
; %bb.121:                              ;   in Loop: Header=BB299_13 Depth=1
	v_cmp_ne_u16_e64 s[4:5], s52, v32
	v_bfrev_b32_e32 v14, 1
	s_and_saveexec_b64 s[42:43], s[4:5]
	s_cbranch_execz .LBB299_125
; %bb.122:                              ;   in Loop: Header=BB299_13 Depth=1
	v_and_b32_e32 v0, 0x7f, v32
	v_cmp_ne_u32_e64 s[4:5], s53, v0
	v_mov_b32_e32 v14, 0x7f800001
	s_and_saveexec_b64 s[44:45], s[4:5]
	s_cbranch_execz .LBB299_124
; %bb.123:                              ;   in Loop: Header=BB299_13 Depth=1
	v_and_b32_e32 v33, 7, v32
	v_lshrrev_b32_e32 v35, 3, v0
	v_cmp_gt_u32_e64 s[4:5], 8, v0
	v_ffbh_u32_e32 v0, v33
	v_min_u32_e32 v0, 32, v0
	v_subrev_u32_e32 v25, 28, v0
	v_lshlrev_b64 v[25:26], v25, v[32:33]
	v_sub_u32_e32 v0, 29, v0
	v_and_b32_e32 v25, 7, v25
	v_cndmask_b32_e64 v0, v35, v0, s[4:5]
	v_cndmask_b32_e64 v25, v33, v25, s[4:5]
	v_lshlrev_b32_e32 v26, 16, v31
	v_bfrev_b32_e32 v31, 60
	v_lshlrev_b32_e32 v25, 20, v25
	v_and_b32_e32 v26, 0x80000000, v26
	v_lshl_add_u32 v0, v0, 23, v31
	v_or3_b32 v14, v26, v0, v25
.LBB299_124:                            ;   in Loop: Header=BB299_13 Depth=1
	s_or_b64 exec, exec, s[44:45]
.LBB299_125:                            ;   in Loop: Header=BB299_13 Depth=1
	s_or_b64 exec, exec, s[42:43]
.LBB299_126:                            ;   in Loop: Header=BB299_13 Depth=1
	s_or_b64 exec, exec, s[40:41]
	global_load_ushort v0, v[29:30], off offset:1032
	v_mov_b32_e32 v25, 0
	v_mov_b32_e32 v18, 0
	;; [unrolled: 1-line block ×3, first 2 shown]
	s_waitcnt vmcnt(0)
	v_and_b32_e32 v31, 0xffff, v0
	v_cmp_ne_u16_sdwa s[4:5], v0, v25 src0_sel:BYTE_0 src1_sel:DWORD
	s_and_saveexec_b64 s[40:41], s[4:5]
	s_cbranch_execz .LBB299_132
; %bb.127:                              ;   in Loop: Header=BB299_13 Depth=1
	v_cmp_ne_u16_sdwa s[4:5], v31, s52 src0_sel:BYTE_0 src1_sel:DWORD
	v_bfrev_b32_e32 v19, 1
	s_and_saveexec_b64 s[42:43], s[4:5]
	s_cbranch_execz .LBB299_131
; %bb.128:                              ;   in Loop: Header=BB299_13 Depth=1
	v_and_b32_e32 v0, 0x7f, v31
	v_cmp_ne_u32_e64 s[4:5], s53, v0
	v_mov_b32_e32 v19, 0x7f800001
	s_and_saveexec_b64 s[44:45], s[4:5]
	s_cbranch_execz .LBB299_130
; %bb.129:                              ;   in Loop: Header=BB299_13 Depth=1
	v_and_b32_e32 v32, 7, v31
	v_lshrrev_b32_e32 v33, 3, v0
	v_cmp_gt_u32_e64 s[4:5], 8, v0
	v_ffbh_u32_e32 v0, v32
	v_min_u32_e32 v0, 32, v0
	v_subrev_u32_e32 v25, 28, v0
	v_lshlrev_b64 v[25:26], v25, v[31:32]
	v_sub_u32_e32 v0, 29, v0
	v_and_b32_e32 v25, 7, v25
	v_cndmask_b32_e64 v0, v33, v0, s[4:5]
	v_cndmask_b32_e64 v25, v32, v25, s[4:5]
	v_lshlrev_b32_e32 v26, 24, v31
	v_bfrev_b32_e32 v32, 60
	v_lshlrev_b32_e32 v25, 20, v25
	v_and_b32_e32 v26, 0x80000000, v26
	v_lshl_add_u32 v0, v0, 23, v32
	v_or3_b32 v19, v26, v0, v25
.LBB299_130:                            ;   in Loop: Header=BB299_13 Depth=1
	s_or_b64 exec, exec, s[44:45]
.LBB299_131:                            ;   in Loop: Header=BB299_13 Depth=1
	s_or_b64 exec, exec, s[42:43]
.LBB299_132:                            ;   in Loop: Header=BB299_13 Depth=1
	s_or_b64 exec, exec, s[40:41]
	v_lshrrev_b16_e32 v32, 8, v31
	v_cmp_ne_u16_e64 s[4:5], 0, v32
	s_and_saveexec_b64 s[40:41], s[4:5]
	s_cbranch_execz .LBB299_138
; %bb.133:                              ;   in Loop: Header=BB299_13 Depth=1
	v_cmp_ne_u16_e64 s[4:5], s52, v32
	v_bfrev_b32_e32 v18, 1
	s_and_saveexec_b64 s[42:43], s[4:5]
	s_cbranch_execz .LBB299_137
; %bb.134:                              ;   in Loop: Header=BB299_13 Depth=1
	v_and_b32_e32 v0, 0x7f, v32
	v_cmp_ne_u32_e64 s[4:5], s53, v0
	v_mov_b32_e32 v18, 0x7f800001
	s_and_saveexec_b64 s[44:45], s[4:5]
	s_cbranch_execz .LBB299_136
; %bb.135:                              ;   in Loop: Header=BB299_13 Depth=1
	v_and_b32_e32 v33, 7, v32
	v_lshrrev_b32_e32 v35, 3, v0
	v_cmp_gt_u32_e64 s[4:5], 8, v0
	v_ffbh_u32_e32 v0, v33
	v_min_u32_e32 v0, 32, v0
	v_subrev_u32_e32 v25, 28, v0
	v_lshlrev_b64 v[25:26], v25, v[32:33]
	v_sub_u32_e32 v0, 29, v0
	v_and_b32_e32 v25, 7, v25
	v_cndmask_b32_e64 v0, v35, v0, s[4:5]
	v_cndmask_b32_e64 v25, v33, v25, s[4:5]
	v_lshlrev_b32_e32 v26, 16, v31
	v_bfrev_b32_e32 v31, 60
	v_lshlrev_b32_e32 v25, 20, v25
	v_and_b32_e32 v26, 0x80000000, v26
	v_lshl_add_u32 v0, v0, 23, v31
	v_or3_b32 v18, v26, v0, v25
.LBB299_136:                            ;   in Loop: Header=BB299_13 Depth=1
	s_or_b64 exec, exec, s[44:45]
.LBB299_137:                            ;   in Loop: Header=BB299_13 Depth=1
	s_or_b64 exec, exec, s[42:43]
.LBB299_138:                            ;   in Loop: Header=BB299_13 Depth=1
	s_or_b64 exec, exec, s[40:41]
	global_load_ushort v0, v[29:30], off offset:1280
	v_mov_b32_e32 v25, 0
	v_mov_b32_e32 v16, 0
	;; [unrolled: 1-line block ×3, first 2 shown]
	s_waitcnt vmcnt(0)
	v_and_b32_e32 v31, 0xffff, v0
	v_cmp_ne_u16_sdwa s[4:5], v0, v25 src0_sel:BYTE_0 src1_sel:DWORD
	s_and_saveexec_b64 s[40:41], s[4:5]
	s_cbranch_execz .LBB299_144
; %bb.139:                              ;   in Loop: Header=BB299_13 Depth=1
	v_cmp_ne_u16_sdwa s[4:5], v31, s52 src0_sel:BYTE_0 src1_sel:DWORD
	v_bfrev_b32_e32 v17, 1
	s_and_saveexec_b64 s[42:43], s[4:5]
	s_cbranch_execz .LBB299_143
; %bb.140:                              ;   in Loop: Header=BB299_13 Depth=1
	v_and_b32_e32 v0, 0x7f, v31
	v_cmp_ne_u32_e64 s[4:5], s53, v0
	v_mov_b32_e32 v17, 0x7f800001
	s_and_saveexec_b64 s[44:45], s[4:5]
	s_cbranch_execz .LBB299_142
; %bb.141:                              ;   in Loop: Header=BB299_13 Depth=1
	v_and_b32_e32 v32, 7, v31
	v_lshrrev_b32_e32 v33, 3, v0
	v_cmp_gt_u32_e64 s[4:5], 8, v0
	v_ffbh_u32_e32 v0, v32
	v_min_u32_e32 v0, 32, v0
	v_subrev_u32_e32 v25, 28, v0
	v_lshlrev_b64 v[25:26], v25, v[31:32]
	v_sub_u32_e32 v0, 29, v0
	v_and_b32_e32 v25, 7, v25
	v_cndmask_b32_e64 v0, v33, v0, s[4:5]
	v_cndmask_b32_e64 v25, v32, v25, s[4:5]
	v_lshlrev_b32_e32 v26, 24, v31
	v_bfrev_b32_e32 v32, 60
	v_lshlrev_b32_e32 v25, 20, v25
	v_and_b32_e32 v26, 0x80000000, v26
	v_lshl_add_u32 v0, v0, 23, v32
	v_or3_b32 v17, v26, v0, v25
.LBB299_142:                            ;   in Loop: Header=BB299_13 Depth=1
	s_or_b64 exec, exec, s[44:45]
.LBB299_143:                            ;   in Loop: Header=BB299_13 Depth=1
	s_or_b64 exec, exec, s[42:43]
.LBB299_144:                            ;   in Loop: Header=BB299_13 Depth=1
	s_or_b64 exec, exec, s[40:41]
	v_lshrrev_b16_e32 v32, 8, v31
	v_cmp_ne_u16_e64 s[4:5], 0, v32
	s_and_saveexec_b64 s[40:41], s[4:5]
	s_cbranch_execz .LBB299_150
; %bb.145:                              ;   in Loop: Header=BB299_13 Depth=1
	v_cmp_ne_u16_e64 s[4:5], s52, v32
	v_bfrev_b32_e32 v16, 1
	s_and_saveexec_b64 s[42:43], s[4:5]
	s_cbranch_execz .LBB299_149
; %bb.146:                              ;   in Loop: Header=BB299_13 Depth=1
	v_and_b32_e32 v0, 0x7f, v32
	v_cmp_ne_u32_e64 s[4:5], s53, v0
	v_mov_b32_e32 v16, 0x7f800001
	s_and_saveexec_b64 s[44:45], s[4:5]
	s_cbranch_execz .LBB299_148
; %bb.147:                              ;   in Loop: Header=BB299_13 Depth=1
	v_and_b32_e32 v33, 7, v32
	v_lshrrev_b32_e32 v35, 3, v0
	v_cmp_gt_u32_e64 s[4:5], 8, v0
	v_ffbh_u32_e32 v0, v33
	v_min_u32_e32 v0, 32, v0
	v_subrev_u32_e32 v25, 28, v0
	v_lshlrev_b64 v[25:26], v25, v[32:33]
	v_sub_u32_e32 v0, 29, v0
	v_and_b32_e32 v25, 7, v25
	v_cndmask_b32_e64 v0, v35, v0, s[4:5]
	v_cndmask_b32_e64 v25, v33, v25, s[4:5]
	v_lshlrev_b32_e32 v26, 16, v31
	v_bfrev_b32_e32 v31, 60
	v_lshlrev_b32_e32 v25, 20, v25
	v_and_b32_e32 v26, 0x80000000, v26
	v_lshl_add_u32 v0, v0, 23, v31
	v_or3_b32 v16, v26, v0, v25
.LBB299_148:                            ;   in Loop: Header=BB299_13 Depth=1
	s_or_b64 exec, exec, s[44:45]
.LBB299_149:                            ;   in Loop: Header=BB299_13 Depth=1
	s_or_b64 exec, exec, s[42:43]
.LBB299_150:                            ;   in Loop: Header=BB299_13 Depth=1
	s_or_b64 exec, exec, s[40:41]
	global_load_ushort v0, v[29:30], off offset:1288
	v_mov_b32_e32 v25, 0
	v_mov_b32_e32 v13, 0
	;; [unrolled: 1-line block ×3, first 2 shown]
	s_waitcnt vmcnt(0)
	v_and_b32_e32 v31, 0xffff, v0
	v_cmp_ne_u16_sdwa s[4:5], v0, v25 src0_sel:BYTE_0 src1_sel:DWORD
	s_and_saveexec_b64 s[40:41], s[4:5]
	s_cbranch_execz .LBB299_156
; %bb.151:                              ;   in Loop: Header=BB299_13 Depth=1
	v_cmp_ne_u16_sdwa s[4:5], v31, s52 src0_sel:BYTE_0 src1_sel:DWORD
	v_bfrev_b32_e32 v22, 1
	s_and_saveexec_b64 s[42:43], s[4:5]
	s_cbranch_execz .LBB299_155
; %bb.152:                              ;   in Loop: Header=BB299_13 Depth=1
	v_and_b32_e32 v0, 0x7f, v31
	v_cmp_ne_u32_e64 s[4:5], s53, v0
	v_mov_b32_e32 v22, 0x7f800001
	s_and_saveexec_b64 s[44:45], s[4:5]
	s_cbranch_execz .LBB299_154
; %bb.153:                              ;   in Loop: Header=BB299_13 Depth=1
	v_and_b32_e32 v32, 7, v31
	v_lshrrev_b32_e32 v33, 3, v0
	v_cmp_gt_u32_e64 s[4:5], 8, v0
	v_ffbh_u32_e32 v0, v32
	v_min_u32_e32 v0, 32, v0
	v_subrev_u32_e32 v25, 28, v0
	v_lshlrev_b64 v[25:26], v25, v[31:32]
	v_sub_u32_e32 v0, 29, v0
	v_and_b32_e32 v25, 7, v25
	v_cndmask_b32_e64 v0, v33, v0, s[4:5]
	v_cndmask_b32_e64 v25, v32, v25, s[4:5]
	v_lshlrev_b32_e32 v26, 24, v31
	v_bfrev_b32_e32 v32, 60
	v_lshlrev_b32_e32 v25, 20, v25
	v_and_b32_e32 v26, 0x80000000, v26
	v_lshl_add_u32 v0, v0, 23, v32
	v_or3_b32 v22, v26, v0, v25
.LBB299_154:                            ;   in Loop: Header=BB299_13 Depth=1
	s_or_b64 exec, exec, s[44:45]
.LBB299_155:                            ;   in Loop: Header=BB299_13 Depth=1
	s_or_b64 exec, exec, s[42:43]
.LBB299_156:                            ;   in Loop: Header=BB299_13 Depth=1
	s_or_b64 exec, exec, s[40:41]
	v_lshrrev_b16_e32 v32, 8, v31
	v_cmp_ne_u16_e64 s[4:5], 0, v32
	s_and_saveexec_b64 s[40:41], s[4:5]
	s_cbranch_execz .LBB299_162
; %bb.157:                              ;   in Loop: Header=BB299_13 Depth=1
	v_cmp_ne_u16_e64 s[4:5], s52, v32
	v_bfrev_b32_e32 v13, 1
	s_and_saveexec_b64 s[42:43], s[4:5]
	s_cbranch_execz .LBB299_161
; %bb.158:                              ;   in Loop: Header=BB299_13 Depth=1
	v_and_b32_e32 v0, 0x7f, v32
	v_cmp_ne_u32_e64 s[4:5], s53, v0
	v_mov_b32_e32 v13, 0x7f800001
	s_and_saveexec_b64 s[44:45], s[4:5]
	s_cbranch_execz .LBB299_160
; %bb.159:                              ;   in Loop: Header=BB299_13 Depth=1
	v_and_b32_e32 v33, 7, v32
	v_lshrrev_b32_e32 v35, 3, v0
	v_cmp_gt_u32_e64 s[4:5], 8, v0
	v_ffbh_u32_e32 v0, v33
	v_min_u32_e32 v0, 32, v0
	v_subrev_u32_e32 v25, 28, v0
	v_lshlrev_b64 v[25:26], v25, v[32:33]
	v_sub_u32_e32 v0, 29, v0
	v_and_b32_e32 v25, 7, v25
	v_cndmask_b32_e64 v0, v35, v0, s[4:5]
	v_cndmask_b32_e64 v25, v33, v25, s[4:5]
	v_lshlrev_b32_e32 v26, 16, v31
	v_bfrev_b32_e32 v31, 60
	v_lshlrev_b32_e32 v25, 20, v25
	v_and_b32_e32 v26, 0x80000000, v26
	v_lshl_add_u32 v0, v0, 23, v31
	v_or3_b32 v13, v26, v0, v25
.LBB299_160:                            ;   in Loop: Header=BB299_13 Depth=1
	s_or_b64 exec, exec, s[44:45]
.LBB299_161:                            ;   in Loop: Header=BB299_13 Depth=1
	s_or_b64 exec, exec, s[42:43]
.LBB299_162:                            ;   in Loop: Header=BB299_13 Depth=1
	s_or_b64 exec, exec, s[40:41]
	global_load_ushort v0, v[29:30], off offset:1536
	v_mov_b32_e32 v25, 0
	v_mov_b32_e32 v21, 0
	v_mov_b32_e32 v20, 0
	s_waitcnt vmcnt(0)
	v_and_b32_e32 v31, 0xffff, v0
	v_cmp_ne_u16_sdwa s[4:5], v0, v25 src0_sel:BYTE_0 src1_sel:DWORD
	s_and_saveexec_b64 s[40:41], s[4:5]
	s_cbranch_execz .LBB299_168
; %bb.163:                              ;   in Loop: Header=BB299_13 Depth=1
	v_cmp_ne_u16_sdwa s[4:5], v31, s52 src0_sel:BYTE_0 src1_sel:DWORD
	v_bfrev_b32_e32 v20, 1
	s_and_saveexec_b64 s[42:43], s[4:5]
	s_cbranch_execz .LBB299_167
; %bb.164:                              ;   in Loop: Header=BB299_13 Depth=1
	v_and_b32_e32 v0, 0x7f, v31
	v_cmp_ne_u32_e64 s[4:5], s53, v0
	v_mov_b32_e32 v20, 0x7f800001
	s_and_saveexec_b64 s[44:45], s[4:5]
	s_cbranch_execz .LBB299_166
; %bb.165:                              ;   in Loop: Header=BB299_13 Depth=1
	v_and_b32_e32 v32, 7, v31
	v_lshrrev_b32_e32 v33, 3, v0
	v_cmp_gt_u32_e64 s[4:5], 8, v0
	v_ffbh_u32_e32 v0, v32
	v_min_u32_e32 v0, 32, v0
	v_subrev_u32_e32 v25, 28, v0
	v_lshlrev_b64 v[25:26], v25, v[31:32]
	v_sub_u32_e32 v0, 29, v0
	v_and_b32_e32 v25, 7, v25
	v_cndmask_b32_e64 v0, v33, v0, s[4:5]
	v_cndmask_b32_e64 v25, v32, v25, s[4:5]
	v_lshlrev_b32_e32 v26, 24, v31
	v_bfrev_b32_e32 v32, 60
	v_lshlrev_b32_e32 v25, 20, v25
	v_and_b32_e32 v26, 0x80000000, v26
	v_lshl_add_u32 v0, v0, 23, v32
	v_or3_b32 v20, v26, v0, v25
.LBB299_166:                            ;   in Loop: Header=BB299_13 Depth=1
	s_or_b64 exec, exec, s[44:45]
.LBB299_167:                            ;   in Loop: Header=BB299_13 Depth=1
	s_or_b64 exec, exec, s[42:43]
.LBB299_168:                            ;   in Loop: Header=BB299_13 Depth=1
	s_or_b64 exec, exec, s[40:41]
	v_lshrrev_b16_e32 v32, 8, v31
	v_cmp_ne_u16_e64 s[4:5], 0, v32
	s_and_saveexec_b64 s[40:41], s[4:5]
	s_cbranch_execz .LBB299_174
; %bb.169:                              ;   in Loop: Header=BB299_13 Depth=1
	v_cmp_ne_u16_e64 s[4:5], s52, v32
	v_bfrev_b32_e32 v21, 1
	s_and_saveexec_b64 s[42:43], s[4:5]
	s_cbranch_execz .LBB299_173
; %bb.170:                              ;   in Loop: Header=BB299_13 Depth=1
	v_and_b32_e32 v0, 0x7f, v32
	v_cmp_ne_u32_e64 s[4:5], s53, v0
	v_mov_b32_e32 v21, 0x7f800001
	s_and_saveexec_b64 s[44:45], s[4:5]
	s_cbranch_execz .LBB299_172
; %bb.171:                              ;   in Loop: Header=BB299_13 Depth=1
	v_and_b32_e32 v33, 7, v32
	v_lshrrev_b32_e32 v35, 3, v0
	v_cmp_gt_u32_e64 s[4:5], 8, v0
	v_ffbh_u32_e32 v0, v33
	v_min_u32_e32 v0, 32, v0
	v_subrev_u32_e32 v25, 28, v0
	v_lshlrev_b64 v[25:26], v25, v[32:33]
	v_sub_u32_e32 v0, 29, v0
	v_and_b32_e32 v25, 7, v25
	v_cndmask_b32_e64 v0, v35, v0, s[4:5]
	v_cndmask_b32_e64 v25, v33, v25, s[4:5]
	v_lshlrev_b32_e32 v26, 16, v31
	v_bfrev_b32_e32 v31, 60
	v_lshlrev_b32_e32 v25, 20, v25
	v_and_b32_e32 v26, 0x80000000, v26
	v_lshl_add_u32 v0, v0, 23, v31
	v_or3_b32 v21, v26, v0, v25
.LBB299_172:                            ;   in Loop: Header=BB299_13 Depth=1
	s_or_b64 exec, exec, s[44:45]
.LBB299_173:                            ;   in Loop: Header=BB299_13 Depth=1
	s_or_b64 exec, exec, s[42:43]
.LBB299_174:                            ;   in Loop: Header=BB299_13 Depth=1
	s_or_b64 exec, exec, s[40:41]
	global_load_ushort v0, v[29:30], off offset:1544
	v_mov_b32_e32 v25, 0
	v_mov_b32_e32 v24, 0
	;; [unrolled: 1-line block ×3, first 2 shown]
	s_waitcnt vmcnt(0)
	v_and_b32_e32 v31, 0xffff, v0
	v_cmp_ne_u16_sdwa s[4:5], v0, v25 src0_sel:BYTE_0 src1_sel:DWORD
	s_and_saveexec_b64 s[40:41], s[4:5]
	s_cbranch_execz .LBB299_180
; %bb.175:                              ;   in Loop: Header=BB299_13 Depth=1
	v_cmp_ne_u16_sdwa s[4:5], v31, s52 src0_sel:BYTE_0 src1_sel:DWORD
	v_bfrev_b32_e32 v23, 1
	s_and_saveexec_b64 s[42:43], s[4:5]
	s_cbranch_execz .LBB299_179
; %bb.176:                              ;   in Loop: Header=BB299_13 Depth=1
	v_and_b32_e32 v0, 0x7f, v31
	v_cmp_ne_u32_e64 s[4:5], s53, v0
	v_mov_b32_e32 v23, 0x7f800001
	s_and_saveexec_b64 s[44:45], s[4:5]
	s_cbranch_execz .LBB299_178
; %bb.177:                              ;   in Loop: Header=BB299_13 Depth=1
	v_and_b32_e32 v32, 7, v31
	v_lshrrev_b32_e32 v33, 3, v0
	v_cmp_gt_u32_e64 s[4:5], 8, v0
	v_ffbh_u32_e32 v0, v32
	v_min_u32_e32 v0, 32, v0
	v_subrev_u32_e32 v25, 28, v0
	v_lshlrev_b64 v[25:26], v25, v[31:32]
	v_sub_u32_e32 v0, 29, v0
	v_and_b32_e32 v25, 7, v25
	v_cndmask_b32_e64 v0, v33, v0, s[4:5]
	v_cndmask_b32_e64 v25, v32, v25, s[4:5]
	v_lshlrev_b32_e32 v26, 24, v31
	v_bfrev_b32_e32 v32, 60
	v_lshlrev_b32_e32 v25, 20, v25
	v_and_b32_e32 v26, 0x80000000, v26
	v_lshl_add_u32 v0, v0, 23, v32
	v_or3_b32 v23, v26, v0, v25
.LBB299_178:                            ;   in Loop: Header=BB299_13 Depth=1
	s_or_b64 exec, exec, s[44:45]
.LBB299_179:                            ;   in Loop: Header=BB299_13 Depth=1
	s_or_b64 exec, exec, s[42:43]
.LBB299_180:                            ;   in Loop: Header=BB299_13 Depth=1
	s_or_b64 exec, exec, s[40:41]
	v_lshrrev_b16_e32 v32, 8, v31
	v_cmp_ne_u16_e64 s[4:5], 0, v32
	s_and_saveexec_b64 s[40:41], s[4:5]
	s_cbranch_execz .LBB299_186
; %bb.181:                              ;   in Loop: Header=BB299_13 Depth=1
	v_cmp_ne_u16_e64 s[4:5], s52, v32
	v_bfrev_b32_e32 v24, 1
	s_and_saveexec_b64 s[42:43], s[4:5]
	s_cbranch_execz .LBB299_185
; %bb.182:                              ;   in Loop: Header=BB299_13 Depth=1
	v_and_b32_e32 v0, 0x7f, v32
	v_cmp_ne_u32_e64 s[4:5], s53, v0
	v_mov_b32_e32 v24, 0x7f800001
	s_and_saveexec_b64 s[44:45], s[4:5]
	s_cbranch_execz .LBB299_184
; %bb.183:                              ;   in Loop: Header=BB299_13 Depth=1
	v_and_b32_e32 v33, 7, v32
	v_lshrrev_b32_e32 v35, 3, v0
	v_cmp_gt_u32_e64 s[4:5], 8, v0
	v_ffbh_u32_e32 v0, v33
	v_min_u32_e32 v0, 32, v0
	v_subrev_u32_e32 v25, 28, v0
	v_lshlrev_b64 v[25:26], v25, v[32:33]
	v_sub_u32_e32 v0, 29, v0
	v_and_b32_e32 v25, 7, v25
	v_cndmask_b32_e64 v0, v35, v0, s[4:5]
	v_cndmask_b32_e64 v25, v33, v25, s[4:5]
	v_lshlrev_b32_e32 v26, 16, v31
	v_bfrev_b32_e32 v31, 60
	v_lshlrev_b32_e32 v25, 20, v25
	v_and_b32_e32 v26, 0x80000000, v26
	v_lshl_add_u32 v0, v0, 23, v31
	v_or3_b32 v24, v26, v0, v25
.LBB299_184:                            ;   in Loop: Header=BB299_13 Depth=1
	s_or_b64 exec, exec, s[44:45]
.LBB299_185:                            ;   in Loop: Header=BB299_13 Depth=1
	s_or_b64 exec, exec, s[42:43]
.LBB299_186:                            ;   in Loop: Header=BB299_13 Depth=1
	s_or_b64 exec, exec, s[40:41]
	global_load_ushort v0, v[29:30], off offset:1792
	v_mov_b32_e32 v25, 0
	v_mov_b32_e32 v45, 0
	;; [unrolled: 1-line block ×3, first 2 shown]
	s_waitcnt vmcnt(0)
	v_and_b32_e32 v31, 0xffff, v0
	v_cmp_ne_u16_sdwa s[4:5], v0, v25 src0_sel:BYTE_0 src1_sel:DWORD
	s_and_saveexec_b64 s[40:41], s[4:5]
	s_cbranch_execz .LBB299_192
; %bb.187:                              ;   in Loop: Header=BB299_13 Depth=1
	v_cmp_ne_u16_sdwa s[4:5], v31, s52 src0_sel:BYTE_0 src1_sel:DWORD
	v_bfrev_b32_e32 v43, 1
	s_and_saveexec_b64 s[42:43], s[4:5]
	s_cbranch_execz .LBB299_191
; %bb.188:                              ;   in Loop: Header=BB299_13 Depth=1
	v_and_b32_e32 v0, 0x7f, v31
	v_cmp_ne_u32_e64 s[4:5], s53, v0
	v_mov_b32_e32 v43, 0x7f800001
	s_and_saveexec_b64 s[44:45], s[4:5]
	s_cbranch_execz .LBB299_190
; %bb.189:                              ;   in Loop: Header=BB299_13 Depth=1
	v_and_b32_e32 v32, 7, v31
	v_lshrrev_b32_e32 v33, 3, v0
	v_cmp_gt_u32_e64 s[4:5], 8, v0
	v_ffbh_u32_e32 v0, v32
	v_min_u32_e32 v0, 32, v0
	v_subrev_u32_e32 v25, 28, v0
	v_lshlrev_b64 v[25:26], v25, v[31:32]
	v_sub_u32_e32 v0, 29, v0
	v_and_b32_e32 v25, 7, v25
	v_cndmask_b32_e64 v0, v33, v0, s[4:5]
	v_cndmask_b32_e64 v25, v32, v25, s[4:5]
	v_lshlrev_b32_e32 v26, 24, v31
	v_bfrev_b32_e32 v32, 60
	v_lshlrev_b32_e32 v25, 20, v25
	v_and_b32_e32 v26, 0x80000000, v26
	v_lshl_add_u32 v0, v0, 23, v32
	v_or3_b32 v43, v26, v0, v25
.LBB299_190:                            ;   in Loop: Header=BB299_13 Depth=1
	s_or_b64 exec, exec, s[44:45]
.LBB299_191:                            ;   in Loop: Header=BB299_13 Depth=1
	s_or_b64 exec, exec, s[42:43]
.LBB299_192:                            ;   in Loop: Header=BB299_13 Depth=1
	s_or_b64 exec, exec, s[40:41]
	v_lshrrev_b16_e32 v32, 8, v31
	v_cmp_ne_u16_e64 s[4:5], 0, v32
	s_and_saveexec_b64 s[40:41], s[4:5]
	s_cbranch_execz .LBB299_198
; %bb.193:                              ;   in Loop: Header=BB299_13 Depth=1
	v_cmp_ne_u16_e64 s[4:5], s52, v32
	v_bfrev_b32_e32 v45, 1
	s_and_saveexec_b64 s[42:43], s[4:5]
	s_cbranch_execz .LBB299_197
; %bb.194:                              ;   in Loop: Header=BB299_13 Depth=1
	v_and_b32_e32 v0, 0x7f, v32
	v_cmp_ne_u32_e64 s[4:5], s53, v0
	v_mov_b32_e32 v45, 0x7f800001
	s_and_saveexec_b64 s[44:45], s[4:5]
	s_cbranch_execz .LBB299_196
; %bb.195:                              ;   in Loop: Header=BB299_13 Depth=1
	v_and_b32_e32 v33, 7, v32
	v_lshrrev_b32_e32 v35, 3, v0
	v_cmp_gt_u32_e64 s[4:5], 8, v0
	v_ffbh_u32_e32 v0, v33
	v_min_u32_e32 v0, 32, v0
	v_subrev_u32_e32 v25, 28, v0
	v_lshlrev_b64 v[25:26], v25, v[32:33]
	v_sub_u32_e32 v0, 29, v0
	v_and_b32_e32 v25, 7, v25
	v_cndmask_b32_e64 v0, v35, v0, s[4:5]
	v_cndmask_b32_e64 v25, v33, v25, s[4:5]
	v_lshlrev_b32_e32 v26, 16, v31
	v_bfrev_b32_e32 v31, 60
	v_lshlrev_b32_e32 v25, 20, v25
	v_and_b32_e32 v26, 0x80000000, v26
	v_lshl_add_u32 v0, v0, 23, v31
	v_or3_b32 v45, v26, v0, v25
.LBB299_196:                            ;   in Loop: Header=BB299_13 Depth=1
	s_or_b64 exec, exec, s[44:45]
.LBB299_197:                            ;   in Loop: Header=BB299_13 Depth=1
	s_or_b64 exec, exec, s[42:43]
.LBB299_198:                            ;   in Loop: Header=BB299_13 Depth=1
	s_or_b64 exec, exec, s[40:41]
	global_load_ushort v0, v[29:30], off offset:1800
	v_mov_b32_e32 v25, 0
	v_mov_b32_e32 v52, 0
	;; [unrolled: 1-line block ×3, first 2 shown]
	s_waitcnt vmcnt(0)
	v_and_b32_e32 v31, 0xffff, v0
	v_cmp_ne_u16_sdwa s[4:5], v0, v25 src0_sel:BYTE_0 src1_sel:DWORD
	s_and_saveexec_b64 s[40:41], s[4:5]
	s_cbranch_execz .LBB299_204
; %bb.199:                              ;   in Loop: Header=BB299_13 Depth=1
	v_cmp_ne_u16_sdwa s[4:5], v31, s52 src0_sel:BYTE_0 src1_sel:DWORD
	v_bfrev_b32_e32 v46, 1
	s_and_saveexec_b64 s[42:43], s[4:5]
	s_cbranch_execz .LBB299_203
; %bb.200:                              ;   in Loop: Header=BB299_13 Depth=1
	v_and_b32_e32 v0, 0x7f, v31
	v_cmp_ne_u32_e64 s[4:5], s53, v0
	v_mov_b32_e32 v46, 0x7f800001
	s_and_saveexec_b64 s[44:45], s[4:5]
	s_cbranch_execz .LBB299_202
; %bb.201:                              ;   in Loop: Header=BB299_13 Depth=1
	v_and_b32_e32 v32, 7, v31
	v_lshrrev_b32_e32 v33, 3, v0
	v_cmp_gt_u32_e64 s[4:5], 8, v0
	v_ffbh_u32_e32 v0, v32
	v_min_u32_e32 v0, 32, v0
	v_subrev_u32_e32 v25, 28, v0
	v_lshlrev_b64 v[25:26], v25, v[31:32]
	v_sub_u32_e32 v0, 29, v0
	v_and_b32_e32 v25, 7, v25
	v_cndmask_b32_e64 v0, v33, v0, s[4:5]
	v_cndmask_b32_e64 v25, v32, v25, s[4:5]
	v_lshlrev_b32_e32 v26, 24, v31
	v_bfrev_b32_e32 v32, 60
	v_lshlrev_b32_e32 v25, 20, v25
	v_and_b32_e32 v26, 0x80000000, v26
	v_lshl_add_u32 v0, v0, 23, v32
	v_or3_b32 v46, v26, v0, v25
.LBB299_202:                            ;   in Loop: Header=BB299_13 Depth=1
	s_or_b64 exec, exec, s[44:45]
.LBB299_203:                            ;   in Loop: Header=BB299_13 Depth=1
	s_or_b64 exec, exec, s[42:43]
.LBB299_204:                            ;   in Loop: Header=BB299_13 Depth=1
	s_or_b64 exec, exec, s[40:41]
	v_lshrrev_b16_e32 v32, 8, v31
	v_cmp_ne_u16_e64 s[4:5], 0, v32
	s_and_saveexec_b64 s[40:41], s[4:5]
	s_cbranch_execz .LBB299_210
; %bb.205:                              ;   in Loop: Header=BB299_13 Depth=1
	v_cmp_ne_u16_e64 s[4:5], s52, v32
	v_bfrev_b32_e32 v52, 1
	s_and_saveexec_b64 s[42:43], s[4:5]
	s_cbranch_execz .LBB299_209
; %bb.206:                              ;   in Loop: Header=BB299_13 Depth=1
	v_and_b32_e32 v0, 0x7f, v32
	v_cmp_ne_u32_e64 s[4:5], s53, v0
	v_mov_b32_e32 v52, 0x7f800001
	s_and_saveexec_b64 s[44:45], s[4:5]
	s_cbranch_execz .LBB299_208
; %bb.207:                              ;   in Loop: Header=BB299_13 Depth=1
	v_and_b32_e32 v33, 7, v32
	v_lshrrev_b32_e32 v35, 3, v0
	v_cmp_gt_u32_e64 s[4:5], 8, v0
	v_ffbh_u32_e32 v0, v33
	v_min_u32_e32 v0, 32, v0
	v_subrev_u32_e32 v25, 28, v0
	v_lshlrev_b64 v[25:26], v25, v[32:33]
	v_sub_u32_e32 v0, 29, v0
	v_and_b32_e32 v25, 7, v25
	v_cndmask_b32_e64 v0, v35, v0, s[4:5]
	v_cndmask_b32_e64 v25, v33, v25, s[4:5]
	v_lshlrev_b32_e32 v26, 16, v31
	v_bfrev_b32_e32 v31, 60
	v_lshlrev_b32_e32 v25, 20, v25
	v_and_b32_e32 v26, 0x80000000, v26
	v_lshl_add_u32 v0, v0, 23, v31
	v_or3_b32 v52, v26, v0, v25
.LBB299_208:                            ;   in Loop: Header=BB299_13 Depth=1
	s_or_b64 exec, exec, s[44:45]
.LBB299_209:                            ;   in Loop: Header=BB299_13 Depth=1
	s_or_b64 exec, exec, s[42:43]
.LBB299_210:                            ;   in Loop: Header=BB299_13 Depth=1
	s_or_b64 exec, exec, s[40:41]
	global_load_ushort v0, v[29:30], off offset:2048
	v_mov_b32_e32 v25, 0
	v_mov_b32_e32 v54, 0
	;; [unrolled: 1-line block ×3, first 2 shown]
	s_waitcnt vmcnt(0)
	v_and_b32_e32 v31, 0xffff, v0
	v_cmp_ne_u16_sdwa s[4:5], v0, v25 src0_sel:BYTE_0 src1_sel:DWORD
	s_and_saveexec_b64 s[40:41], s[4:5]
	s_cbranch_execz .LBB299_216
; %bb.211:                              ;   in Loop: Header=BB299_13 Depth=1
	v_cmp_ne_u16_sdwa s[4:5], v31, s52 src0_sel:BYTE_0 src1_sel:DWORD
	v_bfrev_b32_e32 v53, 1
	s_and_saveexec_b64 s[42:43], s[4:5]
	s_cbranch_execz .LBB299_215
; %bb.212:                              ;   in Loop: Header=BB299_13 Depth=1
	v_and_b32_e32 v0, 0x7f, v31
	v_cmp_ne_u32_e64 s[4:5], s53, v0
	v_mov_b32_e32 v53, 0x7f800001
	s_and_saveexec_b64 s[44:45], s[4:5]
	s_cbranch_execz .LBB299_214
; %bb.213:                              ;   in Loop: Header=BB299_13 Depth=1
	v_and_b32_e32 v32, 7, v31
	v_lshrrev_b32_e32 v33, 3, v0
	v_cmp_gt_u32_e64 s[4:5], 8, v0
	v_ffbh_u32_e32 v0, v32
	v_min_u32_e32 v0, 32, v0
	v_subrev_u32_e32 v25, 28, v0
	v_lshlrev_b64 v[25:26], v25, v[31:32]
	v_sub_u32_e32 v0, 29, v0
	v_and_b32_e32 v25, 7, v25
	v_cndmask_b32_e64 v0, v33, v0, s[4:5]
	v_cndmask_b32_e64 v25, v32, v25, s[4:5]
	v_lshlrev_b32_e32 v26, 24, v31
	v_bfrev_b32_e32 v32, 60
	v_lshlrev_b32_e32 v25, 20, v25
	v_and_b32_e32 v26, 0x80000000, v26
	v_lshl_add_u32 v0, v0, 23, v32
	v_or3_b32 v53, v26, v0, v25
.LBB299_214:                            ;   in Loop: Header=BB299_13 Depth=1
	s_or_b64 exec, exec, s[44:45]
.LBB299_215:                            ;   in Loop: Header=BB299_13 Depth=1
	s_or_b64 exec, exec, s[42:43]
.LBB299_216:                            ;   in Loop: Header=BB299_13 Depth=1
	s_or_b64 exec, exec, s[40:41]
	v_lshrrev_b16_e32 v32, 8, v31
	v_cmp_ne_u16_e64 s[4:5], 0, v32
	s_and_saveexec_b64 s[40:41], s[4:5]
	s_cbranch_execz .LBB299_222
; %bb.217:                              ;   in Loop: Header=BB299_13 Depth=1
	v_cmp_ne_u16_e64 s[4:5], s52, v32
	v_bfrev_b32_e32 v54, 1
	s_and_saveexec_b64 s[42:43], s[4:5]
	s_cbranch_execz .LBB299_221
; %bb.218:                              ;   in Loop: Header=BB299_13 Depth=1
	v_and_b32_e32 v0, 0x7f, v32
	v_cmp_ne_u32_e64 s[4:5], s53, v0
	v_mov_b32_e32 v54, 0x7f800001
	s_and_saveexec_b64 s[44:45], s[4:5]
	s_cbranch_execz .LBB299_220
; %bb.219:                              ;   in Loop: Header=BB299_13 Depth=1
	v_and_b32_e32 v33, 7, v32
	v_lshrrev_b32_e32 v35, 3, v0
	v_cmp_gt_u32_e64 s[4:5], 8, v0
	v_ffbh_u32_e32 v0, v33
	v_min_u32_e32 v0, 32, v0
	v_subrev_u32_e32 v25, 28, v0
	v_lshlrev_b64 v[25:26], v25, v[32:33]
	v_sub_u32_e32 v0, 29, v0
	v_and_b32_e32 v25, 7, v25
	v_cndmask_b32_e64 v0, v35, v0, s[4:5]
	v_cndmask_b32_e64 v25, v33, v25, s[4:5]
	v_lshlrev_b32_e32 v26, 16, v31
	v_bfrev_b32_e32 v31, 60
	v_lshlrev_b32_e32 v25, 20, v25
	v_and_b32_e32 v26, 0x80000000, v26
	v_lshl_add_u32 v0, v0, 23, v31
	v_or3_b32 v54, v26, v0, v25
.LBB299_220:                            ;   in Loop: Header=BB299_13 Depth=1
	s_or_b64 exec, exec, s[44:45]
.LBB299_221:                            ;   in Loop: Header=BB299_13 Depth=1
	s_or_b64 exec, exec, s[42:43]
.LBB299_222:                            ;   in Loop: Header=BB299_13 Depth=1
	s_or_b64 exec, exec, s[40:41]
	global_load_ushort v0, v[29:30], off offset:2056
	v_mov_b32_e32 v25, 0
	v_mov_b32_e32 v56, 0
	;; [unrolled: 1-line block ×3, first 2 shown]
	s_waitcnt vmcnt(0)
	v_and_b32_e32 v31, 0xffff, v0
	v_cmp_ne_u16_sdwa s[4:5], v0, v25 src0_sel:BYTE_0 src1_sel:DWORD
	s_and_saveexec_b64 s[40:41], s[4:5]
	s_cbranch_execz .LBB299_228
; %bb.223:                              ;   in Loop: Header=BB299_13 Depth=1
	v_cmp_ne_u16_sdwa s[4:5], v31, s52 src0_sel:BYTE_0 src1_sel:DWORD
	v_bfrev_b32_e32 v55, 1
	s_and_saveexec_b64 s[42:43], s[4:5]
	s_cbranch_execz .LBB299_227
; %bb.224:                              ;   in Loop: Header=BB299_13 Depth=1
	v_and_b32_e32 v0, 0x7f, v31
	v_cmp_ne_u32_e64 s[4:5], s53, v0
	v_mov_b32_e32 v55, 0x7f800001
	s_and_saveexec_b64 s[44:45], s[4:5]
	s_cbranch_execz .LBB299_226
; %bb.225:                              ;   in Loop: Header=BB299_13 Depth=1
	v_and_b32_e32 v32, 7, v31
	v_lshrrev_b32_e32 v33, 3, v0
	v_cmp_gt_u32_e64 s[4:5], 8, v0
	v_ffbh_u32_e32 v0, v32
	v_min_u32_e32 v0, 32, v0
	v_subrev_u32_e32 v25, 28, v0
	v_lshlrev_b64 v[25:26], v25, v[31:32]
	v_sub_u32_e32 v0, 29, v0
	v_and_b32_e32 v25, 7, v25
	v_cndmask_b32_e64 v0, v33, v0, s[4:5]
	v_cndmask_b32_e64 v25, v32, v25, s[4:5]
	v_lshlrev_b32_e32 v26, 24, v31
	v_bfrev_b32_e32 v32, 60
	v_lshlrev_b32_e32 v25, 20, v25
	v_and_b32_e32 v26, 0x80000000, v26
	v_lshl_add_u32 v0, v0, 23, v32
	v_or3_b32 v55, v26, v0, v25
.LBB299_226:                            ;   in Loop: Header=BB299_13 Depth=1
	s_or_b64 exec, exec, s[44:45]
.LBB299_227:                            ;   in Loop: Header=BB299_13 Depth=1
	s_or_b64 exec, exec, s[42:43]
.LBB299_228:                            ;   in Loop: Header=BB299_13 Depth=1
	s_or_b64 exec, exec, s[40:41]
	v_lshrrev_b16_e32 v32, 8, v31
	v_cmp_ne_u16_e64 s[4:5], 0, v32
	s_and_saveexec_b64 s[40:41], s[4:5]
	s_cbranch_execz .LBB299_234
; %bb.229:                              ;   in Loop: Header=BB299_13 Depth=1
	v_cmp_ne_u16_e64 s[4:5], s52, v32
	v_bfrev_b32_e32 v56, 1
	s_and_saveexec_b64 s[42:43], s[4:5]
	s_cbranch_execz .LBB299_233
; %bb.230:                              ;   in Loop: Header=BB299_13 Depth=1
	v_and_b32_e32 v0, 0x7f, v32
	v_cmp_ne_u32_e64 s[4:5], s53, v0
	v_mov_b32_e32 v56, 0x7f800001
	s_and_saveexec_b64 s[44:45], s[4:5]
	s_cbranch_execz .LBB299_232
; %bb.231:                              ;   in Loop: Header=BB299_13 Depth=1
	v_and_b32_e32 v33, 7, v32
	v_lshrrev_b32_e32 v35, 3, v0
	v_cmp_gt_u32_e64 s[4:5], 8, v0
	v_ffbh_u32_e32 v0, v33
	v_min_u32_e32 v0, 32, v0
	v_subrev_u32_e32 v25, 28, v0
	v_lshlrev_b64 v[25:26], v25, v[32:33]
	v_sub_u32_e32 v0, 29, v0
	v_and_b32_e32 v25, 7, v25
	v_cndmask_b32_e64 v0, v35, v0, s[4:5]
	v_cndmask_b32_e64 v25, v33, v25, s[4:5]
	v_lshlrev_b32_e32 v26, 16, v31
	v_bfrev_b32_e32 v31, 60
	v_lshlrev_b32_e32 v25, 20, v25
	v_and_b32_e32 v26, 0x80000000, v26
	v_lshl_add_u32 v0, v0, 23, v31
	v_or3_b32 v56, v26, v0, v25
.LBB299_232:                            ;   in Loop: Header=BB299_13 Depth=1
	s_or_b64 exec, exec, s[44:45]
.LBB299_233:                            ;   in Loop: Header=BB299_13 Depth=1
	s_or_b64 exec, exec, s[42:43]
.LBB299_234:                            ;   in Loop: Header=BB299_13 Depth=1
	s_or_b64 exec, exec, s[40:41]
	global_load_ushort v0, v[29:30], off offset:2304
	v_mov_b32_e32 v25, 0
	v_mov_b32_e32 v58, 0
	;; [unrolled: 1-line block ×3, first 2 shown]
	s_waitcnt vmcnt(0)
	v_and_b32_e32 v31, 0xffff, v0
	v_cmp_ne_u16_sdwa s[4:5], v0, v25 src0_sel:BYTE_0 src1_sel:DWORD
	s_and_saveexec_b64 s[40:41], s[4:5]
	s_cbranch_execz .LBB299_240
; %bb.235:                              ;   in Loop: Header=BB299_13 Depth=1
	v_cmp_ne_u16_sdwa s[4:5], v31, s52 src0_sel:BYTE_0 src1_sel:DWORD
	v_bfrev_b32_e32 v57, 1
	s_and_saveexec_b64 s[42:43], s[4:5]
	s_cbranch_execz .LBB299_239
; %bb.236:                              ;   in Loop: Header=BB299_13 Depth=1
	v_and_b32_e32 v0, 0x7f, v31
	v_cmp_ne_u32_e64 s[4:5], s53, v0
	v_mov_b32_e32 v57, 0x7f800001
	s_and_saveexec_b64 s[44:45], s[4:5]
	s_cbranch_execz .LBB299_238
; %bb.237:                              ;   in Loop: Header=BB299_13 Depth=1
	v_and_b32_e32 v32, 7, v31
	v_lshrrev_b32_e32 v33, 3, v0
	v_cmp_gt_u32_e64 s[4:5], 8, v0
	v_ffbh_u32_e32 v0, v32
	v_min_u32_e32 v0, 32, v0
	v_subrev_u32_e32 v25, 28, v0
	v_lshlrev_b64 v[25:26], v25, v[31:32]
	v_sub_u32_e32 v0, 29, v0
	v_and_b32_e32 v25, 7, v25
	v_cndmask_b32_e64 v0, v33, v0, s[4:5]
	v_cndmask_b32_e64 v25, v32, v25, s[4:5]
	v_lshlrev_b32_e32 v26, 24, v31
	v_bfrev_b32_e32 v32, 60
	v_lshlrev_b32_e32 v25, 20, v25
	v_and_b32_e32 v26, 0x80000000, v26
	v_lshl_add_u32 v0, v0, 23, v32
	v_or3_b32 v57, v26, v0, v25
.LBB299_238:                            ;   in Loop: Header=BB299_13 Depth=1
	s_or_b64 exec, exec, s[44:45]
.LBB299_239:                            ;   in Loop: Header=BB299_13 Depth=1
	s_or_b64 exec, exec, s[42:43]
.LBB299_240:                            ;   in Loop: Header=BB299_13 Depth=1
	s_or_b64 exec, exec, s[40:41]
	v_lshrrev_b16_e32 v32, 8, v31
	v_cmp_ne_u16_e64 s[4:5], 0, v32
	s_and_saveexec_b64 s[40:41], s[4:5]
	s_cbranch_execz .LBB299_246
; %bb.241:                              ;   in Loop: Header=BB299_13 Depth=1
	v_cmp_ne_u16_e64 s[4:5], s52, v32
	v_bfrev_b32_e32 v58, 1
	s_and_saveexec_b64 s[42:43], s[4:5]
	s_cbranch_execz .LBB299_245
; %bb.242:                              ;   in Loop: Header=BB299_13 Depth=1
	v_and_b32_e32 v0, 0x7f, v32
	v_cmp_ne_u32_e64 s[4:5], s53, v0
	v_mov_b32_e32 v58, 0x7f800001
	s_and_saveexec_b64 s[44:45], s[4:5]
	s_cbranch_execz .LBB299_244
; %bb.243:                              ;   in Loop: Header=BB299_13 Depth=1
	v_and_b32_e32 v33, 7, v32
	v_lshrrev_b32_e32 v35, 3, v0
	v_cmp_gt_u32_e64 s[4:5], 8, v0
	v_ffbh_u32_e32 v0, v33
	v_min_u32_e32 v0, 32, v0
	v_subrev_u32_e32 v25, 28, v0
	v_lshlrev_b64 v[25:26], v25, v[32:33]
	v_sub_u32_e32 v0, 29, v0
	v_and_b32_e32 v25, 7, v25
	v_cndmask_b32_e64 v0, v35, v0, s[4:5]
	v_cndmask_b32_e64 v25, v33, v25, s[4:5]
	v_lshlrev_b32_e32 v26, 16, v31
	v_bfrev_b32_e32 v31, 60
	v_lshlrev_b32_e32 v25, 20, v25
	v_and_b32_e32 v26, 0x80000000, v26
	v_lshl_add_u32 v0, v0, 23, v31
	v_or3_b32 v58, v26, v0, v25
.LBB299_244:                            ;   in Loop: Header=BB299_13 Depth=1
	s_or_b64 exec, exec, s[44:45]
.LBB299_245:                            ;   in Loop: Header=BB299_13 Depth=1
	s_or_b64 exec, exec, s[42:43]
.LBB299_246:                            ;   in Loop: Header=BB299_13 Depth=1
	s_or_b64 exec, exec, s[40:41]
	global_load_ushort v0, v[29:30], off offset:2312
	v_mov_b32_e32 v25, 0
	v_mov_b32_e32 v60, 0
	;; [unrolled: 1-line block ×3, first 2 shown]
	s_waitcnt vmcnt(0)
	v_and_b32_e32 v31, 0xffff, v0
	v_cmp_ne_u16_sdwa s[4:5], v0, v25 src0_sel:BYTE_0 src1_sel:DWORD
	s_and_saveexec_b64 s[40:41], s[4:5]
	s_cbranch_execz .LBB299_252
; %bb.247:                              ;   in Loop: Header=BB299_13 Depth=1
	v_cmp_ne_u16_sdwa s[4:5], v31, s52 src0_sel:BYTE_0 src1_sel:DWORD
	v_bfrev_b32_e32 v59, 1
	s_and_saveexec_b64 s[42:43], s[4:5]
	s_cbranch_execz .LBB299_251
; %bb.248:                              ;   in Loop: Header=BB299_13 Depth=1
	v_and_b32_e32 v0, 0x7f, v31
	v_cmp_ne_u32_e64 s[4:5], s53, v0
	v_mov_b32_e32 v59, 0x7f800001
	s_and_saveexec_b64 s[44:45], s[4:5]
	s_cbranch_execz .LBB299_250
; %bb.249:                              ;   in Loop: Header=BB299_13 Depth=1
	v_and_b32_e32 v32, 7, v31
	v_lshrrev_b32_e32 v33, 3, v0
	v_cmp_gt_u32_e64 s[4:5], 8, v0
	v_ffbh_u32_e32 v0, v32
	v_min_u32_e32 v0, 32, v0
	v_subrev_u32_e32 v25, 28, v0
	v_lshlrev_b64 v[25:26], v25, v[31:32]
	v_sub_u32_e32 v0, 29, v0
	v_and_b32_e32 v25, 7, v25
	v_cndmask_b32_e64 v0, v33, v0, s[4:5]
	v_cndmask_b32_e64 v25, v32, v25, s[4:5]
	v_lshlrev_b32_e32 v26, 24, v31
	v_bfrev_b32_e32 v32, 60
	v_lshlrev_b32_e32 v25, 20, v25
	v_and_b32_e32 v26, 0x80000000, v26
	v_lshl_add_u32 v0, v0, 23, v32
	v_or3_b32 v59, v26, v0, v25
.LBB299_250:                            ;   in Loop: Header=BB299_13 Depth=1
	s_or_b64 exec, exec, s[44:45]
.LBB299_251:                            ;   in Loop: Header=BB299_13 Depth=1
	s_or_b64 exec, exec, s[42:43]
.LBB299_252:                            ;   in Loop: Header=BB299_13 Depth=1
	s_or_b64 exec, exec, s[40:41]
	v_lshrrev_b16_e32 v32, 8, v31
	v_cmp_ne_u16_e64 s[4:5], 0, v32
	s_and_saveexec_b64 s[40:41], s[4:5]
	s_cbranch_execz .LBB299_258
; %bb.253:                              ;   in Loop: Header=BB299_13 Depth=1
	v_cmp_ne_u16_e64 s[4:5], s52, v32
	v_bfrev_b32_e32 v60, 1
	s_and_saveexec_b64 s[42:43], s[4:5]
	s_cbranch_execz .LBB299_257
; %bb.254:                              ;   in Loop: Header=BB299_13 Depth=1
	v_and_b32_e32 v0, 0x7f, v32
	v_cmp_ne_u32_e64 s[4:5], s53, v0
	v_mov_b32_e32 v60, 0x7f800001
	s_and_saveexec_b64 s[44:45], s[4:5]
	s_cbranch_execz .LBB299_256
; %bb.255:                              ;   in Loop: Header=BB299_13 Depth=1
	v_and_b32_e32 v33, 7, v32
	v_lshrrev_b32_e32 v35, 3, v0
	v_cmp_gt_u32_e64 s[4:5], 8, v0
	v_ffbh_u32_e32 v0, v33
	v_min_u32_e32 v0, 32, v0
	v_subrev_u32_e32 v25, 28, v0
	v_lshlrev_b64 v[25:26], v25, v[32:33]
	v_sub_u32_e32 v0, 29, v0
	v_and_b32_e32 v25, 7, v25
	v_cndmask_b32_e64 v0, v35, v0, s[4:5]
	v_cndmask_b32_e64 v25, v33, v25, s[4:5]
	v_lshlrev_b32_e32 v26, 16, v31
	v_bfrev_b32_e32 v31, 60
	v_lshlrev_b32_e32 v25, 20, v25
	v_and_b32_e32 v26, 0x80000000, v26
	v_lshl_add_u32 v0, v0, 23, v31
	v_or3_b32 v60, v26, v0, v25
.LBB299_256:                            ;   in Loop: Header=BB299_13 Depth=1
	s_or_b64 exec, exec, s[44:45]
.LBB299_257:                            ;   in Loop: Header=BB299_13 Depth=1
	s_or_b64 exec, exec, s[42:43]
.LBB299_258:                            ;   in Loop: Header=BB299_13 Depth=1
	s_or_b64 exec, exec, s[40:41]
	global_load_ushort v0, v[29:30], off offset:2560
	v_mov_b32_e32 v25, 0
	buffer_store_dword v25, off, s[56:59], 0 offset:12 ; 4-byte Folded Spill
	v_mov_b32_e32 v25, 0
	s_waitcnt vmcnt(1)
	v_and_b32_e32 v31, 0xffff, v0
	v_cmp_ne_u16_sdwa s[4:5], v0, v25 src0_sel:BYTE_0 src1_sel:DWORD
	v_mov_b32_e32 v0, 0
	buffer_store_dword v0, off, s[56:59], 0 offset:8 ; 4-byte Folded Spill
	s_and_saveexec_b64 s[40:41], s[4:5]
	s_cbranch_execz .LBB299_264
; %bb.259:                              ;   in Loop: Header=BB299_13 Depth=1
	v_cmp_ne_u16_sdwa s[4:5], v31, s52 src0_sel:BYTE_0 src1_sel:DWORD
	v_bfrev_b32_e32 v0, 1
	buffer_store_dword v0, off, s[56:59], 0 offset:8 ; 4-byte Folded Spill
	s_and_saveexec_b64 s[42:43], s[4:5]
	s_cbranch_execz .LBB299_263
; %bb.260:                              ;   in Loop: Header=BB299_13 Depth=1
	v_and_b32_e32 v0, 0x7f, v31
	v_cmp_ne_u32_e64 s[4:5], s53, v0
	v_mov_b32_e32 v25, 0x7f800001
	buffer_store_dword v25, off, s[56:59], 0 offset:8 ; 4-byte Folded Spill
	s_and_saveexec_b64 s[44:45], s[4:5]
	s_cbranch_execz .LBB299_262
; %bb.261:                              ;   in Loop: Header=BB299_13 Depth=1
	v_and_b32_e32 v32, 7, v31
	v_lshrrev_b32_e32 v33, 3, v0
	v_cmp_gt_u32_e64 s[4:5], 8, v0
	v_ffbh_u32_e32 v0, v32
	v_min_u32_e32 v0, 32, v0
	v_subrev_u32_e32 v25, 28, v0
	v_lshlrev_b64 v[25:26], v25, v[31:32]
	v_sub_u32_e32 v0, 29, v0
	v_and_b32_e32 v25, 7, v25
	v_cndmask_b32_e64 v0, v33, v0, s[4:5]
	v_cndmask_b32_e64 v25, v32, v25, s[4:5]
	v_lshlrev_b32_e32 v26, 24, v31
	v_bfrev_b32_e32 v32, 60
	v_lshlrev_b32_e32 v25, 20, v25
	v_and_b32_e32 v26, 0x80000000, v26
	v_lshl_add_u32 v0, v0, 23, v32
	v_or3_b32 v0, v26, v0, v25
	buffer_store_dword v0, off, s[56:59], 0 offset:8 ; 4-byte Folded Spill
.LBB299_262:                            ;   in Loop: Header=BB299_13 Depth=1
	s_or_b64 exec, exec, s[44:45]
.LBB299_263:                            ;   in Loop: Header=BB299_13 Depth=1
	s_or_b64 exec, exec, s[42:43]
.LBB299_264:                            ;   in Loop: Header=BB299_13 Depth=1
	s_or_b64 exec, exec, s[40:41]
	v_lshrrev_b16_e32 v32, 8, v31
	v_cmp_ne_u16_e64 s[4:5], 0, v32
	s_and_saveexec_b64 s[40:41], s[4:5]
	s_cbranch_execz .LBB299_270
; %bb.265:                              ;   in Loop: Header=BB299_13 Depth=1
	v_cmp_ne_u16_e64 s[4:5], s52, v32
	v_bfrev_b32_e32 v0, 1
	buffer_store_dword v0, off, s[56:59], 0 offset:12 ; 4-byte Folded Spill
	s_and_saveexec_b64 s[42:43], s[4:5]
	s_cbranch_execz .LBB299_269
; %bb.266:                              ;   in Loop: Header=BB299_13 Depth=1
	v_and_b32_e32 v0, 0x7f, v32
	v_cmp_ne_u32_e64 s[4:5], s53, v0
	v_mov_b32_e32 v25, 0x7f800001
	buffer_store_dword v25, off, s[56:59], 0 offset:12 ; 4-byte Folded Spill
	s_and_saveexec_b64 s[44:45], s[4:5]
	s_cbranch_execz .LBB299_268
; %bb.267:                              ;   in Loop: Header=BB299_13 Depth=1
	v_and_b32_e32 v33, 7, v32
	v_lshrrev_b32_e32 v35, 3, v0
	v_cmp_gt_u32_e64 s[4:5], 8, v0
	v_ffbh_u32_e32 v0, v33
	v_min_u32_e32 v0, 32, v0
	v_subrev_u32_e32 v25, 28, v0
	v_lshlrev_b64 v[25:26], v25, v[32:33]
	v_sub_u32_e32 v0, 29, v0
	v_and_b32_e32 v25, 7, v25
	v_cndmask_b32_e64 v0, v35, v0, s[4:5]
	v_cndmask_b32_e64 v25, v33, v25, s[4:5]
	v_lshlrev_b32_e32 v26, 16, v31
	v_bfrev_b32_e32 v31, 60
	v_lshlrev_b32_e32 v25, 20, v25
	v_and_b32_e32 v26, 0x80000000, v26
	v_lshl_add_u32 v0, v0, 23, v31
	v_or3_b32 v0, v26, v0, v25
	buffer_store_dword v0, off, s[56:59], 0 offset:12 ; 4-byte Folded Spill
.LBB299_268:                            ;   in Loop: Header=BB299_13 Depth=1
	s_or_b64 exec, exec, s[44:45]
.LBB299_269:                            ;   in Loop: Header=BB299_13 Depth=1
	s_or_b64 exec, exec, s[42:43]
.LBB299_270:                            ;   in Loop: Header=BB299_13 Depth=1
	s_or_b64 exec, exec, s[40:41]
	global_load_ushort v0, v[29:30], off offset:2568
	v_mov_b32_e32 v25, 0
	v_mov_b32_e32 v33, 0
	s_waitcnt vmcnt(0)
	v_and_b32_e32 v31, 0xffff, v0
	v_cmp_ne_u16_sdwa s[4:5], v0, v25 src0_sel:BYTE_0 src1_sel:DWORD
	v_mov_b32_e32 v25, 0
	s_and_saveexec_b64 s[40:41], s[4:5]
	s_cbranch_execz .LBB299_276
; %bb.271:                              ;   in Loop: Header=BB299_13 Depth=1
	v_cmp_ne_u16_sdwa s[4:5], v31, s52 src0_sel:BYTE_0 src1_sel:DWORD
	v_bfrev_b32_e32 v25, 1
	s_and_saveexec_b64 s[42:43], s[4:5]
	s_cbranch_execz .LBB299_275
; %bb.272:                              ;   in Loop: Header=BB299_13 Depth=1
	v_and_b32_e32 v0, 0x7f, v31
	v_cmp_ne_u32_e64 s[4:5], s53, v0
	v_mov_b32_e32 v25, 0x7f800001
	s_and_saveexec_b64 s[44:45], s[4:5]
	s_cbranch_execz .LBB299_274
; %bb.273:                              ;   in Loop: Header=BB299_13 Depth=1
	v_and_b32_e32 v32, 7, v31
	v_lshrrev_b32_e32 v33, 3, v0
	v_cmp_gt_u32_e64 s[4:5], 8, v0
	v_ffbh_u32_e32 v0, v32
	v_min_u32_e32 v0, 32, v0
	v_subrev_u32_e32 v25, 28, v0
	v_lshlrev_b64 v[25:26], v25, v[31:32]
	v_sub_u32_e32 v0, 29, v0
	v_and_b32_e32 v25, 7, v25
	v_cndmask_b32_e64 v0, v33, v0, s[4:5]
	v_cndmask_b32_e64 v25, v32, v25, s[4:5]
	v_lshlrev_b32_e32 v26, 24, v31
	v_bfrev_b32_e32 v32, 60
	v_lshlrev_b32_e32 v25, 20, v25
	v_and_b32_e32 v26, 0x80000000, v26
	v_lshl_add_u32 v0, v0, 23, v32
	v_mov_b32_e32 v33, 0
	v_or3_b32 v25, v26, v0, v25
.LBB299_274:                            ;   in Loop: Header=BB299_13 Depth=1
	s_or_b64 exec, exec, s[44:45]
.LBB299_275:                            ;   in Loop: Header=BB299_13 Depth=1
	s_or_b64 exec, exec, s[42:43]
.LBB299_276:                            ;   in Loop: Header=BB299_13 Depth=1
	s_or_b64 exec, exec, s[40:41]
	v_lshrrev_b16_e32 v32, 8, v31
	v_cmp_ne_u16_e64 s[4:5], 0, v32
	buffer_store_dword v25, off, s[56:59], 0 offset:168 ; 4-byte Folded Spill
	s_and_saveexec_b64 s[40:41], s[4:5]
	s_cbranch_execz .LBB299_282
; %bb.277:                              ;   in Loop: Header=BB299_13 Depth=1
	v_cmp_ne_u16_e64 s[4:5], s52, v32
	v_bfrev_b32_e32 v33, 1
	s_and_saveexec_b64 s[42:43], s[4:5]
	s_cbranch_execz .LBB299_281
; %bb.278:                              ;   in Loop: Header=BB299_13 Depth=1
	v_and_b32_e32 v0, 0x7f, v32
	v_cmp_ne_u32_e64 s[4:5], s53, v0
	v_mov_b32_e32 v33, 0x7f800001
	s_and_saveexec_b64 s[44:45], s[4:5]
	s_cbranch_execz .LBB299_280
; %bb.279:                              ;   in Loop: Header=BB299_13 Depth=1
	v_and_b32_e32 v33, 7, v32
	v_lshrrev_b32_e32 v35, 3, v0
	v_cmp_gt_u32_e64 s[4:5], 8, v0
	v_ffbh_u32_e32 v0, v33
	v_min_u32_e32 v0, 32, v0
	v_subrev_u32_e32 v25, 28, v0
	v_lshlrev_b64 v[25:26], v25, v[32:33]
	v_sub_u32_e32 v0, 29, v0
	v_and_b32_e32 v25, 7, v25
	v_cndmask_b32_e64 v0, v35, v0, s[4:5]
	v_cndmask_b32_e64 v25, v33, v25, s[4:5]
	v_lshlrev_b32_e32 v26, 16, v31
	v_bfrev_b32_e32 v31, 60
	v_lshlrev_b32_e32 v25, 20, v25
	v_and_b32_e32 v26, 0x80000000, v26
	v_lshl_add_u32 v0, v0, 23, v31
	v_or3_b32 v33, v26, v0, v25
.LBB299_280:                            ;   in Loop: Header=BB299_13 Depth=1
	s_or_b64 exec, exec, s[44:45]
.LBB299_281:                            ;   in Loop: Header=BB299_13 Depth=1
	s_or_b64 exec, exec, s[42:43]
.LBB299_282:                            ;   in Loop: Header=BB299_13 Depth=1
	s_or_b64 exec, exec, s[40:41]
	global_load_ushort v0, v[29:30], off offset:2816
	v_mov_b32_e32 v25, 0
	buffer_store_dword v33, off, s[56:59], 0 offset:172 ; 4-byte Folded Spill
	v_mov_b32_e32 v26, 0
	v_mov_b32_e32 v33, 0
	s_waitcnt vmcnt(1)
	v_and_b32_e32 v31, 0xffff, v0
	v_cmp_ne_u16_sdwa s[4:5], v0, v25 src0_sel:BYTE_0 src1_sel:DWORD
	s_and_saveexec_b64 s[40:41], s[4:5]
	s_cbranch_execz .LBB299_288
; %bb.283:                              ;   in Loop: Header=BB299_13 Depth=1
	v_cmp_ne_u16_sdwa s[4:5], v31, s52 src0_sel:BYTE_0 src1_sel:DWORD
	v_bfrev_b32_e32 v33, 1
	s_and_saveexec_b64 s[42:43], s[4:5]
	s_cbranch_execz .LBB299_287
; %bb.284:                              ;   in Loop: Header=BB299_13 Depth=1
	v_and_b32_e32 v0, 0x7f, v31
	v_cmp_ne_u32_e64 s[4:5], s53, v0
	v_mov_b32_e32 v33, 0x7f800001
	s_and_saveexec_b64 s[44:45], s[4:5]
	s_cbranch_execz .LBB299_286
; %bb.285:                              ;   in Loop: Header=BB299_13 Depth=1
	v_and_b32_e32 v32, 7, v31
	v_lshrrev_b32_e32 v33, 3, v0
	v_cmp_gt_u32_e64 s[4:5], 8, v0
	v_ffbh_u32_e32 v0, v32
	v_min_u32_e32 v0, 32, v0
	v_subrev_u32_e32 v25, 28, v0
	v_lshlrev_b64 v[25:26], v25, v[31:32]
	v_sub_u32_e32 v0, 29, v0
	v_and_b32_e32 v25, 7, v25
	v_cndmask_b32_e64 v0, v33, v0, s[4:5]
	v_cndmask_b32_e64 v25, v32, v25, s[4:5]
	v_lshlrev_b32_e32 v26, 24, v31
	v_bfrev_b32_e32 v32, 60
	v_lshlrev_b32_e32 v25, 20, v25
	v_and_b32_e32 v26, 0x80000000, v26
	v_lshl_add_u32 v0, v0, 23, v32
	v_or3_b32 v33, v26, v0, v25
	v_mov_b32_e32 v26, 0
.LBB299_286:                            ;   in Loop: Header=BB299_13 Depth=1
	s_or_b64 exec, exec, s[44:45]
.LBB299_287:                            ;   in Loop: Header=BB299_13 Depth=1
	s_or_b64 exec, exec, s[42:43]
.LBB299_288:                            ;   in Loop: Header=BB299_13 Depth=1
	s_or_b64 exec, exec, s[40:41]
	v_lshrrev_b16_e32 v32, 8, v31
	v_cmp_ne_u16_e64 s[4:5], 0, v32
	s_and_saveexec_b64 s[40:41], s[4:5]
	s_cbranch_execz .LBB299_294
; %bb.289:                              ;   in Loop: Header=BB299_13 Depth=1
	v_cmp_ne_u16_e64 s[4:5], s52, v32
	v_bfrev_b32_e32 v26, 1
	s_and_saveexec_b64 s[42:43], s[4:5]
	s_cbranch_execz .LBB299_293
; %bb.290:                              ;   in Loop: Header=BB299_13 Depth=1
	v_and_b32_e32 v0, 0x7f, v32
	v_cmp_ne_u32_e64 s[4:5], s53, v0
	v_mov_b32_e32 v26, 0x7f800001
	s_and_saveexec_b64 s[44:45], s[4:5]
	s_cbranch_execz .LBB299_292
; %bb.291:                              ;   in Loop: Header=BB299_13 Depth=1
	v_mov_b32_e32 v35, v33
	v_and_b32_e32 v33, 7, v32
	v_lshrrev_b32_e32 v37, 3, v0
	v_cmp_gt_u32_e64 s[4:5], 8, v0
	v_ffbh_u32_e32 v0, v33
	v_min_u32_e32 v0, 32, v0
	v_subrev_u32_e32 v25, 28, v0
	v_lshlrev_b64 v[25:26], v25, v[32:33]
	v_sub_u32_e32 v0, 29, v0
	v_and_b32_e32 v25, 7, v25
	v_cndmask_b32_e64 v0, v37, v0, s[4:5]
	v_cndmask_b32_e64 v25, v33, v25, s[4:5]
	v_lshlrev_b32_e32 v26, 16, v31
	v_bfrev_b32_e32 v31, 60
	v_lshlrev_b32_e32 v25, 20, v25
	v_and_b32_e32 v26, 0x80000000, v26
	v_lshl_add_u32 v0, v0, 23, v31
	v_mov_b32_e32 v33, v35
	v_or3_b32 v26, v26, v0, v25
.LBB299_292:                            ;   in Loop: Header=BB299_13 Depth=1
	s_or_b64 exec, exec, s[44:45]
.LBB299_293:                            ;   in Loop: Header=BB299_13 Depth=1
	s_or_b64 exec, exec, s[42:43]
.LBB299_294:                            ;   in Loop: Header=BB299_13 Depth=1
	s_or_b64 exec, exec, s[40:41]
	global_load_ushort v0, v[29:30], off offset:2824
	v_mov_b32_e32 v25, 0
	v_mov_b32_e32 v31, 0
	;; [unrolled: 1-line block ×3, first 2 shown]
	s_waitcnt vmcnt(0)
	v_and_b32_e32 v29, 0xffff, v0
	v_cmp_ne_u16_sdwa s[4:5], v0, v25 src0_sel:BYTE_0 src1_sel:DWORD
	s_and_saveexec_b64 s[40:41], s[4:5]
	s_cbranch_execz .LBB299_300
; %bb.295:                              ;   in Loop: Header=BB299_13 Depth=1
	v_cmp_ne_u16_sdwa s[4:5], v29, s52 src0_sel:BYTE_0 src1_sel:DWORD
	v_bfrev_b32_e32 v32, 1
	s_and_saveexec_b64 s[42:43], s[4:5]
	s_cbranch_execz .LBB299_299
; %bb.296:                              ;   in Loop: Header=BB299_13 Depth=1
	v_and_b32_e32 v0, 0x7f, v29
	v_cmp_ne_u32_e64 s[4:5], s53, v0
	v_mov_b32_e32 v32, 0x7f800001
	s_and_saveexec_b64 s[44:45], s[4:5]
	s_cbranch_execz .LBB299_298
; %bb.297:                              ;   in Loop: Header=BB299_13 Depth=1
	v_and_b32_e32 v30, 7, v29
	v_lshrrev_b32_e32 v32, 3, v0
	v_cmp_gt_u32_e64 s[4:5], 8, v0
	v_ffbh_u32_e32 v0, v30
	v_min_u32_e32 v0, 32, v0
	v_subrev_u32_e32 v25, 28, v0
	v_mov_b32_e32 v35, v26
	v_lshlrev_b64 v[25:26], v25, v[29:30]
	v_sub_u32_e32 v0, 29, v0
	v_and_b32_e32 v25, 7, v25
	v_cndmask_b32_e64 v0, v32, v0, s[4:5]
	v_cndmask_b32_e64 v25, v30, v25, s[4:5]
	v_lshlrev_b32_e32 v26, 24, v29
	v_bfrev_b32_e32 v30, 60
	v_lshlrev_b32_e32 v25, 20, v25
	v_and_b32_e32 v26, 0x80000000, v26
	v_lshl_add_u32 v0, v0, 23, v30
	v_or3_b32 v32, v26, v0, v25
	v_mov_b32_e32 v26, v35
.LBB299_298:                            ;   in Loop: Header=BB299_13 Depth=1
	s_or_b64 exec, exec, s[44:45]
.LBB299_299:                            ;   in Loop: Header=BB299_13 Depth=1
	s_or_b64 exec, exec, s[42:43]
.LBB299_300:                            ;   in Loop: Header=BB299_13 Depth=1
	s_or_b64 exec, exec, s[40:41]
	v_lshrrev_b16_e32 v30, 8, v29
	buffer_store_dword v26, off, s[56:59], 0 offset:180 ; 4-byte Folded Spill
	buffer_store_dword v33, off, s[56:59], 0 offset:176 ; 4-byte Folded Spill
	;; [unrolled: 1-line block ×19, first 2 shown]
	v_mov_b32_e32 v21, v19
	v_mov_b32_e32 v22, v18
	buffer_store_dword v17, off, s[56:59], 0 offset:76 ; 4-byte Folded Spill
	buffer_store_dword v16, off, s[56:59], 0 offset:72 ; 4-byte Folded Spill
	v_mov_b32_e32 v19, v15
	v_mov_b32_e32 v18, v14
	buffer_store_dword v13, off, s[56:59], 0 offset:68 ; 4-byte Folded Spill
	v_mov_b32_e32 v17, v12
	v_mov_b32_e32 v16, v10
	;; [unrolled: 1-line block ×11, first 2 shown]
	v_cmp_ne_u16_e64 s[4:5], 0, v30
	s_and_saveexec_b64 s[40:41], s[4:5]
	s_cbranch_execz .LBB299_306
; %bb.301:                              ;   in Loop: Header=BB299_13 Depth=1
	v_cmp_ne_u16_e64 s[4:5], s52, v30
	v_bfrev_b32_e32 v31, 1
	s_and_saveexec_b64 s[42:43], s[4:5]
	s_cbranch_execz .LBB299_305
; %bb.302:                              ;   in Loop: Header=BB299_13 Depth=1
	v_and_b32_e32 v0, 0x7f, v30
	v_cmp_ne_u32_e64 s[4:5], s53, v0
	v_mov_b32_e32 v31, 0x7f800001
	s_and_saveexec_b64 s[44:45], s[4:5]
	s_cbranch_execz .LBB299_304
; %bb.303:                              ;   in Loop: Header=BB299_13 Depth=1
	v_and_b32_e32 v31, 7, v30
	v_lshrrev_b32_e32 v33, 3, v0
	v_cmp_gt_u32_e64 s[4:5], 8, v0
	v_ffbh_u32_e32 v0, v31
	v_min_u32_e32 v0, 32, v0
	v_subrev_u32_e32 v25, 28, v0
	v_lshlrev_b64 v[25:26], v25, v[30:31]
	v_sub_u32_e32 v0, 29, v0
	v_and_b32_e32 v25, 7, v25
	v_cndmask_b32_e64 v0, v33, v0, s[4:5]
	v_cndmask_b32_e64 v25, v31, v25, s[4:5]
	v_lshlrev_b32_e32 v26, 16, v29
	v_bfrev_b32_e32 v29, 60
	v_lshlrev_b32_e32 v25, 20, v25
	v_and_b32_e32 v26, 0x80000000, v26
	v_lshl_add_u32 v0, v0, 23, v29
	v_or3_b32 v31, v26, v0, v25
.LBB299_304:                            ;   in Loop: Header=BB299_13 Depth=1
	s_or_b64 exec, exec, s[44:45]
.LBB299_305:                            ;   in Loop: Header=BB299_13 Depth=1
	s_or_b64 exec, exec, s[42:43]
.LBB299_306:                            ;   in Loop: Header=BB299_13 Depth=1
	s_or_b64 exec, exec, s[40:41]
	buffer_load_dword v0, off, s[56:59], 0 offset:52 ; 4-byte Folded Reload
	buffer_load_dword v1, off, s[56:59], 0 offset:56 ; 4-byte Folded Reload
	;; [unrolled: 1-line block ×4, first 2 shown]
	v_lshlrev_b32_e32 v57, 16, v48
	v_lshlrev_b32_e32 v58, 16, v49
	;; [unrolled: 1-line block ×4, first 2 shown]
	v_and_b32_e32 v34, 0xffff0000, v48
	v_and_b32_e32 v59, 0xffff0000, v49
	;; [unrolled: 1-line block ×4, first 2 shown]
	v_lshlrev_b32_e32 v45, 16, v6
	v_lshlrev_b32_e32 v39, 16, v7
	;; [unrolled: 1-line block ×4, first 2 shown]
	v_and_b32_e32 v46, 0xffff0000, v6
	v_and_b32_e32 v43, 0xffff0000, v7
	;; [unrolled: 1-line block ×3, first 2 shown]
	v_mov_b32_e32 v20, v31
	v_and_b32_e32 v31, 0xffff0000, v9
	s_waitcnt vmcnt(3)
	v_lshlrev_b32_e32 v55, 16, v0
	s_waitcnt vmcnt(2)
	v_lshlrev_b32_e32 v52, 16, v1
	;; [unrolled: 2-line block ×4, first 2 shown]
	v_and_b32_e32 v54, 0xffff0000, v0
	v_and_b32_e32 v38, 0xffff0000, v1
	;; [unrolled: 1-line block ×4, first 2 shown]
	buffer_load_dword v0, off, s[56:59], 0 offset:80 ; 4-byte Folded Reload
	buffer_load_dword v1, off, s[56:59], 0 offset:84 ; 4-byte Folded Reload
	;; [unrolled: 1-line block ×4, first 2 shown]
	s_waitcnt vmcnt(3)
	v_lshlrev_b32_e32 v29, 16, v0
	v_and_b32_e32 v30, 0xffff0000, v0
	s_waitcnt vmcnt(1)
	v_lshlrev_b32_e32 v4, 16, v2
	v_and_b32_e32 v0, 0xffff0000, v2
	buffer_store_dword v4, off, s[56:59], 0 offset:216 ; 4-byte Folded Spill
	s_waitcnt vmcnt(1)
	v_lshlrev_b32_e32 v4, 16, v3
	buffer_store_dword v0, off, s[56:59], 0 offset:220 ; 4-byte Folded Spill
	v_and_b32_e32 v0, 0xffff0000, v3
	buffer_store_dword v4, off, s[56:59], 0 offset:208 ; 4-byte Folded Spill
	buffer_store_dword v0, off, s[56:59], 0 offset:212 ; 4-byte Folded Spill
	buffer_load_dword v6, off, s[56:59], 0 offset:20 ; 4-byte Folded Reload
	buffer_load_dword v7, off, s[56:59], 0 offset:24 ; 4-byte Folded Reload
	buffer_load_dword v8, off, s[56:59], 0 offset:28 ; 4-byte Folded Reload
	buffer_load_dword v9, off, s[56:59], 0 offset:32 ; 4-byte Folded Reload
	v_lshlrev_b32_e32 v23, 16, v1
	v_and_b32_e32 v24, 0xffff0000, v1
	s_waitcnt vmcnt(3)
	v_lshlrev_b32_e32 v0, 16, v6
	buffer_store_dword v0, off, s[56:59], 0 offset:204 ; 4-byte Folded Spill
	s_waitcnt vmcnt(3)
	v_lshlrev_b32_e32 v0, 16, v7
	buffer_store_dword v0, off, s[56:59], 0 offset:200 ; 4-byte Folded Spill
	;; [unrolled: 3-line block ×4, first 2 shown]
	buffer_load_dword v0, off, s[56:59], 0 offset:36 ; 4-byte Folded Reload
	s_nop 0
	buffer_load_dword v1, off, s[56:59], 0 offset:40 ; 4-byte Folded Reload
	buffer_load_dword v2, off, s[56:59], 0 offset:44 ; 4-byte Folded Reload
	;; [unrolled: 1-line block ×3, first 2 shown]
	v_and_b32_e32 v6, 0xffff0000, v6
	v_and_b32_e32 v7, 0xffff0000, v7
	v_and_b32_e32 v8, 0xffff0000, v8
	v_and_b32_e32 v9, 0xffff0000, v9
	s_waitcnt vmcnt(3)
	v_lshlrev_b32_e32 v4, 16, v0
	buffer_store_dword v4, off, s[56:59], 0 offset:184 ; 4-byte Folded Spill
	s_waitcnt vmcnt(3)
	v_lshlrev_b32_e32 v4, 16, v1
	buffer_store_dword v4, off, s[56:59], 0 offset:80 ; 4-byte Folded Spill
	s_waitcnt vmcnt(3)
	v_lshlrev_b32_e32 v4, 16, v2
	v_and_b32_e32 v0, 0xffff0000, v0
	buffer_store_dword v4, off, s[56:59], 0 offset:52 ; 4-byte Folded Spill
	s_waitcnt vmcnt(3)
	v_lshlrev_b32_e32 v4, 16, v3
	buffer_store_dword v0, off, s[56:59], 0 offset:192 ; 4-byte Folded Spill
	v_and_b32_e32 v0, 0xffff0000, v3
	v_mul_f32_e32 v3, s55, v61
	buffer_store_dword v4, off, s[56:59], 0 offset:20 ; 4-byte Folded Spill
	v_bfe_u32 v4, v3, 16, 1
	v_add3_u32 v4, v4, v3, s54
	v_or_b32_e32 v61, 0x400000, v3
	v_cmp_u_f32_e64 s[4:5], v3, v3
	v_cndmask_b32_e64 v3, v4, v61, s[4:5]
	v_mul_f32_e32 v4, s55, v62
	v_bfe_u32 v61, v4, 16, 1
	v_add3_u32 v61, v61, v4, s54
	v_or_b32_e32 v62, 0x400000, v4
	v_cmp_u_f32_e64 s[4:5], v4, v4
	v_cndmask_b32_e64 v4, v61, v62, s[4:5]
	v_and_b32_e32 v3, 0xffff0000, v3
	v_mul_f32_e32 v3, v58, v3
	v_and_b32_e32 v4, 0xffff0000, v4
	v_fmac_f32_e32 v3, v57, v4
	v_mul_f32_e32 v4, s55, v35
	v_bfe_u32 v57, v4, 16, 1
	v_add3_u32 v57, v57, v4, s54
	v_or_b32_e32 v58, 0x400000, v4
	v_cmp_u_f32_e64 s[4:5], v4, v4
	v_cndmask_b32_e64 v4, v57, v58, s[4:5]
	v_mul_f32_e32 v57, s55, v63
	v_bfe_u32 v58, v57, 16, 1
	v_add3_u32 v58, v58, v57, s54
	v_or_b32_e32 v61, 0x400000, v57
	v_cmp_u_f32_e64 s[4:5], v57, v57
	v_cndmask_b32_e64 v57, v58, v61, s[4:5]
	v_and_b32_e32 v4, 0xffff0000, v4
	buffer_store_dword v0, off, s[56:59], 0 offset:36 ; 4-byte Folded Spill
	v_mul_f32_e32 v4, v59, v4
	v_and_b32_e32 v57, 0xffff0000, v57
	buffer_load_dword v0, off, s[56:59], 0 offset:76 ; 4-byte Folded Reload
	v_fmac_f32_e32 v4, v34, v57
	v_mul_f32_e32 v34, s55, v37
	v_bfe_u32 v57, v34, 16, 1
	v_add3_u32 v57, v57, v34, s54
	v_or_b32_e32 v58, 0x400000, v34
	v_cmp_u_f32_e64 s[4:5], v34, v34
	v_cndmask_b32_e64 v34, v57, v58, s[4:5]
	v_and_b32_e32 v34, 0xffff0000, v34
	v_fmac_f32_e32 v3, v56, v34
	v_mul_f32_e32 v34, s55, v36
	v_bfe_u32 v56, v34, 16, 1
	v_add3_u32 v56, v56, v34, s54
	v_or_b32_e32 v57, 0x400000, v34
	v_cmp_u_f32_e64 s[4:5], v34, v34
	v_cndmask_b32_e64 v34, v56, v57, s[4:5]
	v_and_b32_e32 v34, 0xffff0000, v34
	;; [unrolled: 8-line block ×16, first 2 shown]
	s_waitcnt vmcnt(0)
	v_mul_f32_e32 v0, s55, v0
	v_fmac_f32_e32 v4, v43, v33
	v_bfe_u32 v33, v0, 16, 1
	v_add3_u32 v33, v33, v0, s54
	v_or_b32_e32 v34, 0x400000, v0
	v_cmp_u_f32_e64 s[4:5], v0, v0
	v_cndmask_b32_e64 v0, v33, v34, s[4:5]
	v_and_b32_e32 v0, 0xffff0000, v0
	v_fmac_f32_e32 v3, v40, v0
	buffer_load_dword v0, off, s[56:59], 0 offset:72 ; 4-byte Folded Reload
	buffer_load_dword v5, off, s[56:59], 0 offset:180 ; 4-byte Folded Reload
	v_and_b32_e32 v1, 0xffff0000, v1
	v_and_b32_e32 v2, 0xffff0000, v2
	s_waitcnt vmcnt(1)
	v_mul_f32_e32 v0, s55, v0
	v_bfe_u32 v33, v0, 16, 1
	v_add3_u32 v33, v33, v0, s54
	v_or_b32_e32 v34, 0x400000, v0
	v_cmp_u_f32_e64 s[4:5], v0, v0
	v_cndmask_b32_e64 v0, v33, v34, s[4:5]
	v_and_b32_e32 v0, 0xffff0000, v0
	v_fmac_f32_e32 v4, v26, v0
	buffer_load_dword v0, off, s[56:59], 0 offset:104 ; 4-byte Folded Reload
	s_waitcnt vmcnt(0)
	v_mul_f32_e32 v0, s55, v0
	v_bfe_u32 v26, v0, 16, 1
	v_add3_u32 v26, v26, v0, s54
	v_or_b32_e32 v33, 0x400000, v0
	v_cmp_u_f32_e64 s[4:5], v0, v0
	v_cndmask_b32_e64 v0, v26, v33, s[4:5]
	v_and_b32_e32 v0, 0xffff0000, v0
	v_fmac_f32_e32 v3, v25, v0
	v_mul_f32_e32 v0, s55, v32
	v_bfe_u32 v25, v0, 16, 1
	v_add3_u32 v25, v25, v0, s54
	v_or_b32_e32 v26, 0x400000, v0
	v_cmp_u_f32_e64 s[4:5], v0, v0
	v_cndmask_b32_e64 v0, v25, v26, s[4:5]
	v_mul_f32_e32 v25, s55, v5
	buffer_load_dword v5, off, s[56:59], 0 offset:176 ; 4-byte Folded Reload
	v_bfe_u32 v26, v25, 16, 1
	v_add3_u32 v26, v26, v25, s54
	v_or_b32_e32 v32, 0x400000, v25
	v_cmp_u_f32_e64 s[4:5], v25, v25
	v_cndmask_b32_e64 v25, v26, v32, s[4:5]
	v_and_b32_e32 v0, 0xffff0000, v0
	s_waitcnt vmcnt(0)
	v_mul_f32_e32 v26, s55, v5
	buffer_load_dword v5, off, s[56:59], 0 offset:172 ; 4-byte Folded Reload
	v_bfe_u32 v32, v26, 16, 1
	v_add3_u32 v32, v32, v26, s54
	v_or_b32_e32 v33, 0x400000, v26
	v_cmp_u_f32_e64 s[4:5], v26, v26
	v_cndmask_b32_e64 v26, v32, v33, s[4:5]
	s_waitcnt vmcnt(0)
	v_mul_f32_e32 v32, s55, v5
	buffer_load_dword v5, off, s[56:59], 0 offset:168 ; 4-byte Folded Reload
	v_bfe_u32 v33, v32, 16, 1
	v_add3_u32 v33, v33, v32, s54
	v_or_b32_e32 v34, 0x400000, v32
	v_cmp_u_f32_e64 s[4:5], v32, v32
	v_cndmask_b32_e64 v32, v33, v34, s[4:5]
	;; [unrolled: 8-line block ×4, first 2 shown]
	v_and_b32_e32 v12, 0xffff0000, v36
	s_waitcnt vmcnt(0)
	v_mul_f32_e32 v33, s55, v5
	buffer_load_dword v5, off, s[56:59], 0 offset:164 ; 4-byte Folded Reload
	v_bfe_u32 v34, v33, 16, 1
	v_add3_u32 v34, v34, v33, s54
	v_or_b32_e32 v37, 0x400000, v33
	v_cmp_u_f32_e64 s[4:5], v33, v33
	v_cndmask_b32_e64 v37, v34, v37, s[4:5]
	v_and_b32_e32 v10, 0xffff0000, v37
	s_waitcnt vmcnt(0)
	v_mul_f32_e32 v33, s55, v5
	buffer_load_dword v5, off, s[56:59], 0 offset:160 ; 4-byte Folded Reload
	v_bfe_u32 v34, v33, 16, 1
	v_add3_u32 v34, v34, v33, s54
	v_or_b32_e32 v38, 0x400000, v33
	v_cmp_u_f32_e64 s[4:5], v33, v33
	v_cndmask_b32_e64 v38, v34, v38, s[4:5]
	;; [unrolled: 9-line block ×6, first 2 shown]
	s_waitcnt vmcnt(0)
	v_mul_f32_e32 v34, s55, v5
	buffer_load_dword v5, off, s[56:59], 0 offset:140 ; 4-byte Folded Reload
	v_bfe_u32 v46, v34, 16, 1
	v_add3_u32 v46, v46, v34, s54
	v_or_b32_e32 v48, 0x400000, v34
	v_cmp_u_f32_e64 s[4:5], v34, v34
	v_cndmask_b32_e64 v34, v46, v48, s[4:5]
	v_and_b32_e32 v17, 0xffff0000, v34
	s_waitcnt vmcnt(0)
	v_mul_f32_e32 v46, s55, v5
	buffer_load_dword v5, off, s[56:59], 0 offset:132 ; 4-byte Folded Reload
	v_bfe_u32 v48, v46, 16, 1
	v_add3_u32 v48, v48, v46, s54
	v_or_b32_e32 v49, 0x400000, v46
	v_cmp_u_f32_e64 s[4:5], v46, v46
	v_cndmask_b32_e64 v46, v48, v49, s[4:5]
	s_waitcnt vmcnt(0)
	v_mul_f32_e32 v48, s55, v5
	buffer_load_dword v5, off, s[56:59], 0 offset:128 ; 4-byte Folded Reload
	v_bfe_u32 v49, v48, 16, 1
	v_add3_u32 v49, v49, v48, s54
	v_or_b32_e32 v50, 0x400000, v48
	v_cmp_u_f32_e64 s[4:5], v48, v48
	v_cndmask_b32_e64 v48, v49, v50, s[4:5]
	v_and_b32_e32 v18, 0xffff0000, v48
	s_waitcnt vmcnt(0)
	v_mul_f32_e32 v49, s55, v5
	buffer_load_dword v5, off, s[56:59], 0 offset:124 ; 4-byte Folded Reload
	v_bfe_u32 v50, v49, 16, 1
	v_add3_u32 v50, v50, v49, s54
	v_or_b32_e32 v51, 0x400000, v49
	v_cmp_u_f32_e64 s[4:5], v49, v49
	v_cndmask_b32_e64 v49, v50, v51, s[4:5]
	v_and_b32_e32 v22, 0xffff0000, v49
	;; [unrolled: 9-line block ×3, first 2 shown]
	s_waitcnt vmcnt(0)
	v_mul_f32_e32 v51, s55, v5
	buffer_load_dword v5, off, s[56:59], 0 offset:116 ; 4-byte Folded Reload
	v_bfe_u32 v52, v51, 16, 1
	v_add3_u32 v52, v52, v51, s54
	v_or_b32_e32 v53, 0x400000, v51
	v_cmp_u_f32_e64 s[4:5], v51, v51
	v_cndmask_b32_e64 v51, v52, v53, s[4:5]
	s_waitcnt vmcnt(0)
	v_mul_f32_e32 v52, s55, v5
	buffer_load_dword v5, off, s[56:59], 0 offset:112 ; 4-byte Folded Reload
	v_bfe_u32 v53, v52, 16, 1
	v_add3_u32 v53, v53, v52, s54
	v_or_b32_e32 v54, 0x400000, v52
	v_cmp_u_f32_e64 s[4:5], v52, v52
	v_cndmask_b32_e64 v52, v53, v54, s[4:5]
	s_waitcnt vmcnt(0)
	v_mul_f32_e32 v53, s55, v5
	buffer_load_dword v5, off, s[56:59], 0 offset:108 ; 4-byte Folded Reload
	v_bfe_u32 v54, v53, 16, 1
	v_add3_u32 v54, v54, v53, s54
	v_or_b32_e32 v55, 0x400000, v53
	v_cmp_u_f32_e64 s[4:5], v53, v53
	v_cndmask_b32_e64 v53, v54, v55, s[4:5]
	s_waitcnt vmcnt(0)
	v_mul_f32_e32 v54, s55, v5
	buffer_load_dword v5, off, s[56:59], 0 offset:100 ; 4-byte Folded Reload
	v_bfe_u32 v55, v54, 16, 1
	v_add3_u32 v55, v55, v54, s54
	v_or_b32_e32 v56, 0x400000, v54
	v_cmp_u_f32_e64 s[4:5], v54, v54
	v_cndmask_b32_e64 v54, v55, v56, s[4:5]
	s_waitcnt vmcnt(0)
	v_mul_f32_e32 v55, s55, v5
	buffer_load_dword v5, off, s[56:59], 0 offset:96 ; 4-byte Folded Reload
	v_bfe_u32 v56, v55, 16, 1
	v_add3_u32 v56, v56, v55, s54
	v_or_b32_e32 v57, 0x400000, v55
	v_cmp_u_f32_e64 s[4:5], v55, v55
	v_cndmask_b32_e64 v55, v56, v57, s[4:5]
	v_and_b32_e32 v55, 0xffff0000, v55
	s_waitcnt vmcnt(0)
	v_mul_f32_e32 v56, s55, v5
	buffer_load_dword v5, off, s[56:59], 0 offset:68 ; 4-byte Folded Reload
	v_bfe_u32 v57, v56, 16, 1
	v_add3_u32 v57, v57, v56, s54
	v_or_b32_e32 v58, 0x400000, v56
	v_cmp_u_f32_e64 s[4:5], v56, v56
	v_cndmask_b32_e64 v56, v57, v58, s[4:5]
	v_and_b32_e32 v56, 0xffff0000, v56
	v_fmac_f32_e32 v3, v29, v56
	v_and_b32_e32 v29, 0xffff0000, v54
	v_fmac_f32_e32 v3, v23, v29
	v_and_b32_e32 v23, 0xffff0000, v52
	s_waitcnt vmcnt(0)
	v_mul_f32_e32 v57, s55, v5
	buffer_load_dword v5, off, s[56:59], 0 offset:216 ; 4-byte Folded Reload
	v_bfe_u32 v58, v57, 16, 1
	v_add3_u32 v58, v58, v57, s54
	v_or_b32_e32 v59, 0x400000, v57
	v_cmp_u_f32_e64 s[4:5], v57, v57
	v_cndmask_b32_e64 v57, v58, v59, s[4:5]
	v_and_b32_e32 v57, 0xffff0000, v57
	v_fmac_f32_e32 v4, v31, v57
	v_fmac_f32_e32 v4, v30, v55
	v_and_b32_e32 v30, 0xffff0000, v53
	v_fmac_f32_e32 v4, v24, v30
	v_and_b32_e32 v24, 0xffff0000, v51
	v_mul_f32_e32 v31, s55, v20
	v_and_b32_e32 v20, 0xffff0000, v46
	buffer_load_dword v59, off, s[56:59], 0 offset:244 ; 4-byte Folded Reload
	v_bfe_u32 v57, v31, 16, 1
	v_add3_u32 v57, v57, v31, s54
	v_or_b32_e32 v58, 0x400000, v31
	v_cmp_u_f32_e64 s[4:5], v31, v31
	v_cndmask_b32_e64 v31, v57, v58, s[4:5]
	s_waitcnt vmcnt(1)
	v_fmac_f32_e32 v3, v5, v23
	buffer_load_dword v5, off, s[56:59], 0 offset:220 ; 4-byte Folded Reload
	s_waitcnt vmcnt(0)
	v_fmac_f32_e32 v4, v5, v24
	buffer_load_dword v5, off, s[56:59], 0 offset:208 ; 4-byte Folded Reload
	;; [unrolled: 3-line block ×4, first 2 shown]
	v_fmac_f32_e32 v4, v6, v20
	s_waitcnt vmcnt(0)
	v_fmac_f32_e32 v3, v5, v18
	buffer_load_dword v5, off, s[56:59], 0 offset:200 ; 4-byte Folded Reload
	v_and_b32_e32 v18, 0xffff0000, v33
	v_fmac_f32_e32 v4, v7, v18
	v_fmac_f32_e32 v4, v8, v16
	;; [unrolled: 1-line block ×3, first 2 shown]
	v_and_b32_e32 v9, 0xffff0000, v35
	v_and_b32_e32 v7, 0xffff0000, v26
	;; [unrolled: 1-line block ×3, first 2 shown]
	s_waitcnt vmcnt(0)
	v_fmac_f32_e32 v3, v5, v17
	buffer_load_dword v5, off, s[56:59], 0 offset:196 ; 4-byte Folded Reload
	s_waitcnt vmcnt(0)
	v_fmac_f32_e32 v3, v5, v15
	buffer_load_dword v5, off, s[56:59], 0 offset:188 ; 4-byte Folded Reload
	s_waitcnt vmcnt(0)
	v_fmac_f32_e32 v3, v5, v13
	buffer_load_dword v5, off, s[56:59], 0 offset:184 ; 4-byte Folded Reload
	s_waitcnt vmcnt(0)
	v_fmac_f32_e32 v3, v5, v10
	buffer_load_dword v5, off, s[56:59], 0 offset:192 ; 4-byte Folded Reload
	v_and_b32_e32 v10, 0xffff0000, v32
	s_waitcnt vmcnt(0)
	v_fmac_f32_e32 v4, v5, v12
	buffer_load_dword v5, off, s[56:59], 0 offset:80 ; 4-byte Folded Reload
	v_fmac_f32_e32 v4, v1, v10
	buffer_load_dword v1, off, s[56:59], 0 offset:52 ; 4-byte Folded Reload
	v_fmac_f32_e32 v4, v2, v8
	v_and_b32_e32 v2, 0xffff0000, v31
	s_waitcnt vmcnt(1)
	v_fmac_f32_e32 v3, v5, v9
	s_waitcnt vmcnt(0)
	v_fmac_f32_e32 v3, v1, v7
	buffer_load_dword v1, off, s[56:59], 0 offset:20 ; 4-byte Folded Reload
	v_and_b32_e32 v42, 64, v59
	v_add_u32_e32 v42, 64, v42
	v_xor_b32_e32 v57, 2, v59
	v_cmp_lt_i32_e64 s[4:5], v57, v42
	v_cndmask_b32_e64 v57, v59, v57, s[4:5]
	v_lshlrev_b32_e32 v57, 2, v57
	s_waitcnt vmcnt(0)
	v_fmac_f32_e32 v3, v1, v0
	buffer_load_dword v0, off, s[56:59], 0 offset:36 ; 4-byte Folded Reload
	s_waitcnt vmcnt(0)
	v_fmac_f32_e32 v4, v0, v2
	v_add_f32_e32 v0, v3, v4
	ds_bpermute_b32 v1, v57, v0
	v_xor_b32_e32 v2, 1, v59
	v_cmp_lt_i32_e64 s[4:5], v2, v42
	v_cndmask_b32_e64 v2, v59, v2, s[4:5]
	v_lshlrev_b32_e32 v2, 2, v2
	s_waitcnt lgkmcnt(0)
	v_add_f32_e32 v0, v0, v1
	ds_bpermute_b32 v1, v2, v0
	s_and_saveexec_b64 s[40:41], vcc
	s_cbranch_execz .LBB299_11
; %bb.307:                              ;   in Loop: Header=BB299_13 Depth=1
	buffer_load_dword v2, off, s[56:59], 0 offset:252 ; 4-byte Folded Reload
	buffer_load_dword v3, off, s[56:59], 0 offset:248 ; 4-byte Folded Reload
	s_waitcnt lgkmcnt(0)
	v_add_f32_e32 v0, v0, v1
	s_waitcnt vmcnt(1)
	v_add_u32_e32 v2, v2, v41
	v_cvt_f32_i32_e32 v2, v2
	v_mul_f32_e32 v1, s48, v2
	buffer_load_dword v2, off, s[56:59], 0 offset:228 ; 4-byte Folded Reload
	s_waitcnt vmcnt(1)
	v_add_u32_e32 v3, v3, v41
	v_cndmask_b32_e64 v1, 0, v1, s[2:3]
	v_fmac_f32_e32 v1, s37, v0
	v_cmp_gt_i32_e64 s[4:5], s33, v3
	v_cndmask_b32_e64 v0, 0, v1, s[4:5]
	ds_write_b32 v11, v0
	s_waitcnt vmcnt(0)
	v_max_f32_e32 v0, v2, v2
	v_max_f32_e32 v0, v0, v1
	v_cndmask_b32_e64 v2, v2, v0, s[4:5]
	buffer_store_dword v2, off, s[56:59], 0 offset:228 ; 4-byte Folded Spill
	s_branch .LBB299_11
.LBB299_308:
	s_or_b64 exec, exec, s[38:39]
	buffer_load_dword v14, off, s[56:59], 0 offset:256 ; 4-byte Folded Reload
	buffer_load_dword v4, off, s[56:59], 0 offset:228 ; 4-byte Folded Reload
	v_mbcnt_lo_u32_b32 v5, -1, 0
.LBB299_309:
	s_or_b64 exec, exec, s[18:19]
	v_mbcnt_hi_u32_b32 v0, -1, v5
	v_and_b32_e32 v8, 64, v0
	s_waitcnt lgkmcnt(0)
	v_add_u32_e32 v1, 64, v8
	v_xor_b32_e32 v2, 32, v0
	v_cmp_lt_i32_e32 vcc, v2, v1
	v_cndmask_b32_e32 v2, v0, v2, vcc
	v_lshlrev_b32_e32 v2, 2, v2
	s_waitcnt vmcnt(0)
	ds_bpermute_b32 v3, v2, v4
	v_xor_b32_e32 v5, 16, v0
	v_max_f32_e32 v4, v4, v4
	v_cmp_lt_i32_e32 vcc, v5, v1
	v_xor_b32_e32 v6, 8, v0
	s_waitcnt lgkmcnt(0)
	v_max_f32_e32 v3, v3, v3
	v_max_f32_e32 v4, v4, v3
	v_cndmask_b32_e32 v3, v0, v5, vcc
	v_lshlrev_b32_e32 v3, 2, v3
	ds_bpermute_b32 v5, v3, v4
	v_cmp_lt_i32_e32 vcc, v6, v1
	v_xor_b32_e32 v7, 4, v0
	s_waitcnt lgkmcnt(0)
	v_max_f32_e32 v5, v5, v5
	v_max_f32_e32 v4, v4, v5
	v_cndmask_b32_e32 v5, v0, v6, vcc
	v_lshlrev_b32_e32 v6, 2, v5
	ds_bpermute_b32 v5, v6, v4
	v_cmp_lt_i32_e32 vcc, v7, v1
	s_waitcnt lgkmcnt(0)
	v_max_f32_e32 v5, v5, v5
	v_max_f32_e32 v5, v4, v5
	v_cndmask_b32_e32 v4, v0, v7, vcc
	v_lshlrev_b32_e32 v7, 2, v4
	buffer_load_dword v4, off, s[56:59], 0 offset:224 ; 4-byte Folded Reload
	ds_bpermute_b32 v9, v7, v5
	s_waitcnt vmcnt(0)
	v_and_b32_e32 v13, 63, v4
	buffer_load_dword v4, off, s[56:59], 0  ; 4-byte Folded Reload
	v_cmp_eq_u32_e32 vcc, 0, v13
	s_waitcnt vmcnt(0)
	v_lshlrev_b32_e32 v4, 2, v4
	s_and_saveexec_b64 s[2:3], vcc
	s_cbranch_execz .LBB299_311
; %bb.310:
	s_waitcnt lgkmcnt(0)
	v_max_f32_e32 v9, v9, v9
	v_max_f32_e32 v5, v5, v5
	;; [unrolled: 1-line block ×3, first 2 shown]
	ds_write_b32 v4, v5 offset:384
.LBB299_311:
	s_or_b64 exec, exec, s[2:3]
	v_cmp_gt_u32_e64 s[2:3], 2, v13
	s_waitcnt lgkmcnt(0)
	v_mov_b32_e32 v9, 0xff7fffff
	v_lshlrev_b32_e32 v5, 2, v13
	s_barrier
	s_and_saveexec_b64 s[4:5], s[2:3]
; %bb.312:
	ds_read_b32 v9, v5 offset:384
; %bb.313:
	s_or_b64 exec, exec, s[4:5]
	v_xor_b32_e32 v10, 1, v0
	v_cmp_lt_i32_e64 s[4:5], v10, v1
	v_cndmask_b32_e64 v10, v0, v10, s[4:5]
	v_lshlrev_b32_e32 v15, 2, v10
	s_waitcnt lgkmcnt(0)
	ds_bpermute_b32 v10, v15, v9
	v_max_f32_e32 v9, v9, v9
	v_lshlrev_b32_e32 v8, 2, v8
	s_lshl_b32 s4, s47, 4
	s_min_i32 s37, s4, s33
	s_waitcnt lgkmcnt(0)
	v_max_f32_e32 v10, v10, v10
	v_max_f32_e32 v9, v9, v10
	ds_bpermute_b32 v9, v8, v9
	buffer_load_dword v8, off, s[56:59], 0 offset:224 ; 4-byte Folded Reload
	s_waitcnt vmcnt(0)
	v_cmp_gt_i32_e64 s[4:5], s37, v8
	v_mov_b32_e32 v8, 0
	s_and_saveexec_b64 s[12:13], s[4:5]
	s_cbranch_execz .LBB299_317
; %bb.314:
	buffer_load_dword v11, off, s[56:59], 0 offset:224 ; 4-byte Folded Reload
	v_mov_b32_e32 v8, 0x190
	s_mov_b64 s[18:19], 0
	s_waitcnt vmcnt(0)
	v_lshl_add_u32 v10, v11, 2, v8
	v_mov_b32_e32 v8, 0
.LBB299_315:                            ; =>This Inner Loop Header: Depth=1
	ds_read_b32 v12, v10
	v_add_u32_e32 v11, 0x80, v11
	v_cmp_le_i32_e64 s[6:7], s37, v11
	s_or_b64 s[18:19], s[6:7], s[18:19]
	s_waitcnt lgkmcnt(0)
	v_sub_f32_e32 v12, v12, v9
	v_mul_f32_e32 v12, 0x3fb8aa3b, v12
	v_exp_f32_e32 v12, v12
	ds_write_b32 v10, v12
	v_add_f32_e32 v8, v8, v12
	v_add_u32_e32 v10, 0x200, v10
	s_andn2_b64 exec, exec, s[18:19]
	s_cbranch_execnz .LBB299_315
; %bb.316:
	s_or_b64 exec, exec, s[18:19]
.LBB299_317:
	s_or_b64 exec, exec, s[12:13]
	ds_bpermute_b32 v2, v2, v8
	s_waitcnt lgkmcnt(0)
	v_add_f32_e32 v2, v8, v2
	ds_bpermute_b32 v3, v3, v2
	s_waitcnt lgkmcnt(0)
	v_add_f32_e32 v2, v2, v3
	ds_bpermute_b32 v3, v6, v2
	v_xor_b32_e32 v6, 2, v0
	v_cmp_lt_i32_e64 s[6:7], v6, v1
	v_cndmask_b32_e64 v1, v0, v6, s[6:7]
	v_lshlrev_b32_e32 v1, 2, v1
	s_waitcnt lgkmcnt(0)
	v_add_f32_e32 v2, v2, v3
	ds_bpermute_b32 v3, v7, v2
	s_waitcnt lgkmcnt(0)
	v_add_f32_e32 v2, v2, v3
	ds_bpermute_b32 v1, v1, v2
	;; [unrolled: 3-line block ×3, first 2 shown]
	s_waitcnt lgkmcnt(0)
	v_add_f32_e32 v1, v1, v2
	s_and_saveexec_b64 s[6:7], vcc
; %bb.318:
	ds_write_b32 v4, v1 offset:392
; %bb.319:
	s_or_b64 exec, exec, s[6:7]
	s_waitcnt lgkmcnt(0)
	s_barrier
	s_and_saveexec_b64 s[6:7], s[2:3]
; %bb.320:
	ds_read_b32 v1, v5 offset:392
; %bb.321:
	s_or_b64 exec, exec, s[6:7]
	s_waitcnt lgkmcnt(0)
	ds_bpermute_b32 v2, v15, v1
	v_lshlrev_b32_e32 v0, 2, v0
	v_and_b32_e32 v0, 0x100, v0
	s_waitcnt lgkmcnt(0)
	v_add_f32_e32 v1, v1, v2
	ds_bpermute_b32 v0, v0, v1
	s_and_saveexec_b64 s[2:3], s[4:5]
	s_cbranch_execz .LBB299_324
; %bb.322:
	s_waitcnt lgkmcnt(0)
	v_add_f32_e32 v1, 0x358637bd, v0
	v_div_scale_f32 v0, s[4:5], v1, v1, 1.0
	v_div_scale_f32 v2, vcc, 1.0, v1, 1.0
	s_mov_b64 s[4:5], 0
	v_rcp_f32_e32 v3, v0
	v_fma_f32 v4, -v0, v3, 1.0
	v_fmac_f32_e32 v3, v4, v3
	v_mul_f32_e32 v4, v2, v3
	v_fma_f32 v5, -v0, v4, v2
	v_fmac_f32_e32 v4, v5, v3
	v_fma_f32 v0, -v0, v4, v2
	v_div_fmas_f32 v2, v0, v3, v4
	buffer_load_dword v3, off, s[56:59], 0 offset:224 ; 4-byte Folded Reload
	v_mov_b32_e32 v0, 0x190
	v_div_fixup_f32 v1, v2, v1, 1.0
	s_waitcnt vmcnt(0)
	v_lshl_add_u32 v0, v3, 2, v0
	v_mov_b32_e32 v2, v3
.LBB299_323:                            ; =>This Inner Loop Header: Depth=1
	ds_read_b32 v3, v0
	v_add_u32_e32 v2, 0x80, v2
	v_cmp_le_i32_e32 vcc, s37, v2
	s_or_b64 s[4:5], vcc, s[4:5]
	s_waitcnt lgkmcnt(0)
	v_mul_f32_e32 v3, v1, v3
	ds_write_b32 v0, v3
	v_add_u32_e32 v0, 0x200, v0
	s_andn2_b64 exec, exec, s[4:5]
	s_cbranch_execnz .LBB299_323
.LBB299_324:
	s_or_b64 exec, exec, s[2:3]
	s_waitcnt lgkmcnt(0)
	v_mov_b32_e32 v0, 0
	s_barrier
	buffer_store_dword v0, off, s[56:59], 0 offset:104 ; 4-byte Folded Spill
	buffer_load_dword v0, off, s[56:59], 0 offset:224 ; 4-byte Folded Reload
	v_mov_b32_e32 v54, 0
	v_mov_b32_e32 v53, 0
	s_waitcnt vmcnt(0)
	v_and_b32_e32 v8, 1, v0
	v_mov_b32_e32 v0, 0
	buffer_store_dword v0, off, s[56:59], 0 offset:100 ; 4-byte Folded Spill
	v_mov_b32_e32 v0, 0
	buffer_store_dword v0, off, s[56:59], 0 offset:80 ; 4-byte Folded Spill
	;; [unrolled: 2-line block ×3, first 2 shown]
	s_and_saveexec_b64 s[2:3], s[0:1]
	s_cbranch_execz .LBB299_630
; %bb.325:
	buffer_store_dword v15, off, s[56:59], 0 offset:148 ; 4-byte Folded Spill
	buffer_store_dword v13, off, s[56:59], 0 offset:144 ; 4-byte Folded Spill
	buffer_load_dword v1, off, s[56:59], 0 offset:224 ; 4-byte Folded Reload
	s_sub_i32 s37, s16, s21
	s_ashr_i32 s0, s20, 31
	s_add_u32 s1, s34, s20
	s_addc_u32 s0, s35, s0
	s_abs_i32 s22, s22
	v_cvt_f32_u32_e32 v0, s22
	s_sub_i32 s6, 0, s22
	s_add_i32 s35, s47, -1
	v_mov_b32_e32 v3, s0
	v_rcp_iflag_f32_e32 v0, v0
	s_mov_b32 s4, -1
	s_mov_b32 s34, s17
	s_mov_b32 s5, 0xffffff
	v_mul_f32_e32 v0, 0x4f7ffffe, v0
	v_cvt_u32_f32_e32 v0, v0
	v_mov_b32_e32 v10, 0
	v_bfrev_b32_e32 v55, 60
	v_mov_b32_e32 v53, 0
	v_mov_b32_e32 v54, 0
	s_waitcnt vmcnt(0)
	v_lshlrev_b32_e32 v1, 3, v1
	v_and_b32_e32 v2, 8, v1
	buffer_store_dword v2, off, s[56:59], 0 offset:140 ; 4-byte Folded Spill
	v_mul_lo_u32 v2, s6, v0
	v_and_b32_e32 v1, 0x1f8, v1
	v_add_co_u32_e32 v4, vcc, s1, v1
	v_mul_hi_u32 v2, v0, v2
	s_lshl_b64 s[0:1], s[30:31], 2
	v_addc_co_u32_e32 v5, vcc, 0, v3, vcc
	v_add_u32_e32 v0, v0, v2
	s_add_u32 s0, s28, s0
	buffer_store_dword v4, off, s[56:59], 0 offset:132 ; 4-byte Folded Spill
	s_nop 0
	buffer_store_dword v5, off, s[56:59], 0 offset:136 ; 4-byte Folded Spill
	buffer_store_dword v0, off, s[56:59], 0 offset:108 ; 4-byte Folded Spill
	v_and_b32_e32 v0, 60, v14
	s_addc_u32 s1, s29, s1
	v_mov_b32_e32 v1, s1
	v_add_co_u32_e32 v13, vcc, s0, v0
	v_addc_co_u32_e32 v14, vcc, 0, v1, vcc
	buffer_load_dword v1, off, s[56:59], 0  ; 4-byte Folded Reload
	buffer_load_dword v3, off, s[56:59], 0 offset:4 ; 4-byte Folded Reload
	v_lshlrev_b32_e32 v0, 5, v8
	s_mov_b64 s[6:7], 0
	s_movk_i32 s28, 0x80
	s_movk_i32 s29, 0x7f
	;; [unrolled: 1-line block ×3, first 2 shown]
	buffer_store_dword v8, off, s[56:59], 0 offset:152 ; 4-byte Folded Spill
	s_waitcnt vmcnt(2)
	v_lshl_or_b32 v0, v1, 6, v0
	v_add_u32_e32 v31, 0x190, v0
	v_mov_b32_e32 v0, 0
	buffer_store_dword v0, off, s[56:59], 0 offset:96 ; 4-byte Folded Spill
	v_mov_b32_e32 v0, 0
	buffer_store_dword v0, off, s[56:59], 0 offset:80 ; 4-byte Folded Spill
	;; [unrolled: 2-line block ×4, first 2 shown]
	s_branch .LBB299_328
.LBB299_326:                            ;   in Loop: Header=BB299_328 Depth=1
	s_or_b64 exec, exec, s[0:1]
	buffer_load_dword v0, off, s[56:59], 0 offset:96 ; 4-byte Folded Reload
	v_bfe_u32 v33, v5, 16, 1
	v_add3_u32 v33, v33, v5, s30
	v_or_b32_e32 v34, 0x400000, v5
	v_cmp_u_f32_e32 vcc, v5, v5
	v_bfe_u32 v5, v6, 16, 1
	v_cndmask_b32_e32 v41, v33, v34, vcc
	v_add3_u32 v5, v5, v6, s30
	v_or_b32_e32 v33, 0x400000, v6
	v_cmp_u_f32_e32 vcc, v6, v6
	v_cndmask_b32_e32 v42, v5, v33, vcc
	v_bfe_u32 v5, v7, 16, 1
	v_add3_u32 v5, v5, v7, s30
	v_or_b32_e32 v6, 0x400000, v7
	v_cmp_u_f32_e32 vcc, v7, v7
	v_cndmask_b32_e32 v5, v5, v6, vcc
	v_bfe_u32 v6, v8, 16, 1
	;; [unrolled: 5-line block ×3, first 2 shown]
	v_add3_u32 v7, v7, v1, s30
	v_or_b32_e32 v8, 0x400000, v1
	v_cmp_u_f32_e32 vcc, v1, v1
	v_bfe_u32 v1, v2, 16, 1
	v_cndmask_b32_e32 v7, v7, v8, vcc
	v_add3_u32 v1, v1, v2, s30
	v_or_b32_e32 v8, 0x400000, v2
	v_cmp_u_f32_e32 vcc, v2, v2
	v_cndmask_b32_e32 v33, v1, v8, vcc
	v_bfe_u32 v1, v3, 16, 1
	v_add3_u32 v1, v1, v3, s30
	v_or_b32_e32 v2, 0x400000, v3
	v_cmp_u_f32_e32 vcc, v3, v3
	v_cndmask_b32_e32 v8, v1, v2, vcc
	v_bfe_u32 v1, v4, 16, 1
	v_add3_u32 v1, v1, v4, s30
	v_or_b32_e32 v2, 0x400000, v4
	v_cmp_u_f32_e32 vcc, v4, v4
	v_cndmask_b32_e32 v34, v1, v2, vcc
	v_and_b32_e32 v1, 0xffff0000, v42
	v_lshlrev_b32_e32 v2, 16, v36
	v_mul_f32_e32 v2, v1, v2
	v_bfe_u32 v3, v2, 16, 1
	v_add3_u32 v3, v3, v2, s30
	v_or_b32_e32 v4, 0x400000, v2
	v_cmp_u_f32_e32 vcc, v2, v2
	v_cndmask_b32_e32 v36, v3, v4, vcc
	v_and_b32_e32 v4, 0xffff0000, v41
	v_lshlrev_b32_e32 v2, 16, v35
	v_mul_f32_e32 v2, v4, v2
	;; [unrolled: 8-line block ×5, first 2 shown]
	v_bfe_u32 v19, v5, 16, 1
	v_add3_u32 v19, v19, v5, s30
	v_or_b32_e32 v33, 0x400000, v5
	v_cmp_u_f32_e32 vcc, v5, v5
	v_and_b32_e32 v7, 0xffff0000, v7
	v_lshlrev_b32_e32 v5, 16, v18
	v_mul_f32_e32 v5, v7, v5
	v_bfe_u32 v18, v5, 16, 1
	v_cndmask_b32_e32 v19, v19, v33, vcc
	v_add3_u32 v18, v18, v5, s30
	v_or_b32_e32 v33, 0x400000, v5
	v_cmp_u_f32_e32 vcc, v5, v5
	v_and_b32_e32 v5, 0xffff0000, v34
	v_lshlrev_b32_e32 v28, 16, v28
	v_mul_f32_e32 v28, v5, v28
	v_cndmask_b32_e32 v18, v18, v33, vcc
	v_bfe_u32 v33, v28, 16, 1
	v_and_b32_e32 v8, 0xffff0000, v8
	v_lshlrev_b32_e32 v26, 16, v26
	v_add3_u32 v33, v33, v28, s30
	v_or_b32_e32 v34, 0x400000, v28
	v_cmp_u_f32_e32 vcc, v28, v28
	v_mul_f32_e32 v26, v8, v26
	v_cndmask_b32_e32 v28, v33, v34, vcc
	v_bfe_u32 v33, v26, 16, 1
	v_add3_u32 v33, v33, v26, s30
	v_or_b32_e32 v34, 0x400000, v26
	v_cmp_u_f32_e32 vcc, v26, v26
	v_cndmask_b32_e32 v26, v33, v34, vcc
	v_and_b32_e32 v33, 0xffff0000, v35
	v_and_b32_e32 v34, 0xffff0000, v36
	;; [unrolled: 1-line block ×4, first 2 shown]
	v_add_f32_e32 v33, v33, v34
	v_add_f32_e32 v27, v27, v32
	v_and_b32_e32 v18, 0xffff0000, v18
	v_and_b32_e32 v19, 0xffff0000, v19
	v_add_f32_e32 v27, v27, v33
	v_add_f32_e32 v18, v18, v19
	v_and_b32_e32 v19, 0xffff0000, v26
	v_and_b32_e32 v26, 0xffff0000, v28
	v_add_f32_e32 v18, v18, v27
	v_add_f32_e32 v19, v19, v26
	;; [unrolled: 1-line block ×3, first 2 shown]
	s_waitcnt vmcnt(0)
	v_add_f32_e32 v0, v0, v18
	buffer_store_dword v0, off, s[56:59], 0 offset:96 ; 4-byte Folded Spill
	buffer_load_dword v0, off, s[56:59], 0 offset:80 ; 4-byte Folded Reload
	v_lshlrev_b32_e32 v18, 16, v25
	v_mul_f32_e32 v18, v1, v18
	v_bfe_u32 v19, v18, 16, 1
	v_add3_u32 v19, v19, v18, s30
	v_or_b32_e32 v25, 0x400000, v18
	v_cmp_u_f32_e32 vcc, v18, v18
	v_cndmask_b32_e32 v18, v19, v25, vcc
	v_lshlrev_b32_e32 v19, 16, v24
	v_mul_f32_e32 v19, v4, v19
	v_bfe_u32 v24, v19, 16, 1
	v_add3_u32 v24, v24, v19, s30
	v_or_b32_e32 v25, 0x400000, v19
	v_cmp_u_f32_e32 vcc, v19, v19
	v_cndmask_b32_e32 v19, v24, v25, vcc
	v_lshlrev_b32_e32 v24, 16, v30
	v_mul_f32_e32 v24, v2, v24
	v_bfe_u32 v25, v24, 16, 1
	v_lshlrev_b32_e32 v12, 16, v12
	v_add3_u32 v25, v25, v24, s30
	v_or_b32_e32 v26, 0x400000, v24
	v_cmp_u_f32_e32 vcc, v24, v24
	v_mul_f32_e32 v12, v6, v12
	v_cndmask_b32_e32 v24, v25, v26, vcc
	v_bfe_u32 v25, v12, 16, 1
	v_lshlrev_b32_e32 v21, 16, v21
	v_add3_u32 v25, v25, v12, s30
	v_or_b32_e32 v26, 0x400000, v12
	v_cmp_u_f32_e32 vcc, v12, v12
	v_mul_f32_e32 v21, v3, v21
	v_cndmask_b32_e32 v12, v25, v26, vcc
	v_bfe_u32 v25, v21, 16, 1
	v_add3_u32 v25, v25, v21, s30
	v_or_b32_e32 v26, 0x400000, v21
	v_cmp_u_f32_e32 vcc, v21, v21
	v_cndmask_b32_e32 v21, v25, v26, vcc
	v_lshlrev_b32_e32 v25, 16, v29
	v_mul_f32_e32 v25, v7, v25
	v_bfe_u32 v26, v25, 16, 1
	v_lshlrev_b32_e32 v23, 16, v23
	v_add3_u32 v26, v26, v25, s30
	v_or_b32_e32 v27, 0x400000, v25
	v_cmp_u_f32_e32 vcc, v25, v25
	v_mul_f32_e32 v23, v5, v23
	v_cndmask_b32_e32 v25, v26, v27, vcc
	v_bfe_u32 v26, v23, 16, 1
	v_lshlrev_b32_e32 v11, 16, v11
	v_and_b32_e32 v19, 0xffff0000, v19
	v_and_b32_e32 v18, 0xffff0000, v18
	v_add3_u32 v26, v26, v23, s30
	v_or_b32_e32 v27, 0x400000, v23
	v_cmp_u_f32_e32 vcc, v23, v23
	v_mul_f32_e32 v11, v8, v11
	v_add_f32_e32 v18, v19, v18
	v_and_b32_e32 v12, 0xffff0000, v12
	v_and_b32_e32 v19, 0xffff0000, v24
	v_cndmask_b32_e32 v23, v26, v27, vcc
	v_bfe_u32 v26, v11, 16, 1
	v_add_f32_e32 v12, v12, v19
	v_add3_u32 v26, v26, v11, s30
	v_or_b32_e32 v27, 0x400000, v11
	v_cmp_u_f32_e32 vcc, v11, v11
	v_add_f32_e32 v12, v12, v18
	v_and_b32_e32 v18, 0xffff0000, v25
	v_and_b32_e32 v19, 0xffff0000, v21
	v_cndmask_b32_e32 v11, v26, v27, vcc
	v_add_f32_e32 v18, v18, v19
	v_add_f32_e32 v12, v18, v12
	v_and_b32_e32 v11, 0xffff0000, v11
	v_and_b32_e32 v18, 0xffff0000, v23
	v_add_f32_e32 v11, v11, v18
	v_add_f32_e32 v11, v11, v12
	s_waitcnt vmcnt(0)
	v_add_f32_e32 v0, v0, v11
	v_lshlrev_b32_e32 v11, 16, v57
	v_mul_f32_e32 v11, v1, v11
	v_bfe_u32 v12, v11, 16, 1
	v_add3_u32 v12, v12, v11, s30
	v_or_b32_e32 v18, 0x400000, v11
	v_cmp_u_f32_e32 vcc, v11, v11
	v_cndmask_b32_e32 v11, v12, v18, vcc
	v_lshlrev_b32_e32 v12, 16, v58
	v_mul_f32_e32 v12, v4, v12
	v_bfe_u32 v18, v12, 16, 1
	v_add3_u32 v18, v18, v12, s30
	v_or_b32_e32 v19, 0x400000, v12
	v_cmp_u_f32_e32 vcc, v12, v12
	v_cndmask_b32_e32 v12, v18, v19, vcc
	;; [unrolled: 7-line block ×3, first 2 shown]
	v_lshlrev_b32_e32 v19, 16, v61
	v_mul_f32_e32 v19, v6, v19
	buffer_store_dword v0, off, s[56:59], 0 offset:80 ; 4-byte Folded Spill
	v_bfe_u32 v20, v19, 16, 1
	v_lshlrev_b32_e32 v0, 16, v22
	v_add3_u32 v20, v20, v19, s30
	v_or_b32_e32 v21, 0x400000, v19
	v_cmp_u_f32_e32 vcc, v19, v19
	v_mul_f32_e32 v0, v3, v0
	v_cndmask_b32_e32 v19, v20, v21, vcc
	v_bfe_u32 v20, v0, 16, 1
	v_add3_u32 v20, v20, v0, s30
	v_or_b32_e32 v21, 0x400000, v0
	v_cmp_u_f32_e32 vcc, v0, v0
	v_cndmask_b32_e32 v0, v20, v21, vcc
	buffer_load_dword v20, off, s[56:59], 0 offset:76 ; 4-byte Folded Reload
	v_and_b32_e32 v12, 0xffff0000, v12
	v_and_b32_e32 v11, 0xffff0000, v11
	v_add_f32_e32 v11, v12, v11
	v_and_b32_e32 v12, 0xffff0000, v19
	v_and_b32_e32 v18, 0xffff0000, v18
	v_add_f32_e32 v12, v12, v18
	v_add_f32_e32 v11, v12, v11
	v_and_b32_e32 v0, 0xffff0000, v0
	s_waitcnt vmcnt(0)
	v_lshlrev_b32_e32 v20, 16, v20
	v_mul_f32_e32 v20, v7, v20
	v_bfe_u32 v21, v20, 16, 1
	v_add3_u32 v21, v21, v20, s30
	v_or_b32_e32 v22, 0x400000, v20
	v_cmp_u_f32_e32 vcc, v20, v20
	v_cndmask_b32_e32 v20, v21, v22, vcc
	v_lshlrev_b32_e32 v21, 16, v56
	v_mul_f32_e32 v21, v5, v21
	v_bfe_u32 v22, v21, 16, 1
	v_add3_u32 v22, v22, v21, s30
	v_or_b32_e32 v23, 0x400000, v21
	v_cmp_u_f32_e32 vcc, v21, v21
	v_cndmask_b32_e32 v21, v22, v23, vcc
	v_lshlrev_b32_e32 v22, 16, v59
	v_mul_f32_e32 v22, v8, v22
	v_bfe_u32 v23, v22, 16, 1
	v_add3_u32 v23, v23, v22, s30
	v_or_b32_e32 v24, 0x400000, v22
	v_cmp_u_f32_e32 vcc, v22, v22
	v_and_b32_e32 v12, 0xffff0000, v20
	v_cndmask_b32_e32 v22, v23, v24, vcc
	v_add_f32_e32 v0, v12, v0
	v_add_f32_e32 v0, v0, v11
	v_and_b32_e32 v11, 0xffff0000, v22
	v_and_b32_e32 v12, 0xffff0000, v21
	v_add_f32_e32 v11, v11, v12
	v_add_f32_e32 v0, v11, v0
	buffer_load_dword v11, off, s[56:59], 0 offset:100 ; 4-byte Folded Reload
	s_waitcnt vmcnt(0)
	v_add_f32_e32 v11, v11, v0
	buffer_load_dword v0, off, s[56:59], 0 offset:68 ; 4-byte Folded Reload
	s_waitcnt vmcnt(0)
	v_lshlrev_b32_e32 v0, 16, v0
	v_mul_f32_e32 v0, v1, v0
	buffer_store_dword v11, off, s[56:59], 0 offset:100 ; 4-byte Folded Spill
	v_bfe_u32 v11, v0, 16, 1
	v_add3_u32 v11, v11, v0, s30
	v_or_b32_e32 v12, 0x400000, v0
	v_cmp_u_f32_e32 vcc, v0, v0
	v_cndmask_b32_e32 v0, v11, v12, vcc
	buffer_load_dword v11, off, s[56:59], 0 offset:72 ; 4-byte Folded Reload
	v_and_b32_e32 v0, 0xffff0000, v0
	s_waitcnt vmcnt(0)
	v_lshlrev_b32_e32 v11, 16, v11
	v_mul_f32_e32 v11, v4, v11
	v_bfe_u32 v12, v11, 16, 1
	v_add3_u32 v12, v12, v11, s30
	v_or_b32_e32 v18, 0x400000, v11
	v_cmp_u_f32_e32 vcc, v11, v11
	v_cndmask_b32_e32 v11, v12, v18, vcc
	buffer_load_dword v12, off, s[56:59], 0 offset:20 ; 4-byte Folded Reload
	v_and_b32_e32 v11, 0xffff0000, v11
	v_add_f32_e32 v0, v11, v0
	s_waitcnt vmcnt(0)
	v_lshlrev_b32_e32 v12, 16, v12
	v_mul_f32_e32 v12, v2, v12
	v_bfe_u32 v18, v12, 16, 1
	v_add3_u32 v18, v18, v12, s30
	v_or_b32_e32 v19, 0x400000, v12
	v_cmp_u_f32_e32 vcc, v12, v12
	v_cndmask_b32_e32 v12, v18, v19, vcc
	buffer_load_dword v18, off, s[56:59], 0 offset:36 ; 4-byte Folded Reload
	v_and_b32_e32 v12, 0xffff0000, v12
	s_waitcnt vmcnt(0)
	v_lshlrev_b32_e32 v18, 16, v18
	v_mul_f32_e32 v18, v6, v18
	v_bfe_u32 v19, v18, 16, 1
	v_add3_u32 v19, v19, v18, s30
	v_or_b32_e32 v20, 0x400000, v18
	v_cmp_u_f32_e32 vcc, v18, v18
	v_cndmask_b32_e32 v18, v19, v20, vcc
	buffer_load_dword v19, off, s[56:59], 0 offset:8 ; 4-byte Folded Reload
	v_and_b32_e32 v11, 0xffff0000, v18
	v_add_f32_e32 v11, v11, v12
	v_add_f32_e32 v0, v11, v0
	s_waitcnt vmcnt(0)
	v_lshlrev_b32_e32 v19, 16, v19
	v_mul_f32_e32 v19, v3, v19
	v_bfe_u32 v20, v19, 16, 1
	v_add3_u32 v20, v20, v19, s30
	v_or_b32_e32 v21, 0x400000, v19
	v_cmp_u_f32_e32 vcc, v19, v19
	v_cndmask_b32_e32 v19, v20, v21, vcc
	buffer_load_dword v20, off, s[56:59], 0 offset:12 ; 4-byte Folded Reload
	v_and_b32_e32 v12, 0xffff0000, v19
	s_waitcnt vmcnt(0)
	v_lshlrev_b32_e32 v20, 16, v20
	v_mul_f32_e32 v20, v7, v20
	v_bfe_u32 v21, v20, 16, 1
	v_add3_u32 v21, v21, v20, s30
	v_or_b32_e32 v22, 0x400000, v20
	v_cmp_u_f32_e32 vcc, v20, v20
	v_cndmask_b32_e32 v20, v21, v22, vcc
	buffer_load_dword v21, off, s[56:59], 0 offset:52 ; 4-byte Folded Reload
	v_and_b32_e32 v11, 0xffff0000, v20
	v_add_f32_e32 v11, v11, v12
	v_add_f32_e32 v0, v11, v0
	s_waitcnt vmcnt(0)
	v_lshlrev_b32_e32 v21, 16, v21
	v_mul_f32_e32 v21, v5, v21
	v_bfe_u32 v22, v21, 16, 1
	v_add3_u32 v22, v22, v21, s30
	v_or_b32_e32 v23, 0x400000, v21
	v_cmp_u_f32_e32 vcc, v21, v21
	v_cndmask_b32_e32 v21, v22, v23, vcc
	buffer_load_dword v22, off, s[56:59], 0 offset:16 ; 4-byte Folded Reload
	v_and_b32_e32 v12, 0xffff0000, v21
	s_waitcnt vmcnt(0)
	v_lshlrev_b32_e32 v22, 16, v22
	v_mul_f32_e32 v22, v8, v22
	v_bfe_u32 v23, v22, 16, 1
	v_add3_u32 v23, v23, v22, s30
	v_or_b32_e32 v24, 0x400000, v22
	v_cmp_u_f32_e32 vcc, v22, v22
	v_cndmask_b32_e32 v22, v23, v24, vcc
	v_and_b32_e32 v11, 0xffff0000, v22
	v_add_f32_e32 v11, v11, v12
	v_add_f32_e32 v0, v11, v0
	;; [unrolled: 1-line block ×3, first 2 shown]
	v_lshlrev_b32_e32 v0, 16, v48
	v_mul_f32_e32 v0, v1, v0
	v_bfe_u32 v11, v0, 16, 1
	v_add3_u32 v11, v11, v0, s30
	v_or_b32_e32 v12, 0x400000, v0
	v_cmp_u_f32_e32 vcc, v0, v0
	v_cndmask_b32_e32 v0, v11, v12, vcc
	v_lshlrev_b32_e32 v11, 16, v49
	v_mul_f32_e32 v11, v4, v11
	v_bfe_u32 v12, v11, 16, 1
	v_add3_u32 v12, v12, v11, s30
	v_or_b32_e32 v18, 0x400000, v11
	v_cmp_u_f32_e32 vcc, v11, v11
	v_cndmask_b32_e32 v11, v12, v18, vcc
	;; [unrolled: 7-line block ×7, first 2 shown]
	v_lshlrev_b32_e32 v22, 16, v44
	v_and_b32_e32 v11, 0xffff0000, v11
	v_and_b32_e32 v0, 0xffff0000, v0
	v_mul_f32_e32 v22, v8, v22
	v_add_f32_e32 v0, v11, v0
	v_and_b32_e32 v11, 0xffff0000, v18
	v_and_b32_e32 v12, 0xffff0000, v12
	v_bfe_u32 v23, v22, 16, 1
	v_add_f32_e32 v11, v11, v12
	v_add3_u32 v23, v23, v22, s30
	v_or_b32_e32 v24, 0x400000, v22
	v_cmp_u_f32_e32 vcc, v22, v22
	v_add_f32_e32 v0, v11, v0
	v_and_b32_e32 v11, 0xffff0000, v20
	v_and_b32_e32 v12, 0xffff0000, v19
	v_cndmask_b32_e32 v22, v23, v24, vcc
	v_add_f32_e32 v11, v11, v12
	v_add_f32_e32 v0, v11, v0
	v_and_b32_e32 v11, 0xffff0000, v22
	v_and_b32_e32 v12, 0xffff0000, v21
	v_add_f32_e32 v11, v11, v12
	v_add_f32_e32 v0, v11, v0
	buffer_load_dword v11, off, s[56:59], 0 offset:104 ; 4-byte Folded Reload
	s_waitcnt vmcnt(0)
	v_add_f32_e32 v11, v11, v0
	v_lshlrev_b32_e32 v0, 16, v40
	v_mul_f32_e32 v0, v4, v0
	v_bfe_u32 v4, v0, 16, 1
	buffer_store_dword v11, off, s[56:59], 0 offset:104 ; 4-byte Folded Spill
	v_add3_u32 v4, v4, v0, s30
	v_or_b32_e32 v11, 0x400000, v0
	v_cmp_u_f32_e32 vcc, v0, v0
	v_cndmask_b32_e32 v0, v4, v11, vcc
	v_lshlrev_b32_e32 v4, 16, v39
	v_mul_f32_e32 v1, v1, v4
	v_bfe_u32 v4, v1, 16, 1
	v_add3_u32 v4, v4, v1, s30
	v_or_b32_e32 v11, 0x400000, v1
	v_cmp_u_f32_e32 vcc, v1, v1
	v_cndmask_b32_e32 v1, v4, v11, vcc
	v_lshlrev_b32_e32 v4, 16, v38
	v_mul_f32_e32 v4, v6, v4
	v_bfe_u32 v6, v4, 16, 1
	;; [unrolled: 7-line block ×6, first 2 shown]
	v_add3_u32 v8, v8, v7, s30
	v_or_b32_e32 v9, 0x400000, v7
	v_cmp_u_f32_e32 vcc, v7, v7
	v_cndmask_b32_e32 v7, v8, v9, vcc
	v_lshlrev_b32_e32 v8, 16, v37
	v_and_b32_e32 v1, 0xffff0000, v1
	v_and_b32_e32 v0, 0xffff0000, v0
	v_mul_f32_e32 v5, v5, v8
	v_add_f32_e32 v0, v0, v1
	v_and_b32_e32 v1, 0xffff0000, v2
	v_and_b32_e32 v2, 0xffff0000, v4
	v_bfe_u32 v8, v5, 16, 1
	v_add_f32_e32 v1, v2, v1
	v_add3_u32 v8, v8, v5, s30
	v_or_b32_e32 v9, 0x400000, v5
	v_cmp_u_f32_e32 vcc, v5, v5
	v_add_f32_e32 v0, v1, v0
	v_and_b32_e32 v1, 0xffff0000, v3
	v_and_b32_e32 v2, 0xffff0000, v6
	v_cndmask_b32_e32 v5, v8, v9, vcc
	v_add_f32_e32 v1, v2, v1
	v_add_f32_e32 v0, v1, v0
	v_and_b32_e32 v1, 0xffff0000, v5
	v_and_b32_e32 v2, 0xffff0000, v7
	v_add_f32_e32 v1, v2, v1
	v_add_f32_e32 v0, v1, v0
	;; [unrolled: 1-line block ×3, first 2 shown]
.LBB299_327:                            ;   in Loop: Header=BB299_328 Depth=1
	s_or_b64 exec, exec, s[12:13]
	buffer_load_dword v0, off, s[56:59], 0  ; 4-byte Folded Reload
	buffer_load_dword v3, off, s[56:59], 0 offset:4 ; 4-byte Folded Reload
	v_add_co_u32_e32 v13, vcc, 8, v13
	v_addc_co_u32_e32 v14, vcc, 0, v14, vcc
	v_add_u32_e32 v31, 0x80, v31
	s_waitcnt vmcnt(1)
	v_add_u32_e32 v0, 2, v0
	v_cmp_le_i32_e32 vcc, s47, v0
	s_waitcnt vmcnt(0)
	v_add_u32_e32 v3, 32, v3
	s_or_b64 s[6:7], vcc, s[6:7]
	buffer_store_dword v0, off, s[56:59], 0 ; 4-byte Folded Spill
	s_andn2_b64 exec, exec, s[6:7]
	s_cbranch_execz .LBB299_629
.LBB299_328:                            ; =>This Inner Loop Header: Depth=1
	s_waitcnt vmcnt(5)
	v_mul_hi_u32 v0, v3, s46
	buffer_store_dword v3, off, s[56:59], 0 offset:4 ; 4-byte Folded Spill
	v_mul_lo_u32 v1, v0, s25
	v_add_u32_e32 v2, 1, v0
	v_sub_u32_e32 v1, v3, v1
	buffer_load_dword v3, off, s[56:59], 0 offset:108 ; 4-byte Folded Reload
	v_cmp_le_u32_e32 vcc, s25, v1
	v_cndmask_b32_e32 v0, v0, v2, vcc
	v_subrev_u32_e32 v2, s25, v1
	v_cndmask_b32_e32 v1, v1, v2, vcc
	v_add_u32_e32 v2, 1, v0
	v_cmp_le_u32_e32 vcc, s25, v1
	v_cndmask_b32_e32 v0, v0, v2, vcc
	v_xor_b32_e32 v0, s23, v0
	v_subrev_u32_e32 v0, s23, v0
	v_add_u32_e32 v1, s36, v0
	v_sub_u32_e32 v2, 0, v1
	v_max_i32_e32 v2, v1, v2
	v_ashrrev_i32_e32 v1, 31, v1
	v_cmp_lt_i32_e64 s[0:1], s37, v0
	s_waitcnt vmcnt(0)
	v_mul_hi_u32 v3, v2, v3
	v_mul_lo_u32 v3, v3, s22
	v_sub_u32_e32 v2, v2, v3
	v_subrev_u32_e32 v3, s22, v2
	v_cmp_le_u32_e32 vcc, s22, v2
	v_cndmask_b32_e32 v2, v2, v3, vcc
	v_subrev_u32_e32 v3, s22, v2
	v_cmp_le_u32_e32 vcc, s22, v2
	v_cndmask_b32_e32 v2, v2, v3, vcc
	v_xor_b32_e32 v2, v2, v1
	v_sub_u32_e32 v1, v2, v1
	v_cmp_eq_u32_e32 vcc, 0, v1
	s_or_b64 s[0:1], vcc, s[0:1]
	s_and_saveexec_b64 s[12:13], s[0:1]
	s_cbranch_execz .LBB299_327
; %bb.329:                              ;   in Loop: Header=BB299_328 Depth=1
	global_load_dword v0, v[13:14], off
	buffer_load_dword v1, off, s[56:59], 0 offset:132 ; 4-byte Folded Reload
	buffer_load_dword v2, off, s[56:59], 0 offset:136 ; 4-byte Folded Reload
	v_mov_b32_e32 v11, 0
	s_waitcnt vmcnt(0)
	v_mad_i64_i32 v[15:16], s[0:1], v0, s34, v[1:2]
	v_mov_b32_e32 v0, 0
	global_load_dwordx2 v[17:18], v[15:16], off
	ds_read2_b64 v[5:8], v31 offset1:1
	ds_read2_b64 v[1:4], v31 offset0:2 offset1:3
	s_load_dword s31, s[14:15], 0x0
	s_waitcnt vmcnt(0)
	v_cmp_ne_u16_sdwa s[16:17], v17, v10 src0_sel:BYTE_0 src1_sel:DWORD
	s_and_saveexec_b64 s[0:1], s[16:17]
	s_cbranch_execz .LBB299_335
; %bb.330:                              ;   in Loop: Header=BB299_328 Depth=1
	v_cmp_ne_u16_sdwa s[18:19], v17, s28 src0_sel:BYTE_0 src1_sel:DWORD
	v_bfrev_b32_e32 v0, 1
	s_and_saveexec_b64 s[16:17], s[18:19]
	s_cbranch_execz .LBB299_334
; %bb.331:                              ;   in Loop: Header=BB299_328 Depth=1
	v_and_b32_e32 v9, 0x7f, v17
	v_cmp_ne_u32_e32 vcc, s29, v9
	v_mov_b32_e32 v0, 0x7f800001
	s_and_saveexec_b64 s[18:19], vcc
	s_cbranch_execz .LBB299_333
; %bb.332:                              ;   in Loop: Header=BB299_328 Depth=1
	v_and_b32_e32 v0, 7, v17
	v_ffbh_u32_e32 v0, v0
	v_min_u32_e32 v0, 32, v0
	v_subrev_u32_e32 v19, 28, v0
	v_cmp_gt_u32_e32 vcc, 8, v9
	v_lshrrev_b32_e32 v12, 3, v9
	v_cndmask_b32_e32 v9, 0, v19, vcc
	v_lshlrev_b64 v[19:20], v9, v[17:18]
	v_sub_u32_e32 v0, 29, v0
	v_cndmask_b32_e32 v0, v12, v0, vcc
	v_lshlrev_b32_e32 v9, 20, v19
	v_lshlrev_b32_e32 v12, 24, v17
	v_and_b32_e32 v9, 0x700000, v9
	v_and_b32_e32 v12, 0x80000000, v12
	v_lshl_add_u32 v0, v0, 23, v55
	v_or3_b32 v0, v12, v0, v9
.LBB299_333:                            ;   in Loop: Header=BB299_328 Depth=1
	s_or_b64 exec, exec, s[18:19]
.LBB299_334:                            ;   in Loop: Header=BB299_328 Depth=1
	s_or_b64 exec, exec, s[16:17]
.LBB299_335:                            ;   in Loop: Header=BB299_328 Depth=1
	s_or_b64 exec, exec, s[0:1]
	v_lshrrev_b16_e32 v9, 8, v17
	v_cmp_ne_u16_e32 vcc, 0, v9
	s_and_saveexec_b64 s[0:1], vcc
	s_cbranch_execz .LBB299_341
; %bb.336:                              ;   in Loop: Header=BB299_328 Depth=1
	v_cmp_ne_u16_e32 vcc, s28, v9
	v_bfrev_b32_e32 v11, 1
	s_and_saveexec_b64 s[16:17], vcc
	s_cbranch_execz .LBB299_340
; %bb.337:                              ;   in Loop: Header=BB299_328 Depth=1
	v_and_b32_e32 v12, 0x7f, v9
	v_cmp_ne_u32_e32 vcc, s29, v12
	v_mov_b32_e32 v11, 0x7f800001
	s_and_saveexec_b64 s[18:19], vcc
	s_cbranch_execz .LBB299_339
; %bb.338:                              ;   in Loop: Header=BB299_328 Depth=1
	v_and_b32_e32 v11, 7, v9
	v_ffbh_u32_e32 v19, v11
	v_min_u32_e32 v22, 32, v19
	v_subrev_u32_e32 v19, 28, v22
	v_lshlrev_b64 v[19:20], v19, v[9:10]
	v_lshrrev_b32_e32 v21, 3, v12
	v_sub_u32_e32 v9, 29, v22
	v_and_b32_e32 v19, 7, v19
	v_cmp_gt_u32_e32 vcc, 8, v12
	v_cndmask_b32_e32 v9, v21, v9, vcc
	v_cndmask_b32_e32 v11, v11, v19, vcc
	v_lshlrev_b32_e32 v12, 16, v17
	v_lshlrev_b32_e32 v11, 20, v11
	v_and_b32_e32 v12, 0x80000000, v12
	v_lshl_add_u32 v9, v9, 23, v55
	v_or3_b32 v11, v12, v9, v11
.LBB299_339:                            ;   in Loop: Header=BB299_328 Depth=1
	s_or_b64 exec, exec, s[18:19]
.LBB299_340:                            ;   in Loop: Header=BB299_328 Depth=1
	s_or_b64 exec, exec, s[16:17]
.LBB299_341:                            ;   in Loop: Header=BB299_328 Depth=1
	s_or_b64 exec, exec, s[0:1]
	v_lshrrev_b32_e32 v9, 16, v17
	v_cmp_ne_u16_sdwa s[16:17], v9, v10 src0_sel:BYTE_0 src1_sel:DWORD
	v_mov_b32_e32 v20, 0
	v_mov_b32_e32 v12, 0
	s_and_saveexec_b64 s[0:1], s[16:17]
	s_cbranch_execz .LBB299_347
; %bb.342:                              ;   in Loop: Header=BB299_328 Depth=1
	v_cmp_ne_u16_sdwa s[18:19], v9, s28 src0_sel:BYTE_0 src1_sel:DWORD
	v_bfrev_b32_e32 v12, 1
	s_and_saveexec_b64 s[16:17], s[18:19]
	s_cbranch_execz .LBB299_346
; %bb.343:                              ;   in Loop: Header=BB299_328 Depth=1
	v_bfe_u32 v19, v17, 16, 7
	v_cmp_ne_u32_e32 vcc, s29, v19
	v_mov_b32_e32 v12, 0x7f800001
	s_and_saveexec_b64 s[18:19], vcc
	s_cbranch_execz .LBB299_345
; %bb.344:                              ;   in Loop: Header=BB299_328 Depth=1
	v_and_b32_e32 v12, 7, v9
	v_ffbh_u32_e32 v21, v12
	v_min_u32_e32 v24, 32, v21
	v_subrev_u32_e32 v21, 28, v24
	v_lshlrev_b64 v[21:22], v21, v[9:10]
	v_lshrrev_b32_e32 v23, 3, v19
	v_sub_u32_e32 v22, 29, v24
	v_and_b32_e32 v21, 7, v21
	v_cmp_gt_u32_e32 vcc, 8, v19
	v_cndmask_b32_e32 v19, v23, v22, vcc
	v_cndmask_b32_e32 v12, v12, v21, vcc
	v_lshlrev_b32_e32 v9, 24, v9
	v_lshlrev_b32_e32 v12, 20, v12
	v_and_b32_e32 v9, 0x80000000, v9
	v_lshl_add_u32 v19, v19, 23, v55
	v_or3_b32 v12, v9, v19, v12
.LBB299_345:                            ;   in Loop: Header=BB299_328 Depth=1
	s_or_b64 exec, exec, s[18:19]
.LBB299_346:                            ;   in Loop: Header=BB299_328 Depth=1
	s_or_b64 exec, exec, s[16:17]
.LBB299_347:                            ;   in Loop: Header=BB299_328 Depth=1
	s_or_b64 exec, exec, s[0:1]
	v_cmp_lt_u32_e32 vcc, s5, v17
	s_and_saveexec_b64 s[0:1], vcc
	s_cbranch_execz .LBB299_353
; %bb.348:                              ;   in Loop: Header=BB299_328 Depth=1
	v_lshrrev_b32_e32 v9, 24, v17
	v_cmp_ne_u32_e32 vcc, s28, v9
	v_bfrev_b32_e32 v20, 1
	s_and_saveexec_b64 s[16:17], vcc
	s_cbranch_execz .LBB299_352
; %bb.349:                              ;   in Loop: Header=BB299_328 Depth=1
	v_bfe_u32 v19, v17, 24, 7
	v_cmp_ne_u32_e32 vcc, s29, v19
	v_mov_b32_e32 v20, 0x7f800001
	s_and_saveexec_b64 s[18:19], vcc
	s_cbranch_execz .LBB299_351
; %bb.350:                              ;   in Loop: Header=BB299_328 Depth=1
	v_and_b32_e32 v22, 7, v9
	v_ffbh_u32_e32 v20, v22
	v_min_u32_e32 v24, 32, v20
	v_subrev_u32_e32 v20, 28, v24
	v_lshlrev_b64 v[20:21], v20, v[9:10]
	v_lshrrev_b32_e32 v23, 3, v19
	v_sub_u32_e32 v21, 29, v24
	v_and_b32_e32 v20, 7, v20
	v_cmp_gt_u32_e32 vcc, 8, v19
	v_cndmask_b32_e32 v19, v23, v21, vcc
	v_cndmask_b32_e32 v20, v22, v20, vcc
	v_lshlrev_b32_e32 v9, 24, v9
	v_lshlrev_b32_e32 v20, 20, v20
	v_and_b32_e32 v9, 0x80000000, v9
	v_lshl_add_u32 v19, v19, 23, v55
	v_or3_b32 v20, v9, v19, v20
.LBB299_351:                            ;   in Loop: Header=BB299_328 Depth=1
	s_or_b64 exec, exec, s[18:19]
.LBB299_352:                            ;   in Loop: Header=BB299_328 Depth=1
	s_or_b64 exec, exec, s[16:17]
.LBB299_353:                            ;   in Loop: Header=BB299_328 Depth=1
	s_or_b64 exec, exec, s[0:1]
	v_mov_b32_e32 v9, v18
	v_cmp_ne_u16_sdwa s[16:17], v18, v10 src0_sel:BYTE_0 src1_sel:DWORD
	v_mov_b32_e32 v22, 0
	v_mov_b32_e32 v21, 0
	s_and_saveexec_b64 s[0:1], s[16:17]
	s_cbranch_execz .LBB299_359
; %bb.354:                              ;   in Loop: Header=BB299_328 Depth=1
	v_cmp_ne_u16_sdwa s[18:19], v18, s28 src0_sel:BYTE_0 src1_sel:DWORD
	v_bfrev_b32_e32 v21, 1
	s_and_saveexec_b64 s[16:17], s[18:19]
	s_cbranch_execz .LBB299_358
; %bb.355:                              ;   in Loop: Header=BB299_328 Depth=1
	v_and_b32_e32 v19, 0x7f, v18
	v_cmp_ne_u32_e32 vcc, s29, v19
	v_mov_b32_e32 v21, 0x7f800001
	s_and_saveexec_b64 s[18:19], vcc
	s_cbranch_execz .LBB299_357
; %bb.356:                              ;   in Loop: Header=BB299_328 Depth=1
	v_and_b32_e32 v21, 7, v18
	v_ffbh_u32_e32 v21, v21
	v_min_u32_e32 v21, 32, v21
	v_lshrrev_b32_e32 v23, 3, v19
	v_subrev_u32_e32 v24, 28, v21
	v_sub_u32_e32 v21, 29, v21
	v_cmp_gt_u32_e32 vcc, 8, v19
	v_cndmask_b32_e32 v19, v23, v21, vcc
	v_cndmask_b32_e32 v21, 0, v24, vcc
	v_lshlrev_b64 v[23:24], v21, v[9:10]
	v_lshl_add_u32 v19, v19, 23, v55
	v_lshlrev_b32_e32 v21, 20, v23
	v_lshlrev_b32_e32 v23, 24, v9
	v_and_b32_e32 v21, 0x700000, v21
	v_and_b32_e32 v23, 0x80000000, v23
	v_or3_b32 v21, v23, v19, v21
.LBB299_357:                            ;   in Loop: Header=BB299_328 Depth=1
	s_or_b64 exec, exec, s[18:19]
.LBB299_358:                            ;   in Loop: Header=BB299_328 Depth=1
	s_or_b64 exec, exec, s[16:17]
.LBB299_359:                            ;   in Loop: Header=BB299_328 Depth=1
	s_or_b64 exec, exec, s[0:1]
	v_lshrrev_b16_e32 v19, 8, v9
	v_cmp_ne_u16_e32 vcc, 0, v19
	s_and_saveexec_b64 s[0:1], vcc
	s_cbranch_execz .LBB299_365
; %bb.360:                              ;   in Loop: Header=BB299_328 Depth=1
	v_cmp_ne_u16_e32 vcc, s28, v19
	v_bfrev_b32_e32 v22, 1
	s_and_saveexec_b64 s[16:17], vcc
	s_cbranch_execz .LBB299_364
; %bb.361:                              ;   in Loop: Header=BB299_328 Depth=1
	v_and_b32_e32 v23, 0x7f, v19
	v_cmp_ne_u32_e32 vcc, s29, v23
	v_mov_b32_e32 v22, 0x7f800001
	s_and_saveexec_b64 s[18:19], vcc
	s_cbranch_execz .LBB299_363
; %bb.362:                              ;   in Loop: Header=BB299_328 Depth=1
	v_and_b32_e32 v22, 7, v19
	v_ffbh_u32_e32 v24, v22
	v_min_u32_e32 v27, 32, v24
	v_subrev_u32_e32 v24, 28, v27
	v_lshlrev_b64 v[24:25], v24, v[19:20]
	v_lshrrev_b32_e32 v26, 3, v23
	v_sub_u32_e32 v19, 29, v27
	v_and_b32_e32 v24, 7, v24
	v_cmp_gt_u32_e32 vcc, 8, v23
	v_cndmask_b32_e32 v19, v26, v19, vcc
	v_cndmask_b32_e32 v22, v22, v24, vcc
	v_lshlrev_b32_e32 v9, 16, v9
	v_lshlrev_b32_e32 v22, 20, v22
	v_and_b32_e32 v9, 0x80000000, v9
	v_lshl_add_u32 v19, v19, 23, v55
	v_or3_b32 v22, v9, v19, v22
.LBB299_363:                            ;   in Loop: Header=BB299_328 Depth=1
	s_or_b64 exec, exec, s[18:19]
.LBB299_364:                            ;   in Loop: Header=BB299_328 Depth=1
	s_or_b64 exec, exec, s[16:17]
.LBB299_365:                            ;   in Loop: Header=BB299_328 Depth=1
	s_or_b64 exec, exec, s[0:1]
	v_lshrrev_b32_e32 v9, 16, v18
	v_cmp_ne_u16_sdwa s[16:17], v9, v10 src0_sel:BYTE_0 src1_sel:DWORD
	v_mov_b32_e32 v19, 0
	v_mov_b32_e32 v23, 0
	s_and_saveexec_b64 s[0:1], s[16:17]
	s_cbranch_execz .LBB299_371
; %bb.366:                              ;   in Loop: Header=BB299_328 Depth=1
	v_cmp_ne_u16_sdwa s[18:19], v9, s28 src0_sel:BYTE_0 src1_sel:DWORD
	v_bfrev_b32_e32 v23, 1
	s_and_saveexec_b64 s[16:17], s[18:19]
	s_cbranch_execz .LBB299_370
; %bb.367:                              ;   in Loop: Header=BB299_328 Depth=1
	v_bfe_u32 v24, v18, 16, 7
	v_cmp_ne_u32_e32 vcc, s29, v24
	v_mov_b32_e32 v23, 0x7f800001
	s_and_saveexec_b64 s[18:19], vcc
	s_cbranch_execz .LBB299_369
; %bb.368:                              ;   in Loop: Header=BB299_328 Depth=1
	v_and_b32_e32 v23, 7, v9
	v_ffbh_u32_e32 v25, v23
	v_min_u32_e32 v28, 32, v25
	v_subrev_u32_e32 v25, 28, v28
	v_lshlrev_b64 v[25:26], v25, v[9:10]
	v_lshrrev_b32_e32 v27, 3, v24
	v_sub_u32_e32 v26, 29, v28
	v_and_b32_e32 v25, 7, v25
	v_cmp_gt_u32_e32 vcc, 8, v24
	v_cndmask_b32_e32 v24, v27, v26, vcc
	v_cndmask_b32_e32 v23, v23, v25, vcc
	v_lshlrev_b32_e32 v9, 24, v9
	v_lshlrev_b32_e32 v23, 20, v23
	v_and_b32_e32 v9, 0x80000000, v9
	v_lshl_add_u32 v24, v24, 23, v55
	v_or3_b32 v23, v9, v24, v23
.LBB299_369:                            ;   in Loop: Header=BB299_328 Depth=1
	s_or_b64 exec, exec, s[18:19]
.LBB299_370:                            ;   in Loop: Header=BB299_328 Depth=1
	s_or_b64 exec, exec, s[16:17]
.LBB299_371:                            ;   in Loop: Header=BB299_328 Depth=1
	s_or_b64 exec, exec, s[0:1]
	v_cmp_lt_u64_e32 vcc, s[4:5], v[17:18]
	s_and_saveexec_b64 s[0:1], vcc
	s_cbranch_execz .LBB299_377
; %bb.372:                              ;   in Loop: Header=BB299_328 Depth=1
	v_lshrrev_b32_e32 v9, 24, v18
	v_cmp_ne_u32_e32 vcc, s28, v9
	v_bfrev_b32_e32 v19, 1
	s_and_saveexec_b64 s[16:17], vcc
	s_cbranch_execz .LBB299_376
; %bb.373:                              ;   in Loop: Header=BB299_328 Depth=1
	v_bfe_u32 v17, v18, 24, 7
	v_cmp_ne_u32_e32 vcc, s29, v17
	v_mov_b32_e32 v19, 0x7f800001
	s_and_saveexec_b64 s[18:19], vcc
	s_cbranch_execz .LBB299_375
; %bb.374:                              ;   in Loop: Header=BB299_328 Depth=1
	v_and_b32_e32 v24, 7, v9
	v_ffbh_u32_e32 v18, v24
	v_min_u32_e32 v26, 32, v18
	v_subrev_u32_e32 v18, 28, v26
	v_lshlrev_b64 v[18:19], v18, v[9:10]
	v_lshrrev_b32_e32 v25, 3, v17
	v_sub_u32_e32 v19, 29, v26
	v_and_b32_e32 v18, 7, v18
	v_cmp_gt_u32_e32 vcc, 8, v17
	v_cndmask_b32_e32 v17, v25, v19, vcc
	v_cndmask_b32_e32 v18, v24, v18, vcc
	v_lshlrev_b32_e32 v9, 24, v9
	v_lshlrev_b32_e32 v18, 20, v18
	v_and_b32_e32 v9, 0x80000000, v9
	v_lshl_add_u32 v17, v17, 23, v55
	v_or3_b32 v19, v9, v17, v18
.LBB299_375:                            ;   in Loop: Header=BB299_328 Depth=1
	s_or_b64 exec, exec, s[18:19]
.LBB299_376:                            ;   in Loop: Header=BB299_328 Depth=1
	s_or_b64 exec, exec, s[16:17]
.LBB299_377:                            ;   in Loop: Header=BB299_328 Depth=1
	s_or_b64 exec, exec, s[0:1]
	buffer_load_dword v9, off, s[56:59], 0 offset:4 ; 4-byte Folded Reload
	buffer_load_dword v17, off, s[56:59], 0 offset:140 ; 4-byte Folded Reload
	s_waitcnt lgkmcnt(0)
	v_mul_f32_e32 v0, s31, v0
	s_waitcnt vmcnt(0)
	v_add_u32_e32 v43, v17, v9
	buffer_load_dword v9, off, s[56:59], 0  ; 4-byte Folded Reload
	v_add_u32_e32 v63, 6, v43
	v_add_u32_e32 v50, 7, v43
	s_waitcnt vmcnt(0)
	v_cmp_eq_u32_e32 vcc, s35, v9
	v_mul_f32_e32 v9, s31, v22
	v_bfe_u32 v17, v9, 16, 1
	v_add3_u32 v17, v17, v9, s30
	v_or_b32_e32 v18, 0x400000, v9
	v_cmp_u_f32_e64 s[0:1], v9, v9
	v_cndmask_b32_e64 v9, v17, v18, s[0:1]
	v_lshrrev_b32_e32 v52, 16, v9
	v_mul_f32_e32 v9, s31, v21
	v_bfe_u32 v17, v9, 16, 1
	v_add3_u32 v17, v17, v9, s30
	v_or_b32_e32 v18, 0x400000, v9
	v_cmp_u_f32_e64 s[0:1], v9, v9
	v_cndmask_b32_e64 v9, v17, v18, s[0:1]
	v_lshrrev_b32_e32 v62, 16, v9
	;; [unrolled: 7-line block ×5, first 2 shown]
	v_bfe_u32 v9, v0, 16, 1
	v_add3_u32 v9, v9, v0, s30
	v_or_b32_e32 v11, 0x400000, v0
	v_cmp_u_f32_e64 s[0:1], v0, v0
	v_cndmask_b32_e64 v0, v9, v11, s[0:1]
	v_lshrrev_b32_e32 v49, 16, v0
	v_mul_f32_e32 v0, s31, v23
	v_bfe_u32 v9, v0, 16, 1
	v_add3_u32 v9, v9, v0, s30
	v_or_b32_e32 v11, 0x400000, v0
	v_cmp_u_f32_e64 s[0:1], v0, v0
	v_cndmask_b32_e64 v0, v9, v11, s[0:1]
	v_lshrrev_b32_e32 v44, 16, v0
	v_mul_f32_e32 v0, s31, v19
	v_bfe_u32 v9, v0, 16, 1
	v_add3_u32 v9, v9, v0, s30
	v_or_b32_e32 v11, 0x400000, v0
	v_cmp_u_f32_e64 s[0:1], v0, v0
	v_cndmask_b32_e64 v0, v9, v11, s[0:1]
	v_lshrrev_b32_e32 v47, 16, v0
	v_add_u32_e32 v0, 1, v43
	buffer_store_dword v0, off, s[56:59], 0 offset:128 ; 4-byte Folded Spill
	v_add_u32_e32 v0, 2, v43
	buffer_store_dword v0, off, s[56:59], 0 offset:124 ; 4-byte Folded Spill
	;; [unrolled: 2-line block ×5, first 2 shown]
	s_and_saveexec_b64 s[16:17], vcc
	s_cbranch_execz .LBB299_379
; %bb.378:                              ;   in Loop: Header=BB299_328 Depth=1
	v_cmp_gt_i32_e64 s[0:1], s33, v43
	v_add_u32_e32 v0, 1, v43
	v_cndmask_b32_e64 v49, 0, v49, s[0:1]
	v_cmp_gt_i32_e64 s[0:1], s33, v0
	v_add_u32_e32 v0, 2, v43
	v_cndmask_b32_e64 v48, 0, v48, s[0:1]
	;; [unrolled: 3-line block ×5, first 2 shown]
	v_cmp_gt_i32_e64 s[0:1], s33, v0
	v_cndmask_b32_e64 v52, 0, v52, s[0:1]
	v_cmp_gt_i32_e64 s[0:1], s33, v63
	v_cndmask_b32_e64 v44, 0, v44, s[0:1]
	v_cmp_gt_i32_e64 s[0:1], s33, v50
	v_cndmask_b32_e64 v47, 0, v47, s[0:1]
.LBB299_379:                            ;   in Loop: Header=BB299_328 Depth=1
	s_or_b64 exec, exec, s[16:17]
	global_load_dwordx2 v[17:18], v[15:16], off offset:512
	v_mov_b32_e32 v11, 0
	v_mov_b32_e32 v0, 0
	s_waitcnt vmcnt(0)
	v_cmp_ne_u16_sdwa s[0:1], v17, v10 src0_sel:BYTE_0 src1_sel:DWORD
	s_and_saveexec_b64 s[16:17], s[0:1]
	s_cbranch_execz .LBB299_385
; %bb.380:                              ;   in Loop: Header=BB299_328 Depth=1
	v_cmp_ne_u16_sdwa s[0:1], v17, s28 src0_sel:BYTE_0 src1_sel:DWORD
	v_bfrev_b32_e32 v0, 1
	s_and_saveexec_b64 s[18:19], s[0:1]
	s_cbranch_execz .LBB299_384
; %bb.381:                              ;   in Loop: Header=BB299_328 Depth=1
	v_and_b32_e32 v9, 0x7f, v17
	v_cmp_ne_u32_e64 s[0:1], s29, v9
	v_mov_b32_e32 v0, 0x7f800001
	s_and_saveexec_b64 s[20:21], s[0:1]
	s_cbranch_execz .LBB299_383
; %bb.382:                              ;   in Loop: Header=BB299_328 Depth=1
	v_and_b32_e32 v0, 7, v17
	v_ffbh_u32_e32 v0, v0
	v_min_u32_e32 v0, 32, v0
	v_subrev_u32_e32 v19, 28, v0
	v_cmp_gt_u32_e64 s[0:1], 8, v9
	v_lshrrev_b32_e32 v12, 3, v9
	v_cndmask_b32_e64 v9, 0, v19, s[0:1]
	v_lshlrev_b64 v[19:20], v9, v[17:18]
	v_sub_u32_e32 v0, 29, v0
	v_cndmask_b32_e64 v0, v12, v0, s[0:1]
	v_lshlrev_b32_e32 v9, 20, v19
	v_lshlrev_b32_e32 v12, 24, v17
	v_and_b32_e32 v9, 0x700000, v9
	v_and_b32_e32 v12, 0x80000000, v12
	v_lshl_add_u32 v0, v0, 23, v55
	v_or3_b32 v0, v12, v0, v9
.LBB299_383:                            ;   in Loop: Header=BB299_328 Depth=1
	s_or_b64 exec, exec, s[20:21]
.LBB299_384:                            ;   in Loop: Header=BB299_328 Depth=1
	s_or_b64 exec, exec, s[18:19]
.LBB299_385:                            ;   in Loop: Header=BB299_328 Depth=1
	s_or_b64 exec, exec, s[16:17]
	v_lshrrev_b16_e32 v9, 8, v17
	v_cmp_ne_u16_e64 s[0:1], 0, v9
	s_and_saveexec_b64 s[16:17], s[0:1]
	s_cbranch_execz .LBB299_391
; %bb.386:                              ;   in Loop: Header=BB299_328 Depth=1
	v_cmp_ne_u16_e64 s[0:1], s28, v9
	v_bfrev_b32_e32 v11, 1
	s_and_saveexec_b64 s[18:19], s[0:1]
	s_cbranch_execz .LBB299_390
; %bb.387:                              ;   in Loop: Header=BB299_328 Depth=1
	v_and_b32_e32 v12, 0x7f, v9
	v_cmp_ne_u32_e64 s[0:1], s29, v12
	v_mov_b32_e32 v11, 0x7f800001
	s_and_saveexec_b64 s[20:21], s[0:1]
	s_cbranch_execz .LBB299_389
; %bb.388:                              ;   in Loop: Header=BB299_328 Depth=1
	v_and_b32_e32 v11, 7, v9
	v_ffbh_u32_e32 v19, v11
	v_min_u32_e32 v22, 32, v19
	v_subrev_u32_e32 v19, 28, v22
	v_lshlrev_b64 v[19:20], v19, v[9:10]
	v_lshrrev_b32_e32 v21, 3, v12
	v_sub_u32_e32 v9, 29, v22
	v_and_b32_e32 v19, 7, v19
	v_cmp_gt_u32_e64 s[0:1], 8, v12
	v_cndmask_b32_e64 v9, v21, v9, s[0:1]
	v_cndmask_b32_e64 v11, v11, v19, s[0:1]
	v_lshlrev_b32_e32 v12, 16, v17
	v_lshlrev_b32_e32 v11, 20, v11
	v_and_b32_e32 v12, 0x80000000, v12
	v_lshl_add_u32 v9, v9, 23, v55
	v_or3_b32 v11, v12, v9, v11
.LBB299_389:                            ;   in Loop: Header=BB299_328 Depth=1
	s_or_b64 exec, exec, s[20:21]
.LBB299_390:                            ;   in Loop: Header=BB299_328 Depth=1
	s_or_b64 exec, exec, s[18:19]
.LBB299_391:                            ;   in Loop: Header=BB299_328 Depth=1
	s_or_b64 exec, exec, s[16:17]
	v_lshrrev_b32_e32 v9, 16, v17
	v_cmp_ne_u16_sdwa s[0:1], v9, v10 src0_sel:BYTE_0 src1_sel:DWORD
	v_mov_b32_e32 v20, 0
	v_mov_b32_e32 v12, 0
	s_and_saveexec_b64 s[16:17], s[0:1]
	s_cbranch_execz .LBB299_397
; %bb.392:                              ;   in Loop: Header=BB299_328 Depth=1
	v_cmp_ne_u16_sdwa s[0:1], v9, s28 src0_sel:BYTE_0 src1_sel:DWORD
	v_bfrev_b32_e32 v12, 1
	s_and_saveexec_b64 s[18:19], s[0:1]
	s_cbranch_execz .LBB299_396
; %bb.393:                              ;   in Loop: Header=BB299_328 Depth=1
	v_bfe_u32 v19, v17, 16, 7
	v_cmp_ne_u32_e64 s[0:1], s29, v19
	v_mov_b32_e32 v12, 0x7f800001
	s_and_saveexec_b64 s[20:21], s[0:1]
	s_cbranch_execz .LBB299_395
; %bb.394:                              ;   in Loop: Header=BB299_328 Depth=1
	v_and_b32_e32 v12, 7, v9
	v_ffbh_u32_e32 v21, v12
	v_min_u32_e32 v24, 32, v21
	v_subrev_u32_e32 v21, 28, v24
	v_lshlrev_b64 v[21:22], v21, v[9:10]
	v_lshrrev_b32_e32 v23, 3, v19
	v_sub_u32_e32 v22, 29, v24
	v_and_b32_e32 v21, 7, v21
	v_cmp_gt_u32_e64 s[0:1], 8, v19
	v_cndmask_b32_e64 v19, v23, v22, s[0:1]
	v_cndmask_b32_e64 v12, v12, v21, s[0:1]
	v_lshlrev_b32_e32 v9, 24, v9
	v_lshlrev_b32_e32 v12, 20, v12
	v_and_b32_e32 v9, 0x80000000, v9
	v_lshl_add_u32 v19, v19, 23, v55
	v_or3_b32 v12, v9, v19, v12
.LBB299_395:                            ;   in Loop: Header=BB299_328 Depth=1
	s_or_b64 exec, exec, s[20:21]
.LBB299_396:                            ;   in Loop: Header=BB299_328 Depth=1
	s_or_b64 exec, exec, s[18:19]
.LBB299_397:                            ;   in Loop: Header=BB299_328 Depth=1
	s_or_b64 exec, exec, s[16:17]
	v_cmp_lt_u32_e64 s[0:1], s5, v17
	s_and_saveexec_b64 s[16:17], s[0:1]
	s_cbranch_execz .LBB299_403
; %bb.398:                              ;   in Loop: Header=BB299_328 Depth=1
	v_lshrrev_b32_e32 v9, 24, v17
	v_cmp_ne_u32_e64 s[0:1], s28, v9
	v_bfrev_b32_e32 v20, 1
	s_and_saveexec_b64 s[18:19], s[0:1]
	s_cbranch_execz .LBB299_402
; %bb.399:                              ;   in Loop: Header=BB299_328 Depth=1
	v_bfe_u32 v19, v17, 24, 7
	v_cmp_ne_u32_e64 s[0:1], s29, v19
	v_mov_b32_e32 v20, 0x7f800001
	s_and_saveexec_b64 s[20:21], s[0:1]
	s_cbranch_execz .LBB299_401
; %bb.400:                              ;   in Loop: Header=BB299_328 Depth=1
	v_and_b32_e32 v22, 7, v9
	v_ffbh_u32_e32 v20, v22
	v_min_u32_e32 v24, 32, v20
	v_subrev_u32_e32 v20, 28, v24
	v_lshlrev_b64 v[20:21], v20, v[9:10]
	v_lshrrev_b32_e32 v23, 3, v19
	v_sub_u32_e32 v21, 29, v24
	v_and_b32_e32 v20, 7, v20
	v_cmp_gt_u32_e64 s[0:1], 8, v19
	v_cndmask_b32_e64 v19, v23, v21, s[0:1]
	v_cndmask_b32_e64 v20, v22, v20, s[0:1]
	v_lshlrev_b32_e32 v9, 24, v9
	v_lshlrev_b32_e32 v20, 20, v20
	v_and_b32_e32 v9, 0x80000000, v9
	v_lshl_add_u32 v19, v19, 23, v55
	v_or3_b32 v20, v9, v19, v20
.LBB299_401:                            ;   in Loop: Header=BB299_328 Depth=1
	s_or_b64 exec, exec, s[20:21]
.LBB299_402:                            ;   in Loop: Header=BB299_328 Depth=1
	s_or_b64 exec, exec, s[18:19]
.LBB299_403:                            ;   in Loop: Header=BB299_328 Depth=1
	s_or_b64 exec, exec, s[16:17]
	v_mov_b32_e32 v9, v18
	v_cmp_ne_u16_sdwa s[0:1], v18, v10 src0_sel:BYTE_0 src1_sel:DWORD
	v_mov_b32_e32 v22, 0
	v_mov_b32_e32 v21, 0
	s_and_saveexec_b64 s[16:17], s[0:1]
	s_cbranch_execz .LBB299_409
; %bb.404:                              ;   in Loop: Header=BB299_328 Depth=1
	v_cmp_ne_u16_sdwa s[0:1], v18, s28 src0_sel:BYTE_0 src1_sel:DWORD
	v_bfrev_b32_e32 v21, 1
	s_and_saveexec_b64 s[18:19], s[0:1]
	s_cbranch_execz .LBB299_408
; %bb.405:                              ;   in Loop: Header=BB299_328 Depth=1
	v_and_b32_e32 v19, 0x7f, v18
	v_cmp_ne_u32_e64 s[0:1], s29, v19
	v_mov_b32_e32 v21, 0x7f800001
	s_and_saveexec_b64 s[20:21], s[0:1]
	s_cbranch_execz .LBB299_407
; %bb.406:                              ;   in Loop: Header=BB299_328 Depth=1
	v_and_b32_e32 v21, 7, v18
	v_ffbh_u32_e32 v21, v21
	v_min_u32_e32 v21, 32, v21
	v_lshrrev_b32_e32 v23, 3, v19
	v_subrev_u32_e32 v24, 28, v21
	v_sub_u32_e32 v21, 29, v21
	v_cmp_gt_u32_e64 s[0:1], 8, v19
	v_cndmask_b32_e64 v19, v23, v21, s[0:1]
	v_cndmask_b32_e64 v21, 0, v24, s[0:1]
	v_lshlrev_b64 v[23:24], v21, v[9:10]
	v_lshl_add_u32 v19, v19, 23, v55
	v_lshlrev_b32_e32 v21, 20, v23
	v_lshlrev_b32_e32 v23, 24, v9
	v_and_b32_e32 v21, 0x700000, v21
	v_and_b32_e32 v23, 0x80000000, v23
	v_or3_b32 v21, v23, v19, v21
.LBB299_407:                            ;   in Loop: Header=BB299_328 Depth=1
	s_or_b64 exec, exec, s[20:21]
.LBB299_408:                            ;   in Loop: Header=BB299_328 Depth=1
	s_or_b64 exec, exec, s[18:19]
.LBB299_409:                            ;   in Loop: Header=BB299_328 Depth=1
	s_or_b64 exec, exec, s[16:17]
	v_lshrrev_b16_e32 v19, 8, v9
	v_cmp_ne_u16_e64 s[0:1], 0, v19
	s_and_saveexec_b64 s[16:17], s[0:1]
	s_cbranch_execz .LBB299_415
; %bb.410:                              ;   in Loop: Header=BB299_328 Depth=1
	v_cmp_ne_u16_e64 s[0:1], s28, v19
	v_bfrev_b32_e32 v22, 1
	s_and_saveexec_b64 s[18:19], s[0:1]
	s_cbranch_execz .LBB299_414
; %bb.411:                              ;   in Loop: Header=BB299_328 Depth=1
	v_and_b32_e32 v23, 0x7f, v19
	v_cmp_ne_u32_e64 s[0:1], s29, v23
	v_mov_b32_e32 v22, 0x7f800001
	s_and_saveexec_b64 s[20:21], s[0:1]
	s_cbranch_execz .LBB299_413
; %bb.412:                              ;   in Loop: Header=BB299_328 Depth=1
	v_and_b32_e32 v22, 7, v19
	v_ffbh_u32_e32 v24, v22
	v_min_u32_e32 v27, 32, v24
	v_subrev_u32_e32 v24, 28, v27
	v_lshlrev_b64 v[24:25], v24, v[19:20]
	v_lshrrev_b32_e32 v26, 3, v23
	v_sub_u32_e32 v19, 29, v27
	v_and_b32_e32 v24, 7, v24
	v_cmp_gt_u32_e64 s[0:1], 8, v23
	v_cndmask_b32_e64 v19, v26, v19, s[0:1]
	v_cndmask_b32_e64 v22, v22, v24, s[0:1]
	v_lshlrev_b32_e32 v9, 16, v9
	v_lshlrev_b32_e32 v22, 20, v22
	v_and_b32_e32 v9, 0x80000000, v9
	v_lshl_add_u32 v19, v19, 23, v55
	v_or3_b32 v22, v9, v19, v22
.LBB299_413:                            ;   in Loop: Header=BB299_328 Depth=1
	s_or_b64 exec, exec, s[20:21]
.LBB299_414:                            ;   in Loop: Header=BB299_328 Depth=1
	s_or_b64 exec, exec, s[18:19]
.LBB299_415:                            ;   in Loop: Header=BB299_328 Depth=1
	s_or_b64 exec, exec, s[16:17]
	v_lshrrev_b32_e32 v9, 16, v18
	v_cmp_ne_u16_sdwa s[0:1], v9, v10 src0_sel:BYTE_0 src1_sel:DWORD
	v_mov_b32_e32 v19, 0
	v_mov_b32_e32 v23, 0
	s_and_saveexec_b64 s[16:17], s[0:1]
	s_cbranch_execz .LBB299_421
; %bb.416:                              ;   in Loop: Header=BB299_328 Depth=1
	v_cmp_ne_u16_sdwa s[0:1], v9, s28 src0_sel:BYTE_0 src1_sel:DWORD
	v_bfrev_b32_e32 v23, 1
	s_and_saveexec_b64 s[18:19], s[0:1]
	s_cbranch_execz .LBB299_420
; %bb.417:                              ;   in Loop: Header=BB299_328 Depth=1
	v_bfe_u32 v24, v18, 16, 7
	v_cmp_ne_u32_e64 s[0:1], s29, v24
	v_mov_b32_e32 v23, 0x7f800001
	s_and_saveexec_b64 s[20:21], s[0:1]
	s_cbranch_execz .LBB299_419
; %bb.418:                              ;   in Loop: Header=BB299_328 Depth=1
	v_and_b32_e32 v23, 7, v9
	v_ffbh_u32_e32 v25, v23
	v_min_u32_e32 v28, 32, v25
	v_subrev_u32_e32 v25, 28, v28
	v_lshlrev_b64 v[25:26], v25, v[9:10]
	v_lshrrev_b32_e32 v27, 3, v24
	v_sub_u32_e32 v26, 29, v28
	v_and_b32_e32 v25, 7, v25
	v_cmp_gt_u32_e64 s[0:1], 8, v24
	v_cndmask_b32_e64 v24, v27, v26, s[0:1]
	v_cndmask_b32_e64 v23, v23, v25, s[0:1]
	v_lshlrev_b32_e32 v9, 24, v9
	v_lshlrev_b32_e32 v23, 20, v23
	v_and_b32_e32 v9, 0x80000000, v9
	v_lshl_add_u32 v24, v24, 23, v55
	v_or3_b32 v23, v9, v24, v23
.LBB299_419:                            ;   in Loop: Header=BB299_328 Depth=1
	s_or_b64 exec, exec, s[20:21]
.LBB299_420:                            ;   in Loop: Header=BB299_328 Depth=1
	s_or_b64 exec, exec, s[18:19]
.LBB299_421:                            ;   in Loop: Header=BB299_328 Depth=1
	s_or_b64 exec, exec, s[16:17]
	v_cmp_lt_u64_e64 s[0:1], s[4:5], v[17:18]
	s_and_saveexec_b64 s[16:17], s[0:1]
	s_cbranch_execz .LBB299_427
; %bb.422:                              ;   in Loop: Header=BB299_328 Depth=1
	v_lshrrev_b32_e32 v9, 24, v18
	v_cmp_ne_u32_e64 s[0:1], s28, v9
	v_bfrev_b32_e32 v19, 1
	s_and_saveexec_b64 s[18:19], s[0:1]
	s_cbranch_execz .LBB299_426
; %bb.423:                              ;   in Loop: Header=BB299_328 Depth=1
	v_bfe_u32 v17, v18, 24, 7
	v_cmp_ne_u32_e64 s[0:1], s29, v17
	v_mov_b32_e32 v19, 0x7f800001
	s_and_saveexec_b64 s[20:21], s[0:1]
	s_cbranch_execz .LBB299_425
; %bb.424:                              ;   in Loop: Header=BB299_328 Depth=1
	v_and_b32_e32 v24, 7, v9
	v_ffbh_u32_e32 v18, v24
	v_min_u32_e32 v26, 32, v18
	v_subrev_u32_e32 v18, 28, v26
	v_lshlrev_b64 v[18:19], v18, v[9:10]
	v_lshrrev_b32_e32 v25, 3, v17
	v_sub_u32_e32 v19, 29, v26
	v_and_b32_e32 v18, 7, v18
	v_cmp_gt_u32_e64 s[0:1], 8, v17
	v_cndmask_b32_e64 v17, v25, v19, s[0:1]
	v_cndmask_b32_e64 v18, v24, v18, s[0:1]
	v_lshlrev_b32_e32 v9, 24, v9
	v_lshlrev_b32_e32 v18, 20, v18
	v_and_b32_e32 v9, 0x80000000, v9
	v_lshl_add_u32 v17, v17, 23, v55
	v_or3_b32 v19, v9, v17, v18
.LBB299_425:                            ;   in Loop: Header=BB299_328 Depth=1
	s_or_b64 exec, exec, s[20:21]
.LBB299_426:                            ;   in Loop: Header=BB299_328 Depth=1
	s_or_b64 exec, exec, s[18:19]
.LBB299_427:                            ;   in Loop: Header=BB299_328 Depth=1
	s_or_b64 exec, exec, s[16:17]
	v_mul_f32_e32 v9, s31, v22
	v_bfe_u32 v17, v9, 16, 1
	v_add3_u32 v17, v17, v9, s30
	v_or_b32_e32 v18, 0x400000, v9
	v_cmp_u_f32_e64 s[0:1], v9, v9
	v_cndmask_b32_e64 v9, v17, v18, s[0:1]
	v_lshrrev_b32_e32 v9, 16, v9
	buffer_store_dword v9, off, s[56:59], 0 offset:8 ; 4-byte Folded Spill
	v_mul_f32_e32 v9, s31, v21
	v_bfe_u32 v17, v9, 16, 1
	v_add3_u32 v17, v17, v9, s30
	v_or_b32_e32 v18, 0x400000, v9
	v_cmp_u_f32_e64 s[0:1], v9, v9
	v_cndmask_b32_e64 v9, v17, v18, s[0:1]
	v_lshrrev_b32_e32 v9, 16, v9
	buffer_store_dword v9, off, s[56:59], 0 offset:12 ; 4-byte Folded Spill
	;; [unrolled: 8-line block ×4, first 2 shown]
	v_mul_f32_e32 v9, s31, v11
	v_bfe_u32 v11, v9, 16, 1
	v_add3_u32 v11, v11, v9, s30
	v_or_b32_e32 v12, 0x400000, v9
	v_cmp_u_f32_e64 s[0:1], v9, v9
	v_cndmask_b32_e64 v9, v11, v12, s[0:1]
	v_lshrrev_b32_e32 v9, 16, v9
	v_mul_f32_e32 v0, s31, v0
	buffer_store_dword v9, off, s[56:59], 0 offset:68 ; 4-byte Folded Spill
	v_bfe_u32 v9, v0, 16, 1
	v_add3_u32 v9, v9, v0, s30
	v_or_b32_e32 v11, 0x400000, v0
	v_cmp_u_f32_e64 s[0:1], v0, v0
	v_cndmask_b32_e64 v0, v9, v11, s[0:1]
	v_lshrrev_b32_e32 v0, 16, v0
	buffer_store_dword v0, off, s[56:59], 0 offset:72 ; 4-byte Folded Spill
	v_mul_f32_e32 v0, s31, v23
	v_bfe_u32 v9, v0, 16, 1
	v_add3_u32 v9, v9, v0, s30
	v_or_b32_e32 v11, 0x400000, v0
	v_cmp_u_f32_e64 s[0:1], v0, v0
	v_cndmask_b32_e64 v0, v9, v11, s[0:1]
	v_lshrrev_b32_e32 v0, 16, v0
	buffer_store_dword v0, off, s[56:59], 0 offset:16 ; 4-byte Folded Spill
	v_mul_f32_e32 v0, s31, v19
	v_bfe_u32 v9, v0, 16, 1
	v_add3_u32 v9, v9, v0, s30
	v_or_b32_e32 v11, 0x400000, v0
	v_cmp_u_f32_e64 s[0:1], v0, v0
	v_cndmask_b32_e64 v0, v9, v11, s[0:1]
	v_lshrrev_b32_e32 v0, 16, v0
	buffer_store_dword v0, off, s[56:59], 0 offset:52 ; 4-byte Folded Spill
	s_and_saveexec_b64 s[16:17], vcc
	s_cbranch_execz .LBB299_429
; %bb.428:                              ;   in Loop: Header=BB299_328 Depth=1
	buffer_load_dword v0, off, s[56:59], 0 offset:72 ; 4-byte Folded Reload
	v_cmp_gt_i32_e64 s[0:1], s33, v43
	s_waitcnt vmcnt(0)
	v_cndmask_b32_e64 v0, 0, v0, s[0:1]
	buffer_store_dword v0, off, s[56:59], 0 offset:72 ; 4-byte Folded Spill
	v_add_u32_e32 v0, 1, v43
	v_cmp_gt_i32_e64 s[0:1], s33, v0
	buffer_load_dword v0, off, s[56:59], 0 offset:68 ; 4-byte Folded Reload
	s_waitcnt vmcnt(0)
	v_cndmask_b32_e64 v0, 0, v0, s[0:1]
	buffer_store_dword v0, off, s[56:59], 0 offset:68 ; 4-byte Folded Spill
	v_add_u32_e32 v0, 2, v43
	v_cmp_gt_i32_e64 s[0:1], s33, v0
	buffer_load_dword v0, off, s[56:59], 0 offset:36 ; 4-byte Folded Reload
	;; [unrolled: 6-line block ×5, first 2 shown]
	s_waitcnt vmcnt(0)
	v_cndmask_b32_e64 v0, 0, v0, s[0:1]
	buffer_store_dword v0, off, s[56:59], 0 offset:8 ; 4-byte Folded Spill
	buffer_load_dword v0, off, s[56:59], 0 offset:16 ; 4-byte Folded Reload
	v_cmp_gt_i32_e64 s[0:1], s33, v63
	s_waitcnt vmcnt(0)
	v_cndmask_b32_e64 v0, 0, v0, s[0:1]
	buffer_store_dword v0, off, s[56:59], 0 offset:16 ; 4-byte Folded Spill
	buffer_load_dword v0, off, s[56:59], 0 offset:52 ; 4-byte Folded Reload
	v_cmp_gt_i32_e64 s[0:1], s33, v50
	s_waitcnt vmcnt(0)
	v_cndmask_b32_e64 v0, 0, v0, s[0:1]
	buffer_store_dword v0, off, s[56:59], 0 offset:52 ; 4-byte Folded Spill
.LBB299_429:                            ;   in Loop: Header=BB299_328 Depth=1
	s_or_b64 exec, exec, s[16:17]
	global_load_dwordx2 v[17:18], v[15:16], off offset:1024
	v_mov_b32_e32 v12, 0
	v_mov_b32_e32 v11, 0
	s_waitcnt vmcnt(0)
	v_cmp_ne_u16_sdwa s[0:1], v17, v10 src0_sel:BYTE_0 src1_sel:DWORD
	s_and_saveexec_b64 s[16:17], s[0:1]
	s_cbranch_execz .LBB299_435
; %bb.430:                              ;   in Loop: Header=BB299_328 Depth=1
	v_cmp_ne_u16_sdwa s[0:1], v17, s28 src0_sel:BYTE_0 src1_sel:DWORD
	v_bfrev_b32_e32 v11, 1
	s_and_saveexec_b64 s[18:19], s[0:1]
	s_cbranch_execz .LBB299_434
; %bb.431:                              ;   in Loop: Header=BB299_328 Depth=1
	v_and_b32_e32 v0, 0x7f, v17
	v_cmp_ne_u32_e64 s[0:1], s29, v0
	v_mov_b32_e32 v11, 0x7f800001
	s_and_saveexec_b64 s[20:21], s[0:1]
	s_cbranch_execz .LBB299_433
; %bb.432:                              ;   in Loop: Header=BB299_328 Depth=1
	v_and_b32_e32 v9, 7, v17
	v_ffbh_u32_e32 v9, v9
	v_min_u32_e32 v9, 32, v9
	v_lshrrev_b32_e32 v11, 3, v0
	v_subrev_u32_e32 v19, 28, v9
	v_sub_u32_e32 v9, 29, v9
	v_cmp_gt_u32_e64 s[0:1], 8, v0
	v_cndmask_b32_e64 v0, v11, v9, s[0:1]
	v_cndmask_b32_e64 v9, 0, v19, s[0:1]
	v_lshlrev_b64 v[19:20], v9, v[17:18]
	v_lshlrev_b32_e32 v11, 24, v17
	v_lshlrev_b32_e32 v9, 20, v19
	v_and_b32_e32 v9, 0x700000, v9
	v_and_b32_e32 v11, 0x80000000, v11
	v_lshl_add_u32 v0, v0, 23, v55
	v_or3_b32 v11, v11, v0, v9
.LBB299_433:                            ;   in Loop: Header=BB299_328 Depth=1
	s_or_b64 exec, exec, s[20:21]
.LBB299_434:                            ;   in Loop: Header=BB299_328 Depth=1
	s_or_b64 exec, exec, s[18:19]
.LBB299_435:                            ;   in Loop: Header=BB299_328 Depth=1
	s_or_b64 exec, exec, s[16:17]
	v_lshrrev_b16_e32 v9, 8, v17
	v_cmp_ne_u16_e64 s[0:1], 0, v9
	s_and_saveexec_b64 s[16:17], s[0:1]
	s_cbranch_execz .LBB299_441
; %bb.436:                              ;   in Loop: Header=BB299_328 Depth=1
	v_cmp_ne_u16_e64 s[0:1], s28, v9
	v_bfrev_b32_e32 v12, 1
	s_and_saveexec_b64 s[18:19], s[0:1]
	s_cbranch_execz .LBB299_440
; %bb.437:                              ;   in Loop: Header=BB299_328 Depth=1
	v_and_b32_e32 v0, 0x7f, v9
	v_cmp_ne_u32_e64 s[0:1], s29, v0
	v_mov_b32_e32 v12, 0x7f800001
	s_and_saveexec_b64 s[20:21], s[0:1]
	s_cbranch_execz .LBB299_439
; %bb.438:                              ;   in Loop: Header=BB299_328 Depth=1
	v_and_b32_e32 v12, 7, v9
	v_lshrrev_b32_e32 v21, 3, v0
	v_cmp_gt_u32_e64 s[0:1], 8, v0
	v_ffbh_u32_e32 v0, v12
	v_min_u32_e32 v0, 32, v0
	v_subrev_u32_e32 v19, 28, v0
	v_lshlrev_b64 v[19:20], v19, v[9:10]
	v_sub_u32_e32 v0, 29, v0
	v_and_b32_e32 v9, 7, v19
	v_cndmask_b32_e64 v0, v21, v0, s[0:1]
	v_cndmask_b32_e64 v9, v12, v9, s[0:1]
	v_lshlrev_b32_e32 v12, 16, v17
	v_lshlrev_b32_e32 v9, 20, v9
	v_and_b32_e32 v12, 0x80000000, v12
	v_lshl_add_u32 v0, v0, 23, v55
	v_or3_b32 v12, v12, v0, v9
.LBB299_439:                            ;   in Loop: Header=BB299_328 Depth=1
	s_or_b64 exec, exec, s[20:21]
.LBB299_440:                            ;   in Loop: Header=BB299_328 Depth=1
	s_or_b64 exec, exec, s[18:19]
.LBB299_441:                            ;   in Loop: Header=BB299_328 Depth=1
	s_or_b64 exec, exec, s[16:17]
	v_lshrrev_b32_e32 v9, 16, v17
	v_cmp_ne_u16_sdwa s[0:1], v9, v10 src0_sel:BYTE_0 src1_sel:DWORD
	v_mov_b32_e32 v21, 0
	v_mov_b32_e32 v20, 0
	s_and_saveexec_b64 s[16:17], s[0:1]
	s_cbranch_execz .LBB299_447
; %bb.442:                              ;   in Loop: Header=BB299_328 Depth=1
	v_cmp_ne_u16_sdwa s[0:1], v9, s28 src0_sel:BYTE_0 src1_sel:DWORD
	v_bfrev_b32_e32 v20, 1
	s_and_saveexec_b64 s[18:19], s[0:1]
	s_cbranch_execz .LBB299_446
; %bb.443:                              ;   in Loop: Header=BB299_328 Depth=1
	v_bfe_u32 v0, v17, 16, 7
	v_cmp_ne_u32_e64 s[0:1], s29, v0
	v_mov_b32_e32 v20, 0x7f800001
	s_and_saveexec_b64 s[20:21], s[0:1]
	s_cbranch_execz .LBB299_445
; %bb.444:                              ;   in Loop: Header=BB299_328 Depth=1
	v_and_b32_e32 v22, 7, v9
	v_lshrrev_b32_e32 v23, 3, v0
	v_cmp_gt_u32_e64 s[0:1], 8, v0
	v_ffbh_u32_e32 v0, v22
	v_min_u32_e32 v0, 32, v0
	v_subrev_u32_e32 v19, 28, v0
	v_lshlrev_b64 v[19:20], v19, v[9:10]
	v_sub_u32_e32 v0, 29, v0
	v_and_b32_e32 v19, 7, v19
	v_cndmask_b32_e64 v0, v23, v0, s[0:1]
	v_cndmask_b32_e64 v19, v22, v19, s[0:1]
	v_lshlrev_b32_e32 v9, 24, v9
	v_lshlrev_b32_e32 v19, 20, v19
	v_and_b32_e32 v9, 0x80000000, v9
	v_lshl_add_u32 v0, v0, 23, v55
	v_or3_b32 v20, v9, v0, v19
.LBB299_445:                            ;   in Loop: Header=BB299_328 Depth=1
	s_or_b64 exec, exec, s[20:21]
.LBB299_446:                            ;   in Loop: Header=BB299_328 Depth=1
	s_or_b64 exec, exec, s[18:19]
.LBB299_447:                            ;   in Loop: Header=BB299_328 Depth=1
	s_or_b64 exec, exec, s[16:17]
	v_cmp_lt_u32_e64 s[0:1], s5, v17
	s_and_saveexec_b64 s[16:17], s[0:1]
	s_cbranch_execz .LBB299_453
; %bb.448:                              ;   in Loop: Header=BB299_328 Depth=1
	v_lshrrev_b32_e32 v9, 24, v17
	v_cmp_ne_u32_e64 s[0:1], s28, v9
	v_bfrev_b32_e32 v21, 1
	s_and_saveexec_b64 s[18:19], s[0:1]
	s_cbranch_execz .LBB299_452
; %bb.449:                              ;   in Loop: Header=BB299_328 Depth=1
	v_bfe_u32 v0, v17, 24, 7
	v_cmp_ne_u32_e64 s[0:1], s29, v0
	v_mov_b32_e32 v21, 0x7f800001
	s_and_saveexec_b64 s[20:21], s[0:1]
	s_cbranch_execz .LBB299_451
; %bb.450:                              ;   in Loop: Header=BB299_328 Depth=1
	v_and_b32_e32 v19, 7, v9
	v_lshrrev_b32_e32 v23, 3, v0
	v_cmp_gt_u32_e64 s[0:1], 8, v0
	v_ffbh_u32_e32 v0, v19
	v_min_u32_e32 v0, 32, v0
	v_subrev_u32_e32 v21, 28, v0
	v_lshlrev_b64 v[21:22], v21, v[9:10]
	v_sub_u32_e32 v0, 29, v0
	v_and_b32_e32 v21, 7, v21
	v_cndmask_b32_e64 v0, v23, v0, s[0:1]
	v_cndmask_b32_e64 v19, v19, v21, s[0:1]
	v_lshlrev_b32_e32 v9, 24, v9
	v_lshlrev_b32_e32 v19, 20, v19
	v_and_b32_e32 v9, 0x80000000, v9
	v_lshl_add_u32 v0, v0, 23, v55
	v_or3_b32 v21, v9, v0, v19
.LBB299_451:                            ;   in Loop: Header=BB299_328 Depth=1
	s_or_b64 exec, exec, s[20:21]
.LBB299_452:                            ;   in Loop: Header=BB299_328 Depth=1
	s_or_b64 exec, exec, s[18:19]
.LBB299_453:                            ;   in Loop: Header=BB299_328 Depth=1
	s_or_b64 exec, exec, s[16:17]
	v_mov_b32_e32 v9, v18
	v_cmp_ne_u16_sdwa s[0:1], v18, v10 src0_sel:BYTE_0 src1_sel:DWORD
	v_mov_b32_e32 v0, 0
	v_mov_b32_e32 v22, 0
	s_and_saveexec_b64 s[16:17], s[0:1]
	s_cbranch_execz .LBB299_459
; %bb.454:                              ;   in Loop: Header=BB299_328 Depth=1
	v_cmp_ne_u16_sdwa s[0:1], v18, s28 src0_sel:BYTE_0 src1_sel:DWORD
	v_bfrev_b32_e32 v22, 1
	s_and_saveexec_b64 s[18:19], s[0:1]
	s_cbranch_execz .LBB299_458
; %bb.455:                              ;   in Loop: Header=BB299_328 Depth=1
	v_and_b32_e32 v19, 0x7f, v18
	v_cmp_ne_u32_e64 s[0:1], s29, v19
	v_mov_b32_e32 v22, 0x7f800001
	s_and_saveexec_b64 s[20:21], s[0:1]
	s_cbranch_execz .LBB299_457
; %bb.456:                              ;   in Loop: Header=BB299_328 Depth=1
	v_and_b32_e32 v22, 7, v18
	v_lshrrev_b32_e32 v23, 3, v19
	v_cmp_gt_u32_e64 s[0:1], 8, v19
	v_ffbh_u32_e32 v19, v22
	v_min_u32_e32 v19, 32, v19
	v_subrev_u32_e32 v22, 28, v19
	v_sub_u32_e32 v19, 29, v19
	v_cndmask_b32_e64 v22, 0, v22, s[0:1]
	v_cndmask_b32_e64 v19, v23, v19, s[0:1]
	v_lshlrev_b64 v[22:23], v22, v[9:10]
	v_lshlrev_b32_e32 v23, 24, v9
	v_lshlrev_b32_e32 v22, 20, v22
	v_and_b32_e32 v22, 0x700000, v22
	v_and_b32_e32 v23, 0x80000000, v23
	v_lshl_add_u32 v19, v19, 23, v55
	v_or3_b32 v22, v23, v19, v22
.LBB299_457:                            ;   in Loop: Header=BB299_328 Depth=1
	s_or_b64 exec, exec, s[20:21]
.LBB299_458:                            ;   in Loop: Header=BB299_328 Depth=1
	s_or_b64 exec, exec, s[18:19]
.LBB299_459:                            ;   in Loop: Header=BB299_328 Depth=1
	s_or_b64 exec, exec, s[16:17]
	v_lshrrev_b16_e32 v19, 8, v9
	v_cmp_ne_u16_e64 s[0:1], 0, v19
	s_and_saveexec_b64 s[16:17], s[0:1]
	s_cbranch_execz .LBB299_465
; %bb.460:                              ;   in Loop: Header=BB299_328 Depth=1
	v_cmp_ne_u16_e64 s[0:1], s28, v19
	v_bfrev_b32_e32 v0, 1
	s_and_saveexec_b64 s[18:19], s[0:1]
	s_cbranch_execz .LBB299_464
; %bb.461:                              ;   in Loop: Header=BB299_328 Depth=1
	v_and_b32_e32 v23, 0x7f, v19
	v_cmp_ne_u32_e64 s[0:1], s29, v23
	v_mov_b32_e32 v0, 0x7f800001
	s_and_saveexec_b64 s[20:21], s[0:1]
	s_cbranch_execz .LBB299_463
; %bb.462:                              ;   in Loop: Header=BB299_328 Depth=1
	v_and_b32_e32 v0, 7, v19
	v_lshrrev_b32_e32 v25, 3, v23
	v_cmp_gt_u32_e64 s[0:1], 8, v23
	v_ffbh_u32_e32 v23, v0
	v_min_u32_e32 v26, 32, v23
	v_subrev_u32_e32 v23, 28, v26
	v_lshlrev_b64 v[23:24], v23, v[19:20]
	v_sub_u32_e32 v19, 29, v26
	v_and_b32_e32 v23, 7, v23
	v_cndmask_b32_e64 v19, v25, v19, s[0:1]
	v_cndmask_b32_e64 v0, v0, v23, s[0:1]
	v_lshlrev_b32_e32 v9, 16, v9
	v_lshlrev_b32_e32 v0, 20, v0
	v_and_b32_e32 v9, 0x80000000, v9
	v_lshl_add_u32 v19, v19, 23, v55
	v_or3_b32 v0, v9, v19, v0
.LBB299_463:                            ;   in Loop: Header=BB299_328 Depth=1
	s_or_b64 exec, exec, s[20:21]
.LBB299_464:                            ;   in Loop: Header=BB299_328 Depth=1
	s_or_b64 exec, exec, s[18:19]
.LBB299_465:                            ;   in Loop: Header=BB299_328 Depth=1
	s_or_b64 exec, exec, s[16:17]
	v_lshrrev_b32_e32 v9, 16, v18
	v_cmp_ne_u16_sdwa s[0:1], v9, v10 src0_sel:BYTE_0 src1_sel:DWORD
	v_mov_b32_e32 v19, 0
	v_mov_b32_e32 v23, 0
	s_and_saveexec_b64 s[16:17], s[0:1]
	s_cbranch_execz .LBB299_471
; %bb.466:                              ;   in Loop: Header=BB299_328 Depth=1
	v_cmp_ne_u16_sdwa s[0:1], v9, s28 src0_sel:BYTE_0 src1_sel:DWORD
	v_bfrev_b32_e32 v23, 1
	s_and_saveexec_b64 s[18:19], s[0:1]
	s_cbranch_execz .LBB299_470
; %bb.467:                              ;   in Loop: Header=BB299_328 Depth=1
	v_bfe_u32 v24, v18, 16, 7
	v_cmp_ne_u32_e64 s[0:1], s29, v24
	v_mov_b32_e32 v23, 0x7f800001
	s_and_saveexec_b64 s[20:21], s[0:1]
	s_cbranch_execz .LBB299_469
; %bb.468:                              ;   in Loop: Header=BB299_328 Depth=1
	v_and_b32_e32 v25, 7, v9
	v_ffbh_u32_e32 v23, v25
	v_min_u32_e32 v27, 32, v23
	v_subrev_u32_e32 v23, 28, v27
	v_lshrrev_b32_e32 v26, 3, v24
	v_cmp_gt_u32_e64 s[0:1], 8, v24
	v_lshlrev_b64 v[23:24], v23, v[9:10]
	v_sub_u32_e32 v24, 29, v27
	v_and_b32_e32 v23, 7, v23
	v_cndmask_b32_e64 v24, v26, v24, s[0:1]
	v_cndmask_b32_e64 v23, v25, v23, s[0:1]
	v_lshlrev_b32_e32 v9, 24, v9
	v_lshlrev_b32_e32 v23, 20, v23
	v_and_b32_e32 v9, 0x80000000, v9
	v_lshl_add_u32 v24, v24, 23, v55
	v_or3_b32 v23, v9, v24, v23
.LBB299_469:                            ;   in Loop: Header=BB299_328 Depth=1
	s_or_b64 exec, exec, s[20:21]
.LBB299_470:                            ;   in Loop: Header=BB299_328 Depth=1
	s_or_b64 exec, exec, s[18:19]
.LBB299_471:                            ;   in Loop: Header=BB299_328 Depth=1
	s_or_b64 exec, exec, s[16:17]
	v_cmp_lt_u64_e64 s[0:1], s[4:5], v[17:18]
	s_and_saveexec_b64 s[16:17], s[0:1]
	s_cbranch_execz .LBB299_477
; %bb.472:                              ;   in Loop: Header=BB299_328 Depth=1
	v_lshrrev_b32_e32 v9, 24, v18
	v_cmp_ne_u32_e64 s[0:1], s28, v9
	v_bfrev_b32_e32 v19, 1
	s_and_saveexec_b64 s[18:19], s[0:1]
	s_cbranch_execz .LBB299_476
; %bb.473:                              ;   in Loop: Header=BB299_328 Depth=1
	v_bfe_u32 v17, v18, 24, 7
	v_cmp_ne_u32_e64 s[0:1], s29, v17
	v_mov_b32_e32 v19, 0x7f800001
	s_and_saveexec_b64 s[20:21], s[0:1]
	s_cbranch_execz .LBB299_475
; %bb.474:                              ;   in Loop: Header=BB299_328 Depth=1
	v_and_b32_e32 v19, 7, v9
	v_lshrrev_b32_e32 v24, 3, v17
	v_cmp_gt_u32_e64 s[0:1], 8, v17
	v_ffbh_u32_e32 v17, v19
	v_min_u32_e32 v25, 32, v17
	v_subrev_u32_e32 v17, 28, v25
	v_lshlrev_b64 v[17:18], v17, v[9:10]
	v_sub_u32_e32 v18, 29, v25
	v_and_b32_e32 v17, 7, v17
	v_cndmask_b32_e64 v18, v24, v18, s[0:1]
	v_cndmask_b32_e64 v17, v19, v17, s[0:1]
	v_lshlrev_b32_e32 v9, 24, v9
	v_lshlrev_b32_e32 v17, 20, v17
	v_and_b32_e32 v9, 0x80000000, v9
	v_lshl_add_u32 v18, v18, 23, v55
	v_or3_b32 v19, v9, v18, v17
.LBB299_475:                            ;   in Loop: Header=BB299_328 Depth=1
	s_or_b64 exec, exec, s[20:21]
.LBB299_476:                            ;   in Loop: Header=BB299_328 Depth=1
	s_or_b64 exec, exec, s[18:19]
.LBB299_477:                            ;   in Loop: Header=BB299_328 Depth=1
	s_or_b64 exec, exec, s[16:17]
	v_mul_f32_e32 v0, s31, v0
	v_bfe_u32 v9, v0, 16, 1
	v_add3_u32 v9, v9, v0, s30
	v_or_b32_e32 v17, 0x400000, v0
	v_cmp_u_f32_e64 s[0:1], v0, v0
	v_cndmask_b32_e64 v0, v9, v17, s[0:1]
	v_mul_f32_e32 v9, s31, v22
	v_bfe_u32 v17, v9, 16, 1
	v_add3_u32 v17, v17, v9, s30
	v_or_b32_e32 v18, 0x400000, v9
	v_cmp_u_f32_e64 s[0:1], v9, v9
	v_lshrrev_b32_e32 v0, 16, v0
	v_cndmask_b32_e64 v9, v17, v18, s[0:1]
	v_mov_b32_e32 v22, v0
	v_lshrrev_b32_e32 v0, 16, v9
	v_mul_f32_e32 v9, s31, v21
	v_bfe_u32 v17, v9, 16, 1
	v_add3_u32 v17, v17, v9, s30
	v_or_b32_e32 v18, 0x400000, v9
	v_cmp_u_f32_e64 s[0:1], v9, v9
	v_cndmask_b32_e64 v9, v17, v18, s[0:1]
	v_lshrrev_b32_e32 v60, 16, v9
	v_mul_f32_e32 v9, s31, v20
	v_bfe_u32 v17, v9, 16, 1
	v_add3_u32 v17, v17, v9, s30
	v_or_b32_e32 v18, 0x400000, v9
	v_cmp_u_f32_e64 s[0:1], v9, v9
	v_cndmask_b32_e64 v9, v17, v18, s[0:1]
	;; [unrolled: 7-line block ×6, first 2 shown]
	v_lshrrev_b32_e32 v56, 16, v9
	buffer_store_dword v0, off, s[56:59], 0 offset:76 ; 4-byte Folded Spill
	s_and_saveexec_b64 s[16:17], vcc
	s_cbranch_execz .LBB299_479
; %bb.478:                              ;   in Loop: Header=BB299_328 Depth=1
	v_cmp_gt_i32_e64 s[0:1], s33, v43
	v_add_u32_e32 v0, 1, v43
	v_cndmask_b32_e64 v58, 0, v58, s[0:1]
	v_cmp_gt_i32_e64 s[0:1], s33, v0
	v_add_u32_e32 v0, 2, v43
	v_cndmask_b32_e64 v57, 0, v57, s[0:1]
	;; [unrolled: 3-line block ×4, first 2 shown]
	v_cmp_gt_i32_e64 s[0:1], s33, v0
	buffer_load_dword v0, off, s[56:59], 0 offset:76 ; 4-byte Folded Reload
	s_waitcnt vmcnt(0)
	v_cndmask_b32_e64 v0, 0, v0, s[0:1]
	buffer_store_dword v0, off, s[56:59], 0 offset:76 ; 4-byte Folded Spill
	v_add_u32_e32 v0, 5, v43
	v_cmp_gt_i32_e64 s[0:1], s33, v0
	v_cndmask_b32_e64 v22, 0, v22, s[0:1]
	v_cmp_gt_i32_e64 s[0:1], s33, v63
	v_cndmask_b32_e64 v59, 0, v59, s[0:1]
	;; [unrolled: 2-line block ×3, first 2 shown]
.LBB299_479:                            ;   in Loop: Header=BB299_328 Depth=1
	s_or_b64 exec, exec, s[16:17]
	global_load_dwordx2 v[17:18], v[15:16], off offset:1536
	v_mov_b32_e32 v23, 0
	v_mov_b32_e32 v11, 0
	s_waitcnt vmcnt(0)
	v_cmp_ne_u16_sdwa s[0:1], v17, v10 src0_sel:BYTE_0 src1_sel:DWORD
	s_and_saveexec_b64 s[16:17], s[0:1]
	s_cbranch_execz .LBB299_485
; %bb.480:                              ;   in Loop: Header=BB299_328 Depth=1
	v_cmp_ne_u16_sdwa s[0:1], v17, s28 src0_sel:BYTE_0 src1_sel:DWORD
	v_bfrev_b32_e32 v11, 1
	s_and_saveexec_b64 s[18:19], s[0:1]
	s_cbranch_execz .LBB299_484
; %bb.481:                              ;   in Loop: Header=BB299_328 Depth=1
	v_and_b32_e32 v9, 0x7f, v17
	v_cmp_ne_u32_e64 s[0:1], s29, v9
	v_mov_b32_e32 v11, 0x7f800001
	s_and_saveexec_b64 s[20:21], s[0:1]
	s_cbranch_execz .LBB299_483
; %bb.482:                              ;   in Loop: Header=BB299_328 Depth=1
	v_and_b32_e32 v11, 7, v17
	v_lshrrev_b32_e32 v12, 3, v9
	v_cmp_gt_u32_e64 s[0:1], 8, v9
	v_ffbh_u32_e32 v9, v11
	v_min_u32_e32 v9, 32, v9
	v_subrev_u32_e32 v11, 28, v9
	v_sub_u32_e32 v9, 29, v9
	v_cndmask_b32_e64 v11, 0, v11, s[0:1]
	v_cndmask_b32_e64 v9, v12, v9, s[0:1]
	v_lshlrev_b64 v[11:12], v11, v[17:18]
	v_lshlrev_b32_e32 v12, 24, v17
	v_lshlrev_b32_e32 v11, 20, v11
	v_and_b32_e32 v11, 0x700000, v11
	v_and_b32_e32 v12, 0x80000000, v12
	v_lshl_add_u32 v9, v9, 23, v55
	v_or3_b32 v11, v12, v9, v11
.LBB299_483:                            ;   in Loop: Header=BB299_328 Depth=1
	s_or_b64 exec, exec, s[20:21]
.LBB299_484:                            ;   in Loop: Header=BB299_328 Depth=1
	s_or_b64 exec, exec, s[18:19]
.LBB299_485:                            ;   in Loop: Header=BB299_328 Depth=1
	s_or_b64 exec, exec, s[16:17]
	v_lshrrev_b16_e32 v9, 8, v17
	v_cmp_ne_u16_e64 s[0:1], 0, v9
	s_and_saveexec_b64 s[16:17], s[0:1]
	s_cbranch_execz .LBB299_491
; %bb.486:                              ;   in Loop: Header=BB299_328 Depth=1
	v_cmp_ne_u16_e64 s[0:1], s28, v9
	v_bfrev_b32_e32 v23, 1
	s_and_saveexec_b64 s[18:19], s[0:1]
	s_cbranch_execz .LBB299_490
; %bb.487:                              ;   in Loop: Header=BB299_328 Depth=1
	v_and_b32_e32 v12, 0x7f, v9
	v_cmp_ne_u32_e64 s[0:1], s29, v12
	v_mov_b32_e32 v23, 0x7f800001
	s_and_saveexec_b64 s[20:21], s[0:1]
	s_cbranch_execz .LBB299_489
; %bb.488:                              ;   in Loop: Header=BB299_328 Depth=1
	v_and_b32_e32 v19, 7, v9
	v_lshrrev_b32_e32 v21, 3, v12
	v_cmp_gt_u32_e64 s[0:1], 8, v12
	v_ffbh_u32_e32 v12, v19
	v_min_u32_e32 v12, 32, v12
	v_subrev_u32_e32 v23, 28, v12
	v_lshlrev_b64 v[23:24], v23, v[9:10]
	v_sub_u32_e32 v9, 29, v12
	v_and_b32_e32 v12, 7, v23
	v_cndmask_b32_e64 v9, v21, v9, s[0:1]
	v_cndmask_b32_e64 v12, v19, v12, s[0:1]
	v_lshlrev_b32_e32 v19, 16, v17
	v_lshlrev_b32_e32 v12, 20, v12
	v_and_b32_e32 v19, 0x80000000, v19
	v_lshl_add_u32 v9, v9, 23, v55
	v_or3_b32 v23, v19, v9, v12
.LBB299_489:                            ;   in Loop: Header=BB299_328 Depth=1
	s_or_b64 exec, exec, s[20:21]
.LBB299_490:                            ;   in Loop: Header=BB299_328 Depth=1
	s_or_b64 exec, exec, s[18:19]
.LBB299_491:                            ;   in Loop: Header=BB299_328 Depth=1
	s_or_b64 exec, exec, s[16:17]
	v_lshrrev_b32_e32 v9, 16, v17
	v_cmp_ne_u16_sdwa s[0:1], v9, v10 src0_sel:BYTE_0 src1_sel:DWORD
	v_mov_b32_e32 v24, 0
	v_mov_b32_e32 v12, 0
	s_and_saveexec_b64 s[16:17], s[0:1]
	s_cbranch_execz .LBB299_497
; %bb.492:                              ;   in Loop: Header=BB299_328 Depth=1
	v_cmp_ne_u16_sdwa s[0:1], v9, s28 src0_sel:BYTE_0 src1_sel:DWORD
	v_bfrev_b32_e32 v12, 1
	s_and_saveexec_b64 s[18:19], s[0:1]
	s_cbranch_execz .LBB299_496
; %bb.493:                              ;   in Loop: Header=BB299_328 Depth=1
	v_bfe_u32 v19, v17, 16, 7
	v_cmp_ne_u32_e64 s[0:1], s29, v19
	v_mov_b32_e32 v12, 0x7f800001
	s_and_saveexec_b64 s[20:21], s[0:1]
	s_cbranch_execz .LBB299_495
; %bb.494:                              ;   in Loop: Header=BB299_328 Depth=1
	v_and_b32_e32 v12, 7, v9
	v_lshrrev_b32_e32 v21, 3, v19
	v_cmp_gt_u32_e64 s[0:1], 8, v19
	v_ffbh_u32_e32 v19, v12
	v_min_u32_e32 v19, 32, v19
	v_subrev_u32_e32 v25, 28, v19
	v_lshlrev_b64 v[25:26], v25, v[9:10]
	v_sub_u32_e32 v19, 29, v19
	v_and_b32_e32 v25, 7, v25
	v_cndmask_b32_e64 v19, v21, v19, s[0:1]
	v_cndmask_b32_e64 v12, v12, v25, s[0:1]
	v_lshlrev_b32_e32 v9, 24, v9
	v_lshlrev_b32_e32 v12, 20, v12
	v_and_b32_e32 v9, 0x80000000, v9
	v_lshl_add_u32 v19, v19, 23, v55
	v_or3_b32 v12, v9, v19, v12
.LBB299_495:                            ;   in Loop: Header=BB299_328 Depth=1
	s_or_b64 exec, exec, s[20:21]
.LBB299_496:                            ;   in Loop: Header=BB299_328 Depth=1
	s_or_b64 exec, exec, s[18:19]
.LBB299_497:                            ;   in Loop: Header=BB299_328 Depth=1
	s_or_b64 exec, exec, s[16:17]
	v_cmp_lt_u32_e64 s[0:1], s5, v17
	s_and_saveexec_b64 s[16:17], s[0:1]
	s_cbranch_execz .LBB299_503
; %bb.498:                              ;   in Loop: Header=BB299_328 Depth=1
	v_lshrrev_b32_e32 v9, 24, v17
	v_cmp_ne_u32_e64 s[0:1], s28, v9
	v_bfrev_b32_e32 v24, 1
	s_and_saveexec_b64 s[18:19], s[0:1]
	s_cbranch_execz .LBB299_502
; %bb.499:                              ;   in Loop: Header=BB299_328 Depth=1
	v_bfe_u32 v19, v17, 24, 7
	v_cmp_ne_u32_e64 s[0:1], s29, v19
	v_mov_b32_e32 v24, 0x7f800001
	s_and_saveexec_b64 s[20:21], s[0:1]
	s_cbranch_execz .LBB299_501
; %bb.500:                              ;   in Loop: Header=BB299_328 Depth=1
	v_and_b32_e32 v21, 7, v9
	v_lshrrev_b32_e32 v26, 3, v19
	v_cmp_gt_u32_e64 s[0:1], 8, v19
	v_ffbh_u32_e32 v19, v21
	v_min_u32_e32 v19, 32, v19
	v_subrev_u32_e32 v24, 28, v19
	v_lshlrev_b64 v[24:25], v24, v[9:10]
	v_sub_u32_e32 v19, 29, v19
	v_and_b32_e32 v24, 7, v24
	v_cndmask_b32_e64 v19, v26, v19, s[0:1]
	v_cndmask_b32_e64 v21, v21, v24, s[0:1]
	v_lshlrev_b32_e32 v9, 24, v9
	v_lshlrev_b32_e32 v21, 20, v21
	v_and_b32_e32 v9, 0x80000000, v9
	v_lshl_add_u32 v19, v19, 23, v55
	v_or3_b32 v24, v9, v19, v21
.LBB299_501:                            ;   in Loop: Header=BB299_328 Depth=1
	s_or_b64 exec, exec, s[20:21]
.LBB299_502:                            ;   in Loop: Header=BB299_328 Depth=1
	s_or_b64 exec, exec, s[18:19]
.LBB299_503:                            ;   in Loop: Header=BB299_328 Depth=1
	s_or_b64 exec, exec, s[16:17]
	v_mov_b32_e32 v9, v18
	v_cmp_ne_u16_sdwa s[0:1], v18, v10 src0_sel:BYTE_0 src1_sel:DWORD
	v_mov_b32_e32 v21, 0
	v_mov_b32_e32 v25, 0
	s_and_saveexec_b64 s[16:17], s[0:1]
	s_cbranch_execz .LBB299_509
; %bb.504:                              ;   in Loop: Header=BB299_328 Depth=1
	v_cmp_ne_u16_sdwa s[0:1], v18, s28 src0_sel:BYTE_0 src1_sel:DWORD
	v_bfrev_b32_e32 v25, 1
	s_and_saveexec_b64 s[18:19], s[0:1]
	s_cbranch_execz .LBB299_508
; %bb.505:                              ;   in Loop: Header=BB299_328 Depth=1
	v_and_b32_e32 v19, 0x7f, v18
	v_cmp_ne_u32_e64 s[0:1], s29, v19
	v_mov_b32_e32 v25, 0x7f800001
	s_and_saveexec_b64 s[20:21], s[0:1]
	s_cbranch_execz .LBB299_507
; %bb.506:                              ;   in Loop: Header=BB299_328 Depth=1
	v_and_b32_e32 v25, 7, v18
	v_lshrrev_b32_e32 v26, 3, v19
	v_cmp_gt_u32_e64 s[0:1], 8, v19
	v_ffbh_u32_e32 v19, v25
	v_min_u32_e32 v19, 32, v19
	v_subrev_u32_e32 v25, 28, v19
	v_sub_u32_e32 v19, 29, v19
	v_cndmask_b32_e64 v25, 0, v25, s[0:1]
	v_cndmask_b32_e64 v19, v26, v19, s[0:1]
	v_lshlrev_b64 v[25:26], v25, v[9:10]
	v_lshlrev_b32_e32 v26, 24, v9
	v_lshlrev_b32_e32 v25, 20, v25
	v_and_b32_e32 v25, 0x700000, v25
	v_and_b32_e32 v26, 0x80000000, v26
	v_lshl_add_u32 v19, v19, 23, v55
	v_or3_b32 v25, v26, v19, v25
.LBB299_507:                            ;   in Loop: Header=BB299_328 Depth=1
	s_or_b64 exec, exec, s[20:21]
.LBB299_508:                            ;   in Loop: Header=BB299_328 Depth=1
	s_or_b64 exec, exec, s[18:19]
.LBB299_509:                            ;   in Loop: Header=BB299_328 Depth=1
	s_or_b64 exec, exec, s[16:17]
	v_lshrrev_b16_e32 v19, 8, v9
	v_cmp_ne_u16_e64 s[0:1], 0, v19
	s_and_saveexec_b64 s[16:17], s[0:1]
	s_cbranch_execz .LBB299_515
; %bb.510:                              ;   in Loop: Header=BB299_328 Depth=1
	v_cmp_ne_u16_e64 s[0:1], s28, v19
	v_bfrev_b32_e32 v21, 1
	s_and_saveexec_b64 s[18:19], s[0:1]
	s_cbranch_execz .LBB299_514
; %bb.511:                              ;   in Loop: Header=BB299_328 Depth=1
	v_and_b32_e32 v26, 0x7f, v19
	v_cmp_ne_u32_e64 s[0:1], s29, v26
	v_mov_b32_e32 v21, 0x7f800001
	s_and_saveexec_b64 s[20:21], s[0:1]
	s_cbranch_execz .LBB299_513
; %bb.512:                              ;   in Loop: Header=BB299_328 Depth=1
	v_and_b32_e32 v21, 7, v19
	v_lshrrev_b32_e32 v28, 3, v26
	v_cmp_gt_u32_e64 s[0:1], 8, v26
	v_ffbh_u32_e32 v26, v21
	v_min_u32_e32 v29, 32, v26
	v_subrev_u32_e32 v26, 28, v29
	v_lshlrev_b64 v[26:27], v26, v[19:20]
	v_sub_u32_e32 v19, 29, v29
	v_and_b32_e32 v26, 7, v26
	v_cndmask_b32_e64 v19, v28, v19, s[0:1]
	v_cndmask_b32_e64 v21, v21, v26, s[0:1]
	v_lshlrev_b32_e32 v9, 16, v9
	v_lshlrev_b32_e32 v21, 20, v21
	v_and_b32_e32 v9, 0x80000000, v9
	v_lshl_add_u32 v19, v19, 23, v55
	v_or3_b32 v21, v9, v19, v21
.LBB299_513:                            ;   in Loop: Header=BB299_328 Depth=1
	s_or_b64 exec, exec, s[20:21]
.LBB299_514:                            ;   in Loop: Header=BB299_328 Depth=1
	s_or_b64 exec, exec, s[18:19]
.LBB299_515:                            ;   in Loop: Header=BB299_328 Depth=1
	s_or_b64 exec, exec, s[16:17]
	v_lshrrev_b32_e32 v9, 16, v18
	v_cmp_ne_u16_sdwa s[0:1], v9, v10 src0_sel:BYTE_0 src1_sel:DWORD
	v_mov_b32_e32 v19, 0
	v_mov_b32_e32 v26, 0
	s_and_saveexec_b64 s[16:17], s[0:1]
	s_cbranch_execz .LBB299_521
; %bb.516:                              ;   in Loop: Header=BB299_328 Depth=1
	v_cmp_ne_u16_sdwa s[0:1], v9, s28 src0_sel:BYTE_0 src1_sel:DWORD
	v_bfrev_b32_e32 v26, 1
	s_and_saveexec_b64 s[18:19], s[0:1]
	s_cbranch_execz .LBB299_520
; %bb.517:                              ;   in Loop: Header=BB299_328 Depth=1
	v_bfe_u32 v27, v18, 16, 7
	v_cmp_ne_u32_e64 s[0:1], s29, v27
	v_mov_b32_e32 v26, 0x7f800001
	s_and_saveexec_b64 s[20:21], s[0:1]
	s_cbranch_execz .LBB299_519
; %bb.518:                              ;   in Loop: Header=BB299_328 Depth=1
	v_and_b32_e32 v28, 7, v9
	v_ffbh_u32_e32 v26, v28
	v_min_u32_e32 v30, 32, v26
	v_subrev_u32_e32 v26, 28, v30
	v_lshrrev_b32_e32 v29, 3, v27
	v_cmp_gt_u32_e64 s[0:1], 8, v27
	v_lshlrev_b64 v[26:27], v26, v[9:10]
	v_sub_u32_e32 v27, 29, v30
	v_and_b32_e32 v26, 7, v26
	v_cndmask_b32_e64 v27, v29, v27, s[0:1]
	v_cndmask_b32_e64 v26, v28, v26, s[0:1]
	v_lshlrev_b32_e32 v9, 24, v9
	v_lshlrev_b32_e32 v26, 20, v26
	v_and_b32_e32 v9, 0x80000000, v9
	v_lshl_add_u32 v27, v27, 23, v55
	v_or3_b32 v26, v9, v27, v26
.LBB299_519:                            ;   in Loop: Header=BB299_328 Depth=1
	s_or_b64 exec, exec, s[20:21]
.LBB299_520:                            ;   in Loop: Header=BB299_328 Depth=1
	s_or_b64 exec, exec, s[18:19]
.LBB299_521:                            ;   in Loop: Header=BB299_328 Depth=1
	s_or_b64 exec, exec, s[16:17]
	v_cmp_lt_u64_e64 s[0:1], s[4:5], v[17:18]
	s_and_saveexec_b64 s[16:17], s[0:1]
	s_cbranch_execz .LBB299_527
; %bb.522:                              ;   in Loop: Header=BB299_328 Depth=1
	v_lshrrev_b32_e32 v9, 24, v18
	v_cmp_ne_u32_e64 s[0:1], s28, v9
	v_bfrev_b32_e32 v19, 1
	s_and_saveexec_b64 s[18:19], s[0:1]
	s_cbranch_execz .LBB299_526
; %bb.523:                              ;   in Loop: Header=BB299_328 Depth=1
	v_bfe_u32 v17, v18, 24, 7
	v_cmp_ne_u32_e64 s[0:1], s29, v17
	v_mov_b32_e32 v19, 0x7f800001
	s_and_saveexec_b64 s[20:21], s[0:1]
	s_cbranch_execz .LBB299_525
; %bb.524:                              ;   in Loop: Header=BB299_328 Depth=1
	v_and_b32_e32 v19, 7, v9
	v_lshrrev_b32_e32 v27, 3, v17
	v_cmp_gt_u32_e64 s[0:1], 8, v17
	v_ffbh_u32_e32 v17, v19
	v_min_u32_e32 v28, 32, v17
	v_subrev_u32_e32 v17, 28, v28
	v_lshlrev_b64 v[17:18], v17, v[9:10]
	v_sub_u32_e32 v18, 29, v28
	v_and_b32_e32 v17, 7, v17
	v_cndmask_b32_e64 v18, v27, v18, s[0:1]
	v_cndmask_b32_e64 v17, v19, v17, s[0:1]
	v_lshlrev_b32_e32 v9, 24, v9
	v_lshlrev_b32_e32 v17, 20, v17
	v_and_b32_e32 v9, 0x80000000, v9
	v_lshl_add_u32 v18, v18, 23, v55
	v_or3_b32 v19, v9, v18, v17
.LBB299_525:                            ;   in Loop: Header=BB299_328 Depth=1
	s_or_b64 exec, exec, s[20:21]
.LBB299_526:                            ;   in Loop: Header=BB299_328 Depth=1
	s_or_b64 exec, exec, s[18:19]
.LBB299_527:                            ;   in Loop: Header=BB299_328 Depth=1
	s_or_b64 exec, exec, s[16:17]
	v_mul_f32_e32 v9, s31, v21
	v_bfe_u32 v17, v9, 16, 1
	v_add3_u32 v17, v17, v9, s30
	v_or_b32_e32 v18, 0x400000, v9
	v_cmp_u_f32_e64 s[0:1], v9, v9
	v_cndmask_b32_e64 v9, v17, v18, s[0:1]
	v_lshrrev_b32_e32 v21, 16, v9
	v_mul_f32_e32 v9, s31, v25
	v_bfe_u32 v17, v9, 16, 1
	v_add3_u32 v17, v17, v9, s30
	v_or_b32_e32 v18, 0x400000, v9
	v_cmp_u_f32_e64 s[0:1], v9, v9
	v_cndmask_b32_e64 v9, v17, v18, s[0:1]
	v_lshrrev_b32_e32 v29, 16, v9
	;; [unrolled: 7-line block ×8, first 2 shown]
	s_and_saveexec_b64 s[16:17], vcc
	s_cbranch_execz .LBB299_529
; %bb.528:                              ;   in Loop: Header=BB299_328 Depth=1
	v_cmp_gt_i32_e64 s[0:1], s33, v43
	v_add_u32_e32 v0, 1, v43
	v_cndmask_b32_e64 v24, 0, v24, s[0:1]
	v_cmp_gt_i32_e64 s[0:1], s33, v0
	v_add_u32_e32 v0, 2, v43
	v_cndmask_b32_e64 v25, 0, v25, s[0:1]
	;; [unrolled: 3-line block ×5, first 2 shown]
	v_cmp_gt_i32_e64 s[0:1], s33, v0
	v_cndmask_b32_e64 v21, 0, v21, s[0:1]
	v_cmp_gt_i32_e64 s[0:1], s33, v63
	v_cndmask_b32_e64 v11, 0, v11, s[0:1]
	;; [unrolled: 2-line block ×3, first 2 shown]
.LBB299_529:                            ;   in Loop: Header=BB299_328 Depth=1
	s_or_b64 exec, exec, s[16:17]
	global_load_dwordx2 v[17:18], v[15:16], off offset:2048
	v_mov_b32_e32 v28, 0
	v_mov_b32_e32 v26, 0
	s_waitcnt vmcnt(0)
	v_cmp_ne_u16_sdwa s[0:1], v17, v10 src0_sel:BYTE_0 src1_sel:DWORD
	s_and_saveexec_b64 s[16:17], s[0:1]
	s_cbranch_execz .LBB299_535
; %bb.530:                              ;   in Loop: Header=BB299_328 Depth=1
	v_cmp_ne_u16_sdwa s[0:1], v17, s28 src0_sel:BYTE_0 src1_sel:DWORD
	v_bfrev_b32_e32 v26, 1
	s_and_saveexec_b64 s[18:19], s[0:1]
	s_cbranch_execz .LBB299_534
; %bb.531:                              ;   in Loop: Header=BB299_328 Depth=1
	v_and_b32_e32 v9, 0x7f, v17
	v_cmp_ne_u32_e64 s[0:1], s29, v9
	v_mov_b32_e32 v26, 0x7f800001
	s_and_saveexec_b64 s[20:21], s[0:1]
	s_cbranch_execz .LBB299_533
; %bb.532:                              ;   in Loop: Header=BB299_328 Depth=1
	v_and_b32_e32 v19, 7, v17
	v_lshrrev_b32_e32 v26, 3, v9
	v_cmp_gt_u32_e64 s[0:1], 8, v9
	v_ffbh_u32_e32 v9, v19
	v_min_u32_e32 v9, 32, v9
	v_subrev_u32_e32 v19, 28, v9
	v_sub_u32_e32 v9, 29, v9
	v_cndmask_b32_e64 v19, 0, v19, s[0:1]
	v_cndmask_b32_e64 v9, v26, v9, s[0:1]
	v_lshlrev_b64 v[26:27], v19, v[17:18]
	v_lshl_add_u32 v9, v9, 23, v55
	v_lshlrev_b32_e32 v19, 20, v26
	v_lshlrev_b32_e32 v26, 24, v17
	v_and_b32_e32 v19, 0x700000, v19
	v_and_b32_e32 v26, 0x80000000, v26
	v_or3_b32 v26, v26, v9, v19
.LBB299_533:                            ;   in Loop: Header=BB299_328 Depth=1
	s_or_b64 exec, exec, s[20:21]
.LBB299_534:                            ;   in Loop: Header=BB299_328 Depth=1
	s_or_b64 exec, exec, s[18:19]
.LBB299_535:                            ;   in Loop: Header=BB299_328 Depth=1
	s_or_b64 exec, exec, s[16:17]
	v_lshrrev_b16_e32 v9, 8, v17
	v_cmp_ne_u16_e64 s[0:1], 0, v9
	s_and_saveexec_b64 s[16:17], s[0:1]
	s_cbranch_execz .LBB299_541
; %bb.536:                              ;   in Loop: Header=BB299_328 Depth=1
	v_cmp_ne_u16_e64 s[0:1], s28, v9
	v_bfrev_b32_e32 v28, 1
	s_and_saveexec_b64 s[18:19], s[0:1]
	s_cbranch_execz .LBB299_540
; %bb.537:                              ;   in Loop: Header=BB299_328 Depth=1
	v_and_b32_e32 v19, 0x7f, v9
	v_cmp_ne_u32_e64 s[0:1], s29, v19
	v_mov_b32_e32 v28, 0x7f800001
	s_and_saveexec_b64 s[20:21], s[0:1]
	s_cbranch_execz .LBB299_539
; %bb.538:                              ;   in Loop: Header=BB299_328 Depth=1
	v_and_b32_e32 v32, 7, v9
	v_lshrrev_b32_e32 v33, 3, v19
	v_cmp_gt_u32_e64 s[0:1], 8, v19
	v_ffbh_u32_e32 v19, v32
	v_min_u32_e32 v19, 32, v19
	v_subrev_u32_e32 v27, 28, v19
	v_lshlrev_b64 v[27:28], v27, v[9:10]
	v_sub_u32_e32 v9, 29, v19
	v_and_b32_e32 v19, 7, v27
	v_cndmask_b32_e64 v9, v33, v9, s[0:1]
	v_cndmask_b32_e64 v19, v32, v19, s[0:1]
	v_lshlrev_b32_e32 v27, 16, v17
	v_lshlrev_b32_e32 v19, 20, v19
	v_and_b32_e32 v27, 0x80000000, v27
	v_lshl_add_u32 v9, v9, 23, v55
	v_or3_b32 v28, v27, v9, v19
.LBB299_539:                            ;   in Loop: Header=BB299_328 Depth=1
	s_or_b64 exec, exec, s[20:21]
.LBB299_540:                            ;   in Loop: Header=BB299_328 Depth=1
	s_or_b64 exec, exec, s[18:19]
.LBB299_541:                            ;   in Loop: Header=BB299_328 Depth=1
	s_or_b64 exec, exec, s[16:17]
	v_lshrrev_b32_e32 v9, 16, v17
	v_cmp_ne_u16_sdwa s[0:1], v9, v10 src0_sel:BYTE_0 src1_sel:DWORD
	v_mov_b32_e32 v32, 0
	v_mov_b32_e32 v27, 0
	s_and_saveexec_b64 s[16:17], s[0:1]
	s_cbranch_execz .LBB299_547
; %bb.542:                              ;   in Loop: Header=BB299_328 Depth=1
	v_cmp_ne_u16_sdwa s[0:1], v9, s28 src0_sel:BYTE_0 src1_sel:DWORD
	v_bfrev_b32_e32 v27, 1
	s_and_saveexec_b64 s[18:19], s[0:1]
	s_cbranch_execz .LBB299_546
; %bb.543:                              ;   in Loop: Header=BB299_328 Depth=1
	v_bfe_u32 v19, v17, 16, 7
	v_cmp_ne_u32_e64 s[0:1], s29, v19
	v_mov_b32_e32 v27, 0x7f800001
	s_and_saveexec_b64 s[20:21], s[0:1]
	s_cbranch_execz .LBB299_545
; %bb.544:                              ;   in Loop: Header=BB299_328 Depth=1
	v_and_b32_e32 v27, 7, v9
	v_lshrrev_b32_e32 v33, 3, v19
	v_cmp_gt_u32_e64 s[0:1], 8, v19
	v_ffbh_u32_e32 v19, v27
	v_min_u32_e32 v19, 32, v19
	v_subrev_u32_e32 v34, 28, v19
	v_lshlrev_b64 v[35:36], v34, v[9:10]
	v_sub_u32_e32 v19, 29, v19
	v_and_b32_e32 v34, 7, v35
	v_cndmask_b32_e64 v19, v33, v19, s[0:1]
	v_cndmask_b32_e64 v27, v27, v34, s[0:1]
	v_lshlrev_b32_e32 v9, 24, v9
	v_lshlrev_b32_e32 v27, 20, v27
	v_and_b32_e32 v9, 0x80000000, v9
	v_lshl_add_u32 v19, v19, 23, v55
	v_or3_b32 v27, v9, v19, v27
.LBB299_545:                            ;   in Loop: Header=BB299_328 Depth=1
	s_or_b64 exec, exec, s[20:21]
.LBB299_546:                            ;   in Loop: Header=BB299_328 Depth=1
	s_or_b64 exec, exec, s[18:19]
.LBB299_547:                            ;   in Loop: Header=BB299_328 Depth=1
	s_or_b64 exec, exec, s[16:17]
	v_cmp_lt_u32_e64 s[0:1], s5, v17
	s_and_saveexec_b64 s[16:17], s[0:1]
	s_cbranch_execz .LBB299_553
; %bb.548:                              ;   in Loop: Header=BB299_328 Depth=1
	v_lshrrev_b32_e32 v9, 24, v17
	v_cmp_ne_u32_e64 s[0:1], s28, v9
	v_bfrev_b32_e32 v32, 1
	s_and_saveexec_b64 s[18:19], s[0:1]
	s_cbranch_execz .LBB299_552
; %bb.549:                              ;   in Loop: Header=BB299_328 Depth=1
	v_bfe_u32 v19, v17, 24, 7
	v_cmp_ne_u32_e64 s[0:1], s29, v19
	v_mov_b32_e32 v32, 0x7f800001
	s_and_saveexec_b64 s[20:21], s[0:1]
	s_cbranch_execz .LBB299_551
; %bb.550:                              ;   in Loop: Header=BB299_328 Depth=1
	v_and_b32_e32 v34, 7, v9
	v_lshrrev_b32_e32 v35, 3, v19
	v_cmp_gt_u32_e64 s[0:1], 8, v19
	v_ffbh_u32_e32 v19, v34
	v_min_u32_e32 v19, 32, v19
	v_subrev_u32_e32 v32, 28, v19
	v_lshlrev_b64 v[32:33], v32, v[9:10]
	v_sub_u32_e32 v19, 29, v19
	v_and_b32_e32 v32, 7, v32
	v_cndmask_b32_e64 v19, v35, v19, s[0:1]
	v_cndmask_b32_e64 v32, v34, v32, s[0:1]
	v_lshlrev_b32_e32 v9, 24, v9
	v_lshlrev_b32_e32 v32, 20, v32
	v_and_b32_e32 v9, 0x80000000, v9
	v_lshl_add_u32 v19, v19, 23, v55
	v_or3_b32 v32, v9, v19, v32
.LBB299_551:                            ;   in Loop: Header=BB299_328 Depth=1
	s_or_b64 exec, exec, s[20:21]
.LBB299_552:                            ;   in Loop: Header=BB299_328 Depth=1
	s_or_b64 exec, exec, s[18:19]
.LBB299_553:                            ;   in Loop: Header=BB299_328 Depth=1
	s_or_b64 exec, exec, s[16:17]
	v_mov_b32_e32 v9, v18
	v_cmp_ne_u16_sdwa s[0:1], v18, v10 src0_sel:BYTE_0 src1_sel:DWORD
	v_mov_b32_e32 v36, 0
	v_mov_b32_e32 v35, 0
	s_and_saveexec_b64 s[16:17], s[0:1]
	s_cbranch_execz .LBB299_559
; %bb.554:                              ;   in Loop: Header=BB299_328 Depth=1
	v_cmp_ne_u16_sdwa s[0:1], v18, s28 src0_sel:BYTE_0 src1_sel:DWORD
	v_bfrev_b32_e32 v35, 1
	s_and_saveexec_b64 s[18:19], s[0:1]
	s_cbranch_execz .LBB299_558
; %bb.555:                              ;   in Loop: Header=BB299_328 Depth=1
	v_and_b32_e32 v19, 0x7f, v18
	v_cmp_ne_u32_e64 s[0:1], s29, v19
	v_mov_b32_e32 v35, 0x7f800001
	s_and_saveexec_b64 s[20:21], s[0:1]
	s_cbranch_execz .LBB299_557
; %bb.556:                              ;   in Loop: Header=BB299_328 Depth=1
	v_and_b32_e32 v33, 7, v18
	v_lshrrev_b32_e32 v34, 3, v19
	v_cmp_gt_u32_e64 s[0:1], 8, v19
	v_ffbh_u32_e32 v19, v33
	v_min_u32_e32 v19, 32, v19
	v_subrev_u32_e32 v33, 28, v19
	v_cndmask_b32_e64 v33, 0, v33, s[0:1]
	v_lshlrev_b64 v[37:38], v33, v[9:10]
	v_sub_u32_e32 v19, 29, v19
	v_cndmask_b32_e64 v19, v34, v19, s[0:1]
	v_lshlrev_b32_e32 v33, 20, v37
	v_lshlrev_b32_e32 v34, 24, v9
	v_and_b32_e32 v33, 0x700000, v33
	v_and_b32_e32 v34, 0x80000000, v34
	v_lshl_add_u32 v19, v19, 23, v55
	v_or3_b32 v35, v34, v19, v33
.LBB299_557:                            ;   in Loop: Header=BB299_328 Depth=1
	s_or_b64 exec, exec, s[20:21]
.LBB299_558:                            ;   in Loop: Header=BB299_328 Depth=1
	s_or_b64 exec, exec, s[18:19]
.LBB299_559:                            ;   in Loop: Header=BB299_328 Depth=1
	s_or_b64 exec, exec, s[16:17]
	v_lshrrev_b16_e32 v19, 8, v9
	v_cmp_ne_u16_e64 s[0:1], 0, v19
	s_and_saveexec_b64 s[16:17], s[0:1]
	s_cbranch_execz .LBB299_565
; %bb.560:                              ;   in Loop: Header=BB299_328 Depth=1
	v_cmp_ne_u16_e64 s[0:1], s28, v19
	v_bfrev_b32_e32 v36, 1
	s_and_saveexec_b64 s[18:19], s[0:1]
	s_cbranch_execz .LBB299_564
; %bb.561:                              ;   in Loop: Header=BB299_328 Depth=1
	v_and_b32_e32 v33, 0x7f, v19
	v_cmp_ne_u32_e64 s[0:1], s29, v33
	v_mov_b32_e32 v36, 0x7f800001
	s_and_saveexec_b64 s[20:21], s[0:1]
	s_cbranch_execz .LBB299_563
; %bb.562:                              ;   in Loop: Header=BB299_328 Depth=1
	v_and_b32_e32 v34, 7, v19
	v_lshrrev_b32_e32 v38, 3, v33
	v_cmp_gt_u32_e64 s[0:1], 8, v33
	v_ffbh_u32_e32 v33, v34
	v_min_u32_e32 v33, 32, v33
	v_subrev_u32_e32 v36, 28, v33
	v_lshlrev_b64 v[36:37], v36, v[19:20]
	v_sub_u32_e32 v19, 29, v33
	v_and_b32_e32 v33, 7, v36
	v_cndmask_b32_e64 v19, v38, v19, s[0:1]
	v_cndmask_b32_e64 v33, v34, v33, s[0:1]
	v_lshlrev_b32_e32 v9, 16, v9
	v_lshlrev_b32_e32 v33, 20, v33
	v_and_b32_e32 v9, 0x80000000, v9
	v_lshl_add_u32 v19, v19, 23, v55
	v_or3_b32 v36, v9, v19, v33
.LBB299_563:                            ;   in Loop: Header=BB299_328 Depth=1
	s_or_b64 exec, exec, s[20:21]
.LBB299_564:                            ;   in Loop: Header=BB299_328 Depth=1
	s_or_b64 exec, exec, s[18:19]
.LBB299_565:                            ;   in Loop: Header=BB299_328 Depth=1
	s_or_b64 exec, exec, s[16:17]
	v_lshrrev_b32_e32 v9, 16, v18
	v_cmp_ne_u16_sdwa s[0:1], v9, v10 src0_sel:BYTE_0 src1_sel:DWORD
	v_mov_b32_e32 v37, 0
	v_mov_b32_e32 v38, 0
	s_and_saveexec_b64 s[16:17], s[0:1]
	s_cbranch_execz .LBB299_571
; %bb.566:                              ;   in Loop: Header=BB299_328 Depth=1
	v_cmp_ne_u16_sdwa s[0:1], v9, s28 src0_sel:BYTE_0 src1_sel:DWORD
	v_bfrev_b32_e32 v38, 1
	s_and_saveexec_b64 s[18:19], s[0:1]
	s_cbranch_execz .LBB299_570
; %bb.567:                              ;   in Loop: Header=BB299_328 Depth=1
	v_bfe_u32 v19, v18, 16, 7
	v_cmp_ne_u32_e64 s[0:1], s29, v19
	v_mov_b32_e32 v38, 0x7f800001
	s_and_saveexec_b64 s[20:21], s[0:1]
	s_cbranch_execz .LBB299_569
; %bb.568:                              ;   in Loop: Header=BB299_328 Depth=1
	v_and_b32_e32 v33, 7, v9
	v_lshrrev_b32_e32 v34, 3, v19
	v_cmp_gt_u32_e64 s[0:1], 8, v19
	v_ffbh_u32_e32 v19, v33
	v_min_u32_e32 v19, 32, v19
	v_subrev_u32_e32 v38, 28, v19
	v_lshlrev_b64 v[38:39], v38, v[9:10]
	v_sub_u32_e32 v19, 29, v19
	v_and_b32_e32 v38, 7, v38
	v_cndmask_b32_e64 v19, v34, v19, s[0:1]
	v_cndmask_b32_e64 v33, v33, v38, s[0:1]
	v_lshlrev_b32_e32 v9, 24, v9
	v_lshlrev_b32_e32 v33, 20, v33
	v_and_b32_e32 v9, 0x80000000, v9
	v_lshl_add_u32 v19, v19, 23, v55
	v_or3_b32 v38, v9, v19, v33
.LBB299_569:                            ;   in Loop: Header=BB299_328 Depth=1
	s_or_b64 exec, exec, s[20:21]
.LBB299_570:                            ;   in Loop: Header=BB299_328 Depth=1
	s_or_b64 exec, exec, s[18:19]
.LBB299_571:                            ;   in Loop: Header=BB299_328 Depth=1
	s_or_b64 exec, exec, s[16:17]
	v_cmp_lt_u64_e64 s[0:1], s[4:5], v[17:18]
	s_and_saveexec_b64 s[16:17], s[0:1]
	s_cbranch_execz .LBB299_577
; %bb.572:                              ;   in Loop: Header=BB299_328 Depth=1
	v_lshrrev_b32_e32 v9, 24, v18
	v_cmp_ne_u32_e64 s[0:1], s28, v9
	v_bfrev_b32_e32 v37, 1
	s_and_saveexec_b64 s[18:19], s[0:1]
	s_cbranch_execz .LBB299_576
; %bb.573:                              ;   in Loop: Header=BB299_328 Depth=1
	v_bfe_u32 v17, v18, 24, 7
	v_cmp_ne_u32_e64 s[0:1], s29, v17
	v_mov_b32_e32 v37, 0x7f800001
	s_and_saveexec_b64 s[20:21], s[0:1]
	s_cbranch_execz .LBB299_575
; %bb.574:                              ;   in Loop: Header=BB299_328 Depth=1
	v_and_b32_e32 v19, 7, v9
	v_lshrrev_b32_e32 v33, 3, v17
	v_cmp_gt_u32_e64 s[0:1], 8, v17
	v_ffbh_u32_e32 v17, v19
	v_min_u32_e32 v34, 32, v17
	v_subrev_u32_e32 v17, 28, v34
	v_lshlrev_b64 v[17:18], v17, v[9:10]
	v_sub_u32_e32 v18, 29, v34
	v_and_b32_e32 v17, 7, v17
	v_cndmask_b32_e64 v18, v33, v18, s[0:1]
	v_cndmask_b32_e64 v17, v19, v17, s[0:1]
	v_lshlrev_b32_e32 v9, 24, v9
	v_lshlrev_b32_e32 v17, 20, v17
	v_and_b32_e32 v9, 0x80000000, v9
	v_lshl_add_u32 v18, v18, 23, v55
	v_or3_b32 v37, v9, v18, v17
.LBB299_575:                            ;   in Loop: Header=BB299_328 Depth=1
	s_or_b64 exec, exec, s[20:21]
.LBB299_576:                            ;   in Loop: Header=BB299_328 Depth=1
	s_or_b64 exec, exec, s[18:19]
.LBB299_577:                            ;   in Loop: Header=BB299_328 Depth=1
	s_or_b64 exec, exec, s[16:17]
	v_mul_f32_e32 v9, s31, v36
	v_bfe_u32 v17, v9, 16, 1
	v_add3_u32 v17, v17, v9, s30
	v_or_b32_e32 v18, 0x400000, v9
	v_cmp_u_f32_e64 s[0:1], v9, v9
	v_cndmask_b32_e64 v9, v17, v18, s[0:1]
	v_lshrrev_b32_e32 v19, 16, v9
	v_mul_f32_e32 v9, s31, v35
	v_bfe_u32 v17, v9, 16, 1
	v_add3_u32 v17, v17, v9, s30
	v_or_b32_e32 v18, 0x400000, v9
	v_cmp_u_f32_e64 s[0:1], v9, v9
	v_cndmask_b32_e64 v9, v17, v18, s[0:1]
	v_lshrrev_b32_e32 v18, 16, v9
	;; [unrolled: 7-line block ×8, first 2 shown]
	s_and_saveexec_b64 s[16:17], vcc
	s_cbranch_execz .LBB299_579
; %bb.578:                              ;   in Loop: Header=BB299_328 Depth=1
	v_cmp_gt_i32_e64 s[0:1], s33, v43
	v_add_u32_e32 v0, 1, v43
	v_cndmask_b32_e64 v35, 0, v35, s[0:1]
	v_cmp_gt_i32_e64 s[0:1], s33, v0
	v_add_u32_e32 v0, 2, v43
	v_cndmask_b32_e64 v36, 0, v36, s[0:1]
	;; [unrolled: 3-line block ×5, first 2 shown]
	v_cmp_gt_i32_e64 s[0:1], s33, v0
	v_cndmask_b32_e64 v19, 0, v19, s[0:1]
	v_cmp_gt_i32_e64 s[0:1], s33, v63
	v_cndmask_b32_e64 v26, 0, v26, s[0:1]
	;; [unrolled: 2-line block ×3, first 2 shown]
.LBB299_579:                            ;   in Loop: Header=BB299_328 Depth=1
	s_or_b64 exec, exec, s[16:17]
	global_load_dwordx2 v[15:16], v[15:16], off offset:2560
	v_mov_b32_e32 v39, 0
	v_mov_b32_e32 v37, 0
	s_waitcnt vmcnt(0)
	v_cmp_ne_u16_sdwa s[0:1], v15, v10 src0_sel:BYTE_0 src1_sel:DWORD
	s_and_saveexec_b64 s[16:17], s[0:1]
	s_cbranch_execz .LBB299_585
; %bb.580:                              ;   in Loop: Header=BB299_328 Depth=1
	v_cmp_ne_u16_sdwa s[0:1], v15, s28 src0_sel:BYTE_0 src1_sel:DWORD
	v_bfrev_b32_e32 v37, 1
	s_and_saveexec_b64 s[18:19], s[0:1]
	s_cbranch_execz .LBB299_584
; %bb.581:                              ;   in Loop: Header=BB299_328 Depth=1
	v_and_b32_e32 v9, 0x7f, v15
	v_cmp_ne_u32_e64 s[0:1], s29, v9
	v_mov_b32_e32 v37, 0x7f800001
	s_and_saveexec_b64 s[20:21], s[0:1]
	s_cbranch_execz .LBB299_583
; %bb.582:                              ;   in Loop: Header=BB299_328 Depth=1
	v_and_b32_e32 v17, 7, v15
	v_lshrrev_b32_e32 v33, 3, v9
	v_cmp_gt_u32_e64 s[0:1], 8, v9
	v_ffbh_u32_e32 v9, v17
	v_min_u32_e32 v9, 32, v9
	v_subrev_u32_e32 v17, 28, v9
	v_cndmask_b32_e64 v17, 0, v17, s[0:1]
	v_lshlrev_b64 v[37:38], v17, v[15:16]
	v_sub_u32_e32 v9, 29, v9
	v_cndmask_b32_e64 v9, v33, v9, s[0:1]
	v_lshlrev_b32_e32 v17, 20, v37
	v_lshlrev_b32_e32 v33, 24, v15
	v_and_b32_e32 v17, 0x700000, v17
	v_and_b32_e32 v33, 0x80000000, v33
	v_lshl_add_u32 v9, v9, 23, v55
	v_or3_b32 v37, v33, v9, v17
.LBB299_583:                            ;   in Loop: Header=BB299_328 Depth=1
	s_or_b64 exec, exec, s[20:21]
.LBB299_584:                            ;   in Loop: Header=BB299_328 Depth=1
	s_or_b64 exec, exec, s[18:19]
.LBB299_585:                            ;   in Loop: Header=BB299_328 Depth=1
	s_or_b64 exec, exec, s[16:17]
	v_lshrrev_b16_e32 v9, 8, v15
	v_cmp_ne_u16_e64 s[0:1], 0, v9
	s_and_saveexec_b64 s[16:17], s[0:1]
	s_cbranch_execz .LBB299_591
; %bb.586:                              ;   in Loop: Header=BB299_328 Depth=1
	v_cmp_ne_u16_e64 s[0:1], s28, v9
	v_bfrev_b32_e32 v39, 1
	s_and_saveexec_b64 s[18:19], s[0:1]
	s_cbranch_execz .LBB299_590
; %bb.587:                              ;   in Loop: Header=BB299_328 Depth=1
	v_and_b32_e32 v17, 0x7f, v9
	v_cmp_ne_u32_e64 s[0:1], s29, v17
	v_mov_b32_e32 v39, 0x7f800001
	s_and_saveexec_b64 s[20:21], s[0:1]
	s_cbranch_execz .LBB299_589
; %bb.588:                              ;   in Loop: Header=BB299_328 Depth=1
	v_and_b32_e32 v33, 7, v9
	v_lshrrev_b32_e32 v34, 3, v17
	v_cmp_gt_u32_e64 s[0:1], 8, v17
	v_ffbh_u32_e32 v17, v33
	v_min_u32_e32 v17, 32, v17
	v_subrev_u32_e32 v38, 28, v17
	v_lshlrev_b64 v[38:39], v38, v[9:10]
	v_sub_u32_e32 v9, 29, v17
	v_and_b32_e32 v17, 7, v38
	v_cndmask_b32_e64 v9, v34, v9, s[0:1]
	v_cndmask_b32_e64 v17, v33, v17, s[0:1]
	v_lshlrev_b32_e32 v33, 16, v15
	v_lshlrev_b32_e32 v17, 20, v17
	v_and_b32_e32 v33, 0x80000000, v33
	v_lshl_add_u32 v9, v9, 23, v55
	v_or3_b32 v39, v33, v9, v17
.LBB299_589:                            ;   in Loop: Header=BB299_328 Depth=1
	s_or_b64 exec, exec, s[20:21]
.LBB299_590:                            ;   in Loop: Header=BB299_328 Depth=1
	s_or_b64 exec, exec, s[18:19]
.LBB299_591:                            ;   in Loop: Header=BB299_328 Depth=1
	s_or_b64 exec, exec, s[16:17]
	v_lshrrev_b32_e32 v9, 16, v15
	v_cmp_ne_u16_sdwa s[0:1], v9, v10 src0_sel:BYTE_0 src1_sel:DWORD
	v_mov_b32_e32 v40, 0
	v_mov_b32_e32 v38, 0
	s_and_saveexec_b64 s[16:17], s[0:1]
	s_cbranch_execz .LBB299_597
; %bb.592:                              ;   in Loop: Header=BB299_328 Depth=1
	v_cmp_ne_u16_sdwa s[0:1], v9, s28 src0_sel:BYTE_0 src1_sel:DWORD
	v_bfrev_b32_e32 v38, 1
	s_and_saveexec_b64 s[18:19], s[0:1]
	s_cbranch_execz .LBB299_596
; %bb.593:                              ;   in Loop: Header=BB299_328 Depth=1
	v_bfe_u32 v17, v15, 16, 7
	v_cmp_ne_u32_e64 s[0:1], s29, v17
	v_mov_b32_e32 v38, 0x7f800001
	s_and_saveexec_b64 s[20:21], s[0:1]
	s_cbranch_execz .LBB299_595
; %bb.594:                              ;   in Loop: Header=BB299_328 Depth=1
	v_and_b32_e32 v33, 7, v9
	v_lshrrev_b32_e32 v34, 3, v17
	v_cmp_gt_u32_e64 s[0:1], 8, v17
	v_ffbh_u32_e32 v17, v33
	v_min_u32_e32 v17, 32, v17
	v_subrev_u32_e32 v38, 28, v17
	v_lshlrev_b64 v[41:42], v38, v[9:10]
	v_sub_u32_e32 v17, 29, v17
	v_and_b32_e32 v38, 7, v41
	v_cndmask_b32_e64 v17, v34, v17, s[0:1]
	v_cndmask_b32_e64 v33, v33, v38, s[0:1]
	v_lshlrev_b32_e32 v9, 24, v9
	v_lshlrev_b32_e32 v33, 20, v33
	v_and_b32_e32 v9, 0x80000000, v9
	v_lshl_add_u32 v17, v17, 23, v55
	v_or3_b32 v38, v9, v17, v33
.LBB299_595:                            ;   in Loop: Header=BB299_328 Depth=1
	s_or_b64 exec, exec, s[20:21]
.LBB299_596:                            ;   in Loop: Header=BB299_328 Depth=1
	s_or_b64 exec, exec, s[18:19]
.LBB299_597:                            ;   in Loop: Header=BB299_328 Depth=1
	s_or_b64 exec, exec, s[16:17]
	v_cmp_lt_u32_e64 s[0:1], s5, v15
	s_and_saveexec_b64 s[16:17], s[0:1]
	s_cbranch_execz .LBB299_603
; %bb.598:                              ;   in Loop: Header=BB299_328 Depth=1
	v_lshrrev_b32_e32 v9, 24, v15
	v_cmp_ne_u32_e64 s[0:1], s28, v9
	v_bfrev_b32_e32 v40, 1
	s_and_saveexec_b64 s[18:19], s[0:1]
	s_cbranch_execz .LBB299_602
; %bb.599:                              ;   in Loop: Header=BB299_328 Depth=1
	v_bfe_u32 v17, v15, 24, 7
	v_cmp_ne_u32_e64 s[0:1], s29, v17
	v_mov_b32_e32 v40, 0x7f800001
	s_and_saveexec_b64 s[20:21], s[0:1]
	s_cbranch_execz .LBB299_601
; %bb.600:                              ;   in Loop: Header=BB299_328 Depth=1
	v_and_b32_e32 v33, 7, v9
	v_lshrrev_b32_e32 v34, 3, v17
	v_cmp_gt_u32_e64 s[0:1], 8, v17
	v_ffbh_u32_e32 v17, v33
	v_min_u32_e32 v17, 32, v17
	v_subrev_u32_e32 v40, 28, v17
	v_lshlrev_b64 v[40:41], v40, v[9:10]
	v_sub_u32_e32 v17, 29, v17
	v_and_b32_e32 v40, 7, v40
	v_cndmask_b32_e64 v17, v34, v17, s[0:1]
	v_cndmask_b32_e64 v33, v33, v40, s[0:1]
	v_lshlrev_b32_e32 v9, 24, v9
	v_lshlrev_b32_e32 v33, 20, v33
	v_and_b32_e32 v9, 0x80000000, v9
	v_lshl_add_u32 v17, v17, 23, v55
	v_or3_b32 v40, v9, v17, v33
.LBB299_601:                            ;   in Loop: Header=BB299_328 Depth=1
	s_or_b64 exec, exec, s[20:21]
.LBB299_602:                            ;   in Loop: Header=BB299_328 Depth=1
	s_or_b64 exec, exec, s[18:19]
.LBB299_603:                            ;   in Loop: Header=BB299_328 Depth=1
	s_or_b64 exec, exec, s[16:17]
	v_mov_b32_e32 v9, v16
	v_cmp_ne_u16_sdwa s[0:1], v16, v10 src0_sel:BYTE_0 src1_sel:DWORD
	v_mov_b32_e32 v42, 0
	v_mov_b32_e32 v41, 0
	s_and_saveexec_b64 s[16:17], s[0:1]
	s_cbranch_execz .LBB299_609
; %bb.604:                              ;   in Loop: Header=BB299_328 Depth=1
	v_cmp_ne_u16_sdwa s[0:1], v16, s28 src0_sel:BYTE_0 src1_sel:DWORD
	v_bfrev_b32_e32 v41, 1
	s_and_saveexec_b64 s[18:19], s[0:1]
	s_cbranch_execz .LBB299_608
; %bb.605:                              ;   in Loop: Header=BB299_328 Depth=1
	v_and_b32_e32 v17, 0x7f, v16
	v_cmp_ne_u32_e64 s[0:1], s29, v17
	v_mov_b32_e32 v41, 0x7f800001
	s_and_saveexec_b64 s[20:21], s[0:1]
	s_cbranch_execz .LBB299_607
; %bb.606:                              ;   in Loop: Header=BB299_328 Depth=1
	v_and_b32_e32 v33, 7, v16
	v_lshrrev_b32_e32 v34, 3, v17
	v_cmp_gt_u32_e64 s[0:1], 8, v17
	v_ffbh_u32_e32 v17, v33
	v_min_u32_e32 v17, 32, v17
	v_subrev_u32_e32 v33, 28, v17
	v_cndmask_b32_e64 v33, 0, v33, s[0:1]
	v_mov_b32_e32 v0, v52
	v_lshlrev_b64 v[51:52], v33, v[9:10]
	v_sub_u32_e32 v17, 29, v17
	v_cndmask_b32_e64 v17, v34, v17, s[0:1]
	v_lshlrev_b32_e32 v33, 20, v51
	v_lshlrev_b32_e32 v34, 24, v9
	v_and_b32_e32 v33, 0x700000, v33
	v_and_b32_e32 v34, 0x80000000, v34
	v_lshl_add_u32 v17, v17, 23, v55
	v_mov_b32_e32 v52, v0
	v_or3_b32 v41, v34, v17, v33
.LBB299_607:                            ;   in Loop: Header=BB299_328 Depth=1
	s_or_b64 exec, exec, s[20:21]
.LBB299_608:                            ;   in Loop: Header=BB299_328 Depth=1
	s_or_b64 exec, exec, s[18:19]
.LBB299_609:                            ;   in Loop: Header=BB299_328 Depth=1
	s_or_b64 exec, exec, s[16:17]
	v_lshrrev_b16_e32 v17, 8, v9
	v_cmp_ne_u16_e64 s[0:1], 0, v17
	s_and_saveexec_b64 s[16:17], s[0:1]
	s_cbranch_execz .LBB299_615
; %bb.610:                              ;   in Loop: Header=BB299_328 Depth=1
	v_cmp_ne_u16_e64 s[0:1], s28, v17
	v_bfrev_b32_e32 v42, 1
	s_and_saveexec_b64 s[18:19], s[0:1]
	s_cbranch_execz .LBB299_614
; %bb.611:                              ;   in Loop: Header=BB299_328 Depth=1
	v_and_b32_e32 v33, 0x7f, v17
	v_cmp_ne_u32_e64 s[0:1], s29, v33
	v_mov_b32_e32 v42, 0x7f800001
	s_and_saveexec_b64 s[20:21], s[0:1]
	s_cbranch_execz .LBB299_613
; %bb.612:                              ;   in Loop: Header=BB299_328 Depth=1
	v_and_b32_e32 v34, 7, v17
	v_lshrrev_b32_e32 v42, 3, v33
	v_cmp_gt_u32_e64 s[0:1], 8, v33
	v_ffbh_u32_e32 v33, v34
	v_min_u32_e32 v33, 32, v33
	v_subrev_u32_e32 v51, 28, v33
	v_mov_b32_e32 v0, v52
	v_lshlrev_b64 v[51:52], v51, v[17:18]
	v_sub_u32_e32 v17, 29, v33
	v_and_b32_e32 v33, 7, v51
	v_cndmask_b32_e64 v17, v42, v17, s[0:1]
	v_cndmask_b32_e64 v33, v34, v33, s[0:1]
	v_lshlrev_b32_e32 v9, 16, v9
	v_lshlrev_b32_e32 v33, 20, v33
	v_and_b32_e32 v9, 0x80000000, v9
	v_lshl_add_u32 v17, v17, 23, v55
	v_mov_b32_e32 v52, v0
	v_or3_b32 v42, v9, v17, v33
.LBB299_613:                            ;   in Loop: Header=BB299_328 Depth=1
	s_or_b64 exec, exec, s[20:21]
.LBB299_614:                            ;   in Loop: Header=BB299_328 Depth=1
	s_or_b64 exec, exec, s[18:19]
.LBB299_615:                            ;   in Loop: Header=BB299_328 Depth=1
	s_or_b64 exec, exec, s[16:17]
	v_lshrrev_b32_e32 v9, 16, v16
	v_cmp_ne_u16_sdwa s[0:1], v9, v10 src0_sel:BYTE_0 src1_sel:DWORD
	v_mov_b32_e32 v51, 0
	v_mov_b32_e32 v17, 0
	s_and_saveexec_b64 s[16:17], s[0:1]
	s_cbranch_execz .LBB299_621
; %bb.616:                              ;   in Loop: Header=BB299_328 Depth=1
	v_cmp_ne_u16_sdwa s[0:1], v9, s28 src0_sel:BYTE_0 src1_sel:DWORD
	v_bfrev_b32_e32 v17, 1
	s_and_saveexec_b64 s[18:19], s[0:1]
	s_cbranch_execz .LBB299_620
; %bb.617:                              ;   in Loop: Header=BB299_328 Depth=1
	v_bfe_u32 v33, v16, 16, 7
	v_cmp_ne_u32_e64 s[0:1], s29, v33
	v_mov_b32_e32 v17, 0x7f800001
	s_and_saveexec_b64 s[20:21], s[0:1]
	s_cbranch_execz .LBB299_619
; %bb.618:                              ;   in Loop: Header=BB299_328 Depth=1
	v_and_b32_e32 v17, 7, v9
	v_lshrrev_b32_e32 v34, 3, v33
	v_cmp_gt_u32_e64 s[0:1], 8, v33
	v_ffbh_u32_e32 v33, v17
	v_min_u32_e32 v33, 32, v33
	v_mov_b32_e32 v20, v59
	v_mov_b32_e32 v59, v58
	;; [unrolled: 1-line block ×12, first 2 shown]
	v_subrev_u32_e32 v52, 28, v33
	v_mov_b32_e32 v0, v54
	v_lshlrev_b64 v[54:55], v52, v[9:10]
	v_sub_u32_e32 v33, 29, v33
	v_and_b32_e32 v52, 7, v54
	v_bfrev_b32_e32 v55, 60
	v_cndmask_b32_e64 v33, v34, v33, s[0:1]
	v_cndmask_b32_e64 v17, v17, v52, s[0:1]
	v_lshlrev_b32_e32 v9, 24, v9
	v_lshlrev_b32_e32 v17, 20, v17
	v_and_b32_e32 v9, 0x80000000, v9
	v_lshl_add_u32 v33, v33, 23, v55
	v_mov_b32_e32 v54, v0
	v_mov_b32_e32 v52, v62
	;; [unrolled: 1-line block ×13, first 2 shown]
	v_or3_b32 v17, v9, v33, v17
.LBB299_619:                            ;   in Loop: Header=BB299_328 Depth=1
	s_or_b64 exec, exec, s[20:21]
.LBB299_620:                            ;   in Loop: Header=BB299_328 Depth=1
	s_or_b64 exec, exec, s[18:19]
.LBB299_621:                            ;   in Loop: Header=BB299_328 Depth=1
	s_or_b64 exec, exec, s[16:17]
	v_cmp_lt_u64_e64 s[0:1], s[4:5], v[15:16]
	s_and_saveexec_b64 s[16:17], s[0:1]
	s_cbranch_execz .LBB299_627
; %bb.622:                              ;   in Loop: Header=BB299_328 Depth=1
	v_lshrrev_b32_e32 v9, 24, v16
	v_cmp_ne_u32_e64 s[0:1], s28, v9
	v_bfrev_b32_e32 v51, 1
	s_and_saveexec_b64 s[18:19], s[0:1]
	s_cbranch_execz .LBB299_626
; %bb.623:                              ;   in Loop: Header=BB299_328 Depth=1
	v_bfe_u32 v15, v16, 24, 7
	v_cmp_ne_u32_e64 s[0:1], s29, v15
	v_mov_b32_e32 v51, 0x7f800001
	s_and_saveexec_b64 s[20:21], s[0:1]
	s_cbranch_execz .LBB299_625
; %bb.624:                              ;   in Loop: Header=BB299_328 Depth=1
	v_and_b32_e32 v33, 7, v9
	v_lshrrev_b32_e32 v34, 3, v15
	v_cmp_gt_u32_e64 s[0:1], 8, v15
	v_ffbh_u32_e32 v15, v33
	v_min_u32_e32 v51, 32, v15
	v_subrev_u32_e32 v15, 28, v51
	v_lshlrev_b64 v[15:16], v15, v[9:10]
	v_sub_u32_e32 v16, 29, v51
	v_and_b32_e32 v15, 7, v15
	v_cndmask_b32_e64 v16, v34, v16, s[0:1]
	v_cndmask_b32_e64 v15, v33, v15, s[0:1]
	v_lshlrev_b32_e32 v9, 24, v9
	v_lshlrev_b32_e32 v15, 20, v15
	v_and_b32_e32 v9, 0x80000000, v9
	v_lshl_add_u32 v16, v16, 23, v55
	v_or3_b32 v51, v9, v16, v15
.LBB299_625:                            ;   in Loop: Header=BB299_328 Depth=1
	s_or_b64 exec, exec, s[20:21]
.LBB299_626:                            ;   in Loop: Header=BB299_328 Depth=1
	s_or_b64 exec, exec, s[18:19]
.LBB299_627:                            ;   in Loop: Header=BB299_328 Depth=1
	s_or_b64 exec, exec, s[16:17]
	v_mul_f32_e32 v9, s31, v42
	v_bfe_u32 v15, v9, 16, 1
	v_add3_u32 v15, v15, v9, s30
	v_or_b32_e32 v16, 0x400000, v9
	v_cmp_u_f32_e64 s[0:1], v9, v9
	v_cndmask_b32_e64 v9, v15, v16, s[0:1]
	v_mul_f32_e32 v15, s31, v41
	v_bfe_u32 v16, v15, 16, 1
	v_add3_u32 v16, v16, v15, s30
	v_or_b32_e32 v33, 0x400000, v15
	v_cmp_u_f32_e64 s[0:1], v15, v15
	v_cndmask_b32_e64 v15, v16, v33, s[0:1]
	;; [unrolled: 6-line block ×4, first 2 shown]
	v_lshrrev_b32_e32 v38, 16, v33
	v_mul_f32_e32 v33, s31, v39
	v_bfe_u32 v34, v33, 16, 1
	v_add3_u32 v34, v34, v33, s30
	v_or_b32_e32 v39, 0x400000, v33
	v_cmp_u_f32_e64 s[0:1], v33, v33
	v_cndmask_b32_e64 v33, v34, v39, s[0:1]
	v_lshrrev_b32_e32 v39, 16, v33
	v_mul_f32_e32 v33, s31, v37
	v_bfe_u32 v34, v33, 16, 1
	v_add3_u32 v34, v34, v33, s30
	v_or_b32_e32 v37, 0x400000, v33
	v_cmp_u_f32_e64 s[0:1], v33, v33
	v_cndmask_b32_e64 v33, v34, v37, s[0:1]
	v_mul_f32_e32 v17, s31, v17
	v_lshrrev_b32_e32 v40, 16, v33
	v_bfe_u32 v33, v17, 16, 1
	v_add3_u32 v33, v33, v17, s30
	v_or_b32_e32 v34, 0x400000, v17
	v_cmp_u_f32_e64 s[0:1], v17, v17
	v_cndmask_b32_e64 v17, v33, v34, s[0:1]
	v_mul_f32_e32 v33, s31, v51
	v_bfe_u32 v34, v33, 16, 1
	v_add3_u32 v34, v34, v33, s30
	v_or_b32_e32 v37, 0x400000, v33
	v_cmp_u_f32_e64 s[0:1], v33, v33
	v_cndmask_b32_e64 v33, v34, v37, s[0:1]
	v_lshrrev_b32_e32 v9, 16, v9
	v_lshrrev_b32_e32 v15, 16, v15
	;; [unrolled: 1-line block ×5, first 2 shown]
	s_and_saveexec_b64 s[0:1], vcc
	s_cbranch_execz .LBB299_326
; %bb.628:                              ;   in Loop: Header=BB299_328 Depth=1
	buffer_load_dword v0, off, s[56:59], 0 offset:128 ; 4-byte Folded Reload
	v_cmp_gt_i32_e32 vcc, s33, v43
	v_cndmask_b32_e32 v40, 0, v40, vcc
	s_waitcnt vmcnt(0)
	v_cmp_gt_i32_e32 vcc, s33, v0
	buffer_load_dword v0, off, s[56:59], 0 offset:124 ; 4-byte Folded Reload
	v_cndmask_b32_e32 v39, 0, v39, vcc
	s_waitcnt vmcnt(0)
	v_cmp_gt_i32_e32 vcc, s33, v0
	buffer_load_dword v0, off, s[56:59], 0 offset:120 ; 4-byte Folded Reload
	;; [unrolled: 4-line block ×4, first 2 shown]
	v_cndmask_b32_e32 v15, 0, v15, vcc
	s_waitcnt vmcnt(0)
	v_cmp_gt_i32_e32 vcc, s33, v0
	v_cndmask_b32_e32 v9, 0, v9, vcc
	v_cmp_gt_i32_e32 vcc, s33, v63
	v_cndmask_b32_e32 v17, 0, v17, vcc
	;; [unrolled: 2-line block ×3, first 2 shown]
	s_branch .LBB299_326
.LBB299_629:
	s_or_b64 exec, exec, s[6:7]
	buffer_load_dword v13, off, s[56:59], 0 offset:144 ; 4-byte Folded Reload
	buffer_load_dword v15, off, s[56:59], 0 offset:148 ; 4-byte Folded Reload
	;; [unrolled: 1-line block ×3, first 2 shown]
.LBB299_630:
	s_or_b64 exec, exec, s[2:3]
	buffer_load_dword v4, off, s[56:59], 0 offset:104 ; 4-byte Folded Reload
	buffer_load_dword v3, off, s[56:59], 0 offset:100 ; 4-byte Folded Reload
	;; [unrolled: 1-line block ×4, first 2 shown]
	s_waitcnt vmcnt(0)
	s_barrier
	ds_bpermute_b32 v1, v15, v54
	ds_bpermute_b32 v0, v15, v4
	;; [unrolled: 1-line block ×5, first 2 shown]
	s_waitcnt lgkmcnt(3)
	v_add_f32_e32 v5, v4, v0
	s_waitcnt lgkmcnt(2)
	v_add_f32_e32 v3, v3, v2
	;; [unrolled: 2-line block ×3, first 2 shown]
	buffer_load_dword v6, off, s[56:59], 0 offset:224 ; 4-byte Folded Reload
	ds_bpermute_b32 v0, v15, v53
	v_add_f32_e32 v4, v54, v1
	s_waitcnt lgkmcnt(1)
	v_add_f32_e32 v1, v10, v7
	s_waitcnt lgkmcnt(0)
	v_add_f32_e32 v0, v53, v0
	s_waitcnt vmcnt(0)
	v_and_b32_e32 v7, 0x3c1, v6
	v_cmp_eq_u32_e32 vcc, 64, v7
	s_and_saveexec_b64 s[0:1], vcc
	s_cbranch_execz .LBB299_632
; %bb.631:
	v_mov_b32_e32 v6, 0x190
	v_lshl_add_u32 v6, v13, 1, v6
	ds_write2_b32 v6, v5, v4 offset1:32
	ds_write2_b32 v6, v3, v2 offset0:64 offset1:96
	ds_write2_b32 v6, v1, v0 offset0:128 offset1:160
.LBB299_632:
	s_or_b64 exec, exec, s[0:1]
	buffer_load_dword v6, off, s[56:59], 0 offset:224 ; 4-byte Folded Reload
	s_waitcnt vmcnt(0) lgkmcnt(0)
	s_barrier
	v_cmp_gt_u32_e32 vcc, 64, v6
	v_lshrrev_b32_e32 v6, 1, v6
	s_and_saveexec_b64 s[0:1], vcc
	s_cbranch_execz .LBB299_641
; %bb.633:
	v_cmp_eq_u32_e32 vcc, 0, v8
	v_mov_b32_e32 v8, 0x190
	v_lshl_add_u32 v8, v6, 2, v8
	s_and_saveexec_b64 s[2:3], vcc
	s_cbranch_execnz .LBB299_644
; %bb.634:
	s_or_b64 exec, exec, s[2:3]
	s_and_saveexec_b64 s[2:3], vcc
	s_cbranch_execnz .LBB299_645
.LBB299_635:
	s_or_b64 exec, exec, s[2:3]
	s_and_saveexec_b64 s[2:3], vcc
	s_cbranch_execnz .LBB299_646
.LBB299_636:
	s_or_b64 exec, exec, s[2:3]
	s_and_saveexec_b64 s[2:3], vcc
	s_cbranch_execnz .LBB299_647
.LBB299_637:
	s_or_b64 exec, exec, s[2:3]
	s_and_saveexec_b64 s[2:3], vcc
	s_cbranch_execnz .LBB299_648
.LBB299_638:
	s_or_b64 exec, exec, s[2:3]
	s_and_saveexec_b64 s[2:3], vcc
	s_cbranch_execz .LBB299_640
.LBB299_639:
	ds_read_b32 v8, v8 offset:640
	s_waitcnt lgkmcnt(0)
	v_add_f32_e32 v0, v0, v8
.LBB299_640:
	s_or_b64 exec, exec, s[2:3]
.LBB299_641:
	s_or_b64 exec, exec, s[0:1]
	v_cmp_eq_u32_e32 vcc, 0, v7
	s_barrier
	s_and_saveexec_b64 s[0:1], vcc
	s_cbranch_execz .LBB299_643
; %bb.642:
	s_mul_i32 s0, s10, s11
	s_mul_i32 s0, s0, s9
	s_mulk_i32 s0, 0xc0
	s_ashr_i32 s1, s0, 31
	s_lshl_b64 s[0:1], s[0:1], 1
	s_add_u32 s2, s26, s0
	s_mul_i32 s0, s11, s24
	s_addc_u32 s3, s27, s1
	s_ashr_i32 s1, s0, 31
	s_lshl_b64 s[0:1], s[0:1], 1
	s_add_u32 s2, s2, s0
	s_mul_i32 s0, s8, 0xc0
	s_addc_u32 s3, s3, s1
	s_ashr_i32 s1, s0, 31
	s_lshl_b64 s[0:1], s[0:1], 1
	s_add_u32 s0, s2, s0
	v_bfe_u32 v7, v5, 16, 1
	s_movk_i32 s2, 0x7fff
	v_add3_u32 v7, v7, v5, s2
	v_or_b32_e32 v8, 0x400000, v5
	v_cmp_u_f32_e32 vcc, v5, v5
	s_addc_u32 s1, s3, s1
	v_lshlrev_b32_e32 v6, 1, v6
	v_cndmask_b32_e32 v5, v7, v8, vcc
	global_store_short_d16_hi v6, v5, s[0:1]
	v_bfe_u32 v5, v4, 16, 1
	v_add3_u32 v5, v5, v4, s2
	v_or_b32_e32 v7, 0x400000, v4
	v_cmp_u_f32_e32 vcc, v4, v4
	v_cndmask_b32_e32 v4, v5, v7, vcc
	global_store_short_d16_hi v6, v4, s[0:1] offset:64
	v_bfe_u32 v4, v3, 16, 1
	v_add3_u32 v4, v4, v3, s2
	v_or_b32_e32 v5, 0x400000, v3
	v_cmp_u_f32_e32 vcc, v3, v3
	v_cndmask_b32_e32 v3, v4, v5, vcc
	global_store_short_d16_hi v6, v3, s[0:1] offset:128
	;; [unrolled: 6-line block ×5, first 2 shown]
.LBB299_643:
	s_endpgm
.LBB299_644:
	ds_read_b32 v9, v8
	s_waitcnt lgkmcnt(0)
	v_add_f32_e32 v5, v5, v9
	s_or_b64 exec, exec, s[2:3]
	s_and_saveexec_b64 s[2:3], vcc
	s_cbranch_execz .LBB299_635
.LBB299_645:
	ds_read_b32 v9, v8 offset:128
	s_waitcnt lgkmcnt(0)
	v_add_f32_e32 v4, v4, v9
	s_or_b64 exec, exec, s[2:3]
	s_and_saveexec_b64 s[2:3], vcc
	s_cbranch_execz .LBB299_636
.LBB299_646:
	ds_read_b32 v9, v8 offset:256
	s_waitcnt lgkmcnt(0)
	v_add_f32_e32 v3, v3, v9
	s_or_b64 exec, exec, s[2:3]
	s_and_saveexec_b64 s[2:3], vcc
	s_cbranch_execz .LBB299_637
.LBB299_647:
	ds_read_b32 v9, v8 offset:384
	s_waitcnt lgkmcnt(0)
	v_add_f32_e32 v2, v2, v9
	s_or_b64 exec, exec, s[2:3]
	s_and_saveexec_b64 s[2:3], vcc
	s_cbranch_execz .LBB299_638
.LBB299_648:
	ds_read_b32 v9, v8 offset:512
	s_waitcnt lgkmcnt(0)
	v_add_f32_e32 v1, v1, v9
	s_or_b64 exec, exec, s[2:3]
	s_and_saveexec_b64 s[2:3], vcc
	s_cbranch_execnz .LBB299_639
	s_branch .LBB299_640
	.section	.rodata,"a",@progbits
	.p2align	6, 0x0
	.amdhsa_kernel _ZN4vllm25paged_attention_v1_kernelI14__hip_bfloat16hLi192ELi16ELi128ELNS_18Fp8KVCacheDataTypeE1ELb1EEEvPT_PKS3_PKT0_S9_ifPKiSB_iPKfiiiSD_SD_iiiii
		.amdhsa_group_segment_fixed_size 400
		.amdhsa_private_segment_fixed_size 264
		.amdhsa_kernarg_size 384
		.amdhsa_user_sgpr_count 6
		.amdhsa_user_sgpr_private_segment_buffer 1
		.amdhsa_user_sgpr_dispatch_ptr 0
		.amdhsa_user_sgpr_queue_ptr 0
		.amdhsa_user_sgpr_kernarg_segment_ptr 1
		.amdhsa_user_sgpr_dispatch_id 0
		.amdhsa_user_sgpr_flat_scratch_init 0
		.amdhsa_user_sgpr_private_segment_size 0
		.amdhsa_uses_dynamic_stack 0
		.amdhsa_system_sgpr_private_segment_wavefront_offset 1
		.amdhsa_system_sgpr_workgroup_id_x 1
		.amdhsa_system_sgpr_workgroup_id_y 1
		.amdhsa_system_sgpr_workgroup_id_z 1
		.amdhsa_system_sgpr_workgroup_info 0
		.amdhsa_system_vgpr_workitem_id 0
		.amdhsa_next_free_vgpr 64
		.amdhsa_next_free_sgpr 60
		.amdhsa_reserve_vcc 1
		.amdhsa_reserve_flat_scratch 0
		.amdhsa_float_round_mode_32 0
		.amdhsa_float_round_mode_16_64 0
		.amdhsa_float_denorm_mode_32 3
		.amdhsa_float_denorm_mode_16_64 3
		.amdhsa_dx10_clamp 1
		.amdhsa_ieee_mode 1
		.amdhsa_fp16_overflow 0
		.amdhsa_exception_fp_ieee_invalid_op 0
		.amdhsa_exception_fp_denorm_src 0
		.amdhsa_exception_fp_ieee_div_zero 0
		.amdhsa_exception_fp_ieee_overflow 0
		.amdhsa_exception_fp_ieee_underflow 0
		.amdhsa_exception_fp_ieee_inexact 0
		.amdhsa_exception_int_div_zero 0
	.end_amdhsa_kernel
	.section	.text._ZN4vllm25paged_attention_v1_kernelI14__hip_bfloat16hLi192ELi16ELi128ELNS_18Fp8KVCacheDataTypeE1ELb1EEEvPT_PKS3_PKT0_S9_ifPKiSB_iPKfiiiSD_SD_iiiii,"axG",@progbits,_ZN4vllm25paged_attention_v1_kernelI14__hip_bfloat16hLi192ELi16ELi128ELNS_18Fp8KVCacheDataTypeE1ELb1EEEvPT_PKS3_PKT0_S9_ifPKiSB_iPKfiiiSD_SD_iiiii,comdat
.Lfunc_end299:
	.size	_ZN4vllm25paged_attention_v1_kernelI14__hip_bfloat16hLi192ELi16ELi128ELNS_18Fp8KVCacheDataTypeE1ELb1EEEvPT_PKS3_PKT0_S9_ifPKiSB_iPKfiiiSD_SD_iiiii, .Lfunc_end299-_ZN4vllm25paged_attention_v1_kernelI14__hip_bfloat16hLi192ELi16ELi128ELNS_18Fp8KVCacheDataTypeE1ELb1EEEvPT_PKS3_PKT0_S9_ifPKiSB_iPKfiiiSD_SD_iiiii
                                        ; -- End function
	.set _ZN4vllm25paged_attention_v1_kernelI14__hip_bfloat16hLi192ELi16ELi128ELNS_18Fp8KVCacheDataTypeE1ELb1EEEvPT_PKS3_PKT0_S9_ifPKiSB_iPKfiiiSD_SD_iiiii.num_vgpr, 64
	.set _ZN4vllm25paged_attention_v1_kernelI14__hip_bfloat16hLi192ELi16ELi128ELNS_18Fp8KVCacheDataTypeE1ELb1EEEvPT_PKS3_PKT0_S9_ifPKiSB_iPKfiiiSD_SD_iiiii.num_agpr, 0
	.set _ZN4vllm25paged_attention_v1_kernelI14__hip_bfloat16hLi192ELi16ELi128ELNS_18Fp8KVCacheDataTypeE1ELb1EEEvPT_PKS3_PKT0_S9_ifPKiSB_iPKfiiiSD_SD_iiiii.numbered_sgpr, 60
	.set _ZN4vllm25paged_attention_v1_kernelI14__hip_bfloat16hLi192ELi16ELi128ELNS_18Fp8KVCacheDataTypeE1ELb1EEEvPT_PKS3_PKT0_S9_ifPKiSB_iPKfiiiSD_SD_iiiii.num_named_barrier, 0
	.set _ZN4vllm25paged_attention_v1_kernelI14__hip_bfloat16hLi192ELi16ELi128ELNS_18Fp8KVCacheDataTypeE1ELb1EEEvPT_PKS3_PKT0_S9_ifPKiSB_iPKfiiiSD_SD_iiiii.private_seg_size, 264
	.set _ZN4vllm25paged_attention_v1_kernelI14__hip_bfloat16hLi192ELi16ELi128ELNS_18Fp8KVCacheDataTypeE1ELb1EEEvPT_PKS3_PKT0_S9_ifPKiSB_iPKfiiiSD_SD_iiiii.uses_vcc, 1
	.set _ZN4vllm25paged_attention_v1_kernelI14__hip_bfloat16hLi192ELi16ELi128ELNS_18Fp8KVCacheDataTypeE1ELb1EEEvPT_PKS3_PKT0_S9_ifPKiSB_iPKfiiiSD_SD_iiiii.uses_flat_scratch, 0
	.set _ZN4vllm25paged_attention_v1_kernelI14__hip_bfloat16hLi192ELi16ELi128ELNS_18Fp8KVCacheDataTypeE1ELb1EEEvPT_PKS3_PKT0_S9_ifPKiSB_iPKfiiiSD_SD_iiiii.has_dyn_sized_stack, 0
	.set _ZN4vllm25paged_attention_v1_kernelI14__hip_bfloat16hLi192ELi16ELi128ELNS_18Fp8KVCacheDataTypeE1ELb1EEEvPT_PKS3_PKT0_S9_ifPKiSB_iPKfiiiSD_SD_iiiii.has_recursion, 0
	.set _ZN4vllm25paged_attention_v1_kernelI14__hip_bfloat16hLi192ELi16ELi128ELNS_18Fp8KVCacheDataTypeE1ELb1EEEvPT_PKS3_PKT0_S9_ifPKiSB_iPKfiiiSD_SD_iiiii.has_indirect_call, 0
	.section	.AMDGPU.csdata,"",@progbits
; Kernel info:
; codeLenInByte = 33256
; TotalNumSgprs: 64
; NumVgprs: 64
; ScratchSize: 264
; MemoryBound: 0
; FloatMode: 240
; IeeeMode: 1
; LDSByteSize: 400 bytes/workgroup (compile time only)
; SGPRBlocks: 7
; VGPRBlocks: 15
; NumSGPRsForWavesPerEU: 64
; NumVGPRsForWavesPerEU: 64
; Occupancy: 4
; WaveLimiterHint : 1
; COMPUTE_PGM_RSRC2:SCRATCH_EN: 1
; COMPUTE_PGM_RSRC2:USER_SGPR: 6
; COMPUTE_PGM_RSRC2:TRAP_HANDLER: 0
; COMPUTE_PGM_RSRC2:TGID_X_EN: 1
; COMPUTE_PGM_RSRC2:TGID_Y_EN: 1
; COMPUTE_PGM_RSRC2:TGID_Z_EN: 1
; COMPUTE_PGM_RSRC2:TIDIG_COMP_CNT: 0
	.section	.text._ZN4vllm25paged_attention_v1_kernelI14__hip_bfloat16hLi256ELi16ELi128ELNS_18Fp8KVCacheDataTypeE1ELb1EEEvPT_PKS3_PKT0_S9_ifPKiSB_iPKfiiiSD_SD_iiiii,"axG",@progbits,_ZN4vllm25paged_attention_v1_kernelI14__hip_bfloat16hLi256ELi16ELi128ELNS_18Fp8KVCacheDataTypeE1ELb1EEEvPT_PKS3_PKT0_S9_ifPKiSB_iPKfiiiSD_SD_iiiii,comdat
	.protected	_ZN4vllm25paged_attention_v1_kernelI14__hip_bfloat16hLi256ELi16ELi128ELNS_18Fp8KVCacheDataTypeE1ELb1EEEvPT_PKS3_PKT0_S9_ifPKiSB_iPKfiiiSD_SD_iiiii ; -- Begin function _ZN4vllm25paged_attention_v1_kernelI14__hip_bfloat16hLi256ELi16ELi128ELNS_18Fp8KVCacheDataTypeE1ELb1EEEvPT_PKS3_PKT0_S9_ifPKiSB_iPKfiiiSD_SD_iiiii
	.globl	_ZN4vllm25paged_attention_v1_kernelI14__hip_bfloat16hLi256ELi16ELi128ELNS_18Fp8KVCacheDataTypeE1ELb1EEEvPT_PKS3_PKT0_S9_ifPKiSB_iPKfiiiSD_SD_iiiii
	.p2align	8
	.type	_ZN4vllm25paged_attention_v1_kernelI14__hip_bfloat16hLi256ELi16ELi128ELNS_18Fp8KVCacheDataTypeE1ELb1EEEvPT_PKS3_PKT0_S9_ifPKiSB_iPKfiiiSD_SD_iiiii,@function
_ZN4vllm25paged_attention_v1_kernelI14__hip_bfloat16hLi256ELi16ELi128ELNS_18Fp8KVCacheDataTypeE1ELb1EEEvPT_PKS3_PKT0_S9_ifPKiSB_iPKfiiiSD_SD_iiiii: ; @_ZN4vllm25paged_attention_v1_kernelI14__hip_bfloat16hLi256ELi16ELi128ELNS_18Fp8KVCacheDataTypeE1ELb1EEEvPT_PKS3_PKT0_S9_ifPKiSB_iPKfiiiSD_SD_iiiii
; %bb.0:
	s_mov_b64 s[58:59], s[2:3]
	s_mov_b64 s[56:57], s[0:1]
	s_add_u32 s56, s56, s9
	s_addc_u32 s57, s57, 0
	buffer_store_dword v0, off, s[56:59], 0 offset:308 ; 4-byte Folded Spill
	s_load_dword s9, s[4:5], 0x80
	s_load_dwordx2 s[0:1], s[4:5], 0x30
	s_load_dwordx2 s[36:37], s[4:5], 0x20
	s_mov_b32 s10, s7
	s_ashr_i32 s11, s7, 31
	s_lshl_b64 s[2:3], s[10:11], 2
	s_waitcnt lgkmcnt(0)
	s_add_u32 s0, s0, s2
	s_addc_u32 s1, s1, s3
	s_abs_i32 s2, s36
	v_cvt_f32_u32_e32 v0, s2
	s_sub_i32 s11, 0, s2
	s_abs_i32 s7, s9
	s_xor_b32 s3, s9, s36
	v_rcp_iflag_f32_e32 v0, v0
	s_ashr_i32 s3, s3, 31
	s_mov_b32 s48, 0
	v_mul_f32_e32 v0, 0x4f7ffffe, v0
	v_cvt_u32_f32_e32 v0, v0
	v_readfirstlane_b32 s12, v0
	s_mul_i32 s11, s11, s12
	s_mul_hi_u32 s11, s12, s11
	s_add_i32 s12, s12, s11
	s_mul_hi_u32 s11, s7, s12
	s_mul_i32 s12, s11, s2
	s_sub_i32 s7, s7, s12
	s_add_i32 s12, s11, 1
	s_sub_i32 s13, s7, s2
	s_cmp_ge_u32 s7, s2
	s_cselect_b32 s11, s12, s11
	s_cselect_b32 s7, s13, s7
	s_add_i32 s12, s11, 1
	s_cmp_ge_u32 s7, s2
	s_cselect_b32 s2, s12, s11
	s_xor_b32 s2, s2, s3
	s_sub_i32 s14, s2, s3
	s_abs_i32 s11, s14
	v_cvt_f32_u32_e32 v0, s11
	s_load_dwordx2 s[2:3], s[4:5], 0x40
	s_sub_i32 s7, 0, s11
	s_abs_i32 s12, s6
	v_rcp_iflag_f32_e32 v0, v0
	v_mul_f32_e32 v0, 0x4f7ffffe, v0
	v_cvt_u32_f32_e32 v0, v0
	v_readfirstlane_b32 s13, v0
	s_mul_i32 s7, s7, s13
	s_mul_hi_u32 s7, s13, s7
	s_add_i32 s13, s13, s7
	s_waitcnt lgkmcnt(0)
	s_cmp_eq_u64 s[2:3], 0
	s_mul_hi_u32 s13, s12, s13
	s_cbranch_scc1 .LBB300_2
; %bb.1:
	s_ashr_i32 s7, s6, 31
	s_lshl_b64 s[16:17], s[6:7], 2
	s_add_u32 s2, s2, s16
	s_addc_u32 s3, s3, s17
	s_load_dword s48, s[2:3], 0x0
.LBB300_2:
	buffer_load_dword v1, off, s[56:59], 0 offset:308 ; 4-byte Folded Reload
	s_load_dword s33, s[0:1], 0x0
	s_load_dwordx4 s[16:19], s[4:5], 0x48
	s_movk_i32 s0, 0x80
	s_ashr_i32 s2, s6, 31
	s_ashr_i32 s7, s14, 31
	s_lshl_b32 s24, s6, 8
	s_waitcnt vmcnt(0)
	v_and_b32_e32 v0, 3, v1
	v_cmp_gt_u32_e32 vcc, s0, v1
	s_and_saveexec_b64 s[0:1], vcc
	s_cbranch_execz .LBB300_4
; %bb.3:
	buffer_load_dword v2, off, s[56:59], 0 offset:308 ; 4-byte Folded Reload
	s_load_dwordx2 s[14:15], s[4:5], 0x8
	s_waitcnt lgkmcnt(0)
	s_mul_i32 s20, s16, s10
	s_ashr_i32 s21, s20, 31
	s_lshl_b64 s[20:21], s[20:21], 1
	s_add_u32 s3, s14, s20
	s_addc_u32 s16, s15, s21
	s_ashr_i32 s25, s24, 31
	s_lshl_b64 s[14:15], s[24:25], 1
	s_add_u32 s14, s3, s14
	s_addc_u32 s15, s16, s15
	s_waitcnt vmcnt(0)
	v_lshlrev_b32_e32 v1, 2, v2
	global_load_dword v1, v1, s[14:15]
	v_and_b32_e32 v2, 0x3fc, v2
	v_lshl_add_u32 v2, v0, 7, v2
	s_waitcnt vmcnt(0)
	ds_write_b32 v2, v1
.LBB300_4:
	s_or_b64 exec, exec, s[0:1]
	s_mul_i32 s1, s13, s11
	s_sub_i32 s1, s12, s1
	s_xor_b32 s0, s2, s7
	s_add_i32 s2, s13, 1
	s_sub_i32 s7, s1, s11
	s_load_dwordx4 s[20:23], s[4:5], 0x68
	s_load_dword s3, s[4:5], 0x78
	s_cmp_ge_u32 s1, s11
	s_cselect_b32 s2, s2, s13
	s_cselect_b32 s1, s7, s1
	s_add_i32 s7, s2, 1
	s_cmp_ge_u32 s1, s11
	s_cselect_b32 s1, s7, s2
	s_waitcnt lgkmcnt(0)
	s_abs_i32 s25, s23
	v_cvt_f32_u32_e32 v1, s25
	s_xor_b32 s1, s1, s0
	s_sub_i32 s2, s1, s0
	s_sub_i32 s0, 0, s25
	v_rcp_iflag_f32_e32 v1, v1
	s_add_i32 s11, s33, -1
	s_abs_i32 s7, s11
	v_mul_f32_e32 v1, 0x4f7ffffe, v1
	v_cvt_u32_f32_e32 v1, v1
	s_barrier
	v_readfirstlane_b32 s46, v1
	s_mul_i32 s0, s0, s46
	s_mul_hi_u32 s0, s46, s0
	s_add_i32 s46, s46, s0
	s_cmp_lt_i32 s3, 0
	s_mul_hi_u32 s16, s7, s46
	s_cbranch_scc0 .LBB300_6
; %bb.5:
	s_mul_i32 s0, s20, s36
	s_add_i32 s0, s2, s0
	s_mul_i32 s0, s0, s3
	s_sub_i32 s36, 1, s0
	s_mov_b64 s[0:1], 0
	s_branch .LBB300_7
.LBB300_6:
	s_mov_b64 s[0:1], -1
                                        ; implicit-def: $sgpr36
.LBB300_7:
	s_load_dwordx2 s[28:29], s[4:5], 0x28
	s_ashr_i32 s19, s11, 31
	s_andn2_b64 vcc, exec, s[0:1]
	s_ashr_i32 s23, s23, 31
	s_cbranch_vccnz .LBB300_9
; %bb.8:
	s_mul_i32 s0, s9, s20
	s_add_i32 s0, s0, s6
	s_mul_i32 s0, s0, s3
	s_add_i32 s36, s0, 1
.LBB300_9:
	s_load_dword s0, s[4:5], 0x38
	s_load_dwordx2 s[26:27], s[4:5], 0x0
	s_load_dwordx2 s[34:35], s[4:5], 0x18
	s_load_dword s11, s[4:5], 0x88
	s_load_dwordx4 s[12:15], s[4:5], 0x58
	buffer_load_dword v1, off, s[56:59], 0 offset:308 ; 4-byte Folded Reload
	s_mul_i32 s1, s16, s25
	s_waitcnt lgkmcnt(0)
	s_mul_i32 s30, s0, s10
	s_sub_i32 s1, s7, s1
	s_ashr_i32 s31, s30, 31
	s_xor_b32 s0, s19, s23
	s_add_i32 s3, s16, 1
	s_sub_i32 s6, s1, s25
	s_cmp_ge_u32 s1, s25
	s_cselect_b32 s3, s3, s16
	s_cselect_b32 s1, s6, s1
	s_add_i32 s6, s3, 1
	s_cmp_ge_u32 s1, s25
	s_cselect_b32 s1, s6, s3
	s_xor_b32 s1, s1, s0
	s_sub_i32 s16, s1, s0
	s_add_i32 s0, s33, 15
	s_ashr_i32 s1, s0, 31
	s_lshr_b32 s1, s1, 28
	s_add_i32 s0, s0, s1
	s_ashr_i32 s47, s0, 4
	v_mov_b32_e32 v4, 0xff7fffff
	s_mul_i32 s20, s2, s18
	v_mbcnt_lo_u32_b32 v5, -1, 0
	s_waitcnt vmcnt(0)
	v_lshrrev_b32_e32 v2, 6, v1
	v_cmp_gt_i32_e64 s[0:1], s47, v2
	v_lshrrev_b32_e32 v13, 4, v1
	v_lshlrev_b32_e32 v1, 4, v2
	buffer_store_dword v2, off, s[56:59], 0 ; 4-byte Folded Spill
	buffer_store_dword v1, off, s[56:59], 0 offset:4 ; 4-byte Folded Spill
	s_and_saveexec_b64 s[18:19], s[0:1]
	s_cbranch_execz .LBB300_405
; %bb.10:
	buffer_load_dword v2, off, s[56:59], 0 offset:308 ; 4-byte Folded Reload
	s_load_dwordx2 s[2:3], s[4:5], 0x10
	s_sub_i32 s49, s16, s21
	s_ashr_i32 s4, s20, 31
	v_cmp_eq_u32_e32 vcc, 0, v0
	v_lshlrev_b32_e32 v36, 7, v0
	s_waitcnt lgkmcnt(0)
	s_add_u32 s5, s2, s20
	s_addc_u32 s4, s3, s4
	s_abs_i32 s50, s22
	v_cvt_f32_u32_e32 v1, s50
	s_sub_i32 s2, 0, s50
	v_mov_b32_e32 v4, s4
	s_mov_b32 s51, s17
	v_rcp_iflag_f32_e32 v1, v1
	s_mov_b64 s[38:39], 0
	s_movk_i32 s52, 0x80
	s_movk_i32 s53, 0x7f
	v_mul_f32_e32 v1, 0x4f7ffffe, v1
	v_cvt_u32_f32_e32 v1, v1
	s_movk_i32 s54, 0x7fff
	v_mov_b32_e32 v44, 0
	s_waitcnt vmcnt(0)
	v_bfe_u32 v6, v2, 2, 4
	v_lshlrev_b32_e32 v2, 1, v0
	v_mul_lo_u32 v0, s2, v1
	v_lshlrev_b32_e32 v3, 4, v6
	v_add_co_u32_e64 v3, s[4:5], s5, v3
	v_mul_hi_u32 v0, v1, v0
	v_addc_co_u32_e64 v4, s[4:5], 0, v4, s[4:5]
	v_cmp_neq_f32_e64 s[2:3], s48, 0
	v_add_u32_e32 v0, v1, v0
	buffer_store_dword v0, off, s[56:59], 0 offset:88 ; 4-byte Folded Spill
	v_add_co_u32_e64 v0, s[4:5], v3, v2
	v_addc_co_u32_e64 v1, s[4:5], 0, v4, s[4:5]
	buffer_store_dword v0, off, s[56:59], 0 offset:320 ; 4-byte Folded Spill
	s_nop 0
	buffer_store_dword v1, off, s[56:59], 0 offset:324 ; 4-byte Folded Spill
	buffer_store_dword v13, off, s[56:59], 0 offset:340 ; 4-byte Folded Spill
	buffer_load_dword v47, off, s[56:59], 0 ; 4-byte Folded Reload
	s_lshl_b64 s[4:5], s[30:31], 2
	s_add_u32 s4, s28, s4
	v_and_b32_e32 v0, 60, v13
	s_addc_u32 s5, s29, s5
	v_mov_b32_e32 v1, s5
	v_add_co_u32_e64 v27, s[4:5], s4, v0
	v_subrev_u32_e32 v0, s33, v6
	v_add_u32_e32 v0, 1, v0
	buffer_store_dword v0, off, s[56:59], 0 offset:336 ; 4-byte Folded Spill
	buffer_store_dword v6, off, s[56:59], 0 offset:332 ; 4-byte Folded Spill
	v_lshlrev_b32_e32 v0, 2, v6
	v_addc_co_u32_e64 v28, s[4:5], 0, v1, s[4:5]
	s_waitcnt vmcnt(2)
	v_lshl_or_b32 v0, v47, 6, v0
	v_add_u32_e32 v0, 0x210, v0
	buffer_store_dword v0, off, s[56:59], 0 offset:8 ; 4-byte Folded Spill
	v_mbcnt_hi_u32_b32 v0, -1, v5
	v_lshlrev_b32_e32 v41, 4, v47
	buffer_store_dword v0, off, s[56:59], 0 offset:328 ; 4-byte Folded Spill
	v_mov_b32_e32 v0, 0xff7fffff
	buffer_store_dword v0, off, s[56:59], 0 offset:312 ; 4-byte Folded Spill
	buffer_store_dword v36, off, s[56:59], 0 offset:316 ; 4-byte Folded Spill
	s_branch .LBB300_13
.LBB300_11:                             ;   in Loop: Header=BB300_13 Depth=1
	s_or_b64 exec, exec, s[40:41]
.LBB300_12:                             ;   in Loop: Header=BB300_13 Depth=1
	s_or_b64 exec, exec, s[6:7]
	buffer_load_dword v47, off, s[56:59], 0 offset:12 ; 4-byte Folded Reload
	buffer_load_dword v0, off, s[56:59], 0 offset:8 ; 4-byte Folded Reload
	v_add_co_u32_e64 v27, s[4:5], 8, v27
	v_addc_co_u32_e64 v28, s[4:5], 0, v28, s[4:5]
	v_add_u32_e32 v41, 32, v41
	s_waitcnt vmcnt(1)
	v_add_u32_e32 v47, 2, v47
	v_cmp_le_i32_e64 s[4:5], s47, v47
	s_or_b64 s[38:39], s[4:5], s[38:39]
	s_waitcnt vmcnt(0)
	v_add_u32_e32 v0, 0x80, v0
	buffer_store_dword v0, off, s[56:59], 0 offset:8 ; 4-byte Folded Spill
	s_andn2_b64 exec, exec, s[38:39]
	s_cbranch_execz .LBB300_404
.LBB300_13:                             ; =>This Inner Loop Header: Depth=1
	buffer_load_dword v3, off, s[56:59], 0 offset:88 ; 4-byte Folded Reload
	v_mul_hi_u32 v0, v41, s46
	buffer_store_dword v47, off, s[56:59], 0 offset:12 ; 4-byte Folded Spill
	s_waitcnt lgkmcnt(0)
	v_mul_lo_u32 v1, v0, s25
	v_add_u32_e32 v2, 1, v0
	v_sub_u32_e32 v1, v41, v1
	v_cmp_le_u32_e64 s[4:5], s25, v1
	v_cndmask_b32_e64 v0, v0, v2, s[4:5]
	v_subrev_u32_e32 v2, s25, v1
	v_cndmask_b32_e64 v1, v1, v2, s[4:5]
	v_add_u32_e32 v2, 1, v0
	v_cmp_le_u32_e64 s[4:5], s25, v1
	v_cndmask_b32_e64 v0, v0, v2, s[4:5]
	v_xor_b32_e32 v0, s23, v0
	v_subrev_u32_e32 v0, s23, v0
	v_add_u32_e32 v1, s36, v0
	v_sub_u32_e32 v2, 0, v1
	v_max_i32_e32 v2, v1, v2
	v_ashrrev_i32_e32 v1, 31, v1
	v_cmp_ge_i32_e64 s[6:7], s49, v0
	s_waitcnt vmcnt(1)
	v_mul_hi_u32 v3, v2, v3
	v_mul_lo_u32 v3, v3, s50
	v_sub_u32_e32 v2, v2, v3
	v_subrev_u32_e32 v3, s50, v2
	v_cmp_le_u32_e64 s[4:5], s50, v2
	v_cndmask_b32_e64 v2, v2, v3, s[4:5]
	v_subrev_u32_e32 v3, s50, v2
	v_cmp_le_u32_e64 s[4:5], s50, v2
	v_cndmask_b32_e64 v2, v2, v3, s[4:5]
	v_xor_b32_e32 v2, v2, v1
	v_sub_u32_e32 v1, v2, v1
	v_cmp_ne_u32_e64 s[4:5], 0, v1
	s_and_b64 s[4:5], s[4:5], s[6:7]
	s_and_saveexec_b64 s[6:7], s[4:5]
	s_xor_b64 s[4:5], exec, s[6:7]
	s_cbranch_execz .LBB300_17
; %bb.14:                               ;   in Loop: Header=BB300_13 Depth=1
	s_and_saveexec_b64 s[6:7], vcc
	s_cbranch_execz .LBB300_16
; %bb.15:                               ;   in Loop: Header=BB300_13 Depth=1
	buffer_load_dword v1, off, s[56:59], 0 offset:8 ; 4-byte Folded Reload
	v_mov_b32_e32 v0, 0xff7fffff
	s_waitcnt vmcnt(0)
	ds_write_b32 v1, v0
.LBB300_16:                             ;   in Loop: Header=BB300_13 Depth=1
	s_or_b64 exec, exec, s[6:7]
.LBB300_17:                             ;   in Loop: Header=BB300_13 Depth=1
	s_andn2_saveexec_b64 s[6:7], s[4:5]
	s_cbranch_execz .LBB300_12
; %bb.18:                               ;   in Loop: Header=BB300_13 Depth=1
	global_load_dword v0, v[27:28], off
	buffer_load_dword v1, off, s[56:59], 0 offset:320 ; 4-byte Folded Reload
	buffer_load_dword v2, off, s[56:59], 0 offset:324 ; 4-byte Folded Reload
	s_waitcnt vmcnt(0)
	v_mad_i64_i32 v[29:30], s[4:5], v0, s51, v[1:2]
	global_load_ushort v0, v[29:30], off
	ds_read_b128 v[57:60], v36
	ds_read_b128 v[1:4], v36 offset:16
	s_waitcnt lgkmcnt(0)
	buffer_store_dword v1, off, s[56:59], 0 offset:128 ; 4-byte Folded Spill
	s_nop 0
	buffer_store_dword v2, off, s[56:59], 0 offset:132 ; 4-byte Folded Spill
	buffer_store_dword v3, off, s[56:59], 0 offset:136 ; 4-byte Folded Spill
	;; [unrolled: 1-line block ×3, first 2 shown]
	ds_read_b32 v1, v36 offset:96
	s_load_dword s55, s[12:13], 0x0
	v_mov_b32_e32 v2, 0
	s_waitcnt lgkmcnt(0)
	buffer_store_dword v1, off, s[56:59], 0 offset:92 ; 4-byte Folded Spill
	ds_read_b128 v[52:55], v36 offset:32
	ds_read_b128 v[3:6], v36 offset:48
	s_waitcnt lgkmcnt(0)
	buffer_store_dword v3, off, s[56:59], 0 offset:144 ; 4-byte Folded Spill
	s_nop 0
	buffer_store_dword v4, off, s[56:59], 0 offset:148 ; 4-byte Folded Spill
	buffer_store_dword v5, off, s[56:59], 0 offset:152 ; 4-byte Folded Spill
	buffer_store_dword v6, off, s[56:59], 0 offset:156 ; 4-byte Folded Spill
	ds_read_b128 v[3:6], v36 offset:64
	s_waitcnt lgkmcnt(0)
	buffer_store_dword v3, off, s[56:59], 0 offset:112 ; 4-byte Folded Spill
	s_nop 0
	buffer_store_dword v4, off, s[56:59], 0 offset:116 ; 4-byte Folded Spill
	buffer_store_dword v5, off, s[56:59], 0 offset:120 ; 4-byte Folded Spill
	buffer_store_dword v6, off, s[56:59], 0 offset:124 ; 4-byte Folded Spill
	;; [unrolled: 7-line block ×3, first 2 shown]
	v_mov_b32_e32 v3, 0
	s_waitcnt vmcnt(17)
	v_and_b32_e32 v31, 0xffff, v0
	v_cmp_ne_u16_sdwa s[4:5], v0, v44 src0_sel:BYTE_0 src1_sel:DWORD
	s_and_saveexec_b64 s[40:41], s[4:5]
	s_cbranch_execz .LBB300_24
; %bb.19:                               ;   in Loop: Header=BB300_13 Depth=1
	v_cmp_ne_u16_sdwa s[4:5], v31, s52 src0_sel:BYTE_0 src1_sel:DWORD
	v_bfrev_b32_e32 v3, 1
	s_and_saveexec_b64 s[42:43], s[4:5]
	s_cbranch_execz .LBB300_23
; %bb.20:                               ;   in Loop: Header=BB300_13 Depth=1
	v_and_b32_e32 v0, 0x7f, v31
	v_cmp_ne_u32_e64 s[4:5], s53, v0
	v_mov_b32_e32 v3, 0x7f800001
	s_and_saveexec_b64 s[44:45], s[4:5]
	s_cbranch_execz .LBB300_22
; %bb.21:                               ;   in Loop: Header=BB300_13 Depth=1
	v_and_b32_e32 v32, 7, v31
	v_ffbh_u32_e32 v25, v32
	v_min_u32_e32 v34, 32, v25
	v_subrev_u32_e32 v25, 28, v34
	v_lshlrev_b64 v[25:26], v25, v[31:32]
	v_lshrrev_b32_e32 v33, 3, v0
	v_sub_u32_e32 v26, 29, v34
	v_and_b32_e32 v25, 7, v25
	v_cmp_gt_u32_e64 s[4:5], 8, v0
	v_cndmask_b32_e64 v0, v33, v26, s[4:5]
	v_cndmask_b32_e64 v25, v32, v25, s[4:5]
	v_lshlrev_b32_e32 v26, 24, v31
	v_bfrev_b32_e32 v1, 60
	v_lshlrev_b32_e32 v25, 20, v25
	v_and_b32_e32 v26, 0x80000000, v26
	v_lshl_add_u32 v0, v0, 23, v1
	v_or3_b32 v3, v26, v0, v25
.LBB300_22:                             ;   in Loop: Header=BB300_13 Depth=1
	s_or_b64 exec, exec, s[44:45]
.LBB300_23:                             ;   in Loop: Header=BB300_13 Depth=1
	s_or_b64 exec, exec, s[42:43]
.LBB300_24:                             ;   in Loop: Header=BB300_13 Depth=1
	s_or_b64 exec, exec, s[40:41]
	v_lshrrev_b16_e32 v32, 8, v31
	v_cmp_ne_u16_e64 s[4:5], 0, v32
	s_and_saveexec_b64 s[40:41], s[4:5]
	s_cbranch_execz .LBB300_30
; %bb.25:                               ;   in Loop: Header=BB300_13 Depth=1
	v_cmp_ne_u16_e64 s[4:5], s52, v32
	v_bfrev_b32_e32 v2, 1
	s_and_saveexec_b64 s[42:43], s[4:5]
	s_cbranch_execz .LBB300_29
; %bb.26:                               ;   in Loop: Header=BB300_13 Depth=1
	v_and_b32_e32 v0, 0x7f, v32
	v_cmp_ne_u32_e64 s[4:5], s53, v0
	v_mov_b32_e32 v2, 0x7f800001
	s_and_saveexec_b64 s[44:45], s[4:5]
	s_cbranch_execz .LBB300_28
; %bb.27:                               ;   in Loop: Header=BB300_13 Depth=1
	v_and_b32_e32 v33, 7, v32
	v_ffbh_u32_e32 v25, v33
	v_min_u32_e32 v35, 32, v25
	v_subrev_u32_e32 v25, 28, v35
	v_lshlrev_b64 v[25:26], v25, v[32:33]
	v_lshrrev_b32_e32 v34, 3, v0
	v_sub_u32_e32 v26, 29, v35
	v_and_b32_e32 v25, 7, v25
	v_cmp_gt_u32_e64 s[4:5], 8, v0
	v_cndmask_b32_e64 v0, v34, v26, s[4:5]
	v_cndmask_b32_e64 v25, v33, v25, s[4:5]
	v_lshlrev_b32_e32 v26, 16, v31
	v_bfrev_b32_e32 v1, 60
	v_lshlrev_b32_e32 v25, 20, v25
	v_and_b32_e32 v26, 0x80000000, v26
	v_lshl_add_u32 v0, v0, 23, v1
	v_or3_b32 v2, v26, v0, v25
.LBB300_28:                             ;   in Loop: Header=BB300_13 Depth=1
	s_or_b64 exec, exec, s[44:45]
.LBB300_29:                             ;   in Loop: Header=BB300_13 Depth=1
	s_or_b64 exec, exec, s[42:43]
.LBB300_30:                             ;   in Loop: Header=BB300_13 Depth=1
	s_or_b64 exec, exec, s[40:41]
	global_load_ushort v0, v[29:30], off offset:8
	v_mov_b32_e32 v4, 0
	v_mov_b32_e32 v7, 0
	s_waitcnt vmcnt(0)
	v_and_b32_e32 v31, 0xffff, v0
	v_cmp_ne_u16_sdwa s[4:5], v0, v44 src0_sel:BYTE_0 src1_sel:DWORD
	s_and_saveexec_b64 s[40:41], s[4:5]
	s_cbranch_execz .LBB300_36
; %bb.31:                               ;   in Loop: Header=BB300_13 Depth=1
	v_cmp_ne_u16_sdwa s[4:5], v31, s52 src0_sel:BYTE_0 src1_sel:DWORD
	v_bfrev_b32_e32 v7, 1
	s_and_saveexec_b64 s[42:43], s[4:5]
	s_cbranch_execz .LBB300_35
; %bb.32:                               ;   in Loop: Header=BB300_13 Depth=1
	v_and_b32_e32 v0, 0x7f, v31
	v_cmp_ne_u32_e64 s[4:5], s53, v0
	v_mov_b32_e32 v7, 0x7f800001
	s_and_saveexec_b64 s[44:45], s[4:5]
	s_cbranch_execz .LBB300_34
; %bb.33:                               ;   in Loop: Header=BB300_13 Depth=1
	v_and_b32_e32 v32, 7, v31
	v_ffbh_u32_e32 v25, v32
	v_min_u32_e32 v34, 32, v25
	v_subrev_u32_e32 v25, 28, v34
	v_lshlrev_b64 v[25:26], v25, v[31:32]
	v_lshrrev_b32_e32 v33, 3, v0
	v_sub_u32_e32 v26, 29, v34
	v_and_b32_e32 v25, 7, v25
	v_cmp_gt_u32_e64 s[4:5], 8, v0
	v_cndmask_b32_e64 v0, v33, v26, s[4:5]
	v_cndmask_b32_e64 v25, v32, v25, s[4:5]
	v_lshlrev_b32_e32 v26, 24, v31
	v_bfrev_b32_e32 v1, 60
	v_lshlrev_b32_e32 v25, 20, v25
	v_and_b32_e32 v26, 0x80000000, v26
	v_lshl_add_u32 v0, v0, 23, v1
	v_or3_b32 v7, v26, v0, v25
.LBB300_34:                             ;   in Loop: Header=BB300_13 Depth=1
	s_or_b64 exec, exec, s[44:45]
.LBB300_35:                             ;   in Loop: Header=BB300_13 Depth=1
	s_or_b64 exec, exec, s[42:43]
.LBB300_36:                             ;   in Loop: Header=BB300_13 Depth=1
	s_or_b64 exec, exec, s[40:41]
	v_lshrrev_b16_e32 v32, 8, v31
	v_cmp_ne_u16_e64 s[4:5], 0, v32
	s_and_saveexec_b64 s[40:41], s[4:5]
	s_cbranch_execz .LBB300_42
; %bb.37:                               ;   in Loop: Header=BB300_13 Depth=1
	v_cmp_ne_u16_e64 s[4:5], s52, v32
	v_bfrev_b32_e32 v4, 1
	s_and_saveexec_b64 s[42:43], s[4:5]
	s_cbranch_execz .LBB300_41
; %bb.38:                               ;   in Loop: Header=BB300_13 Depth=1
	v_and_b32_e32 v0, 0x7f, v32
	v_cmp_ne_u32_e64 s[4:5], s53, v0
	v_mov_b32_e32 v4, 0x7f800001
	s_and_saveexec_b64 s[44:45], s[4:5]
	s_cbranch_execz .LBB300_40
; %bb.39:                               ;   in Loop: Header=BB300_13 Depth=1
	v_and_b32_e32 v33, 7, v32
	v_ffbh_u32_e32 v25, v33
	v_min_u32_e32 v35, 32, v25
	v_subrev_u32_e32 v25, 28, v35
	v_lshlrev_b64 v[25:26], v25, v[32:33]
	v_lshrrev_b32_e32 v34, 3, v0
	v_sub_u32_e32 v26, 29, v35
	v_and_b32_e32 v25, 7, v25
	v_cmp_gt_u32_e64 s[4:5], 8, v0
	v_cndmask_b32_e64 v0, v34, v26, s[4:5]
	v_cndmask_b32_e64 v25, v33, v25, s[4:5]
	v_lshlrev_b32_e32 v26, 16, v31
	v_bfrev_b32_e32 v1, 60
	v_lshlrev_b32_e32 v25, 20, v25
	v_and_b32_e32 v26, 0x80000000, v26
	v_lshl_add_u32 v0, v0, 23, v1
	v_or3_b32 v4, v26, v0, v25
.LBB300_40:                             ;   in Loop: Header=BB300_13 Depth=1
	s_or_b64 exec, exec, s[44:45]
.LBB300_41:                             ;   in Loop: Header=BB300_13 Depth=1
	s_or_b64 exec, exec, s[42:43]
.LBB300_42:                             ;   in Loop: Header=BB300_13 Depth=1
	s_or_b64 exec, exec, s[40:41]
	global_load_ushort v0, v[29:30], off offset:256
	v_mov_b32_e32 v10, 0
	v_mov_b32_e32 v11, 0
	s_waitcnt vmcnt(0)
	v_and_b32_e32 v31, 0xffff, v0
	v_cmp_ne_u16_sdwa s[4:5], v0, v44 src0_sel:BYTE_0 src1_sel:DWORD
	s_and_saveexec_b64 s[40:41], s[4:5]
	s_cbranch_execz .LBB300_48
; %bb.43:                               ;   in Loop: Header=BB300_13 Depth=1
	v_cmp_ne_u16_sdwa s[4:5], v31, s52 src0_sel:BYTE_0 src1_sel:DWORD
	v_bfrev_b32_e32 v11, 1
	s_and_saveexec_b64 s[42:43], s[4:5]
	s_cbranch_execz .LBB300_47
; %bb.44:                               ;   in Loop: Header=BB300_13 Depth=1
	v_and_b32_e32 v0, 0x7f, v31
	v_cmp_ne_u32_e64 s[4:5], s53, v0
	v_mov_b32_e32 v11, 0x7f800001
	s_and_saveexec_b64 s[44:45], s[4:5]
	s_cbranch_execz .LBB300_46
; %bb.45:                               ;   in Loop: Header=BB300_13 Depth=1
	v_and_b32_e32 v32, 7, v31
	v_ffbh_u32_e32 v25, v32
	v_min_u32_e32 v34, 32, v25
	v_subrev_u32_e32 v25, 28, v34
	v_lshlrev_b64 v[25:26], v25, v[31:32]
	v_lshrrev_b32_e32 v33, 3, v0
	v_sub_u32_e32 v26, 29, v34
	v_and_b32_e32 v25, 7, v25
	v_cmp_gt_u32_e64 s[4:5], 8, v0
	v_cndmask_b32_e64 v0, v33, v26, s[4:5]
	v_cndmask_b32_e64 v25, v32, v25, s[4:5]
	v_lshlrev_b32_e32 v26, 24, v31
	v_bfrev_b32_e32 v1, 60
	v_lshlrev_b32_e32 v25, 20, v25
	v_and_b32_e32 v26, 0x80000000, v26
	v_lshl_add_u32 v0, v0, 23, v1
	v_or3_b32 v11, v26, v0, v25
.LBB300_46:                             ;   in Loop: Header=BB300_13 Depth=1
	s_or_b64 exec, exec, s[44:45]
.LBB300_47:                             ;   in Loop: Header=BB300_13 Depth=1
	s_or_b64 exec, exec, s[42:43]
.LBB300_48:                             ;   in Loop: Header=BB300_13 Depth=1
	s_or_b64 exec, exec, s[40:41]
	v_lshrrev_b16_e32 v32, 8, v31
	v_cmp_ne_u16_e64 s[4:5], 0, v32
	s_and_saveexec_b64 s[40:41], s[4:5]
	s_cbranch_execz .LBB300_54
; %bb.49:                               ;   in Loop: Header=BB300_13 Depth=1
	v_cmp_ne_u16_e64 s[4:5], s52, v32
	v_bfrev_b32_e32 v10, 1
	s_and_saveexec_b64 s[42:43], s[4:5]
	s_cbranch_execz .LBB300_53
; %bb.50:                               ;   in Loop: Header=BB300_13 Depth=1
	v_and_b32_e32 v0, 0x7f, v32
	v_cmp_ne_u32_e64 s[4:5], s53, v0
	v_mov_b32_e32 v10, 0x7f800001
	s_and_saveexec_b64 s[44:45], s[4:5]
	s_cbranch_execz .LBB300_52
; %bb.51:                               ;   in Loop: Header=BB300_13 Depth=1
	v_and_b32_e32 v33, 7, v32
	v_ffbh_u32_e32 v25, v33
	v_min_u32_e32 v35, 32, v25
	v_subrev_u32_e32 v25, 28, v35
	v_lshlrev_b64 v[25:26], v25, v[32:33]
	v_lshrrev_b32_e32 v34, 3, v0
	v_sub_u32_e32 v26, 29, v35
	v_and_b32_e32 v25, 7, v25
	v_cmp_gt_u32_e64 s[4:5], 8, v0
	v_cndmask_b32_e64 v0, v34, v26, s[4:5]
	v_cndmask_b32_e64 v25, v33, v25, s[4:5]
	v_lshlrev_b32_e32 v26, 16, v31
	v_bfrev_b32_e32 v1, 60
	v_lshlrev_b32_e32 v25, 20, v25
	v_and_b32_e32 v26, 0x80000000, v26
	v_lshl_add_u32 v0, v0, 23, v1
	v_or3_b32 v10, v26, v0, v25
.LBB300_52:                             ;   in Loop: Header=BB300_13 Depth=1
	s_or_b64 exec, exec, s[44:45]
.LBB300_53:                             ;   in Loop: Header=BB300_13 Depth=1
	s_or_b64 exec, exec, s[42:43]
.LBB300_54:                             ;   in Loop: Header=BB300_13 Depth=1
	s_or_b64 exec, exec, s[40:41]
	global_load_ushort v0, v[29:30], off offset:264
	v_mov_b32_e32 v12, 0
	v_mov_b32_e32 v13, 0
	s_waitcnt vmcnt(0)
	v_and_b32_e32 v31, 0xffff, v0
	v_cmp_ne_u16_sdwa s[4:5], v0, v44 src0_sel:BYTE_0 src1_sel:DWORD
	s_and_saveexec_b64 s[40:41], s[4:5]
	s_cbranch_execz .LBB300_60
; %bb.55:                               ;   in Loop: Header=BB300_13 Depth=1
	v_cmp_ne_u16_sdwa s[4:5], v31, s52 src0_sel:BYTE_0 src1_sel:DWORD
	v_bfrev_b32_e32 v13, 1
	s_and_saveexec_b64 s[42:43], s[4:5]
	s_cbranch_execz .LBB300_59
; %bb.56:                               ;   in Loop: Header=BB300_13 Depth=1
	v_and_b32_e32 v0, 0x7f, v31
	v_cmp_ne_u32_e64 s[4:5], s53, v0
	v_mov_b32_e32 v13, 0x7f800001
	s_and_saveexec_b64 s[44:45], s[4:5]
	s_cbranch_execz .LBB300_58
; %bb.57:                               ;   in Loop: Header=BB300_13 Depth=1
	v_and_b32_e32 v32, 7, v31
	v_ffbh_u32_e32 v25, v32
	v_min_u32_e32 v34, 32, v25
	v_subrev_u32_e32 v25, 28, v34
	v_lshlrev_b64 v[25:26], v25, v[31:32]
	v_lshrrev_b32_e32 v33, 3, v0
	v_sub_u32_e32 v26, 29, v34
	v_and_b32_e32 v25, 7, v25
	v_cmp_gt_u32_e64 s[4:5], 8, v0
	v_cndmask_b32_e64 v0, v33, v26, s[4:5]
	v_cndmask_b32_e64 v25, v32, v25, s[4:5]
	v_lshlrev_b32_e32 v26, 24, v31
	v_bfrev_b32_e32 v1, 60
	v_lshlrev_b32_e32 v25, 20, v25
	v_and_b32_e32 v26, 0x80000000, v26
	v_lshl_add_u32 v0, v0, 23, v1
	v_or3_b32 v13, v26, v0, v25
.LBB300_58:                             ;   in Loop: Header=BB300_13 Depth=1
	s_or_b64 exec, exec, s[44:45]
.LBB300_59:                             ;   in Loop: Header=BB300_13 Depth=1
	s_or_b64 exec, exec, s[42:43]
.LBB300_60:                             ;   in Loop: Header=BB300_13 Depth=1
	s_or_b64 exec, exec, s[40:41]
	v_lshrrev_b16_e32 v32, 8, v31
	v_cmp_ne_u16_e64 s[4:5], 0, v32
	s_and_saveexec_b64 s[40:41], s[4:5]
	s_cbranch_execz .LBB300_66
; %bb.61:                               ;   in Loop: Header=BB300_13 Depth=1
	v_cmp_ne_u16_e64 s[4:5], s52, v32
	v_bfrev_b32_e32 v12, 1
	s_and_saveexec_b64 s[42:43], s[4:5]
	s_cbranch_execz .LBB300_65
; %bb.62:                               ;   in Loop: Header=BB300_13 Depth=1
	v_and_b32_e32 v0, 0x7f, v32
	v_cmp_ne_u32_e64 s[4:5], s53, v0
	v_mov_b32_e32 v12, 0x7f800001
	s_and_saveexec_b64 s[44:45], s[4:5]
	s_cbranch_execz .LBB300_64
; %bb.63:                               ;   in Loop: Header=BB300_13 Depth=1
	v_and_b32_e32 v33, 7, v32
	v_ffbh_u32_e32 v25, v33
	v_min_u32_e32 v35, 32, v25
	v_subrev_u32_e32 v25, 28, v35
	v_lshlrev_b64 v[25:26], v25, v[32:33]
	v_lshrrev_b32_e32 v34, 3, v0
	v_sub_u32_e32 v26, 29, v35
	v_and_b32_e32 v25, 7, v25
	v_cmp_gt_u32_e64 s[4:5], 8, v0
	v_cndmask_b32_e64 v0, v34, v26, s[4:5]
	v_cndmask_b32_e64 v25, v33, v25, s[4:5]
	v_lshlrev_b32_e32 v26, 16, v31
	v_bfrev_b32_e32 v1, 60
	v_lshlrev_b32_e32 v25, 20, v25
	v_and_b32_e32 v26, 0x80000000, v26
	v_lshl_add_u32 v0, v0, 23, v1
	v_or3_b32 v12, v26, v0, v25
.LBB300_64:                             ;   in Loop: Header=BB300_13 Depth=1
	s_or_b64 exec, exec, s[44:45]
.LBB300_65:                             ;   in Loop: Header=BB300_13 Depth=1
	s_or_b64 exec, exec, s[42:43]
.LBB300_66:                             ;   in Loop: Header=BB300_13 Depth=1
	s_or_b64 exec, exec, s[40:41]
	global_load_ushort v0, v[29:30], off offset:512
	v_mov_b32_e32 v14, 0
	v_mov_b32_e32 v15, 0
	s_waitcnt vmcnt(0)
	v_and_b32_e32 v31, 0xffff, v0
	v_cmp_ne_u16_sdwa s[4:5], v0, v44 src0_sel:BYTE_0 src1_sel:DWORD
	s_and_saveexec_b64 s[40:41], s[4:5]
	s_cbranch_execz .LBB300_72
; %bb.67:                               ;   in Loop: Header=BB300_13 Depth=1
	v_cmp_ne_u16_sdwa s[4:5], v31, s52 src0_sel:BYTE_0 src1_sel:DWORD
	v_bfrev_b32_e32 v15, 1
	s_and_saveexec_b64 s[42:43], s[4:5]
	s_cbranch_execz .LBB300_71
; %bb.68:                               ;   in Loop: Header=BB300_13 Depth=1
	v_and_b32_e32 v0, 0x7f, v31
	v_cmp_ne_u32_e64 s[4:5], s53, v0
	v_mov_b32_e32 v15, 0x7f800001
	s_and_saveexec_b64 s[44:45], s[4:5]
	s_cbranch_execz .LBB300_70
; %bb.69:                               ;   in Loop: Header=BB300_13 Depth=1
	v_and_b32_e32 v32, 7, v31
	v_lshrrev_b32_e32 v33, 3, v0
	v_cmp_gt_u32_e64 s[4:5], 8, v0
	v_ffbh_u32_e32 v0, v32
	v_min_u32_e32 v0, 32, v0
	v_subrev_u32_e32 v25, 28, v0
	v_lshlrev_b64 v[25:26], v25, v[31:32]
	v_sub_u32_e32 v0, 29, v0
	v_and_b32_e32 v25, 7, v25
	v_cndmask_b32_e64 v0, v33, v0, s[4:5]
	v_cndmask_b32_e64 v25, v32, v25, s[4:5]
	v_lshlrev_b32_e32 v26, 24, v31
	v_bfrev_b32_e32 v1, 60
	v_lshlrev_b32_e32 v25, 20, v25
	v_and_b32_e32 v26, 0x80000000, v26
	v_lshl_add_u32 v0, v0, 23, v1
	v_or3_b32 v15, v26, v0, v25
.LBB300_70:                             ;   in Loop: Header=BB300_13 Depth=1
	s_or_b64 exec, exec, s[44:45]
.LBB300_71:                             ;   in Loop: Header=BB300_13 Depth=1
	s_or_b64 exec, exec, s[42:43]
.LBB300_72:                             ;   in Loop: Header=BB300_13 Depth=1
	s_or_b64 exec, exec, s[40:41]
	v_lshrrev_b16_e32 v32, 8, v31
	v_cmp_ne_u16_e64 s[4:5], 0, v32
	s_and_saveexec_b64 s[40:41], s[4:5]
	s_cbranch_execz .LBB300_78
; %bb.73:                               ;   in Loop: Header=BB300_13 Depth=1
	v_cmp_ne_u16_e64 s[4:5], s52, v32
	v_bfrev_b32_e32 v14, 1
	s_and_saveexec_b64 s[42:43], s[4:5]
	s_cbranch_execz .LBB300_77
; %bb.74:                               ;   in Loop: Header=BB300_13 Depth=1
	v_and_b32_e32 v0, 0x7f, v32
	v_cmp_ne_u32_e64 s[4:5], s53, v0
	v_mov_b32_e32 v14, 0x7f800001
	s_and_saveexec_b64 s[44:45], s[4:5]
	s_cbranch_execz .LBB300_76
; %bb.75:                               ;   in Loop: Header=BB300_13 Depth=1
	v_and_b32_e32 v33, 7, v32
	v_lshrrev_b32_e32 v34, 3, v0
	v_cmp_gt_u32_e64 s[4:5], 8, v0
	v_ffbh_u32_e32 v0, v33
	v_min_u32_e32 v0, 32, v0
	v_subrev_u32_e32 v25, 28, v0
	v_lshlrev_b64 v[25:26], v25, v[32:33]
	v_sub_u32_e32 v0, 29, v0
	v_and_b32_e32 v25, 7, v25
	v_cndmask_b32_e64 v0, v34, v0, s[4:5]
	v_cndmask_b32_e64 v25, v33, v25, s[4:5]
	v_lshlrev_b32_e32 v26, 16, v31
	v_bfrev_b32_e32 v1, 60
	v_lshlrev_b32_e32 v25, 20, v25
	v_and_b32_e32 v26, 0x80000000, v26
	v_lshl_add_u32 v0, v0, 23, v1
	v_or3_b32 v14, v26, v0, v25
.LBB300_76:                             ;   in Loop: Header=BB300_13 Depth=1
	s_or_b64 exec, exec, s[44:45]
.LBB300_77:                             ;   in Loop: Header=BB300_13 Depth=1
	s_or_b64 exec, exec, s[42:43]
.LBB300_78:                             ;   in Loop: Header=BB300_13 Depth=1
	s_or_b64 exec, exec, s[40:41]
	global_load_ushort v0, v[29:30], off offset:520
	v_mov_b32_e32 v16, 0
	v_mov_b32_e32 v17, 0
	s_waitcnt vmcnt(0)
	v_and_b32_e32 v31, 0xffff, v0
	v_cmp_ne_u16_sdwa s[4:5], v0, v44 src0_sel:BYTE_0 src1_sel:DWORD
	s_and_saveexec_b64 s[40:41], s[4:5]
	s_cbranch_execz .LBB300_84
; %bb.79:                               ;   in Loop: Header=BB300_13 Depth=1
	v_cmp_ne_u16_sdwa s[4:5], v31, s52 src0_sel:BYTE_0 src1_sel:DWORD
	v_bfrev_b32_e32 v17, 1
	s_and_saveexec_b64 s[42:43], s[4:5]
	s_cbranch_execz .LBB300_83
; %bb.80:                               ;   in Loop: Header=BB300_13 Depth=1
	v_and_b32_e32 v0, 0x7f, v31
	v_cmp_ne_u32_e64 s[4:5], s53, v0
	v_mov_b32_e32 v17, 0x7f800001
	s_and_saveexec_b64 s[44:45], s[4:5]
	s_cbranch_execz .LBB300_82
; %bb.81:                               ;   in Loop: Header=BB300_13 Depth=1
	v_and_b32_e32 v32, 7, v31
	v_lshrrev_b32_e32 v33, 3, v0
	v_cmp_gt_u32_e64 s[4:5], 8, v0
	v_ffbh_u32_e32 v0, v32
	v_min_u32_e32 v0, 32, v0
	v_subrev_u32_e32 v25, 28, v0
	v_lshlrev_b64 v[25:26], v25, v[31:32]
	v_sub_u32_e32 v0, 29, v0
	v_and_b32_e32 v25, 7, v25
	v_cndmask_b32_e64 v0, v33, v0, s[4:5]
	v_cndmask_b32_e64 v25, v32, v25, s[4:5]
	v_lshlrev_b32_e32 v26, 24, v31
	v_bfrev_b32_e32 v1, 60
	v_lshlrev_b32_e32 v25, 20, v25
	v_and_b32_e32 v26, 0x80000000, v26
	v_lshl_add_u32 v0, v0, 23, v1
	v_or3_b32 v17, v26, v0, v25
.LBB300_82:                             ;   in Loop: Header=BB300_13 Depth=1
	s_or_b64 exec, exec, s[44:45]
.LBB300_83:                             ;   in Loop: Header=BB300_13 Depth=1
	s_or_b64 exec, exec, s[42:43]
.LBB300_84:                             ;   in Loop: Header=BB300_13 Depth=1
	s_or_b64 exec, exec, s[40:41]
	v_lshrrev_b16_e32 v32, 8, v31
	v_cmp_ne_u16_e64 s[4:5], 0, v32
	s_and_saveexec_b64 s[40:41], s[4:5]
	s_cbranch_execz .LBB300_90
; %bb.85:                               ;   in Loop: Header=BB300_13 Depth=1
	v_cmp_ne_u16_e64 s[4:5], s52, v32
	v_bfrev_b32_e32 v16, 1
	s_and_saveexec_b64 s[42:43], s[4:5]
	s_cbranch_execz .LBB300_89
; %bb.86:                               ;   in Loop: Header=BB300_13 Depth=1
	v_and_b32_e32 v0, 0x7f, v32
	v_cmp_ne_u32_e64 s[4:5], s53, v0
	v_mov_b32_e32 v16, 0x7f800001
	s_and_saveexec_b64 s[44:45], s[4:5]
	s_cbranch_execz .LBB300_88
; %bb.87:                               ;   in Loop: Header=BB300_13 Depth=1
	v_and_b32_e32 v33, 7, v32
	v_lshrrev_b32_e32 v34, 3, v0
	v_cmp_gt_u32_e64 s[4:5], 8, v0
	v_ffbh_u32_e32 v0, v33
	v_min_u32_e32 v0, 32, v0
	v_subrev_u32_e32 v25, 28, v0
	v_lshlrev_b64 v[25:26], v25, v[32:33]
	v_sub_u32_e32 v0, 29, v0
	v_and_b32_e32 v25, 7, v25
	v_cndmask_b32_e64 v0, v34, v0, s[4:5]
	v_cndmask_b32_e64 v25, v33, v25, s[4:5]
	v_lshlrev_b32_e32 v26, 16, v31
	v_bfrev_b32_e32 v1, 60
	v_lshlrev_b32_e32 v25, 20, v25
	v_and_b32_e32 v26, 0x80000000, v26
	v_lshl_add_u32 v0, v0, 23, v1
	v_or3_b32 v16, v26, v0, v25
.LBB300_88:                             ;   in Loop: Header=BB300_13 Depth=1
	s_or_b64 exec, exec, s[44:45]
.LBB300_89:                             ;   in Loop: Header=BB300_13 Depth=1
	s_or_b64 exec, exec, s[42:43]
.LBB300_90:                             ;   in Loop: Header=BB300_13 Depth=1
	s_or_b64 exec, exec, s[40:41]
	global_load_ushort v0, v[29:30], off offset:768
	v_mov_b32_e32 v18, 0
	v_mov_b32_e32 v5, 0
	s_waitcnt vmcnt(0)
	v_and_b32_e32 v31, 0xffff, v0
	v_cmp_ne_u16_sdwa s[4:5], v0, v44 src0_sel:BYTE_0 src1_sel:DWORD
	s_and_saveexec_b64 s[40:41], s[4:5]
	s_cbranch_execz .LBB300_96
; %bb.91:                               ;   in Loop: Header=BB300_13 Depth=1
	v_cmp_ne_u16_sdwa s[4:5], v31, s52 src0_sel:BYTE_0 src1_sel:DWORD
	v_bfrev_b32_e32 v5, 1
	s_and_saveexec_b64 s[42:43], s[4:5]
	s_cbranch_execz .LBB300_95
; %bb.92:                               ;   in Loop: Header=BB300_13 Depth=1
	v_and_b32_e32 v0, 0x7f, v31
	v_cmp_ne_u32_e64 s[4:5], s53, v0
	v_mov_b32_e32 v5, 0x7f800001
	s_and_saveexec_b64 s[44:45], s[4:5]
	s_cbranch_execz .LBB300_94
; %bb.93:                               ;   in Loop: Header=BB300_13 Depth=1
	v_and_b32_e32 v32, 7, v31
	v_lshrrev_b32_e32 v33, 3, v0
	v_cmp_gt_u32_e64 s[4:5], 8, v0
	v_ffbh_u32_e32 v0, v32
	v_min_u32_e32 v0, 32, v0
	v_subrev_u32_e32 v25, 28, v0
	v_lshlrev_b64 v[25:26], v25, v[31:32]
	v_sub_u32_e32 v0, 29, v0
	v_and_b32_e32 v25, 7, v25
	v_cndmask_b32_e64 v0, v33, v0, s[4:5]
	v_cndmask_b32_e64 v25, v32, v25, s[4:5]
	v_lshlrev_b32_e32 v26, 24, v31
	v_bfrev_b32_e32 v1, 60
	v_lshlrev_b32_e32 v25, 20, v25
	v_and_b32_e32 v26, 0x80000000, v26
	v_lshl_add_u32 v0, v0, 23, v1
	v_or3_b32 v5, v26, v0, v25
.LBB300_94:                             ;   in Loop: Header=BB300_13 Depth=1
	s_or_b64 exec, exec, s[44:45]
.LBB300_95:                             ;   in Loop: Header=BB300_13 Depth=1
	s_or_b64 exec, exec, s[42:43]
.LBB300_96:                             ;   in Loop: Header=BB300_13 Depth=1
	s_or_b64 exec, exec, s[40:41]
	v_lshrrev_b16_e32 v32, 8, v31
	v_cmp_ne_u16_e64 s[4:5], 0, v32
	s_and_saveexec_b64 s[40:41], s[4:5]
	s_cbranch_execz .LBB300_102
; %bb.97:                               ;   in Loop: Header=BB300_13 Depth=1
	v_cmp_ne_u16_e64 s[4:5], s52, v32
	v_bfrev_b32_e32 v18, 1
	s_and_saveexec_b64 s[42:43], s[4:5]
	s_cbranch_execz .LBB300_101
; %bb.98:                               ;   in Loop: Header=BB300_13 Depth=1
	v_and_b32_e32 v0, 0x7f, v32
	v_cmp_ne_u32_e64 s[4:5], s53, v0
	v_mov_b32_e32 v18, 0x7f800001
	s_and_saveexec_b64 s[44:45], s[4:5]
	s_cbranch_execz .LBB300_100
; %bb.99:                               ;   in Loop: Header=BB300_13 Depth=1
	v_and_b32_e32 v33, 7, v32
	v_lshrrev_b32_e32 v34, 3, v0
	v_cmp_gt_u32_e64 s[4:5], 8, v0
	v_ffbh_u32_e32 v0, v33
	v_min_u32_e32 v0, 32, v0
	v_subrev_u32_e32 v25, 28, v0
	v_lshlrev_b64 v[25:26], v25, v[32:33]
	v_sub_u32_e32 v0, 29, v0
	v_and_b32_e32 v25, 7, v25
	v_cndmask_b32_e64 v0, v34, v0, s[4:5]
	v_cndmask_b32_e64 v25, v33, v25, s[4:5]
	v_lshlrev_b32_e32 v26, 16, v31
	v_bfrev_b32_e32 v1, 60
	v_lshlrev_b32_e32 v25, 20, v25
	v_and_b32_e32 v26, 0x80000000, v26
	v_lshl_add_u32 v0, v0, 23, v1
	v_or3_b32 v18, v26, v0, v25
.LBB300_100:                            ;   in Loop: Header=BB300_13 Depth=1
	s_or_b64 exec, exec, s[44:45]
.LBB300_101:                            ;   in Loop: Header=BB300_13 Depth=1
	s_or_b64 exec, exec, s[42:43]
.LBB300_102:                            ;   in Loop: Header=BB300_13 Depth=1
	s_or_b64 exec, exec, s[40:41]
	global_load_ushort v0, v[29:30], off offset:776
	v_mov_b32_e32 v8, 0
	v_mov_b32_e32 v19, 0
	s_waitcnt vmcnt(0)
	v_and_b32_e32 v31, 0xffff, v0
	v_cmp_ne_u16_sdwa s[4:5], v0, v44 src0_sel:BYTE_0 src1_sel:DWORD
	s_and_saveexec_b64 s[40:41], s[4:5]
	s_cbranch_execz .LBB300_108
; %bb.103:                              ;   in Loop: Header=BB300_13 Depth=1
	v_cmp_ne_u16_sdwa s[4:5], v31, s52 src0_sel:BYTE_0 src1_sel:DWORD
	v_bfrev_b32_e32 v19, 1
	s_and_saveexec_b64 s[42:43], s[4:5]
	s_cbranch_execz .LBB300_107
; %bb.104:                              ;   in Loop: Header=BB300_13 Depth=1
	v_and_b32_e32 v0, 0x7f, v31
	v_cmp_ne_u32_e64 s[4:5], s53, v0
	v_mov_b32_e32 v19, 0x7f800001
	s_and_saveexec_b64 s[44:45], s[4:5]
	s_cbranch_execz .LBB300_106
; %bb.105:                              ;   in Loop: Header=BB300_13 Depth=1
	v_and_b32_e32 v32, 7, v31
	v_lshrrev_b32_e32 v33, 3, v0
	v_cmp_gt_u32_e64 s[4:5], 8, v0
	v_ffbh_u32_e32 v0, v32
	v_min_u32_e32 v0, 32, v0
	v_subrev_u32_e32 v25, 28, v0
	v_lshlrev_b64 v[25:26], v25, v[31:32]
	v_sub_u32_e32 v0, 29, v0
	v_and_b32_e32 v25, 7, v25
	v_cndmask_b32_e64 v0, v33, v0, s[4:5]
	v_cndmask_b32_e64 v25, v32, v25, s[4:5]
	v_lshlrev_b32_e32 v26, 24, v31
	v_bfrev_b32_e32 v1, 60
	v_lshlrev_b32_e32 v25, 20, v25
	v_and_b32_e32 v26, 0x80000000, v26
	v_lshl_add_u32 v0, v0, 23, v1
	v_or3_b32 v19, v26, v0, v25
.LBB300_106:                            ;   in Loop: Header=BB300_13 Depth=1
	s_or_b64 exec, exec, s[44:45]
.LBB300_107:                            ;   in Loop: Header=BB300_13 Depth=1
	s_or_b64 exec, exec, s[42:43]
.LBB300_108:                            ;   in Loop: Header=BB300_13 Depth=1
	s_or_b64 exec, exec, s[40:41]
	v_lshrrev_b16_e32 v32, 8, v31
	v_cmp_ne_u16_e64 s[4:5], 0, v32
	s_and_saveexec_b64 s[40:41], s[4:5]
	s_cbranch_execz .LBB300_114
; %bb.109:                              ;   in Loop: Header=BB300_13 Depth=1
	v_cmp_ne_u16_e64 s[4:5], s52, v32
	v_bfrev_b32_e32 v8, 1
	s_and_saveexec_b64 s[42:43], s[4:5]
	s_cbranch_execz .LBB300_113
; %bb.110:                              ;   in Loop: Header=BB300_13 Depth=1
	v_and_b32_e32 v0, 0x7f, v32
	v_cmp_ne_u32_e64 s[4:5], s53, v0
	v_mov_b32_e32 v8, 0x7f800001
	s_and_saveexec_b64 s[44:45], s[4:5]
	s_cbranch_execz .LBB300_112
; %bb.111:                              ;   in Loop: Header=BB300_13 Depth=1
	v_and_b32_e32 v33, 7, v32
	v_lshrrev_b32_e32 v34, 3, v0
	v_cmp_gt_u32_e64 s[4:5], 8, v0
	v_ffbh_u32_e32 v0, v33
	v_min_u32_e32 v0, 32, v0
	v_subrev_u32_e32 v25, 28, v0
	v_lshlrev_b64 v[25:26], v25, v[32:33]
	v_sub_u32_e32 v0, 29, v0
	v_and_b32_e32 v25, 7, v25
	v_cndmask_b32_e64 v0, v34, v0, s[4:5]
	v_cndmask_b32_e64 v25, v33, v25, s[4:5]
	v_lshlrev_b32_e32 v26, 16, v31
	v_bfrev_b32_e32 v1, 60
	v_lshlrev_b32_e32 v25, 20, v25
	v_and_b32_e32 v26, 0x80000000, v26
	v_lshl_add_u32 v0, v0, 23, v1
	v_or3_b32 v8, v26, v0, v25
.LBB300_112:                            ;   in Loop: Header=BB300_13 Depth=1
	s_or_b64 exec, exec, s[44:45]
.LBB300_113:                            ;   in Loop: Header=BB300_13 Depth=1
	s_or_b64 exec, exec, s[42:43]
.LBB300_114:                            ;   in Loop: Header=BB300_13 Depth=1
	s_or_b64 exec, exec, s[40:41]
	global_load_ushort v0, v[29:30], off offset:1024
	v_mov_b32_e32 v6, 0
	v_mov_b32_e32 v9, 0
	s_waitcnt vmcnt(0)
	v_and_b32_e32 v31, 0xffff, v0
	v_cmp_ne_u16_sdwa s[4:5], v0, v44 src0_sel:BYTE_0 src1_sel:DWORD
	s_and_saveexec_b64 s[40:41], s[4:5]
	s_cbranch_execz .LBB300_120
; %bb.115:                              ;   in Loop: Header=BB300_13 Depth=1
	v_cmp_ne_u16_sdwa s[4:5], v31, s52 src0_sel:BYTE_0 src1_sel:DWORD
	v_bfrev_b32_e32 v9, 1
	s_and_saveexec_b64 s[42:43], s[4:5]
	s_cbranch_execz .LBB300_119
; %bb.116:                              ;   in Loop: Header=BB300_13 Depth=1
	v_and_b32_e32 v0, 0x7f, v31
	v_cmp_ne_u32_e64 s[4:5], s53, v0
	v_mov_b32_e32 v9, 0x7f800001
	s_and_saveexec_b64 s[44:45], s[4:5]
	s_cbranch_execz .LBB300_118
; %bb.117:                              ;   in Loop: Header=BB300_13 Depth=1
	v_and_b32_e32 v32, 7, v31
	v_lshrrev_b32_e32 v33, 3, v0
	v_cmp_gt_u32_e64 s[4:5], 8, v0
	v_ffbh_u32_e32 v0, v32
	v_min_u32_e32 v0, 32, v0
	v_subrev_u32_e32 v25, 28, v0
	v_lshlrev_b64 v[25:26], v25, v[31:32]
	v_sub_u32_e32 v0, 29, v0
	v_and_b32_e32 v25, 7, v25
	v_cndmask_b32_e64 v0, v33, v0, s[4:5]
	v_cndmask_b32_e64 v25, v32, v25, s[4:5]
	v_lshlrev_b32_e32 v26, 24, v31
	v_bfrev_b32_e32 v1, 60
	v_lshlrev_b32_e32 v25, 20, v25
	v_and_b32_e32 v26, 0x80000000, v26
	v_lshl_add_u32 v0, v0, 23, v1
	v_or3_b32 v9, v26, v0, v25
.LBB300_118:                            ;   in Loop: Header=BB300_13 Depth=1
	s_or_b64 exec, exec, s[44:45]
.LBB300_119:                            ;   in Loop: Header=BB300_13 Depth=1
	s_or_b64 exec, exec, s[42:43]
.LBB300_120:                            ;   in Loop: Header=BB300_13 Depth=1
	s_or_b64 exec, exec, s[40:41]
	v_lshrrev_b16_e32 v32, 8, v31
	v_cmp_ne_u16_e64 s[4:5], 0, v32
	s_and_saveexec_b64 s[40:41], s[4:5]
	s_cbranch_execz .LBB300_126
; %bb.121:                              ;   in Loop: Header=BB300_13 Depth=1
	v_cmp_ne_u16_e64 s[4:5], s52, v32
	v_bfrev_b32_e32 v6, 1
	s_and_saveexec_b64 s[42:43], s[4:5]
	s_cbranch_execz .LBB300_125
; %bb.122:                              ;   in Loop: Header=BB300_13 Depth=1
	v_and_b32_e32 v0, 0x7f, v32
	v_cmp_ne_u32_e64 s[4:5], s53, v0
	v_mov_b32_e32 v6, 0x7f800001
	s_and_saveexec_b64 s[44:45], s[4:5]
	s_cbranch_execz .LBB300_124
; %bb.123:                              ;   in Loop: Header=BB300_13 Depth=1
	v_and_b32_e32 v33, 7, v32
	v_lshrrev_b32_e32 v34, 3, v0
	v_cmp_gt_u32_e64 s[4:5], 8, v0
	v_ffbh_u32_e32 v0, v33
	v_min_u32_e32 v0, 32, v0
	v_subrev_u32_e32 v25, 28, v0
	v_lshlrev_b64 v[25:26], v25, v[32:33]
	v_sub_u32_e32 v0, 29, v0
	v_and_b32_e32 v25, 7, v25
	v_cndmask_b32_e64 v0, v34, v0, s[4:5]
	v_cndmask_b32_e64 v25, v33, v25, s[4:5]
	v_lshlrev_b32_e32 v26, 16, v31
	v_bfrev_b32_e32 v1, 60
	v_lshlrev_b32_e32 v25, 20, v25
	v_and_b32_e32 v26, 0x80000000, v26
	v_lshl_add_u32 v0, v0, 23, v1
	v_or3_b32 v6, v26, v0, v25
.LBB300_124:                            ;   in Loop: Header=BB300_13 Depth=1
	s_or_b64 exec, exec, s[44:45]
.LBB300_125:                            ;   in Loop: Header=BB300_13 Depth=1
	s_or_b64 exec, exec, s[42:43]
.LBB300_126:                            ;   in Loop: Header=BB300_13 Depth=1
	s_or_b64 exec, exec, s[40:41]
	global_load_ushort v0, v[29:30], off offset:1032
	v_mov_b32_e32 v20, 0
	v_mov_b32_e32 v35, 0
	s_waitcnt vmcnt(0)
	v_and_b32_e32 v31, 0xffff, v0
	v_cmp_ne_u16_sdwa s[4:5], v0, v44 src0_sel:BYTE_0 src1_sel:DWORD
	s_and_saveexec_b64 s[40:41], s[4:5]
	s_cbranch_execz .LBB300_132
; %bb.127:                              ;   in Loop: Header=BB300_13 Depth=1
	v_cmp_ne_u16_sdwa s[4:5], v31, s52 src0_sel:BYTE_0 src1_sel:DWORD
	v_bfrev_b32_e32 v35, 1
	s_and_saveexec_b64 s[42:43], s[4:5]
	s_cbranch_execz .LBB300_131
; %bb.128:                              ;   in Loop: Header=BB300_13 Depth=1
	v_and_b32_e32 v0, 0x7f, v31
	v_cmp_ne_u32_e64 s[4:5], s53, v0
	v_mov_b32_e32 v35, 0x7f800001
	s_and_saveexec_b64 s[44:45], s[4:5]
	s_cbranch_execz .LBB300_130
; %bb.129:                              ;   in Loop: Header=BB300_13 Depth=1
	v_and_b32_e32 v32, 7, v31
	v_lshrrev_b32_e32 v33, 3, v0
	v_cmp_gt_u32_e64 s[4:5], 8, v0
	v_ffbh_u32_e32 v0, v32
	v_min_u32_e32 v0, 32, v0
	v_subrev_u32_e32 v25, 28, v0
	v_lshlrev_b64 v[25:26], v25, v[31:32]
	v_sub_u32_e32 v0, 29, v0
	v_and_b32_e32 v25, 7, v25
	v_cndmask_b32_e64 v0, v33, v0, s[4:5]
	v_cndmask_b32_e64 v25, v32, v25, s[4:5]
	v_lshlrev_b32_e32 v26, 24, v31
	v_bfrev_b32_e32 v1, 60
	v_lshlrev_b32_e32 v25, 20, v25
	v_and_b32_e32 v26, 0x80000000, v26
	v_lshl_add_u32 v0, v0, 23, v1
	v_or3_b32 v35, v26, v0, v25
.LBB300_130:                            ;   in Loop: Header=BB300_13 Depth=1
	s_or_b64 exec, exec, s[44:45]
.LBB300_131:                            ;   in Loop: Header=BB300_13 Depth=1
	s_or_b64 exec, exec, s[42:43]
.LBB300_132:                            ;   in Loop: Header=BB300_13 Depth=1
	s_or_b64 exec, exec, s[40:41]
	v_lshrrev_b16_e32 v32, 8, v31
	v_cmp_ne_u16_e64 s[4:5], 0, v32
	s_and_saveexec_b64 s[40:41], s[4:5]
	s_cbranch_execz .LBB300_138
; %bb.133:                              ;   in Loop: Header=BB300_13 Depth=1
	v_cmp_ne_u16_e64 s[4:5], s52, v32
	v_bfrev_b32_e32 v20, 1
	s_and_saveexec_b64 s[42:43], s[4:5]
	s_cbranch_execz .LBB300_137
; %bb.134:                              ;   in Loop: Header=BB300_13 Depth=1
	v_and_b32_e32 v0, 0x7f, v32
	v_cmp_ne_u32_e64 s[4:5], s53, v0
	v_mov_b32_e32 v20, 0x7f800001
	s_and_saveexec_b64 s[44:45], s[4:5]
	s_cbranch_execz .LBB300_136
; %bb.135:                              ;   in Loop: Header=BB300_13 Depth=1
	v_and_b32_e32 v33, 7, v32
	v_lshrrev_b32_e32 v34, 3, v0
	v_cmp_gt_u32_e64 s[4:5], 8, v0
	v_ffbh_u32_e32 v0, v33
	v_min_u32_e32 v0, 32, v0
	v_subrev_u32_e32 v25, 28, v0
	v_lshlrev_b64 v[25:26], v25, v[32:33]
	v_sub_u32_e32 v0, 29, v0
	v_and_b32_e32 v25, 7, v25
	v_cndmask_b32_e64 v0, v34, v0, s[4:5]
	v_cndmask_b32_e64 v25, v33, v25, s[4:5]
	v_lshlrev_b32_e32 v26, 16, v31
	v_bfrev_b32_e32 v1, 60
	v_lshlrev_b32_e32 v25, 20, v25
	v_and_b32_e32 v26, 0x80000000, v26
	v_lshl_add_u32 v0, v0, 23, v1
	v_or3_b32 v20, v26, v0, v25
.LBB300_136:                            ;   in Loop: Header=BB300_13 Depth=1
	s_or_b64 exec, exec, s[44:45]
.LBB300_137:                            ;   in Loop: Header=BB300_13 Depth=1
	s_or_b64 exec, exec, s[42:43]
.LBB300_138:                            ;   in Loop: Header=BB300_13 Depth=1
	s_or_b64 exec, exec, s[40:41]
	global_load_ushort v0, v[29:30], off offset:1280
	v_mov_b32_e32 v21, 0
	v_mov_b32_e32 v22, 0
	s_waitcnt vmcnt(0)
	v_and_b32_e32 v31, 0xffff, v0
	v_cmp_ne_u16_sdwa s[4:5], v0, v44 src0_sel:BYTE_0 src1_sel:DWORD
	s_and_saveexec_b64 s[40:41], s[4:5]
	s_cbranch_execz .LBB300_144
; %bb.139:                              ;   in Loop: Header=BB300_13 Depth=1
	v_cmp_ne_u16_sdwa s[4:5], v31, s52 src0_sel:BYTE_0 src1_sel:DWORD
	v_bfrev_b32_e32 v22, 1
	s_and_saveexec_b64 s[42:43], s[4:5]
	s_cbranch_execz .LBB300_143
; %bb.140:                              ;   in Loop: Header=BB300_13 Depth=1
	v_and_b32_e32 v0, 0x7f, v31
	v_cmp_ne_u32_e64 s[4:5], s53, v0
	v_mov_b32_e32 v22, 0x7f800001
	s_and_saveexec_b64 s[44:45], s[4:5]
	s_cbranch_execz .LBB300_142
; %bb.141:                              ;   in Loop: Header=BB300_13 Depth=1
	v_and_b32_e32 v32, 7, v31
	v_lshrrev_b32_e32 v33, 3, v0
	v_cmp_gt_u32_e64 s[4:5], 8, v0
	v_ffbh_u32_e32 v0, v32
	v_min_u32_e32 v0, 32, v0
	v_subrev_u32_e32 v25, 28, v0
	v_lshlrev_b64 v[25:26], v25, v[31:32]
	v_sub_u32_e32 v0, 29, v0
	v_and_b32_e32 v25, 7, v25
	v_cndmask_b32_e64 v0, v33, v0, s[4:5]
	v_cndmask_b32_e64 v25, v32, v25, s[4:5]
	v_lshlrev_b32_e32 v26, 24, v31
	v_bfrev_b32_e32 v1, 60
	v_lshlrev_b32_e32 v25, 20, v25
	v_and_b32_e32 v26, 0x80000000, v26
	v_lshl_add_u32 v0, v0, 23, v1
	v_or3_b32 v22, v26, v0, v25
.LBB300_142:                            ;   in Loop: Header=BB300_13 Depth=1
	s_or_b64 exec, exec, s[44:45]
.LBB300_143:                            ;   in Loop: Header=BB300_13 Depth=1
	s_or_b64 exec, exec, s[42:43]
.LBB300_144:                            ;   in Loop: Header=BB300_13 Depth=1
	s_or_b64 exec, exec, s[40:41]
	v_lshrrev_b16_e32 v32, 8, v31
	v_cmp_ne_u16_e64 s[4:5], 0, v32
	s_and_saveexec_b64 s[40:41], s[4:5]
	s_cbranch_execz .LBB300_150
; %bb.145:                              ;   in Loop: Header=BB300_13 Depth=1
	v_cmp_ne_u16_e64 s[4:5], s52, v32
	v_bfrev_b32_e32 v21, 1
	s_and_saveexec_b64 s[42:43], s[4:5]
	s_cbranch_execz .LBB300_149
; %bb.146:                              ;   in Loop: Header=BB300_13 Depth=1
	v_and_b32_e32 v0, 0x7f, v32
	v_cmp_ne_u32_e64 s[4:5], s53, v0
	v_mov_b32_e32 v21, 0x7f800001
	s_and_saveexec_b64 s[44:45], s[4:5]
	s_cbranch_execz .LBB300_148
; %bb.147:                              ;   in Loop: Header=BB300_13 Depth=1
	v_and_b32_e32 v33, 7, v32
	v_lshrrev_b32_e32 v34, 3, v0
	v_cmp_gt_u32_e64 s[4:5], 8, v0
	v_ffbh_u32_e32 v0, v33
	v_min_u32_e32 v0, 32, v0
	v_subrev_u32_e32 v25, 28, v0
	v_lshlrev_b64 v[25:26], v25, v[32:33]
	v_sub_u32_e32 v0, 29, v0
	v_and_b32_e32 v25, 7, v25
	v_cndmask_b32_e64 v0, v34, v0, s[4:5]
	v_cndmask_b32_e64 v25, v33, v25, s[4:5]
	v_lshlrev_b32_e32 v26, 16, v31
	v_bfrev_b32_e32 v1, 60
	v_lshlrev_b32_e32 v25, 20, v25
	v_and_b32_e32 v26, 0x80000000, v26
	v_lshl_add_u32 v0, v0, 23, v1
	v_or3_b32 v21, v26, v0, v25
.LBB300_148:                            ;   in Loop: Header=BB300_13 Depth=1
	s_or_b64 exec, exec, s[44:45]
.LBB300_149:                            ;   in Loop: Header=BB300_13 Depth=1
	s_or_b64 exec, exec, s[42:43]
.LBB300_150:                            ;   in Loop: Header=BB300_13 Depth=1
	s_or_b64 exec, exec, s[40:41]
	global_load_ushort v0, v[29:30], off offset:1288
	v_mov_b32_e32 v24, 0
	v_mov_b32_e32 v37, 0
	s_waitcnt vmcnt(0)
	v_and_b32_e32 v31, 0xffff, v0
	v_cmp_ne_u16_sdwa s[4:5], v0, v44 src0_sel:BYTE_0 src1_sel:DWORD
	s_and_saveexec_b64 s[40:41], s[4:5]
	s_cbranch_execz .LBB300_156
; %bb.151:                              ;   in Loop: Header=BB300_13 Depth=1
	v_cmp_ne_u16_sdwa s[4:5], v31, s52 src0_sel:BYTE_0 src1_sel:DWORD
	v_bfrev_b32_e32 v37, 1
	s_and_saveexec_b64 s[42:43], s[4:5]
	s_cbranch_execz .LBB300_155
; %bb.152:                              ;   in Loop: Header=BB300_13 Depth=1
	v_and_b32_e32 v0, 0x7f, v31
	v_cmp_ne_u32_e64 s[4:5], s53, v0
	v_mov_b32_e32 v37, 0x7f800001
	s_and_saveexec_b64 s[44:45], s[4:5]
	s_cbranch_execz .LBB300_154
; %bb.153:                              ;   in Loop: Header=BB300_13 Depth=1
	v_and_b32_e32 v32, 7, v31
	v_lshrrev_b32_e32 v33, 3, v0
	v_cmp_gt_u32_e64 s[4:5], 8, v0
	v_ffbh_u32_e32 v0, v32
	v_min_u32_e32 v0, 32, v0
	v_subrev_u32_e32 v25, 28, v0
	v_lshlrev_b64 v[25:26], v25, v[31:32]
	v_sub_u32_e32 v0, 29, v0
	v_and_b32_e32 v25, 7, v25
	v_cndmask_b32_e64 v0, v33, v0, s[4:5]
	v_cndmask_b32_e64 v25, v32, v25, s[4:5]
	v_lshlrev_b32_e32 v26, 24, v31
	v_bfrev_b32_e32 v1, 60
	v_lshlrev_b32_e32 v25, 20, v25
	v_and_b32_e32 v26, 0x80000000, v26
	v_lshl_add_u32 v0, v0, 23, v1
	v_or3_b32 v37, v26, v0, v25
.LBB300_154:                            ;   in Loop: Header=BB300_13 Depth=1
	s_or_b64 exec, exec, s[44:45]
.LBB300_155:                            ;   in Loop: Header=BB300_13 Depth=1
	s_or_b64 exec, exec, s[42:43]
.LBB300_156:                            ;   in Loop: Header=BB300_13 Depth=1
	s_or_b64 exec, exec, s[40:41]
	v_lshrrev_b16_e32 v32, 8, v31
	v_cmp_ne_u16_e64 s[4:5], 0, v32
	s_and_saveexec_b64 s[40:41], s[4:5]
	s_cbranch_execz .LBB300_162
; %bb.157:                              ;   in Loop: Header=BB300_13 Depth=1
	v_cmp_ne_u16_e64 s[4:5], s52, v32
	v_bfrev_b32_e32 v24, 1
	s_and_saveexec_b64 s[42:43], s[4:5]
	s_cbranch_execz .LBB300_161
; %bb.158:                              ;   in Loop: Header=BB300_13 Depth=1
	v_and_b32_e32 v0, 0x7f, v32
	v_cmp_ne_u32_e64 s[4:5], s53, v0
	v_mov_b32_e32 v24, 0x7f800001
	s_and_saveexec_b64 s[44:45], s[4:5]
	s_cbranch_execz .LBB300_160
; %bb.159:                              ;   in Loop: Header=BB300_13 Depth=1
	v_and_b32_e32 v33, 7, v32
	v_lshrrev_b32_e32 v34, 3, v0
	v_cmp_gt_u32_e64 s[4:5], 8, v0
	v_ffbh_u32_e32 v0, v33
	v_min_u32_e32 v0, 32, v0
	v_subrev_u32_e32 v25, 28, v0
	v_lshlrev_b64 v[25:26], v25, v[32:33]
	v_sub_u32_e32 v0, 29, v0
	v_and_b32_e32 v25, 7, v25
	v_cndmask_b32_e64 v0, v34, v0, s[4:5]
	v_cndmask_b32_e64 v25, v33, v25, s[4:5]
	v_lshlrev_b32_e32 v26, 16, v31
	v_bfrev_b32_e32 v1, 60
	v_lshlrev_b32_e32 v25, 20, v25
	v_and_b32_e32 v26, 0x80000000, v26
	v_lshl_add_u32 v0, v0, 23, v1
	v_or3_b32 v24, v26, v0, v25
.LBB300_160:                            ;   in Loop: Header=BB300_13 Depth=1
	s_or_b64 exec, exec, s[44:45]
.LBB300_161:                            ;   in Loop: Header=BB300_13 Depth=1
	s_or_b64 exec, exec, s[42:43]
.LBB300_162:                            ;   in Loop: Header=BB300_13 Depth=1
	s_or_b64 exec, exec, s[40:41]
	global_load_ushort v0, v[29:30], off offset:1536
	v_mov_b32_e32 v38, 0
	v_mov_b32_e32 v39, 0
	s_waitcnt vmcnt(0)
	v_and_b32_e32 v31, 0xffff, v0
	v_cmp_ne_u16_sdwa s[4:5], v0, v44 src0_sel:BYTE_0 src1_sel:DWORD
	s_and_saveexec_b64 s[40:41], s[4:5]
	s_cbranch_execz .LBB300_168
; %bb.163:                              ;   in Loop: Header=BB300_13 Depth=1
	v_cmp_ne_u16_sdwa s[4:5], v31, s52 src0_sel:BYTE_0 src1_sel:DWORD
	v_bfrev_b32_e32 v39, 1
	s_and_saveexec_b64 s[42:43], s[4:5]
	s_cbranch_execz .LBB300_167
; %bb.164:                              ;   in Loop: Header=BB300_13 Depth=1
	v_and_b32_e32 v0, 0x7f, v31
	v_cmp_ne_u32_e64 s[4:5], s53, v0
	v_mov_b32_e32 v39, 0x7f800001
	s_and_saveexec_b64 s[44:45], s[4:5]
	s_cbranch_execz .LBB300_166
; %bb.165:                              ;   in Loop: Header=BB300_13 Depth=1
	v_and_b32_e32 v32, 7, v31
	v_lshrrev_b32_e32 v33, 3, v0
	v_cmp_gt_u32_e64 s[4:5], 8, v0
	v_ffbh_u32_e32 v0, v32
	v_min_u32_e32 v0, 32, v0
	v_subrev_u32_e32 v25, 28, v0
	v_lshlrev_b64 v[25:26], v25, v[31:32]
	v_sub_u32_e32 v0, 29, v0
	v_and_b32_e32 v25, 7, v25
	v_cndmask_b32_e64 v0, v33, v0, s[4:5]
	v_cndmask_b32_e64 v25, v32, v25, s[4:5]
	v_lshlrev_b32_e32 v26, 24, v31
	v_bfrev_b32_e32 v1, 60
	v_lshlrev_b32_e32 v25, 20, v25
	v_and_b32_e32 v26, 0x80000000, v26
	v_lshl_add_u32 v0, v0, 23, v1
	v_or3_b32 v39, v26, v0, v25
.LBB300_166:                            ;   in Loop: Header=BB300_13 Depth=1
	s_or_b64 exec, exec, s[44:45]
.LBB300_167:                            ;   in Loop: Header=BB300_13 Depth=1
	s_or_b64 exec, exec, s[42:43]
.LBB300_168:                            ;   in Loop: Header=BB300_13 Depth=1
	s_or_b64 exec, exec, s[40:41]
	v_lshrrev_b16_e32 v32, 8, v31
	v_cmp_ne_u16_e64 s[4:5], 0, v32
	s_and_saveexec_b64 s[40:41], s[4:5]
	s_cbranch_execz .LBB300_174
; %bb.169:                              ;   in Loop: Header=BB300_13 Depth=1
	v_cmp_ne_u16_e64 s[4:5], s52, v32
	v_bfrev_b32_e32 v38, 1
	s_and_saveexec_b64 s[42:43], s[4:5]
	s_cbranch_execz .LBB300_173
; %bb.170:                              ;   in Loop: Header=BB300_13 Depth=1
	v_and_b32_e32 v0, 0x7f, v32
	v_cmp_ne_u32_e64 s[4:5], s53, v0
	v_mov_b32_e32 v38, 0x7f800001
	s_and_saveexec_b64 s[44:45], s[4:5]
	s_cbranch_execz .LBB300_172
; %bb.171:                              ;   in Loop: Header=BB300_13 Depth=1
	v_and_b32_e32 v33, 7, v32
	v_lshrrev_b32_e32 v34, 3, v0
	v_cmp_gt_u32_e64 s[4:5], 8, v0
	v_ffbh_u32_e32 v0, v33
	v_min_u32_e32 v0, 32, v0
	v_subrev_u32_e32 v25, 28, v0
	v_lshlrev_b64 v[25:26], v25, v[32:33]
	v_sub_u32_e32 v0, 29, v0
	v_and_b32_e32 v25, 7, v25
	v_cndmask_b32_e64 v0, v34, v0, s[4:5]
	v_cndmask_b32_e64 v25, v33, v25, s[4:5]
	v_lshlrev_b32_e32 v26, 16, v31
	v_bfrev_b32_e32 v1, 60
	v_lshlrev_b32_e32 v25, 20, v25
	v_and_b32_e32 v26, 0x80000000, v26
	v_lshl_add_u32 v0, v0, 23, v1
	v_or3_b32 v38, v26, v0, v25
.LBB300_172:                            ;   in Loop: Header=BB300_13 Depth=1
	s_or_b64 exec, exec, s[44:45]
.LBB300_173:                            ;   in Loop: Header=BB300_13 Depth=1
	s_or_b64 exec, exec, s[42:43]
.LBB300_174:                            ;   in Loop: Header=BB300_13 Depth=1
	s_or_b64 exec, exec, s[40:41]
	global_load_ushort v0, v[29:30], off offset:1544
	v_mov_b32_e32 v40, 0
	v_mov_b32_e32 v42, 0
	s_waitcnt vmcnt(0)
	v_and_b32_e32 v31, 0xffff, v0
	v_cmp_ne_u16_sdwa s[4:5], v0, v44 src0_sel:BYTE_0 src1_sel:DWORD
	s_and_saveexec_b64 s[40:41], s[4:5]
	s_cbranch_execz .LBB300_180
; %bb.175:                              ;   in Loop: Header=BB300_13 Depth=1
	v_cmp_ne_u16_sdwa s[4:5], v31, s52 src0_sel:BYTE_0 src1_sel:DWORD
	v_bfrev_b32_e32 v42, 1
	s_and_saveexec_b64 s[42:43], s[4:5]
	s_cbranch_execz .LBB300_179
; %bb.176:                              ;   in Loop: Header=BB300_13 Depth=1
	v_and_b32_e32 v0, 0x7f, v31
	v_cmp_ne_u32_e64 s[4:5], s53, v0
	v_mov_b32_e32 v42, 0x7f800001
	s_and_saveexec_b64 s[44:45], s[4:5]
	s_cbranch_execz .LBB300_178
; %bb.177:                              ;   in Loop: Header=BB300_13 Depth=1
	v_and_b32_e32 v32, 7, v31
	v_lshrrev_b32_e32 v33, 3, v0
	v_cmp_gt_u32_e64 s[4:5], 8, v0
	v_ffbh_u32_e32 v0, v32
	v_min_u32_e32 v0, 32, v0
	v_subrev_u32_e32 v25, 28, v0
	v_lshlrev_b64 v[25:26], v25, v[31:32]
	v_sub_u32_e32 v0, 29, v0
	v_and_b32_e32 v25, 7, v25
	v_cndmask_b32_e64 v0, v33, v0, s[4:5]
	v_cndmask_b32_e64 v25, v32, v25, s[4:5]
	v_lshlrev_b32_e32 v26, 24, v31
	v_bfrev_b32_e32 v1, 60
	v_lshlrev_b32_e32 v25, 20, v25
	v_and_b32_e32 v26, 0x80000000, v26
	v_lshl_add_u32 v0, v0, 23, v1
	v_or3_b32 v42, v26, v0, v25
.LBB300_178:                            ;   in Loop: Header=BB300_13 Depth=1
	s_or_b64 exec, exec, s[44:45]
.LBB300_179:                            ;   in Loop: Header=BB300_13 Depth=1
	s_or_b64 exec, exec, s[42:43]
.LBB300_180:                            ;   in Loop: Header=BB300_13 Depth=1
	s_or_b64 exec, exec, s[40:41]
	v_lshrrev_b16_e32 v32, 8, v31
	v_cmp_ne_u16_e64 s[4:5], 0, v32
	s_and_saveexec_b64 s[40:41], s[4:5]
	s_cbranch_execz .LBB300_186
; %bb.181:                              ;   in Loop: Header=BB300_13 Depth=1
	v_cmp_ne_u16_e64 s[4:5], s52, v32
	v_bfrev_b32_e32 v40, 1
	s_and_saveexec_b64 s[42:43], s[4:5]
	s_cbranch_execz .LBB300_185
; %bb.182:                              ;   in Loop: Header=BB300_13 Depth=1
	v_and_b32_e32 v0, 0x7f, v32
	v_cmp_ne_u32_e64 s[4:5], s53, v0
	v_mov_b32_e32 v40, 0x7f800001
	s_and_saveexec_b64 s[44:45], s[4:5]
	s_cbranch_execz .LBB300_184
; %bb.183:                              ;   in Loop: Header=BB300_13 Depth=1
	v_and_b32_e32 v33, 7, v32
	v_lshrrev_b32_e32 v34, 3, v0
	v_cmp_gt_u32_e64 s[4:5], 8, v0
	v_ffbh_u32_e32 v0, v33
	v_min_u32_e32 v0, 32, v0
	v_subrev_u32_e32 v25, 28, v0
	v_lshlrev_b64 v[25:26], v25, v[32:33]
	v_sub_u32_e32 v0, 29, v0
	v_and_b32_e32 v25, 7, v25
	v_cndmask_b32_e64 v0, v34, v0, s[4:5]
	v_cndmask_b32_e64 v25, v33, v25, s[4:5]
	v_lshlrev_b32_e32 v26, 16, v31
	v_bfrev_b32_e32 v1, 60
	v_lshlrev_b32_e32 v25, 20, v25
	v_and_b32_e32 v26, 0x80000000, v26
	v_lshl_add_u32 v0, v0, 23, v1
	v_or3_b32 v40, v26, v0, v25
.LBB300_184:                            ;   in Loop: Header=BB300_13 Depth=1
	s_or_b64 exec, exec, s[44:45]
.LBB300_185:                            ;   in Loop: Header=BB300_13 Depth=1
	s_or_b64 exec, exec, s[42:43]
.LBB300_186:                            ;   in Loop: Header=BB300_13 Depth=1
	s_or_b64 exec, exec, s[40:41]
	global_load_ushort v0, v[29:30], off offset:1792
	v_mov_b32_e32 v23, 0
	v_mov_b32_e32 v47, 0
	s_waitcnt vmcnt(0)
	v_and_b32_e32 v31, 0xffff, v0
	v_cmp_ne_u16_sdwa s[4:5], v0, v44 src0_sel:BYTE_0 src1_sel:DWORD
	s_and_saveexec_b64 s[40:41], s[4:5]
	s_cbranch_execz .LBB300_192
; %bb.187:                              ;   in Loop: Header=BB300_13 Depth=1
	v_cmp_ne_u16_sdwa s[4:5], v31, s52 src0_sel:BYTE_0 src1_sel:DWORD
	v_bfrev_b32_e32 v47, 1
	s_and_saveexec_b64 s[42:43], s[4:5]
	s_cbranch_execz .LBB300_191
; %bb.188:                              ;   in Loop: Header=BB300_13 Depth=1
	v_and_b32_e32 v0, 0x7f, v31
	v_cmp_ne_u32_e64 s[4:5], s53, v0
	v_mov_b32_e32 v47, 0x7f800001
	s_and_saveexec_b64 s[44:45], s[4:5]
	s_cbranch_execz .LBB300_190
; %bb.189:                              ;   in Loop: Header=BB300_13 Depth=1
	v_and_b32_e32 v32, 7, v31
	v_lshrrev_b32_e32 v33, 3, v0
	v_cmp_gt_u32_e64 s[4:5], 8, v0
	v_ffbh_u32_e32 v0, v32
	v_min_u32_e32 v0, 32, v0
	v_subrev_u32_e32 v25, 28, v0
	v_lshlrev_b64 v[25:26], v25, v[31:32]
	v_sub_u32_e32 v0, 29, v0
	v_and_b32_e32 v25, 7, v25
	v_cndmask_b32_e64 v0, v33, v0, s[4:5]
	v_cndmask_b32_e64 v25, v32, v25, s[4:5]
	v_lshlrev_b32_e32 v26, 24, v31
	v_bfrev_b32_e32 v1, 60
	v_lshlrev_b32_e32 v25, 20, v25
	v_and_b32_e32 v26, 0x80000000, v26
	v_lshl_add_u32 v0, v0, 23, v1
	v_or3_b32 v47, v26, v0, v25
.LBB300_190:                            ;   in Loop: Header=BB300_13 Depth=1
	s_or_b64 exec, exec, s[44:45]
.LBB300_191:                            ;   in Loop: Header=BB300_13 Depth=1
	s_or_b64 exec, exec, s[42:43]
.LBB300_192:                            ;   in Loop: Header=BB300_13 Depth=1
	s_or_b64 exec, exec, s[40:41]
	v_lshrrev_b16_e32 v32, 8, v31
	v_cmp_ne_u16_e64 s[4:5], 0, v32
	s_and_saveexec_b64 s[40:41], s[4:5]
	s_cbranch_execz .LBB300_198
; %bb.193:                              ;   in Loop: Header=BB300_13 Depth=1
	v_cmp_ne_u16_e64 s[4:5], s52, v32
	v_bfrev_b32_e32 v23, 1
	s_and_saveexec_b64 s[42:43], s[4:5]
	s_cbranch_execz .LBB300_197
; %bb.194:                              ;   in Loop: Header=BB300_13 Depth=1
	v_and_b32_e32 v0, 0x7f, v32
	v_cmp_ne_u32_e64 s[4:5], s53, v0
	v_mov_b32_e32 v23, 0x7f800001
	s_and_saveexec_b64 s[44:45], s[4:5]
	s_cbranch_execz .LBB300_196
; %bb.195:                              ;   in Loop: Header=BB300_13 Depth=1
	v_and_b32_e32 v33, 7, v32
	v_lshrrev_b32_e32 v34, 3, v0
	v_cmp_gt_u32_e64 s[4:5], 8, v0
	v_ffbh_u32_e32 v0, v33
	v_min_u32_e32 v0, 32, v0
	v_subrev_u32_e32 v25, 28, v0
	v_lshlrev_b64 v[25:26], v25, v[32:33]
	v_sub_u32_e32 v0, 29, v0
	v_and_b32_e32 v25, 7, v25
	v_cndmask_b32_e64 v0, v34, v0, s[4:5]
	v_cndmask_b32_e64 v25, v33, v25, s[4:5]
	v_lshlrev_b32_e32 v26, 16, v31
	v_bfrev_b32_e32 v1, 60
	v_lshlrev_b32_e32 v25, 20, v25
	v_and_b32_e32 v26, 0x80000000, v26
	v_lshl_add_u32 v0, v0, 23, v1
	v_or3_b32 v23, v26, v0, v25
.LBB300_196:                            ;   in Loop: Header=BB300_13 Depth=1
	s_or_b64 exec, exec, s[44:45]
.LBB300_197:                            ;   in Loop: Header=BB300_13 Depth=1
	s_or_b64 exec, exec, s[42:43]
.LBB300_198:                            ;   in Loop: Header=BB300_13 Depth=1
	s_or_b64 exec, exec, s[40:41]
	global_load_ushort v0, v[29:30], off offset:1800
	v_mov_b32_e32 v46, 0
	v_mov_b32_e32 v43, 0
	s_waitcnt vmcnt(0)
	v_and_b32_e32 v31, 0xffff, v0
	v_cmp_ne_u16_sdwa s[4:5], v0, v44 src0_sel:BYTE_0 src1_sel:DWORD
	s_and_saveexec_b64 s[40:41], s[4:5]
	s_cbranch_execz .LBB300_204
; %bb.199:                              ;   in Loop: Header=BB300_13 Depth=1
	v_cmp_ne_u16_sdwa s[4:5], v31, s52 src0_sel:BYTE_0 src1_sel:DWORD
	v_bfrev_b32_e32 v43, 1
	s_and_saveexec_b64 s[42:43], s[4:5]
	s_cbranch_execz .LBB300_203
; %bb.200:                              ;   in Loop: Header=BB300_13 Depth=1
	v_and_b32_e32 v0, 0x7f, v31
	v_cmp_ne_u32_e64 s[4:5], s53, v0
	v_mov_b32_e32 v43, 0x7f800001
	s_and_saveexec_b64 s[44:45], s[4:5]
	s_cbranch_execz .LBB300_202
; %bb.201:                              ;   in Loop: Header=BB300_13 Depth=1
	v_and_b32_e32 v32, 7, v31
	v_lshrrev_b32_e32 v33, 3, v0
	v_cmp_gt_u32_e64 s[4:5], 8, v0
	v_ffbh_u32_e32 v0, v32
	v_min_u32_e32 v0, 32, v0
	v_subrev_u32_e32 v25, 28, v0
	v_lshlrev_b64 v[25:26], v25, v[31:32]
	v_sub_u32_e32 v0, 29, v0
	v_and_b32_e32 v25, 7, v25
	v_cndmask_b32_e64 v0, v33, v0, s[4:5]
	v_cndmask_b32_e64 v25, v32, v25, s[4:5]
	v_lshlrev_b32_e32 v26, 24, v31
	v_bfrev_b32_e32 v1, 60
	v_lshlrev_b32_e32 v25, 20, v25
	v_and_b32_e32 v26, 0x80000000, v26
	v_lshl_add_u32 v0, v0, 23, v1
	v_or3_b32 v43, v26, v0, v25
.LBB300_202:                            ;   in Loop: Header=BB300_13 Depth=1
	s_or_b64 exec, exec, s[44:45]
.LBB300_203:                            ;   in Loop: Header=BB300_13 Depth=1
	s_or_b64 exec, exec, s[42:43]
.LBB300_204:                            ;   in Loop: Header=BB300_13 Depth=1
	s_or_b64 exec, exec, s[40:41]
	v_lshrrev_b16_e32 v32, 8, v31
	v_cmp_ne_u16_e64 s[4:5], 0, v32
	s_and_saveexec_b64 s[40:41], s[4:5]
	s_cbranch_execz .LBB300_210
; %bb.205:                              ;   in Loop: Header=BB300_13 Depth=1
	v_cmp_ne_u16_e64 s[4:5], s52, v32
	v_bfrev_b32_e32 v46, 1
	s_and_saveexec_b64 s[42:43], s[4:5]
	s_cbranch_execz .LBB300_209
; %bb.206:                              ;   in Loop: Header=BB300_13 Depth=1
	v_and_b32_e32 v0, 0x7f, v32
	v_cmp_ne_u32_e64 s[4:5], s53, v0
	v_mov_b32_e32 v46, 0x7f800001
	s_and_saveexec_b64 s[44:45], s[4:5]
	s_cbranch_execz .LBB300_208
; %bb.207:                              ;   in Loop: Header=BB300_13 Depth=1
	v_and_b32_e32 v33, 7, v32
	v_lshrrev_b32_e32 v34, 3, v0
	v_cmp_gt_u32_e64 s[4:5], 8, v0
	v_ffbh_u32_e32 v0, v33
	v_min_u32_e32 v0, 32, v0
	v_subrev_u32_e32 v25, 28, v0
	v_lshlrev_b64 v[25:26], v25, v[32:33]
	v_sub_u32_e32 v0, 29, v0
	v_and_b32_e32 v25, 7, v25
	v_cndmask_b32_e64 v0, v34, v0, s[4:5]
	v_cndmask_b32_e64 v25, v33, v25, s[4:5]
	v_lshlrev_b32_e32 v26, 16, v31
	v_bfrev_b32_e32 v1, 60
	v_lshlrev_b32_e32 v25, 20, v25
	v_and_b32_e32 v26, 0x80000000, v26
	v_lshl_add_u32 v0, v0, 23, v1
	v_or3_b32 v46, v26, v0, v25
.LBB300_208:                            ;   in Loop: Header=BB300_13 Depth=1
	s_or_b64 exec, exec, s[44:45]
.LBB300_209:                            ;   in Loop: Header=BB300_13 Depth=1
	s_or_b64 exec, exec, s[42:43]
.LBB300_210:                            ;   in Loop: Header=BB300_13 Depth=1
	s_or_b64 exec, exec, s[40:41]
	global_load_ushort v0, v[29:30], off offset:2048
	v_mov_b32_e32 v49, 0
	v_mov_b32_e32 v48, 0
	s_waitcnt vmcnt(0)
	v_and_b32_e32 v31, 0xffff, v0
	v_cmp_ne_u16_sdwa s[4:5], v0, v44 src0_sel:BYTE_0 src1_sel:DWORD
	s_and_saveexec_b64 s[40:41], s[4:5]
	s_cbranch_execz .LBB300_216
; %bb.211:                              ;   in Loop: Header=BB300_13 Depth=1
	v_cmp_ne_u16_sdwa s[4:5], v31, s52 src0_sel:BYTE_0 src1_sel:DWORD
	v_bfrev_b32_e32 v48, 1
	s_and_saveexec_b64 s[42:43], s[4:5]
	s_cbranch_execz .LBB300_215
; %bb.212:                              ;   in Loop: Header=BB300_13 Depth=1
	v_and_b32_e32 v0, 0x7f, v31
	v_cmp_ne_u32_e64 s[4:5], s53, v0
	v_mov_b32_e32 v48, 0x7f800001
	s_and_saveexec_b64 s[44:45], s[4:5]
	s_cbranch_execz .LBB300_214
; %bb.213:                              ;   in Loop: Header=BB300_13 Depth=1
	v_and_b32_e32 v32, 7, v31
	v_lshrrev_b32_e32 v33, 3, v0
	v_cmp_gt_u32_e64 s[4:5], 8, v0
	v_ffbh_u32_e32 v0, v32
	v_min_u32_e32 v0, 32, v0
	v_subrev_u32_e32 v25, 28, v0
	v_lshlrev_b64 v[25:26], v25, v[31:32]
	v_sub_u32_e32 v0, 29, v0
	v_and_b32_e32 v25, 7, v25
	v_cndmask_b32_e64 v0, v33, v0, s[4:5]
	v_cndmask_b32_e64 v25, v32, v25, s[4:5]
	v_lshlrev_b32_e32 v26, 24, v31
	v_bfrev_b32_e32 v1, 60
	v_lshlrev_b32_e32 v25, 20, v25
	v_and_b32_e32 v26, 0x80000000, v26
	v_lshl_add_u32 v0, v0, 23, v1
	v_or3_b32 v48, v26, v0, v25
.LBB300_214:                            ;   in Loop: Header=BB300_13 Depth=1
	s_or_b64 exec, exec, s[44:45]
.LBB300_215:                            ;   in Loop: Header=BB300_13 Depth=1
	s_or_b64 exec, exec, s[42:43]
.LBB300_216:                            ;   in Loop: Header=BB300_13 Depth=1
	s_or_b64 exec, exec, s[40:41]
	v_lshrrev_b16_e32 v32, 8, v31
	v_cmp_ne_u16_e64 s[4:5], 0, v32
	s_and_saveexec_b64 s[40:41], s[4:5]
	s_cbranch_execz .LBB300_222
; %bb.217:                              ;   in Loop: Header=BB300_13 Depth=1
	v_cmp_ne_u16_e64 s[4:5], s52, v32
	v_bfrev_b32_e32 v49, 1
	s_and_saveexec_b64 s[42:43], s[4:5]
	s_cbranch_execz .LBB300_221
; %bb.218:                              ;   in Loop: Header=BB300_13 Depth=1
	v_and_b32_e32 v0, 0x7f, v32
	v_cmp_ne_u32_e64 s[4:5], s53, v0
	v_mov_b32_e32 v49, 0x7f800001
	s_and_saveexec_b64 s[44:45], s[4:5]
	s_cbranch_execz .LBB300_220
; %bb.219:                              ;   in Loop: Header=BB300_13 Depth=1
	v_and_b32_e32 v33, 7, v32
	v_lshrrev_b32_e32 v34, 3, v0
	v_cmp_gt_u32_e64 s[4:5], 8, v0
	v_ffbh_u32_e32 v0, v33
	v_min_u32_e32 v0, 32, v0
	v_subrev_u32_e32 v25, 28, v0
	v_lshlrev_b64 v[25:26], v25, v[32:33]
	v_sub_u32_e32 v0, 29, v0
	v_and_b32_e32 v25, 7, v25
	v_cndmask_b32_e64 v0, v34, v0, s[4:5]
	v_cndmask_b32_e64 v25, v33, v25, s[4:5]
	v_lshlrev_b32_e32 v26, 16, v31
	v_bfrev_b32_e32 v1, 60
	v_lshlrev_b32_e32 v25, 20, v25
	v_and_b32_e32 v26, 0x80000000, v26
	v_lshl_add_u32 v0, v0, 23, v1
	v_or3_b32 v49, v26, v0, v25
.LBB300_220:                            ;   in Loop: Header=BB300_13 Depth=1
	s_or_b64 exec, exec, s[44:45]
.LBB300_221:                            ;   in Loop: Header=BB300_13 Depth=1
	s_or_b64 exec, exec, s[42:43]
.LBB300_222:                            ;   in Loop: Header=BB300_13 Depth=1
	s_or_b64 exec, exec, s[40:41]
	global_load_ushort v0, v[29:30], off offset:2056
	v_mov_b32_e32 v51, 0
	v_mov_b32_e32 v50, 0
	s_waitcnt vmcnt(0)
	v_and_b32_e32 v31, 0xffff, v0
	v_cmp_ne_u16_sdwa s[4:5], v0, v44 src0_sel:BYTE_0 src1_sel:DWORD
	s_and_saveexec_b64 s[40:41], s[4:5]
	s_cbranch_execz .LBB300_228
; %bb.223:                              ;   in Loop: Header=BB300_13 Depth=1
	v_cmp_ne_u16_sdwa s[4:5], v31, s52 src0_sel:BYTE_0 src1_sel:DWORD
	v_bfrev_b32_e32 v50, 1
	s_and_saveexec_b64 s[42:43], s[4:5]
	s_cbranch_execz .LBB300_227
; %bb.224:                              ;   in Loop: Header=BB300_13 Depth=1
	v_and_b32_e32 v0, 0x7f, v31
	v_cmp_ne_u32_e64 s[4:5], s53, v0
	v_mov_b32_e32 v50, 0x7f800001
	s_and_saveexec_b64 s[44:45], s[4:5]
	s_cbranch_execz .LBB300_226
; %bb.225:                              ;   in Loop: Header=BB300_13 Depth=1
	v_and_b32_e32 v32, 7, v31
	v_lshrrev_b32_e32 v33, 3, v0
	v_cmp_gt_u32_e64 s[4:5], 8, v0
	v_ffbh_u32_e32 v0, v32
	v_min_u32_e32 v0, 32, v0
	v_subrev_u32_e32 v25, 28, v0
	v_lshlrev_b64 v[25:26], v25, v[31:32]
	v_sub_u32_e32 v0, 29, v0
	v_and_b32_e32 v25, 7, v25
	v_cndmask_b32_e64 v0, v33, v0, s[4:5]
	v_cndmask_b32_e64 v25, v32, v25, s[4:5]
	v_lshlrev_b32_e32 v26, 24, v31
	v_bfrev_b32_e32 v1, 60
	v_lshlrev_b32_e32 v25, 20, v25
	v_and_b32_e32 v26, 0x80000000, v26
	v_lshl_add_u32 v0, v0, 23, v1
	v_or3_b32 v50, v26, v0, v25
.LBB300_226:                            ;   in Loop: Header=BB300_13 Depth=1
	s_or_b64 exec, exec, s[44:45]
.LBB300_227:                            ;   in Loop: Header=BB300_13 Depth=1
	s_or_b64 exec, exec, s[42:43]
.LBB300_228:                            ;   in Loop: Header=BB300_13 Depth=1
	s_or_b64 exec, exec, s[40:41]
	v_lshrrev_b16_e32 v32, 8, v31
	v_cmp_ne_u16_e64 s[4:5], 0, v32
	s_and_saveexec_b64 s[40:41], s[4:5]
	s_cbranch_execz .LBB300_234
; %bb.229:                              ;   in Loop: Header=BB300_13 Depth=1
	v_cmp_ne_u16_e64 s[4:5], s52, v32
	v_bfrev_b32_e32 v51, 1
	s_and_saveexec_b64 s[42:43], s[4:5]
	s_cbranch_execz .LBB300_233
; %bb.230:                              ;   in Loop: Header=BB300_13 Depth=1
	v_and_b32_e32 v0, 0x7f, v32
	v_cmp_ne_u32_e64 s[4:5], s53, v0
	v_mov_b32_e32 v51, 0x7f800001
	s_and_saveexec_b64 s[44:45], s[4:5]
	s_cbranch_execz .LBB300_232
; %bb.231:                              ;   in Loop: Header=BB300_13 Depth=1
	v_and_b32_e32 v33, 7, v32
	v_lshrrev_b32_e32 v34, 3, v0
	v_cmp_gt_u32_e64 s[4:5], 8, v0
	v_ffbh_u32_e32 v0, v33
	v_min_u32_e32 v0, 32, v0
	v_subrev_u32_e32 v25, 28, v0
	v_lshlrev_b64 v[25:26], v25, v[32:33]
	v_sub_u32_e32 v0, 29, v0
	v_and_b32_e32 v25, 7, v25
	v_cndmask_b32_e64 v0, v34, v0, s[4:5]
	v_cndmask_b32_e64 v25, v33, v25, s[4:5]
	v_lshlrev_b32_e32 v26, 16, v31
	v_bfrev_b32_e32 v1, 60
	v_lshlrev_b32_e32 v25, 20, v25
	v_and_b32_e32 v26, 0x80000000, v26
	v_lshl_add_u32 v0, v0, 23, v1
	v_or3_b32 v51, v26, v0, v25
.LBB300_232:                            ;   in Loop: Header=BB300_13 Depth=1
	s_or_b64 exec, exec, s[44:45]
.LBB300_233:                            ;   in Loop: Header=BB300_13 Depth=1
	s_or_b64 exec, exec, s[42:43]
.LBB300_234:                            ;   in Loop: Header=BB300_13 Depth=1
	s_or_b64 exec, exec, s[40:41]
	global_load_ushort v0, v[29:30], off offset:2304
	v_mov_b32_e32 v62, 0
	v_mov_b32_e32 v61, 0
	s_waitcnt vmcnt(0)
	v_and_b32_e32 v31, 0xffff, v0
	v_cmp_ne_u16_sdwa s[4:5], v0, v44 src0_sel:BYTE_0 src1_sel:DWORD
	s_and_saveexec_b64 s[40:41], s[4:5]
	s_cbranch_execz .LBB300_240
; %bb.235:                              ;   in Loop: Header=BB300_13 Depth=1
	v_cmp_ne_u16_sdwa s[4:5], v31, s52 src0_sel:BYTE_0 src1_sel:DWORD
	v_bfrev_b32_e32 v61, 1
	s_and_saveexec_b64 s[42:43], s[4:5]
	s_cbranch_execz .LBB300_239
; %bb.236:                              ;   in Loop: Header=BB300_13 Depth=1
	v_and_b32_e32 v0, 0x7f, v31
	v_cmp_ne_u32_e64 s[4:5], s53, v0
	v_mov_b32_e32 v61, 0x7f800001
	s_and_saveexec_b64 s[44:45], s[4:5]
	s_cbranch_execz .LBB300_238
; %bb.237:                              ;   in Loop: Header=BB300_13 Depth=1
	v_and_b32_e32 v32, 7, v31
	v_lshrrev_b32_e32 v33, 3, v0
	v_cmp_gt_u32_e64 s[4:5], 8, v0
	v_ffbh_u32_e32 v0, v32
	v_min_u32_e32 v0, 32, v0
	v_subrev_u32_e32 v25, 28, v0
	v_lshlrev_b64 v[25:26], v25, v[31:32]
	v_sub_u32_e32 v0, 29, v0
	v_and_b32_e32 v25, 7, v25
	v_cndmask_b32_e64 v0, v33, v0, s[4:5]
	v_cndmask_b32_e64 v25, v32, v25, s[4:5]
	v_lshlrev_b32_e32 v26, 24, v31
	v_bfrev_b32_e32 v1, 60
	v_lshlrev_b32_e32 v25, 20, v25
	v_and_b32_e32 v26, 0x80000000, v26
	v_lshl_add_u32 v0, v0, 23, v1
	v_or3_b32 v61, v26, v0, v25
.LBB300_238:                            ;   in Loop: Header=BB300_13 Depth=1
	s_or_b64 exec, exec, s[44:45]
.LBB300_239:                            ;   in Loop: Header=BB300_13 Depth=1
	s_or_b64 exec, exec, s[42:43]
.LBB300_240:                            ;   in Loop: Header=BB300_13 Depth=1
	s_or_b64 exec, exec, s[40:41]
	v_lshrrev_b16_e32 v32, 8, v31
	v_cmp_ne_u16_e64 s[4:5], 0, v32
	s_and_saveexec_b64 s[40:41], s[4:5]
	s_cbranch_execz .LBB300_246
; %bb.241:                              ;   in Loop: Header=BB300_13 Depth=1
	v_cmp_ne_u16_e64 s[4:5], s52, v32
	v_bfrev_b32_e32 v62, 1
	s_and_saveexec_b64 s[42:43], s[4:5]
	s_cbranch_execz .LBB300_245
; %bb.242:                              ;   in Loop: Header=BB300_13 Depth=1
	v_and_b32_e32 v0, 0x7f, v32
	v_cmp_ne_u32_e64 s[4:5], s53, v0
	v_mov_b32_e32 v62, 0x7f800001
	s_and_saveexec_b64 s[44:45], s[4:5]
	s_cbranch_execz .LBB300_244
; %bb.243:                              ;   in Loop: Header=BB300_13 Depth=1
	v_and_b32_e32 v33, 7, v32
	v_lshrrev_b32_e32 v34, 3, v0
	v_cmp_gt_u32_e64 s[4:5], 8, v0
	v_ffbh_u32_e32 v0, v33
	v_min_u32_e32 v0, 32, v0
	v_subrev_u32_e32 v25, 28, v0
	v_lshlrev_b64 v[25:26], v25, v[32:33]
	v_sub_u32_e32 v0, 29, v0
	v_and_b32_e32 v25, 7, v25
	v_cndmask_b32_e64 v0, v34, v0, s[4:5]
	v_cndmask_b32_e64 v25, v33, v25, s[4:5]
	v_lshlrev_b32_e32 v26, 16, v31
	v_bfrev_b32_e32 v1, 60
	v_lshlrev_b32_e32 v25, 20, v25
	v_and_b32_e32 v26, 0x80000000, v26
	v_lshl_add_u32 v0, v0, 23, v1
	v_or3_b32 v62, v26, v0, v25
.LBB300_244:                            ;   in Loop: Header=BB300_13 Depth=1
	s_or_b64 exec, exec, s[44:45]
.LBB300_245:                            ;   in Loop: Header=BB300_13 Depth=1
	s_or_b64 exec, exec, s[42:43]
.LBB300_246:                            ;   in Loop: Header=BB300_13 Depth=1
	s_or_b64 exec, exec, s[40:41]
	global_load_ushort v0, v[29:30], off offset:2312
	v_mov_b32_e32 v1, 0
	v_mov_b32_e32 v63, 0
	buffer_store_dword v1, off, s[56:59], 0 offset:16 ; 4-byte Folded Spill
	s_waitcnt vmcnt(1)
	v_and_b32_e32 v31, 0xffff, v0
	v_cmp_ne_u16_sdwa s[4:5], v0, v44 src0_sel:BYTE_0 src1_sel:DWORD
	s_and_saveexec_b64 s[40:41], s[4:5]
	s_cbranch_execz .LBB300_252
; %bb.247:                              ;   in Loop: Header=BB300_13 Depth=1
	v_cmp_ne_u16_sdwa s[4:5], v31, s52 src0_sel:BYTE_0 src1_sel:DWORD
	v_bfrev_b32_e32 v63, 1
	s_and_saveexec_b64 s[42:43], s[4:5]
	s_cbranch_execz .LBB300_251
; %bb.248:                              ;   in Loop: Header=BB300_13 Depth=1
	v_and_b32_e32 v0, 0x7f, v31
	v_cmp_ne_u32_e64 s[4:5], s53, v0
	v_mov_b32_e32 v63, 0x7f800001
	s_and_saveexec_b64 s[44:45], s[4:5]
	s_cbranch_execz .LBB300_250
; %bb.249:                              ;   in Loop: Header=BB300_13 Depth=1
	v_and_b32_e32 v32, 7, v31
	v_lshrrev_b32_e32 v33, 3, v0
	v_cmp_gt_u32_e64 s[4:5], 8, v0
	v_ffbh_u32_e32 v0, v32
	v_min_u32_e32 v0, 32, v0
	v_subrev_u32_e32 v25, 28, v0
	v_lshlrev_b64 v[25:26], v25, v[31:32]
	v_sub_u32_e32 v0, 29, v0
	v_and_b32_e32 v25, 7, v25
	v_cndmask_b32_e64 v0, v33, v0, s[4:5]
	v_cndmask_b32_e64 v25, v32, v25, s[4:5]
	v_lshlrev_b32_e32 v26, 24, v31
	v_bfrev_b32_e32 v1, 60
	v_lshlrev_b32_e32 v25, 20, v25
	v_and_b32_e32 v26, 0x80000000, v26
	v_lshl_add_u32 v0, v0, 23, v1
	v_or3_b32 v63, v26, v0, v25
.LBB300_250:                            ;   in Loop: Header=BB300_13 Depth=1
	s_or_b64 exec, exec, s[44:45]
.LBB300_251:                            ;   in Loop: Header=BB300_13 Depth=1
	s_or_b64 exec, exec, s[42:43]
.LBB300_252:                            ;   in Loop: Header=BB300_13 Depth=1
	s_or_b64 exec, exec, s[40:41]
	v_lshrrev_b16_e32 v32, 8, v31
	v_cmp_ne_u16_e64 s[4:5], 0, v32
	s_and_saveexec_b64 s[40:41], s[4:5]
	s_cbranch_execz .LBB300_258
; %bb.253:                              ;   in Loop: Header=BB300_13 Depth=1
	v_cmp_ne_u16_e64 s[4:5], s52, v32
	v_bfrev_b32_e32 v0, 1
	buffer_store_dword v0, off, s[56:59], 0 offset:16 ; 4-byte Folded Spill
	s_and_saveexec_b64 s[42:43], s[4:5]
	s_cbranch_execz .LBB300_257
; %bb.254:                              ;   in Loop: Header=BB300_13 Depth=1
	v_and_b32_e32 v0, 0x7f, v32
	v_cmp_ne_u32_e64 s[4:5], s53, v0
	v_mov_b32_e32 v1, 0x7f800001
	buffer_store_dword v1, off, s[56:59], 0 offset:16 ; 4-byte Folded Spill
	s_and_saveexec_b64 s[44:45], s[4:5]
	s_cbranch_execz .LBB300_256
; %bb.255:                              ;   in Loop: Header=BB300_13 Depth=1
	v_and_b32_e32 v33, 7, v32
	v_lshrrev_b32_e32 v34, 3, v0
	v_cmp_gt_u32_e64 s[4:5], 8, v0
	v_ffbh_u32_e32 v0, v33
	v_min_u32_e32 v0, 32, v0
	v_subrev_u32_e32 v25, 28, v0
	v_lshlrev_b64 v[25:26], v25, v[32:33]
	v_sub_u32_e32 v0, 29, v0
	v_and_b32_e32 v25, 7, v25
	v_cndmask_b32_e64 v0, v34, v0, s[4:5]
	v_cndmask_b32_e64 v25, v33, v25, s[4:5]
	v_lshlrev_b32_e32 v26, 16, v31
	v_bfrev_b32_e32 v1, 60
	v_lshlrev_b32_e32 v25, 20, v25
	v_and_b32_e32 v26, 0x80000000, v26
	v_lshl_add_u32 v0, v0, 23, v1
	v_or3_b32 v0, v26, v0, v25
	buffer_store_dword v0, off, s[56:59], 0 offset:16 ; 4-byte Folded Spill
.LBB300_256:                            ;   in Loop: Header=BB300_13 Depth=1
	s_or_b64 exec, exec, s[44:45]
.LBB300_257:                            ;   in Loop: Header=BB300_13 Depth=1
	s_or_b64 exec, exec, s[42:43]
.LBB300_258:                            ;   in Loop: Header=BB300_13 Depth=1
	s_or_b64 exec, exec, s[40:41]
	global_load_ushort v0, v[29:30], off offset:2560
	v_mov_b32_e32 v1, 0
	buffer_store_dword v1, off, s[56:59], 0 offset:24 ; 4-byte Folded Spill
	s_waitcnt vmcnt(1)
	v_and_b32_e32 v31, 0xffff, v0
	v_cmp_ne_u16_sdwa s[4:5], v0, v44 src0_sel:BYTE_0 src1_sel:DWORD
	v_mov_b32_e32 v0, 0
	buffer_store_dword v0, off, s[56:59], 0 offset:20 ; 4-byte Folded Spill
	s_and_saveexec_b64 s[40:41], s[4:5]
	s_cbranch_execz .LBB300_264
; %bb.259:                              ;   in Loop: Header=BB300_13 Depth=1
	v_cmp_ne_u16_sdwa s[4:5], v31, s52 src0_sel:BYTE_0 src1_sel:DWORD
	v_bfrev_b32_e32 v0, 1
	buffer_store_dword v0, off, s[56:59], 0 offset:20 ; 4-byte Folded Spill
	s_and_saveexec_b64 s[42:43], s[4:5]
	s_cbranch_execz .LBB300_263
; %bb.260:                              ;   in Loop: Header=BB300_13 Depth=1
	v_and_b32_e32 v0, 0x7f, v31
	v_cmp_ne_u32_e64 s[4:5], s53, v0
	v_mov_b32_e32 v1, 0x7f800001
	buffer_store_dword v1, off, s[56:59], 0 offset:20 ; 4-byte Folded Spill
	s_and_saveexec_b64 s[44:45], s[4:5]
	s_cbranch_execz .LBB300_262
; %bb.261:                              ;   in Loop: Header=BB300_13 Depth=1
	v_and_b32_e32 v32, 7, v31
	v_lshrrev_b32_e32 v33, 3, v0
	v_cmp_gt_u32_e64 s[4:5], 8, v0
	v_ffbh_u32_e32 v0, v32
	v_min_u32_e32 v0, 32, v0
	v_subrev_u32_e32 v25, 28, v0
	v_lshlrev_b64 v[25:26], v25, v[31:32]
	v_sub_u32_e32 v0, 29, v0
	v_and_b32_e32 v25, 7, v25
	v_cndmask_b32_e64 v0, v33, v0, s[4:5]
	v_cndmask_b32_e64 v25, v32, v25, s[4:5]
	v_lshlrev_b32_e32 v26, 24, v31
	v_bfrev_b32_e32 v1, 60
	v_lshlrev_b32_e32 v25, 20, v25
	v_and_b32_e32 v26, 0x80000000, v26
	v_lshl_add_u32 v0, v0, 23, v1
	v_or3_b32 v0, v26, v0, v25
	buffer_store_dword v0, off, s[56:59], 0 offset:20 ; 4-byte Folded Spill
.LBB300_262:                            ;   in Loop: Header=BB300_13 Depth=1
	s_or_b64 exec, exec, s[44:45]
.LBB300_263:                            ;   in Loop: Header=BB300_13 Depth=1
	s_or_b64 exec, exec, s[42:43]
.LBB300_264:                            ;   in Loop: Header=BB300_13 Depth=1
	s_or_b64 exec, exec, s[40:41]
	v_lshrrev_b16_e32 v32, 8, v31
	v_cmp_ne_u16_e64 s[4:5], 0, v32
	s_and_saveexec_b64 s[40:41], s[4:5]
	s_cbranch_execz .LBB300_270
; %bb.265:                              ;   in Loop: Header=BB300_13 Depth=1
	v_cmp_ne_u16_e64 s[4:5], s52, v32
	v_bfrev_b32_e32 v0, 1
	buffer_store_dword v0, off, s[56:59], 0 offset:24 ; 4-byte Folded Spill
	s_and_saveexec_b64 s[42:43], s[4:5]
	s_cbranch_execz .LBB300_269
; %bb.266:                              ;   in Loop: Header=BB300_13 Depth=1
	v_and_b32_e32 v0, 0x7f, v32
	v_cmp_ne_u32_e64 s[4:5], s53, v0
	v_mov_b32_e32 v1, 0x7f800001
	buffer_store_dword v1, off, s[56:59], 0 offset:24 ; 4-byte Folded Spill
	s_and_saveexec_b64 s[44:45], s[4:5]
	s_cbranch_execz .LBB300_268
; %bb.267:                              ;   in Loop: Header=BB300_13 Depth=1
	v_and_b32_e32 v33, 7, v32
	v_lshrrev_b32_e32 v34, 3, v0
	v_cmp_gt_u32_e64 s[4:5], 8, v0
	v_ffbh_u32_e32 v0, v33
	v_min_u32_e32 v0, 32, v0
	v_subrev_u32_e32 v25, 28, v0
	v_lshlrev_b64 v[25:26], v25, v[32:33]
	v_sub_u32_e32 v0, 29, v0
	v_and_b32_e32 v25, 7, v25
	v_cndmask_b32_e64 v0, v34, v0, s[4:5]
	v_cndmask_b32_e64 v25, v33, v25, s[4:5]
	v_lshlrev_b32_e32 v26, 16, v31
	v_bfrev_b32_e32 v1, 60
	v_lshlrev_b32_e32 v25, 20, v25
	v_and_b32_e32 v26, 0x80000000, v26
	v_lshl_add_u32 v0, v0, 23, v1
	v_or3_b32 v0, v26, v0, v25
	buffer_store_dword v0, off, s[56:59], 0 offset:24 ; 4-byte Folded Spill
.LBB300_268:                            ;   in Loop: Header=BB300_13 Depth=1
	s_or_b64 exec, exec, s[44:45]
.LBB300_269:                            ;   in Loop: Header=BB300_13 Depth=1
	s_or_b64 exec, exec, s[42:43]
.LBB300_270:                            ;   in Loop: Header=BB300_13 Depth=1
	s_or_b64 exec, exec, s[40:41]
	global_load_ushort v0, v[29:30], off offset:2568
	v_mov_b32_e32 v1, 0
	buffer_store_dword v1, off, s[56:59], 0 offset:32 ; 4-byte Folded Spill
	s_waitcnt vmcnt(1)
	v_and_b32_e32 v31, 0xffff, v0
	v_cmp_ne_u16_sdwa s[4:5], v0, v44 src0_sel:BYTE_0 src1_sel:DWORD
	v_mov_b32_e32 v0, 0
	buffer_store_dword v0, off, s[56:59], 0 offset:28 ; 4-byte Folded Spill
	s_and_saveexec_b64 s[40:41], s[4:5]
	s_cbranch_execz .LBB300_276
; %bb.271:                              ;   in Loop: Header=BB300_13 Depth=1
	v_cmp_ne_u16_sdwa s[4:5], v31, s52 src0_sel:BYTE_0 src1_sel:DWORD
	v_bfrev_b32_e32 v0, 1
	buffer_store_dword v0, off, s[56:59], 0 offset:28 ; 4-byte Folded Spill
	s_and_saveexec_b64 s[42:43], s[4:5]
	s_cbranch_execz .LBB300_275
; %bb.272:                              ;   in Loop: Header=BB300_13 Depth=1
	v_and_b32_e32 v0, 0x7f, v31
	v_cmp_ne_u32_e64 s[4:5], s53, v0
	v_mov_b32_e32 v1, 0x7f800001
	buffer_store_dword v1, off, s[56:59], 0 offset:28 ; 4-byte Folded Spill
	s_and_saveexec_b64 s[44:45], s[4:5]
	s_cbranch_execz .LBB300_274
; %bb.273:                              ;   in Loop: Header=BB300_13 Depth=1
	v_and_b32_e32 v32, 7, v31
	v_lshrrev_b32_e32 v33, 3, v0
	v_cmp_gt_u32_e64 s[4:5], 8, v0
	v_ffbh_u32_e32 v0, v32
	v_min_u32_e32 v0, 32, v0
	v_subrev_u32_e32 v25, 28, v0
	v_lshlrev_b64 v[25:26], v25, v[31:32]
	v_sub_u32_e32 v0, 29, v0
	v_and_b32_e32 v25, 7, v25
	v_cndmask_b32_e64 v0, v33, v0, s[4:5]
	v_cndmask_b32_e64 v25, v32, v25, s[4:5]
	v_lshlrev_b32_e32 v26, 24, v31
	v_bfrev_b32_e32 v1, 60
	v_lshlrev_b32_e32 v25, 20, v25
	v_and_b32_e32 v26, 0x80000000, v26
	v_lshl_add_u32 v0, v0, 23, v1
	v_or3_b32 v0, v26, v0, v25
	buffer_store_dword v0, off, s[56:59], 0 offset:28 ; 4-byte Folded Spill
.LBB300_274:                            ;   in Loop: Header=BB300_13 Depth=1
	s_or_b64 exec, exec, s[44:45]
.LBB300_275:                            ;   in Loop: Header=BB300_13 Depth=1
	s_or_b64 exec, exec, s[42:43]
.LBB300_276:                            ;   in Loop: Header=BB300_13 Depth=1
	s_or_b64 exec, exec, s[40:41]
	v_lshrrev_b16_e32 v32, 8, v31
	v_cmp_ne_u16_e64 s[4:5], 0, v32
	s_and_saveexec_b64 s[40:41], s[4:5]
	s_cbranch_execz .LBB300_282
; %bb.277:                              ;   in Loop: Header=BB300_13 Depth=1
	v_cmp_ne_u16_e64 s[4:5], s52, v32
	v_bfrev_b32_e32 v0, 1
	buffer_store_dword v0, off, s[56:59], 0 offset:32 ; 4-byte Folded Spill
	s_and_saveexec_b64 s[42:43], s[4:5]
	s_cbranch_execz .LBB300_281
; %bb.278:                              ;   in Loop: Header=BB300_13 Depth=1
	v_and_b32_e32 v0, 0x7f, v32
	v_cmp_ne_u32_e64 s[4:5], s53, v0
	v_mov_b32_e32 v1, 0x7f800001
	buffer_store_dword v1, off, s[56:59], 0 offset:32 ; 4-byte Folded Spill
	s_and_saveexec_b64 s[44:45], s[4:5]
	s_cbranch_execz .LBB300_280
; %bb.279:                              ;   in Loop: Header=BB300_13 Depth=1
	v_and_b32_e32 v33, 7, v32
	v_lshrrev_b32_e32 v34, 3, v0
	v_cmp_gt_u32_e64 s[4:5], 8, v0
	v_ffbh_u32_e32 v0, v33
	v_min_u32_e32 v0, 32, v0
	v_subrev_u32_e32 v25, 28, v0
	v_lshlrev_b64 v[25:26], v25, v[32:33]
	v_sub_u32_e32 v0, 29, v0
	v_and_b32_e32 v25, 7, v25
	v_cndmask_b32_e64 v0, v34, v0, s[4:5]
	v_cndmask_b32_e64 v25, v33, v25, s[4:5]
	v_lshlrev_b32_e32 v26, 16, v31
	v_bfrev_b32_e32 v1, 60
	v_lshlrev_b32_e32 v25, 20, v25
	v_and_b32_e32 v26, 0x80000000, v26
	v_lshl_add_u32 v0, v0, 23, v1
	v_or3_b32 v0, v26, v0, v25
	buffer_store_dword v0, off, s[56:59], 0 offset:32 ; 4-byte Folded Spill
.LBB300_280:                            ;   in Loop: Header=BB300_13 Depth=1
	s_or_b64 exec, exec, s[44:45]
.LBB300_281:                            ;   in Loop: Header=BB300_13 Depth=1
	s_or_b64 exec, exec, s[42:43]
.LBB300_282:                            ;   in Loop: Header=BB300_13 Depth=1
	s_or_b64 exec, exec, s[40:41]
	global_load_ushort v0, v[29:30], off offset:2816
	v_mov_b32_e32 v1, 0
	buffer_store_dword v1, off, s[56:59], 0 offset:40 ; 4-byte Folded Spill
	s_waitcnt vmcnt(1)
	v_and_b32_e32 v31, 0xffff, v0
	v_cmp_ne_u16_sdwa s[4:5], v0, v44 src0_sel:BYTE_0 src1_sel:DWORD
	v_mov_b32_e32 v0, 0
	buffer_store_dword v0, off, s[56:59], 0 offset:36 ; 4-byte Folded Spill
	s_and_saveexec_b64 s[40:41], s[4:5]
	s_cbranch_execz .LBB300_288
; %bb.283:                              ;   in Loop: Header=BB300_13 Depth=1
	v_cmp_ne_u16_sdwa s[4:5], v31, s52 src0_sel:BYTE_0 src1_sel:DWORD
	v_bfrev_b32_e32 v0, 1
	buffer_store_dword v0, off, s[56:59], 0 offset:36 ; 4-byte Folded Spill
	s_and_saveexec_b64 s[42:43], s[4:5]
	s_cbranch_execz .LBB300_287
; %bb.284:                              ;   in Loop: Header=BB300_13 Depth=1
	v_and_b32_e32 v0, 0x7f, v31
	v_cmp_ne_u32_e64 s[4:5], s53, v0
	v_mov_b32_e32 v1, 0x7f800001
	buffer_store_dword v1, off, s[56:59], 0 offset:36 ; 4-byte Folded Spill
	s_and_saveexec_b64 s[44:45], s[4:5]
	s_cbranch_execz .LBB300_286
; %bb.285:                              ;   in Loop: Header=BB300_13 Depth=1
	v_and_b32_e32 v32, 7, v31
	v_lshrrev_b32_e32 v33, 3, v0
	v_cmp_gt_u32_e64 s[4:5], 8, v0
	v_ffbh_u32_e32 v0, v32
	v_min_u32_e32 v0, 32, v0
	v_subrev_u32_e32 v25, 28, v0
	v_lshlrev_b64 v[25:26], v25, v[31:32]
	v_sub_u32_e32 v0, 29, v0
	v_and_b32_e32 v25, 7, v25
	v_cndmask_b32_e64 v0, v33, v0, s[4:5]
	v_cndmask_b32_e64 v25, v32, v25, s[4:5]
	v_lshlrev_b32_e32 v26, 24, v31
	v_bfrev_b32_e32 v1, 60
	v_lshlrev_b32_e32 v25, 20, v25
	v_and_b32_e32 v26, 0x80000000, v26
	v_lshl_add_u32 v0, v0, 23, v1
	v_or3_b32 v0, v26, v0, v25
	buffer_store_dword v0, off, s[56:59], 0 offset:36 ; 4-byte Folded Spill
.LBB300_286:                            ;   in Loop: Header=BB300_13 Depth=1
	s_or_b64 exec, exec, s[44:45]
.LBB300_287:                            ;   in Loop: Header=BB300_13 Depth=1
	s_or_b64 exec, exec, s[42:43]
.LBB300_288:                            ;   in Loop: Header=BB300_13 Depth=1
	s_or_b64 exec, exec, s[40:41]
	v_lshrrev_b16_e32 v32, 8, v31
	v_cmp_ne_u16_e64 s[4:5], 0, v32
	s_and_saveexec_b64 s[40:41], s[4:5]
	s_cbranch_execz .LBB300_294
; %bb.289:                              ;   in Loop: Header=BB300_13 Depth=1
	v_cmp_ne_u16_e64 s[4:5], s52, v32
	v_bfrev_b32_e32 v0, 1
	buffer_store_dword v0, off, s[56:59], 0 offset:40 ; 4-byte Folded Spill
	s_and_saveexec_b64 s[42:43], s[4:5]
	s_cbranch_execz .LBB300_293
; %bb.290:                              ;   in Loop: Header=BB300_13 Depth=1
	v_and_b32_e32 v0, 0x7f, v32
	v_cmp_ne_u32_e64 s[4:5], s53, v0
	v_mov_b32_e32 v1, 0x7f800001
	buffer_store_dword v1, off, s[56:59], 0 offset:40 ; 4-byte Folded Spill
	s_and_saveexec_b64 s[44:45], s[4:5]
	s_cbranch_execz .LBB300_292
; %bb.291:                              ;   in Loop: Header=BB300_13 Depth=1
	v_and_b32_e32 v33, 7, v32
	v_lshrrev_b32_e32 v34, 3, v0
	v_cmp_gt_u32_e64 s[4:5], 8, v0
	v_ffbh_u32_e32 v0, v33
	v_min_u32_e32 v0, 32, v0
	v_subrev_u32_e32 v25, 28, v0
	v_lshlrev_b64 v[25:26], v25, v[32:33]
	v_sub_u32_e32 v0, 29, v0
	v_and_b32_e32 v25, 7, v25
	v_cndmask_b32_e64 v0, v34, v0, s[4:5]
	v_cndmask_b32_e64 v25, v33, v25, s[4:5]
	v_lshlrev_b32_e32 v26, 16, v31
	v_bfrev_b32_e32 v1, 60
	v_lshlrev_b32_e32 v25, 20, v25
	v_and_b32_e32 v26, 0x80000000, v26
	v_lshl_add_u32 v0, v0, 23, v1
	v_or3_b32 v0, v26, v0, v25
	buffer_store_dword v0, off, s[56:59], 0 offset:40 ; 4-byte Folded Spill
.LBB300_292:                            ;   in Loop: Header=BB300_13 Depth=1
	s_or_b64 exec, exec, s[44:45]
.LBB300_293:                            ;   in Loop: Header=BB300_13 Depth=1
	s_or_b64 exec, exec, s[42:43]
.LBB300_294:                            ;   in Loop: Header=BB300_13 Depth=1
	s_or_b64 exec, exec, s[40:41]
	global_load_ushort v0, v[29:30], off offset:2824
	v_mov_b32_e32 v1, 0
	buffer_store_dword v1, off, s[56:59], 0 offset:48 ; 4-byte Folded Spill
	s_waitcnt vmcnt(1)
	v_and_b32_e32 v31, 0xffff, v0
	v_cmp_ne_u16_sdwa s[4:5], v0, v44 src0_sel:BYTE_0 src1_sel:DWORD
	v_mov_b32_e32 v0, 0
	buffer_store_dword v0, off, s[56:59], 0 offset:44 ; 4-byte Folded Spill
	s_and_saveexec_b64 s[40:41], s[4:5]
	s_cbranch_execz .LBB300_300
; %bb.295:                              ;   in Loop: Header=BB300_13 Depth=1
	v_cmp_ne_u16_sdwa s[4:5], v31, s52 src0_sel:BYTE_0 src1_sel:DWORD
	v_bfrev_b32_e32 v0, 1
	buffer_store_dword v0, off, s[56:59], 0 offset:44 ; 4-byte Folded Spill
	s_and_saveexec_b64 s[42:43], s[4:5]
	s_cbranch_execz .LBB300_299
; %bb.296:                              ;   in Loop: Header=BB300_13 Depth=1
	v_and_b32_e32 v0, 0x7f, v31
	v_cmp_ne_u32_e64 s[4:5], s53, v0
	v_mov_b32_e32 v1, 0x7f800001
	buffer_store_dword v1, off, s[56:59], 0 offset:44 ; 4-byte Folded Spill
	s_and_saveexec_b64 s[44:45], s[4:5]
	s_cbranch_execz .LBB300_298
; %bb.297:                              ;   in Loop: Header=BB300_13 Depth=1
	v_and_b32_e32 v32, 7, v31
	v_lshrrev_b32_e32 v33, 3, v0
	v_cmp_gt_u32_e64 s[4:5], 8, v0
	v_ffbh_u32_e32 v0, v32
	v_min_u32_e32 v0, 32, v0
	v_subrev_u32_e32 v25, 28, v0
	v_lshlrev_b64 v[25:26], v25, v[31:32]
	v_sub_u32_e32 v0, 29, v0
	v_and_b32_e32 v25, 7, v25
	v_cndmask_b32_e64 v0, v33, v0, s[4:5]
	v_cndmask_b32_e64 v25, v32, v25, s[4:5]
	v_lshlrev_b32_e32 v26, 24, v31
	v_bfrev_b32_e32 v1, 60
	v_lshlrev_b32_e32 v25, 20, v25
	v_and_b32_e32 v26, 0x80000000, v26
	v_lshl_add_u32 v0, v0, 23, v1
	v_or3_b32 v0, v26, v0, v25
	buffer_store_dword v0, off, s[56:59], 0 offset:44 ; 4-byte Folded Spill
.LBB300_298:                            ;   in Loop: Header=BB300_13 Depth=1
	s_or_b64 exec, exec, s[44:45]
.LBB300_299:                            ;   in Loop: Header=BB300_13 Depth=1
	s_or_b64 exec, exec, s[42:43]
.LBB300_300:                            ;   in Loop: Header=BB300_13 Depth=1
	s_or_b64 exec, exec, s[40:41]
	v_lshrrev_b16_e32 v32, 8, v31
	v_cmp_ne_u16_e64 s[4:5], 0, v32
	s_and_saveexec_b64 s[40:41], s[4:5]
	s_cbranch_execz .LBB300_306
; %bb.301:                              ;   in Loop: Header=BB300_13 Depth=1
	v_cmp_ne_u16_e64 s[4:5], s52, v32
	v_bfrev_b32_e32 v0, 1
	buffer_store_dword v0, off, s[56:59], 0 offset:48 ; 4-byte Folded Spill
	s_and_saveexec_b64 s[42:43], s[4:5]
	s_cbranch_execz .LBB300_305
; %bb.302:                              ;   in Loop: Header=BB300_13 Depth=1
	v_and_b32_e32 v0, 0x7f, v32
	v_cmp_ne_u32_e64 s[4:5], s53, v0
	v_mov_b32_e32 v1, 0x7f800001
	buffer_store_dword v1, off, s[56:59], 0 offset:48 ; 4-byte Folded Spill
	s_and_saveexec_b64 s[44:45], s[4:5]
	s_cbranch_execz .LBB300_304
; %bb.303:                              ;   in Loop: Header=BB300_13 Depth=1
	v_and_b32_e32 v33, 7, v32
	v_lshrrev_b32_e32 v34, 3, v0
	v_cmp_gt_u32_e64 s[4:5], 8, v0
	v_ffbh_u32_e32 v0, v33
	v_min_u32_e32 v0, 32, v0
	v_subrev_u32_e32 v25, 28, v0
	v_lshlrev_b64 v[25:26], v25, v[32:33]
	v_sub_u32_e32 v0, 29, v0
	v_and_b32_e32 v25, 7, v25
	v_cndmask_b32_e64 v0, v34, v0, s[4:5]
	v_cndmask_b32_e64 v25, v33, v25, s[4:5]
	v_lshlrev_b32_e32 v26, 16, v31
	v_bfrev_b32_e32 v1, 60
	v_lshlrev_b32_e32 v25, 20, v25
	v_and_b32_e32 v26, 0x80000000, v26
	v_lshl_add_u32 v0, v0, 23, v1
	v_or3_b32 v0, v26, v0, v25
	buffer_store_dword v0, off, s[56:59], 0 offset:48 ; 4-byte Folded Spill
.LBB300_304:                            ;   in Loop: Header=BB300_13 Depth=1
	s_or_b64 exec, exec, s[44:45]
.LBB300_305:                            ;   in Loop: Header=BB300_13 Depth=1
	s_or_b64 exec, exec, s[42:43]
.LBB300_306:                            ;   in Loop: Header=BB300_13 Depth=1
	s_or_b64 exec, exec, s[40:41]
	global_load_ushort v0, v[29:30], off offset:3072
	v_mov_b32_e32 v1, 0
	buffer_store_dword v1, off, s[56:59], 0 offset:56 ; 4-byte Folded Spill
	s_waitcnt vmcnt(1)
	v_and_b32_e32 v31, 0xffff, v0
	v_cmp_ne_u16_sdwa s[4:5], v0, v44 src0_sel:BYTE_0 src1_sel:DWORD
	v_mov_b32_e32 v0, 0
	buffer_store_dword v0, off, s[56:59], 0 offset:52 ; 4-byte Folded Spill
	s_and_saveexec_b64 s[40:41], s[4:5]
	s_cbranch_execz .LBB300_312
; %bb.307:                              ;   in Loop: Header=BB300_13 Depth=1
	v_cmp_ne_u16_sdwa s[4:5], v31, s52 src0_sel:BYTE_0 src1_sel:DWORD
	v_bfrev_b32_e32 v0, 1
	buffer_store_dword v0, off, s[56:59], 0 offset:52 ; 4-byte Folded Spill
	s_and_saveexec_b64 s[42:43], s[4:5]
	s_cbranch_execz .LBB300_311
; %bb.308:                              ;   in Loop: Header=BB300_13 Depth=1
	v_and_b32_e32 v0, 0x7f, v31
	v_cmp_ne_u32_e64 s[4:5], s53, v0
	v_mov_b32_e32 v1, 0x7f800001
	buffer_store_dword v1, off, s[56:59], 0 offset:52 ; 4-byte Folded Spill
	s_and_saveexec_b64 s[44:45], s[4:5]
	s_cbranch_execz .LBB300_310
; %bb.309:                              ;   in Loop: Header=BB300_13 Depth=1
	v_and_b32_e32 v32, 7, v31
	v_lshrrev_b32_e32 v33, 3, v0
	v_cmp_gt_u32_e64 s[4:5], 8, v0
	v_ffbh_u32_e32 v0, v32
	v_min_u32_e32 v0, 32, v0
	v_subrev_u32_e32 v25, 28, v0
	v_lshlrev_b64 v[25:26], v25, v[31:32]
	v_sub_u32_e32 v0, 29, v0
	v_and_b32_e32 v25, 7, v25
	v_cndmask_b32_e64 v0, v33, v0, s[4:5]
	v_cndmask_b32_e64 v25, v32, v25, s[4:5]
	v_lshlrev_b32_e32 v26, 24, v31
	v_bfrev_b32_e32 v1, 60
	v_lshlrev_b32_e32 v25, 20, v25
	v_and_b32_e32 v26, 0x80000000, v26
	v_lshl_add_u32 v0, v0, 23, v1
	v_or3_b32 v0, v26, v0, v25
	buffer_store_dword v0, off, s[56:59], 0 offset:52 ; 4-byte Folded Spill
.LBB300_310:                            ;   in Loop: Header=BB300_13 Depth=1
	s_or_b64 exec, exec, s[44:45]
.LBB300_311:                            ;   in Loop: Header=BB300_13 Depth=1
	s_or_b64 exec, exec, s[42:43]
.LBB300_312:                            ;   in Loop: Header=BB300_13 Depth=1
	s_or_b64 exec, exec, s[40:41]
	v_lshrrev_b16_e32 v32, 8, v31
	v_cmp_ne_u16_e64 s[4:5], 0, v32
	s_and_saveexec_b64 s[40:41], s[4:5]
	s_cbranch_execz .LBB300_318
; %bb.313:                              ;   in Loop: Header=BB300_13 Depth=1
	v_cmp_ne_u16_e64 s[4:5], s52, v32
	v_bfrev_b32_e32 v0, 1
	buffer_store_dword v0, off, s[56:59], 0 offset:56 ; 4-byte Folded Spill
	s_and_saveexec_b64 s[42:43], s[4:5]
	s_cbranch_execz .LBB300_317
; %bb.314:                              ;   in Loop: Header=BB300_13 Depth=1
	v_and_b32_e32 v0, 0x7f, v32
	v_cmp_ne_u32_e64 s[4:5], s53, v0
	v_mov_b32_e32 v1, 0x7f800001
	buffer_store_dword v1, off, s[56:59], 0 offset:56 ; 4-byte Folded Spill
	s_and_saveexec_b64 s[44:45], s[4:5]
	s_cbranch_execz .LBB300_316
; %bb.315:                              ;   in Loop: Header=BB300_13 Depth=1
	v_and_b32_e32 v33, 7, v32
	v_lshrrev_b32_e32 v34, 3, v0
	v_cmp_gt_u32_e64 s[4:5], 8, v0
	v_ffbh_u32_e32 v0, v33
	v_min_u32_e32 v0, 32, v0
	v_subrev_u32_e32 v25, 28, v0
	v_lshlrev_b64 v[25:26], v25, v[32:33]
	v_sub_u32_e32 v0, 29, v0
	v_and_b32_e32 v25, 7, v25
	v_cndmask_b32_e64 v0, v34, v0, s[4:5]
	v_cndmask_b32_e64 v25, v33, v25, s[4:5]
	v_lshlrev_b32_e32 v26, 16, v31
	v_bfrev_b32_e32 v1, 60
	v_lshlrev_b32_e32 v25, 20, v25
	v_and_b32_e32 v26, 0x80000000, v26
	v_lshl_add_u32 v0, v0, 23, v1
	v_or3_b32 v0, v26, v0, v25
	buffer_store_dword v0, off, s[56:59], 0 offset:56 ; 4-byte Folded Spill
.LBB300_316:                            ;   in Loop: Header=BB300_13 Depth=1
	s_or_b64 exec, exec, s[44:45]
.LBB300_317:                            ;   in Loop: Header=BB300_13 Depth=1
	s_or_b64 exec, exec, s[42:43]
.LBB300_318:                            ;   in Loop: Header=BB300_13 Depth=1
	s_or_b64 exec, exec, s[40:41]
	global_load_ushort v0, v[29:30], off offset:3080
	v_mov_b32_e32 v1, 0
	buffer_store_dword v1, off, s[56:59], 0 offset:64 ; 4-byte Folded Spill
	s_waitcnt vmcnt(1)
	v_and_b32_e32 v31, 0xffff, v0
	v_cmp_ne_u16_sdwa s[4:5], v0, v44 src0_sel:BYTE_0 src1_sel:DWORD
	v_mov_b32_e32 v0, 0
	buffer_store_dword v0, off, s[56:59], 0 offset:60 ; 4-byte Folded Spill
	s_and_saveexec_b64 s[40:41], s[4:5]
	s_cbranch_execz .LBB300_324
; %bb.319:                              ;   in Loop: Header=BB300_13 Depth=1
	v_cmp_ne_u16_sdwa s[4:5], v31, s52 src0_sel:BYTE_0 src1_sel:DWORD
	v_bfrev_b32_e32 v0, 1
	buffer_store_dword v0, off, s[56:59], 0 offset:60 ; 4-byte Folded Spill
	s_and_saveexec_b64 s[42:43], s[4:5]
	s_cbranch_execz .LBB300_323
; %bb.320:                              ;   in Loop: Header=BB300_13 Depth=1
	v_and_b32_e32 v0, 0x7f, v31
	v_cmp_ne_u32_e64 s[4:5], s53, v0
	v_mov_b32_e32 v1, 0x7f800001
	buffer_store_dword v1, off, s[56:59], 0 offset:60 ; 4-byte Folded Spill
	s_and_saveexec_b64 s[44:45], s[4:5]
	s_cbranch_execz .LBB300_322
; %bb.321:                              ;   in Loop: Header=BB300_13 Depth=1
	v_and_b32_e32 v32, 7, v31
	v_lshrrev_b32_e32 v33, 3, v0
	v_cmp_gt_u32_e64 s[4:5], 8, v0
	v_ffbh_u32_e32 v0, v32
	v_min_u32_e32 v0, 32, v0
	v_subrev_u32_e32 v25, 28, v0
	v_lshlrev_b64 v[25:26], v25, v[31:32]
	v_sub_u32_e32 v0, 29, v0
	v_and_b32_e32 v25, 7, v25
	v_cndmask_b32_e64 v0, v33, v0, s[4:5]
	v_cndmask_b32_e64 v25, v32, v25, s[4:5]
	v_lshlrev_b32_e32 v26, 24, v31
	v_bfrev_b32_e32 v1, 60
	v_lshlrev_b32_e32 v25, 20, v25
	v_and_b32_e32 v26, 0x80000000, v26
	v_lshl_add_u32 v0, v0, 23, v1
	v_or3_b32 v0, v26, v0, v25
	buffer_store_dword v0, off, s[56:59], 0 offset:60 ; 4-byte Folded Spill
.LBB300_322:                            ;   in Loop: Header=BB300_13 Depth=1
	s_or_b64 exec, exec, s[44:45]
.LBB300_323:                            ;   in Loop: Header=BB300_13 Depth=1
	s_or_b64 exec, exec, s[42:43]
.LBB300_324:                            ;   in Loop: Header=BB300_13 Depth=1
	s_or_b64 exec, exec, s[40:41]
	v_lshrrev_b16_e32 v32, 8, v31
	v_cmp_ne_u16_e64 s[4:5], 0, v32
	s_and_saveexec_b64 s[40:41], s[4:5]
	s_cbranch_execz .LBB300_330
; %bb.325:                              ;   in Loop: Header=BB300_13 Depth=1
	v_cmp_ne_u16_e64 s[4:5], s52, v32
	v_bfrev_b32_e32 v0, 1
	buffer_store_dword v0, off, s[56:59], 0 offset:64 ; 4-byte Folded Spill
	s_and_saveexec_b64 s[42:43], s[4:5]
	s_cbranch_execz .LBB300_329
; %bb.326:                              ;   in Loop: Header=BB300_13 Depth=1
	v_and_b32_e32 v0, 0x7f, v32
	v_cmp_ne_u32_e64 s[4:5], s53, v0
	v_mov_b32_e32 v1, 0x7f800001
	buffer_store_dword v1, off, s[56:59], 0 offset:64 ; 4-byte Folded Spill
	s_and_saveexec_b64 s[44:45], s[4:5]
	s_cbranch_execz .LBB300_328
; %bb.327:                              ;   in Loop: Header=BB300_13 Depth=1
	v_and_b32_e32 v33, 7, v32
	v_lshrrev_b32_e32 v34, 3, v0
	v_cmp_gt_u32_e64 s[4:5], 8, v0
	v_ffbh_u32_e32 v0, v33
	v_min_u32_e32 v0, 32, v0
	v_subrev_u32_e32 v25, 28, v0
	v_lshlrev_b64 v[25:26], v25, v[32:33]
	v_sub_u32_e32 v0, 29, v0
	v_and_b32_e32 v25, 7, v25
	v_cndmask_b32_e64 v0, v34, v0, s[4:5]
	v_cndmask_b32_e64 v25, v33, v25, s[4:5]
	v_lshlrev_b32_e32 v26, 16, v31
	v_bfrev_b32_e32 v1, 60
	v_lshlrev_b32_e32 v25, 20, v25
	v_and_b32_e32 v26, 0x80000000, v26
	v_lshl_add_u32 v0, v0, 23, v1
	v_or3_b32 v0, v26, v0, v25
	buffer_store_dword v0, off, s[56:59], 0 offset:64 ; 4-byte Folded Spill
.LBB300_328:                            ;   in Loop: Header=BB300_13 Depth=1
	s_or_b64 exec, exec, s[44:45]
.LBB300_329:                            ;   in Loop: Header=BB300_13 Depth=1
	s_or_b64 exec, exec, s[42:43]
.LBB300_330:                            ;   in Loop: Header=BB300_13 Depth=1
	s_or_b64 exec, exec, s[40:41]
	global_load_ushort v0, v[29:30], off offset:3328
	v_mov_b32_e32 v1, 0
	buffer_store_dword v1, off, s[56:59], 0 offset:72 ; 4-byte Folded Spill
	s_waitcnt vmcnt(1)
	v_and_b32_e32 v31, 0xffff, v0
	v_cmp_ne_u16_sdwa s[4:5], v0, v44 src0_sel:BYTE_0 src1_sel:DWORD
	v_mov_b32_e32 v0, 0
	buffer_store_dword v0, off, s[56:59], 0 offset:68 ; 4-byte Folded Spill
	s_and_saveexec_b64 s[40:41], s[4:5]
	s_cbranch_execz .LBB300_336
; %bb.331:                              ;   in Loop: Header=BB300_13 Depth=1
	v_cmp_ne_u16_sdwa s[4:5], v31, s52 src0_sel:BYTE_0 src1_sel:DWORD
	v_bfrev_b32_e32 v0, 1
	buffer_store_dword v0, off, s[56:59], 0 offset:68 ; 4-byte Folded Spill
	s_and_saveexec_b64 s[42:43], s[4:5]
	s_cbranch_execz .LBB300_335
; %bb.332:                              ;   in Loop: Header=BB300_13 Depth=1
	v_and_b32_e32 v0, 0x7f, v31
	v_cmp_ne_u32_e64 s[4:5], s53, v0
	v_mov_b32_e32 v1, 0x7f800001
	buffer_store_dword v1, off, s[56:59], 0 offset:68 ; 4-byte Folded Spill
	s_and_saveexec_b64 s[44:45], s[4:5]
	s_cbranch_execz .LBB300_334
; %bb.333:                              ;   in Loop: Header=BB300_13 Depth=1
	v_and_b32_e32 v32, 7, v31
	v_lshrrev_b32_e32 v33, 3, v0
	v_cmp_gt_u32_e64 s[4:5], 8, v0
	v_ffbh_u32_e32 v0, v32
	v_min_u32_e32 v0, 32, v0
	v_subrev_u32_e32 v25, 28, v0
	v_lshlrev_b64 v[25:26], v25, v[31:32]
	v_sub_u32_e32 v0, 29, v0
	v_and_b32_e32 v25, 7, v25
	v_cndmask_b32_e64 v0, v33, v0, s[4:5]
	v_cndmask_b32_e64 v25, v32, v25, s[4:5]
	v_lshlrev_b32_e32 v26, 24, v31
	v_bfrev_b32_e32 v1, 60
	v_lshlrev_b32_e32 v25, 20, v25
	v_and_b32_e32 v26, 0x80000000, v26
	v_lshl_add_u32 v0, v0, 23, v1
	v_or3_b32 v0, v26, v0, v25
	buffer_store_dword v0, off, s[56:59], 0 offset:68 ; 4-byte Folded Spill
.LBB300_334:                            ;   in Loop: Header=BB300_13 Depth=1
	s_or_b64 exec, exec, s[44:45]
.LBB300_335:                            ;   in Loop: Header=BB300_13 Depth=1
	s_or_b64 exec, exec, s[42:43]
.LBB300_336:                            ;   in Loop: Header=BB300_13 Depth=1
	s_or_b64 exec, exec, s[40:41]
	v_lshrrev_b16_e32 v32, 8, v31
	v_cmp_ne_u16_e64 s[4:5], 0, v32
	s_and_saveexec_b64 s[40:41], s[4:5]
	s_cbranch_execz .LBB300_342
; %bb.337:                              ;   in Loop: Header=BB300_13 Depth=1
	v_cmp_ne_u16_e64 s[4:5], s52, v32
	v_bfrev_b32_e32 v0, 1
	buffer_store_dword v0, off, s[56:59], 0 offset:72 ; 4-byte Folded Spill
	s_and_saveexec_b64 s[42:43], s[4:5]
	s_cbranch_execz .LBB300_341
; %bb.338:                              ;   in Loop: Header=BB300_13 Depth=1
	v_and_b32_e32 v0, 0x7f, v32
	v_cmp_ne_u32_e64 s[4:5], s53, v0
	v_mov_b32_e32 v1, 0x7f800001
	buffer_store_dword v1, off, s[56:59], 0 offset:72 ; 4-byte Folded Spill
	s_and_saveexec_b64 s[44:45], s[4:5]
	s_cbranch_execz .LBB300_340
; %bb.339:                              ;   in Loop: Header=BB300_13 Depth=1
	v_and_b32_e32 v33, 7, v32
	v_lshrrev_b32_e32 v34, 3, v0
	v_cmp_gt_u32_e64 s[4:5], 8, v0
	v_ffbh_u32_e32 v0, v33
	v_min_u32_e32 v0, 32, v0
	v_subrev_u32_e32 v25, 28, v0
	v_lshlrev_b64 v[25:26], v25, v[32:33]
	v_sub_u32_e32 v0, 29, v0
	v_and_b32_e32 v25, 7, v25
	v_cndmask_b32_e64 v0, v34, v0, s[4:5]
	v_cndmask_b32_e64 v25, v33, v25, s[4:5]
	v_lshlrev_b32_e32 v26, 16, v31
	v_bfrev_b32_e32 v1, 60
	v_lshlrev_b32_e32 v25, 20, v25
	v_and_b32_e32 v26, 0x80000000, v26
	v_lshl_add_u32 v0, v0, 23, v1
	v_or3_b32 v0, v26, v0, v25
	buffer_store_dword v0, off, s[56:59], 0 offset:72 ; 4-byte Folded Spill
.LBB300_340:                            ;   in Loop: Header=BB300_13 Depth=1
	s_or_b64 exec, exec, s[44:45]
.LBB300_341:                            ;   in Loop: Header=BB300_13 Depth=1
	s_or_b64 exec, exec, s[42:43]
.LBB300_342:                            ;   in Loop: Header=BB300_13 Depth=1
	s_or_b64 exec, exec, s[40:41]
	global_load_ushort v0, v[29:30], off offset:3336
	v_mov_b32_e32 v34, 0
	s_waitcnt vmcnt(0)
	v_and_b32_e32 v31, 0xffff, v0
	v_cmp_ne_u16_sdwa s[4:5], v0, v44 src0_sel:BYTE_0 src1_sel:DWORD
	v_mov_b32_e32 v0, 0
	buffer_store_dword v0, off, s[56:59], 0 offset:76 ; 4-byte Folded Spill
	s_and_saveexec_b64 s[40:41], s[4:5]
	s_cbranch_execz .LBB300_348
; %bb.343:                              ;   in Loop: Header=BB300_13 Depth=1
	v_cmp_ne_u16_sdwa s[4:5], v31, s52 src0_sel:BYTE_0 src1_sel:DWORD
	v_bfrev_b32_e32 v0, 1
	buffer_store_dword v0, off, s[56:59], 0 offset:76 ; 4-byte Folded Spill
	s_and_saveexec_b64 s[42:43], s[4:5]
	s_cbranch_execz .LBB300_347
; %bb.344:                              ;   in Loop: Header=BB300_13 Depth=1
	v_and_b32_e32 v0, 0x7f, v31
	v_cmp_ne_u32_e64 s[4:5], s53, v0
	v_mov_b32_e32 v1, 0x7f800001
	buffer_store_dword v1, off, s[56:59], 0 offset:76 ; 4-byte Folded Spill
	s_and_saveexec_b64 s[44:45], s[4:5]
	s_cbranch_execz .LBB300_346
; %bb.345:                              ;   in Loop: Header=BB300_13 Depth=1
	v_and_b32_e32 v32, 7, v31
	v_lshrrev_b32_e32 v33, 3, v0
	v_cmp_gt_u32_e64 s[4:5], 8, v0
	v_ffbh_u32_e32 v0, v32
	v_min_u32_e32 v0, 32, v0
	v_subrev_u32_e32 v25, 28, v0
	v_lshlrev_b64 v[25:26], v25, v[31:32]
	v_sub_u32_e32 v0, 29, v0
	v_and_b32_e32 v25, 7, v25
	v_cndmask_b32_e64 v0, v33, v0, s[4:5]
	v_cndmask_b32_e64 v25, v32, v25, s[4:5]
	v_lshlrev_b32_e32 v26, 24, v31
	v_bfrev_b32_e32 v1, 60
	v_lshlrev_b32_e32 v25, 20, v25
	v_and_b32_e32 v26, 0x80000000, v26
	v_lshl_add_u32 v0, v0, 23, v1
	v_or3_b32 v0, v26, v0, v25
	buffer_store_dword v0, off, s[56:59], 0 offset:76 ; 4-byte Folded Spill
.LBB300_346:                            ;   in Loop: Header=BB300_13 Depth=1
	s_or_b64 exec, exec, s[44:45]
.LBB300_347:                            ;   in Loop: Header=BB300_13 Depth=1
	s_or_b64 exec, exec, s[42:43]
.LBB300_348:                            ;   in Loop: Header=BB300_13 Depth=1
	s_or_b64 exec, exec, s[40:41]
	v_lshrrev_b16_e32 v32, 8, v31
	v_cmp_ne_u16_e64 s[4:5], 0, v32
	s_and_saveexec_b64 s[40:41], s[4:5]
	s_cbranch_execz .LBB300_354
; %bb.349:                              ;   in Loop: Header=BB300_13 Depth=1
	v_cmp_ne_u16_e64 s[4:5], s52, v32
	v_bfrev_b32_e32 v34, 1
	s_and_saveexec_b64 s[42:43], s[4:5]
	s_cbranch_execz .LBB300_353
; %bb.350:                              ;   in Loop: Header=BB300_13 Depth=1
	v_and_b32_e32 v0, 0x7f, v32
	v_cmp_ne_u32_e64 s[4:5], s53, v0
	v_mov_b32_e32 v34, 0x7f800001
	s_and_saveexec_b64 s[44:45], s[4:5]
	s_cbranch_execz .LBB300_352
; %bb.351:                              ;   in Loop: Header=BB300_13 Depth=1
	v_and_b32_e32 v33, 7, v32
	v_lshrrev_b32_e32 v34, 3, v0
	v_cmp_gt_u32_e64 s[4:5], 8, v0
	v_ffbh_u32_e32 v0, v33
	v_min_u32_e32 v0, 32, v0
	v_subrev_u32_e32 v25, 28, v0
	v_lshlrev_b64 v[25:26], v25, v[32:33]
	v_sub_u32_e32 v0, 29, v0
	v_and_b32_e32 v25, 7, v25
	v_cndmask_b32_e64 v0, v34, v0, s[4:5]
	v_cndmask_b32_e64 v25, v33, v25, s[4:5]
	v_lshlrev_b32_e32 v26, 16, v31
	v_bfrev_b32_e32 v1, 60
	v_lshlrev_b32_e32 v25, 20, v25
	v_and_b32_e32 v26, 0x80000000, v26
	v_lshl_add_u32 v0, v0, 23, v1
	v_or3_b32 v34, v26, v0, v25
.LBB300_352:                            ;   in Loop: Header=BB300_13 Depth=1
	s_or_b64 exec, exec, s[44:45]
.LBB300_353:                            ;   in Loop: Header=BB300_13 Depth=1
	s_or_b64 exec, exec, s[42:43]
.LBB300_354:                            ;   in Loop: Header=BB300_13 Depth=1
	s_or_b64 exec, exec, s[40:41]
	global_load_ushort v0, v[29:30], off offset:3584
	v_mov_b32_e32 v1, 0
	buffer_store_dword v1, off, s[56:59], 0 offset:84 ; 4-byte Folded Spill
	s_waitcnt vmcnt(1)
	v_and_b32_e32 v31, 0xffff, v0
	v_cmp_ne_u16_sdwa s[4:5], v0, v44 src0_sel:BYTE_0 src1_sel:DWORD
	v_mov_b32_e32 v0, 0
	buffer_store_dword v0, off, s[56:59], 0 offset:80 ; 4-byte Folded Spill
	s_and_saveexec_b64 s[40:41], s[4:5]
	s_cbranch_execz .LBB300_360
; %bb.355:                              ;   in Loop: Header=BB300_13 Depth=1
	v_cmp_ne_u16_sdwa s[4:5], v31, s52 src0_sel:BYTE_0 src1_sel:DWORD
	v_bfrev_b32_e32 v0, 1
	buffer_store_dword v0, off, s[56:59], 0 offset:80 ; 4-byte Folded Spill
	s_and_saveexec_b64 s[42:43], s[4:5]
	s_cbranch_execz .LBB300_359
; %bb.356:                              ;   in Loop: Header=BB300_13 Depth=1
	v_and_b32_e32 v0, 0x7f, v31
	v_cmp_ne_u32_e64 s[4:5], s53, v0
	v_mov_b32_e32 v1, 0x7f800001
	buffer_store_dword v1, off, s[56:59], 0 offset:80 ; 4-byte Folded Spill
	s_and_saveexec_b64 s[44:45], s[4:5]
	s_cbranch_execz .LBB300_358
; %bb.357:                              ;   in Loop: Header=BB300_13 Depth=1
	v_and_b32_e32 v32, 7, v31
	v_lshrrev_b32_e32 v33, 3, v0
	v_cmp_gt_u32_e64 s[4:5], 8, v0
	v_ffbh_u32_e32 v0, v32
	v_min_u32_e32 v0, 32, v0
	v_subrev_u32_e32 v25, 28, v0
	v_lshlrev_b64 v[25:26], v25, v[31:32]
	v_sub_u32_e32 v0, 29, v0
	v_and_b32_e32 v25, 7, v25
	v_cndmask_b32_e64 v0, v33, v0, s[4:5]
	v_cndmask_b32_e64 v25, v32, v25, s[4:5]
	v_lshlrev_b32_e32 v26, 24, v31
	v_bfrev_b32_e32 v1, 60
	v_lshlrev_b32_e32 v25, 20, v25
	v_and_b32_e32 v26, 0x80000000, v26
	v_lshl_add_u32 v0, v0, 23, v1
	v_or3_b32 v0, v26, v0, v25
	buffer_store_dword v0, off, s[56:59], 0 offset:80 ; 4-byte Folded Spill
.LBB300_358:                            ;   in Loop: Header=BB300_13 Depth=1
	s_or_b64 exec, exec, s[44:45]
.LBB300_359:                            ;   in Loop: Header=BB300_13 Depth=1
	s_or_b64 exec, exec, s[42:43]
.LBB300_360:                            ;   in Loop: Header=BB300_13 Depth=1
	s_or_b64 exec, exec, s[40:41]
	v_lshrrev_b16_e32 v32, 8, v31
	v_cmp_ne_u16_e64 s[4:5], 0, v32
	s_mov_b64 s[40:41], exec
	s_and_b64 s[4:5], s[40:41], s[4:5]
	buffer_store_dword v34, off, s[56:59], 0 offset:240 ; 4-byte Folded Spill
	s_mov_b64 exec, s[4:5]
	s_cbranch_execz .LBB300_366
; %bb.361:                              ;   in Loop: Header=BB300_13 Depth=1
	v_cmp_ne_u16_e64 s[4:5], s52, v32
	v_bfrev_b32_e32 v0, 1
	buffer_store_dword v0, off, s[56:59], 0 offset:84 ; 4-byte Folded Spill
	s_and_saveexec_b64 s[42:43], s[4:5]
	s_cbranch_execz .LBB300_365
; %bb.362:                              ;   in Loop: Header=BB300_13 Depth=1
	v_and_b32_e32 v0, 0x7f, v32
	v_cmp_ne_u32_e64 s[4:5], s53, v0
	v_mov_b32_e32 v1, 0x7f800001
	buffer_store_dword v1, off, s[56:59], 0 offset:84 ; 4-byte Folded Spill
	s_and_saveexec_b64 s[44:45], s[4:5]
	s_cbranch_execz .LBB300_364
; %bb.363:                              ;   in Loop: Header=BB300_13 Depth=1
	v_and_b32_e32 v33, 7, v32
	v_lshrrev_b32_e32 v34, 3, v0
	v_cmp_gt_u32_e64 s[4:5], 8, v0
	v_ffbh_u32_e32 v0, v33
	v_min_u32_e32 v0, 32, v0
	v_subrev_u32_e32 v25, 28, v0
	v_lshlrev_b64 v[25:26], v25, v[32:33]
	v_sub_u32_e32 v0, 29, v0
	v_and_b32_e32 v25, 7, v25
	v_cndmask_b32_e64 v0, v34, v0, s[4:5]
	v_cndmask_b32_e64 v25, v33, v25, s[4:5]
	v_lshlrev_b32_e32 v26, 16, v31
	v_bfrev_b32_e32 v1, 60
	v_lshlrev_b32_e32 v25, 20, v25
	v_and_b32_e32 v26, 0x80000000, v26
	v_lshl_add_u32 v0, v0, 23, v1
	v_or3_b32 v0, v26, v0, v25
	buffer_store_dword v0, off, s[56:59], 0 offset:84 ; 4-byte Folded Spill
.LBB300_364:                            ;   in Loop: Header=BB300_13 Depth=1
	s_or_b64 exec, exec, s[44:45]
.LBB300_365:                            ;   in Loop: Header=BB300_13 Depth=1
	s_or_b64 exec, exec, s[42:43]
.LBB300_366:                            ;   in Loop: Header=BB300_13 Depth=1
	s_or_b64 exec, exec, s[40:41]
	global_load_ushort v0, v[29:30], off offset:3592
	v_mov_b32_e32 v34, 0
	v_mov_b32_e32 v1, 0
	s_waitcnt vmcnt(0)
	v_and_b32_e32 v31, 0xffff, v0
	v_cmp_ne_u16_sdwa s[4:5], v0, v44 src0_sel:BYTE_0 src1_sel:DWORD
	s_and_saveexec_b64 s[40:41], s[4:5]
	s_cbranch_execz .LBB300_372
; %bb.367:                              ;   in Loop: Header=BB300_13 Depth=1
	v_cmp_ne_u16_sdwa s[4:5], v31, s52 src0_sel:BYTE_0 src1_sel:DWORD
	v_bfrev_b32_e32 v1, 1
	s_and_saveexec_b64 s[42:43], s[4:5]
	s_cbranch_execz .LBB300_371
; %bb.368:                              ;   in Loop: Header=BB300_13 Depth=1
	v_and_b32_e32 v0, 0x7f, v31
	v_cmp_ne_u32_e64 s[4:5], s53, v0
	v_mov_b32_e32 v1, 0x7f800001
	s_and_saveexec_b64 s[44:45], s[4:5]
	s_cbranch_execz .LBB300_370
; %bb.369:                              ;   in Loop: Header=BB300_13 Depth=1
	v_and_b32_e32 v32, 7, v31
	v_lshrrev_b32_e32 v33, 3, v0
	v_cmp_gt_u32_e64 s[4:5], 8, v0
	v_ffbh_u32_e32 v0, v32
	v_min_u32_e32 v0, 32, v0
	v_subrev_u32_e32 v25, 28, v0
	v_lshlrev_b64 v[25:26], v25, v[31:32]
	v_sub_u32_e32 v0, 29, v0
	v_and_b32_e32 v25, 7, v25
	v_cndmask_b32_e64 v0, v33, v0, s[4:5]
	v_cndmask_b32_e64 v25, v32, v25, s[4:5]
	v_lshlrev_b32_e32 v26, 24, v31
	v_bfrev_b32_e32 v1, 60
	v_lshlrev_b32_e32 v25, 20, v25
	v_and_b32_e32 v26, 0x80000000, v26
	v_lshl_add_u32 v0, v0, 23, v1
	v_or3_b32 v1, v26, v0, v25
.LBB300_370:                            ;   in Loop: Header=BB300_13 Depth=1
	s_or_b64 exec, exec, s[44:45]
.LBB300_371:                            ;   in Loop: Header=BB300_13 Depth=1
	s_or_b64 exec, exec, s[42:43]
.LBB300_372:                            ;   in Loop: Header=BB300_13 Depth=1
	s_or_b64 exec, exec, s[40:41]
	v_lshrrev_b16_e32 v32, 8, v31
	v_cmp_ne_u16_e64 s[4:5], 0, v32
	buffer_store_dword v1, off, s[56:59], 0 offset:244 ; 4-byte Folded Spill
	s_and_saveexec_b64 s[40:41], s[4:5]
	s_cbranch_execz .LBB300_378
; %bb.373:                              ;   in Loop: Header=BB300_13 Depth=1
	v_cmp_ne_u16_e64 s[4:5], s52, v32
	v_bfrev_b32_e32 v34, 1
	s_and_saveexec_b64 s[42:43], s[4:5]
	s_cbranch_execz .LBB300_377
; %bb.374:                              ;   in Loop: Header=BB300_13 Depth=1
	v_and_b32_e32 v0, 0x7f, v32
	v_cmp_ne_u32_e64 s[4:5], s53, v0
	v_mov_b32_e32 v34, 0x7f800001
	s_and_saveexec_b64 s[44:45], s[4:5]
	s_cbranch_execz .LBB300_376
; %bb.375:                              ;   in Loop: Header=BB300_13 Depth=1
	v_and_b32_e32 v33, 7, v32
	v_lshrrev_b32_e32 v34, 3, v0
	v_cmp_gt_u32_e64 s[4:5], 8, v0
	v_ffbh_u32_e32 v0, v33
	v_min_u32_e32 v0, 32, v0
	v_subrev_u32_e32 v25, 28, v0
	v_lshlrev_b64 v[25:26], v25, v[32:33]
	v_sub_u32_e32 v0, 29, v0
	v_and_b32_e32 v25, 7, v25
	v_cndmask_b32_e64 v0, v34, v0, s[4:5]
	v_cndmask_b32_e64 v25, v33, v25, s[4:5]
	v_lshlrev_b32_e32 v26, 16, v31
	v_bfrev_b32_e32 v1, 60
	v_lshlrev_b32_e32 v25, 20, v25
	v_and_b32_e32 v26, 0x80000000, v26
	v_lshl_add_u32 v0, v0, 23, v1
	v_or3_b32 v34, v26, v0, v25
.LBB300_376:                            ;   in Loop: Header=BB300_13 Depth=1
	s_or_b64 exec, exec, s[44:45]
.LBB300_377:                            ;   in Loop: Header=BB300_13 Depth=1
	s_or_b64 exec, exec, s[42:43]
.LBB300_378:                            ;   in Loop: Header=BB300_13 Depth=1
	s_or_b64 exec, exec, s[40:41]
	global_load_ushort v0, v[29:30], off offset:3840
	v_mov_b32_e32 v45, 0
	v_mov_b32_e32 v56, 0
	s_waitcnt vmcnt(0)
	v_and_b32_e32 v31, 0xffff, v0
	v_cmp_ne_u16_sdwa s[4:5], v0, v44 src0_sel:BYTE_0 src1_sel:DWORD
	s_and_saveexec_b64 s[40:41], s[4:5]
	s_cbranch_execz .LBB300_384
; %bb.379:                              ;   in Loop: Header=BB300_13 Depth=1
	v_cmp_ne_u16_sdwa s[4:5], v31, s52 src0_sel:BYTE_0 src1_sel:DWORD
	v_bfrev_b32_e32 v56, 1
	s_and_saveexec_b64 s[42:43], s[4:5]
	s_cbranch_execz .LBB300_383
; %bb.380:                              ;   in Loop: Header=BB300_13 Depth=1
	v_and_b32_e32 v0, 0x7f, v31
	v_cmp_ne_u32_e64 s[4:5], s53, v0
	v_mov_b32_e32 v56, 0x7f800001
	s_and_saveexec_b64 s[44:45], s[4:5]
	s_cbranch_execz .LBB300_382
; %bb.381:                              ;   in Loop: Header=BB300_13 Depth=1
	v_and_b32_e32 v32, 7, v31
	v_lshrrev_b32_e32 v33, 3, v0
	v_cmp_gt_u32_e64 s[4:5], 8, v0
	v_ffbh_u32_e32 v0, v32
	v_min_u32_e32 v0, 32, v0
	v_subrev_u32_e32 v25, 28, v0
	v_lshlrev_b64 v[25:26], v25, v[31:32]
	v_sub_u32_e32 v0, 29, v0
	v_and_b32_e32 v25, 7, v25
	v_cndmask_b32_e64 v0, v33, v0, s[4:5]
	v_cndmask_b32_e64 v25, v32, v25, s[4:5]
	v_lshlrev_b32_e32 v26, 24, v31
	v_bfrev_b32_e32 v1, 60
	v_lshlrev_b32_e32 v25, 20, v25
	v_and_b32_e32 v26, 0x80000000, v26
	v_lshl_add_u32 v0, v0, 23, v1
	v_or3_b32 v56, v26, v0, v25
.LBB300_382:                            ;   in Loop: Header=BB300_13 Depth=1
	s_or_b64 exec, exec, s[44:45]
.LBB300_383:                            ;   in Loop: Header=BB300_13 Depth=1
	s_or_b64 exec, exec, s[42:43]
.LBB300_384:                            ;   in Loop: Header=BB300_13 Depth=1
	s_or_b64 exec, exec, s[40:41]
	v_lshrrev_b16_e32 v32, 8, v31
	v_cmp_ne_u16_e64 s[4:5], 0, v32
	s_and_saveexec_b64 s[40:41], s[4:5]
	s_cbranch_execz .LBB300_390
; %bb.385:                              ;   in Loop: Header=BB300_13 Depth=1
	v_cmp_ne_u16_e64 s[4:5], s52, v32
	v_bfrev_b32_e32 v45, 1
	s_and_saveexec_b64 s[42:43], s[4:5]
	s_cbranch_execz .LBB300_389
; %bb.386:                              ;   in Loop: Header=BB300_13 Depth=1
	v_and_b32_e32 v0, 0x7f, v32
	v_cmp_ne_u32_e64 s[4:5], s53, v0
	v_mov_b32_e32 v45, 0x7f800001
	s_and_saveexec_b64 s[44:45], s[4:5]
	s_cbranch_execz .LBB300_388
; %bb.387:                              ;   in Loop: Header=BB300_13 Depth=1
	v_and_b32_e32 v33, 7, v32
	v_mov_b32_e32 v1, v34
	v_lshrrev_b32_e32 v34, 3, v0
	v_cmp_gt_u32_e64 s[4:5], 8, v0
	v_ffbh_u32_e32 v0, v33
	v_min_u32_e32 v0, 32, v0
	v_subrev_u32_e32 v25, 28, v0
	v_lshlrev_b64 v[25:26], v25, v[32:33]
	v_sub_u32_e32 v0, 29, v0
	v_and_b32_e32 v25, 7, v25
	v_cndmask_b32_e64 v0, v34, v0, s[4:5]
	v_mov_b32_e32 v34, v1
	v_cndmask_b32_e64 v25, v33, v25, s[4:5]
	v_lshlrev_b32_e32 v26, 16, v31
	v_bfrev_b32_e32 v1, 60
	v_lshlrev_b32_e32 v25, 20, v25
	v_and_b32_e32 v26, 0x80000000, v26
	v_lshl_add_u32 v0, v0, 23, v1
	v_or3_b32 v45, v26, v0, v25
.LBB300_388:                            ;   in Loop: Header=BB300_13 Depth=1
	s_or_b64 exec, exec, s[44:45]
.LBB300_389:                            ;   in Loop: Header=BB300_13 Depth=1
	s_or_b64 exec, exec, s[42:43]
.LBB300_390:                            ;   in Loop: Header=BB300_13 Depth=1
	s_or_b64 exec, exec, s[40:41]
	global_load_ushort v0, v[29:30], off offset:3848
	v_mov_b32_e32 v31, 0
	v_mov_b32_e32 v32, 0
	s_waitcnt vmcnt(0)
	v_and_b32_e32 v29, 0xffff, v0
	v_cmp_ne_u16_sdwa s[4:5], v0, v44 src0_sel:BYTE_0 src1_sel:DWORD
	s_and_saveexec_b64 s[40:41], s[4:5]
	s_cbranch_execz .LBB300_396
; %bb.391:                              ;   in Loop: Header=BB300_13 Depth=1
	v_cmp_ne_u16_sdwa s[4:5], v29, s52 src0_sel:BYTE_0 src1_sel:DWORD
	v_bfrev_b32_e32 v32, 1
	s_and_saveexec_b64 s[42:43], s[4:5]
	s_cbranch_execz .LBB300_395
; %bb.392:                              ;   in Loop: Header=BB300_13 Depth=1
	v_and_b32_e32 v0, 0x7f, v29
	v_cmp_ne_u32_e64 s[4:5], s53, v0
	v_mov_b32_e32 v32, 0x7f800001
	s_and_saveexec_b64 s[44:45], s[4:5]
	s_cbranch_execz .LBB300_394
; %bb.393:                              ;   in Loop: Header=BB300_13 Depth=1
	v_and_b32_e32 v30, 7, v29
	v_lshrrev_b32_e32 v32, 3, v0
	v_cmp_gt_u32_e64 s[4:5], 8, v0
	v_ffbh_u32_e32 v0, v30
	v_min_u32_e32 v0, 32, v0
	v_subrev_u32_e32 v25, 28, v0
	v_lshlrev_b64 v[25:26], v25, v[29:30]
	v_sub_u32_e32 v0, 29, v0
	v_and_b32_e32 v25, 7, v25
	v_cndmask_b32_e64 v0, v32, v0, s[4:5]
	v_cndmask_b32_e64 v25, v30, v25, s[4:5]
	v_lshlrev_b32_e32 v26, 24, v29
	v_bfrev_b32_e32 v1, 60
	v_lshlrev_b32_e32 v25, 20, v25
	v_and_b32_e32 v26, 0x80000000, v26
	v_lshl_add_u32 v0, v0, 23, v1
	v_or3_b32 v32, v26, v0, v25
.LBB300_394:                            ;   in Loop: Header=BB300_13 Depth=1
	s_or_b64 exec, exec, s[44:45]
.LBB300_395:                            ;   in Loop: Header=BB300_13 Depth=1
	s_or_b64 exec, exec, s[42:43]
.LBB300_396:                            ;   in Loop: Header=BB300_13 Depth=1
	s_or_b64 exec, exec, s[40:41]
	v_lshrrev_b16_e32 v30, 8, v29
	buffer_store_dword v34, off, s[56:59], 0 offset:248 ; 4-byte Folded Spill
	buffer_store_dword v63, off, s[56:59], 0 offset:236 ; 4-byte Folded Spill
	;; [unrolled: 1-line block ×20, first 2 shown]
	v_mov_b32_e32 v21, v35
	v_mov_b32_e32 v47, v6
	;; [unrolled: 1-line block ×14, first 2 shown]
	v_cmp_ne_u16_e64 s[4:5], 0, v30
	s_and_saveexec_b64 s[40:41], s[4:5]
	s_cbranch_execz .LBB300_402
; %bb.397:                              ;   in Loop: Header=BB300_13 Depth=1
	v_cmp_ne_u16_e64 s[4:5], s52, v30
	v_bfrev_b32_e32 v31, 1
	s_and_saveexec_b64 s[42:43], s[4:5]
	s_cbranch_execz .LBB300_401
; %bb.398:                              ;   in Loop: Header=BB300_13 Depth=1
	v_and_b32_e32 v0, 0x7f, v30
	v_cmp_ne_u32_e64 s[4:5], s53, v0
	v_mov_b32_e32 v31, 0x7f800001
	s_and_saveexec_b64 s[44:45], s[4:5]
	s_cbranch_execz .LBB300_400
; %bb.399:                              ;   in Loop: Header=BB300_13 Depth=1
	v_and_b32_e32 v31, 7, v30
	v_lshrrev_b32_e32 v33, 3, v0
	v_cmp_gt_u32_e64 s[4:5], 8, v0
	v_ffbh_u32_e32 v0, v31
	v_min_u32_e32 v0, 32, v0
	v_subrev_u32_e32 v25, 28, v0
	v_lshlrev_b64 v[25:26], v25, v[30:31]
	v_sub_u32_e32 v0, 29, v0
	v_and_b32_e32 v25, 7, v25
	v_cndmask_b32_e64 v0, v33, v0, s[4:5]
	v_cndmask_b32_e64 v25, v31, v25, s[4:5]
	v_lshlrev_b32_e32 v26, 16, v29
	v_bfrev_b32_e32 v1, 60
	v_lshlrev_b32_e32 v25, 20, v25
	v_and_b32_e32 v26, 0x80000000, v26
	v_lshl_add_u32 v0, v0, 23, v1
	v_or3_b32 v31, v26, v0, v25
.LBB300_400:                            ;   in Loop: Header=BB300_13 Depth=1
	s_or_b64 exec, exec, s[44:45]
.LBB300_401:                            ;   in Loop: Header=BB300_13 Depth=1
	s_or_b64 exec, exec, s[42:43]
.LBB300_402:                            ;   in Loop: Header=BB300_13 Depth=1
	s_or_b64 exec, exec, s[40:41]
	v_lshlrev_b32_e32 v48, 16, v57
	v_lshlrev_b32_e32 v49, 16, v58
	;; [unrolled: 1-line block ×4, first 2 shown]
	v_and_b32_e32 v50, 0xffff0000, v57
	v_and_b32_e32 v51, 0xffff0000, v58
	;; [unrolled: 1-line block ×4, first 2 shown]
	buffer_load_dword v57, off, s[56:59], 0 offset:128 ; 4-byte Folded Reload
	buffer_load_dword v58, off, s[56:59], 0 offset:132 ; 4-byte Folded Reload
	;; [unrolled: 1-line block ×4, first 2 shown]
	v_lshlrev_b32_e32 v62, 16, v52
	v_lshlrev_b32_e32 v34, 16, v53
	v_and_b32_e32 v38, 0xffff0000, v52
	v_and_b32_e32 v61, 0xffff0000, v53
	;; [unrolled: 1-line block ×3, first 2 shown]
	s_waitcnt vmcnt(3)
	v_lshlrev_b32_e32 v40, 16, v57
	s_waitcnt vmcnt(2)
	v_lshlrev_b32_e32 v42, 16, v58
	;; [unrolled: 2-line block ×4, first 2 shown]
	v_and_b32_e32 v0, 0xffff0000, v58
	v_and_b32_e32 v36, 0xffff0000, v59
	;; [unrolled: 1-line block ×3, first 2 shown]
	v_lshlrev_b32_e32 v60, 16, v54
	v_lshlrev_b32_e32 v59, 16, v55
	v_and_b32_e32 v58, 0xffff0000, v55
	buffer_load_dword v52, off, s[56:59], 0 offset:144 ; 4-byte Folded Reload
	buffer_load_dword v53, off, s[56:59], 0 offset:148 ; 4-byte Folded Reload
	;; [unrolled: 1-line block ×4, first 2 shown]
	v_and_b32_e32 v26, 0xffff0000, v57
	s_waitcnt vmcnt(3)
	v_lshlrev_b32_e32 v57, 16, v52
	s_waitcnt vmcnt(2)
	v_lshlrev_b32_e32 v24, 16, v53
	;; [unrolled: 2-line block ×4, first 2 shown]
	buffer_store_dword v1, off, s[56:59], 0 offset:304 ; 4-byte Folded Spill
	v_and_b32_e32 v1, 0xffff0000, v55
	buffer_store_dword v1, off, s[56:59], 0 offset:300 ; 4-byte Folded Spill
	v_and_b32_e32 v30, 0xffff0000, v52
	v_and_b32_e32 v23, 0xffff0000, v53
	;; [unrolled: 1-line block ×3, first 2 shown]
	buffer_load_dword v52, off, s[56:59], 0 offset:112 ; 4-byte Folded Reload
	buffer_load_dword v53, off, s[56:59], 0 offset:116 ; 4-byte Folded Reload
	;; [unrolled: 1-line block ×4, first 2 shown]
	s_waitcnt vmcnt(3)
	v_lshlrev_b32_e32 v1, 16, v52
	buffer_store_dword v1, off, s[56:59], 0 offset:296 ; 4-byte Folded Spill
	s_waitcnt vmcnt(3)
	v_lshlrev_b32_e32 v1, 16, v53
	buffer_store_dword v1, off, s[56:59], 0 offset:284 ; 4-byte Folded Spill
	;; [unrolled: 3-line block ×4, first 2 shown]
	v_and_b32_e32 v1, 0xffff0000, v52
	buffer_store_dword v1, off, s[56:59], 0 offset:292 ; 4-byte Folded Spill
	v_and_b32_e32 v1, 0xffff0000, v53
	buffer_store_dword v1, off, s[56:59], 0 offset:288 ; 4-byte Folded Spill
	;; [unrolled: 2-line block ×4, first 2 shown]
	buffer_load_dword v52, off, s[56:59], 0 offset:96 ; 4-byte Folded Reload
	buffer_load_dword v53, off, s[56:59], 0 offset:100 ; 4-byte Folded Reload
	;; [unrolled: 1-line block ×4, first 2 shown]
	s_waitcnt vmcnt(3)
	v_lshlrev_b32_e32 v1, 16, v52
	buffer_store_dword v1, off, s[56:59], 0 offset:260 ; 4-byte Folded Spill
	s_waitcnt vmcnt(3)
	v_lshlrev_b32_e32 v1, 16, v53
	buffer_store_dword v1, off, s[56:59], 0 offset:252 ; 4-byte Folded Spill
	;; [unrolled: 3-line block ×4, first 2 shown]
	v_and_b32_e32 v1, 0xffff0000, v52
	buffer_store_dword v1, off, s[56:59], 0 offset:268 ; 4-byte Folded Spill
	v_and_b32_e32 v1, 0xffff0000, v53
	buffer_store_dword v1, off, s[56:59], 0 offset:256 ; 4-byte Folded Spill
	;; [unrolled: 2-line block ×4, first 2 shown]
	v_mul_f32_e32 v1, s55, v7
	v_bfe_u32 v2, v1, 16, 1
	v_add3_u32 v2, v2, v1, s54
	v_or_b32_e32 v52, 0x400000, v1
	v_cmp_u_f32_e64 s[4:5], v1, v1
	v_cndmask_b32_e64 v1, v2, v52, s[4:5]
	v_mul_f32_e32 v2, s55, v3
	v_bfe_u32 v52, v2, 16, 1
	v_add3_u32 v52, v52, v2, s54
	v_or_b32_e32 v3, 0x400000, v2
	v_cmp_u_f32_e64 s[4:5], v2, v2
	v_cndmask_b32_e64 v2, v52, v3, s[4:5]
	v_and_b32_e32 v1, 0xffff0000, v1
	v_mul_f32_e32 v1, v49, v1
	v_and_b32_e32 v2, 0xffff0000, v2
	v_fmac_f32_e32 v1, v48, v2
	v_mul_f32_e32 v2, s55, v11
	v_bfe_u32 v3, v2, 16, 1
	v_add3_u32 v3, v3, v2, s54
	v_or_b32_e32 v48, 0x400000, v2
	v_cmp_u_f32_e64 s[4:5], v2, v2
	v_cndmask_b32_e64 v2, v3, v48, s[4:5]
	v_mul_f32_e32 v3, s55, v12
	v_bfe_u32 v48, v3, 16, 1
	v_add3_u32 v48, v48, v3, s54
	v_or_b32_e32 v49, 0x400000, v3
	v_cmp_u_f32_e64 s[4:5], v3, v3
	v_cndmask_b32_e64 v3, v48, v49, s[4:5]
	v_and_b32_e32 v2, 0xffff0000, v2
	v_mul_f32_e32 v2, v51, v2
	v_and_b32_e32 v3, 0xffff0000, v3
	v_fmac_f32_e32 v2, v50, v3
	v_mul_f32_e32 v3, s55, v13
	v_bfe_u32 v48, v3, 16, 1
	v_add3_u32 v48, v48, v3, s54
	v_or_b32_e32 v49, 0x400000, v3
	v_cmp_u_f32_e64 s[4:5], v3, v3
	v_cndmask_b32_e64 v3, v48, v49, s[4:5]
	v_and_b32_e32 v3, 0xffff0000, v3
	v_fmac_f32_e32 v1, v39, v3
	v_mul_f32_e32 v3, s55, v10
	v_bfe_u32 v39, v3, 16, 1
	v_add3_u32 v39, v39, v3, s54
	v_or_b32_e32 v48, 0x400000, v3
	v_cmp_u_f32_e64 s[4:5], v3, v3
	v_cndmask_b32_e64 v3, v39, v48, s[4:5]
	;; [unrolled: 8-line block ×16, first 2 shown]
	v_and_b32_e32 v0, 0xffff0000, v0
	v_fmac_f32_e32 v2, v61, v0
	buffer_load_dword v0, off, s[56:59], 0 offset:164 ; 4-byte Folded Reload
	buffer_load_dword v13, off, s[56:59], 0 offset:328 ; 4-byte Folded Reload
	;; [unrolled: 1-line block ×3, first 2 shown]
	s_waitcnt vmcnt(2)
	v_mul_f32_e32 v0, s55, v0
	v_bfe_u32 v3, v0, 16, 1
	v_add3_u32 v3, v3, v0, s54
	v_or_b32_e32 v4, 0x400000, v0
	v_cmp_u_f32_e64 s[4:5], v0, v0
	v_cndmask_b32_e64 v0, v3, v4, s[4:5]
	v_and_b32_e32 v0, 0xffff0000, v0
	v_fmac_f32_e32 v1, v60, v0
	buffer_load_dword v0, off, s[56:59], 0 offset:160 ; 4-byte Folded Reload
	s_waitcnt vmcnt(0)
	v_mul_f32_e32 v0, s55, v0
	v_bfe_u32 v3, v0, 16, 1
	v_add3_u32 v3, v3, v0, s54
	v_or_b32_e32 v4, 0x400000, v0
	v_cmp_u_f32_e64 s[4:5], v0, v0
	v_cndmask_b32_e64 v0, v3, v4, s[4:5]
	v_and_b32_e32 v0, 0xffff0000, v0
	v_fmac_f32_e32 v2, v33, v0
	buffer_load_dword v0, off, s[56:59], 0 offset:176 ; 4-byte Folded Reload
	;; [unrolled: 10-line block ×8, first 2 shown]
	s_waitcnt vmcnt(0)
	v_mul_f32_e32 v0, s55, v0
	v_bfe_u32 v3, v0, 16, 1
	v_add3_u32 v3, v3, v0, s54
	v_or_b32_e32 v4, 0x400000, v0
	v_cmp_u_f32_e64 s[4:5], v0, v0
	v_cndmask_b32_e64 v0, v3, v4, s[4:5]
	v_and_b32_e32 v0, 0xffff0000, v0
	v_fmac_f32_e32 v1, v22, v0
	v_mul_f32_e32 v0, s55, v32
	v_bfe_u32 v3, v0, 16, 1
	v_add3_u32 v3, v3, v0, s54
	v_or_b32_e32 v4, 0x400000, v0
	v_cmp_u_f32_e64 s[4:5], v0, v0
	v_mul_f32_e32 v0, s55, v45
	v_cndmask_b32_e64 v4, v3, v4, s[4:5]
	v_bfe_u32 v3, v0, 16, 1
	v_add3_u32 v3, v3, v0, s54
	v_or_b32_e32 v22, 0x400000, v0
	v_cmp_u_f32_e64 s[4:5], v0, v0
	v_mul_f32_e32 v0, s55, v56
	v_cndmask_b32_e64 v22, v3, v22, s[4:5]
	v_bfe_u32 v3, v0, 16, 1
	v_add3_u32 v3, v3, v0, s54
	v_or_b32_e32 v23, 0x400000, v0
	v_cmp_u_f32_e64 s[4:5], v0, v0
	buffer_load_dword v0, off, s[56:59], 0 offset:248 ; 4-byte Folded Reload
	v_cndmask_b32_e64 v23, v3, v23, s[4:5]
	v_and_b32_e32 v4, 0xffff0000, v4
	s_waitcnt vmcnt(0)
	v_mul_f32_e32 v0, s55, v0
	v_bfe_u32 v3, v0, 16, 1
	v_add3_u32 v3, v3, v0, s54
	v_or_b32_e32 v24, 0x400000, v0
	v_cmp_u_f32_e64 s[4:5], v0, v0
	buffer_load_dword v0, off, s[56:59], 0 offset:244 ; 4-byte Folded Reload
	v_cndmask_b32_e64 v24, v3, v24, s[4:5]
	s_waitcnt vmcnt(0)
	v_mul_f32_e32 v0, s55, v0
	v_bfe_u32 v3, v0, 16, 1
	v_add3_u32 v3, v3, v0, s54
	v_or_b32_e32 v25, 0x400000, v0
	v_cmp_u_f32_e64 s[4:5], v0, v0
	buffer_load_dword v0, off, s[56:59], 0 offset:84 ; 4-byte Folded Reload
	v_cndmask_b32_e64 v30, v3, v25, s[4:5]
	;; [unrolled: 8-line block ×9, first 2 shown]
	v_and_b32_e32 v12, 0xffff0000, v46
	s_waitcnt vmcnt(0)
	v_mul_f32_e32 v0, s55, v0
	v_bfe_u32 v3, v0, 16, 1
	v_add3_u32 v3, v3, v0, s54
	v_or_b32_e32 v5, 0x400000, v0
	v_cmp_u_f32_e64 s[4:5], v0, v0
	buffer_load_dword v0, off, s[56:59], 0 offset:56 ; 4-byte Folded Reload
	v_cndmask_b32_e64 v39, v3, v5, s[4:5]
	v_and_b32_e32 v11, 0xffff0000, v39
	s_waitcnt vmcnt(0)
	v_mul_f32_e32 v0, s55, v0
	v_bfe_u32 v3, v0, 16, 1
	v_add3_u32 v3, v3, v0, s54
	v_or_b32_e32 v5, 0x400000, v0
	v_cmp_u_f32_e64 s[4:5], v0, v0
	buffer_load_dword v0, off, s[56:59], 0 offset:52 ; 4-byte Folded Reload
	v_cndmask_b32_e64 v40, v3, v5, s[4:5]
	s_waitcnt vmcnt(0)
	v_mul_f32_e32 v0, s55, v0
	v_bfe_u32 v3, v0, 16, 1
	v_add3_u32 v3, v3, v0, s54
	v_or_b32_e32 v5, 0x400000, v0
	v_cmp_u_f32_e64 s[4:5], v0, v0
	buffer_load_dword v0, off, s[56:59], 0 offset:48 ; 4-byte Folded Reload
	v_cndmask_b32_e64 v26, v3, v5, s[4:5]
	;; [unrolled: 8-line block ×4, first 2 shown]
	s_waitcnt vmcnt(0)
	v_mul_f32_e32 v0, s55, v0
	v_bfe_u32 v3, v0, 16, 1
	v_add3_u32 v3, v3, v0, s54
	v_or_b32_e32 v5, 0x400000, v0
	v_cmp_u_f32_e64 s[4:5], v0, v0
	v_cndmask_b32_e64 v0, v3, v5, s[4:5]
	buffer_load_dword v3, off, s[56:59], 0 offset:36 ; 4-byte Folded Reload
	v_and_b32_e32 v0, 0xffff0000, v0
	s_waitcnt vmcnt(0)
	v_mul_f32_e32 v3, s55, v3
	v_bfe_u32 v5, v3, 16, 1
	v_add3_u32 v5, v5, v3, s54
	v_or_b32_e32 v33, 0x400000, v3
	v_cmp_u_f32_e64 s[4:5], v3, v3
	buffer_load_dword v3, off, s[56:59], 0 offset:32 ; 4-byte Folded Reload
	v_cndmask_b32_e64 v37, v5, v33, s[4:5]
	s_waitcnt vmcnt(0)
	v_mul_f32_e32 v3, s55, v3
	v_bfe_u32 v5, v3, 16, 1
	v_add3_u32 v5, v5, v3, s54
	v_or_b32_e32 v33, 0x400000, v3
	v_cmp_u_f32_e64 s[4:5], v3, v3
	buffer_load_dword v3, off, s[56:59], 0 offset:28 ; 4-byte Folded Reload
	v_cndmask_b32_e64 v36, v5, v33, s[4:5]
	;; [unrolled: 8-line block ×15, first 2 shown]
	s_waitcnt vmcnt(0)
	v_mul_f32_e32 v3, s55, v3
	v_bfe_u32 v5, v3, 16, 1
	v_add3_u32 v5, v5, v3, s54
	v_or_b32_e32 v33, 0x400000, v3
	v_cmp_u_f32_e64 s[4:5], v3, v3
	v_cndmask_b32_e64 v3, v5, v33, s[4:5]
	v_mul_f32_e32 v5, s55, v31
	v_and_b32_e32 v3, 0xffff0000, v3
	v_fmac_f32_e32 v2, v29, v3
	v_bfe_u32 v3, v5, 16, 1
	v_add3_u32 v3, v3, v5, s54
	v_or_b32_e32 v31, 0x400000, v5
	v_cmp_u_f32_e64 s[4:5], v5, v5
	v_and_b32_e32 v5, 64, v13
	v_add_u32_e32 v29, 64, v5
	v_cndmask_b32_e64 v62, v3, v31, s[4:5]
	v_xor_b32_e32 v3, 2, v13
	v_cmp_lt_i32_e64 s[4:5], v3, v29
	v_cndmask_b32_e64 v3, v13, v3, s[4:5]
	v_lshlrev_b32_e32 v31, 2, v3
	v_and_b32_e32 v3, 0xffff0000, v38
	v_fmac_f32_e32 v1, v6, v3
	buffer_load_dword v3, off, s[56:59], 0 offset:300 ; 4-byte Folded Reload
	buffer_load_dword v6, off, s[56:59], 0 offset:296 ; 4-byte Folded Reload
	v_and_b32_e32 v5, 0xffff0000, v34
	buffer_load_dword v33, off, s[56:59], 0 offset:92 ; 4-byte Folded Reload
	s_waitcnt vmcnt(2)
	v_fmac_f32_e32 v2, v3, v5
	v_and_b32_e32 v3, 0xffff0000, v61
	s_waitcnt vmcnt(1)
	v_fmac_f32_e32 v1, v6, v3
	buffer_load_dword v3, off, s[56:59], 0 offset:292 ; 4-byte Folded Reload
	buffer_load_dword v6, off, s[56:59], 0 offset:284 ; 4-byte Folded Reload
	v_and_b32_e32 v5, 0xffff0000, v60
	s_waitcnt vmcnt(1)
	v_fmac_f32_e32 v2, v3, v5
	v_and_b32_e32 v3, 0xffff0000, v59
	s_waitcnt vmcnt(0)
	v_fmac_f32_e32 v1, v6, v3
	buffer_load_dword v3, off, s[56:59], 0 offset:288 ; 4-byte Folded Reload
	buffer_load_dword v6, off, s[56:59], 0 offset:276 ; 4-byte Folded Reload
	v_and_b32_e32 v5, 0xffff0000, v57
	;; [unrolled: 8-line block ×5, first 2 shown]
	s_waitcnt vmcnt(1)
	v_fmac_f32_e32 v2, v3, v5
	v_and_b32_e32 v3, 0xffff0000, v35
	s_waitcnt vmcnt(0)
	v_fmac_f32_e32 v1, v6, v3
	buffer_load_dword v3, off, s[56:59], 0 offset:256 ; 4-byte Folded Reload
	v_and_b32_e32 v5, 0xffff0000, v36
	buffer_load_dword v36, off, s[56:59], 0 offset:316 ; 4-byte Folded Reload
	s_waitcnt vmcnt(1)
	v_fmac_f32_e32 v2, v3, v5
	buffer_load_dword v5, off, s[56:59], 0 offset:128 ; 4-byte Folded Reload
	v_and_b32_e32 v3, 0xffff0000, v37
	s_waitcnt vmcnt(0)
	v_fmac_f32_e32 v1, v5, v3
	buffer_load_dword v3, off, s[56:59], 0 offset:144 ; 4-byte Folded Reload
	buffer_load_dword v5, off, s[56:59], 0 offset:112 ; 4-byte Folded Reload
	s_waitcnt vmcnt(1)
	v_fmac_f32_e32 v2, v3, v0
	v_and_b32_e32 v0, 0xffff0000, v42
	s_waitcnt vmcnt(0)
	v_fmac_f32_e32 v1, v5, v0
	buffer_load_dword v0, off, s[56:59], 0 offset:96 ; 4-byte Folded Reload
	ds_read2_b32 v[5:6], v36 offset0:25 offset1:26
	v_and_b32_e32 v3, 0xffff0000, v25
	v_lshlrev_b32_e32 v63, 16, v33
	v_and_b32_e32 v33, 0xffff0000, v33
	s_waitcnt vmcnt(0)
	v_fmac_f32_e32 v2, v0, v3
	v_and_b32_e32 v0, 0xffff0000, v26
	v_and_b32_e32 v3, 0xffff0000, v40
	v_fmac_f32_e32 v1, v63, v0
	ds_read2_b32 v[7:8], v36 offset0:27 offset1:28
	ds_read2_b32 v[9:10], v36 offset0:29 offset1:30
	ds_read_b32 v0, v36 offset:124
	v_fmac_f32_e32 v2, v33, v3
	s_waitcnt lgkmcnt(3)
	v_lshlrev_b32_e32 v3, 16, v5
	v_and_b32_e32 v5, 0xffff0000, v5
	v_fmac_f32_e32 v1, v11, v3
	v_fmac_f32_e32 v2, v12, v5
	v_lshlrev_b32_e32 v3, 16, v6
	v_and_b32_e32 v5, 0xffff0000, v6
	v_and_b32_e32 v6, 0xffff0000, v48
	v_and_b32_e32 v11, 0xffff0000, v49
	v_fmac_f32_e32 v1, v6, v3
	v_fmac_f32_e32 v2, v11, v5
	s_waitcnt lgkmcnt(2)
	v_lshlrev_b32_e32 v3, 16, v7
	v_and_b32_e32 v5, 0xffff0000, v7
	v_and_b32_e32 v6, 0xffff0000, v50
	v_and_b32_e32 v7, 0xffff0000, v51
	v_fmac_f32_e32 v1, v6, v3
	v_fmac_f32_e32 v2, v7, v5
	v_lshlrev_b32_e32 v3, 16, v8
	v_and_b32_e32 v5, 0xffff0000, v8
	v_and_b32_e32 v6, 0xffff0000, v45
	v_and_b32_e32 v7, 0xffff0000, v32
	v_fmac_f32_e32 v1, v6, v3
	v_fmac_f32_e32 v2, v7, v5
	s_waitcnt lgkmcnt(1)
	v_lshlrev_b32_e32 v3, 16, v9
	v_and_b32_e32 v5, 0xffff0000, v9
	v_and_b32_e32 v6, 0xffff0000, v30
	;; [unrolled: 13-line block ×3, first 2 shown]
	v_fmac_f32_e32 v1, v4, v3
	v_fmac_f32_e32 v2, v5, v0
	v_add_f32_e32 v0, v1, v2
	ds_bpermute_b32 v1, v31, v0
	v_xor_b32_e32 v2, 1, v13
	v_cmp_lt_i32_e64 s[4:5], v2, v29
	v_cndmask_b32_e64 v2, v13, v2, s[4:5]
	v_lshlrev_b32_e32 v2, 2, v2
	s_waitcnt lgkmcnt(0)
	v_add_f32_e32 v0, v0, v1
	ds_bpermute_b32 v1, v2, v0
	s_and_saveexec_b64 s[40:41], vcc
	s_cbranch_execz .LBB300_11
; %bb.403:                              ;   in Loop: Header=BB300_13 Depth=1
	buffer_load_dword v2, off, s[56:59], 0 offset:336 ; 4-byte Folded Reload
	buffer_load_dword v3, off, s[56:59], 0 offset:332 ; 4-byte Folded Reload
	s_waitcnt lgkmcnt(0)
	v_add_f32_e32 v0, v0, v1
	s_waitcnt vmcnt(1)
	v_add_u32_e32 v2, v2, v41
	v_cvt_f32_i32_e32 v2, v2
	v_mul_f32_e32 v1, s48, v2
	buffer_load_dword v2, off, s[56:59], 0 offset:8 ; 4-byte Folded Reload
	s_waitcnt vmcnt(1)
	v_add_u32_e32 v3, v3, v41
	v_cndmask_b32_e64 v1, 0, v1, s[2:3]
	v_fmac_f32_e32 v1, s37, v0
	v_cmp_gt_i32_e64 s[4:5], s33, v3
	v_cndmask_b32_e64 v0, 0, v1, s[4:5]
	s_waitcnt vmcnt(0)
	ds_write_b32 v2, v0
	buffer_load_dword v2, off, s[56:59], 0 offset:312 ; 4-byte Folded Reload
	s_waitcnt vmcnt(0)
	v_max_f32_e32 v0, v2, v2
	v_max_f32_e32 v0, v0, v1
	v_cndmask_b32_e64 v2, v2, v0, s[4:5]
	buffer_store_dword v2, off, s[56:59], 0 offset:312 ; 4-byte Folded Spill
	s_branch .LBB300_11
.LBB300_404:
	s_or_b64 exec, exec, s[38:39]
	buffer_load_dword v13, off, s[56:59], 0 offset:340 ; 4-byte Folded Reload
	buffer_load_dword v4, off, s[56:59], 0 offset:312 ; 4-byte Folded Reload
	v_mbcnt_lo_u32_b32 v5, -1, 0
.LBB300_405:
	s_or_b64 exec, exec, s[18:19]
	v_mbcnt_hi_u32_b32 v0, -1, v5
	v_and_b32_e32 v8, 64, v0
	s_waitcnt lgkmcnt(0)
	v_add_u32_e32 v1, 64, v8
	v_xor_b32_e32 v2, 32, v0
	v_cmp_lt_i32_e32 vcc, v2, v1
	v_cndmask_b32_e32 v2, v0, v2, vcc
	v_lshlrev_b32_e32 v2, 2, v2
	s_waitcnt vmcnt(0)
	ds_bpermute_b32 v3, v2, v4
	v_xor_b32_e32 v5, 16, v0
	v_max_f32_e32 v4, v4, v4
	v_cmp_lt_i32_e32 vcc, v5, v1
	v_xor_b32_e32 v6, 8, v0
	s_waitcnt lgkmcnt(0)
	v_max_f32_e32 v3, v3, v3
	v_max_f32_e32 v4, v4, v3
	v_cndmask_b32_e32 v3, v0, v5, vcc
	v_lshlrev_b32_e32 v3, 2, v3
	ds_bpermute_b32 v5, v3, v4
	v_cmp_lt_i32_e32 vcc, v6, v1
	v_xor_b32_e32 v7, 4, v0
	s_waitcnt lgkmcnt(0)
	v_max_f32_e32 v5, v5, v5
	v_max_f32_e32 v4, v4, v5
	v_cndmask_b32_e32 v5, v0, v6, vcc
	v_lshlrev_b32_e32 v6, 2, v5
	ds_bpermute_b32 v5, v6, v4
	v_cmp_lt_i32_e32 vcc, v7, v1
	s_waitcnt lgkmcnt(0)
	v_max_f32_e32 v5, v5, v5
	v_max_f32_e32 v5, v4, v5
	v_cndmask_b32_e32 v4, v0, v7, vcc
	v_lshlrev_b32_e32 v7, 2, v4
	buffer_load_dword v4, off, s[56:59], 0 offset:308 ; 4-byte Folded Reload
	ds_bpermute_b32 v9, v7, v5
	s_waitcnt vmcnt(0)
	v_and_b32_e32 v14, 63, v4
	buffer_load_dword v4, off, s[56:59], 0  ; 4-byte Folded Reload
	v_cmp_eq_u32_e32 vcc, 0, v14
	s_waitcnt vmcnt(0)
	v_lshlrev_b32_e32 v4, 2, v4
	s_and_saveexec_b64 s[2:3], vcc
	s_cbranch_execz .LBB300_407
; %bb.406:
	s_waitcnt lgkmcnt(0)
	v_max_f32_e32 v9, v9, v9
	v_max_f32_e32 v5, v5, v5
	v_max_f32_e32 v5, v5, v9
	ds_write_b32 v4, v5 offset:512
.LBB300_407:
	s_or_b64 exec, exec, s[2:3]
	v_cmp_gt_u32_e64 s[2:3], 2, v14
	s_waitcnt lgkmcnt(0)
	v_mov_b32_e32 v9, 0xff7fffff
	v_lshlrev_b32_e32 v5, 2, v14
	s_barrier
	s_and_saveexec_b64 s[4:5], s[2:3]
; %bb.408:
	ds_read_b32 v9, v5 offset:512
; %bb.409:
	s_or_b64 exec, exec, s[4:5]
	v_xor_b32_e32 v10, 1, v0
	v_cmp_lt_i32_e64 s[4:5], v10, v1
	v_cndmask_b32_e64 v10, v0, v10, s[4:5]
	v_lshlrev_b32_e32 v15, 2, v10
	s_waitcnt lgkmcnt(0)
	ds_bpermute_b32 v10, v15, v9
	v_max_f32_e32 v9, v9, v9
	v_lshlrev_b32_e32 v8, 2, v8
	s_lshl_b32 s4, s47, 4
	s_min_i32 s37, s4, s33
	s_waitcnt lgkmcnt(0)
	v_max_f32_e32 v10, v10, v10
	v_max_f32_e32 v9, v9, v10
	ds_bpermute_b32 v9, v8, v9
	buffer_load_dword v8, off, s[56:59], 0 offset:308 ; 4-byte Folded Reload
	s_waitcnt vmcnt(0)
	v_cmp_gt_i32_e64 s[4:5], s37, v8
	v_mov_b32_e32 v8, 0
	s_and_saveexec_b64 s[12:13], s[4:5]
	s_cbranch_execz .LBB300_413
; %bb.410:
	buffer_load_dword v11, off, s[56:59], 0 offset:308 ; 4-byte Folded Reload
	v_mov_b32_e32 v8, 0x210
	s_mov_b64 s[18:19], 0
	s_waitcnt vmcnt(0)
	v_lshl_add_u32 v10, v11, 2, v8
	v_mov_b32_e32 v8, 0
.LBB300_411:                            ; =>This Inner Loop Header: Depth=1
	ds_read_b32 v12, v10
	v_add_u32_e32 v11, 0x80, v11
	v_cmp_le_i32_e64 s[6:7], s37, v11
	s_or_b64 s[18:19], s[6:7], s[18:19]
	s_waitcnt lgkmcnt(0)
	v_sub_f32_e32 v12, v12, v9
	v_mul_f32_e32 v12, 0x3fb8aa3b, v12
	v_exp_f32_e32 v12, v12
	ds_write_b32 v10, v12
	v_add_f32_e32 v8, v8, v12
	v_add_u32_e32 v10, 0x200, v10
	s_andn2_b64 exec, exec, s[18:19]
	s_cbranch_execnz .LBB300_411
; %bb.412:
	s_or_b64 exec, exec, s[18:19]
.LBB300_413:
	s_or_b64 exec, exec, s[12:13]
	ds_bpermute_b32 v2, v2, v8
	s_waitcnt lgkmcnt(0)
	v_add_f32_e32 v2, v8, v2
	ds_bpermute_b32 v3, v3, v2
	s_waitcnt lgkmcnt(0)
	v_add_f32_e32 v2, v2, v3
	ds_bpermute_b32 v3, v6, v2
	v_xor_b32_e32 v6, 2, v0
	v_cmp_lt_i32_e64 s[6:7], v6, v1
	v_cndmask_b32_e64 v1, v0, v6, s[6:7]
	v_lshlrev_b32_e32 v1, 2, v1
	s_waitcnt lgkmcnt(0)
	v_add_f32_e32 v2, v2, v3
	ds_bpermute_b32 v3, v7, v2
	s_waitcnt lgkmcnt(0)
	v_add_f32_e32 v2, v2, v3
	ds_bpermute_b32 v1, v1, v2
	;; [unrolled: 3-line block ×3, first 2 shown]
	s_waitcnt lgkmcnt(0)
	v_add_f32_e32 v1, v1, v2
	s_and_saveexec_b64 s[6:7], vcc
; %bb.414:
	ds_write_b32 v4, v1 offset:520
; %bb.415:
	s_or_b64 exec, exec, s[6:7]
	s_waitcnt lgkmcnt(0)
	s_barrier
	s_and_saveexec_b64 s[6:7], s[2:3]
; %bb.416:
	ds_read_b32 v1, v5 offset:520
; %bb.417:
	s_or_b64 exec, exec, s[6:7]
	s_waitcnt lgkmcnt(0)
	ds_bpermute_b32 v2, v15, v1
	v_lshlrev_b32_e32 v0, 2, v0
	v_and_b32_e32 v0, 0x100, v0
	s_waitcnt lgkmcnt(0)
	v_add_f32_e32 v1, v1, v2
	ds_bpermute_b32 v0, v0, v1
	s_and_saveexec_b64 s[2:3], s[4:5]
	s_cbranch_execz .LBB300_420
; %bb.418:
	s_waitcnt lgkmcnt(0)
	v_add_f32_e32 v1, 0x358637bd, v0
	v_div_scale_f32 v0, s[4:5], v1, v1, 1.0
	v_div_scale_f32 v2, vcc, 1.0, v1, 1.0
	s_mov_b64 s[4:5], 0
	v_rcp_f32_e32 v3, v0
	v_fma_f32 v4, -v0, v3, 1.0
	v_fmac_f32_e32 v3, v4, v3
	v_mul_f32_e32 v4, v2, v3
	v_fma_f32 v5, -v0, v4, v2
	v_fmac_f32_e32 v4, v5, v3
	v_fma_f32 v0, -v0, v4, v2
	v_div_fmas_f32 v2, v0, v3, v4
	buffer_load_dword v3, off, s[56:59], 0 offset:308 ; 4-byte Folded Reload
	v_mov_b32_e32 v0, 0x210
	v_div_fixup_f32 v1, v2, v1, 1.0
	s_waitcnt vmcnt(0)
	v_lshl_add_u32 v0, v3, 2, v0
	v_mov_b32_e32 v2, v3
.LBB300_419:                            ; =>This Inner Loop Header: Depth=1
	ds_read_b32 v3, v0
	v_add_u32_e32 v2, 0x80, v2
	v_cmp_le_i32_e32 vcc, s37, v2
	s_or_b64 s[4:5], vcc, s[4:5]
	s_waitcnt lgkmcnt(0)
	v_mul_f32_e32 v3, v1, v3
	ds_write_b32 v0, v3
	v_add_u32_e32 v0, 0x200, v0
	s_andn2_b64 exec, exec, s[4:5]
	s_cbranch_execnz .LBB300_419
.LBB300_420:
	s_or_b64 exec, exec, s[2:3]
	s_waitcnt lgkmcnt(0)
	s_barrier
	buffer_load_dword v0, off, s[56:59], 0 offset:308 ; 4-byte Folded Reload
	v_mov_b32_e32 v18, 0
	v_mov_b32_e32 v6, 0
	;; [unrolled: 1-line block ×8, first 2 shown]
	s_waitcnt vmcnt(0)
	v_and_b32_e32 v11, 1, v0
	s_and_saveexec_b64 s[2:3], s[0:1]
	s_cbranch_execz .LBB300_826
; %bb.421:
	buffer_store_dword v15, off, s[56:59], 0 offset:216 ; 4-byte Folded Spill
	buffer_store_dword v14, off, s[56:59], 0 offset:212 ; 4-byte Folded Spill
	buffer_load_dword v1, off, s[56:59], 0 offset:308 ; 4-byte Folded Reload
	s_sub_i32 s37, s16, s21
	s_ashr_i32 s0, s20, 31
	s_add_u32 s1, s34, s20
	s_addc_u32 s0, s35, s0
	s_abs_i32 s22, s22
	v_cvt_f32_u32_e32 v0, s22
	s_sub_i32 s6, 0, s22
	s_add_i32 s35, s47, -1
	v_mov_b32_e32 v3, s0
	v_rcp_iflag_f32_e32 v0, v0
	s_mov_b32 s4, -1
	s_mov_b32 s34, s17
	s_mov_b32 s5, 0xffffff
	v_mul_f32_e32 v0, 0x4f7ffffe, v0
	v_cvt_u32_f32_e32 v0, v0
	v_mov_b32_e32 v10, 0
	v_mov_b32_e32 v12, 0
	;; [unrolled: 1-line block ×3, first 2 shown]
	s_waitcnt vmcnt(0)
	v_lshlrev_b32_e32 v1, 3, v1
	v_and_b32_e32 v2, 8, v1
	buffer_store_dword v2, off, s[56:59], 0 offset:200 ; 4-byte Folded Spill
	v_mul_lo_u32 v2, s6, v0
	v_and_b32_e32 v1, 0x1f8, v1
	v_add_co_u32_e32 v4, vcc, s1, v1
	v_mul_hi_u32 v2, v0, v2
	s_lshl_b64 s[0:1], s[30:31], 2
	v_addc_co_u32_e32 v5, vcc, 0, v3, vcc
	v_add_u32_e32 v0, v0, v2
	s_add_u32 s0, s28, s0
	buffer_store_dword v4, off, s[56:59], 0 offset:204 ; 4-byte Folded Spill
	s_nop 0
	buffer_store_dword v5, off, s[56:59], 0 offset:208 ; 4-byte Folded Spill
	buffer_store_dword v0, off, s[56:59], 0 offset:188 ; 4-byte Folded Spill
	v_and_b32_e32 v0, 60, v13
	s_addc_u32 s1, s29, s1
	v_mov_b32_e32 v1, s1
	v_add_co_u32_e32 v13, vcc, s0, v0
	v_addc_co_u32_e32 v14, vcc, 0, v1, vcc
	buffer_load_dword v1, off, s[56:59], 0  ; 4-byte Folded Reload
	buffer_load_dword v3, off, s[56:59], 0 offset:4 ; 4-byte Folded Reload
	v_lshlrev_b32_e32 v0, 5, v11
	s_mov_b64 s[6:7], 0
	s_movk_i32 s28, 0x80
	s_movk_i32 s29, 0x7f
	;; [unrolled: 1-line block ×3, first 2 shown]
	buffer_store_dword v11, off, s[56:59], 0 offset:220 ; 4-byte Folded Spill
	s_waitcnt vmcnt(2)
	v_lshl_or_b32 v0, v1, 6, v0
	v_add_u32_e32 v35, 0x210, v0
	v_mov_b32_e32 v0, 0
	buffer_store_dword v0, off, s[56:59], 0 offset:164 ; 4-byte Folded Spill
	v_mov_b32_e32 v0, 0
	buffer_store_dword v0, off, s[56:59], 0 offset:168 ; 4-byte Folded Spill
	;; [unrolled: 2-line block ×6, first 2 shown]
	s_branch .LBB300_424
.LBB300_422:                            ;   in Loop: Header=BB300_424 Depth=1
	s_or_b64 exec, exec, s[0:1]
	v_bfe_u32 v0, v5, 16, 1
	v_add3_u32 v0, v0, v5, s30
	v_or_b32_e32 v11, 0x400000, v5
	v_cmp_u_f32_e32 vcc, v5, v5
	v_cndmask_b32_e32 v33, v0, v11, vcc
	v_bfe_u32 v0, v6, 16, 1
	v_add3_u32 v0, v0, v6, s30
	v_or_b32_e32 v5, 0x400000, v6
	v_cmp_u_f32_e32 vcc, v6, v6
	v_cndmask_b32_e32 v34, v0, v5, vcc
	;; [unrolled: 5-line block ×8, first 2 shown]
	v_and_b32_e32 v1, 0xffff0000, v34
	v_lshlrev_b32_e32 v2, 16, v62
	v_mul_f32_e32 v2, v1, v2
	v_bfe_u32 v3, v2, 16, 1
	v_add3_u32 v3, v3, v2, s30
	v_or_b32_e32 v4, 0x400000, v2
	v_cmp_u_f32_e32 vcc, v2, v2
	v_cndmask_b32_e32 v12, v3, v4, vcc
	v_and_b32_e32 v4, 0xffff0000, v33
	v_lshlrev_b32_e32 v2, 16, v61
	v_mul_f32_e32 v2, v4, v2
	v_bfe_u32 v3, v2, 16, 1
	v_add3_u32 v3, v3, v2, s30
	v_or_b32_e32 v21, 0x400000, v2
	v_cmp_u_f32_e32 vcc, v2, v2
	v_cndmask_b32_e32 v21, v3, v21, vcc
	;; [unrolled: 8-line block ×4, first 2 shown]
	v_and_b32_e32 v3, 0xffff0000, v8
	v_lshlrev_b32_e32 v5, 16, v19
	v_mul_f32_e32 v5, v3, v5
	v_bfe_u32 v8, v5, 16, 1
	v_add3_u32 v8, v8, v5, s30
	v_or_b32_e32 v19, 0x400000, v5
	v_cmp_u_f32_e32 vcc, v5, v5
	v_and_b32_e32 v7, 0xffff0000, v7
	v_lshlrev_b32_e32 v5, 16, v18
	v_mul_f32_e32 v5, v7, v5
	v_cndmask_b32_e32 v19, v8, v19, vcc
	v_bfe_u32 v8, v5, 16, 1
	v_add3_u32 v8, v8, v5, s30
	v_or_b32_e32 v18, 0x400000, v5
	v_cmp_u_f32_e32 vcc, v5, v5
	v_cndmask_b32_e32 v18, v8, v18, vcc
	v_and_b32_e32 v5, 0xffff0000, v11
	v_lshlrev_b32_e32 v8, 16, v53
	v_mul_f32_e32 v8, v5, v8
	v_bfe_u32 v11, v8, 16, 1
	v_add3_u32 v11, v11, v8, s30
	v_or_b32_e32 v34, 0x400000, v8
	v_cmp_u_f32_e32 vcc, v8, v8
	v_and_b32_e32 v8, 0xffff0000, v0
	v_lshlrev_b32_e32 v0, 16, v50
	v_mul_f32_e32 v0, v8, v0
	v_cndmask_b32_e32 v11, v11, v34, vcc
	v_bfe_u32 v34, v0, 16, 1
	v_add3_u32 v34, v34, v0, s30
	v_or_b32_e32 v36, 0x400000, v0
	v_cmp_u_f32_e32 vcc, v0, v0
	v_cndmask_b32_e32 v0, v34, v36, vcc
	v_and_b32_e32 v0, 0xffff0000, v0
	v_and_b32_e32 v11, 0xffff0000, v11
	v_add_f32_e32 v0, v0, v11
	buffer_load_dword v11, off, s[56:59], 0 offset:164 ; 4-byte Folded Reload
	v_and_b32_e32 v21, 0xffff0000, v21
	v_and_b32_e32 v12, 0xffff0000, v12
	v_add_f32_e32 v12, v21, v12
	v_and_b32_e32 v21, 0xffff0000, v33
	v_and_b32_e32 v32, 0xffff0000, v32
	v_add_f32_e32 v21, v21, v32
	;; [unrolled: 3-line block ×3, first 2 shown]
	v_add_f32_e32 v18, v18, v19
	v_add_f32_e32 v12, v18, v12
	;; [unrolled: 1-line block ×3, first 2 shown]
	s_waitcnt vmcnt(0)
	v_add_f32_e32 v11, v11, v0
	v_lshlrev_b32_e32 v0, 16, v49
	v_mul_f32_e32 v0, v1, v0
	buffer_store_dword v11, off, s[56:59], 0 offset:164 ; 4-byte Folded Spill
	v_bfe_u32 v11, v0, 16, 1
	v_add3_u32 v11, v11, v0, s30
	v_or_b32_e32 v12, 0x400000, v0
	v_cmp_u_f32_e32 vcc, v0, v0
	v_cndmask_b32_e32 v0, v11, v12, vcc
	v_lshlrev_b32_e32 v11, 16, v48
	v_mul_f32_e32 v11, v4, v11
	v_bfe_u32 v12, v11, 16, 1
	v_add3_u32 v12, v12, v11, s30
	v_or_b32_e32 v18, 0x400000, v11
	v_cmp_u_f32_e32 vcc, v11, v11
	v_cndmask_b32_e32 v11, v12, v18, vcc
	v_lshlrev_b32_e32 v12, 16, v46
	v_mul_f32_e32 v12, v2, v12
	;; [unrolled: 7-line block ×6, first 2 shown]
	v_bfe_u32 v33, v32, 16, 1
	v_add3_u32 v33, v33, v32, s30
	v_or_b32_e32 v34, 0x400000, v32
	v_cmp_u_f32_e32 vcc, v32, v32
	v_cndmask_b32_e32 v32, v33, v34, vcc
	v_lshlrev_b32_e32 v33, 16, v44
	v_and_b32_e32 v11, 0xffff0000, v11
	v_and_b32_e32 v0, 0xffff0000, v0
	v_mul_f32_e32 v33, v8, v33
	v_add_f32_e32 v0, v11, v0
	v_and_b32_e32 v11, 0xffff0000, v18
	v_and_b32_e32 v12, 0xffff0000, v12
	v_bfe_u32 v34, v33, 16, 1
	v_add_f32_e32 v11, v11, v12
	v_add3_u32 v34, v34, v33, s30
	v_or_b32_e32 v36, 0x400000, v33
	v_cmp_u_f32_e32 vcc, v33, v33
	v_add_f32_e32 v0, v11, v0
	v_and_b32_e32 v11, 0xffff0000, v21
	v_and_b32_e32 v12, 0xffff0000, v19
	v_cndmask_b32_e32 v33, v34, v36, vcc
	v_add_f32_e32 v11, v11, v12
	v_add_f32_e32 v0, v11, v0
	v_and_b32_e32 v11, 0xffff0000, v33
	v_and_b32_e32 v12, 0xffff0000, v32
	v_add_f32_e32 v11, v11, v12
	v_add_f32_e32 v0, v11, v0
	buffer_load_dword v11, off, s[56:59], 0 offset:168 ; 4-byte Folded Reload
	s_waitcnt vmcnt(0)
	v_add_f32_e32 v11, v11, v0
	v_lshlrev_b32_e32 v0, 16, v41
	v_mul_f32_e32 v0, v1, v0
	buffer_store_dword v11, off, s[56:59], 0 offset:168 ; 4-byte Folded Spill
	v_bfe_u32 v11, v0, 16, 1
	v_add3_u32 v11, v11, v0, s30
	v_or_b32_e32 v12, 0x400000, v0
	v_cmp_u_f32_e32 vcc, v0, v0
	v_cndmask_b32_e32 v0, v11, v12, vcc
	v_lshlrev_b32_e32 v11, 16, v40
	v_mul_f32_e32 v11, v4, v11
	v_bfe_u32 v12, v11, 16, 1
	v_add3_u32 v12, v12, v11, s30
	v_or_b32_e32 v18, 0x400000, v11
	v_cmp_u_f32_e32 vcc, v11, v11
	v_cndmask_b32_e32 v11, v12, v18, vcc
	v_lshlrev_b32_e32 v12, 16, v38
	v_mul_f32_e32 v12, v2, v12
	;; [unrolled: 7-line block ×6, first 2 shown]
	v_bfe_u32 v29, v28, 16, 1
	v_add3_u32 v29, v29, v28, s30
	v_or_b32_e32 v32, 0x400000, v28
	v_cmp_u_f32_e32 vcc, v28, v28
	v_cndmask_b32_e32 v28, v29, v32, vcc
	v_lshlrev_b32_e32 v29, 16, v30
	v_and_b32_e32 v11, 0xffff0000, v11
	v_and_b32_e32 v0, 0xffff0000, v0
	v_mul_f32_e32 v29, v8, v29
	v_add_f32_e32 v0, v11, v0
	v_and_b32_e32 v11, 0xffff0000, v18
	v_and_b32_e32 v12, 0xffff0000, v12
	v_bfe_u32 v30, v29, 16, 1
	v_add_f32_e32 v11, v11, v12
	v_add3_u32 v30, v30, v29, s30
	v_or_b32_e32 v32, 0x400000, v29
	v_cmp_u_f32_e32 vcc, v29, v29
	v_add_f32_e32 v0, v11, v0
	v_and_b32_e32 v11, 0xffff0000, v21
	v_and_b32_e32 v12, 0xffff0000, v19
	v_cndmask_b32_e32 v29, v30, v32, vcc
	v_add_f32_e32 v11, v11, v12
	v_add_f32_e32 v0, v11, v0
	v_and_b32_e32 v11, 0xffff0000, v29
	v_and_b32_e32 v12, 0xffff0000, v28
	v_add_f32_e32 v11, v11, v12
	v_add_f32_e32 v0, v11, v0
	buffer_load_dword v11, off, s[56:59], 0 offset:172 ; 4-byte Folded Reload
	s_waitcnt vmcnt(0)
	v_add_f32_e32 v11, v11, v0
	v_lshlrev_b32_e32 v0, 16, v23
	v_mul_f32_e32 v0, v1, v0
	buffer_store_dword v11, off, s[56:59], 0 offset:172 ; 4-byte Folded Spill
	v_bfe_u32 v11, v0, 16, 1
	v_add3_u32 v11, v11, v0, s30
	v_or_b32_e32 v12, 0x400000, v0
	v_cmp_u_f32_e32 vcc, v0, v0
	v_cndmask_b32_e32 v0, v11, v12, vcc
	v_lshlrev_b32_e32 v11, 16, v26
	v_mul_f32_e32 v11, v4, v11
	v_bfe_u32 v12, v11, 16, 1
	v_add3_u32 v12, v12, v11, s30
	v_or_b32_e32 v18, 0x400000, v11
	v_cmp_u_f32_e32 vcc, v11, v11
	v_cndmask_b32_e32 v11, v12, v18, vcc
	v_lshlrev_b32_e32 v12, 16, v24
	v_mul_f32_e32 v12, v2, v12
	v_bfe_u32 v18, v12, 16, 1
	v_add3_u32 v18, v18, v12, s30
	v_or_b32_e32 v19, 0x400000, v12
	v_cmp_u_f32_e32 vcc, v12, v12
	v_cndmask_b32_e32 v12, v18, v19, vcc
	buffer_load_dword v18, off, s[56:59], 0 offset:160 ; 4-byte Folded Reload
	v_and_b32_e32 v11, 0xffff0000, v11
	v_and_b32_e32 v0, 0xffff0000, v0
	v_add_f32_e32 v0, v11, v0
	v_and_b32_e32 v12, 0xffff0000, v12
	s_waitcnt vmcnt(0)
	v_lshlrev_b32_e32 v18, 16, v18
	v_mul_f32_e32 v18, v6, v18
	v_bfe_u32 v19, v18, 16, 1
	v_add3_u32 v19, v19, v18, s30
	v_or_b32_e32 v21, 0x400000, v18
	v_cmp_u_f32_e32 vcc, v18, v18
	v_cndmask_b32_e32 v18, v19, v21, vcc
	buffer_load_dword v19, off, s[56:59], 0 offset:128 ; 4-byte Folded Reload
	v_and_b32_e32 v11, 0xffff0000, v18
	v_add_f32_e32 v11, v11, v12
	v_add_f32_e32 v0, v11, v0
	s_waitcnt vmcnt(0)
	v_lshlrev_b32_e32 v19, 16, v19
	v_mul_f32_e32 v19, v3, v19
	v_bfe_u32 v21, v19, 16, 1
	v_add3_u32 v21, v21, v19, s30
	v_or_b32_e32 v23, 0x400000, v19
	v_cmp_u_f32_e32 vcc, v19, v19
	v_cndmask_b32_e32 v19, v21, v23, vcc
	buffer_load_dword v21, off, s[56:59], 0 offset:112 ; 4-byte Folded Reload
	v_and_b32_e32 v12, 0xffff0000, v19
	s_waitcnt vmcnt(0)
	v_lshlrev_b32_e32 v21, 16, v21
	v_mul_f32_e32 v21, v7, v21
	v_bfe_u32 v23, v21, 16, 1
	v_add3_u32 v23, v23, v21, s30
	v_or_b32_e32 v24, 0x400000, v21
	v_cmp_u_f32_e32 vcc, v21, v21
	v_cndmask_b32_e32 v21, v23, v24, vcc
	v_lshlrev_b32_e32 v23, 16, v25
	v_mul_f32_e32 v23, v5, v23
	v_bfe_u32 v24, v23, 16, 1
	v_add3_u32 v24, v24, v23, s30
	v_or_b32_e32 v25, 0x400000, v23
	v_cmp_u_f32_e32 vcc, v23, v23
	v_cndmask_b32_e32 v23, v24, v25, vcc
	buffer_load_dword v24, off, s[56:59], 0 offset:144 ; 4-byte Folded Reload
	v_and_b32_e32 v11, 0xffff0000, v21
	v_add_f32_e32 v11, v11, v12
	v_add_f32_e32 v0, v11, v0
	v_and_b32_e32 v12, 0xffff0000, v23
	s_waitcnt vmcnt(0)
	v_lshlrev_b32_e32 v24, 16, v24
	v_mul_f32_e32 v24, v8, v24
	v_bfe_u32 v25, v24, 16, 1
	v_add3_u32 v25, v25, v24, s30
	v_or_b32_e32 v26, 0x400000, v24
	v_cmp_u_f32_e32 vcc, v24, v24
	v_cndmask_b32_e32 v24, v25, v26, vcc
	v_and_b32_e32 v11, 0xffff0000, v24
	v_add_f32_e32 v11, v11, v12
	v_add_f32_e32 v0, v11, v0
	buffer_load_dword v11, off, s[56:59], 0 offset:176 ; 4-byte Folded Reload
	s_waitcnt vmcnt(0)
	v_add_f32_e32 v11, v11, v0
	buffer_load_dword v0, off, s[56:59], 0 offset:92 ; 4-byte Folded Reload
	s_waitcnt vmcnt(0)
	v_lshlrev_b32_e32 v0, 16, v0
	v_mul_f32_e32 v0, v1, v0
	buffer_store_dword v11, off, s[56:59], 0 offset:176 ; 4-byte Folded Spill
	v_bfe_u32 v11, v0, 16, 1
	v_add3_u32 v11, v11, v0, s30
	v_or_b32_e32 v12, 0x400000, v0
	v_cmp_u_f32_e32 vcc, v0, v0
	v_cndmask_b32_e32 v0, v11, v12, vcc
	buffer_load_dword v11, off, s[56:59], 0 offset:96 ; 4-byte Folded Reload
	v_and_b32_e32 v0, 0xffff0000, v0
	s_waitcnt vmcnt(0)
	v_lshlrev_b32_e32 v11, 16, v11
	v_mul_f32_e32 v11, v4, v11
	v_bfe_u32 v12, v11, 16, 1
	v_add3_u32 v12, v12, v11, s30
	v_or_b32_e32 v18, 0x400000, v11
	v_cmp_u_f32_e32 vcc, v11, v11
	v_cndmask_b32_e32 v11, v12, v18, vcc
	buffer_load_dword v12, off, s[56:59], 0 offset:80 ; 4-byte Folded Reload
	v_and_b32_e32 v11, 0xffff0000, v11
	v_add_f32_e32 v0, v11, v0
	s_waitcnt vmcnt(0)
	v_lshlrev_b32_e32 v12, 16, v12
	v_mul_f32_e32 v12, v2, v12
	v_bfe_u32 v18, v12, 16, 1
	v_add3_u32 v18, v18, v12, s30
	v_or_b32_e32 v19, 0x400000, v12
	v_cmp_u_f32_e32 vcc, v12, v12
	v_cndmask_b32_e32 v12, v18, v19, vcc
	buffer_load_dword v18, off, s[56:59], 0 offset:84 ; 4-byte Folded Reload
	v_and_b32_e32 v12, 0xffff0000, v12
	s_waitcnt vmcnt(0)
	v_lshlrev_b32_e32 v18, 16, v18
	v_mul_f32_e32 v18, v6, v18
	v_bfe_u32 v19, v18, 16, 1
	v_add3_u32 v19, v19, v18, s30
	v_or_b32_e32 v21, 0x400000, v18
	v_cmp_u_f32_e32 vcc, v18, v18
	v_cndmask_b32_e32 v18, v19, v21, vcc
	buffer_load_dword v19, off, s[56:59], 0 offset:68 ; 4-byte Folded Reload
	v_and_b32_e32 v11, 0xffff0000, v18
	v_add_f32_e32 v11, v11, v12
	v_add_f32_e32 v0, v11, v0
	s_waitcnt vmcnt(0)
	v_lshlrev_b32_e32 v19, 16, v19
	v_mul_f32_e32 v19, v3, v19
	v_bfe_u32 v21, v19, 16, 1
	v_add3_u32 v21, v21, v19, s30
	v_or_b32_e32 v23, 0x400000, v19
	v_cmp_u_f32_e32 vcc, v19, v19
	v_cndmask_b32_e32 v19, v21, v23, vcc
	buffer_load_dword v21, off, s[56:59], 0 offset:72 ; 4-byte Folded Reload
	v_and_b32_e32 v12, 0xffff0000, v19
	s_waitcnt vmcnt(0)
	v_lshlrev_b32_e32 v21, 16, v21
	v_mul_f32_e32 v21, v7, v21
	v_bfe_u32 v23, v21, 16, 1
	v_add3_u32 v23, v23, v21, s30
	v_or_b32_e32 v24, 0x400000, v21
	v_cmp_u_f32_e32 vcc, v21, v21
	v_cndmask_b32_e32 v21, v23, v24, vcc
	buffer_load_dword v23, off, s[56:59], 0 offset:88 ; 4-byte Folded Reload
	v_and_b32_e32 v11, 0xffff0000, v21
	v_add_f32_e32 v11, v11, v12
	v_add_f32_e32 v0, v11, v0
	s_waitcnt vmcnt(0)
	v_lshlrev_b32_e32 v23, 16, v23
	v_mul_f32_e32 v23, v5, v23
	v_bfe_u32 v24, v23, 16, 1
	v_add3_u32 v24, v24, v23, s30
	v_or_b32_e32 v25, 0x400000, v23
	v_cmp_u_f32_e32 vcc, v23, v23
	v_cndmask_b32_e32 v23, v24, v25, vcc
	buffer_load_dword v24, off, s[56:59], 0 offset:76 ; 4-byte Folded Reload
	v_and_b32_e32 v12, 0xffff0000, v23
	s_waitcnt vmcnt(0)
	v_lshlrev_b32_e32 v24, 16, v24
	v_mul_f32_e32 v24, v8, v24
	v_bfe_u32 v25, v24, 16, 1
	v_add3_u32 v25, v25, v24, s30
	v_or_b32_e32 v26, 0x400000, v24
	v_cmp_u_f32_e32 vcc, v24, v24
	v_cndmask_b32_e32 v24, v25, v26, vcc
	v_and_b32_e32 v11, 0xffff0000, v24
	v_add_f32_e32 v11, v11, v12
	v_add_f32_e32 v0, v11, v0
	buffer_load_dword v11, off, s[56:59], 0 offset:180 ; 4-byte Folded Reload
	s_waitcnt vmcnt(0)
	v_add_f32_e32 v11, v11, v0
	buffer_load_dword v0, off, s[56:59], 0 offset:60 ; 4-byte Folded Reload
	s_waitcnt vmcnt(0)
	v_lshlrev_b32_e32 v0, 16, v0
	v_mul_f32_e32 v0, v1, v0
	buffer_store_dword v11, off, s[56:59], 0 offset:180 ; 4-byte Folded Spill
	v_bfe_u32 v11, v0, 16, 1
	v_add3_u32 v11, v11, v0, s30
	v_or_b32_e32 v12, 0x400000, v0
	v_cmp_u_f32_e32 vcc, v0, v0
	v_cndmask_b32_e32 v0, v11, v12, vcc
	buffer_load_dword v11, off, s[56:59], 0 offset:64 ; 4-byte Folded Reload
	v_and_b32_e32 v0, 0xffff0000, v0
	s_waitcnt vmcnt(0)
	v_lshlrev_b32_e32 v11, 16, v11
	v_mul_f32_e32 v11, v4, v11
	v_bfe_u32 v12, v11, 16, 1
	v_add3_u32 v12, v12, v11, s30
	v_or_b32_e32 v18, 0x400000, v11
	v_cmp_u_f32_e32 vcc, v11, v11
	v_cndmask_b32_e32 v11, v12, v18, vcc
	buffer_load_dword v12, off, s[56:59], 0 offset:48 ; 4-byte Folded Reload
	v_and_b32_e32 v11, 0xffff0000, v11
	v_add_f32_e32 v0, v11, v0
	s_waitcnt vmcnt(0)
	v_lshlrev_b32_e32 v12, 16, v12
	v_mul_f32_e32 v12, v2, v12
	v_bfe_u32 v18, v12, 16, 1
	v_add3_u32 v18, v18, v12, s30
	v_or_b32_e32 v19, 0x400000, v12
	v_cmp_u_f32_e32 vcc, v12, v12
	v_cndmask_b32_e32 v12, v18, v19, vcc
	buffer_load_dword v18, off, s[56:59], 0 offset:52 ; 4-byte Folded Reload
	v_and_b32_e32 v12, 0xffff0000, v12
	s_waitcnt vmcnt(0)
	v_lshlrev_b32_e32 v18, 16, v18
	v_mul_f32_e32 v18, v6, v18
	v_bfe_u32 v19, v18, 16, 1
	v_add3_u32 v19, v19, v18, s30
	v_or_b32_e32 v21, 0x400000, v18
	v_cmp_u_f32_e32 vcc, v18, v18
	v_cndmask_b32_e32 v18, v19, v21, vcc
	buffer_load_dword v19, off, s[56:59], 0 offset:36 ; 4-byte Folded Reload
	v_and_b32_e32 v11, 0xffff0000, v18
	v_add_f32_e32 v11, v11, v12
	v_add_f32_e32 v0, v11, v0
	s_waitcnt vmcnt(0)
	v_lshlrev_b32_e32 v19, 16, v19
	v_mul_f32_e32 v19, v3, v19
	v_bfe_u32 v21, v19, 16, 1
	v_add3_u32 v21, v21, v19, s30
	v_or_b32_e32 v23, 0x400000, v19
	v_cmp_u_f32_e32 vcc, v19, v19
	v_cndmask_b32_e32 v19, v21, v23, vcc
	buffer_load_dword v21, off, s[56:59], 0 offset:40 ; 4-byte Folded Reload
	v_and_b32_e32 v12, 0xffff0000, v19
	s_waitcnt vmcnt(0)
	v_lshlrev_b32_e32 v21, 16, v21
	v_mul_f32_e32 v21, v7, v21
	v_bfe_u32 v23, v21, 16, 1
	v_add3_u32 v23, v23, v21, s30
	v_or_b32_e32 v24, 0x400000, v21
	v_cmp_u_f32_e32 vcc, v21, v21
	v_cndmask_b32_e32 v21, v23, v24, vcc
	buffer_load_dword v23, off, s[56:59], 0 offset:56 ; 4-byte Folded Reload
	v_and_b32_e32 v11, 0xffff0000, v21
	v_add_f32_e32 v11, v11, v12
	v_add_f32_e32 v0, v11, v0
	s_waitcnt vmcnt(0)
	v_lshlrev_b32_e32 v23, 16, v23
	v_mul_f32_e32 v23, v5, v23
	v_bfe_u32 v24, v23, 16, 1
	v_add3_u32 v24, v24, v23, s30
	v_or_b32_e32 v25, 0x400000, v23
	v_cmp_u_f32_e32 vcc, v23, v23
	v_cndmask_b32_e32 v23, v24, v25, vcc
	buffer_load_dword v24, off, s[56:59], 0 offset:44 ; 4-byte Folded Reload
	v_and_b32_e32 v12, 0xffff0000, v23
	s_waitcnt vmcnt(0)
	v_lshlrev_b32_e32 v24, 16, v24
	v_mul_f32_e32 v24, v8, v24
	v_bfe_u32 v25, v24, 16, 1
	v_add3_u32 v25, v25, v24, s30
	v_or_b32_e32 v26, 0x400000, v24
	v_cmp_u_f32_e32 vcc, v24, v24
	v_cndmask_b32_e32 v24, v25, v26, vcc
	v_and_b32_e32 v11, 0xffff0000, v24
	v_add_f32_e32 v11, v11, v12
	v_add_f32_e32 v0, v11, v0
	buffer_load_dword v11, off, s[56:59], 0 offset:184 ; 4-byte Folded Reload
	s_waitcnt vmcnt(0)
	v_add_f32_e32 v11, v11, v0
	buffer_load_dword v0, off, s[56:59], 0 offset:28 ; 4-byte Folded Reload
	s_waitcnt vmcnt(0)
	v_lshlrev_b32_e32 v0, 16, v0
	v_mul_f32_e32 v0, v1, v0
	buffer_store_dword v11, off, s[56:59], 0 offset:184 ; 4-byte Folded Spill
	v_bfe_u32 v11, v0, 16, 1
	v_add3_u32 v11, v11, v0, s30
	v_or_b32_e32 v12, 0x400000, v0
	v_cmp_u_f32_e32 vcc, v0, v0
	v_cndmask_b32_e32 v0, v11, v12, vcc
	buffer_load_dword v11, off, s[56:59], 0 offset:32 ; 4-byte Folded Reload
	v_and_b32_e32 v0, 0xffff0000, v0
	s_waitcnt vmcnt(0)
	v_lshlrev_b32_e32 v11, 16, v11
	v_mul_f32_e32 v11, v4, v11
	v_bfe_u32 v12, v11, 16, 1
	v_add3_u32 v12, v12, v11, s30
	v_or_b32_e32 v18, 0x400000, v11
	v_cmp_u_f32_e32 vcc, v11, v11
	v_cndmask_b32_e32 v11, v12, v18, vcc
	buffer_load_dword v12, off, s[56:59], 0 offset:16 ; 4-byte Folded Reload
	v_and_b32_e32 v11, 0xffff0000, v11
	v_add_f32_e32 v0, v11, v0
	s_waitcnt vmcnt(0)
	v_lshlrev_b32_e32 v12, 16, v12
	v_mul_f32_e32 v12, v2, v12
	v_bfe_u32 v18, v12, 16, 1
	v_add3_u32 v18, v18, v12, s30
	v_or_b32_e32 v19, 0x400000, v12
	v_cmp_u_f32_e32 vcc, v12, v12
	v_cndmask_b32_e32 v12, v18, v19, vcc
	buffer_load_dword v18, off, s[56:59], 0 offset:20 ; 4-byte Folded Reload
	v_and_b32_e32 v12, 0xffff0000, v12
	s_waitcnt vmcnt(0)
	v_lshlrev_b32_e32 v18, 16, v18
	v_mul_f32_e32 v18, v6, v18
	v_bfe_u32 v19, v18, 16, 1
	v_add3_u32 v19, v19, v18, s30
	v_or_b32_e32 v21, 0x400000, v18
	v_cmp_u_f32_e32 vcc, v18, v18
	v_cndmask_b32_e32 v18, v19, v21, vcc
	v_lshlrev_b32_e32 v19, 16, v27
	v_mul_f32_e32 v19, v3, v19
	v_bfe_u32 v21, v19, 16, 1
	v_add3_u32 v21, v21, v19, s30
	v_or_b32_e32 v23, 0x400000, v19
	v_cmp_u_f32_e32 vcc, v19, v19
	v_cndmask_b32_e32 v19, v21, v23, vcc
	buffer_load_dword v21, off, s[56:59], 0 offset:8 ; 4-byte Folded Reload
	v_and_b32_e32 v11, 0xffff0000, v18
	buffer_load_dword v18, off, s[56:59], 0 offset:196 ; 4-byte Folded Reload
	v_add_f32_e32 v11, v11, v12
	v_add_f32_e32 v0, v11, v0
	v_and_b32_e32 v12, 0xffff0000, v19
	s_waitcnt vmcnt(1)
	v_lshlrev_b32_e32 v21, 16, v21
	v_mul_f32_e32 v21, v7, v21
	v_bfe_u32 v23, v21, 16, 1
	v_add3_u32 v23, v23, v21, s30
	v_or_b32_e32 v24, 0x400000, v21
	v_cmp_u_f32_e32 vcc, v21, v21
	v_cndmask_b32_e32 v21, v23, v24, vcc
	buffer_load_dword v23, off, s[56:59], 0 offset:24 ; 4-byte Folded Reload
	v_and_b32_e32 v11, 0xffff0000, v21
	v_add_f32_e32 v11, v11, v12
	v_add_f32_e32 v0, v11, v0
	s_waitcnt vmcnt(0)
	v_lshlrev_b32_e32 v23, 16, v23
	v_mul_f32_e32 v23, v5, v23
	v_bfe_u32 v24, v23, 16, 1
	v_add3_u32 v24, v24, v23, s30
	v_or_b32_e32 v25, 0x400000, v23
	v_cmp_u_f32_e32 vcc, v23, v23
	v_cndmask_b32_e32 v23, v24, v25, vcc
	buffer_load_dword v24, off, s[56:59], 0 offset:12 ; 4-byte Folded Reload
	v_and_b32_e32 v12, 0xffff0000, v23
	s_waitcnt vmcnt(0)
	v_lshlrev_b32_e32 v24, 16, v24
	v_mul_f32_e32 v24, v8, v24
	v_bfe_u32 v25, v24, 16, 1
	v_add3_u32 v25, v25, v24, s30
	v_or_b32_e32 v26, 0x400000, v24
	v_cmp_u_f32_e32 vcc, v24, v24
	v_cndmask_b32_e32 v24, v25, v26, vcc
	v_and_b32_e32 v11, 0xffff0000, v24
	v_add_f32_e32 v11, v11, v12
	buffer_load_dword v12, off, s[56:59], 0 offset:192 ; 4-byte Folded Reload
	v_add_f32_e32 v0, v11, v0
	v_add_f32_e32 v18, v18, v0
	v_lshlrev_b32_e32 v0, 16, v31
	v_mul_f32_e32 v0, v4, v0
	v_bfe_u32 v4, v0, 16, 1
	v_add3_u32 v4, v4, v0, s30
	v_or_b32_e32 v11, 0x400000, v0
	v_cmp_u_f32_e32 vcc, v0, v0
	v_cndmask_b32_e32 v0, v4, v11, vcc
	v_lshlrev_b32_e32 v4, 16, v20
	v_mul_f32_e32 v1, v1, v4
	v_bfe_u32 v4, v1, 16, 1
	v_add3_u32 v4, v4, v1, s30
	v_or_b32_e32 v11, 0x400000, v1
	v_cmp_u_f32_e32 vcc, v1, v1
	v_cndmask_b32_e32 v1, v4, v11, vcc
	v_lshlrev_b32_e32 v4, 16, v22
	v_mul_f32_e32 v4, v6, v4
	v_bfe_u32 v6, v4, 16, 1
	v_add3_u32 v6, v6, v4, s30
	v_or_b32_e32 v11, 0x400000, v4
	v_cmp_u_f32_e32 vcc, v4, v4
	v_cndmask_b32_e32 v4, v6, v11, vcc
	v_lshlrev_b32_e32 v6, 16, v16
	v_mul_f32_e32 v2, v2, v6
	v_bfe_u32 v6, v2, 16, 1
	v_add3_u32 v6, v6, v2, s30
	v_or_b32_e32 v11, 0x400000, v2
	v_cmp_u_f32_e32 vcc, v2, v2
	v_cndmask_b32_e32 v2, v6, v11, vcc
	v_lshlrev_b32_e32 v6, 16, v15
	v_mul_f32_e32 v6, v7, v6
	v_bfe_u32 v7, v6, 16, 1
	v_add3_u32 v7, v7, v6, s30
	v_or_b32_e32 v11, 0x400000, v6
	v_cmp_u_f32_e32 vcc, v6, v6
	v_cndmask_b32_e32 v6, v7, v11, vcc
	v_lshlrev_b32_e32 v7, 16, v9
	v_mul_f32_e32 v3, v3, v7
	v_bfe_u32 v7, v3, 16, 1
	v_add3_u32 v7, v7, v3, s30
	v_or_b32_e32 v9, 0x400000, v3
	v_cmp_u_f32_e32 vcc, v3, v3
	v_cndmask_b32_e32 v3, v7, v9, vcc
	v_lshlrev_b32_e32 v7, 16, v17
	v_mul_f32_e32 v7, v8, v7
	v_bfe_u32 v8, v7, 16, 1
	v_add3_u32 v8, v8, v7, s30
	v_or_b32_e32 v9, 0x400000, v7
	v_cmp_u_f32_e32 vcc, v7, v7
	v_cndmask_b32_e32 v7, v8, v9, vcc
	v_lshlrev_b32_e32 v8, 16, v63
	v_and_b32_e32 v1, 0xffff0000, v1
	v_and_b32_e32 v0, 0xffff0000, v0
	v_mul_f32_e32 v5, v5, v8
	v_add_f32_e32 v0, v0, v1
	v_and_b32_e32 v1, 0xffff0000, v2
	v_and_b32_e32 v2, 0xffff0000, v4
	v_bfe_u32 v8, v5, 16, 1
	v_add_f32_e32 v1, v2, v1
	v_add3_u32 v8, v8, v5, s30
	v_or_b32_e32 v9, 0x400000, v5
	v_cmp_u_f32_e32 vcc, v5, v5
	v_add_f32_e32 v0, v1, v0
	v_and_b32_e32 v1, 0xffff0000, v3
	v_and_b32_e32 v2, 0xffff0000, v6
	v_cndmask_b32_e32 v5, v8, v9, vcc
	v_add_f32_e32 v1, v2, v1
	v_add_f32_e32 v0, v1, v0
	v_and_b32_e32 v1, 0xffff0000, v5
	v_and_b32_e32 v2, 0xffff0000, v7
	v_add_f32_e32 v1, v2, v1
	v_add_f32_e32 v0, v1, v0
	s_waitcnt vmcnt(0)
	v_add_f32_e32 v12, v12, v0
.LBB300_423:                            ;   in Loop: Header=BB300_424 Depth=1
	s_or_b64 exec, exec, s[12:13]
	buffer_load_dword v0, off, s[56:59], 0  ; 4-byte Folded Reload
	buffer_load_dword v3, off, s[56:59], 0 offset:4 ; 4-byte Folded Reload
	v_add_co_u32_e32 v13, vcc, 8, v13
	v_addc_co_u32_e32 v14, vcc, 0, v14, vcc
	v_add_u32_e32 v35, 0x80, v35
	s_waitcnt vmcnt(1)
	v_add_u32_e32 v0, 2, v0
	v_cmp_le_i32_e32 vcc, s47, v0
	s_waitcnt vmcnt(0)
	v_add_u32_e32 v3, 32, v3
	s_or_b64 s[6:7], vcc, s[6:7]
	buffer_store_dword v0, off, s[56:59], 0 ; 4-byte Folded Spill
	s_andn2_b64 exec, exec, s[6:7]
	s_cbranch_execz .LBB300_825
.LBB300_424:                            ; =>This Inner Loop Header: Depth=1
	s_waitcnt vmcnt(7)
	v_mul_hi_u32 v0, v3, s46
	buffer_store_dword v3, off, s[56:59], 0 offset:4 ; 4-byte Folded Spill
	v_mul_lo_u32 v1, v0, s25
	v_add_u32_e32 v2, 1, v0
	v_sub_u32_e32 v1, v3, v1
	buffer_load_dword v3, off, s[56:59], 0 offset:188 ; 4-byte Folded Reload
	v_cmp_le_u32_e32 vcc, s25, v1
	v_cndmask_b32_e32 v0, v0, v2, vcc
	v_subrev_u32_e32 v2, s25, v1
	v_cndmask_b32_e32 v1, v1, v2, vcc
	v_add_u32_e32 v2, 1, v0
	v_cmp_le_u32_e32 vcc, s25, v1
	v_cndmask_b32_e32 v0, v0, v2, vcc
	v_xor_b32_e32 v0, s23, v0
	v_subrev_u32_e32 v0, s23, v0
	v_add_u32_e32 v1, s36, v0
	v_sub_u32_e32 v2, 0, v1
	v_max_i32_e32 v2, v1, v2
	v_ashrrev_i32_e32 v1, 31, v1
	v_cmp_lt_i32_e64 s[0:1], s37, v0
	s_waitcnt vmcnt(0)
	v_mul_hi_u32 v3, v2, v3
	v_mul_lo_u32 v3, v3, s22
	v_sub_u32_e32 v2, v2, v3
	v_subrev_u32_e32 v3, s22, v2
	v_cmp_le_u32_e32 vcc, s22, v2
	v_cndmask_b32_e32 v2, v2, v3, vcc
	v_subrev_u32_e32 v3, s22, v2
	v_cmp_le_u32_e32 vcc, s22, v2
	v_cndmask_b32_e32 v2, v2, v3, vcc
	v_xor_b32_e32 v2, v2, v1
	v_sub_u32_e32 v1, v2, v1
	v_cmp_eq_u32_e32 vcc, 0, v1
	s_or_b64 s[0:1], vcc, s[0:1]
	s_and_saveexec_b64 s[12:13], s[0:1]
	s_cbranch_execz .LBB300_423
; %bb.425:                              ;   in Loop: Header=BB300_424 Depth=1
	buffer_store_dword v18, off, s[56:59], 0 offset:196 ; 4-byte Folded Spill
	buffer_store_dword v12, off, s[56:59], 0 offset:192 ; 4-byte Folded Spill
	global_load_dword v0, v[13:14], off
	buffer_load_dword v1, off, s[56:59], 0 offset:204 ; 4-byte Folded Reload
	buffer_load_dword v2, off, s[56:59], 0 offset:208 ; 4-byte Folded Reload
	v_mov_b32_e32 v11, 0
	s_waitcnt vmcnt(0)
	v_mad_i64_i32 v[15:16], s[0:1], v0, s34, v[1:2]
	v_mov_b32_e32 v0, 0
	global_load_dwordx2 v[17:18], v[15:16], off
	ds_read2_b64 v[5:8], v35 offset1:1
	ds_read2_b64 v[1:4], v35 offset0:2 offset1:3
	s_load_dword s31, s[14:15], 0x0
	s_waitcnt vmcnt(0)
	v_cmp_ne_u16_sdwa s[16:17], v17, v10 src0_sel:BYTE_0 src1_sel:DWORD
	s_and_saveexec_b64 s[0:1], s[16:17]
	s_cbranch_execz .LBB300_431
; %bb.426:                              ;   in Loop: Header=BB300_424 Depth=1
	v_cmp_ne_u16_sdwa s[18:19], v17, s28 src0_sel:BYTE_0 src1_sel:DWORD
	v_bfrev_b32_e32 v0, 1
	s_and_saveexec_b64 s[16:17], s[18:19]
	s_cbranch_execz .LBB300_430
; %bb.427:                              ;   in Loop: Header=BB300_424 Depth=1
	v_and_b32_e32 v9, 0x7f, v17
	v_cmp_ne_u32_e32 vcc, s29, v9
	v_mov_b32_e32 v0, 0x7f800001
	s_and_saveexec_b64 s[18:19], vcc
	s_cbranch_execz .LBB300_429
; %bb.428:                              ;   in Loop: Header=BB300_424 Depth=1
	v_and_b32_e32 v0, 7, v17
	v_ffbh_u32_e32 v0, v0
	v_min_u32_e32 v0, 32, v0
	v_subrev_u32_e32 v19, 28, v0
	v_cmp_gt_u32_e32 vcc, 8, v9
	v_lshrrev_b32_e32 v12, 3, v9
	v_cndmask_b32_e32 v9, 0, v19, vcc
	v_lshlrev_b64 v[19:20], v9, v[17:18]
	v_sub_u32_e32 v0, 29, v0
	v_cndmask_b32_e32 v0, v12, v0, vcc
	v_lshlrev_b32_e32 v9, 20, v19
	v_lshlrev_b32_e32 v12, 24, v17
	v_bfrev_b32_e32 v19, 60
	v_and_b32_e32 v9, 0x700000, v9
	v_and_b32_e32 v12, 0x80000000, v12
	v_lshl_add_u32 v0, v0, 23, v19
	v_or3_b32 v0, v12, v0, v9
.LBB300_429:                            ;   in Loop: Header=BB300_424 Depth=1
	s_or_b64 exec, exec, s[18:19]
.LBB300_430:                            ;   in Loop: Header=BB300_424 Depth=1
	s_or_b64 exec, exec, s[16:17]
.LBB300_431:                            ;   in Loop: Header=BB300_424 Depth=1
	s_or_b64 exec, exec, s[0:1]
	v_lshrrev_b16_e32 v9, 8, v17
	v_cmp_ne_u16_e32 vcc, 0, v9
	s_and_saveexec_b64 s[0:1], vcc
	s_cbranch_execz .LBB300_437
; %bb.432:                              ;   in Loop: Header=BB300_424 Depth=1
	v_cmp_ne_u16_e32 vcc, s28, v9
	v_bfrev_b32_e32 v11, 1
	s_and_saveexec_b64 s[16:17], vcc
	s_cbranch_execz .LBB300_436
; %bb.433:                              ;   in Loop: Header=BB300_424 Depth=1
	v_and_b32_e32 v12, 0x7f, v9
	v_cmp_ne_u32_e32 vcc, s29, v12
	v_mov_b32_e32 v11, 0x7f800001
	s_and_saveexec_b64 s[18:19], vcc
	s_cbranch_execz .LBB300_435
; %bb.434:                              ;   in Loop: Header=BB300_424 Depth=1
	v_and_b32_e32 v11, 7, v9
	v_ffbh_u32_e32 v19, v11
	v_min_u32_e32 v22, 32, v19
	v_subrev_u32_e32 v19, 28, v22
	v_lshlrev_b64 v[19:20], v19, v[9:10]
	v_lshrrev_b32_e32 v21, 3, v12
	v_sub_u32_e32 v9, 29, v22
	v_and_b32_e32 v19, 7, v19
	v_cmp_gt_u32_e32 vcc, 8, v12
	v_cndmask_b32_e32 v9, v21, v9, vcc
	v_cndmask_b32_e32 v11, v11, v19, vcc
	v_lshlrev_b32_e32 v12, 16, v17
	v_bfrev_b32_e32 v19, 60
	v_lshlrev_b32_e32 v11, 20, v11
	v_and_b32_e32 v12, 0x80000000, v12
	v_lshl_add_u32 v9, v9, 23, v19
	v_or3_b32 v11, v12, v9, v11
.LBB300_435:                            ;   in Loop: Header=BB300_424 Depth=1
	s_or_b64 exec, exec, s[18:19]
.LBB300_436:                            ;   in Loop: Header=BB300_424 Depth=1
	s_or_b64 exec, exec, s[16:17]
.LBB300_437:                            ;   in Loop: Header=BB300_424 Depth=1
	s_or_b64 exec, exec, s[0:1]
	v_lshrrev_b32_e32 v9, 16, v17
	v_cmp_ne_u16_sdwa s[16:17], v9, v10 src0_sel:BYTE_0 src1_sel:DWORD
	v_mov_b32_e32 v20, 0
	v_mov_b32_e32 v12, 0
	s_and_saveexec_b64 s[0:1], s[16:17]
	s_cbranch_execz .LBB300_443
; %bb.438:                              ;   in Loop: Header=BB300_424 Depth=1
	v_cmp_ne_u16_sdwa s[18:19], v9, s28 src0_sel:BYTE_0 src1_sel:DWORD
	v_bfrev_b32_e32 v12, 1
	s_and_saveexec_b64 s[16:17], s[18:19]
	s_cbranch_execz .LBB300_442
; %bb.439:                              ;   in Loop: Header=BB300_424 Depth=1
	v_bfe_u32 v19, v17, 16, 7
	v_cmp_ne_u32_e32 vcc, s29, v19
	v_mov_b32_e32 v12, 0x7f800001
	s_and_saveexec_b64 s[18:19], vcc
	s_cbranch_execz .LBB300_441
; %bb.440:                              ;   in Loop: Header=BB300_424 Depth=1
	v_and_b32_e32 v12, 7, v9
	v_ffbh_u32_e32 v21, v12
	v_min_u32_e32 v24, 32, v21
	v_subrev_u32_e32 v21, 28, v24
	v_lshlrev_b64 v[21:22], v21, v[9:10]
	v_lshrrev_b32_e32 v23, 3, v19
	v_sub_u32_e32 v22, 29, v24
	v_and_b32_e32 v21, 7, v21
	v_cmp_gt_u32_e32 vcc, 8, v19
	v_cndmask_b32_e32 v19, v23, v22, vcc
	v_cndmask_b32_e32 v12, v12, v21, vcc
	v_lshlrev_b32_e32 v9, 24, v9
	v_bfrev_b32_e32 v21, 60
	v_lshlrev_b32_e32 v12, 20, v12
	v_and_b32_e32 v9, 0x80000000, v9
	v_lshl_add_u32 v19, v19, 23, v21
	v_or3_b32 v12, v9, v19, v12
.LBB300_441:                            ;   in Loop: Header=BB300_424 Depth=1
	s_or_b64 exec, exec, s[18:19]
.LBB300_442:                            ;   in Loop: Header=BB300_424 Depth=1
	s_or_b64 exec, exec, s[16:17]
.LBB300_443:                            ;   in Loop: Header=BB300_424 Depth=1
	s_or_b64 exec, exec, s[0:1]
	v_cmp_lt_u32_e32 vcc, s5, v17
	s_and_saveexec_b64 s[0:1], vcc
	s_cbranch_execz .LBB300_449
; %bb.444:                              ;   in Loop: Header=BB300_424 Depth=1
	v_lshrrev_b32_e32 v9, 24, v17
	v_cmp_ne_u32_e32 vcc, s28, v9
	v_bfrev_b32_e32 v20, 1
	s_and_saveexec_b64 s[16:17], vcc
	s_cbranch_execz .LBB300_448
; %bb.445:                              ;   in Loop: Header=BB300_424 Depth=1
	v_bfe_u32 v19, v17, 24, 7
	v_cmp_ne_u32_e32 vcc, s29, v19
	v_mov_b32_e32 v20, 0x7f800001
	s_and_saveexec_b64 s[18:19], vcc
	s_cbranch_execz .LBB300_447
; %bb.446:                              ;   in Loop: Header=BB300_424 Depth=1
	v_and_b32_e32 v22, 7, v9
	v_ffbh_u32_e32 v20, v22
	v_min_u32_e32 v24, 32, v20
	v_subrev_u32_e32 v20, 28, v24
	v_lshlrev_b64 v[20:21], v20, v[9:10]
	v_lshrrev_b32_e32 v23, 3, v19
	v_sub_u32_e32 v21, 29, v24
	v_and_b32_e32 v20, 7, v20
	v_cmp_gt_u32_e32 vcc, 8, v19
	v_cndmask_b32_e32 v19, v23, v21, vcc
	v_cndmask_b32_e32 v20, v22, v20, vcc
	v_lshlrev_b32_e32 v9, 24, v9
	v_bfrev_b32_e32 v21, 60
	v_lshlrev_b32_e32 v20, 20, v20
	v_and_b32_e32 v9, 0x80000000, v9
	v_lshl_add_u32 v19, v19, 23, v21
	v_or3_b32 v20, v9, v19, v20
.LBB300_447:                            ;   in Loop: Header=BB300_424 Depth=1
	s_or_b64 exec, exec, s[18:19]
.LBB300_448:                            ;   in Loop: Header=BB300_424 Depth=1
	s_or_b64 exec, exec, s[16:17]
.LBB300_449:                            ;   in Loop: Header=BB300_424 Depth=1
	s_or_b64 exec, exec, s[0:1]
	v_mov_b32_e32 v9, v18
	v_cmp_ne_u16_sdwa s[16:17], v18, v10 src0_sel:BYTE_0 src1_sel:DWORD
	v_mov_b32_e32 v22, 0
	v_mov_b32_e32 v21, 0
	s_and_saveexec_b64 s[0:1], s[16:17]
	s_cbranch_execz .LBB300_455
; %bb.450:                              ;   in Loop: Header=BB300_424 Depth=1
	v_cmp_ne_u16_sdwa s[18:19], v18, s28 src0_sel:BYTE_0 src1_sel:DWORD
	v_bfrev_b32_e32 v21, 1
	s_and_saveexec_b64 s[16:17], s[18:19]
	s_cbranch_execz .LBB300_454
; %bb.451:                              ;   in Loop: Header=BB300_424 Depth=1
	v_and_b32_e32 v19, 0x7f, v18
	v_cmp_ne_u32_e32 vcc, s29, v19
	v_mov_b32_e32 v21, 0x7f800001
	s_and_saveexec_b64 s[18:19], vcc
	s_cbranch_execz .LBB300_453
; %bb.452:                              ;   in Loop: Header=BB300_424 Depth=1
	v_and_b32_e32 v21, 7, v18
	v_ffbh_u32_e32 v21, v21
	v_min_u32_e32 v21, 32, v21
	v_lshrrev_b32_e32 v23, 3, v19
	v_subrev_u32_e32 v24, 28, v21
	v_sub_u32_e32 v21, 29, v21
	v_cmp_gt_u32_e32 vcc, 8, v19
	v_cndmask_b32_e32 v19, v23, v21, vcc
	v_cndmask_b32_e32 v21, 0, v24, vcc
	v_lshlrev_b64 v[23:24], v21, v[9:10]
	v_bfrev_b32_e32 v24, 60
	v_lshlrev_b32_e32 v21, 20, v23
	v_lshlrev_b32_e32 v23, 24, v9
	v_and_b32_e32 v21, 0x700000, v21
	v_and_b32_e32 v23, 0x80000000, v23
	v_lshl_add_u32 v19, v19, 23, v24
	v_or3_b32 v21, v23, v19, v21
.LBB300_453:                            ;   in Loop: Header=BB300_424 Depth=1
	s_or_b64 exec, exec, s[18:19]
.LBB300_454:                            ;   in Loop: Header=BB300_424 Depth=1
	s_or_b64 exec, exec, s[16:17]
.LBB300_455:                            ;   in Loop: Header=BB300_424 Depth=1
	s_or_b64 exec, exec, s[0:1]
	v_lshrrev_b16_e32 v19, 8, v9
	v_cmp_ne_u16_e32 vcc, 0, v19
	s_and_saveexec_b64 s[0:1], vcc
	s_cbranch_execz .LBB300_461
; %bb.456:                              ;   in Loop: Header=BB300_424 Depth=1
	v_cmp_ne_u16_e32 vcc, s28, v19
	v_bfrev_b32_e32 v22, 1
	s_and_saveexec_b64 s[16:17], vcc
	s_cbranch_execz .LBB300_460
; %bb.457:                              ;   in Loop: Header=BB300_424 Depth=1
	v_and_b32_e32 v23, 0x7f, v19
	v_cmp_ne_u32_e32 vcc, s29, v23
	v_mov_b32_e32 v22, 0x7f800001
	s_and_saveexec_b64 s[18:19], vcc
	s_cbranch_execz .LBB300_459
; %bb.458:                              ;   in Loop: Header=BB300_424 Depth=1
	v_and_b32_e32 v22, 7, v19
	v_ffbh_u32_e32 v24, v22
	v_min_u32_e32 v27, 32, v24
	v_subrev_u32_e32 v24, 28, v27
	v_lshlrev_b64 v[24:25], v24, v[19:20]
	v_lshrrev_b32_e32 v26, 3, v23
	v_sub_u32_e32 v19, 29, v27
	v_and_b32_e32 v24, 7, v24
	v_cmp_gt_u32_e32 vcc, 8, v23
	v_cndmask_b32_e32 v19, v26, v19, vcc
	v_cndmask_b32_e32 v22, v22, v24, vcc
	v_lshlrev_b32_e32 v9, 16, v9
	v_bfrev_b32_e32 v23, 60
	v_lshlrev_b32_e32 v22, 20, v22
	v_and_b32_e32 v9, 0x80000000, v9
	v_lshl_add_u32 v19, v19, 23, v23
	v_or3_b32 v22, v9, v19, v22
.LBB300_459:                            ;   in Loop: Header=BB300_424 Depth=1
	s_or_b64 exec, exec, s[18:19]
.LBB300_460:                            ;   in Loop: Header=BB300_424 Depth=1
	s_or_b64 exec, exec, s[16:17]
.LBB300_461:                            ;   in Loop: Header=BB300_424 Depth=1
	s_or_b64 exec, exec, s[0:1]
	v_lshrrev_b32_e32 v9, 16, v18
	v_cmp_ne_u16_sdwa s[16:17], v9, v10 src0_sel:BYTE_0 src1_sel:DWORD
	v_mov_b32_e32 v19, 0
	v_mov_b32_e32 v23, 0
	s_and_saveexec_b64 s[0:1], s[16:17]
	s_cbranch_execz .LBB300_467
; %bb.462:                              ;   in Loop: Header=BB300_424 Depth=1
	v_cmp_ne_u16_sdwa s[18:19], v9, s28 src0_sel:BYTE_0 src1_sel:DWORD
	v_bfrev_b32_e32 v23, 1
	s_and_saveexec_b64 s[16:17], s[18:19]
	s_cbranch_execz .LBB300_466
; %bb.463:                              ;   in Loop: Header=BB300_424 Depth=1
	v_bfe_u32 v24, v18, 16, 7
	v_cmp_ne_u32_e32 vcc, s29, v24
	v_mov_b32_e32 v23, 0x7f800001
	s_and_saveexec_b64 s[18:19], vcc
	s_cbranch_execz .LBB300_465
; %bb.464:                              ;   in Loop: Header=BB300_424 Depth=1
	v_and_b32_e32 v23, 7, v9
	v_ffbh_u32_e32 v25, v23
	v_min_u32_e32 v28, 32, v25
	v_subrev_u32_e32 v25, 28, v28
	v_lshlrev_b64 v[25:26], v25, v[9:10]
	v_lshrrev_b32_e32 v27, 3, v24
	v_sub_u32_e32 v26, 29, v28
	v_and_b32_e32 v25, 7, v25
	v_cmp_gt_u32_e32 vcc, 8, v24
	v_cndmask_b32_e32 v24, v27, v26, vcc
	v_cndmask_b32_e32 v23, v23, v25, vcc
	v_lshlrev_b32_e32 v9, 24, v9
	v_bfrev_b32_e32 v25, 60
	v_lshlrev_b32_e32 v23, 20, v23
	v_and_b32_e32 v9, 0x80000000, v9
	v_lshl_add_u32 v24, v24, 23, v25
	v_or3_b32 v23, v9, v24, v23
.LBB300_465:                            ;   in Loop: Header=BB300_424 Depth=1
	s_or_b64 exec, exec, s[18:19]
.LBB300_466:                            ;   in Loop: Header=BB300_424 Depth=1
	s_or_b64 exec, exec, s[16:17]
.LBB300_467:                            ;   in Loop: Header=BB300_424 Depth=1
	s_or_b64 exec, exec, s[0:1]
	v_cmp_lt_u64_e32 vcc, s[4:5], v[17:18]
	s_and_saveexec_b64 s[0:1], vcc
	s_cbranch_execz .LBB300_473
; %bb.468:                              ;   in Loop: Header=BB300_424 Depth=1
	v_lshrrev_b32_e32 v9, 24, v18
	v_cmp_ne_u32_e32 vcc, s28, v9
	v_bfrev_b32_e32 v19, 1
	s_and_saveexec_b64 s[16:17], vcc
	s_cbranch_execz .LBB300_472
; %bb.469:                              ;   in Loop: Header=BB300_424 Depth=1
	v_bfe_u32 v17, v18, 24, 7
	v_cmp_ne_u32_e32 vcc, s29, v17
	v_mov_b32_e32 v19, 0x7f800001
	s_and_saveexec_b64 s[18:19], vcc
	s_cbranch_execz .LBB300_471
; %bb.470:                              ;   in Loop: Header=BB300_424 Depth=1
	v_and_b32_e32 v24, 7, v9
	v_ffbh_u32_e32 v18, v24
	v_min_u32_e32 v26, 32, v18
	v_subrev_u32_e32 v18, 28, v26
	v_lshlrev_b64 v[18:19], v18, v[9:10]
	v_lshrrev_b32_e32 v25, 3, v17
	v_sub_u32_e32 v19, 29, v26
	v_and_b32_e32 v18, 7, v18
	v_cmp_gt_u32_e32 vcc, 8, v17
	v_cndmask_b32_e32 v17, v25, v19, vcc
	v_cndmask_b32_e32 v18, v24, v18, vcc
	v_lshlrev_b32_e32 v9, 24, v9
	v_bfrev_b32_e32 v19, 60
	v_lshlrev_b32_e32 v18, 20, v18
	v_and_b32_e32 v9, 0x80000000, v9
	v_lshl_add_u32 v17, v17, 23, v19
	v_or3_b32 v19, v9, v17, v18
.LBB300_471:                            ;   in Loop: Header=BB300_424 Depth=1
	s_or_b64 exec, exec, s[18:19]
.LBB300_472:                            ;   in Loop: Header=BB300_424 Depth=1
	s_or_b64 exec, exec, s[16:17]
.LBB300_473:                            ;   in Loop: Header=BB300_424 Depth=1
	s_or_b64 exec, exec, s[0:1]
	buffer_load_dword v9, off, s[56:59], 0 offset:4 ; 4-byte Folded Reload
	buffer_load_dword v17, off, s[56:59], 0 offset:200 ; 4-byte Folded Reload
	s_waitcnt lgkmcnt(0)
	v_mul_f32_e32 v0, s31, v0
	s_waitcnt vmcnt(0)
	v_add_u32_e32 v51, v17, v9
	buffer_load_dword v9, off, s[56:59], 0  ; 4-byte Folded Reload
	v_add_u32_e32 v60, 1, v51
	v_add_u32_e32 v59, 2, v51
	;; [unrolled: 1-line block ×7, first 2 shown]
	s_waitcnt vmcnt(0)
	v_cmp_eq_u32_e32 vcc, s35, v9
	v_mul_f32_e32 v9, s31, v22
	v_bfe_u32 v17, v9, 16, 1
	v_add3_u32 v17, v17, v9, s30
	v_or_b32_e32 v18, 0x400000, v9
	v_cmp_u_f32_e64 s[0:1], v9, v9
	v_cndmask_b32_e64 v9, v17, v18, s[0:1]
	v_lshrrev_b32_e32 v32, 16, v9
	v_mul_f32_e32 v9, s31, v21
	v_bfe_u32 v17, v9, 16, 1
	v_add3_u32 v17, v17, v9, s30
	v_or_b32_e32 v18, 0x400000, v9
	v_cmp_u_f32_e64 s[0:1], v9, v9
	v_cndmask_b32_e64 v9, v17, v18, s[0:1]
	v_lshrrev_b32_e32 v9, 16, v9
	buffer_store_dword v9, off, s[56:59], 0 offset:8 ; 4-byte Folded Spill
	v_mul_f32_e32 v9, s31, v20
	v_bfe_u32 v17, v9, 16, 1
	v_add3_u32 v17, v17, v9, s30
	v_or_b32_e32 v18, 0x400000, v9
	v_cmp_u_f32_e64 s[0:1], v9, v9
	v_cndmask_b32_e64 v9, v17, v18, s[0:1]
	v_lshrrev_b32_e32 v9, 16, v9
	buffer_store_dword v9, off, s[56:59], 0 offset:16 ; 4-byte Folded Spill
	;; [unrolled: 8-line block ×4, first 2 shown]
	v_bfe_u32 v9, v0, 16, 1
	v_add3_u32 v9, v9, v0, s30
	v_or_b32_e32 v11, 0x400000, v0
	v_cmp_u_f32_e64 s[0:1], v0, v0
	v_cndmask_b32_e64 v0, v9, v11, s[0:1]
	v_lshrrev_b32_e32 v0, 16, v0
	buffer_store_dword v0, off, s[56:59], 0 offset:32 ; 4-byte Folded Spill
	v_mul_f32_e32 v0, s31, v23
	v_bfe_u32 v9, v0, 16, 1
	v_add3_u32 v9, v9, v0, s30
	v_or_b32_e32 v11, 0x400000, v0
	v_cmp_u_f32_e64 s[0:1], v0, v0
	v_cndmask_b32_e64 v0, v9, v11, s[0:1]
	v_lshrrev_b32_e32 v0, 16, v0
	buffer_store_dword v0, off, s[56:59], 0 offset:12 ; 4-byte Folded Spill
	v_mul_f32_e32 v0, s31, v19
	v_bfe_u32 v9, v0, 16, 1
	v_add3_u32 v9, v9, v0, s30
	v_or_b32_e32 v11, 0x400000, v0
	v_cmp_u_f32_e64 s[0:1], v0, v0
	v_cndmask_b32_e64 v0, v9, v11, s[0:1]
	v_lshrrev_b32_e32 v0, 16, v0
	buffer_store_dword v0, off, s[56:59], 0 offset:24 ; 4-byte Folded Spill
	s_and_saveexec_b64 s[16:17], vcc
	s_cbranch_execz .LBB300_475
; %bb.474:                              ;   in Loop: Header=BB300_424 Depth=1
	buffer_load_dword v0, off, s[56:59], 0 offset:32 ; 4-byte Folded Reload
	v_cmp_gt_i32_e64 s[0:1], s33, v51
	s_waitcnt vmcnt(0)
	v_cndmask_b32_e64 v0, 0, v0, s[0:1]
	buffer_store_dword v0, off, s[56:59], 0 offset:32 ; 4-byte Folded Spill
	buffer_load_dword v0, off, s[56:59], 0 offset:28 ; 4-byte Folded Reload
	v_cmp_gt_i32_e64 s[0:1], s33, v60
	s_waitcnt vmcnt(0)
	v_cndmask_b32_e64 v0, 0, v0, s[0:1]
	buffer_store_dword v0, off, s[56:59], 0 offset:28 ; 4-byte Folded Spill
	buffer_load_dword v0, off, s[56:59], 0 offset:20 ; 4-byte Folded Reload
	v_cmp_gt_i32_e64 s[0:1], s33, v59
	s_waitcnt vmcnt(0)
	v_cndmask_b32_e64 v0, 0, v0, s[0:1]
	buffer_store_dword v0, off, s[56:59], 0 offset:20 ; 4-byte Folded Spill
	buffer_load_dword v0, off, s[56:59], 0 offset:16 ; 4-byte Folded Reload
	v_cmp_gt_i32_e64 s[0:1], s33, v58
	s_waitcnt vmcnt(0)
	v_cndmask_b32_e64 v0, 0, v0, s[0:1]
	buffer_store_dword v0, off, s[56:59], 0 offset:16 ; 4-byte Folded Spill
	buffer_load_dword v0, off, s[56:59], 0 offset:8 ; 4-byte Folded Reload
	v_cmp_gt_i32_e64 s[0:1], s33, v57
	s_waitcnt vmcnt(0)
	v_cndmask_b32_e64 v0, 0, v0, s[0:1]
	buffer_store_dword v0, off, s[56:59], 0 offset:8 ; 4-byte Folded Spill
	buffer_load_dword v0, off, s[56:59], 0 offset:12 ; 4-byte Folded Reload
	v_cmp_gt_i32_e64 s[0:1], s33, v56
	v_cndmask_b32_e64 v32, 0, v32, s[0:1]
	v_cmp_gt_i32_e64 s[0:1], s33, v55
	s_waitcnt vmcnt(0)
	v_cndmask_b32_e64 v0, 0, v0, s[0:1]
	buffer_store_dword v0, off, s[56:59], 0 offset:12 ; 4-byte Folded Spill
	buffer_load_dword v0, off, s[56:59], 0 offset:24 ; 4-byte Folded Reload
	v_cmp_gt_i32_e64 s[0:1], s33, v54
	s_waitcnt vmcnt(0)
	v_cndmask_b32_e64 v0, 0, v0, s[0:1]
	buffer_store_dword v0, off, s[56:59], 0 offset:24 ; 4-byte Folded Spill
.LBB300_475:                            ;   in Loop: Header=BB300_424 Depth=1
	s_or_b64 exec, exec, s[16:17]
	global_load_dwordx2 v[17:18], v[15:16], off offset:512
	v_mov_b32_e32 v11, 0
	v_mov_b32_e32 v0, 0
	s_waitcnt vmcnt(0)
	v_cmp_ne_u16_sdwa s[0:1], v17, v10 src0_sel:BYTE_0 src1_sel:DWORD
	s_and_saveexec_b64 s[16:17], s[0:1]
	s_cbranch_execz .LBB300_481
; %bb.476:                              ;   in Loop: Header=BB300_424 Depth=1
	v_cmp_ne_u16_sdwa s[0:1], v17, s28 src0_sel:BYTE_0 src1_sel:DWORD
	v_bfrev_b32_e32 v0, 1
	s_and_saveexec_b64 s[18:19], s[0:1]
	s_cbranch_execz .LBB300_480
; %bb.477:                              ;   in Loop: Header=BB300_424 Depth=1
	v_and_b32_e32 v9, 0x7f, v17
	v_cmp_ne_u32_e64 s[0:1], s29, v9
	v_mov_b32_e32 v0, 0x7f800001
	s_and_saveexec_b64 s[20:21], s[0:1]
	s_cbranch_execz .LBB300_479
; %bb.478:                              ;   in Loop: Header=BB300_424 Depth=1
	v_and_b32_e32 v0, 7, v17
	v_ffbh_u32_e32 v0, v0
	v_min_u32_e32 v0, 32, v0
	v_subrev_u32_e32 v19, 28, v0
	v_cmp_gt_u32_e64 s[0:1], 8, v9
	v_lshrrev_b32_e32 v12, 3, v9
	v_cndmask_b32_e64 v9, 0, v19, s[0:1]
	v_lshlrev_b64 v[19:20], v9, v[17:18]
	v_sub_u32_e32 v0, 29, v0
	v_cndmask_b32_e64 v0, v12, v0, s[0:1]
	v_lshlrev_b32_e32 v9, 20, v19
	v_lshlrev_b32_e32 v12, 24, v17
	v_bfrev_b32_e32 v19, 60
	v_and_b32_e32 v9, 0x700000, v9
	v_and_b32_e32 v12, 0x80000000, v12
	v_lshl_add_u32 v0, v0, 23, v19
	v_or3_b32 v0, v12, v0, v9
.LBB300_479:                            ;   in Loop: Header=BB300_424 Depth=1
	s_or_b64 exec, exec, s[20:21]
.LBB300_480:                            ;   in Loop: Header=BB300_424 Depth=1
	s_or_b64 exec, exec, s[18:19]
.LBB300_481:                            ;   in Loop: Header=BB300_424 Depth=1
	s_or_b64 exec, exec, s[16:17]
	v_lshrrev_b16_e32 v9, 8, v17
	v_cmp_ne_u16_e64 s[0:1], 0, v9
	s_and_saveexec_b64 s[16:17], s[0:1]
	s_cbranch_execz .LBB300_487
; %bb.482:                              ;   in Loop: Header=BB300_424 Depth=1
	v_cmp_ne_u16_e64 s[0:1], s28, v9
	v_bfrev_b32_e32 v11, 1
	s_and_saveexec_b64 s[18:19], s[0:1]
	s_cbranch_execz .LBB300_486
; %bb.483:                              ;   in Loop: Header=BB300_424 Depth=1
	v_and_b32_e32 v12, 0x7f, v9
	v_cmp_ne_u32_e64 s[0:1], s29, v12
	v_mov_b32_e32 v11, 0x7f800001
	s_and_saveexec_b64 s[20:21], s[0:1]
	s_cbranch_execz .LBB300_485
; %bb.484:                              ;   in Loop: Header=BB300_424 Depth=1
	v_and_b32_e32 v11, 7, v9
	v_ffbh_u32_e32 v19, v11
	v_min_u32_e32 v22, 32, v19
	v_subrev_u32_e32 v19, 28, v22
	v_lshlrev_b64 v[19:20], v19, v[9:10]
	v_lshrrev_b32_e32 v21, 3, v12
	v_sub_u32_e32 v9, 29, v22
	v_and_b32_e32 v19, 7, v19
	v_cmp_gt_u32_e64 s[0:1], 8, v12
	v_cndmask_b32_e64 v9, v21, v9, s[0:1]
	v_cndmask_b32_e64 v11, v11, v19, s[0:1]
	v_lshlrev_b32_e32 v12, 16, v17
	v_bfrev_b32_e32 v19, 60
	v_lshlrev_b32_e32 v11, 20, v11
	v_and_b32_e32 v12, 0x80000000, v12
	v_lshl_add_u32 v9, v9, 23, v19
	v_or3_b32 v11, v12, v9, v11
.LBB300_485:                            ;   in Loop: Header=BB300_424 Depth=1
	s_or_b64 exec, exec, s[20:21]
.LBB300_486:                            ;   in Loop: Header=BB300_424 Depth=1
	s_or_b64 exec, exec, s[18:19]
.LBB300_487:                            ;   in Loop: Header=BB300_424 Depth=1
	s_or_b64 exec, exec, s[16:17]
	v_lshrrev_b32_e32 v9, 16, v17
	v_cmp_ne_u16_sdwa s[0:1], v9, v10 src0_sel:BYTE_0 src1_sel:DWORD
	v_mov_b32_e32 v20, 0
	v_mov_b32_e32 v12, 0
	s_and_saveexec_b64 s[16:17], s[0:1]
	s_cbranch_execz .LBB300_493
; %bb.488:                              ;   in Loop: Header=BB300_424 Depth=1
	v_cmp_ne_u16_sdwa s[0:1], v9, s28 src0_sel:BYTE_0 src1_sel:DWORD
	v_bfrev_b32_e32 v12, 1
	s_and_saveexec_b64 s[18:19], s[0:1]
	s_cbranch_execz .LBB300_492
; %bb.489:                              ;   in Loop: Header=BB300_424 Depth=1
	v_bfe_u32 v19, v17, 16, 7
	v_cmp_ne_u32_e64 s[0:1], s29, v19
	v_mov_b32_e32 v12, 0x7f800001
	s_and_saveexec_b64 s[20:21], s[0:1]
	s_cbranch_execz .LBB300_491
; %bb.490:                              ;   in Loop: Header=BB300_424 Depth=1
	v_and_b32_e32 v12, 7, v9
	v_ffbh_u32_e32 v21, v12
	v_min_u32_e32 v24, 32, v21
	v_subrev_u32_e32 v21, 28, v24
	v_lshlrev_b64 v[21:22], v21, v[9:10]
	v_lshrrev_b32_e32 v23, 3, v19
	v_sub_u32_e32 v22, 29, v24
	v_and_b32_e32 v21, 7, v21
	v_cmp_gt_u32_e64 s[0:1], 8, v19
	v_cndmask_b32_e64 v19, v23, v22, s[0:1]
	v_cndmask_b32_e64 v12, v12, v21, s[0:1]
	v_lshlrev_b32_e32 v9, 24, v9
	v_bfrev_b32_e32 v21, 60
	v_lshlrev_b32_e32 v12, 20, v12
	v_and_b32_e32 v9, 0x80000000, v9
	v_lshl_add_u32 v19, v19, 23, v21
	v_or3_b32 v12, v9, v19, v12
.LBB300_491:                            ;   in Loop: Header=BB300_424 Depth=1
	s_or_b64 exec, exec, s[20:21]
.LBB300_492:                            ;   in Loop: Header=BB300_424 Depth=1
	s_or_b64 exec, exec, s[18:19]
.LBB300_493:                            ;   in Loop: Header=BB300_424 Depth=1
	s_or_b64 exec, exec, s[16:17]
	v_cmp_lt_u32_e64 s[0:1], s5, v17
	s_and_saveexec_b64 s[16:17], s[0:1]
	s_cbranch_execz .LBB300_499
; %bb.494:                              ;   in Loop: Header=BB300_424 Depth=1
	v_lshrrev_b32_e32 v9, 24, v17
	v_cmp_ne_u32_e64 s[0:1], s28, v9
	v_bfrev_b32_e32 v20, 1
	s_and_saveexec_b64 s[18:19], s[0:1]
	s_cbranch_execz .LBB300_498
; %bb.495:                              ;   in Loop: Header=BB300_424 Depth=1
	v_bfe_u32 v19, v17, 24, 7
	v_cmp_ne_u32_e64 s[0:1], s29, v19
	v_mov_b32_e32 v20, 0x7f800001
	s_and_saveexec_b64 s[20:21], s[0:1]
	s_cbranch_execz .LBB300_497
; %bb.496:                              ;   in Loop: Header=BB300_424 Depth=1
	v_and_b32_e32 v22, 7, v9
	v_ffbh_u32_e32 v20, v22
	v_min_u32_e32 v24, 32, v20
	v_subrev_u32_e32 v20, 28, v24
	v_lshlrev_b64 v[20:21], v20, v[9:10]
	v_lshrrev_b32_e32 v23, 3, v19
	v_sub_u32_e32 v21, 29, v24
	v_and_b32_e32 v20, 7, v20
	v_cmp_gt_u32_e64 s[0:1], 8, v19
	v_cndmask_b32_e64 v19, v23, v21, s[0:1]
	v_cndmask_b32_e64 v20, v22, v20, s[0:1]
	v_lshlrev_b32_e32 v9, 24, v9
	v_bfrev_b32_e32 v21, 60
	v_lshlrev_b32_e32 v20, 20, v20
	v_and_b32_e32 v9, 0x80000000, v9
	v_lshl_add_u32 v19, v19, 23, v21
	v_or3_b32 v20, v9, v19, v20
.LBB300_497:                            ;   in Loop: Header=BB300_424 Depth=1
	s_or_b64 exec, exec, s[20:21]
.LBB300_498:                            ;   in Loop: Header=BB300_424 Depth=1
	s_or_b64 exec, exec, s[18:19]
.LBB300_499:                            ;   in Loop: Header=BB300_424 Depth=1
	s_or_b64 exec, exec, s[16:17]
	v_mov_b32_e32 v9, v18
	v_cmp_ne_u16_sdwa s[0:1], v18, v10 src0_sel:BYTE_0 src1_sel:DWORD
	v_mov_b32_e32 v22, 0
	v_mov_b32_e32 v21, 0
	s_and_saveexec_b64 s[16:17], s[0:1]
	s_cbranch_execz .LBB300_505
; %bb.500:                              ;   in Loop: Header=BB300_424 Depth=1
	v_cmp_ne_u16_sdwa s[0:1], v18, s28 src0_sel:BYTE_0 src1_sel:DWORD
	v_bfrev_b32_e32 v21, 1
	s_and_saveexec_b64 s[18:19], s[0:1]
	s_cbranch_execz .LBB300_504
; %bb.501:                              ;   in Loop: Header=BB300_424 Depth=1
	v_and_b32_e32 v19, 0x7f, v18
	v_cmp_ne_u32_e64 s[0:1], s29, v19
	v_mov_b32_e32 v21, 0x7f800001
	s_and_saveexec_b64 s[20:21], s[0:1]
	s_cbranch_execz .LBB300_503
; %bb.502:                              ;   in Loop: Header=BB300_424 Depth=1
	v_and_b32_e32 v21, 7, v18
	v_ffbh_u32_e32 v21, v21
	v_min_u32_e32 v21, 32, v21
	v_lshrrev_b32_e32 v23, 3, v19
	v_subrev_u32_e32 v24, 28, v21
	v_sub_u32_e32 v21, 29, v21
	v_cmp_gt_u32_e64 s[0:1], 8, v19
	v_cndmask_b32_e64 v19, v23, v21, s[0:1]
	v_cndmask_b32_e64 v21, 0, v24, s[0:1]
	v_lshlrev_b64 v[23:24], v21, v[9:10]
	v_bfrev_b32_e32 v24, 60
	v_lshlrev_b32_e32 v21, 20, v23
	v_lshlrev_b32_e32 v23, 24, v9
	v_and_b32_e32 v21, 0x700000, v21
	v_and_b32_e32 v23, 0x80000000, v23
	v_lshl_add_u32 v19, v19, 23, v24
	v_or3_b32 v21, v23, v19, v21
.LBB300_503:                            ;   in Loop: Header=BB300_424 Depth=1
	s_or_b64 exec, exec, s[20:21]
.LBB300_504:                            ;   in Loop: Header=BB300_424 Depth=1
	s_or_b64 exec, exec, s[18:19]
.LBB300_505:                            ;   in Loop: Header=BB300_424 Depth=1
	s_or_b64 exec, exec, s[16:17]
	v_lshrrev_b16_e32 v19, 8, v9
	v_cmp_ne_u16_e64 s[0:1], 0, v19
	s_and_saveexec_b64 s[16:17], s[0:1]
	s_cbranch_execz .LBB300_511
; %bb.506:                              ;   in Loop: Header=BB300_424 Depth=1
	v_cmp_ne_u16_e64 s[0:1], s28, v19
	v_bfrev_b32_e32 v22, 1
	s_and_saveexec_b64 s[18:19], s[0:1]
	s_cbranch_execz .LBB300_510
; %bb.507:                              ;   in Loop: Header=BB300_424 Depth=1
	v_and_b32_e32 v23, 0x7f, v19
	v_cmp_ne_u32_e64 s[0:1], s29, v23
	v_mov_b32_e32 v22, 0x7f800001
	s_and_saveexec_b64 s[20:21], s[0:1]
	s_cbranch_execz .LBB300_509
; %bb.508:                              ;   in Loop: Header=BB300_424 Depth=1
	v_and_b32_e32 v24, 7, v19
	v_ffbh_u32_e32 v22, v24
	v_min_u32_e32 v26, 32, v22
	v_subrev_u32_e32 v22, 28, v26
	v_lshrrev_b32_e32 v25, 3, v23
	v_cmp_gt_u32_e64 s[0:1], 8, v23
	v_lshlrev_b64 v[22:23], v22, v[19:20]
	v_sub_u32_e32 v19, 29, v26
	v_and_b32_e32 v22, 7, v22
	v_cndmask_b32_e64 v19, v25, v19, s[0:1]
	v_cndmask_b32_e64 v22, v24, v22, s[0:1]
	v_lshlrev_b32_e32 v9, 16, v9
	v_bfrev_b32_e32 v23, 60
	v_lshlrev_b32_e32 v22, 20, v22
	v_and_b32_e32 v9, 0x80000000, v9
	v_lshl_add_u32 v19, v19, 23, v23
	v_or3_b32 v22, v9, v19, v22
.LBB300_509:                            ;   in Loop: Header=BB300_424 Depth=1
	s_or_b64 exec, exec, s[20:21]
.LBB300_510:                            ;   in Loop: Header=BB300_424 Depth=1
	s_or_b64 exec, exec, s[18:19]
.LBB300_511:                            ;   in Loop: Header=BB300_424 Depth=1
	s_or_b64 exec, exec, s[16:17]
	v_lshrrev_b32_e32 v9, 16, v18
	v_cmp_ne_u16_sdwa s[0:1], v9, v10 src0_sel:BYTE_0 src1_sel:DWORD
	v_mov_b32_e32 v19, 0
	v_mov_b32_e32 v23, 0
	s_and_saveexec_b64 s[16:17], s[0:1]
	s_cbranch_execz .LBB300_517
; %bb.512:                              ;   in Loop: Header=BB300_424 Depth=1
	v_cmp_ne_u16_sdwa s[0:1], v9, s28 src0_sel:BYTE_0 src1_sel:DWORD
	v_bfrev_b32_e32 v23, 1
	s_and_saveexec_b64 s[18:19], s[0:1]
	s_cbranch_execz .LBB300_516
; %bb.513:                              ;   in Loop: Header=BB300_424 Depth=1
	v_bfe_u32 v24, v18, 16, 7
	v_cmp_ne_u32_e64 s[0:1], s29, v24
	v_mov_b32_e32 v23, 0x7f800001
	s_and_saveexec_b64 s[20:21], s[0:1]
	s_cbranch_execz .LBB300_515
; %bb.514:                              ;   in Loop: Header=BB300_424 Depth=1
	v_and_b32_e32 v25, 7, v9
	v_ffbh_u32_e32 v23, v25
	v_min_u32_e32 v27, 32, v23
	v_subrev_u32_e32 v23, 28, v27
	v_lshrrev_b32_e32 v26, 3, v24
	v_cmp_gt_u32_e64 s[0:1], 8, v24
	v_lshlrev_b64 v[23:24], v23, v[9:10]
	v_sub_u32_e32 v24, 29, v27
	v_and_b32_e32 v23, 7, v23
	v_cndmask_b32_e64 v24, v26, v24, s[0:1]
	v_cndmask_b32_e64 v23, v25, v23, s[0:1]
	v_lshlrev_b32_e32 v9, 24, v9
	v_bfrev_b32_e32 v25, 60
	v_lshlrev_b32_e32 v23, 20, v23
	v_and_b32_e32 v9, 0x80000000, v9
	v_lshl_add_u32 v24, v24, 23, v25
	v_or3_b32 v23, v9, v24, v23
.LBB300_515:                            ;   in Loop: Header=BB300_424 Depth=1
	s_or_b64 exec, exec, s[20:21]
.LBB300_516:                            ;   in Loop: Header=BB300_424 Depth=1
	s_or_b64 exec, exec, s[18:19]
.LBB300_517:                            ;   in Loop: Header=BB300_424 Depth=1
	s_or_b64 exec, exec, s[16:17]
	v_cmp_lt_u64_e64 s[0:1], s[4:5], v[17:18]
	s_and_saveexec_b64 s[16:17], s[0:1]
	s_cbranch_execz .LBB300_523
; %bb.518:                              ;   in Loop: Header=BB300_424 Depth=1
	v_lshrrev_b32_e32 v9, 24, v18
	v_cmp_ne_u32_e64 s[0:1], s28, v9
	v_bfrev_b32_e32 v19, 1
	s_and_saveexec_b64 s[18:19], s[0:1]
	s_cbranch_execz .LBB300_522
; %bb.519:                              ;   in Loop: Header=BB300_424 Depth=1
	v_bfe_u32 v17, v18, 24, 7
	v_cmp_ne_u32_e64 s[0:1], s29, v17
	v_mov_b32_e32 v19, 0x7f800001
	s_and_saveexec_b64 s[20:21], s[0:1]
	s_cbranch_execz .LBB300_521
; %bb.520:                              ;   in Loop: Header=BB300_424 Depth=1
	v_and_b32_e32 v24, 7, v9
	v_ffbh_u32_e32 v18, v24
	v_min_u32_e32 v26, 32, v18
	v_subrev_u32_e32 v18, 28, v26
	v_lshlrev_b64 v[18:19], v18, v[9:10]
	v_lshrrev_b32_e32 v25, 3, v17
	v_sub_u32_e32 v19, 29, v26
	v_and_b32_e32 v18, 7, v18
	v_cmp_gt_u32_e64 s[0:1], 8, v17
	v_cndmask_b32_e64 v17, v25, v19, s[0:1]
	v_cndmask_b32_e64 v18, v24, v18, s[0:1]
	v_lshlrev_b32_e32 v9, 24, v9
	v_bfrev_b32_e32 v19, 60
	v_lshlrev_b32_e32 v18, 20, v18
	v_and_b32_e32 v9, 0x80000000, v9
	v_lshl_add_u32 v17, v17, 23, v19
	v_or3_b32 v19, v9, v17, v18
.LBB300_521:                            ;   in Loop: Header=BB300_424 Depth=1
	s_or_b64 exec, exec, s[20:21]
.LBB300_522:                            ;   in Loop: Header=BB300_424 Depth=1
	s_or_b64 exec, exec, s[18:19]
.LBB300_523:                            ;   in Loop: Header=BB300_424 Depth=1
	s_or_b64 exec, exec, s[16:17]
	v_mul_f32_e32 v9, s31, v22
	v_bfe_u32 v17, v9, 16, 1
	v_add3_u32 v17, v17, v9, s30
	v_or_b32_e32 v18, 0x400000, v9
	v_cmp_u_f32_e64 s[0:1], v9, v9
	v_cndmask_b32_e64 v9, v17, v18, s[0:1]
	v_lshrrev_b32_e32 v9, 16, v9
	buffer_store_dword v9, off, s[56:59], 0 offset:36 ; 4-byte Folded Spill
	v_mul_f32_e32 v9, s31, v21
	v_bfe_u32 v17, v9, 16, 1
	v_add3_u32 v17, v17, v9, s30
	v_or_b32_e32 v18, 0x400000, v9
	v_cmp_u_f32_e64 s[0:1], v9, v9
	v_cndmask_b32_e64 v9, v17, v18, s[0:1]
	v_lshrrev_b32_e32 v9, 16, v9
	buffer_store_dword v9, off, s[56:59], 0 offset:40 ; 4-byte Folded Spill
	;; [unrolled: 8-line block ×4, first 2 shown]
	v_mul_f32_e32 v9, s31, v11
	v_bfe_u32 v11, v9, 16, 1
	v_add3_u32 v11, v11, v9, s30
	v_or_b32_e32 v12, 0x400000, v9
	v_cmp_u_f32_e64 s[0:1], v9, v9
	v_cndmask_b32_e64 v9, v11, v12, s[0:1]
	v_lshrrev_b32_e32 v9, 16, v9
	v_mul_f32_e32 v0, s31, v0
	buffer_store_dword v9, off, s[56:59], 0 offset:60 ; 4-byte Folded Spill
	v_bfe_u32 v9, v0, 16, 1
	v_add3_u32 v9, v9, v0, s30
	v_or_b32_e32 v11, 0x400000, v0
	v_cmp_u_f32_e64 s[0:1], v0, v0
	v_cndmask_b32_e64 v0, v9, v11, s[0:1]
	v_lshrrev_b32_e32 v0, 16, v0
	buffer_store_dword v0, off, s[56:59], 0 offset:64 ; 4-byte Folded Spill
	v_mul_f32_e32 v0, s31, v23
	v_bfe_u32 v9, v0, 16, 1
	v_add3_u32 v9, v9, v0, s30
	v_or_b32_e32 v11, 0x400000, v0
	v_cmp_u_f32_e64 s[0:1], v0, v0
	v_cndmask_b32_e64 v0, v9, v11, s[0:1]
	v_lshrrev_b32_e32 v0, 16, v0
	buffer_store_dword v0, off, s[56:59], 0 offset:44 ; 4-byte Folded Spill
	v_mul_f32_e32 v0, s31, v19
	v_bfe_u32 v9, v0, 16, 1
	v_add3_u32 v9, v9, v0, s30
	v_or_b32_e32 v11, 0x400000, v0
	v_cmp_u_f32_e64 s[0:1], v0, v0
	v_cndmask_b32_e64 v0, v9, v11, s[0:1]
	v_lshrrev_b32_e32 v0, 16, v0
	buffer_store_dword v0, off, s[56:59], 0 offset:56 ; 4-byte Folded Spill
	s_and_saveexec_b64 s[16:17], vcc
	s_cbranch_execz .LBB300_525
; %bb.524:                              ;   in Loop: Header=BB300_424 Depth=1
	buffer_load_dword v0, off, s[56:59], 0 offset:64 ; 4-byte Folded Reload
	v_cmp_gt_i32_e64 s[0:1], s33, v51
	s_waitcnt vmcnt(0)
	v_cndmask_b32_e64 v0, 0, v0, s[0:1]
	buffer_store_dword v0, off, s[56:59], 0 offset:64 ; 4-byte Folded Spill
	buffer_load_dword v0, off, s[56:59], 0 offset:60 ; 4-byte Folded Reload
	v_cmp_gt_i32_e64 s[0:1], s33, v60
	s_waitcnt vmcnt(0)
	v_cndmask_b32_e64 v0, 0, v0, s[0:1]
	buffer_store_dword v0, off, s[56:59], 0 offset:60 ; 4-byte Folded Spill
	;; [unrolled: 5-line block ×8, first 2 shown]
.LBB300_525:                            ;   in Loop: Header=BB300_424 Depth=1
	s_or_b64 exec, exec, s[16:17]
	global_load_dwordx2 v[17:18], v[15:16], off offset:1024
	v_mov_b32_e32 v0, 0
	v_mov_b32_e32 v11, 0
	s_waitcnt vmcnt(0)
	v_cmp_ne_u16_sdwa s[0:1], v17, v10 src0_sel:BYTE_0 src1_sel:DWORD
	s_and_saveexec_b64 s[16:17], s[0:1]
	s_cbranch_execz .LBB300_531
; %bb.526:                              ;   in Loop: Header=BB300_424 Depth=1
	v_cmp_ne_u16_sdwa s[0:1], v17, s28 src0_sel:BYTE_0 src1_sel:DWORD
	v_bfrev_b32_e32 v11, 1
	s_and_saveexec_b64 s[18:19], s[0:1]
	s_cbranch_execz .LBB300_530
; %bb.527:                              ;   in Loop: Header=BB300_424 Depth=1
	v_and_b32_e32 v9, 0x7f, v17
	v_cmp_ne_u32_e64 s[0:1], s29, v9
	v_mov_b32_e32 v11, 0x7f800001
	s_and_saveexec_b64 s[20:21], s[0:1]
	s_cbranch_execz .LBB300_529
; %bb.528:                              ;   in Loop: Header=BB300_424 Depth=1
	v_and_b32_e32 v11, 7, v17
	v_lshrrev_b32_e32 v12, 3, v9
	v_cmp_gt_u32_e64 s[0:1], 8, v9
	v_ffbh_u32_e32 v9, v11
	v_min_u32_e32 v9, 32, v9
	v_subrev_u32_e32 v11, 28, v9
	v_sub_u32_e32 v9, 29, v9
	v_cndmask_b32_e64 v11, 0, v11, s[0:1]
	v_cndmask_b32_e64 v9, v12, v9, s[0:1]
	v_lshlrev_b64 v[11:12], v11, v[17:18]
	v_lshlrev_b32_e32 v12, 24, v17
	v_lshlrev_b32_e32 v11, 20, v11
	v_bfrev_b32_e32 v19, 60
	v_and_b32_e32 v11, 0x700000, v11
	v_and_b32_e32 v12, 0x80000000, v12
	v_lshl_add_u32 v9, v9, 23, v19
	v_or3_b32 v11, v12, v9, v11
.LBB300_529:                            ;   in Loop: Header=BB300_424 Depth=1
	s_or_b64 exec, exec, s[20:21]
.LBB300_530:                            ;   in Loop: Header=BB300_424 Depth=1
	s_or_b64 exec, exec, s[18:19]
.LBB300_531:                            ;   in Loop: Header=BB300_424 Depth=1
	s_or_b64 exec, exec, s[16:17]
	v_lshrrev_b16_e32 v9, 8, v17
	v_cmp_ne_u16_e64 s[0:1], 0, v9
	s_and_saveexec_b64 s[16:17], s[0:1]
	s_cbranch_execz .LBB300_537
; %bb.532:                              ;   in Loop: Header=BB300_424 Depth=1
	v_cmp_ne_u16_e64 s[0:1], s28, v9
	v_bfrev_b32_e32 v0, 1
	s_and_saveexec_b64 s[18:19], s[0:1]
	s_cbranch_execz .LBB300_536
; %bb.533:                              ;   in Loop: Header=BB300_424 Depth=1
	v_and_b32_e32 v12, 0x7f, v9
	v_cmp_ne_u32_e64 s[0:1], s29, v12
	v_mov_b32_e32 v0, 0x7f800001
	s_and_saveexec_b64 s[20:21], s[0:1]
	s_cbranch_execz .LBB300_535
; %bb.534:                              ;   in Loop: Header=BB300_424 Depth=1
	v_and_b32_e32 v0, 7, v9
	v_lshrrev_b32_e32 v21, 3, v12
	v_cmp_gt_u32_e64 s[0:1], 8, v12
	v_ffbh_u32_e32 v12, v0
	v_min_u32_e32 v12, 32, v12
	v_subrev_u32_e32 v19, 28, v12
	v_lshlrev_b64 v[19:20], v19, v[9:10]
	v_sub_u32_e32 v9, 29, v12
	v_and_b32_e32 v12, 7, v19
	v_cndmask_b32_e64 v9, v21, v9, s[0:1]
	v_cndmask_b32_e64 v0, v0, v12, s[0:1]
	v_lshlrev_b32_e32 v12, 16, v17
	v_bfrev_b32_e32 v19, 60
	v_lshlrev_b32_e32 v0, 20, v0
	v_and_b32_e32 v12, 0x80000000, v12
	v_lshl_add_u32 v9, v9, 23, v19
	v_or3_b32 v0, v12, v9, v0
.LBB300_535:                            ;   in Loop: Header=BB300_424 Depth=1
	s_or_b64 exec, exec, s[20:21]
.LBB300_536:                            ;   in Loop: Header=BB300_424 Depth=1
	s_or_b64 exec, exec, s[18:19]
.LBB300_537:                            ;   in Loop: Header=BB300_424 Depth=1
	s_or_b64 exec, exec, s[16:17]
	v_lshrrev_b32_e32 v9, 16, v17
	v_cmp_ne_u16_sdwa s[0:1], v9, v10 src0_sel:BYTE_0 src1_sel:DWORD
	v_mov_b32_e32 v20, 0
	v_mov_b32_e32 v12, 0
	s_and_saveexec_b64 s[16:17], s[0:1]
	s_cbranch_execz .LBB300_543
; %bb.538:                              ;   in Loop: Header=BB300_424 Depth=1
	v_cmp_ne_u16_sdwa s[0:1], v9, s28 src0_sel:BYTE_0 src1_sel:DWORD
	v_bfrev_b32_e32 v12, 1
	s_and_saveexec_b64 s[18:19], s[0:1]
	s_cbranch_execz .LBB300_542
; %bb.539:                              ;   in Loop: Header=BB300_424 Depth=1
	v_bfe_u32 v19, v17, 16, 7
	v_cmp_ne_u32_e64 s[0:1], s29, v19
	v_mov_b32_e32 v12, 0x7f800001
	s_and_saveexec_b64 s[20:21], s[0:1]
	s_cbranch_execz .LBB300_541
; %bb.540:                              ;   in Loop: Header=BB300_424 Depth=1
	v_and_b32_e32 v12, 7, v9
	v_lshrrev_b32_e32 v23, 3, v19
	v_cmp_gt_u32_e64 s[0:1], 8, v19
	v_ffbh_u32_e32 v19, v12
	v_min_u32_e32 v19, 32, v19
	v_subrev_u32_e32 v21, 28, v19
	v_lshlrev_b64 v[21:22], v21, v[9:10]
	v_sub_u32_e32 v19, 29, v19
	v_and_b32_e32 v21, 7, v21
	v_cndmask_b32_e64 v19, v23, v19, s[0:1]
	v_cndmask_b32_e64 v12, v12, v21, s[0:1]
	v_lshlrev_b32_e32 v9, 24, v9
	v_bfrev_b32_e32 v21, 60
	v_lshlrev_b32_e32 v12, 20, v12
	v_and_b32_e32 v9, 0x80000000, v9
	v_lshl_add_u32 v19, v19, 23, v21
	v_or3_b32 v12, v9, v19, v12
.LBB300_541:                            ;   in Loop: Header=BB300_424 Depth=1
	s_or_b64 exec, exec, s[20:21]
.LBB300_542:                            ;   in Loop: Header=BB300_424 Depth=1
	s_or_b64 exec, exec, s[18:19]
.LBB300_543:                            ;   in Loop: Header=BB300_424 Depth=1
	s_or_b64 exec, exec, s[16:17]
	v_cmp_lt_u32_e64 s[0:1], s5, v17
	s_and_saveexec_b64 s[16:17], s[0:1]
	s_cbranch_execz .LBB300_549
; %bb.544:                              ;   in Loop: Header=BB300_424 Depth=1
	v_lshrrev_b32_e32 v9, 24, v17
	v_cmp_ne_u32_e64 s[0:1], s28, v9
	v_bfrev_b32_e32 v20, 1
	s_and_saveexec_b64 s[18:19], s[0:1]
	s_cbranch_execz .LBB300_548
; %bb.545:                              ;   in Loop: Header=BB300_424 Depth=1
	v_bfe_u32 v19, v17, 24, 7
	v_cmp_ne_u32_e64 s[0:1], s29, v19
	v_mov_b32_e32 v20, 0x7f800001
	s_and_saveexec_b64 s[20:21], s[0:1]
	s_cbranch_execz .LBB300_547
; %bb.546:                              ;   in Loop: Header=BB300_424 Depth=1
	v_and_b32_e32 v21, 7, v9
	v_lshrrev_b32_e32 v22, 3, v19
	v_cmp_gt_u32_e64 s[0:1], 8, v19
	v_ffbh_u32_e32 v19, v21
	v_min_u32_e32 v23, 32, v19
	v_subrev_u32_e32 v19, 28, v23
	v_lshlrev_b64 v[19:20], v19, v[9:10]
	v_sub_u32_e32 v20, 29, v23
	v_and_b32_e32 v19, 7, v19
	v_cndmask_b32_e64 v20, v22, v20, s[0:1]
	v_cndmask_b32_e64 v19, v21, v19, s[0:1]
	v_lshlrev_b32_e32 v9, 24, v9
	v_bfrev_b32_e32 v21, 60
	v_lshlrev_b32_e32 v19, 20, v19
	v_and_b32_e32 v9, 0x80000000, v9
	v_lshl_add_u32 v20, v20, 23, v21
	v_or3_b32 v20, v9, v20, v19
.LBB300_547:                            ;   in Loop: Header=BB300_424 Depth=1
	s_or_b64 exec, exec, s[20:21]
.LBB300_548:                            ;   in Loop: Header=BB300_424 Depth=1
	s_or_b64 exec, exec, s[18:19]
.LBB300_549:                            ;   in Loop: Header=BB300_424 Depth=1
	s_or_b64 exec, exec, s[16:17]
	v_mov_b32_e32 v9, v18
	v_cmp_ne_u16_sdwa s[0:1], v18, v10 src0_sel:BYTE_0 src1_sel:DWORD
	v_mov_b32_e32 v22, 0
	v_mov_b32_e32 v21, 0
	s_and_saveexec_b64 s[16:17], s[0:1]
	s_cbranch_execz .LBB300_555
; %bb.550:                              ;   in Loop: Header=BB300_424 Depth=1
	v_cmp_ne_u16_sdwa s[0:1], v18, s28 src0_sel:BYTE_0 src1_sel:DWORD
	v_bfrev_b32_e32 v21, 1
	s_and_saveexec_b64 s[18:19], s[0:1]
	s_cbranch_execz .LBB300_554
; %bb.551:                              ;   in Loop: Header=BB300_424 Depth=1
	v_and_b32_e32 v19, 0x7f, v18
	v_cmp_ne_u32_e64 s[0:1], s29, v19
	v_mov_b32_e32 v21, 0x7f800001
	s_and_saveexec_b64 s[20:21], s[0:1]
	s_cbranch_execz .LBB300_553
; %bb.552:                              ;   in Loop: Header=BB300_424 Depth=1
	v_and_b32_e32 v21, 7, v18
	v_lshrrev_b32_e32 v23, 3, v19
	v_cmp_gt_u32_e64 s[0:1], 8, v19
	v_ffbh_u32_e32 v19, v21
	v_min_u32_e32 v19, 32, v19
	v_subrev_u32_e32 v21, 28, v19
	v_sub_u32_e32 v19, 29, v19
	v_cndmask_b32_e64 v21, 0, v21, s[0:1]
	v_cndmask_b32_e64 v19, v23, v19, s[0:1]
	v_lshlrev_b64 v[23:24], v21, v[9:10]
	v_bfrev_b32_e32 v24, 60
	v_lshlrev_b32_e32 v21, 20, v23
	v_lshlrev_b32_e32 v23, 24, v9
	v_and_b32_e32 v21, 0x700000, v21
	v_and_b32_e32 v23, 0x80000000, v23
	v_lshl_add_u32 v19, v19, 23, v24
	v_or3_b32 v21, v23, v19, v21
.LBB300_553:                            ;   in Loop: Header=BB300_424 Depth=1
	s_or_b64 exec, exec, s[20:21]
.LBB300_554:                            ;   in Loop: Header=BB300_424 Depth=1
	s_or_b64 exec, exec, s[18:19]
.LBB300_555:                            ;   in Loop: Header=BB300_424 Depth=1
	s_or_b64 exec, exec, s[16:17]
	v_lshrrev_b16_e32 v19, 8, v9
	v_cmp_ne_u16_e64 s[0:1], 0, v19
	s_and_saveexec_b64 s[16:17], s[0:1]
	s_cbranch_execz .LBB300_561
; %bb.556:                              ;   in Loop: Header=BB300_424 Depth=1
	v_cmp_ne_u16_e64 s[0:1], s28, v19
	v_bfrev_b32_e32 v22, 1
	s_and_saveexec_b64 s[18:19], s[0:1]
	s_cbranch_execz .LBB300_560
; %bb.557:                              ;   in Loop: Header=BB300_424 Depth=1
	v_and_b32_e32 v23, 0x7f, v19
	v_cmp_ne_u32_e64 s[0:1], s29, v23
	v_mov_b32_e32 v22, 0x7f800001
	s_and_saveexec_b64 s[20:21], s[0:1]
	s_cbranch_execz .LBB300_559
; %bb.558:                              ;   in Loop: Header=BB300_424 Depth=1
	v_and_b32_e32 v24, 7, v19
	v_ffbh_u32_e32 v22, v24
	v_min_u32_e32 v26, 32, v22
	v_subrev_u32_e32 v22, 28, v26
	v_lshrrev_b32_e32 v25, 3, v23
	v_cmp_gt_u32_e64 s[0:1], 8, v23
	v_lshlrev_b64 v[22:23], v22, v[19:20]
	v_sub_u32_e32 v19, 29, v26
	v_and_b32_e32 v22, 7, v22
	v_cndmask_b32_e64 v19, v25, v19, s[0:1]
	v_cndmask_b32_e64 v22, v24, v22, s[0:1]
	v_lshlrev_b32_e32 v9, 16, v9
	v_bfrev_b32_e32 v23, 60
	v_lshlrev_b32_e32 v22, 20, v22
	v_and_b32_e32 v9, 0x80000000, v9
	v_lshl_add_u32 v19, v19, 23, v23
	v_or3_b32 v22, v9, v19, v22
.LBB300_559:                            ;   in Loop: Header=BB300_424 Depth=1
	s_or_b64 exec, exec, s[20:21]
.LBB300_560:                            ;   in Loop: Header=BB300_424 Depth=1
	s_or_b64 exec, exec, s[18:19]
.LBB300_561:                            ;   in Loop: Header=BB300_424 Depth=1
	s_or_b64 exec, exec, s[16:17]
	v_lshrrev_b32_e32 v9, 16, v18
	v_cmp_ne_u16_sdwa s[0:1], v9, v10 src0_sel:BYTE_0 src1_sel:DWORD
	v_mov_b32_e32 v19, 0
	v_mov_b32_e32 v23, 0
	s_and_saveexec_b64 s[16:17], s[0:1]
	s_cbranch_execz .LBB300_567
; %bb.562:                              ;   in Loop: Header=BB300_424 Depth=1
	v_cmp_ne_u16_sdwa s[0:1], v9, s28 src0_sel:BYTE_0 src1_sel:DWORD
	v_bfrev_b32_e32 v23, 1
	s_and_saveexec_b64 s[18:19], s[0:1]
	s_cbranch_execz .LBB300_566
; %bb.563:                              ;   in Loop: Header=BB300_424 Depth=1
	v_bfe_u32 v24, v18, 16, 7
	v_cmp_ne_u32_e64 s[0:1], s29, v24
	v_mov_b32_e32 v23, 0x7f800001
	s_and_saveexec_b64 s[20:21], s[0:1]
	s_cbranch_execz .LBB300_565
; %bb.564:                              ;   in Loop: Header=BB300_424 Depth=1
	v_and_b32_e32 v25, 7, v9
	v_ffbh_u32_e32 v23, v25
	v_min_u32_e32 v27, 32, v23
	v_subrev_u32_e32 v23, 28, v27
	v_lshrrev_b32_e32 v26, 3, v24
	v_cmp_gt_u32_e64 s[0:1], 8, v24
	v_lshlrev_b64 v[23:24], v23, v[9:10]
	v_sub_u32_e32 v24, 29, v27
	v_and_b32_e32 v23, 7, v23
	v_cndmask_b32_e64 v24, v26, v24, s[0:1]
	v_cndmask_b32_e64 v23, v25, v23, s[0:1]
	v_lshlrev_b32_e32 v9, 24, v9
	v_bfrev_b32_e32 v25, 60
	v_lshlrev_b32_e32 v23, 20, v23
	v_and_b32_e32 v9, 0x80000000, v9
	v_lshl_add_u32 v24, v24, 23, v25
	v_or3_b32 v23, v9, v24, v23
.LBB300_565:                            ;   in Loop: Header=BB300_424 Depth=1
	s_or_b64 exec, exec, s[20:21]
.LBB300_566:                            ;   in Loop: Header=BB300_424 Depth=1
	s_or_b64 exec, exec, s[18:19]
.LBB300_567:                            ;   in Loop: Header=BB300_424 Depth=1
	s_or_b64 exec, exec, s[16:17]
	v_cmp_lt_u64_e64 s[0:1], s[4:5], v[17:18]
	s_and_saveexec_b64 s[16:17], s[0:1]
	s_cbranch_execz .LBB300_573
; %bb.568:                              ;   in Loop: Header=BB300_424 Depth=1
	v_lshrrev_b32_e32 v9, 24, v18
	v_cmp_ne_u32_e64 s[0:1], s28, v9
	v_bfrev_b32_e32 v19, 1
	s_and_saveexec_b64 s[18:19], s[0:1]
	s_cbranch_execz .LBB300_572
; %bb.569:                              ;   in Loop: Header=BB300_424 Depth=1
	v_bfe_u32 v17, v18, 24, 7
	v_cmp_ne_u32_e64 s[0:1], s29, v17
	v_mov_b32_e32 v19, 0x7f800001
	s_and_saveexec_b64 s[20:21], s[0:1]
	s_cbranch_execz .LBB300_571
; %bb.570:                              ;   in Loop: Header=BB300_424 Depth=1
	v_and_b32_e32 v19, 7, v9
	v_lshrrev_b32_e32 v24, 3, v17
	v_cmp_gt_u32_e64 s[0:1], 8, v17
	v_ffbh_u32_e32 v17, v19
	v_min_u32_e32 v25, 32, v17
	v_subrev_u32_e32 v17, 28, v25
	v_lshlrev_b64 v[17:18], v17, v[9:10]
	v_sub_u32_e32 v18, 29, v25
	v_and_b32_e32 v17, 7, v17
	v_cndmask_b32_e64 v18, v24, v18, s[0:1]
	v_cndmask_b32_e64 v17, v19, v17, s[0:1]
	v_lshlrev_b32_e32 v9, 24, v9
	v_bfrev_b32_e32 v19, 60
	v_lshlrev_b32_e32 v17, 20, v17
	v_and_b32_e32 v9, 0x80000000, v9
	v_lshl_add_u32 v18, v18, 23, v19
	v_or3_b32 v19, v9, v18, v17
.LBB300_571:                            ;   in Loop: Header=BB300_424 Depth=1
	s_or_b64 exec, exec, s[20:21]
.LBB300_572:                            ;   in Loop: Header=BB300_424 Depth=1
	s_or_b64 exec, exec, s[18:19]
.LBB300_573:                            ;   in Loop: Header=BB300_424 Depth=1
	s_or_b64 exec, exec, s[16:17]
	v_mul_f32_e32 v9, s31, v22
	v_bfe_u32 v17, v9, 16, 1
	v_add3_u32 v17, v17, v9, s30
	v_or_b32_e32 v18, 0x400000, v9
	v_cmp_u_f32_e64 s[0:1], v9, v9
	v_cndmask_b32_e64 v9, v17, v18, s[0:1]
	v_lshrrev_b32_e32 v9, 16, v9
	buffer_store_dword v9, off, s[56:59], 0 offset:68 ; 4-byte Folded Spill
	v_mul_f32_e32 v9, s31, v21
	v_bfe_u32 v17, v9, 16, 1
	v_add3_u32 v17, v17, v9, s30
	v_or_b32_e32 v18, 0x400000, v9
	v_cmp_u_f32_e64 s[0:1], v9, v9
	v_cndmask_b32_e64 v9, v17, v18, s[0:1]
	v_lshrrev_b32_e32 v9, 16, v9
	buffer_store_dword v9, off, s[56:59], 0 offset:72 ; 4-byte Folded Spill
	;; [unrolled: 8-line block ×3, first 2 shown]
	v_mul_f32_e32 v9, s31, v12
	v_bfe_u32 v12, v9, 16, 1
	v_add3_u32 v12, v12, v9, s30
	v_or_b32_e32 v17, 0x400000, v9
	v_cmp_u_f32_e64 s[0:1], v9, v9
	v_cndmask_b32_e64 v9, v12, v17, s[0:1]
	v_lshrrev_b32_e32 v9, 16, v9
	v_mul_f32_e32 v0, s31, v0
	buffer_store_dword v9, off, s[56:59], 0 offset:84 ; 4-byte Folded Spill
	v_bfe_u32 v9, v0, 16, 1
	v_add3_u32 v9, v9, v0, s30
	v_or_b32_e32 v12, 0x400000, v0
	v_cmp_u_f32_e64 s[0:1], v0, v0
	v_cndmask_b32_e64 v0, v9, v12, s[0:1]
	v_lshrrev_b32_e32 v0, 16, v0
	buffer_store_dword v0, off, s[56:59], 0 offset:92 ; 4-byte Folded Spill
	v_mul_f32_e32 v0, s31, v11
	v_bfe_u32 v9, v0, 16, 1
	v_add3_u32 v9, v9, v0, s30
	v_or_b32_e32 v11, 0x400000, v0
	v_cmp_u_f32_e64 s[0:1], v0, v0
	v_cndmask_b32_e64 v0, v9, v11, s[0:1]
	v_lshrrev_b32_e32 v0, 16, v0
	buffer_store_dword v0, off, s[56:59], 0 offset:96 ; 4-byte Folded Spill
	v_mul_f32_e32 v0, s31, v23
	;; [unrolled: 8-line block ×3, first 2 shown]
	v_bfe_u32 v9, v0, 16, 1
	v_add3_u32 v9, v9, v0, s30
	v_or_b32_e32 v11, 0x400000, v0
	v_cmp_u_f32_e64 s[0:1], v0, v0
	v_cndmask_b32_e64 v0, v9, v11, s[0:1]
	v_lshrrev_b32_e32 v0, 16, v0
	buffer_store_dword v0, off, s[56:59], 0 offset:88 ; 4-byte Folded Spill
	s_and_saveexec_b64 s[16:17], vcc
	s_cbranch_execz .LBB300_575
; %bb.574:                              ;   in Loop: Header=BB300_424 Depth=1
	buffer_load_dword v0, off, s[56:59], 0 offset:96 ; 4-byte Folded Reload
	v_cmp_gt_i32_e64 s[0:1], s33, v51
	s_waitcnt vmcnt(0)
	v_cndmask_b32_e64 v0, 0, v0, s[0:1]
	buffer_store_dword v0, off, s[56:59], 0 offset:96 ; 4-byte Folded Spill
	buffer_load_dword v0, off, s[56:59], 0 offset:92 ; 4-byte Folded Reload
	v_cmp_gt_i32_e64 s[0:1], s33, v60
	s_waitcnt vmcnt(0)
	v_cndmask_b32_e64 v0, 0, v0, s[0:1]
	buffer_store_dword v0, off, s[56:59], 0 offset:92 ; 4-byte Folded Spill
	;; [unrolled: 5-line block ×8, first 2 shown]
.LBB300_575:                            ;   in Loop: Header=BB300_424 Depth=1
	s_or_b64 exec, exec, s[16:17]
	global_load_dwordx2 v[17:18], v[15:16], off offset:1536
	v_mov_b32_e32 v22, 0
	v_mov_b32_e32 v20, 0
	s_waitcnt vmcnt(0)
	v_cmp_ne_u16_sdwa s[0:1], v17, v10 src0_sel:BYTE_0 src1_sel:DWORD
	s_and_saveexec_b64 s[16:17], s[0:1]
	s_cbranch_execz .LBB300_581
; %bb.576:                              ;   in Loop: Header=BB300_424 Depth=1
	v_cmp_ne_u16_sdwa s[0:1], v17, s28 src0_sel:BYTE_0 src1_sel:DWORD
	v_bfrev_b32_e32 v20, 1
	s_and_saveexec_b64 s[18:19], s[0:1]
	s_cbranch_execz .LBB300_580
; %bb.577:                              ;   in Loop: Header=BB300_424 Depth=1
	v_and_b32_e32 v0, 0x7f, v17
	v_cmp_ne_u32_e64 s[0:1], s29, v0
	v_mov_b32_e32 v20, 0x7f800001
	s_and_saveexec_b64 s[20:21], s[0:1]
	s_cbranch_execz .LBB300_579
; %bb.578:                              ;   in Loop: Header=BB300_424 Depth=1
	v_and_b32_e32 v9, 7, v17
	v_lshrrev_b32_e32 v11, 3, v0
	v_cmp_gt_u32_e64 s[0:1], 8, v0
	v_ffbh_u32_e32 v0, v9
	v_min_u32_e32 v0, 32, v0
	v_subrev_u32_e32 v9, 28, v0
	v_sub_u32_e32 v0, 29, v0
	v_cndmask_b32_e64 v9, 0, v9, s[0:1]
	v_cndmask_b32_e64 v0, v11, v0, s[0:1]
	v_lshlrev_b64 v[11:12], v9, v[17:18]
	v_bfrev_b32_e32 v12, 60
	v_lshlrev_b32_e32 v9, 20, v11
	v_lshlrev_b32_e32 v11, 24, v17
	v_and_b32_e32 v9, 0x700000, v9
	v_and_b32_e32 v11, 0x80000000, v11
	v_lshl_add_u32 v0, v0, 23, v12
	v_or3_b32 v20, v11, v0, v9
.LBB300_579:                            ;   in Loop: Header=BB300_424 Depth=1
	s_or_b64 exec, exec, s[20:21]
.LBB300_580:                            ;   in Loop: Header=BB300_424 Depth=1
	s_or_b64 exec, exec, s[18:19]
.LBB300_581:                            ;   in Loop: Header=BB300_424 Depth=1
	s_or_b64 exec, exec, s[16:17]
	v_lshrrev_b16_e32 v9, 8, v17
	v_cmp_ne_u16_e64 s[0:1], 0, v9
	s_and_saveexec_b64 s[16:17], s[0:1]
	s_cbranch_execz .LBB300_587
; %bb.582:                              ;   in Loop: Header=BB300_424 Depth=1
	v_cmp_ne_u16_e64 s[0:1], s28, v9
	v_bfrev_b32_e32 v22, 1
	s_and_saveexec_b64 s[18:19], s[0:1]
	s_cbranch_execz .LBB300_586
; %bb.583:                              ;   in Loop: Header=BB300_424 Depth=1
	v_and_b32_e32 v0, 0x7f, v9
	v_cmp_ne_u32_e64 s[0:1], s29, v0
	v_mov_b32_e32 v22, 0x7f800001
	s_and_saveexec_b64 s[20:21], s[0:1]
	s_cbranch_execz .LBB300_585
; %bb.584:                              ;   in Loop: Header=BB300_424 Depth=1
	v_and_b32_e32 v19, 7, v9
	v_lshrrev_b32_e32 v21, 3, v0
	v_cmp_gt_u32_e64 s[0:1], 8, v0
	v_ffbh_u32_e32 v0, v19
	v_min_u32_e32 v0, 32, v0
	v_subrev_u32_e32 v11, 28, v0
	v_lshlrev_b64 v[11:12], v11, v[9:10]
	v_sub_u32_e32 v0, 29, v0
	v_and_b32_e32 v9, 7, v11
	v_cndmask_b32_e64 v0, v21, v0, s[0:1]
	v_cndmask_b32_e64 v9, v19, v9, s[0:1]
	v_lshlrev_b32_e32 v11, 16, v17
	v_bfrev_b32_e32 v12, 60
	v_lshlrev_b32_e32 v9, 20, v9
	v_and_b32_e32 v11, 0x80000000, v11
	v_lshl_add_u32 v0, v0, 23, v12
	v_or3_b32 v22, v11, v0, v9
.LBB300_585:                            ;   in Loop: Header=BB300_424 Depth=1
	s_or_b64 exec, exec, s[20:21]
.LBB300_586:                            ;   in Loop: Header=BB300_424 Depth=1
	s_or_b64 exec, exec, s[18:19]
.LBB300_587:                            ;   in Loop: Header=BB300_424 Depth=1
	s_or_b64 exec, exec, s[16:17]
	v_lshrrev_b32_e32 v9, 16, v17
	v_cmp_ne_u16_sdwa s[0:1], v9, v10 src0_sel:BYTE_0 src1_sel:DWORD
	v_mov_b32_e32 v24, 0
	v_mov_b32_e32 v23, 0
	s_and_saveexec_b64 s[16:17], s[0:1]
	s_cbranch_execz .LBB300_593
; %bb.588:                              ;   in Loop: Header=BB300_424 Depth=1
	v_cmp_ne_u16_sdwa s[0:1], v9, s28 src0_sel:BYTE_0 src1_sel:DWORD
	v_bfrev_b32_e32 v23, 1
	s_and_saveexec_b64 s[18:19], s[0:1]
	s_cbranch_execz .LBB300_592
; %bb.589:                              ;   in Loop: Header=BB300_424 Depth=1
	v_bfe_u32 v0, v17, 16, 7
	v_cmp_ne_u32_e64 s[0:1], s29, v0
	v_mov_b32_e32 v23, 0x7f800001
	s_and_saveexec_b64 s[20:21], s[0:1]
	s_cbranch_execz .LBB300_591
; %bb.590:                              ;   in Loop: Header=BB300_424 Depth=1
	v_and_b32_e32 v19, 7, v9
	v_lshrrev_b32_e32 v21, 3, v0
	v_cmp_gt_u32_e64 s[0:1], 8, v0
	v_ffbh_u32_e32 v0, v19
	v_min_u32_e32 v0, 32, v0
	v_subrev_u32_e32 v11, 28, v0
	v_lshlrev_b64 v[11:12], v11, v[9:10]
	v_sub_u32_e32 v0, 29, v0
	v_and_b32_e32 v11, 7, v11
	v_cndmask_b32_e64 v0, v21, v0, s[0:1]
	v_cndmask_b32_e64 v11, v19, v11, s[0:1]
	v_lshlrev_b32_e32 v9, 24, v9
	v_bfrev_b32_e32 v12, 60
	v_lshlrev_b32_e32 v11, 20, v11
	v_and_b32_e32 v9, 0x80000000, v9
	v_lshl_add_u32 v0, v0, 23, v12
	v_or3_b32 v23, v9, v0, v11
.LBB300_591:                            ;   in Loop: Header=BB300_424 Depth=1
	s_or_b64 exec, exec, s[20:21]
.LBB300_592:                            ;   in Loop: Header=BB300_424 Depth=1
	s_or_b64 exec, exec, s[18:19]
.LBB300_593:                            ;   in Loop: Header=BB300_424 Depth=1
	s_or_b64 exec, exec, s[16:17]
	v_cmp_lt_u32_e64 s[0:1], s5, v17
	s_and_saveexec_b64 s[16:17], s[0:1]
	s_cbranch_execz .LBB300_599
; %bb.594:                              ;   in Loop: Header=BB300_424 Depth=1
	v_lshrrev_b32_e32 v9, 24, v17
	v_cmp_ne_u32_e64 s[0:1], s28, v9
	v_bfrev_b32_e32 v24, 1
	s_and_saveexec_b64 s[18:19], s[0:1]
	s_cbranch_execz .LBB300_598
; %bb.595:                              ;   in Loop: Header=BB300_424 Depth=1
	v_bfe_u32 v0, v17, 24, 7
	v_cmp_ne_u32_e64 s[0:1], s29, v0
	v_mov_b32_e32 v24, 0x7f800001
	s_and_saveexec_b64 s[20:21], s[0:1]
	s_cbranch_execz .LBB300_597
; %bb.596:                              ;   in Loop: Header=BB300_424 Depth=1
	v_and_b32_e32 v19, 7, v9
	v_lshrrev_b32_e32 v21, 3, v0
	v_cmp_gt_u32_e64 s[0:1], 8, v0
	v_ffbh_u32_e32 v0, v19
	v_min_u32_e32 v0, 32, v0
	v_subrev_u32_e32 v11, 28, v0
	v_lshlrev_b64 v[11:12], v11, v[9:10]
	v_sub_u32_e32 v0, 29, v0
	v_and_b32_e32 v11, 7, v11
	v_cndmask_b32_e64 v0, v21, v0, s[0:1]
	v_cndmask_b32_e64 v11, v19, v11, s[0:1]
	v_lshlrev_b32_e32 v9, 24, v9
	v_bfrev_b32_e32 v12, 60
	v_lshlrev_b32_e32 v11, 20, v11
	v_and_b32_e32 v9, 0x80000000, v9
	v_lshl_add_u32 v0, v0, 23, v12
	v_or3_b32 v24, v9, v0, v11
.LBB300_597:                            ;   in Loop: Header=BB300_424 Depth=1
	s_or_b64 exec, exec, s[20:21]
.LBB300_598:                            ;   in Loop: Header=BB300_424 Depth=1
	s_or_b64 exec, exec, s[18:19]
.LBB300_599:                            ;   in Loop: Header=BB300_424 Depth=1
	s_or_b64 exec, exec, s[16:17]
	v_mov_b32_e32 v9, v18
	v_cmp_ne_u16_sdwa s[0:1], v18, v10 src0_sel:BYTE_0 src1_sel:DWORD
	v_mov_b32_e32 v21, 0
	v_mov_b32_e32 v12, 0
	s_and_saveexec_b64 s[16:17], s[0:1]
	s_cbranch_execz .LBB300_605
; %bb.600:                              ;   in Loop: Header=BB300_424 Depth=1
	v_cmp_ne_u16_sdwa s[0:1], v18, s28 src0_sel:BYTE_0 src1_sel:DWORD
	v_bfrev_b32_e32 v12, 1
	s_and_saveexec_b64 s[18:19], s[0:1]
	s_cbranch_execz .LBB300_604
; %bb.601:                              ;   in Loop: Header=BB300_424 Depth=1
	v_and_b32_e32 v0, 0x7f, v18
	v_cmp_ne_u32_e64 s[0:1], s29, v0
	v_mov_b32_e32 v12, 0x7f800001
	s_and_saveexec_b64 s[20:21], s[0:1]
	s_cbranch_execz .LBB300_603
; %bb.602:                              ;   in Loop: Header=BB300_424 Depth=1
	v_and_b32_e32 v11, 7, v18
	v_lshrrev_b32_e32 v12, 3, v0
	v_cmp_gt_u32_e64 s[0:1], 8, v0
	v_ffbh_u32_e32 v0, v11
	v_min_u32_e32 v0, 32, v0
	v_subrev_u32_e32 v11, 28, v0
	v_sub_u32_e32 v0, 29, v0
	v_cndmask_b32_e64 v11, 0, v11, s[0:1]
	v_cndmask_b32_e64 v0, v12, v0, s[0:1]
	v_lshlrev_b64 v[11:12], v11, v[9:10]
	v_lshlrev_b32_e32 v12, 24, v9
	v_lshlrev_b32_e32 v11, 20, v11
	v_bfrev_b32_e32 v19, 60
	v_and_b32_e32 v11, 0x700000, v11
	v_and_b32_e32 v12, 0x80000000, v12
	v_lshl_add_u32 v0, v0, 23, v19
	v_or3_b32 v12, v12, v0, v11
.LBB300_603:                            ;   in Loop: Header=BB300_424 Depth=1
	s_or_b64 exec, exec, s[20:21]
.LBB300_604:                            ;   in Loop: Header=BB300_424 Depth=1
	s_or_b64 exec, exec, s[18:19]
.LBB300_605:                            ;   in Loop: Header=BB300_424 Depth=1
	s_or_b64 exec, exec, s[16:17]
	v_lshrrev_b16_e32 v19, 8, v9
	v_cmp_ne_u16_e64 s[0:1], 0, v19
	s_and_saveexec_b64 s[16:17], s[0:1]
	s_cbranch_execz .LBB300_611
; %bb.606:                              ;   in Loop: Header=BB300_424 Depth=1
	v_cmp_ne_u16_e64 s[0:1], s28, v19
	v_bfrev_b32_e32 v21, 1
	s_and_saveexec_b64 s[18:19], s[0:1]
	s_cbranch_execz .LBB300_610
; %bb.607:                              ;   in Loop: Header=BB300_424 Depth=1
	v_and_b32_e32 v0, 0x7f, v19
	v_cmp_ne_u32_e64 s[0:1], s29, v0
	v_mov_b32_e32 v21, 0x7f800001
	s_and_saveexec_b64 s[20:21], s[0:1]
	s_cbranch_execz .LBB300_609
; %bb.608:                              ;   in Loop: Header=BB300_424 Depth=1
	v_and_b32_e32 v11, 7, v19
	v_lshrrev_b32_e32 v21, 3, v0
	v_cmp_gt_u32_e64 s[0:1], 8, v0
	v_ffbh_u32_e32 v0, v11
	v_min_u32_e32 v0, 32, v0
	v_subrev_u32_e32 v25, 28, v0
	v_lshlrev_b64 v[25:26], v25, v[19:20]
	v_sub_u32_e32 v0, 29, v0
	v_and_b32_e32 v19, 7, v25
	v_cndmask_b32_e64 v0, v21, v0, s[0:1]
	v_cndmask_b32_e64 v11, v11, v19, s[0:1]
	v_lshlrev_b32_e32 v9, 16, v9
	v_bfrev_b32_e32 v19, 60
	v_lshlrev_b32_e32 v11, 20, v11
	v_and_b32_e32 v9, 0x80000000, v9
	v_lshl_add_u32 v0, v0, 23, v19
	v_or3_b32 v21, v9, v0, v11
.LBB300_609:                            ;   in Loop: Header=BB300_424 Depth=1
	s_or_b64 exec, exec, s[20:21]
.LBB300_610:                            ;   in Loop: Header=BB300_424 Depth=1
	s_or_b64 exec, exec, s[18:19]
.LBB300_611:                            ;   in Loop: Header=BB300_424 Depth=1
	s_or_b64 exec, exec, s[16:17]
	v_lshrrev_b32_e32 v9, 16, v18
	v_cmp_ne_u16_sdwa s[0:1], v9, v10 src0_sel:BYTE_0 src1_sel:DWORD
	v_mov_b32_e32 v19, 0
	v_mov_b32_e32 v0, 0
	s_and_saveexec_b64 s[16:17], s[0:1]
	s_cbranch_execz .LBB300_617
; %bb.612:                              ;   in Loop: Header=BB300_424 Depth=1
	v_cmp_ne_u16_sdwa s[0:1], v9, s28 src0_sel:BYTE_0 src1_sel:DWORD
	v_bfrev_b32_e32 v0, 1
	s_and_saveexec_b64 s[18:19], s[0:1]
	s_cbranch_execz .LBB300_616
; %bb.613:                              ;   in Loop: Header=BB300_424 Depth=1
	v_bfe_u32 v25, v18, 16, 7
	v_cmp_ne_u32_e64 s[0:1], s29, v25
	v_mov_b32_e32 v0, 0x7f800001
	s_and_saveexec_b64 s[20:21], s[0:1]
	s_cbranch_execz .LBB300_615
; %bb.614:                              ;   in Loop: Header=BB300_424 Depth=1
	v_and_b32_e32 v0, 7, v9
	v_lshrrev_b32_e32 v11, 3, v25
	v_cmp_gt_u32_e64 s[0:1], 8, v25
	v_ffbh_u32_e32 v25, v0
	v_min_u32_e32 v27, 32, v25
	v_subrev_u32_e32 v25, 28, v27
	v_lshlrev_b64 v[25:26], v25, v[9:10]
	v_sub_u32_e32 v26, 29, v27
	v_and_b32_e32 v25, 7, v25
	v_cndmask_b32_e64 v11, v11, v26, s[0:1]
	v_cndmask_b32_e64 v0, v0, v25, s[0:1]
	v_lshlrev_b32_e32 v9, 24, v9
	v_bfrev_b32_e32 v25, 60
	v_lshlrev_b32_e32 v0, 20, v0
	v_and_b32_e32 v9, 0x80000000, v9
	v_lshl_add_u32 v11, v11, 23, v25
	v_or3_b32 v0, v9, v11, v0
.LBB300_615:                            ;   in Loop: Header=BB300_424 Depth=1
	s_or_b64 exec, exec, s[20:21]
.LBB300_616:                            ;   in Loop: Header=BB300_424 Depth=1
	s_or_b64 exec, exec, s[18:19]
.LBB300_617:                            ;   in Loop: Header=BB300_424 Depth=1
	s_or_b64 exec, exec, s[16:17]
	v_cmp_lt_u64_e64 s[0:1], s[4:5], v[17:18]
	s_and_saveexec_b64 s[16:17], s[0:1]
	s_cbranch_execz .LBB300_623
; %bb.618:                              ;   in Loop: Header=BB300_424 Depth=1
	v_lshrrev_b32_e32 v9, 24, v18
	v_cmp_ne_u32_e64 s[0:1], s28, v9
	v_bfrev_b32_e32 v19, 1
	s_and_saveexec_b64 s[18:19], s[0:1]
	s_cbranch_execz .LBB300_622
; %bb.619:                              ;   in Loop: Header=BB300_424 Depth=1
	v_bfe_u32 v17, v18, 24, 7
	v_cmp_ne_u32_e64 s[0:1], s29, v17
	v_mov_b32_e32 v19, 0x7f800001
	s_and_saveexec_b64 s[20:21], s[0:1]
	s_cbranch_execz .LBB300_621
; %bb.620:                              ;   in Loop: Header=BB300_424 Depth=1
	v_and_b32_e32 v11, 7, v9
	v_lshrrev_b32_e32 v19, 3, v17
	v_cmp_gt_u32_e64 s[0:1], 8, v17
	v_ffbh_u32_e32 v17, v11
	v_min_u32_e32 v25, 32, v17
	v_subrev_u32_e32 v17, 28, v25
	v_lshlrev_b64 v[17:18], v17, v[9:10]
	v_sub_u32_e32 v18, 29, v25
	v_and_b32_e32 v17, 7, v17
	v_cndmask_b32_e64 v18, v19, v18, s[0:1]
	v_cndmask_b32_e64 v11, v11, v17, s[0:1]
	v_lshlrev_b32_e32 v9, 24, v9
	v_bfrev_b32_e32 v17, 60
	v_lshlrev_b32_e32 v11, 20, v11
	v_and_b32_e32 v9, 0x80000000, v9
	v_lshl_add_u32 v17, v18, 23, v17
	v_or3_b32 v19, v9, v17, v11
.LBB300_621:                            ;   in Loop: Header=BB300_424 Depth=1
	s_or_b64 exec, exec, s[20:21]
.LBB300_622:                            ;   in Loop: Header=BB300_424 Depth=1
	s_or_b64 exec, exec, s[18:19]
.LBB300_623:                            ;   in Loop: Header=BB300_424 Depth=1
	s_or_b64 exec, exec, s[16:17]
	v_mul_f32_e32 v9, s31, v21
	v_bfe_u32 v11, v9, 16, 1
	v_add3_u32 v11, v11, v9, s30
	v_or_b32_e32 v17, 0x400000, v9
	v_cmp_u_f32_e64 s[0:1], v9, v9
	v_cndmask_b32_e64 v9, v11, v17, s[0:1]
	v_lshrrev_b32_e32 v9, 16, v9
	buffer_store_dword v9, off, s[56:59], 0 offset:128 ; 4-byte Folded Spill
	v_mul_f32_e32 v9, s31, v12
	v_bfe_u32 v11, v9, 16, 1
	v_add3_u32 v11, v11, v9, s30
	v_or_b32_e32 v12, 0x400000, v9
	v_cmp_u_f32_e64 s[0:1], v9, v9
	v_cndmask_b32_e64 v9, v11, v12, s[0:1]
	v_lshrrev_b32_e32 v9, 16, v9
	buffer_store_dword v9, off, s[56:59], 0 offset:112 ; 4-byte Folded Spill
	v_mul_f32_e32 v9, s31, v24
	v_bfe_u32 v11, v9, 16, 1
	v_add3_u32 v11, v11, v9, s30
	v_or_b32_e32 v12, 0x400000, v9
	v_cmp_u_f32_e64 s[0:1], v9, v9
	v_cndmask_b32_e64 v9, v11, v12, s[0:1]
	v_lshrrev_b32_e32 v24, 16, v9
	v_mul_f32_e32 v9, s31, v23
	v_bfe_u32 v11, v9, 16, 1
	v_add3_u32 v11, v11, v9, s30
	v_or_b32_e32 v12, 0x400000, v9
	v_cmp_u_f32_e64 s[0:1], v9, v9
	v_cndmask_b32_e64 v9, v11, v12, s[0:1]
	v_lshrrev_b32_e32 v9, 16, v9
	buffer_store_dword v9, off, s[56:59], 0 offset:160 ; 4-byte Folded Spill
	v_mul_f32_e32 v9, s31, v22
	v_bfe_u32 v11, v9, 16, 1
	v_add3_u32 v11, v11, v9, s30
	v_or_b32_e32 v12, 0x400000, v9
	v_cmp_u_f32_e64 s[0:1], v9, v9
	v_cndmask_b32_e64 v9, v11, v12, s[0:1]
	v_lshrrev_b32_e32 v23, 16, v9
	v_mul_f32_e32 v9, s31, v20
	v_bfe_u32 v11, v9, 16, 1
	v_add3_u32 v11, v11, v9, s30
	v_or_b32_e32 v12, 0x400000, v9
	v_cmp_u_f32_e64 s[0:1], v9, v9
	v_cndmask_b32_e64 v9, v11, v12, s[0:1]
	v_mul_f32_e32 v0, s31, v0
	v_lshrrev_b32_e32 v26, 16, v9
	v_bfe_u32 v9, v0, 16, 1
	v_add3_u32 v9, v9, v0, s30
	v_or_b32_e32 v11, 0x400000, v0
	v_cmp_u_f32_e64 s[0:1], v0, v0
	v_cndmask_b32_e64 v0, v9, v11, s[0:1]
	v_lshrrev_b32_e32 v0, 16, v0
	buffer_store_dword v0, off, s[56:59], 0 offset:144 ; 4-byte Folded Spill
	v_mul_f32_e32 v0, s31, v19
	v_bfe_u32 v9, v0, 16, 1
	v_add3_u32 v9, v9, v0, s30
	v_or_b32_e32 v11, 0x400000, v0
	v_cmp_u_f32_e64 s[0:1], v0, v0
	v_cndmask_b32_e64 v0, v9, v11, s[0:1]
	v_lshrrev_b32_e32 v25, 16, v0
	s_and_saveexec_b64 s[16:17], vcc
	s_cbranch_execz .LBB300_625
; %bb.624:                              ;   in Loop: Header=BB300_424 Depth=1
	buffer_load_dword v0, off, s[56:59], 0 offset:160 ; 4-byte Folded Reload
	v_cmp_gt_i32_e64 s[0:1], s33, v51
	v_cndmask_b32_e64 v26, 0, v26, s[0:1]
	v_cmp_gt_i32_e64 s[0:1], s33, v60
	v_cndmask_b32_e64 v23, 0, v23, s[0:1]
	v_cmp_gt_i32_e64 s[0:1], s33, v59
	s_waitcnt vmcnt(0)
	v_cndmask_b32_e64 v0, 0, v0, s[0:1]
	buffer_store_dword v0, off, s[56:59], 0 offset:160 ; 4-byte Folded Spill
	buffer_load_dword v0, off, s[56:59], 0 offset:112 ; 4-byte Folded Reload
	v_cmp_gt_i32_e64 s[0:1], s33, v58
	v_cndmask_b32_e64 v24, 0, v24, s[0:1]
	v_cmp_gt_i32_e64 s[0:1], s33, v57
	s_waitcnt vmcnt(0)
	v_cndmask_b32_e64 v0, 0, v0, s[0:1]
	buffer_store_dword v0, off, s[56:59], 0 offset:112 ; 4-byte Folded Spill
	buffer_load_dword v0, off, s[56:59], 0 offset:128 ; 4-byte Folded Reload
	v_cmp_gt_i32_e64 s[0:1], s33, v56
	s_waitcnt vmcnt(0)
	v_cndmask_b32_e64 v0, 0, v0, s[0:1]
	buffer_store_dword v0, off, s[56:59], 0 offset:128 ; 4-byte Folded Spill
	buffer_load_dword v0, off, s[56:59], 0 offset:144 ; 4-byte Folded Reload
	v_cmp_gt_i32_e64 s[0:1], s33, v55
	s_waitcnt vmcnt(0)
	v_cndmask_b32_e64 v0, 0, v0, s[0:1]
	v_cmp_gt_i32_e64 s[0:1], s33, v54
	v_cndmask_b32_e64 v25, 0, v25, s[0:1]
	buffer_store_dword v0, off, s[56:59], 0 offset:144 ; 4-byte Folded Spill
.LBB300_625:                            ;   in Loop: Header=BB300_424 Depth=1
	s_or_b64 exec, exec, s[16:17]
	global_load_dwordx2 v[17:18], v[15:16], off offset:2048
	v_mov_b32_e32 v22, 0
	v_mov_b32_e32 v20, 0
	s_waitcnt vmcnt(0)
	v_cmp_ne_u16_sdwa s[0:1], v17, v10 src0_sel:BYTE_0 src1_sel:DWORD
	s_and_saveexec_b64 s[16:17], s[0:1]
	s_cbranch_execz .LBB300_631
; %bb.626:                              ;   in Loop: Header=BB300_424 Depth=1
	v_cmp_ne_u16_sdwa s[0:1], v17, s28 src0_sel:BYTE_0 src1_sel:DWORD
	v_bfrev_b32_e32 v20, 1
	s_and_saveexec_b64 s[18:19], s[0:1]
	s_cbranch_execz .LBB300_630
; %bb.627:                              ;   in Loop: Header=BB300_424 Depth=1
	v_and_b32_e32 v0, 0x7f, v17
	v_cmp_ne_u32_e64 s[0:1], s29, v0
	v_mov_b32_e32 v20, 0x7f800001
	s_and_saveexec_b64 s[20:21], s[0:1]
	s_cbranch_execz .LBB300_629
; %bb.628:                              ;   in Loop: Header=BB300_424 Depth=1
	v_and_b32_e32 v9, 7, v17
	v_lshrrev_b32_e32 v11, 3, v0
	v_cmp_gt_u32_e64 s[0:1], 8, v0
	v_ffbh_u32_e32 v0, v9
	v_min_u32_e32 v0, 32, v0
	v_subrev_u32_e32 v9, 28, v0
	v_cndmask_b32_e64 v9, 0, v9, s[0:1]
	v_lshlrev_b64 v[19:20], v9, v[17:18]
	v_sub_u32_e32 v0, 29, v0
	v_cndmask_b32_e64 v0, v11, v0, s[0:1]
	v_lshlrev_b32_e32 v9, 20, v19
	v_lshlrev_b32_e32 v11, 24, v17
	v_bfrev_b32_e32 v12, 60
	v_and_b32_e32 v9, 0x700000, v9
	v_and_b32_e32 v11, 0x80000000, v11
	v_lshl_add_u32 v0, v0, 23, v12
	v_or3_b32 v20, v11, v0, v9
.LBB300_629:                            ;   in Loop: Header=BB300_424 Depth=1
	s_or_b64 exec, exec, s[20:21]
.LBB300_630:                            ;   in Loop: Header=BB300_424 Depth=1
	s_or_b64 exec, exec, s[18:19]
.LBB300_631:                            ;   in Loop: Header=BB300_424 Depth=1
	s_or_b64 exec, exec, s[16:17]
	v_lshrrev_b16_e32 v9, 8, v17
	v_cmp_ne_u16_e64 s[0:1], 0, v9
	s_and_saveexec_b64 s[16:17], s[0:1]
	s_cbranch_execz .LBB300_637
; %bb.632:                              ;   in Loop: Header=BB300_424 Depth=1
	v_cmp_ne_u16_e64 s[0:1], s28, v9
	v_bfrev_b32_e32 v22, 1
	s_and_saveexec_b64 s[18:19], s[0:1]
	s_cbranch_execz .LBB300_636
; %bb.633:                              ;   in Loop: Header=BB300_424 Depth=1
	v_and_b32_e32 v0, 0x7f, v9
	v_cmp_ne_u32_e64 s[0:1], s29, v0
	v_mov_b32_e32 v22, 0x7f800001
	s_and_saveexec_b64 s[20:21], s[0:1]
	s_cbranch_execz .LBB300_635
; %bb.634:                              ;   in Loop: Header=BB300_424 Depth=1
	v_and_b32_e32 v11, 7, v9
	v_lshrrev_b32_e32 v12, 3, v0
	v_cmp_gt_u32_e64 s[0:1], 8, v0
	v_ffbh_u32_e32 v0, v11
	v_min_u32_e32 v0, 32, v0
	v_subrev_u32_e32 v19, 28, v0
	v_lshlrev_b64 v[28:29], v19, v[9:10]
	v_sub_u32_e32 v0, 29, v0
	v_and_b32_e32 v9, 7, v28
	v_cndmask_b32_e64 v0, v12, v0, s[0:1]
	v_cndmask_b32_e64 v9, v11, v9, s[0:1]
	v_lshlrev_b32_e32 v11, 16, v17
	v_bfrev_b32_e32 v12, 60
	v_lshlrev_b32_e32 v9, 20, v9
	v_and_b32_e32 v11, 0x80000000, v11
	v_lshl_add_u32 v0, v0, 23, v12
	v_or3_b32 v22, v11, v0, v9
.LBB300_635:                            ;   in Loop: Header=BB300_424 Depth=1
	s_or_b64 exec, exec, s[20:21]
.LBB300_636:                            ;   in Loop: Header=BB300_424 Depth=1
	s_or_b64 exec, exec, s[18:19]
.LBB300_637:                            ;   in Loop: Header=BB300_424 Depth=1
	s_or_b64 exec, exec, s[16:17]
	v_lshrrev_b32_e32 v9, 16, v17
	v_cmp_ne_u16_sdwa s[0:1], v9, v10 src0_sel:BYTE_0 src1_sel:DWORD
	v_mov_b32_e32 v31, 0
	v_mov_b32_e32 v30, 0
	s_and_saveexec_b64 s[16:17], s[0:1]
	s_cbranch_execz .LBB300_643
; %bb.638:                              ;   in Loop: Header=BB300_424 Depth=1
	v_cmp_ne_u16_sdwa s[0:1], v9, s28 src0_sel:BYTE_0 src1_sel:DWORD
	v_bfrev_b32_e32 v30, 1
	s_and_saveexec_b64 s[18:19], s[0:1]
	s_cbranch_execz .LBB300_642
; %bb.639:                              ;   in Loop: Header=BB300_424 Depth=1
	v_bfe_u32 v0, v17, 16, 7
	v_cmp_ne_u32_e64 s[0:1], s29, v0
	v_mov_b32_e32 v30, 0x7f800001
	s_and_saveexec_b64 s[20:21], s[0:1]
	s_cbranch_execz .LBB300_641
; %bb.640:                              ;   in Loop: Header=BB300_424 Depth=1
	v_and_b32_e32 v11, 7, v9
	v_lshrrev_b32_e32 v12, 3, v0
	v_cmp_gt_u32_e64 s[0:1], 8, v0
	v_ffbh_u32_e32 v0, v11
	v_min_u32_e32 v0, 32, v0
	v_subrev_u32_e32 v19, 28, v0
	v_lshlrev_b64 v[28:29], v19, v[9:10]
	v_sub_u32_e32 v0, 29, v0
	v_and_b32_e32 v19, 7, v28
	v_cndmask_b32_e64 v0, v12, v0, s[0:1]
	v_cndmask_b32_e64 v11, v11, v19, s[0:1]
	v_lshlrev_b32_e32 v9, 24, v9
	v_bfrev_b32_e32 v12, 60
	v_lshlrev_b32_e32 v11, 20, v11
	v_and_b32_e32 v9, 0x80000000, v9
	v_lshl_add_u32 v0, v0, 23, v12
	v_or3_b32 v30, v9, v0, v11
.LBB300_641:                            ;   in Loop: Header=BB300_424 Depth=1
	s_or_b64 exec, exec, s[20:21]
.LBB300_642:                            ;   in Loop: Header=BB300_424 Depth=1
	s_or_b64 exec, exec, s[18:19]
.LBB300_643:                            ;   in Loop: Header=BB300_424 Depth=1
	s_or_b64 exec, exec, s[16:17]
	v_cmp_lt_u32_e64 s[0:1], s5, v17
	s_and_saveexec_b64 s[16:17], s[0:1]
	s_cbranch_execz .LBB300_649
; %bb.644:                              ;   in Loop: Header=BB300_424 Depth=1
	v_lshrrev_b32_e32 v9, 24, v17
	v_cmp_ne_u32_e64 s[0:1], s28, v9
	v_bfrev_b32_e32 v31, 1
	s_and_saveexec_b64 s[18:19], s[0:1]
	s_cbranch_execz .LBB300_648
; %bb.645:                              ;   in Loop: Header=BB300_424 Depth=1
	v_bfe_u32 v0, v17, 24, 7
	v_cmp_ne_u32_e64 s[0:1], s29, v0
	v_mov_b32_e32 v31, 0x7f800001
	s_and_saveexec_b64 s[20:21], s[0:1]
	s_cbranch_execz .LBB300_647
; %bb.646:                              ;   in Loop: Header=BB300_424 Depth=1
	v_and_b32_e32 v11, 7, v9
	v_lshrrev_b32_e32 v12, 3, v0
	v_cmp_gt_u32_e64 s[0:1], 8, v0
	v_ffbh_u32_e32 v0, v11
	v_min_u32_e32 v0, 32, v0
	v_subrev_u32_e32 v19, 28, v0
	v_lshlrev_b64 v[28:29], v19, v[9:10]
	v_sub_u32_e32 v0, 29, v0
	v_and_b32_e32 v19, 7, v28
	v_cndmask_b32_e64 v0, v12, v0, s[0:1]
	v_cndmask_b32_e64 v11, v11, v19, s[0:1]
	v_lshlrev_b32_e32 v9, 24, v9
	v_bfrev_b32_e32 v12, 60
	v_lshlrev_b32_e32 v11, 20, v11
	v_and_b32_e32 v9, 0x80000000, v9
	v_lshl_add_u32 v0, v0, 23, v12
	v_or3_b32 v31, v9, v0, v11
.LBB300_647:                            ;   in Loop: Header=BB300_424 Depth=1
	s_or_b64 exec, exec, s[20:21]
.LBB300_648:                            ;   in Loop: Header=BB300_424 Depth=1
	s_or_b64 exec, exec, s[18:19]
.LBB300_649:                            ;   in Loop: Header=BB300_424 Depth=1
	s_or_b64 exec, exec, s[16:17]
	v_mov_b32_e32 v9, v18
	v_cmp_ne_u16_sdwa s[0:1], v18, v10 src0_sel:BYTE_0 src1_sel:DWORD
	v_mov_b32_e32 v29, 0
	v_mov_b32_e32 v28, 0
	s_and_saveexec_b64 s[16:17], s[0:1]
	s_cbranch_execz .LBB300_655
; %bb.650:                              ;   in Loop: Header=BB300_424 Depth=1
	v_cmp_ne_u16_sdwa s[0:1], v18, s28 src0_sel:BYTE_0 src1_sel:DWORD
	v_bfrev_b32_e32 v28, 1
	s_and_saveexec_b64 s[18:19], s[0:1]
	s_cbranch_execz .LBB300_654
; %bb.651:                              ;   in Loop: Header=BB300_424 Depth=1
	v_and_b32_e32 v0, 0x7f, v18
	v_cmp_ne_u32_e64 s[0:1], s29, v0
	v_mov_b32_e32 v28, 0x7f800001
	s_and_saveexec_b64 s[20:21], s[0:1]
	s_cbranch_execz .LBB300_653
; %bb.652:                              ;   in Loop: Header=BB300_424 Depth=1
	v_and_b32_e32 v11, 7, v18
	v_lshrrev_b32_e32 v12, 3, v0
	v_cmp_gt_u32_e64 s[0:1], 8, v0
	v_ffbh_u32_e32 v0, v11
	v_min_u32_e32 v0, 32, v0
	v_subrev_u32_e32 v11, 28, v0
	v_cndmask_b32_e64 v11, 0, v11, s[0:1]
	v_lshlrev_b64 v[33:34], v11, v[9:10]
	v_sub_u32_e32 v0, 29, v0
	v_cndmask_b32_e64 v0, v12, v0, s[0:1]
	v_lshlrev_b32_e32 v11, 20, v33
	v_lshlrev_b32_e32 v12, 24, v9
	v_bfrev_b32_e32 v19, 60
	v_and_b32_e32 v11, 0x700000, v11
	v_and_b32_e32 v12, 0x80000000, v12
	v_lshl_add_u32 v0, v0, 23, v19
	v_or3_b32 v28, v12, v0, v11
.LBB300_653:                            ;   in Loop: Header=BB300_424 Depth=1
	s_or_b64 exec, exec, s[20:21]
.LBB300_654:                            ;   in Loop: Header=BB300_424 Depth=1
	s_or_b64 exec, exec, s[18:19]
.LBB300_655:                            ;   in Loop: Header=BB300_424 Depth=1
	s_or_b64 exec, exec, s[16:17]
	v_lshrrev_b16_e32 v19, 8, v9
	v_cmp_ne_u16_e64 s[0:1], 0, v19
	s_and_saveexec_b64 s[16:17], s[0:1]
	s_cbranch_execz .LBB300_661
; %bb.656:                              ;   in Loop: Header=BB300_424 Depth=1
	v_cmp_ne_u16_e64 s[0:1], s28, v19
	v_bfrev_b32_e32 v29, 1
	s_and_saveexec_b64 s[18:19], s[0:1]
	s_cbranch_execz .LBB300_660
; %bb.657:                              ;   in Loop: Header=BB300_424 Depth=1
	v_and_b32_e32 v0, 0x7f, v19
	v_cmp_ne_u32_e64 s[0:1], s29, v0
	v_mov_b32_e32 v29, 0x7f800001
	s_and_saveexec_b64 s[20:21], s[0:1]
	s_cbranch_execz .LBB300_659
; %bb.658:                              ;   in Loop: Header=BB300_424 Depth=1
	v_and_b32_e32 v11, 7, v19
	v_lshrrev_b32_e32 v12, 3, v0
	v_cmp_gt_u32_e64 s[0:1], 8, v0
	v_ffbh_u32_e32 v0, v11
	v_min_u32_e32 v0, 32, v0
	v_subrev_u32_e32 v29, 28, v0
	v_lshlrev_b64 v[33:34], v29, v[19:20]
	v_sub_u32_e32 v0, 29, v0
	v_and_b32_e32 v19, 7, v33
	v_cndmask_b32_e64 v0, v12, v0, s[0:1]
	v_cndmask_b32_e64 v11, v11, v19, s[0:1]
	v_lshlrev_b32_e32 v9, 16, v9
	v_bfrev_b32_e32 v12, 60
	v_lshlrev_b32_e32 v11, 20, v11
	v_and_b32_e32 v9, 0x80000000, v9
	v_lshl_add_u32 v0, v0, 23, v12
	v_or3_b32 v29, v9, v0, v11
.LBB300_659:                            ;   in Loop: Header=BB300_424 Depth=1
	s_or_b64 exec, exec, s[20:21]
.LBB300_660:                            ;   in Loop: Header=BB300_424 Depth=1
	s_or_b64 exec, exec, s[18:19]
.LBB300_661:                            ;   in Loop: Header=BB300_424 Depth=1
	s_or_b64 exec, exec, s[16:17]
	v_lshrrev_b32_e32 v9, 16, v18
	v_cmp_ne_u16_sdwa s[0:1], v9, v10 src0_sel:BYTE_0 src1_sel:DWORD
	v_mov_b32_e32 v19, 0
	v_mov_b32_e32 v0, 0
	s_and_saveexec_b64 s[16:17], s[0:1]
	s_cbranch_execz .LBB300_667
; %bb.662:                              ;   in Loop: Header=BB300_424 Depth=1
	v_cmp_ne_u16_sdwa s[0:1], v9, s28 src0_sel:BYTE_0 src1_sel:DWORD
	v_bfrev_b32_e32 v0, 1
	s_and_saveexec_b64 s[18:19], s[0:1]
	s_cbranch_execz .LBB300_666
; %bb.663:                              ;   in Loop: Header=BB300_424 Depth=1
	v_bfe_u32 v33, v18, 16, 7
	v_cmp_ne_u32_e64 s[0:1], s29, v33
	v_mov_b32_e32 v0, 0x7f800001
	s_and_saveexec_b64 s[20:21], s[0:1]
	s_cbranch_execz .LBB300_665
; %bb.664:                              ;   in Loop: Header=BB300_424 Depth=1
	v_and_b32_e32 v0, 7, v9
	v_ffbh_u32_e32 v12, v0
	v_min_u32_e32 v12, 32, v12
	v_lshrrev_b32_e32 v11, 3, v33
	v_cmp_gt_u32_e64 s[0:1], 8, v33
	v_subrev_u32_e32 v33, 28, v12
	v_lshlrev_b64 v[33:34], v33, v[9:10]
	v_sub_u32_e32 v12, 29, v12
	v_and_b32_e32 v33, 7, v33
	v_cndmask_b32_e64 v11, v11, v12, s[0:1]
	v_cndmask_b32_e64 v0, v0, v33, s[0:1]
	v_lshlrev_b32_e32 v9, 24, v9
	v_bfrev_b32_e32 v12, 60
	v_lshlrev_b32_e32 v0, 20, v0
	v_and_b32_e32 v9, 0x80000000, v9
	v_lshl_add_u32 v11, v11, 23, v12
	v_or3_b32 v0, v9, v11, v0
.LBB300_665:                            ;   in Loop: Header=BB300_424 Depth=1
	s_or_b64 exec, exec, s[20:21]
.LBB300_666:                            ;   in Loop: Header=BB300_424 Depth=1
	s_or_b64 exec, exec, s[18:19]
.LBB300_667:                            ;   in Loop: Header=BB300_424 Depth=1
	s_or_b64 exec, exec, s[16:17]
	v_cmp_lt_u64_e64 s[0:1], s[4:5], v[17:18]
	s_and_saveexec_b64 s[16:17], s[0:1]
	s_cbranch_execz .LBB300_673
; %bb.668:                              ;   in Loop: Header=BB300_424 Depth=1
	v_lshrrev_b32_e32 v9, 24, v18
	v_cmp_ne_u32_e64 s[0:1], s28, v9
	v_bfrev_b32_e32 v19, 1
	s_and_saveexec_b64 s[18:19], s[0:1]
	s_cbranch_execz .LBB300_672
; %bb.669:                              ;   in Loop: Header=BB300_424 Depth=1
	v_bfe_u32 v17, v18, 24, 7
	v_cmp_ne_u32_e64 s[0:1], s29, v17
	v_mov_b32_e32 v19, 0x7f800001
	s_and_saveexec_b64 s[20:21], s[0:1]
	s_cbranch_execz .LBB300_671
; %bb.670:                              ;   in Loop: Header=BB300_424 Depth=1
	v_and_b32_e32 v11, 7, v9
	v_lshrrev_b32_e32 v12, 3, v17
	v_cmp_gt_u32_e64 s[0:1], 8, v17
	v_ffbh_u32_e32 v17, v11
	v_min_u32_e32 v19, 32, v17
	v_subrev_u32_e32 v17, 28, v19
	v_lshlrev_b64 v[17:18], v17, v[9:10]
	v_sub_u32_e32 v18, 29, v19
	v_and_b32_e32 v17, 7, v17
	v_cndmask_b32_e64 v12, v12, v18, s[0:1]
	v_cndmask_b32_e64 v11, v11, v17, s[0:1]
	v_lshlrev_b32_e32 v9, 24, v9
	v_bfrev_b32_e32 v17, 60
	v_lshlrev_b32_e32 v11, 20, v11
	v_and_b32_e32 v9, 0x80000000, v9
	v_lshl_add_u32 v12, v12, 23, v17
	v_or3_b32 v19, v9, v12, v11
.LBB300_671:                            ;   in Loop: Header=BB300_424 Depth=1
	s_or_b64 exec, exec, s[20:21]
.LBB300_672:                            ;   in Loop: Header=BB300_424 Depth=1
	s_or_b64 exec, exec, s[18:19]
.LBB300_673:                            ;   in Loop: Header=BB300_424 Depth=1
	s_or_b64 exec, exec, s[16:17]
	v_mul_f32_e32 v9, s31, v29
	v_bfe_u32 v11, v9, 16, 1
	v_add3_u32 v11, v11, v9, s30
	v_or_b32_e32 v12, 0x400000, v9
	v_cmp_u_f32_e64 s[0:1], v9, v9
	v_cndmask_b32_e64 v9, v11, v12, s[0:1]
	v_lshrrev_b32_e32 v29, 16, v9
	v_mul_f32_e32 v9, s31, v28
	v_bfe_u32 v11, v9, 16, 1
	v_add3_u32 v11, v11, v9, s30
	v_or_b32_e32 v12, 0x400000, v9
	v_cmp_u_f32_e64 s[0:1], v9, v9
	v_cndmask_b32_e64 v9, v11, v12, s[0:1]
	v_lshrrev_b32_e32 v28, 16, v9
	;; [unrolled: 7-line block ×5, first 2 shown]
	v_mul_f32_e32 v9, s31, v20
	v_bfe_u32 v11, v9, 16, 1
	v_add3_u32 v11, v11, v9, s30
	v_or_b32_e32 v12, 0x400000, v9
	v_cmp_u_f32_e64 s[0:1], v9, v9
	v_cndmask_b32_e64 v9, v11, v12, s[0:1]
	v_mul_f32_e32 v0, s31, v0
	v_lshrrev_b32_e32 v40, 16, v9
	v_bfe_u32 v9, v0, 16, 1
	v_add3_u32 v9, v9, v0, s30
	v_or_b32_e32 v11, 0x400000, v0
	v_cmp_u_f32_e64 s[0:1], v0, v0
	v_cndmask_b32_e64 v0, v9, v11, s[0:1]
	v_lshrrev_b32_e32 v30, 16, v0
	v_mul_f32_e32 v0, s31, v19
	v_bfe_u32 v9, v0, 16, 1
	v_add3_u32 v9, v9, v0, s30
	v_or_b32_e32 v11, 0x400000, v0
	v_cmp_u_f32_e64 s[0:1], v0, v0
	v_cndmask_b32_e64 v0, v9, v11, s[0:1]
	v_lshrrev_b32_e32 v39, 16, v0
	s_and_saveexec_b64 s[16:17], vcc
	s_cbranch_execz .LBB300_675
; %bb.674:                              ;   in Loop: Header=BB300_424 Depth=1
	v_cmp_gt_i32_e64 s[0:1], s33, v51
	v_cndmask_b32_e64 v40, 0, v40, s[0:1]
	v_cmp_gt_i32_e64 s[0:1], s33, v60
	v_cndmask_b32_e64 v41, 0, v41, s[0:1]
	;; [unrolled: 2-line block ×8, first 2 shown]
.LBB300_675:                            ;   in Loop: Header=BB300_424 Depth=1
	s_or_b64 exec, exec, s[16:17]
	global_load_dwordx2 v[17:18], v[15:16], off offset:2560
	v_mov_b32_e32 v22, 0
	v_mov_b32_e32 v20, 0
	s_waitcnt vmcnt(0)
	v_cmp_ne_u16_sdwa s[0:1], v17, v10 src0_sel:BYTE_0 src1_sel:DWORD
	s_and_saveexec_b64 s[16:17], s[0:1]
	s_cbranch_execz .LBB300_681
; %bb.676:                              ;   in Loop: Header=BB300_424 Depth=1
	v_cmp_ne_u16_sdwa s[0:1], v17, s28 src0_sel:BYTE_0 src1_sel:DWORD
	v_bfrev_b32_e32 v20, 1
	s_and_saveexec_b64 s[18:19], s[0:1]
	s_cbranch_execz .LBB300_680
; %bb.677:                              ;   in Loop: Header=BB300_424 Depth=1
	v_and_b32_e32 v0, 0x7f, v17
	v_cmp_ne_u32_e64 s[0:1], s29, v0
	v_mov_b32_e32 v20, 0x7f800001
	s_and_saveexec_b64 s[20:21], s[0:1]
	s_cbranch_execz .LBB300_679
; %bb.678:                              ;   in Loop: Header=BB300_424 Depth=1
	v_and_b32_e32 v9, 7, v17
	v_lshrrev_b32_e32 v11, 3, v0
	v_cmp_gt_u32_e64 s[0:1], 8, v0
	v_ffbh_u32_e32 v0, v9
	v_min_u32_e32 v0, 32, v0
	v_subrev_u32_e32 v9, 28, v0
	v_cndmask_b32_e64 v9, 0, v9, s[0:1]
	v_lshlrev_b64 v[19:20], v9, v[17:18]
	v_sub_u32_e32 v0, 29, v0
	v_cndmask_b32_e64 v0, v11, v0, s[0:1]
	v_lshlrev_b32_e32 v9, 20, v19
	v_lshlrev_b32_e32 v11, 24, v17
	v_bfrev_b32_e32 v12, 60
	v_and_b32_e32 v9, 0x700000, v9
	v_and_b32_e32 v11, 0x80000000, v11
	v_lshl_add_u32 v0, v0, 23, v12
	v_or3_b32 v20, v11, v0, v9
.LBB300_679:                            ;   in Loop: Header=BB300_424 Depth=1
	s_or_b64 exec, exec, s[20:21]
.LBB300_680:                            ;   in Loop: Header=BB300_424 Depth=1
	s_or_b64 exec, exec, s[18:19]
.LBB300_681:                            ;   in Loop: Header=BB300_424 Depth=1
	s_or_b64 exec, exec, s[16:17]
	v_lshrrev_b16_e32 v9, 8, v17
	v_cmp_ne_u16_e64 s[0:1], 0, v9
	s_and_saveexec_b64 s[16:17], s[0:1]
	s_cbranch_execz .LBB300_687
; %bb.682:                              ;   in Loop: Header=BB300_424 Depth=1
	v_cmp_ne_u16_e64 s[0:1], s28, v9
	v_bfrev_b32_e32 v22, 1
	s_and_saveexec_b64 s[18:19], s[0:1]
	s_cbranch_execz .LBB300_686
; %bb.683:                              ;   in Loop: Header=BB300_424 Depth=1
	v_and_b32_e32 v0, 0x7f, v9
	v_cmp_ne_u32_e64 s[0:1], s29, v0
	v_mov_b32_e32 v22, 0x7f800001
	s_and_saveexec_b64 s[20:21], s[0:1]
	s_cbranch_execz .LBB300_685
; %bb.684:                              ;   in Loop: Header=BB300_424 Depth=1
	v_and_b32_e32 v11, 7, v9
	v_lshrrev_b32_e32 v12, 3, v0
	v_cmp_gt_u32_e64 s[0:1], 8, v0
	v_ffbh_u32_e32 v0, v11
	v_min_u32_e32 v0, 32, v0
	v_subrev_u32_e32 v19, 28, v0
	v_lshlrev_b64 v[33:34], v19, v[9:10]
	v_sub_u32_e32 v0, 29, v0
	v_and_b32_e32 v9, 7, v33
	v_cndmask_b32_e64 v0, v12, v0, s[0:1]
	v_cndmask_b32_e64 v9, v11, v9, s[0:1]
	v_lshlrev_b32_e32 v11, 16, v17
	v_bfrev_b32_e32 v12, 60
	v_lshlrev_b32_e32 v9, 20, v9
	v_and_b32_e32 v11, 0x80000000, v11
	v_lshl_add_u32 v0, v0, 23, v12
	v_or3_b32 v22, v11, v0, v9
.LBB300_685:                            ;   in Loop: Header=BB300_424 Depth=1
	s_or_b64 exec, exec, s[20:21]
.LBB300_686:                            ;   in Loop: Header=BB300_424 Depth=1
	s_or_b64 exec, exec, s[18:19]
.LBB300_687:                            ;   in Loop: Header=BB300_424 Depth=1
	s_or_b64 exec, exec, s[16:17]
	v_lshrrev_b32_e32 v9, 16, v17
	v_cmp_ne_u16_sdwa s[0:1], v9, v10 src0_sel:BYTE_0 src1_sel:DWORD
	v_mov_b32_e32 v36, 0
	v_mov_b32_e32 v31, 0
	s_and_saveexec_b64 s[16:17], s[0:1]
	s_cbranch_execz .LBB300_693
; %bb.688:                              ;   in Loop: Header=BB300_424 Depth=1
	v_cmp_ne_u16_sdwa s[0:1], v9, s28 src0_sel:BYTE_0 src1_sel:DWORD
	v_bfrev_b32_e32 v31, 1
	s_and_saveexec_b64 s[18:19], s[0:1]
	s_cbranch_execz .LBB300_692
; %bb.689:                              ;   in Loop: Header=BB300_424 Depth=1
	v_bfe_u32 v0, v17, 16, 7
	v_cmp_ne_u32_e64 s[0:1], s29, v0
	v_mov_b32_e32 v31, 0x7f800001
	s_and_saveexec_b64 s[20:21], s[0:1]
	s_cbranch_execz .LBB300_691
; %bb.690:                              ;   in Loop: Header=BB300_424 Depth=1
	v_and_b32_e32 v11, 7, v9
	v_lshrrev_b32_e32 v12, 3, v0
	v_cmp_gt_u32_e64 s[0:1], 8, v0
	v_ffbh_u32_e32 v0, v11
	v_min_u32_e32 v0, 32, v0
	v_subrev_u32_e32 v19, 28, v0
	v_lshlrev_b64 v[33:34], v19, v[9:10]
	v_sub_u32_e32 v0, 29, v0
	v_and_b32_e32 v19, 7, v33
	v_cndmask_b32_e64 v0, v12, v0, s[0:1]
	v_cndmask_b32_e64 v11, v11, v19, s[0:1]
	v_lshlrev_b32_e32 v9, 24, v9
	v_bfrev_b32_e32 v12, 60
	v_lshlrev_b32_e32 v11, 20, v11
	v_and_b32_e32 v9, 0x80000000, v9
	v_lshl_add_u32 v0, v0, 23, v12
	v_or3_b32 v31, v9, v0, v11
.LBB300_691:                            ;   in Loop: Header=BB300_424 Depth=1
	s_or_b64 exec, exec, s[20:21]
.LBB300_692:                            ;   in Loop: Header=BB300_424 Depth=1
	s_or_b64 exec, exec, s[18:19]
.LBB300_693:                            ;   in Loop: Header=BB300_424 Depth=1
	s_or_b64 exec, exec, s[16:17]
	v_cmp_lt_u32_e64 s[0:1], s5, v17
	s_and_saveexec_b64 s[16:17], s[0:1]
	s_cbranch_execz .LBB300_699
; %bb.694:                              ;   in Loop: Header=BB300_424 Depth=1
	v_lshrrev_b32_e32 v9, 24, v17
	v_cmp_ne_u32_e64 s[0:1], s28, v9
	v_bfrev_b32_e32 v36, 1
	s_and_saveexec_b64 s[18:19], s[0:1]
	s_cbranch_execz .LBB300_698
; %bb.695:                              ;   in Loop: Header=BB300_424 Depth=1
	v_bfe_u32 v0, v17, 24, 7
	v_cmp_ne_u32_e64 s[0:1], s29, v0
	v_mov_b32_e32 v36, 0x7f800001
	s_and_saveexec_b64 s[20:21], s[0:1]
	s_cbranch_execz .LBB300_697
; %bb.696:                              ;   in Loop: Header=BB300_424 Depth=1
	v_and_b32_e32 v11, 7, v9
	v_lshrrev_b32_e32 v12, 3, v0
	v_cmp_gt_u32_e64 s[0:1], 8, v0
	v_ffbh_u32_e32 v0, v11
	v_min_u32_e32 v0, 32, v0
	v_subrev_u32_e32 v19, 28, v0
	v_lshlrev_b64 v[33:34], v19, v[9:10]
	v_sub_u32_e32 v0, 29, v0
	v_and_b32_e32 v19, 7, v33
	v_cndmask_b32_e64 v0, v12, v0, s[0:1]
	v_cndmask_b32_e64 v11, v11, v19, s[0:1]
	v_lshlrev_b32_e32 v9, 24, v9
	v_bfrev_b32_e32 v12, 60
	v_lshlrev_b32_e32 v11, 20, v11
	v_and_b32_e32 v9, 0x80000000, v9
	v_lshl_add_u32 v0, v0, 23, v12
	v_or3_b32 v36, v9, v0, v11
.LBB300_697:                            ;   in Loop: Header=BB300_424 Depth=1
	s_or_b64 exec, exec, s[20:21]
.LBB300_698:                            ;   in Loop: Header=BB300_424 Depth=1
	s_or_b64 exec, exec, s[18:19]
.LBB300_699:                            ;   in Loop: Header=BB300_424 Depth=1
	s_or_b64 exec, exec, s[16:17]
	v_mov_b32_e32 v9, v18
	v_cmp_ne_u16_sdwa s[0:1], v18, v10 src0_sel:BYTE_0 src1_sel:DWORD
	v_mov_b32_e32 v34, 0
	v_mov_b32_e32 v33, 0
	s_and_saveexec_b64 s[16:17], s[0:1]
	s_cbranch_execz .LBB300_705
; %bb.700:                              ;   in Loop: Header=BB300_424 Depth=1
	v_cmp_ne_u16_sdwa s[0:1], v18, s28 src0_sel:BYTE_0 src1_sel:DWORD
	v_bfrev_b32_e32 v33, 1
	s_and_saveexec_b64 s[18:19], s[0:1]
	s_cbranch_execz .LBB300_704
; %bb.701:                              ;   in Loop: Header=BB300_424 Depth=1
	v_and_b32_e32 v0, 0x7f, v18
	v_cmp_ne_u32_e64 s[0:1], s29, v0
	v_mov_b32_e32 v33, 0x7f800001
	s_and_saveexec_b64 s[20:21], s[0:1]
	s_cbranch_execz .LBB300_703
; %bb.702:                              ;   in Loop: Header=BB300_424 Depth=1
	v_and_b32_e32 v11, 7, v18
	v_lshrrev_b32_e32 v12, 3, v0
	v_cmp_gt_u32_e64 s[0:1], 8, v0
	v_ffbh_u32_e32 v0, v11
	v_min_u32_e32 v0, 32, v0
	v_subrev_u32_e32 v11, 28, v0
	v_cndmask_b32_e64 v11, 0, v11, s[0:1]
	v_lshlrev_b64 v[42:43], v11, v[9:10]
	v_sub_u32_e32 v0, 29, v0
	v_cndmask_b32_e64 v0, v12, v0, s[0:1]
	v_lshlrev_b32_e32 v11, 20, v42
	v_lshlrev_b32_e32 v12, 24, v9
	v_bfrev_b32_e32 v19, 60
	v_and_b32_e32 v11, 0x700000, v11
	v_and_b32_e32 v12, 0x80000000, v12
	v_lshl_add_u32 v0, v0, 23, v19
	v_or3_b32 v33, v12, v0, v11
.LBB300_703:                            ;   in Loop: Header=BB300_424 Depth=1
	s_or_b64 exec, exec, s[20:21]
.LBB300_704:                            ;   in Loop: Header=BB300_424 Depth=1
	s_or_b64 exec, exec, s[18:19]
.LBB300_705:                            ;   in Loop: Header=BB300_424 Depth=1
	s_or_b64 exec, exec, s[16:17]
	v_lshrrev_b16_e32 v19, 8, v9
	v_cmp_ne_u16_e64 s[0:1], 0, v19
	s_and_saveexec_b64 s[16:17], s[0:1]
	s_cbranch_execz .LBB300_711
; %bb.706:                              ;   in Loop: Header=BB300_424 Depth=1
	v_cmp_ne_u16_e64 s[0:1], s28, v19
	v_bfrev_b32_e32 v34, 1
	s_and_saveexec_b64 s[18:19], s[0:1]
	s_cbranch_execz .LBB300_710
; %bb.707:                              ;   in Loop: Header=BB300_424 Depth=1
	v_and_b32_e32 v0, 0x7f, v19
	v_cmp_ne_u32_e64 s[0:1], s29, v0
	v_mov_b32_e32 v34, 0x7f800001
	s_and_saveexec_b64 s[20:21], s[0:1]
	s_cbranch_execz .LBB300_709
; %bb.708:                              ;   in Loop: Header=BB300_424 Depth=1
	v_and_b32_e32 v11, 7, v19
	v_lshrrev_b32_e32 v12, 3, v0
	v_cmp_gt_u32_e64 s[0:1], 8, v0
	v_ffbh_u32_e32 v0, v11
	v_min_u32_e32 v0, 32, v0
	v_subrev_u32_e32 v34, 28, v0
	v_lshlrev_b64 v[42:43], v34, v[19:20]
	v_sub_u32_e32 v0, 29, v0
	v_and_b32_e32 v19, 7, v42
	v_cndmask_b32_e64 v0, v12, v0, s[0:1]
	v_cndmask_b32_e64 v11, v11, v19, s[0:1]
	v_lshlrev_b32_e32 v9, 16, v9
	v_bfrev_b32_e32 v12, 60
	v_lshlrev_b32_e32 v11, 20, v11
	v_and_b32_e32 v9, 0x80000000, v9
	v_lshl_add_u32 v0, v0, 23, v12
	v_or3_b32 v34, v9, v0, v11
.LBB300_709:                            ;   in Loop: Header=BB300_424 Depth=1
	s_or_b64 exec, exec, s[20:21]
.LBB300_710:                            ;   in Loop: Header=BB300_424 Depth=1
	s_or_b64 exec, exec, s[18:19]
.LBB300_711:                            ;   in Loop: Header=BB300_424 Depth=1
	s_or_b64 exec, exec, s[16:17]
	v_lshrrev_b32_e32 v9, 16, v18
	v_cmp_ne_u16_sdwa s[0:1], v9, v10 src0_sel:BYTE_0 src1_sel:DWORD
	v_mov_b32_e32 v19, 0
	v_mov_b32_e32 v0, 0
	s_and_saveexec_b64 s[16:17], s[0:1]
	s_cbranch_execz .LBB300_717
; %bb.712:                              ;   in Loop: Header=BB300_424 Depth=1
	v_cmp_ne_u16_sdwa s[0:1], v9, s28 src0_sel:BYTE_0 src1_sel:DWORD
	v_bfrev_b32_e32 v0, 1
	s_and_saveexec_b64 s[18:19], s[0:1]
	s_cbranch_execz .LBB300_716
; %bb.713:                              ;   in Loop: Header=BB300_424 Depth=1
	v_bfe_u32 v42, v18, 16, 7
	v_cmp_ne_u32_e64 s[0:1], s29, v42
	v_mov_b32_e32 v0, 0x7f800001
	s_and_saveexec_b64 s[20:21], s[0:1]
	s_cbranch_execz .LBB300_715
; %bb.714:                              ;   in Loop: Header=BB300_424 Depth=1
	v_and_b32_e32 v0, 7, v9
	v_ffbh_u32_e32 v12, v0
	v_min_u32_e32 v12, 32, v12
	v_lshrrev_b32_e32 v11, 3, v42
	v_cmp_gt_u32_e64 s[0:1], 8, v42
	v_subrev_u32_e32 v42, 28, v12
	v_lshlrev_b64 v[42:43], v42, v[9:10]
	v_sub_u32_e32 v12, 29, v12
	v_and_b32_e32 v42, 7, v42
	v_cndmask_b32_e64 v11, v11, v12, s[0:1]
	v_cndmask_b32_e64 v0, v0, v42, s[0:1]
	v_lshlrev_b32_e32 v9, 24, v9
	v_bfrev_b32_e32 v12, 60
	v_lshlrev_b32_e32 v0, 20, v0
	v_and_b32_e32 v9, 0x80000000, v9
	v_lshl_add_u32 v11, v11, 23, v12
	v_or3_b32 v0, v9, v11, v0
.LBB300_715:                            ;   in Loop: Header=BB300_424 Depth=1
	s_or_b64 exec, exec, s[20:21]
.LBB300_716:                            ;   in Loop: Header=BB300_424 Depth=1
	s_or_b64 exec, exec, s[18:19]
.LBB300_717:                            ;   in Loop: Header=BB300_424 Depth=1
	s_or_b64 exec, exec, s[16:17]
	v_cmp_lt_u64_e64 s[0:1], s[4:5], v[17:18]
	s_and_saveexec_b64 s[16:17], s[0:1]
	s_cbranch_execz .LBB300_723
; %bb.718:                              ;   in Loop: Header=BB300_424 Depth=1
	v_lshrrev_b32_e32 v9, 24, v18
	v_cmp_ne_u32_e64 s[0:1], s28, v9
	v_bfrev_b32_e32 v19, 1
	s_and_saveexec_b64 s[18:19], s[0:1]
	s_cbranch_execz .LBB300_722
; %bb.719:                              ;   in Loop: Header=BB300_424 Depth=1
	v_bfe_u32 v17, v18, 24, 7
	v_cmp_ne_u32_e64 s[0:1], s29, v17
	v_mov_b32_e32 v19, 0x7f800001
	s_and_saveexec_b64 s[20:21], s[0:1]
	s_cbranch_execz .LBB300_721
; %bb.720:                              ;   in Loop: Header=BB300_424 Depth=1
	v_and_b32_e32 v11, 7, v9
	v_lshrrev_b32_e32 v12, 3, v17
	v_cmp_gt_u32_e64 s[0:1], 8, v17
	v_ffbh_u32_e32 v17, v11
	v_min_u32_e32 v19, 32, v17
	v_subrev_u32_e32 v17, 28, v19
	v_lshlrev_b64 v[17:18], v17, v[9:10]
	v_sub_u32_e32 v18, 29, v19
	v_and_b32_e32 v17, 7, v17
	v_cndmask_b32_e64 v12, v12, v18, s[0:1]
	v_cndmask_b32_e64 v11, v11, v17, s[0:1]
	v_lshlrev_b32_e32 v9, 24, v9
	v_bfrev_b32_e32 v17, 60
	v_lshlrev_b32_e32 v11, 20, v11
	v_and_b32_e32 v9, 0x80000000, v9
	v_lshl_add_u32 v12, v12, 23, v17
	v_or3_b32 v19, v9, v12, v11
.LBB300_721:                            ;   in Loop: Header=BB300_424 Depth=1
	s_or_b64 exec, exec, s[20:21]
.LBB300_722:                            ;   in Loop: Header=BB300_424 Depth=1
	s_or_b64 exec, exec, s[18:19]
.LBB300_723:                            ;   in Loop: Header=BB300_424 Depth=1
	s_or_b64 exec, exec, s[16:17]
	v_mul_f32_e32 v9, s31, v34
	v_bfe_u32 v11, v9, 16, 1
	v_add3_u32 v11, v11, v9, s30
	v_or_b32_e32 v12, 0x400000, v9
	v_cmp_u_f32_e64 s[0:1], v9, v9
	v_cndmask_b32_e64 v9, v11, v12, s[0:1]
	v_lshrrev_b32_e32 v43, 16, v9
	v_mul_f32_e32 v9, s31, v33
	v_bfe_u32 v11, v9, 16, 1
	v_add3_u32 v11, v11, v9, s30
	v_or_b32_e32 v12, 0x400000, v9
	v_cmp_u_f32_e64 s[0:1], v9, v9
	v_cndmask_b32_e64 v9, v11, v12, s[0:1]
	v_lshrrev_b32_e32 v42, 16, v9
	;; [unrolled: 7-line block ×5, first 2 shown]
	v_mul_f32_e32 v9, s31, v20
	v_bfe_u32 v11, v9, 16, 1
	v_add3_u32 v11, v11, v9, s30
	v_or_b32_e32 v12, 0x400000, v9
	v_cmp_u_f32_e64 s[0:1], v9, v9
	v_cndmask_b32_e64 v9, v11, v12, s[0:1]
	v_mul_f32_e32 v0, s31, v0
	v_lshrrev_b32_e32 v48, 16, v9
	v_bfe_u32 v9, v0, 16, 1
	v_add3_u32 v9, v9, v0, s30
	v_or_b32_e32 v11, 0x400000, v0
	v_cmp_u_f32_e64 s[0:1], v0, v0
	v_cndmask_b32_e64 v0, v9, v11, s[0:1]
	v_lshrrev_b32_e32 v44, 16, v0
	v_mul_f32_e32 v0, s31, v19
	v_bfe_u32 v9, v0, 16, 1
	v_add3_u32 v9, v9, v0, s30
	v_or_b32_e32 v11, 0x400000, v0
	v_cmp_u_f32_e64 s[0:1], v0, v0
	v_cndmask_b32_e64 v0, v9, v11, s[0:1]
	v_lshrrev_b32_e32 v47, 16, v0
	s_and_saveexec_b64 s[16:17], vcc
	s_cbranch_execz .LBB300_725
; %bb.724:                              ;   in Loop: Header=BB300_424 Depth=1
	v_cmp_gt_i32_e64 s[0:1], s33, v51
	v_cndmask_b32_e64 v48, 0, v48, s[0:1]
	v_cmp_gt_i32_e64 s[0:1], s33, v60
	v_cndmask_b32_e64 v49, 0, v49, s[0:1]
	v_cmp_gt_i32_e64 s[0:1], s33, v59
	v_cndmask_b32_e64 v45, 0, v45, s[0:1]
	v_cmp_gt_i32_e64 s[0:1], s33, v58
	v_cndmask_b32_e64 v46, 0, v46, s[0:1]
	v_cmp_gt_i32_e64 s[0:1], s33, v57
	v_cndmask_b32_e64 v42, 0, v42, s[0:1]
	v_cmp_gt_i32_e64 s[0:1], s33, v56
	v_cndmask_b32_e64 v43, 0, v43, s[0:1]
	v_cmp_gt_i32_e64 s[0:1], s33, v55
	v_cndmask_b32_e64 v44, 0, v44, s[0:1]
	v_cmp_gt_i32_e64 s[0:1], s33, v54
	v_cndmask_b32_e64 v47, 0, v47, s[0:1]
.LBB300_725:                            ;   in Loop: Header=BB300_424 Depth=1
	s_or_b64 exec, exec, s[16:17]
	global_load_dwordx2 v[17:18], v[15:16], off offset:3072
	v_mov_b32_e32 v22, 0
	v_mov_b32_e32 v20, 0
	s_waitcnt vmcnt(0)
	v_cmp_ne_u16_sdwa s[0:1], v17, v10 src0_sel:BYTE_0 src1_sel:DWORD
	s_and_saveexec_b64 s[16:17], s[0:1]
	s_cbranch_execz .LBB300_731
; %bb.726:                              ;   in Loop: Header=BB300_424 Depth=1
	v_cmp_ne_u16_sdwa s[0:1], v17, s28 src0_sel:BYTE_0 src1_sel:DWORD
	v_bfrev_b32_e32 v20, 1
	s_and_saveexec_b64 s[18:19], s[0:1]
	s_cbranch_execz .LBB300_730
; %bb.727:                              ;   in Loop: Header=BB300_424 Depth=1
	v_and_b32_e32 v0, 0x7f, v17
	v_cmp_ne_u32_e64 s[0:1], s29, v0
	v_mov_b32_e32 v20, 0x7f800001
	s_and_saveexec_b64 s[20:21], s[0:1]
	s_cbranch_execz .LBB300_729
; %bb.728:                              ;   in Loop: Header=BB300_424 Depth=1
	v_and_b32_e32 v9, 7, v17
	v_lshrrev_b32_e32 v11, 3, v0
	v_cmp_gt_u32_e64 s[0:1], 8, v0
	v_ffbh_u32_e32 v0, v9
	v_min_u32_e32 v0, 32, v0
	v_subrev_u32_e32 v9, 28, v0
	v_cndmask_b32_e64 v9, 0, v9, s[0:1]
	v_lshlrev_b64 v[19:20], v9, v[17:18]
	v_sub_u32_e32 v0, 29, v0
	v_cndmask_b32_e64 v0, v11, v0, s[0:1]
	v_lshlrev_b32_e32 v9, 20, v19
	v_lshlrev_b32_e32 v11, 24, v17
	v_bfrev_b32_e32 v12, 60
	v_and_b32_e32 v9, 0x700000, v9
	v_and_b32_e32 v11, 0x80000000, v11
	v_lshl_add_u32 v0, v0, 23, v12
	v_or3_b32 v20, v11, v0, v9
.LBB300_729:                            ;   in Loop: Header=BB300_424 Depth=1
	s_or_b64 exec, exec, s[20:21]
.LBB300_730:                            ;   in Loop: Header=BB300_424 Depth=1
	s_or_b64 exec, exec, s[18:19]
.LBB300_731:                            ;   in Loop: Header=BB300_424 Depth=1
	s_or_b64 exec, exec, s[16:17]
	v_lshrrev_b16_e32 v9, 8, v17
	v_cmp_ne_u16_e64 s[0:1], 0, v9
	s_and_saveexec_b64 s[16:17], s[0:1]
	s_cbranch_execz .LBB300_737
; %bb.732:                              ;   in Loop: Header=BB300_424 Depth=1
	v_cmp_ne_u16_e64 s[0:1], s28, v9
	v_bfrev_b32_e32 v22, 1
	s_and_saveexec_b64 s[18:19], s[0:1]
	s_cbranch_execz .LBB300_736
; %bb.733:                              ;   in Loop: Header=BB300_424 Depth=1
	v_and_b32_e32 v0, 0x7f, v9
	v_cmp_ne_u32_e64 s[0:1], s29, v0
	v_mov_b32_e32 v22, 0x7f800001
	s_and_saveexec_b64 s[20:21], s[0:1]
	s_cbranch_execz .LBB300_735
; %bb.734:                              ;   in Loop: Header=BB300_424 Depth=1
	v_and_b32_e32 v11, 7, v9
	v_lshrrev_b32_e32 v12, 3, v0
	v_cmp_gt_u32_e64 s[0:1], 8, v0
	v_ffbh_u32_e32 v0, v11
	v_min_u32_e32 v0, 32, v0
	v_subrev_u32_e32 v19, 28, v0
	v_lshlrev_b64 v[33:34], v19, v[9:10]
	v_sub_u32_e32 v0, 29, v0
	v_and_b32_e32 v9, 7, v33
	v_cndmask_b32_e64 v0, v12, v0, s[0:1]
	v_cndmask_b32_e64 v9, v11, v9, s[0:1]
	v_lshlrev_b32_e32 v11, 16, v17
	v_bfrev_b32_e32 v12, 60
	v_lshlrev_b32_e32 v9, 20, v9
	v_and_b32_e32 v11, 0x80000000, v11
	v_lshl_add_u32 v0, v0, 23, v12
	v_or3_b32 v22, v11, v0, v9
.LBB300_735:                            ;   in Loop: Header=BB300_424 Depth=1
	s_or_b64 exec, exec, s[20:21]
.LBB300_736:                            ;   in Loop: Header=BB300_424 Depth=1
	s_or_b64 exec, exec, s[18:19]
.LBB300_737:                            ;   in Loop: Header=BB300_424 Depth=1
	s_or_b64 exec, exec, s[16:17]
	v_lshrrev_b32_e32 v9, 16, v17
	v_cmp_ne_u16_sdwa s[0:1], v9, v10 src0_sel:BYTE_0 src1_sel:DWORD
	v_mov_b32_e32 v36, 0
	v_mov_b32_e32 v31, 0
	s_and_saveexec_b64 s[16:17], s[0:1]
	s_cbranch_execz .LBB300_743
; %bb.738:                              ;   in Loop: Header=BB300_424 Depth=1
	v_cmp_ne_u16_sdwa s[0:1], v9, s28 src0_sel:BYTE_0 src1_sel:DWORD
	v_bfrev_b32_e32 v31, 1
	s_and_saveexec_b64 s[18:19], s[0:1]
	s_cbranch_execz .LBB300_742
; %bb.739:                              ;   in Loop: Header=BB300_424 Depth=1
	v_bfe_u32 v0, v17, 16, 7
	v_cmp_ne_u32_e64 s[0:1], s29, v0
	v_mov_b32_e32 v31, 0x7f800001
	s_and_saveexec_b64 s[20:21], s[0:1]
	s_cbranch_execz .LBB300_741
; %bb.740:                              ;   in Loop: Header=BB300_424 Depth=1
	v_and_b32_e32 v11, 7, v9
	v_lshrrev_b32_e32 v12, 3, v0
	v_cmp_gt_u32_e64 s[0:1], 8, v0
	v_ffbh_u32_e32 v0, v11
	v_min_u32_e32 v0, 32, v0
	v_subrev_u32_e32 v19, 28, v0
	v_lshlrev_b64 v[33:34], v19, v[9:10]
	v_sub_u32_e32 v0, 29, v0
	v_and_b32_e32 v19, 7, v33
	v_cndmask_b32_e64 v0, v12, v0, s[0:1]
	v_cndmask_b32_e64 v11, v11, v19, s[0:1]
	v_lshlrev_b32_e32 v9, 24, v9
	v_bfrev_b32_e32 v12, 60
	v_lshlrev_b32_e32 v11, 20, v11
	v_and_b32_e32 v9, 0x80000000, v9
	v_lshl_add_u32 v0, v0, 23, v12
	v_or3_b32 v31, v9, v0, v11
.LBB300_741:                            ;   in Loop: Header=BB300_424 Depth=1
	s_or_b64 exec, exec, s[20:21]
.LBB300_742:                            ;   in Loop: Header=BB300_424 Depth=1
	s_or_b64 exec, exec, s[18:19]
.LBB300_743:                            ;   in Loop: Header=BB300_424 Depth=1
	s_or_b64 exec, exec, s[16:17]
	v_cmp_lt_u32_e64 s[0:1], s5, v17
	s_and_saveexec_b64 s[16:17], s[0:1]
	s_cbranch_execz .LBB300_749
; %bb.744:                              ;   in Loop: Header=BB300_424 Depth=1
	v_lshrrev_b32_e32 v9, 24, v17
	v_cmp_ne_u32_e64 s[0:1], s28, v9
	v_bfrev_b32_e32 v36, 1
	s_and_saveexec_b64 s[18:19], s[0:1]
	s_cbranch_execz .LBB300_748
; %bb.745:                              ;   in Loop: Header=BB300_424 Depth=1
	v_bfe_u32 v0, v17, 24, 7
	v_cmp_ne_u32_e64 s[0:1], s29, v0
	v_mov_b32_e32 v36, 0x7f800001
	s_and_saveexec_b64 s[20:21], s[0:1]
	s_cbranch_execz .LBB300_747
; %bb.746:                              ;   in Loop: Header=BB300_424 Depth=1
	v_and_b32_e32 v11, 7, v9
	v_lshrrev_b32_e32 v12, 3, v0
	v_cmp_gt_u32_e64 s[0:1], 8, v0
	v_ffbh_u32_e32 v0, v11
	v_min_u32_e32 v0, 32, v0
	v_subrev_u32_e32 v19, 28, v0
	v_lshlrev_b64 v[33:34], v19, v[9:10]
	v_sub_u32_e32 v0, 29, v0
	v_and_b32_e32 v19, 7, v33
	v_cndmask_b32_e64 v0, v12, v0, s[0:1]
	v_cndmask_b32_e64 v11, v11, v19, s[0:1]
	v_lshlrev_b32_e32 v9, 24, v9
	v_bfrev_b32_e32 v12, 60
	v_lshlrev_b32_e32 v11, 20, v11
	v_and_b32_e32 v9, 0x80000000, v9
	v_lshl_add_u32 v0, v0, 23, v12
	v_or3_b32 v36, v9, v0, v11
.LBB300_747:                            ;   in Loop: Header=BB300_424 Depth=1
	s_or_b64 exec, exec, s[20:21]
.LBB300_748:                            ;   in Loop: Header=BB300_424 Depth=1
	s_or_b64 exec, exec, s[18:19]
.LBB300_749:                            ;   in Loop: Header=BB300_424 Depth=1
	s_or_b64 exec, exec, s[16:17]
	v_mov_b32_e32 v9, v18
	v_cmp_ne_u16_sdwa s[0:1], v18, v10 src0_sel:BYTE_0 src1_sel:DWORD
	v_mov_b32_e32 v34, 0
	v_mov_b32_e32 v33, 0
	s_and_saveexec_b64 s[16:17], s[0:1]
	s_cbranch_execz .LBB300_755
; %bb.750:                              ;   in Loop: Header=BB300_424 Depth=1
	v_cmp_ne_u16_sdwa s[0:1], v18, s28 src0_sel:BYTE_0 src1_sel:DWORD
	v_bfrev_b32_e32 v33, 1
	s_and_saveexec_b64 s[18:19], s[0:1]
	s_cbranch_execz .LBB300_754
; %bb.751:                              ;   in Loop: Header=BB300_424 Depth=1
	v_and_b32_e32 v0, 0x7f, v18
	v_cmp_ne_u32_e64 s[0:1], s29, v0
	v_mov_b32_e32 v33, 0x7f800001
	s_and_saveexec_b64 s[20:21], s[0:1]
	s_cbranch_execz .LBB300_753
; %bb.752:                              ;   in Loop: Header=BB300_424 Depth=1
	v_and_b32_e32 v11, 7, v18
	v_lshrrev_b32_e32 v12, 3, v0
	v_cmp_gt_u32_e64 s[0:1], 8, v0
	v_ffbh_u32_e32 v0, v11
	v_min_u32_e32 v0, 32, v0
	v_subrev_u32_e32 v11, 28, v0
	v_cndmask_b32_e64 v11, 0, v11, s[0:1]
	v_lshlrev_b64 v[52:53], v11, v[9:10]
	v_sub_u32_e32 v0, 29, v0
	v_cndmask_b32_e64 v0, v12, v0, s[0:1]
	v_lshlrev_b32_e32 v11, 20, v52
	v_lshlrev_b32_e32 v12, 24, v9
	v_bfrev_b32_e32 v19, 60
	v_and_b32_e32 v11, 0x700000, v11
	v_and_b32_e32 v12, 0x80000000, v12
	v_lshl_add_u32 v0, v0, 23, v19
	v_or3_b32 v33, v12, v0, v11
.LBB300_753:                            ;   in Loop: Header=BB300_424 Depth=1
	s_or_b64 exec, exec, s[20:21]
.LBB300_754:                            ;   in Loop: Header=BB300_424 Depth=1
	s_or_b64 exec, exec, s[18:19]
.LBB300_755:                            ;   in Loop: Header=BB300_424 Depth=1
	s_or_b64 exec, exec, s[16:17]
	v_lshrrev_b16_e32 v19, 8, v9
	v_cmp_ne_u16_e64 s[0:1], 0, v19
	s_and_saveexec_b64 s[16:17], s[0:1]
	s_cbranch_execz .LBB300_761
; %bb.756:                              ;   in Loop: Header=BB300_424 Depth=1
	v_cmp_ne_u16_e64 s[0:1], s28, v19
	v_bfrev_b32_e32 v34, 1
	s_and_saveexec_b64 s[18:19], s[0:1]
	s_cbranch_execz .LBB300_760
; %bb.757:                              ;   in Loop: Header=BB300_424 Depth=1
	v_and_b32_e32 v0, 0x7f, v19
	v_cmp_ne_u32_e64 s[0:1], s29, v0
	v_mov_b32_e32 v34, 0x7f800001
	s_and_saveexec_b64 s[20:21], s[0:1]
	s_cbranch_execz .LBB300_759
; %bb.758:                              ;   in Loop: Header=BB300_424 Depth=1
	v_and_b32_e32 v11, 7, v19
	v_lshrrev_b32_e32 v12, 3, v0
	v_cmp_gt_u32_e64 s[0:1], 8, v0
	v_ffbh_u32_e32 v0, v11
	v_min_u32_e32 v0, 32, v0
	v_subrev_u32_e32 v34, 28, v0
	v_lshlrev_b64 v[52:53], v34, v[19:20]
	v_sub_u32_e32 v0, 29, v0
	v_and_b32_e32 v19, 7, v52
	v_cndmask_b32_e64 v0, v12, v0, s[0:1]
	v_cndmask_b32_e64 v11, v11, v19, s[0:1]
	v_lshlrev_b32_e32 v9, 16, v9
	v_bfrev_b32_e32 v12, 60
	v_lshlrev_b32_e32 v11, 20, v11
	v_and_b32_e32 v9, 0x80000000, v9
	v_lshl_add_u32 v0, v0, 23, v12
	v_or3_b32 v34, v9, v0, v11
.LBB300_759:                            ;   in Loop: Header=BB300_424 Depth=1
	s_or_b64 exec, exec, s[20:21]
.LBB300_760:                            ;   in Loop: Header=BB300_424 Depth=1
	s_or_b64 exec, exec, s[18:19]
.LBB300_761:                            ;   in Loop: Header=BB300_424 Depth=1
	s_or_b64 exec, exec, s[16:17]
	v_lshrrev_b32_e32 v9, 16, v18
	v_cmp_ne_u16_sdwa s[0:1], v9, v10 src0_sel:BYTE_0 src1_sel:DWORD
	v_mov_b32_e32 v53, 0
	v_mov_b32_e32 v0, 0
	s_and_saveexec_b64 s[16:17], s[0:1]
	s_cbranch_execz .LBB300_767
; %bb.762:                              ;   in Loop: Header=BB300_424 Depth=1
	v_cmp_ne_u16_sdwa s[0:1], v9, s28 src0_sel:BYTE_0 src1_sel:DWORD
	v_bfrev_b32_e32 v0, 1
	s_and_saveexec_b64 s[18:19], s[0:1]
	s_cbranch_execz .LBB300_766
; %bb.763:                              ;   in Loop: Header=BB300_424 Depth=1
	v_bfe_u32 v19, v18, 16, 7
	v_cmp_ne_u32_e64 s[0:1], s29, v19
	v_mov_b32_e32 v0, 0x7f800001
	s_and_saveexec_b64 s[20:21], s[0:1]
	s_cbranch_execz .LBB300_765
; %bb.764:                              ;   in Loop: Header=BB300_424 Depth=1
	v_and_b32_e32 v0, 7, v9
	v_ffbh_u32_e32 v12, v0
	v_min_u32_e32 v12, 32, v12
	v_lshrrev_b32_e32 v11, 3, v19
	v_cmp_gt_u32_e64 s[0:1], 8, v19
	v_subrev_u32_e32 v19, 28, v12
	v_lshlrev_b64 v[61:62], v19, v[9:10]
	v_sub_u32_e32 v12, 29, v12
	v_and_b32_e32 v19, 7, v61
	v_cndmask_b32_e64 v11, v11, v12, s[0:1]
	v_cndmask_b32_e64 v0, v0, v19, s[0:1]
	v_lshlrev_b32_e32 v9, 24, v9
	v_bfrev_b32_e32 v12, 60
	v_lshlrev_b32_e32 v0, 20, v0
	v_and_b32_e32 v9, 0x80000000, v9
	v_lshl_add_u32 v11, v11, 23, v12
	v_or3_b32 v0, v9, v11, v0
.LBB300_765:                            ;   in Loop: Header=BB300_424 Depth=1
	s_or_b64 exec, exec, s[20:21]
.LBB300_766:                            ;   in Loop: Header=BB300_424 Depth=1
	s_or_b64 exec, exec, s[18:19]
.LBB300_767:                            ;   in Loop: Header=BB300_424 Depth=1
	s_or_b64 exec, exec, s[16:17]
	v_cmp_lt_u64_e64 s[0:1], s[4:5], v[17:18]
	s_and_saveexec_b64 s[16:17], s[0:1]
	s_cbranch_execz .LBB300_773
; %bb.768:                              ;   in Loop: Header=BB300_424 Depth=1
	v_lshrrev_b32_e32 v9, 24, v18
	v_cmp_ne_u32_e64 s[0:1], s28, v9
	v_bfrev_b32_e32 v53, 1
	s_and_saveexec_b64 s[18:19], s[0:1]
	s_cbranch_execz .LBB300_772
; %bb.769:                              ;   in Loop: Header=BB300_424 Depth=1
	v_bfe_u32 v17, v18, 24, 7
	v_cmp_ne_u32_e64 s[0:1], s29, v17
	v_mov_b32_e32 v53, 0x7f800001
	s_and_saveexec_b64 s[20:21], s[0:1]
	s_cbranch_execz .LBB300_771
; %bb.770:                              ;   in Loop: Header=BB300_424 Depth=1
	v_and_b32_e32 v11, 7, v9
	v_lshrrev_b32_e32 v12, 3, v17
	v_cmp_gt_u32_e64 s[0:1], 8, v17
	v_ffbh_u32_e32 v17, v11
	v_min_u32_e32 v19, 32, v17
	v_subrev_u32_e32 v17, 28, v19
	v_lshlrev_b64 v[17:18], v17, v[9:10]
	v_sub_u32_e32 v18, 29, v19
	v_and_b32_e32 v17, 7, v17
	v_cndmask_b32_e64 v12, v12, v18, s[0:1]
	v_cndmask_b32_e64 v11, v11, v17, s[0:1]
	v_lshlrev_b32_e32 v9, 24, v9
	v_bfrev_b32_e32 v17, 60
	v_lshlrev_b32_e32 v11, 20, v11
	v_and_b32_e32 v9, 0x80000000, v9
	v_lshl_add_u32 v12, v12, 23, v17
	v_or3_b32 v53, v9, v12, v11
.LBB300_771:                            ;   in Loop: Header=BB300_424 Depth=1
	s_or_b64 exec, exec, s[20:21]
.LBB300_772:                            ;   in Loop: Header=BB300_424 Depth=1
	s_or_b64 exec, exec, s[18:19]
.LBB300_773:                            ;   in Loop: Header=BB300_424 Depth=1
	s_or_b64 exec, exec, s[16:17]
	v_mul_f32_e32 v9, s31, v34
	v_bfe_u32 v11, v9, 16, 1
	v_add3_u32 v11, v11, v9, s30
	v_or_b32_e32 v12, 0x400000, v9
	v_cmp_u_f32_e64 s[0:1], v9, v9
	v_cndmask_b32_e64 v9, v11, v12, s[0:1]
	v_lshrrev_b32_e32 v19, 16, v9
	v_mul_f32_e32 v9, s31, v33
	v_bfe_u32 v11, v9, 16, 1
	v_add3_u32 v11, v11, v9, s30
	v_or_b32_e32 v12, 0x400000, v9
	v_cmp_u_f32_e64 s[0:1], v9, v9
	v_cndmask_b32_e64 v9, v11, v12, s[0:1]
	v_lshrrev_b32_e32 v18, 16, v9
	v_mul_f32_e32 v9, s31, v36
	v_bfe_u32 v11, v9, 16, 1
	v_add3_u32 v11, v11, v9, s30
	v_or_b32_e32 v12, 0x400000, v9
	v_cmp_u_f32_e64 s[0:1], v9, v9
	v_cndmask_b32_e64 v9, v11, v12, s[0:1]
	v_lshrrev_b32_e32 v36, 16, v9
	v_mul_f32_e32 v9, s31, v31
	v_bfe_u32 v11, v9, 16, 1
	v_add3_u32 v11, v11, v9, s30
	v_or_b32_e32 v12, 0x400000, v9
	v_cmp_u_f32_e64 s[0:1], v9, v9
	v_cndmask_b32_e64 v9, v11, v12, s[0:1]
	v_lshrrev_b32_e32 v52, 16, v9
	v_mul_f32_e32 v9, s31, v22
	v_bfe_u32 v11, v9, 16, 1
	v_add3_u32 v11, v11, v9, s30
	v_or_b32_e32 v12, 0x400000, v9
	v_cmp_u_f32_e64 s[0:1], v9, v9
	v_cndmask_b32_e64 v9, v11, v12, s[0:1]
	v_lshrrev_b32_e32 v62, 16, v9
	v_mul_f32_e32 v9, s31, v20
	v_bfe_u32 v11, v9, 16, 1
	v_add3_u32 v11, v11, v9, s30
	v_or_b32_e32 v12, 0x400000, v9
	v_cmp_u_f32_e64 s[0:1], v9, v9
	v_cndmask_b32_e64 v9, v11, v12, s[0:1]
	v_mul_f32_e32 v0, s31, v0
	v_lshrrev_b32_e32 v61, 16, v9
	v_bfe_u32 v9, v0, 16, 1
	v_add3_u32 v9, v9, v0, s30
	v_or_b32_e32 v11, 0x400000, v0
	v_cmp_u_f32_e64 s[0:1], v0, v0
	v_cndmask_b32_e64 v0, v9, v11, s[0:1]
	v_lshrrev_b32_e32 v50, 16, v0
	v_mul_f32_e32 v0, s31, v53
	v_bfe_u32 v9, v0, 16, 1
	v_add3_u32 v9, v9, v0, s30
	v_or_b32_e32 v11, 0x400000, v0
	v_cmp_u_f32_e64 s[0:1], v0, v0
	v_cndmask_b32_e64 v0, v9, v11, s[0:1]
	v_lshrrev_b32_e32 v53, 16, v0
	s_and_saveexec_b64 s[16:17], vcc
	s_cbranch_execz .LBB300_775
; %bb.774:                              ;   in Loop: Header=BB300_424 Depth=1
	v_cmp_gt_i32_e64 s[0:1], s33, v51
	v_cndmask_b32_e64 v61, 0, v61, s[0:1]
	v_cmp_gt_i32_e64 s[0:1], s33, v60
	v_cndmask_b32_e64 v62, 0, v62, s[0:1]
	;; [unrolled: 2-line block ×8, first 2 shown]
.LBB300_775:                            ;   in Loop: Header=BB300_424 Depth=1
	s_or_b64 exec, exec, s[16:17]
	global_load_dwordx2 v[15:16], v[15:16], off offset:3584
	v_mov_b32_e32 v20, 0
	v_mov_b32_e32 v31, 0
	s_waitcnt vmcnt(0)
	v_cmp_ne_u16_sdwa s[0:1], v15, v10 src0_sel:BYTE_0 src1_sel:DWORD
	s_and_saveexec_b64 s[16:17], s[0:1]
	s_cbranch_execz .LBB300_781
; %bb.776:                              ;   in Loop: Header=BB300_424 Depth=1
	v_cmp_ne_u16_sdwa s[0:1], v15, s28 src0_sel:BYTE_0 src1_sel:DWORD
	v_bfrev_b32_e32 v31, 1
	s_and_saveexec_b64 s[18:19], s[0:1]
	s_cbranch_execz .LBB300_780
; %bb.777:                              ;   in Loop: Header=BB300_424 Depth=1
	v_and_b32_e32 v0, 0x7f, v15
	v_cmp_ne_u32_e64 s[0:1], s29, v0
	v_mov_b32_e32 v31, 0x7f800001
	s_and_saveexec_b64 s[20:21], s[0:1]
	s_cbranch_execz .LBB300_779
; %bb.778:                              ;   in Loop: Header=BB300_424 Depth=1
	v_and_b32_e32 v9, 7, v15
	v_lshrrev_b32_e32 v11, 3, v0
	v_cmp_gt_u32_e64 s[0:1], 8, v0
	v_ffbh_u32_e32 v0, v9
	v_min_u32_e32 v0, 32, v0
	v_subrev_u32_e32 v9, 28, v0
	v_cndmask_b32_e64 v9, 0, v9, s[0:1]
	v_lshlrev_b64 v[33:34], v9, v[15:16]
	v_sub_u32_e32 v0, 29, v0
	v_cndmask_b32_e64 v0, v11, v0, s[0:1]
	v_lshlrev_b32_e32 v9, 20, v33
	v_lshlrev_b32_e32 v11, 24, v15
	v_bfrev_b32_e32 v12, 60
	v_and_b32_e32 v9, 0x700000, v9
	v_and_b32_e32 v11, 0x80000000, v11
	v_lshl_add_u32 v0, v0, 23, v12
	v_or3_b32 v31, v11, v0, v9
.LBB300_779:                            ;   in Loop: Header=BB300_424 Depth=1
	s_or_b64 exec, exec, s[20:21]
.LBB300_780:                            ;   in Loop: Header=BB300_424 Depth=1
	s_or_b64 exec, exec, s[18:19]
.LBB300_781:                            ;   in Loop: Header=BB300_424 Depth=1
	s_or_b64 exec, exec, s[16:17]
	v_lshrrev_b16_e32 v9, 8, v15
	v_cmp_ne_u16_e64 s[0:1], 0, v9
	s_and_saveexec_b64 s[16:17], s[0:1]
	s_cbranch_execz .LBB300_787
; %bb.782:                              ;   in Loop: Header=BB300_424 Depth=1
	v_cmp_ne_u16_e64 s[0:1], s28, v9
	v_bfrev_b32_e32 v20, 1
	s_and_saveexec_b64 s[18:19], s[0:1]
	s_cbranch_execz .LBB300_786
; %bb.783:                              ;   in Loop: Header=BB300_424 Depth=1
	v_and_b32_e32 v0, 0x7f, v9
	v_cmp_ne_u32_e64 s[0:1], s29, v0
	v_mov_b32_e32 v20, 0x7f800001
	s_and_saveexec_b64 s[20:21], s[0:1]
	s_cbranch_execz .LBB300_785
; %bb.784:                              ;   in Loop: Header=BB300_424 Depth=1
	v_and_b32_e32 v11, 7, v9
	v_lshrrev_b32_e32 v12, 3, v0
	v_cmp_gt_u32_e64 s[0:1], 8, v0
	v_ffbh_u32_e32 v0, v11
	v_min_u32_e32 v0, 32, v0
	v_subrev_u32_e32 v17, 28, v0
	v_lshlrev_b64 v[33:34], v17, v[9:10]
	v_sub_u32_e32 v0, 29, v0
	v_and_b32_e32 v9, 7, v33
	v_cndmask_b32_e64 v0, v12, v0, s[0:1]
	v_cndmask_b32_e64 v9, v11, v9, s[0:1]
	v_lshlrev_b32_e32 v11, 16, v15
	v_bfrev_b32_e32 v12, 60
	v_lshlrev_b32_e32 v9, 20, v9
	v_and_b32_e32 v11, 0x80000000, v11
	v_lshl_add_u32 v0, v0, 23, v12
	v_or3_b32 v20, v11, v0, v9
.LBB300_785:                            ;   in Loop: Header=BB300_424 Depth=1
	s_or_b64 exec, exec, s[20:21]
.LBB300_786:                            ;   in Loop: Header=BB300_424 Depth=1
	s_or_b64 exec, exec, s[18:19]
.LBB300_787:                            ;   in Loop: Header=BB300_424 Depth=1
	s_or_b64 exec, exec, s[16:17]
	v_lshrrev_b32_e32 v9, 16, v15
	v_cmp_ne_u16_sdwa s[0:1], v9, v10 src0_sel:BYTE_0 src1_sel:DWORD
	v_mov_b32_e32 v63, 0
	v_mov_b32_e32 v22, 0
	s_and_saveexec_b64 s[16:17], s[0:1]
	s_cbranch_execz .LBB300_793
; %bb.788:                              ;   in Loop: Header=BB300_424 Depth=1
	v_cmp_ne_u16_sdwa s[0:1], v9, s28 src0_sel:BYTE_0 src1_sel:DWORD
	v_bfrev_b32_e32 v22, 1
	s_and_saveexec_b64 s[18:19], s[0:1]
	s_cbranch_execz .LBB300_792
; %bb.789:                              ;   in Loop: Header=BB300_424 Depth=1
	v_bfe_u32 v0, v15, 16, 7
	v_cmp_ne_u32_e64 s[0:1], s29, v0
	v_mov_b32_e32 v22, 0x7f800001
	s_and_saveexec_b64 s[20:21], s[0:1]
	s_cbranch_execz .LBB300_791
; %bb.790:                              ;   in Loop: Header=BB300_424 Depth=1
	v_and_b32_e32 v11, 7, v9
	v_lshrrev_b32_e32 v12, 3, v0
	v_cmp_gt_u32_e64 s[0:1], 8, v0
	v_ffbh_u32_e32 v0, v11
	v_min_u32_e32 v0, 32, v0
	v_subrev_u32_e32 v17, 28, v0
	v_lshlrev_b64 v[33:34], v17, v[9:10]
	v_sub_u32_e32 v0, 29, v0
	v_and_b32_e32 v17, 7, v33
	v_cndmask_b32_e64 v0, v12, v0, s[0:1]
	v_cndmask_b32_e64 v11, v11, v17, s[0:1]
	v_lshlrev_b32_e32 v9, 24, v9
	v_bfrev_b32_e32 v12, 60
	v_lshlrev_b32_e32 v11, 20, v11
	v_and_b32_e32 v9, 0x80000000, v9
	v_lshl_add_u32 v0, v0, 23, v12
	v_or3_b32 v22, v9, v0, v11
.LBB300_791:                            ;   in Loop: Header=BB300_424 Depth=1
	s_or_b64 exec, exec, s[20:21]
.LBB300_792:                            ;   in Loop: Header=BB300_424 Depth=1
	s_or_b64 exec, exec, s[18:19]
.LBB300_793:                            ;   in Loop: Header=BB300_424 Depth=1
	s_or_b64 exec, exec, s[16:17]
	v_cmp_lt_u32_e64 s[0:1], s5, v15
	s_and_saveexec_b64 s[16:17], s[0:1]
	s_cbranch_execz .LBB300_799
; %bb.794:                              ;   in Loop: Header=BB300_424 Depth=1
	v_lshrrev_b32_e32 v9, 24, v15
	v_cmp_ne_u32_e64 s[0:1], s28, v9
	v_bfrev_b32_e32 v63, 1
	s_and_saveexec_b64 s[18:19], s[0:1]
	s_cbranch_execz .LBB300_798
; %bb.795:                              ;   in Loop: Header=BB300_424 Depth=1
	v_bfe_u32 v0, v15, 24, 7
	v_cmp_ne_u32_e64 s[0:1], s29, v0
	v_mov_b32_e32 v63, 0x7f800001
	s_and_saveexec_b64 s[20:21], s[0:1]
	s_cbranch_execz .LBB300_797
; %bb.796:                              ;   in Loop: Header=BB300_424 Depth=1
	v_and_b32_e32 v11, 7, v9
	v_lshrrev_b32_e32 v12, 3, v0
	v_cmp_gt_u32_e64 s[0:1], 8, v0
	v_ffbh_u32_e32 v0, v11
	v_min_u32_e32 v0, 32, v0
	v_subrev_u32_e32 v17, 28, v0
	v_lshlrev_b64 v[33:34], v17, v[9:10]
	v_sub_u32_e32 v0, 29, v0
	v_and_b32_e32 v17, 7, v33
	v_cndmask_b32_e64 v0, v12, v0, s[0:1]
	v_cndmask_b32_e64 v11, v11, v17, s[0:1]
	v_lshlrev_b32_e32 v9, 24, v9
	v_bfrev_b32_e32 v12, 60
	v_lshlrev_b32_e32 v11, 20, v11
	v_and_b32_e32 v9, 0x80000000, v9
	v_lshl_add_u32 v0, v0, 23, v12
	v_or3_b32 v63, v9, v0, v11
.LBB300_797:                            ;   in Loop: Header=BB300_424 Depth=1
	s_or_b64 exec, exec, s[20:21]
.LBB300_798:                            ;   in Loop: Header=BB300_424 Depth=1
	s_or_b64 exec, exec, s[18:19]
.LBB300_799:                            ;   in Loop: Header=BB300_424 Depth=1
	s_or_b64 exec, exec, s[16:17]
	v_mov_b32_e32 v9, v16
	v_cmp_ne_u16_sdwa s[0:1], v16, v10 src0_sel:BYTE_0 src1_sel:DWORD
	v_mov_b32_e32 v34, 0
	v_mov_b32_e32 v33, 0
	s_and_saveexec_b64 s[16:17], s[0:1]
	s_cbranch_execz .LBB300_805
; %bb.800:                              ;   in Loop: Header=BB300_424 Depth=1
	v_cmp_ne_u16_sdwa s[0:1], v16, s28 src0_sel:BYTE_0 src1_sel:DWORD
	v_bfrev_b32_e32 v33, 1
	s_and_saveexec_b64 s[18:19], s[0:1]
	s_cbranch_execz .LBB300_804
; %bb.801:                              ;   in Loop: Header=BB300_424 Depth=1
	v_and_b32_e32 v0, 0x7f, v16
	v_cmp_ne_u32_e64 s[0:1], s29, v0
	v_mov_b32_e32 v33, 0x7f800001
	s_and_saveexec_b64 s[20:21], s[0:1]
	s_cbranch_execz .LBB300_803
; %bb.802:                              ;   in Loop: Header=BB300_424 Depth=1
	v_and_b32_e32 v11, 7, v16
	v_lshrrev_b32_e32 v12, 3, v0
	v_cmp_gt_u32_e64 s[0:1], 8, v0
	v_ffbh_u32_e32 v0, v11
	v_min_u32_e32 v0, 32, v0
	v_subrev_u32_e32 v11, 28, v0
	v_sub_u32_e32 v0, 29, v0
	v_cndmask_b32_e64 v11, 0, v11, s[0:1]
	v_cndmask_b32_e64 v0, v12, v0, s[0:1]
	v_lshlrev_b64 v[11:12], v11, v[9:10]
	v_lshlrev_b32_e32 v12, 24, v9
	v_lshlrev_b32_e32 v11, 20, v11
	v_bfrev_b32_e32 v17, 60
	v_and_b32_e32 v11, 0x700000, v11
	v_and_b32_e32 v12, 0x80000000, v12
	v_lshl_add_u32 v0, v0, 23, v17
	v_or3_b32 v33, v12, v0, v11
.LBB300_803:                            ;   in Loop: Header=BB300_424 Depth=1
	s_or_b64 exec, exec, s[20:21]
.LBB300_804:                            ;   in Loop: Header=BB300_424 Depth=1
	s_or_b64 exec, exec, s[18:19]
.LBB300_805:                            ;   in Loop: Header=BB300_424 Depth=1
	s_or_b64 exec, exec, s[16:17]
	v_lshrrev_b16_e32 v17, 8, v9
	v_cmp_ne_u16_e64 s[0:1], 0, v17
	s_and_saveexec_b64 s[16:17], s[0:1]
	s_cbranch_execz .LBB300_811
; %bb.806:                              ;   in Loop: Header=BB300_424 Depth=1
	v_cmp_ne_u16_e64 s[0:1], s28, v17
	v_bfrev_b32_e32 v34, 1
	s_and_saveexec_b64 s[18:19], s[0:1]
	s_cbranch_execz .LBB300_810
; %bb.807:                              ;   in Loop: Header=BB300_424 Depth=1
	v_and_b32_e32 v0, 0x7f, v17
	v_cmp_ne_u32_e64 s[0:1], s29, v0
	v_mov_b32_e32 v34, 0x7f800001
	s_and_saveexec_b64 s[20:21], s[0:1]
	s_cbranch_execz .LBB300_809
; %bb.808:                              ;   in Loop: Header=BB300_424 Depth=1
	v_and_b32_e32 v34, 7, v17
	v_lshrrev_b32_e32 v21, 3, v0
	v_cmp_gt_u32_e64 s[0:1], 8, v0
	v_ffbh_u32_e32 v0, v34
	v_min_u32_e32 v0, 32, v0
	v_subrev_u32_e32 v11, 28, v0
	v_lshlrev_b64 v[11:12], v11, v[17:18]
	v_sub_u32_e32 v0, 29, v0
	v_and_b32_e32 v11, 7, v11
	v_cndmask_b32_e64 v0, v21, v0, s[0:1]
	v_cndmask_b32_e64 v11, v34, v11, s[0:1]
	v_lshlrev_b32_e32 v9, 16, v9
	v_bfrev_b32_e32 v12, 60
	v_lshlrev_b32_e32 v11, 20, v11
	v_and_b32_e32 v9, 0x80000000, v9
	v_lshl_add_u32 v0, v0, 23, v12
	v_or3_b32 v34, v9, v0, v11
.LBB300_809:                            ;   in Loop: Header=BB300_424 Depth=1
	s_or_b64 exec, exec, s[20:21]
.LBB300_810:                            ;   in Loop: Header=BB300_424 Depth=1
	s_or_b64 exec, exec, s[18:19]
.LBB300_811:                            ;   in Loop: Header=BB300_424 Depth=1
	s_or_b64 exec, exec, s[16:17]
	v_lshrrev_b32_e32 v9, 16, v16
	v_cmp_ne_u16_sdwa s[0:1], v9, v10 src0_sel:BYTE_0 src1_sel:DWORD
	v_mov_b32_e32 v0, 0
	v_mov_b32_e32 v17, 0
	s_and_saveexec_b64 s[16:17], s[0:1]
	s_cbranch_execz .LBB300_817
; %bb.812:                              ;   in Loop: Header=BB300_424 Depth=1
	v_cmp_ne_u16_sdwa s[0:1], v9, s28 src0_sel:BYTE_0 src1_sel:DWORD
	v_bfrev_b32_e32 v17, 1
	s_and_saveexec_b64 s[18:19], s[0:1]
	s_cbranch_execz .LBB300_816
; %bb.813:                              ;   in Loop: Header=BB300_424 Depth=1
	v_bfe_u32 v11, v16, 16, 7
	v_cmp_ne_u32_e64 s[0:1], s29, v11
	v_mov_b32_e32 v17, 0x7f800001
	s_and_saveexec_b64 s[20:21], s[0:1]
	s_cbranch_execz .LBB300_815
; %bb.814:                              ;   in Loop: Header=BB300_424 Depth=1
	v_and_b32_e32 v17, 7, v9
	v_lshrrev_b32_e32 v21, 3, v11
	v_cmp_gt_u32_e64 s[0:1], 8, v11
	v_ffbh_u32_e32 v11, v17
	v_mov_b32_e32 v27, v32
	v_min_u32_e32 v32, 32, v11
	v_subrev_u32_e32 v11, 28, v32
	v_lshlrev_b64 v[11:12], v11, v[9:10]
	v_sub_u32_e32 v12, 29, v32
	v_and_b32_e32 v11, 7, v11
	v_cndmask_b32_e64 v12, v21, v12, s[0:1]
	v_cndmask_b32_e64 v11, v17, v11, s[0:1]
	v_lshlrev_b32_e32 v9, 24, v9
	v_bfrev_b32_e32 v17, 60
	v_lshlrev_b32_e32 v11, 20, v11
	v_and_b32_e32 v9, 0x80000000, v9
	v_lshl_add_u32 v12, v12, 23, v17
	v_mov_b32_e32 v32, v27
	v_or3_b32 v17, v9, v12, v11
.LBB300_815:                            ;   in Loop: Header=BB300_424 Depth=1
	s_or_b64 exec, exec, s[20:21]
.LBB300_816:                            ;   in Loop: Header=BB300_424 Depth=1
	s_or_b64 exec, exec, s[18:19]
.LBB300_817:                            ;   in Loop: Header=BB300_424 Depth=1
	s_or_b64 exec, exec, s[16:17]
	v_cmp_lt_u64_e64 s[0:1], s[4:5], v[15:16]
	s_and_saveexec_b64 s[16:17], s[0:1]
	s_cbranch_execz .LBB300_823
; %bb.818:                              ;   in Loop: Header=BB300_424 Depth=1
	v_lshrrev_b32_e32 v9, 24, v16
	v_cmp_ne_u32_e64 s[0:1], s28, v9
	v_bfrev_b32_e32 v0, 1
	s_and_saveexec_b64 s[18:19], s[0:1]
	s_cbranch_execz .LBB300_822
; %bb.819:                              ;   in Loop: Header=BB300_424 Depth=1
	v_bfe_u32 v11, v16, 24, 7
	v_cmp_ne_u32_e64 s[0:1], s29, v11
	v_mov_b32_e32 v0, 0x7f800001
	s_and_saveexec_b64 s[20:21], s[0:1]
	s_cbranch_execz .LBB300_821
; %bb.820:                              ;   in Loop: Header=BB300_424 Depth=1
	v_and_b32_e32 v0, 7, v9
	v_lshrrev_b32_e32 v15, 3, v11
	v_cmp_gt_u32_e64 s[0:1], 8, v11
	v_ffbh_u32_e32 v11, v0
	v_min_u32_e32 v16, 32, v11
	v_subrev_u32_e32 v11, 28, v16
	v_lshlrev_b64 v[11:12], v11, v[9:10]
	v_sub_u32_e32 v12, 29, v16
	v_and_b32_e32 v11, 7, v11
	v_cndmask_b32_e64 v12, v15, v12, s[0:1]
	v_cndmask_b32_e64 v0, v0, v11, s[0:1]
	v_lshlrev_b32_e32 v9, 24, v9
	v_bfrev_b32_e32 v11, 60
	v_lshlrev_b32_e32 v0, 20, v0
	v_and_b32_e32 v9, 0x80000000, v9
	v_lshl_add_u32 v11, v12, 23, v11
	v_or3_b32 v0, v9, v11, v0
.LBB300_821:                            ;   in Loop: Header=BB300_424 Depth=1
	s_or_b64 exec, exec, s[20:21]
.LBB300_822:                            ;   in Loop: Header=BB300_424 Depth=1
	s_or_b64 exec, exec, s[18:19]
.LBB300_823:                            ;   in Loop: Header=BB300_424 Depth=1
	s_or_b64 exec, exec, s[16:17]
	v_mul_f32_e32 v9, s31, v34
	v_bfe_u32 v11, v9, 16, 1
	v_add3_u32 v11, v11, v9, s30
	v_or_b32_e32 v12, 0x400000, v9
	v_cmp_u_f32_e64 s[0:1], v9, v9
	v_cndmask_b32_e64 v9, v11, v12, s[0:1]
	v_mul_f32_e32 v11, s31, v33
	v_bfe_u32 v12, v11, 16, 1
	v_add3_u32 v12, v12, v11, s30
	v_or_b32_e32 v15, 0x400000, v11
	v_cmp_u_f32_e64 s[0:1], v11, v11
	v_cndmask_b32_e64 v11, v12, v15, s[0:1]
	v_lshrrev_b32_e32 v15, 16, v11
	v_mul_f32_e32 v11, s31, v63
	v_bfe_u32 v12, v11, 16, 1
	v_add3_u32 v12, v12, v11, s30
	v_or_b32_e32 v16, 0x400000, v11
	v_cmp_u_f32_e64 s[0:1], v11, v11
	v_cndmask_b32_e64 v11, v12, v16, s[0:1]
	v_lshrrev_b32_e32 v16, 16, v11
	;; [unrolled: 7-line block ×5, first 2 shown]
	v_mul_f32_e32 v11, s31, v17
	v_bfe_u32 v12, v11, 16, 1
	v_add3_u32 v12, v12, v11, s30
	v_or_b32_e32 v17, 0x400000, v11
	v_cmp_u_f32_e64 s[0:1], v11, v11
	v_cndmask_b32_e64 v11, v12, v17, s[0:1]
	v_mul_f32_e32 v0, s31, v0
	v_lshrrev_b32_e32 v17, 16, v11
	v_bfe_u32 v11, v0, 16, 1
	v_add3_u32 v11, v11, v0, s30
	v_or_b32_e32 v12, 0x400000, v0
	v_cmp_u_f32_e64 s[0:1], v0, v0
	v_cndmask_b32_e64 v0, v11, v12, s[0:1]
	v_mov_b32_e32 v27, v32
	v_lshrrev_b32_e32 v9, 16, v9
	v_lshrrev_b32_e32 v63, 16, v0
	s_and_saveexec_b64 s[0:1], vcc
	s_cbranch_execz .LBB300_422
; %bb.824:                              ;   in Loop: Header=BB300_424 Depth=1
	v_cmp_gt_i32_e32 vcc, s33, v51
	v_cndmask_b32_e32 v31, 0, v31, vcc
	v_cmp_gt_i32_e32 vcc, s33, v60
	v_cndmask_b32_e32 v20, 0, v20, vcc
	;; [unrolled: 2-line block ×8, first 2 shown]
	s_branch .LBB300_422
.LBB300_825:
	s_or_b64 exec, exec, s[6:7]
	buffer_load_dword v14, off, s[56:59], 0 offset:212 ; 4-byte Folded Reload
	buffer_load_dword v15, off, s[56:59], 0 offset:216 ; 4-byte Folded Reload
	;; [unrolled: 1-line block ×9, first 2 shown]
.LBB300_826:
	s_or_b64 exec, exec, s[2:3]
	s_waitcnt vmcnt(0)
	ds_bpermute_b32 v1, v15, v6
	ds_bpermute_b32 v8, v15, v10
	s_waitcnt lgkmcnt(0)
	s_barrier
	v_add_f32_e32 v6, v6, v1
	ds_bpermute_b32 v1, v15, v3
	ds_bpermute_b32 v0, v15, v18
	;; [unrolled: 1-line block ×4, first 2 shown]
	s_waitcnt lgkmcnt(3)
	v_add_f32_e32 v3, v3, v1
	v_add_f32_e32 v1, v10, v8
	buffer_load_dword v8, off, s[56:59], 0 offset:308 ; 4-byte Folded Reload
	s_waitcnt lgkmcnt(2)
	v_add_f32_e32 v7, v18, v0
	ds_bpermute_b32 v0, v15, v5
	s_waitcnt lgkmcnt(2)
	v_add_f32_e32 v4, v4, v2
	ds_bpermute_b32 v2, v15, v16
	s_waitcnt lgkmcnt(1)
	v_add_f32_e32 v5, v5, v0
	v_add_f32_e32 v0, v12, v9
	s_waitcnt lgkmcnt(0)
	v_add_f32_e32 v2, v16, v2
	s_waitcnt vmcnt(0)
	v_and_b32_e32 v9, 0x3c1, v8
	v_cmp_eq_u32_e32 vcc, 64, v9
	s_and_saveexec_b64 s[0:1], vcc
	s_cbranch_execz .LBB300_828
; %bb.827:
	v_mov_b32_e32 v8, 0x210
	v_lshl_add_u32 v8, v14, 1, v8
	ds_write2_b32 v8, v7, v6 offset1:32
	ds_write2_b32 v8, v4, v5 offset0:64 offset1:96
	ds_write2_b32 v8, v3, v2 offset0:128 offset1:160
	;; [unrolled: 1-line block ×3, first 2 shown]
.LBB300_828:
	s_or_b64 exec, exec, s[0:1]
	buffer_load_dword v8, off, s[56:59], 0 offset:308 ; 4-byte Folded Reload
	s_waitcnt vmcnt(0) lgkmcnt(0)
	s_barrier
	v_cmp_gt_u32_e32 vcc, 64, v8
	v_lshrrev_b32_e32 v8, 1, v8
	s_and_saveexec_b64 s[0:1], vcc
	s_cbranch_execz .LBB300_839
; %bb.829:
	v_mov_b32_e32 v10, 0x210
	v_cmp_eq_u32_e32 vcc, 0, v11
	v_lshl_add_u32 v10, v8, 2, v10
	s_and_saveexec_b64 s[2:3], vcc
	s_cbranch_execnz .LBB300_842
; %bb.830:
	s_or_b64 exec, exec, s[2:3]
	s_and_saveexec_b64 s[2:3], vcc
	s_cbranch_execnz .LBB300_843
.LBB300_831:
	s_or_b64 exec, exec, s[2:3]
	s_and_saveexec_b64 s[2:3], vcc
	s_cbranch_execnz .LBB300_844
.LBB300_832:
	s_or_b64 exec, exec, s[2:3]
	s_and_saveexec_b64 s[2:3], vcc
	s_cbranch_execnz .LBB300_845
.LBB300_833:
	s_or_b64 exec, exec, s[2:3]
	s_and_saveexec_b64 s[2:3], vcc
	s_cbranch_execnz .LBB300_846
.LBB300_834:
	s_or_b64 exec, exec, s[2:3]
	s_and_saveexec_b64 s[2:3], vcc
	s_cbranch_execnz .LBB300_847
.LBB300_835:
	s_or_b64 exec, exec, s[2:3]
	s_and_saveexec_b64 s[2:3], vcc
	s_cbranch_execnz .LBB300_848
.LBB300_836:
	s_or_b64 exec, exec, s[2:3]
	s_and_saveexec_b64 s[2:3], vcc
	s_cbranch_execz .LBB300_838
.LBB300_837:
	ds_read_b32 v10, v10 offset:896
	s_waitcnt lgkmcnt(0)
	v_add_f32_e32 v0, v0, v10
.LBB300_838:
	s_or_b64 exec, exec, s[2:3]
.LBB300_839:
	s_or_b64 exec, exec, s[0:1]
	v_cmp_eq_u32_e32 vcc, 0, v9
	s_barrier
	s_and_saveexec_b64 s[0:1], vcc
	s_cbranch_execz .LBB300_841
; %bb.840:
	s_mul_i32 s0, s10, s11
	s_mul_i32 s0, s0, s9
	s_lshl_b32 s0, s0, 8
	s_ashr_i32 s1, s0, 31
	s_lshl_b64 s[0:1], s[0:1], 1
	s_add_u32 s2, s26, s0
	s_mul_i32 s0, s11, s24
	s_addc_u32 s3, s27, s1
	s_ashr_i32 s1, s0, 31
	s_lshl_b64 s[0:1], s[0:1], 1
	s_add_u32 s2, s2, s0
	s_addc_u32 s3, s3, s1
	s_lshl_b32 s0, s8, 8
	s_ashr_i32 s1, s0, 31
	s_lshl_b64 s[0:1], s[0:1], 1
	s_add_u32 s0, s2, s0
	v_bfe_u32 v9, v7, 16, 1
	s_movk_i32 s2, 0x7fff
	v_add3_u32 v9, v9, v7, s2
	v_or_b32_e32 v10, 0x400000, v7
	v_cmp_u_f32_e32 vcc, v7, v7
	s_addc_u32 s1, s3, s1
	v_lshlrev_b32_e32 v8, 1, v8
	v_cndmask_b32_e32 v7, v9, v10, vcc
	global_store_short_d16_hi v8, v7, s[0:1]
	v_bfe_u32 v7, v6, 16, 1
	v_add3_u32 v7, v7, v6, s2
	v_or_b32_e32 v9, 0x400000, v6
	v_cmp_u_f32_e32 vcc, v6, v6
	v_cndmask_b32_e32 v6, v7, v9, vcc
	global_store_short_d16_hi v8, v6, s[0:1] offset:64
	v_bfe_u32 v6, v4, 16, 1
	v_add3_u32 v6, v6, v4, s2
	v_or_b32_e32 v7, 0x400000, v4
	v_cmp_u_f32_e32 vcc, v4, v4
	v_cndmask_b32_e32 v4, v6, v7, vcc
	global_store_short_d16_hi v8, v4, s[0:1] offset:128
	;; [unrolled: 6-line block ×7, first 2 shown]
.LBB300_841:
	s_endpgm
.LBB300_842:
	ds_read_b32 v11, v10
	s_waitcnt lgkmcnt(0)
	v_add_f32_e32 v7, v7, v11
	s_or_b64 exec, exec, s[2:3]
	s_and_saveexec_b64 s[2:3], vcc
	s_cbranch_execz .LBB300_831
.LBB300_843:
	ds_read_b32 v11, v10 offset:128
	s_waitcnt lgkmcnt(0)
	v_add_f32_e32 v6, v6, v11
	s_or_b64 exec, exec, s[2:3]
	s_and_saveexec_b64 s[2:3], vcc
	s_cbranch_execz .LBB300_832
.LBB300_844:
	ds_read_b32 v11, v10 offset:256
	s_waitcnt lgkmcnt(0)
	v_add_f32_e32 v4, v4, v11
	s_or_b64 exec, exec, s[2:3]
	s_and_saveexec_b64 s[2:3], vcc
	s_cbranch_execz .LBB300_833
.LBB300_845:
	ds_read_b32 v11, v10 offset:384
	s_waitcnt lgkmcnt(0)
	v_add_f32_e32 v5, v5, v11
	s_or_b64 exec, exec, s[2:3]
	s_and_saveexec_b64 s[2:3], vcc
	s_cbranch_execz .LBB300_834
.LBB300_846:
	ds_read_b32 v11, v10 offset:512
	s_waitcnt lgkmcnt(0)
	v_add_f32_e32 v3, v3, v11
	s_or_b64 exec, exec, s[2:3]
	s_and_saveexec_b64 s[2:3], vcc
	s_cbranch_execz .LBB300_835
.LBB300_847:
	ds_read_b32 v11, v10 offset:640
	s_waitcnt lgkmcnt(0)
	v_add_f32_e32 v2, v2, v11
	s_or_b64 exec, exec, s[2:3]
	s_and_saveexec_b64 s[2:3], vcc
	s_cbranch_execz .LBB300_836
.LBB300_848:
	ds_read_b32 v11, v10 offset:768
	s_waitcnt lgkmcnt(0)
	v_add_f32_e32 v1, v1, v11
	s_or_b64 exec, exec, s[2:3]
	s_and_saveexec_b64 s[2:3], vcc
	s_cbranch_execnz .LBB300_837
	s_branch .LBB300_838
	.section	.rodata,"a",@progbits
	.p2align	6, 0x0
	.amdhsa_kernel _ZN4vllm25paged_attention_v1_kernelI14__hip_bfloat16hLi256ELi16ELi128ELNS_18Fp8KVCacheDataTypeE1ELb1EEEvPT_PKS3_PKT0_S9_ifPKiSB_iPKfiiiSD_SD_iiiii
		.amdhsa_group_segment_fixed_size 528
		.amdhsa_private_segment_fixed_size 348
		.amdhsa_kernarg_size 384
		.amdhsa_user_sgpr_count 6
		.amdhsa_user_sgpr_private_segment_buffer 1
		.amdhsa_user_sgpr_dispatch_ptr 0
		.amdhsa_user_sgpr_queue_ptr 0
		.amdhsa_user_sgpr_kernarg_segment_ptr 1
		.amdhsa_user_sgpr_dispatch_id 0
		.amdhsa_user_sgpr_flat_scratch_init 0
		.amdhsa_user_sgpr_private_segment_size 0
		.amdhsa_uses_dynamic_stack 0
		.amdhsa_system_sgpr_private_segment_wavefront_offset 1
		.amdhsa_system_sgpr_workgroup_id_x 1
		.amdhsa_system_sgpr_workgroup_id_y 1
		.amdhsa_system_sgpr_workgroup_id_z 1
		.amdhsa_system_sgpr_workgroup_info 0
		.amdhsa_system_vgpr_workitem_id 0
		.amdhsa_next_free_vgpr 64
		.amdhsa_next_free_sgpr 60
		.amdhsa_reserve_vcc 1
		.amdhsa_reserve_flat_scratch 0
		.amdhsa_float_round_mode_32 0
		.amdhsa_float_round_mode_16_64 0
		.amdhsa_float_denorm_mode_32 3
		.amdhsa_float_denorm_mode_16_64 3
		.amdhsa_dx10_clamp 1
		.amdhsa_ieee_mode 1
		.amdhsa_fp16_overflow 0
		.amdhsa_exception_fp_ieee_invalid_op 0
		.amdhsa_exception_fp_denorm_src 0
		.amdhsa_exception_fp_ieee_div_zero 0
		.amdhsa_exception_fp_ieee_overflow 0
		.amdhsa_exception_fp_ieee_underflow 0
		.amdhsa_exception_fp_ieee_inexact 0
		.amdhsa_exception_int_div_zero 0
	.end_amdhsa_kernel
	.section	.text._ZN4vllm25paged_attention_v1_kernelI14__hip_bfloat16hLi256ELi16ELi128ELNS_18Fp8KVCacheDataTypeE1ELb1EEEvPT_PKS3_PKT0_S9_ifPKiSB_iPKfiiiSD_SD_iiiii,"axG",@progbits,_ZN4vllm25paged_attention_v1_kernelI14__hip_bfloat16hLi256ELi16ELi128ELNS_18Fp8KVCacheDataTypeE1ELb1EEEvPT_PKS3_PKT0_S9_ifPKiSB_iPKfiiiSD_SD_iiiii,comdat
.Lfunc_end300:
	.size	_ZN4vllm25paged_attention_v1_kernelI14__hip_bfloat16hLi256ELi16ELi128ELNS_18Fp8KVCacheDataTypeE1ELb1EEEvPT_PKS3_PKT0_S9_ifPKiSB_iPKfiiiSD_SD_iiiii, .Lfunc_end300-_ZN4vllm25paged_attention_v1_kernelI14__hip_bfloat16hLi256ELi16ELi128ELNS_18Fp8KVCacheDataTypeE1ELb1EEEvPT_PKS3_PKT0_S9_ifPKiSB_iPKfiiiSD_SD_iiiii
                                        ; -- End function
	.set _ZN4vllm25paged_attention_v1_kernelI14__hip_bfloat16hLi256ELi16ELi128ELNS_18Fp8KVCacheDataTypeE1ELb1EEEvPT_PKS3_PKT0_S9_ifPKiSB_iPKfiiiSD_SD_iiiii.num_vgpr, 64
	.set _ZN4vllm25paged_attention_v1_kernelI14__hip_bfloat16hLi256ELi16ELi128ELNS_18Fp8KVCacheDataTypeE1ELb1EEEvPT_PKS3_PKT0_S9_ifPKiSB_iPKfiiiSD_SD_iiiii.num_agpr, 0
	.set _ZN4vllm25paged_attention_v1_kernelI14__hip_bfloat16hLi256ELi16ELi128ELNS_18Fp8KVCacheDataTypeE1ELb1EEEvPT_PKS3_PKT0_S9_ifPKiSB_iPKfiiiSD_SD_iiiii.numbered_sgpr, 60
	.set _ZN4vllm25paged_attention_v1_kernelI14__hip_bfloat16hLi256ELi16ELi128ELNS_18Fp8KVCacheDataTypeE1ELb1EEEvPT_PKS3_PKT0_S9_ifPKiSB_iPKfiiiSD_SD_iiiii.num_named_barrier, 0
	.set _ZN4vllm25paged_attention_v1_kernelI14__hip_bfloat16hLi256ELi16ELi128ELNS_18Fp8KVCacheDataTypeE1ELb1EEEvPT_PKS3_PKT0_S9_ifPKiSB_iPKfiiiSD_SD_iiiii.private_seg_size, 348
	.set _ZN4vllm25paged_attention_v1_kernelI14__hip_bfloat16hLi256ELi16ELi128ELNS_18Fp8KVCacheDataTypeE1ELb1EEEvPT_PKS3_PKT0_S9_ifPKiSB_iPKfiiiSD_SD_iiiii.uses_vcc, 1
	.set _ZN4vllm25paged_attention_v1_kernelI14__hip_bfloat16hLi256ELi16ELi128ELNS_18Fp8KVCacheDataTypeE1ELb1EEEvPT_PKS3_PKT0_S9_ifPKiSB_iPKfiiiSD_SD_iiiii.uses_flat_scratch, 0
	.set _ZN4vllm25paged_attention_v1_kernelI14__hip_bfloat16hLi256ELi16ELi128ELNS_18Fp8KVCacheDataTypeE1ELb1EEEvPT_PKS3_PKT0_S9_ifPKiSB_iPKfiiiSD_SD_iiiii.has_dyn_sized_stack, 0
	.set _ZN4vllm25paged_attention_v1_kernelI14__hip_bfloat16hLi256ELi16ELi128ELNS_18Fp8KVCacheDataTypeE1ELb1EEEvPT_PKS3_PKT0_S9_ifPKiSB_iPKfiiiSD_SD_iiiii.has_recursion, 0
	.set _ZN4vllm25paged_attention_v1_kernelI14__hip_bfloat16hLi256ELi16ELi128ELNS_18Fp8KVCacheDataTypeE1ELb1EEEvPT_PKS3_PKT0_S9_ifPKiSB_iPKfiiiSD_SD_iiiii.has_indirect_call, 0
	.section	.AMDGPU.csdata,"",@progbits
; Kernel info:
; codeLenInByte = 43828
; TotalNumSgprs: 64
; NumVgprs: 64
; ScratchSize: 348
; MemoryBound: 0
; FloatMode: 240
; IeeeMode: 1
; LDSByteSize: 528 bytes/workgroup (compile time only)
; SGPRBlocks: 7
; VGPRBlocks: 15
; NumSGPRsForWavesPerEU: 64
; NumVGPRsForWavesPerEU: 64
; Occupancy: 4
; WaveLimiterHint : 1
; COMPUTE_PGM_RSRC2:SCRATCH_EN: 1
; COMPUTE_PGM_RSRC2:USER_SGPR: 6
; COMPUTE_PGM_RSRC2:TRAP_HANDLER: 0
; COMPUTE_PGM_RSRC2:TGID_X_EN: 1
; COMPUTE_PGM_RSRC2:TGID_Y_EN: 1
; COMPUTE_PGM_RSRC2:TGID_Z_EN: 1
; COMPUTE_PGM_RSRC2:TIDIG_COMP_CNT: 0
	.section	.text._ZN4vllm25paged_attention_v1_kernelI14__hip_bfloat16hLi32ELi16ELi128ELNS_18Fp8KVCacheDataTypeE1ELb0EEEvPT_PKS3_PKT0_S9_ifPKiSB_iPKfiiiSD_SD_iiiii,"axG",@progbits,_ZN4vllm25paged_attention_v1_kernelI14__hip_bfloat16hLi32ELi16ELi128ELNS_18Fp8KVCacheDataTypeE1ELb0EEEvPT_PKS3_PKT0_S9_ifPKiSB_iPKfiiiSD_SD_iiiii,comdat
	.protected	_ZN4vllm25paged_attention_v1_kernelI14__hip_bfloat16hLi32ELi16ELi128ELNS_18Fp8KVCacheDataTypeE1ELb0EEEvPT_PKS3_PKT0_S9_ifPKiSB_iPKfiiiSD_SD_iiiii ; -- Begin function _ZN4vllm25paged_attention_v1_kernelI14__hip_bfloat16hLi32ELi16ELi128ELNS_18Fp8KVCacheDataTypeE1ELb0EEEvPT_PKS3_PKT0_S9_ifPKiSB_iPKfiiiSD_SD_iiiii
	.globl	_ZN4vllm25paged_attention_v1_kernelI14__hip_bfloat16hLi32ELi16ELi128ELNS_18Fp8KVCacheDataTypeE1ELb0EEEvPT_PKS3_PKT0_S9_ifPKiSB_iPKfiiiSD_SD_iiiii
	.p2align	8
	.type	_ZN4vllm25paged_attention_v1_kernelI14__hip_bfloat16hLi32ELi16ELi128ELNS_18Fp8KVCacheDataTypeE1ELb0EEEvPT_PKS3_PKT0_S9_ifPKiSB_iPKfiiiSD_SD_iiiii,@function
_ZN4vllm25paged_attention_v1_kernelI14__hip_bfloat16hLi32ELi16ELi128ELNS_18Fp8KVCacheDataTypeE1ELb0EEEvPT_PKS3_PKT0_S9_ifPKiSB_iPKfiiiSD_SD_iiiii: ; @_ZN4vllm25paged_attention_v1_kernelI14__hip_bfloat16hLi32ELi16ELi128ELNS_18Fp8KVCacheDataTypeE1ELb0EEEvPT_PKS3_PKT0_S9_ifPKiSB_iPKfiiiSD_SD_iiiii
; %bb.0:
	s_load_dword s9, s[4:5], 0x80
	s_load_dwordx2 s[0:1], s[4:5], 0x30
	s_load_dwordx2 s[30:31], s[4:5], 0x20
	s_mov_b32 s10, s7
	s_ashr_i32 s11, s7, 31
	s_lshl_b64 s[2:3], s[10:11], 2
	s_waitcnt lgkmcnt(0)
	s_add_u32 s0, s0, s2
	s_addc_u32 s1, s1, s3
	s_abs_i32 s2, s30
	v_cvt_f32_u32_e32 v1, s2
	s_sub_i32 s11, 0, s2
	s_abs_i32 s7, s9
	s_xor_b32 s3, s9, s30
	v_rcp_iflag_f32_e32 v1, v1
	s_ashr_i32 s3, s3, 31
	s_mov_b32 s33, 0
	v_mul_f32_e32 v1, 0x4f7ffffe, v1
	v_cvt_u32_f32_e32 v1, v1
	v_readfirstlane_b32 s12, v1
	s_mul_i32 s11, s11, s12
	s_mul_hi_u32 s11, s12, s11
	s_add_i32 s12, s12, s11
	s_mul_hi_u32 s11, s7, s12
	s_mul_i32 s12, s11, s2
	s_sub_i32 s7, s7, s12
	s_add_i32 s12, s11, 1
	s_sub_i32 s13, s7, s2
	s_cmp_ge_u32 s7, s2
	s_cselect_b32 s11, s12, s11
	s_cselect_b32 s7, s13, s7
	s_add_i32 s12, s11, 1
	s_cmp_ge_u32 s7, s2
	s_cselect_b32 s2, s12, s11
	s_xor_b32 s2, s2, s3
	s_sub_i32 s19, s2, s3
	s_abs_i32 s16, s19
	v_cvt_f32_u32_e32 v1, s16
	s_load_dwordx2 s[2:3], s[4:5], 0x40
	s_sub_i32 s7, 0, s16
	s_abs_i32 s17, s6
	v_rcp_iflag_f32_e32 v1, v1
	v_mul_f32_e32 v1, 0x4f7ffffe, v1
	v_cvt_u32_f32_e32 v1, v1
	v_readfirstlane_b32 s11, v1
	s_mul_i32 s7, s7, s11
	s_mul_hi_u32 s7, s11, s7
	s_add_i32 s11, s11, s7
	s_waitcnt lgkmcnt(0)
	s_cmp_eq_u64 s[2:3], 0
	s_mul_hi_u32 s18, s17, s11
	s_cbranch_scc1 .LBB301_2
; %bb.1:
	s_ashr_i32 s7, s6, 31
	s_lshl_b64 s[12:13], s[6:7], 2
	s_add_u32 s2, s2, s12
	s_addc_u32 s3, s3, s13
	s_load_dword s33, s[2:3], 0x0
.LBB301_2:
	s_load_dword s11, s[0:1], 0x0
	s_load_dwordx4 s[12:15], s[4:5], 0x48
	s_ashr_i32 s2, s6, 31
	s_ashr_i32 s3, s19, 31
	v_and_b32_e32 v1, 3, v0
	s_lshl_b32 s20, s6, 5
	v_cmp_gt_u32_e32 vcc, 16, v0
	s_and_saveexec_b64 s[0:1], vcc
	s_cbranch_execz .LBB301_4
; %bb.3:
	s_load_dwordx2 s[6:7], s[4:5], 0x8
	s_waitcnt lgkmcnt(0)
	s_mul_i32 s22, s12, s10
	s_ashr_i32 s23, s22, 31
	s_lshl_b64 s[22:23], s[22:23], 1
	v_lshlrev_b32_e32 v2, 2, v0
	s_add_u32 s12, s6, s22
	s_addc_u32 s15, s7, s23
	s_ashr_i32 s21, s20, 31
	s_lshl_b64 s[6:7], s[20:21], 1
	s_add_u32 s6, s12, s6
	s_addc_u32 s7, s15, s7
	global_load_dword v2, v2, s[6:7]
	v_and_b32_e32 v3, 0x3fc, v0
	v_lshl_add_u32 v3, v1, 4, v3
	s_waitcnt vmcnt(0)
	ds_write_b32 v3, v2
.LBB301_4:
	s_or_b64 exec, exec, s[0:1]
	s_waitcnt lgkmcnt(0)
	s_add_i32 s1, s11, 15
	s_ashr_i32 s6, s1, 31
	s_lshr_b32 s6, s6, 28
	s_add_i32 s1, s1, s6
	s_ashr_i32 s30, s1, 4
	s_xor_b32 s1, s2, s3
	s_mul_i32 s2, s18, s16
	s_sub_i32 s2, s17, s2
	s_add_i32 s3, s18, 1
	s_sub_i32 s6, s2, s16
	s_load_dwordx2 s[24:25], s[4:5], 0x28
	s_load_dword s0, s[4:5], 0x38
	s_cmp_ge_u32 s2, s16
	s_cselect_b32 s3, s3, s18
	s_cselect_b32 s2, s6, s2
	s_add_i32 s6, s3, 1
	s_cmp_ge_u32 s2, s16
	s_cselect_b32 s2, s6, s3
	v_lshrrev_b32_e32 v17, 6, v0
	s_xor_b32 s2, s2, s1
	s_waitcnt lgkmcnt(0)
	s_mul_i32 s26, s0, s10
	s_sub_i32 s12, s2, s1
	s_ashr_i32 s27, s26, 31
	v_cmp_gt_i32_e64 s[0:1], s30, v17
	v_cmp_le_i32_e32 vcc, s30, v17
	v_mbcnt_lo_u32_b32 v2, -1, 0
	s_barrier
                                        ; implicit-def: $vgpr10
                                        ; implicit-def: $vgpr12
                                        ; implicit-def: $vgpr11
	s_and_saveexec_b64 s[2:3], vcc
	s_xor_b64 s[2:3], exec, s[2:3]
; %bb.5:
	v_mbcnt_hi_u32_b32 v10, -1, v2
	v_and_b32_e32 v12, 64, v10
	v_add_u32_e32 v11, 64, v12
                                        ; implicit-def: $vgpr1
                                        ; implicit-def: $vgpr2
; %bb.6:
	s_or_saveexec_b64 s[6:7], s[2:3]
	s_load_dwordx2 s[22:23], s[4:5], 0x0
	s_load_dwordx2 s[28:29], s[4:5], 0x18
	s_load_dword s21, s[4:5], 0x88
	s_load_dwordx4 s[16:19], s[4:5], 0x58
	v_mov_b32_e32 v22, 0xff7fffff
	s_mul_i32 s12, s12, s14
	v_lshrrev_b32_e32 v9, 4, v0
	s_xor_b64 exec, exec, s[6:7]
	s_cbranch_execz .LBB301_60
; %bb.7:
	s_load_dwordx2 s[2:3], s[4:5], 0x10
	s_ashr_i32 s4, s12, 31
	v_bfe_u32 v7, v0, 2, 4
	v_lshlrev_b32_e32 v8, 4, v7
	v_lshlrev_b32_e32 v3, 4, v1
	s_waitcnt lgkmcnt(0)
	s_add_u32 s2, s2, s12
	s_addc_u32 s3, s3, s4
	v_mov_b32_e32 v10, s3
	v_add_co_u32_e32 v8, vcc, s2, v8
	ds_read_b128 v[3:6], v3
	v_addc_co_u32_e32 v22, vcc, 0, v10, vcc
	v_lshlrev_b32_e32 v23, 1, v1
	v_cmp_eq_u32_e32 vcc, 0, v1
	v_add_co_u32_e64 v1, s[2:3], v8, v23
	v_mbcnt_hi_u32_b32 v10, -1, v2
	v_addc_co_u32_e64 v2, s[2:3], 0, v22, s[2:3]
	s_sub_i32 s39, 1, s11
	s_lshl_b64 s[2:3], s[26:27], 2
	s_add_u32 s2, s24, s2
	s_waitcnt lgkmcnt(0)
	v_lshlrev_b32_e32 v13, 16, v3
	v_and_b32_e32 v14, 0xffff0000, v3
	v_and_b32_e32 v3, 60, v9
	s_addc_u32 s3, s25, s3
	v_lshlrev_b32_e32 v15, 16, v4
	v_and_b32_e32 v16, 0xffff0000, v4
	v_and_b32_e32 v12, 64, v10
	v_mov_b32_e32 v4, s3
	v_add_co_u32_e64 v3, s[2:3], s2, v3
	v_lshlrev_b32_e32 v18, 16, v5
	v_and_b32_e32 v19, 0xffff0000, v5
	v_add_u32_e32 v11, 64, v12
	v_addc_co_u32_e64 v4, s[2:3], 0, v4, s[2:3]
	v_xor_b32_e32 v5, 2, v10
	v_cmp_lt_i32_e64 s[2:3], v5, v11
	v_cndmask_b32_e64 v5, v10, v5, s[2:3]
	v_lshlrev_b32_e32 v23, 2, v5
	v_xor_b32_e32 v5, 1, v10
	v_cmp_lt_i32_e64 s[2:3], v5, v11
	s_load_dword s40, s[16:17], 0x0
	v_cndmask_b32_e64 v5, v10, v5, s[2:3]
	v_lshlrev_b32_e32 v24, 2, v5
	v_lshlrev_b32_e32 v5, 2, v7
	v_lshl_or_b32 v5, v17, 6, v5
	s_mov_b32 s38, s13
	v_lshlrev_b32_e32 v20, 16, v6
	v_and_b32_e32 v21, 0xffff0000, v6
	v_cmp_neq_f32_e64 s[2:3], s33, 0
	v_lshl_or_b32 v25, v17, 4, v7
	v_add_u32_e32 v26, 0x50, v5
	s_mov_b64 s[14:15], 0
	s_movk_i32 s41, 0x80
	s_movk_i32 s42, 0x7f
	;; [unrolled: 1-line block ×3, first 2 shown]
	v_mov_b32_e32 v27, 0
	v_mov_b32_e32 v22, 0xff7fffff
	v_bfrev_b32_e32 v28, 60
	v_mov_b32_e32 v29, v17
	s_branch .LBB301_9
.LBB301_8:                              ;   in Loop: Header=BB301_9 Depth=1
	s_or_b64 exec, exec, s[16:17]
	v_add_u32_e32 v29, 2, v29
	v_cmp_le_i32_e64 s[4:5], s30, v29
	s_or_b64 s[14:15], s[4:5], s[14:15]
	v_add_co_u32_e64 v3, s[4:5], 8, v3
	v_add_u32_e32 v25, 32, v25
	v_add_u32_e32 v26, 0x80, v26
	v_addc_co_u32_e64 v4, s[4:5], 0, v4, s[4:5]
	s_andn2_b64 exec, exec, s[14:15]
	s_cbranch_execz .LBB301_59
.LBB301_9:                              ; =>This Inner Loop Header: Depth=1
	global_load_dword v5, v[3:4], off
	v_mov_b32_e32 v30, 0
	s_waitcnt vmcnt(0) lgkmcnt(0)
	v_mad_i64_i32 v[5:6], s[4:5], v5, s38, v[1:2]
	global_load_ushort v8, v[5:6], off
	s_waitcnt vmcnt(0)
	v_and_b32_e32 v7, 0xffff, v8
	v_cmp_ne_u16_sdwa s[4:5], v8, v27 src0_sel:BYTE_0 src1_sel:DWORD
	s_and_saveexec_b64 s[16:17], s[4:5]
	s_cbranch_execz .LBB301_15
; %bb.10:                               ;   in Loop: Header=BB301_9 Depth=1
	v_cmp_ne_u16_sdwa s[4:5], v7, s41 src0_sel:BYTE_0 src1_sel:DWORD
	v_bfrev_b32_e32 v30, 1
	s_and_saveexec_b64 s[34:35], s[4:5]
	s_cbranch_execz .LBB301_14
; %bb.11:                               ;   in Loop: Header=BB301_9 Depth=1
	v_and_b32_e32 v8, 0x7f, v7
	v_cmp_ne_u32_e64 s[4:5], s42, v8
	v_mov_b32_e32 v30, 0x7f800001
	s_and_saveexec_b64 s[36:37], s[4:5]
	s_cbranch_execz .LBB301_13
; %bb.12:                               ;   in Loop: Header=BB301_9 Depth=1
	v_and_b32_e32 v32, 7, v7
	v_ffbh_u32_e32 v30, v32
	v_min_u32_e32 v34, 32, v30
	v_subrev_u32_e32 v30, 28, v34
	v_lshlrev_b64 v[30:31], v30, v[7:8]
	v_lshrrev_b32_e32 v33, 3, v8
	v_sub_u32_e32 v31, 29, v34
	v_and_b32_e32 v30, 7, v30
	v_cmp_gt_u32_e64 s[4:5], 8, v8
	v_cndmask_b32_e64 v8, v33, v31, s[4:5]
	v_cndmask_b32_e64 v30, v32, v30, s[4:5]
	v_lshlrev_b32_e32 v31, 24, v7
	v_lshlrev_b32_e32 v30, 20, v30
	v_and_b32_e32 v31, 0x80000000, v31
	v_lshl_add_u32 v8, v8, 23, v28
	v_or3_b32 v30, v31, v8, v30
.LBB301_13:                             ;   in Loop: Header=BB301_9 Depth=1
	s_or_b64 exec, exec, s[36:37]
.LBB301_14:                             ;   in Loop: Header=BB301_9 Depth=1
	s_or_b64 exec, exec, s[34:35]
.LBB301_15:                             ;   in Loop: Header=BB301_9 Depth=1
	s_or_b64 exec, exec, s[16:17]
	v_lshrrev_b16_e32 v8, 8, v7
	v_cmp_ne_u16_e64 s[4:5], 0, v8
	v_mov_b32_e32 v32, 0
	v_mov_b32_e32 v31, 0
	s_and_saveexec_b64 s[16:17], s[4:5]
	s_cbranch_execz .LBB301_21
; %bb.16:                               ;   in Loop: Header=BB301_9 Depth=1
	v_cmp_ne_u16_e64 s[4:5], s41, v8
	v_bfrev_b32_e32 v31, 1
	s_and_saveexec_b64 s[34:35], s[4:5]
	s_cbranch_execz .LBB301_20
; %bb.17:                               ;   in Loop: Header=BB301_9 Depth=1
	v_and_b32_e32 v33, 0x7f, v8
	v_cmp_ne_u32_e64 s[4:5], s42, v33
	v_mov_b32_e32 v31, 0x7f800001
	s_and_saveexec_b64 s[36:37], s[4:5]
	s_cbranch_execz .LBB301_19
; %bb.18:                               ;   in Loop: Header=BB301_9 Depth=1
	v_and_b32_e32 v31, 7, v8
	v_ffbh_u32_e32 v34, v31
	v_min_u32_e32 v37, 32, v34
	v_subrev_u32_e32 v34, 28, v37
	v_lshlrev_b64 v[34:35], v34, v[8:9]
	v_lshrrev_b32_e32 v36, 3, v33
	v_sub_u32_e32 v8, 29, v37
	v_and_b32_e32 v34, 7, v34
	v_cmp_gt_u32_e64 s[4:5], 8, v33
	v_cndmask_b32_e64 v8, v36, v8, s[4:5]
	v_cndmask_b32_e64 v31, v31, v34, s[4:5]
	v_lshlrev_b32_e32 v7, 16, v7
	v_lshlrev_b32_e32 v31, 20, v31
	v_and_b32_e32 v7, 0x80000000, v7
	v_lshl_add_u32 v8, v8, 23, v28
	v_or3_b32 v31, v7, v8, v31
.LBB301_19:                             ;   in Loop: Header=BB301_9 Depth=1
	s_or_b64 exec, exec, s[36:37]
.LBB301_20:                             ;   in Loop: Header=BB301_9 Depth=1
	s_or_b64 exec, exec, s[34:35]
.LBB301_21:                             ;   in Loop: Header=BB301_9 Depth=1
	s_or_b64 exec, exec, s[16:17]
	global_load_ushort v8, v[5:6], off offset:8
	s_waitcnt vmcnt(0)
	v_and_b32_e32 v7, 0xffff, v8
	v_cmp_ne_u16_sdwa s[4:5], v8, v27 src0_sel:BYTE_0 src1_sel:DWORD
	s_and_saveexec_b64 s[16:17], s[4:5]
	s_cbranch_execz .LBB301_27
; %bb.22:                               ;   in Loop: Header=BB301_9 Depth=1
	v_cmp_ne_u16_sdwa s[4:5], v7, s41 src0_sel:BYTE_0 src1_sel:DWORD
	v_bfrev_b32_e32 v32, 1
	s_and_saveexec_b64 s[34:35], s[4:5]
	s_cbranch_execz .LBB301_26
; %bb.23:                               ;   in Loop: Header=BB301_9 Depth=1
	v_and_b32_e32 v8, 0x7f, v7
	v_cmp_ne_u32_e64 s[4:5], s42, v8
	v_mov_b32_e32 v32, 0x7f800001
	s_and_saveexec_b64 s[36:37], s[4:5]
	s_cbranch_execz .LBB301_25
; %bb.24:                               ;   in Loop: Header=BB301_9 Depth=1
	v_and_b32_e32 v34, 7, v7
	v_ffbh_u32_e32 v32, v34
	v_min_u32_e32 v36, 32, v32
	v_subrev_u32_e32 v32, 28, v36
	v_lshlrev_b64 v[32:33], v32, v[7:8]
	v_lshrrev_b32_e32 v35, 3, v8
	v_sub_u32_e32 v33, 29, v36
	v_and_b32_e32 v32, 7, v32
	v_cmp_gt_u32_e64 s[4:5], 8, v8
	v_cndmask_b32_e64 v8, v35, v33, s[4:5]
	v_cndmask_b32_e64 v32, v34, v32, s[4:5]
	v_lshlrev_b32_e32 v33, 24, v7
	v_lshlrev_b32_e32 v32, 20, v32
	v_and_b32_e32 v33, 0x80000000, v33
	v_lshl_add_u32 v8, v8, 23, v28
	v_or3_b32 v32, v33, v8, v32
.LBB301_25:                             ;   in Loop: Header=BB301_9 Depth=1
	s_or_b64 exec, exec, s[36:37]
.LBB301_26:                             ;   in Loop: Header=BB301_9 Depth=1
	s_or_b64 exec, exec, s[34:35]
.LBB301_27:                             ;   in Loop: Header=BB301_9 Depth=1
	s_or_b64 exec, exec, s[16:17]
	v_lshrrev_b16_e32 v8, 8, v7
	v_cmp_ne_u16_e64 s[4:5], 0, v8
	v_mov_b32_e32 v34, 0
	v_mov_b32_e32 v33, 0
	s_and_saveexec_b64 s[16:17], s[4:5]
	s_cbranch_execz .LBB301_33
; %bb.28:                               ;   in Loop: Header=BB301_9 Depth=1
	v_cmp_ne_u16_e64 s[4:5], s41, v8
	v_bfrev_b32_e32 v33, 1
	s_and_saveexec_b64 s[34:35], s[4:5]
	s_cbranch_execz .LBB301_32
; %bb.29:                               ;   in Loop: Header=BB301_9 Depth=1
	v_and_b32_e32 v35, 0x7f, v8
	v_cmp_ne_u32_e64 s[4:5], s42, v35
	v_mov_b32_e32 v33, 0x7f800001
	s_and_saveexec_b64 s[36:37], s[4:5]
	s_cbranch_execz .LBB301_31
; %bb.30:                               ;   in Loop: Header=BB301_9 Depth=1
	v_and_b32_e32 v33, 7, v8
	v_ffbh_u32_e32 v36, v33
	v_min_u32_e32 v39, 32, v36
	v_subrev_u32_e32 v36, 28, v39
	v_lshlrev_b64 v[36:37], v36, v[8:9]
	v_lshrrev_b32_e32 v38, 3, v35
	v_sub_u32_e32 v8, 29, v39
	v_and_b32_e32 v36, 7, v36
	v_cmp_gt_u32_e64 s[4:5], 8, v35
	v_cndmask_b32_e64 v8, v38, v8, s[4:5]
	v_cndmask_b32_e64 v33, v33, v36, s[4:5]
	v_lshlrev_b32_e32 v7, 16, v7
	v_lshlrev_b32_e32 v33, 20, v33
	v_and_b32_e32 v7, 0x80000000, v7
	v_lshl_add_u32 v8, v8, 23, v28
	v_or3_b32 v33, v7, v8, v33
.LBB301_31:                             ;   in Loop: Header=BB301_9 Depth=1
	s_or_b64 exec, exec, s[36:37]
.LBB301_32:                             ;   in Loop: Header=BB301_9 Depth=1
	s_or_b64 exec, exec, s[34:35]
.LBB301_33:                             ;   in Loop: Header=BB301_9 Depth=1
	s_or_b64 exec, exec, s[16:17]
	global_load_ushort v8, v[5:6], off offset:256
	s_waitcnt vmcnt(0)
	v_and_b32_e32 v7, 0xffff, v8
	v_cmp_ne_u16_sdwa s[4:5], v8, v27 src0_sel:BYTE_0 src1_sel:DWORD
	s_and_saveexec_b64 s[16:17], s[4:5]
	s_cbranch_execz .LBB301_39
; %bb.34:                               ;   in Loop: Header=BB301_9 Depth=1
	v_cmp_ne_u16_sdwa s[4:5], v7, s41 src0_sel:BYTE_0 src1_sel:DWORD
	v_bfrev_b32_e32 v34, 1
	s_and_saveexec_b64 s[34:35], s[4:5]
	s_cbranch_execz .LBB301_38
; %bb.35:                               ;   in Loop: Header=BB301_9 Depth=1
	v_and_b32_e32 v8, 0x7f, v7
	v_cmp_ne_u32_e64 s[4:5], s42, v8
	v_mov_b32_e32 v34, 0x7f800001
	s_and_saveexec_b64 s[36:37], s[4:5]
	s_cbranch_execz .LBB301_37
; %bb.36:                               ;   in Loop: Header=BB301_9 Depth=1
	v_and_b32_e32 v36, 7, v7
	v_ffbh_u32_e32 v34, v36
	v_min_u32_e32 v38, 32, v34
	v_subrev_u32_e32 v34, 28, v38
	v_lshlrev_b64 v[34:35], v34, v[7:8]
	v_lshrrev_b32_e32 v37, 3, v8
	v_sub_u32_e32 v35, 29, v38
	v_and_b32_e32 v34, 7, v34
	v_cmp_gt_u32_e64 s[4:5], 8, v8
	v_cndmask_b32_e64 v8, v37, v35, s[4:5]
	v_cndmask_b32_e64 v34, v36, v34, s[4:5]
	v_lshlrev_b32_e32 v35, 24, v7
	v_lshlrev_b32_e32 v34, 20, v34
	v_and_b32_e32 v35, 0x80000000, v35
	v_lshl_add_u32 v8, v8, 23, v28
	v_or3_b32 v34, v35, v8, v34
.LBB301_37:                             ;   in Loop: Header=BB301_9 Depth=1
	s_or_b64 exec, exec, s[36:37]
.LBB301_38:                             ;   in Loop: Header=BB301_9 Depth=1
	s_or_b64 exec, exec, s[34:35]
.LBB301_39:                             ;   in Loop: Header=BB301_9 Depth=1
	s_or_b64 exec, exec, s[16:17]
	v_lshrrev_b16_e32 v8, 8, v7
	v_cmp_ne_u16_e64 s[4:5], 0, v8
	v_mov_b32_e32 v36, 0
	v_mov_b32_e32 v35, 0
	s_and_saveexec_b64 s[16:17], s[4:5]
	s_cbranch_execz .LBB301_45
; %bb.40:                               ;   in Loop: Header=BB301_9 Depth=1
	v_cmp_ne_u16_e64 s[4:5], s41, v8
	v_bfrev_b32_e32 v35, 1
	s_and_saveexec_b64 s[34:35], s[4:5]
	s_cbranch_execz .LBB301_44
; %bb.41:                               ;   in Loop: Header=BB301_9 Depth=1
	v_and_b32_e32 v37, 0x7f, v8
	v_cmp_ne_u32_e64 s[4:5], s42, v37
	v_mov_b32_e32 v35, 0x7f800001
	s_and_saveexec_b64 s[36:37], s[4:5]
	s_cbranch_execz .LBB301_43
; %bb.42:                               ;   in Loop: Header=BB301_9 Depth=1
	v_and_b32_e32 v35, 7, v8
	v_ffbh_u32_e32 v38, v35
	v_min_u32_e32 v41, 32, v38
	v_subrev_u32_e32 v38, 28, v41
	v_lshlrev_b64 v[38:39], v38, v[8:9]
	v_lshrrev_b32_e32 v40, 3, v37
	v_sub_u32_e32 v8, 29, v41
	v_and_b32_e32 v38, 7, v38
	v_cmp_gt_u32_e64 s[4:5], 8, v37
	v_cndmask_b32_e64 v8, v40, v8, s[4:5]
	v_cndmask_b32_e64 v35, v35, v38, s[4:5]
	v_lshlrev_b32_e32 v7, 16, v7
	v_lshlrev_b32_e32 v35, 20, v35
	v_and_b32_e32 v7, 0x80000000, v7
	v_lshl_add_u32 v8, v8, 23, v28
	v_or3_b32 v35, v7, v8, v35
.LBB301_43:                             ;   in Loop: Header=BB301_9 Depth=1
	s_or_b64 exec, exec, s[36:37]
.LBB301_44:                             ;   in Loop: Header=BB301_9 Depth=1
	s_or_b64 exec, exec, s[34:35]
.LBB301_45:                             ;   in Loop: Header=BB301_9 Depth=1
	s_or_b64 exec, exec, s[16:17]
	global_load_ushort v6, v[5:6], off offset:264
	s_waitcnt vmcnt(0)
	v_and_b32_e32 v5, 0xffff, v6
	v_cmp_ne_u16_sdwa s[4:5], v6, v27 src0_sel:BYTE_0 src1_sel:DWORD
	s_and_saveexec_b64 s[16:17], s[4:5]
	s_cbranch_execz .LBB301_51
; %bb.46:                               ;   in Loop: Header=BB301_9 Depth=1
	v_cmp_ne_u16_sdwa s[4:5], v5, s41 src0_sel:BYTE_0 src1_sel:DWORD
	v_bfrev_b32_e32 v36, 1
	s_and_saveexec_b64 s[34:35], s[4:5]
	s_cbranch_execz .LBB301_50
; %bb.47:                               ;   in Loop: Header=BB301_9 Depth=1
	v_and_b32_e32 v6, 0x7f, v5
	v_cmp_ne_u32_e64 s[4:5], s42, v6
	v_mov_b32_e32 v36, 0x7f800001
	s_and_saveexec_b64 s[36:37], s[4:5]
	s_cbranch_execz .LBB301_49
; %bb.48:                               ;   in Loop: Header=BB301_9 Depth=1
	v_and_b32_e32 v36, 7, v5
	v_ffbh_u32_e32 v7, v36
	v_min_u32_e32 v38, 32, v7
	v_subrev_u32_e32 v7, 28, v38
	v_lshlrev_b64 v[7:8], v7, v[5:6]
	v_lshrrev_b32_e32 v37, 3, v6
	v_sub_u32_e32 v8, 29, v38
	v_and_b32_e32 v7, 7, v7
	v_cmp_gt_u32_e64 s[4:5], 8, v6
	v_cndmask_b32_e64 v6, v37, v8, s[4:5]
	v_cndmask_b32_e64 v7, v36, v7, s[4:5]
	v_lshlrev_b32_e32 v8, 24, v5
	v_lshlrev_b32_e32 v7, 20, v7
	v_and_b32_e32 v8, 0x80000000, v8
	v_lshl_add_u32 v6, v6, 23, v28
	v_or3_b32 v36, v8, v6, v7
.LBB301_49:                             ;   in Loop: Header=BB301_9 Depth=1
	s_or_b64 exec, exec, s[36:37]
.LBB301_50:                             ;   in Loop: Header=BB301_9 Depth=1
	s_or_b64 exec, exec, s[34:35]
.LBB301_51:                             ;   in Loop: Header=BB301_9 Depth=1
	s_or_b64 exec, exec, s[16:17]
	v_lshrrev_b16_e32 v6, 8, v5
	v_cmp_ne_u16_e64 s[4:5], 0, v6
	v_mov_b32_e32 v7, 0
	s_and_saveexec_b64 s[16:17], s[4:5]
	s_cbranch_execz .LBB301_57
; %bb.52:                               ;   in Loop: Header=BB301_9 Depth=1
	v_cmp_ne_u16_e64 s[4:5], s41, v6
	v_bfrev_b32_e32 v7, 1
	s_and_saveexec_b64 s[34:35], s[4:5]
	s_cbranch_execz .LBB301_56
; %bb.53:                               ;   in Loop: Header=BB301_9 Depth=1
	v_and_b32_e32 v8, 0x7f, v6
	v_cmp_ne_u32_e64 s[4:5], s42, v8
	v_mov_b32_e32 v7, 0x7f800001
	s_and_saveexec_b64 s[36:37], s[4:5]
	s_cbranch_execz .LBB301_55
; %bb.54:                               ;   in Loop: Header=BB301_9 Depth=1
	v_and_b32_e32 v37, 7, v6
	v_ffbh_u32_e32 v7, v37
	v_min_u32_e32 v39, 32, v7
	v_subrev_u32_e32 v7, 28, v39
	v_lshlrev_b64 v[6:7], v7, v[6:7]
	v_lshrrev_b32_e32 v38, 3, v8
	v_sub_u32_e32 v7, 29, v39
	v_and_b32_e32 v6, 7, v6
	v_cmp_gt_u32_e64 s[4:5], 8, v8
	v_cndmask_b32_e64 v7, v38, v7, s[4:5]
	v_cndmask_b32_e64 v6, v37, v6, s[4:5]
	v_lshlrev_b32_e32 v5, 16, v5
	v_lshlrev_b32_e32 v6, 20, v6
	v_and_b32_e32 v5, 0x80000000, v5
	v_lshl_add_u32 v7, v7, 23, v28
	v_or3_b32 v7, v5, v7, v6
.LBB301_55:                             ;   in Loop: Header=BB301_9 Depth=1
	s_or_b64 exec, exec, s[36:37]
.LBB301_56:                             ;   in Loop: Header=BB301_9 Depth=1
	s_or_b64 exec, exec, s[34:35]
.LBB301_57:                             ;   in Loop: Header=BB301_9 Depth=1
	s_or_b64 exec, exec, s[16:17]
	s_waitcnt lgkmcnt(0)
	v_mul_f32_e32 v5, s40, v36
	v_bfe_u32 v6, v5, 16, 1
	v_add3_u32 v6, v6, v5, s43
	v_or_b32_e32 v8, 0x400000, v5
	v_cmp_u_f32_e64 s[4:5], v5, v5
	v_cndmask_b32_e64 v5, v6, v8, s[4:5]
	v_mul_f32_e32 v6, s40, v35
	v_bfe_u32 v8, v6, 16, 1
	v_add3_u32 v8, v8, v6, s43
	v_or_b32_e32 v35, 0x400000, v6
	v_cmp_u_f32_e64 s[4:5], v6, v6
	v_cndmask_b32_e64 v6, v8, v35, s[4:5]
	v_mul_f32_e32 v8, s40, v34
	v_bfe_u32 v34, v8, 16, 1
	v_add3_u32 v34, v34, v8, s43
	v_or_b32_e32 v35, 0x400000, v8
	v_cmp_u_f32_e64 s[4:5], v8, v8
	v_mul_f32_e32 v33, s40, v33
	v_cndmask_b32_e64 v8, v34, v35, s[4:5]
	v_bfe_u32 v34, v33, 16, 1
	v_add3_u32 v34, v34, v33, s43
	v_or_b32_e32 v35, 0x400000, v33
	v_cmp_u_f32_e64 s[4:5], v33, v33
	v_mul_f32_e32 v32, s40, v32
	v_cndmask_b32_e64 v33, v34, v35, s[4:5]
	;; [unrolled: 6-line block ×4, first 2 shown]
	v_bfe_u32 v34, v30, 16, 1
	v_add3_u32 v34, v34, v30, s43
	v_or_b32_e32 v35, 0x400000, v30
	v_cmp_u_f32_e64 s[4:5], v30, v30
	v_cndmask_b32_e64 v30, v34, v35, s[4:5]
	v_mul_f32_e32 v7, s40, v7
	v_and_b32_e32 v32, 0xffff0000, v32
	v_bfe_u32 v34, v7, 16, 1
	v_and_b32_e32 v30, 0xffff0000, v30
	v_and_b32_e32 v33, 0xffff0000, v33
	v_mul_f32_e32 v32, v15, v32
	v_add3_u32 v34, v34, v7, s43
	v_or_b32_e32 v35, 0x400000, v7
	v_cmp_u_f32_e64 s[4:5], v7, v7
	v_and_b32_e32 v31, 0xffff0000, v31
	v_fmac_f32_e32 v32, v13, v30
	v_mul_f32_e32 v30, v16, v33
	v_cndmask_b32_e64 v7, v34, v35, s[4:5]
	v_fmac_f32_e32 v30, v14, v31
	v_and_b32_e32 v8, 0xffff0000, v8
	v_and_b32_e32 v6, 0xffff0000, v6
	v_fmac_f32_e32 v32, v18, v8
	v_fmac_f32_e32 v30, v19, v6
	v_and_b32_e32 v5, 0xffff0000, v5
	v_and_b32_e32 v6, 0xffff0000, v7
	v_fmac_f32_e32 v32, v20, v5
	v_fmac_f32_e32 v30, v21, v6
	v_add_f32_e32 v5, v32, v30
	ds_bpermute_b32 v6, v23, v5
	s_waitcnt lgkmcnt(0)
	v_add_f32_e32 v5, v5, v6
	ds_bpermute_b32 v6, v24, v5
	s_and_saveexec_b64 s[16:17], vcc
	s_cbranch_execz .LBB301_8
; %bb.58:                               ;   in Loop: Header=BB301_9 Depth=1
	v_add_u32_e32 v7, s39, v25
	v_cvt_f32_i32_e32 v7, v7
	s_waitcnt lgkmcnt(0)
	v_add_f32_e32 v5, v5, v6
	v_cmp_gt_i32_e64 s[4:5], s11, v25
	v_max_f32_e32 v6, v22, v22
	v_mul_f32_e32 v7, s33, v7
	v_cndmask_b32_e64 v7, 0, v7, s[2:3]
	v_fmac_f32_e32 v7, s31, v5
	v_cndmask_b32_e64 v5, 0, v7, s[4:5]
	ds_write_b32 v26, v5
	v_max_f32_e32 v5, v6, v7
	v_cndmask_b32_e64 v22, v22, v5, s[4:5]
	s_branch .LBB301_8
.LBB301_59:
	s_or_b64 exec, exec, s[14:15]
.LBB301_60:
	s_or_b64 exec, exec, s[6:7]
	v_xor_b32_e32 v1, 32, v10
	v_cmp_lt_i32_e32 vcc, v1, v11
	v_cndmask_b32_e32 v1, v10, v1, vcc
	v_lshlrev_b32_e32 v1, 2, v1
	ds_bpermute_b32 v2, v1, v22
	v_xor_b32_e32 v4, 16, v10
	v_max_f32_e32 v3, v22, v22
	v_cmp_lt_i32_e32 vcc, v4, v11
	v_xor_b32_e32 v5, 8, v10
	s_waitcnt lgkmcnt(0)
	v_max_f32_e32 v2, v2, v2
	v_max_f32_e32 v3, v3, v2
	v_cndmask_b32_e32 v2, v10, v4, vcc
	v_lshlrev_b32_e32 v2, 2, v2
	ds_bpermute_b32 v4, v2, v3
	v_cmp_lt_i32_e32 vcc, v5, v11
	v_xor_b32_e32 v6, 4, v10
	v_and_b32_e32 v18, 63, v0
	s_waitcnt lgkmcnt(0)
	v_max_f32_e32 v4, v4, v4
	v_max_f32_e32 v3, v3, v4
	v_cndmask_b32_e32 v4, v10, v5, vcc
	v_lshlrev_b32_e32 v5, 2, v4
	ds_bpermute_b32 v4, v5, v3
	v_cmp_lt_i32_e32 vcc, v6, v11
	s_waitcnt lgkmcnt(0)
	v_max_f32_e32 v4, v4, v4
	v_max_f32_e32 v4, v3, v4
	v_cndmask_b32_e32 v3, v10, v6, vcc
	v_lshlrev_b32_e32 v6, 2, v3
	ds_bpermute_b32 v7, v6, v4
	v_cmp_eq_u32_e32 vcc, 0, v18
	v_lshlrev_b32_e32 v3, 2, v17
	s_and_saveexec_b64 s[2:3], vcc
	s_cbranch_execz .LBB301_62
; %bb.61:
	s_waitcnt lgkmcnt(0)
	v_max_f32_e32 v7, v7, v7
	v_max_f32_e32 v4, v4, v4
	;; [unrolled: 1-line block ×3, first 2 shown]
	ds_write_b32 v3, v4 offset:64
.LBB301_62:
	s_or_b64 exec, exec, s[2:3]
	v_cmp_gt_u32_e64 s[2:3], 2, v18
	s_waitcnt lgkmcnt(0)
	v_mov_b32_e32 v7, 0xff7fffff
	v_lshlrev_b32_e32 v4, 2, v18
	s_barrier
	s_and_saveexec_b64 s[4:5], s[2:3]
; %bb.63:
	ds_read_b32 v7, v4 offset:64
; %bb.64:
	s_or_b64 exec, exec, s[4:5]
	v_xor_b32_e32 v8, 1, v10
	v_cmp_lt_i32_e64 s[4:5], v8, v11
	v_cndmask_b32_e64 v8, v10, v8, s[4:5]
	v_lshlrev_b32_e32 v19, 2, v8
	s_waitcnt lgkmcnt(0)
	ds_bpermute_b32 v8, v19, v7
	v_max_f32_e32 v7, v7, v7
	s_lshl_b32 s4, s30, 4
	s_min_i32 s31, s4, s11
	v_cmp_gt_i32_e64 s[4:5], s31, v0
	s_waitcnt lgkmcnt(0)
	v_max_f32_e32 v8, v8, v8
	v_max_f32_e32 v7, v7, v8
	v_lshlrev_b32_e32 v8, 2, v12
	ds_bpermute_b32 v8, v8, v7
	v_mov_b32_e32 v7, 0
	s_and_saveexec_b64 s[14:15], s[4:5]
	s_cbranch_execz .LBB301_68
; %bb.65:
	v_mov_b32_e32 v7, 0x50
	v_lshl_add_u32 v12, v0, 2, v7
	v_mov_b32_e32 v7, 0
	s_mov_b64 s[16:17], 0
	v_mov_b32_e32 v13, v0
.LBB301_66:                             ; =>This Inner Loop Header: Depth=1
	ds_read_b32 v14, v12
	v_add_u32_e32 v13, 0x80, v13
	v_cmp_le_i32_e64 s[6:7], s31, v13
	s_or_b64 s[16:17], s[6:7], s[16:17]
	s_waitcnt lgkmcnt(0)
	v_sub_f32_e32 v14, v14, v8
	v_mul_f32_e32 v14, 0x3fb8aa3b, v14
	v_exp_f32_e32 v14, v14
	ds_write_b32 v12, v14
	v_add_f32_e32 v7, v7, v14
	v_add_u32_e32 v12, 0x200, v12
	s_andn2_b64 exec, exec, s[16:17]
	s_cbranch_execnz .LBB301_66
; %bb.67:
	s_or_b64 exec, exec, s[16:17]
.LBB301_68:
	s_or_b64 exec, exec, s[14:15]
	ds_bpermute_b32 v1, v1, v7
	s_waitcnt lgkmcnt(0)
	v_add_f32_e32 v1, v7, v1
	ds_bpermute_b32 v2, v2, v1
	s_waitcnt lgkmcnt(0)
	v_add_f32_e32 v1, v1, v2
	ds_bpermute_b32 v2, v5, v1
	v_xor_b32_e32 v5, 2, v10
	v_cmp_lt_i32_e64 s[6:7], v5, v11
	v_cndmask_b32_e64 v5, v10, v5, s[6:7]
	s_waitcnt lgkmcnt(0)
	v_add_f32_e32 v1, v1, v2
	ds_bpermute_b32 v2, v6, v1
	s_waitcnt lgkmcnt(0)
	v_add_f32_e32 v1, v1, v2
	v_lshlrev_b32_e32 v2, 2, v5
	ds_bpermute_b32 v2, v2, v1
	s_waitcnt lgkmcnt(0)
	v_add_f32_e32 v1, v1, v2
	ds_bpermute_b32 v2, v19, v1
	s_waitcnt lgkmcnt(0)
	v_add_f32_e32 v1, v1, v2
	s_and_saveexec_b64 s[6:7], vcc
; %bb.69:
	ds_write_b32 v3, v1 offset:72
; %bb.70:
	s_or_b64 exec, exec, s[6:7]
	s_waitcnt lgkmcnt(0)
	s_barrier
	s_and_saveexec_b64 s[6:7], s[2:3]
; %bb.71:
	ds_read_b32 v1, v4 offset:72
; %bb.72:
	s_or_b64 exec, exec, s[6:7]
	s_waitcnt lgkmcnt(0)
	ds_bpermute_b32 v2, v19, v1
	v_lshlrev_b32_e32 v3, 2, v10
	s_waitcnt lgkmcnt(0)
	v_add_f32_e32 v1, v1, v2
	v_and_b32_e32 v2, 0xffffff00, v3
	ds_bpermute_b32 v1, v2, v1
	s_and_saveexec_b64 s[2:3], s[4:5]
	s_cbranch_execz .LBB301_75
; %bb.73:
	s_waitcnt lgkmcnt(0)
	v_add_f32_e32 v2, 0x358637bd, v1
	v_div_scale_f32 v1, s[4:5], v2, v2, 1.0
	v_div_scale_f32 v3, vcc, 1.0, v2, 1.0
	s_mov_b64 s[4:5], 0
	v_rcp_f32_e32 v4, v1
	v_fma_f32 v5, -v1, v4, 1.0
	v_fmac_f32_e32 v4, v5, v4
	v_mul_f32_e32 v5, v3, v4
	v_fma_f32 v6, -v1, v5, v3
	v_fmac_f32_e32 v5, v6, v4
	v_fma_f32 v1, -v1, v5, v3
	v_div_fmas_f32 v3, v1, v4, v5
	v_mov_b32_e32 v1, 0x50
	v_lshl_add_u32 v1, v0, 2, v1
	v_div_fixup_f32 v2, v3, v2, 1.0
	v_mov_b32_e32 v3, v0
.LBB301_74:                             ; =>This Inner Loop Header: Depth=1
	ds_read_b32 v4, v1
	v_add_u32_e32 v3, 0x80, v3
	v_cmp_le_i32_e32 vcc, s31, v3
	s_or_b64 s[4:5], vcc, s[4:5]
	s_waitcnt lgkmcnt(0)
	v_mul_f32_e32 v4, v2, v4
	ds_write_b32 v1, v4
	v_add_u32_e32 v1, 0x200, v1
	s_andn2_b64 exec, exec, s[4:5]
	s_cbranch_execnz .LBB301_74
.LBB301_75:
	s_or_b64 exec, exec, s[2:3]
	v_mov_b32_e32 v22, 0
	s_waitcnt lgkmcnt(0)
	s_barrier
	s_and_saveexec_b64 s[2:3], s[0:1]
	s_cbranch_execz .LBB301_129
; %bb.76:
	v_lshlrev_b32_e32 v1, 3, v0
	s_ashr_i32 s0, s12, 31
	v_and_b32_e32 v2, 8, v1
	s_add_u32 s1, s28, s12
	v_and_b32_e32 v1, 0x1f8, v1
	v_add_co_u32_e32 v11, vcc, s1, v1
	v_lshlrev_b32_e32 v1, 4, v17
	s_addc_u32 s0, s29, s0
	v_or3_b32 v20, v1, v2, 7
	v_and_b32_e32 v1, 1, v0
	v_mov_b32_e32 v3, s0
	s_load_dword s17, s[18:19], 0x0
	s_add_i32 s18, s30, -1
	v_lshlrev_b32_e32 v1, 5, v1
	s_lshl_b64 s[0:1], s[26:27], 2
	v_lshl_or_b32 v1, v17, 6, v1
	s_add_u32 s0, s24, s0
	v_addc_co_u32_e32 v12, vcc, 0, v3, vcc
	v_add_u32_e32 v21, 0x50, v1
	v_and_b32_e32 v1, 60, v9
	s_addc_u32 s1, s25, s1
	s_mov_b32 s4, -1
	v_mov_b32_e32 v2, s1
	v_add_co_u32_e32 v13, vcc, s0, v1
	s_mov_b32 s16, s13
	v_mov_b32_e32 v10, 0
	s_mov_b32 s5, 0xffffff
	v_addc_co_u32_e32 v14, vcc, 0, v2, vcc
	s_mov_b64 s[6:7], 0
	s_movk_i32 s19, 0x7f
	s_movk_i32 s24, 0x80
	;; [unrolled: 1-line block ×3, first 2 shown]
	v_bfrev_b32_e32 v23, 60
	v_mov_b32_e32 v24, 0x7f800001
	v_bfrev_b32_e32 v25, 1
	v_mov_b32_e32 v22, 0
	s_branch .LBB301_78
.LBB301_77:                             ;   in Loop: Header=BB301_78 Depth=1
	s_or_b64 exec, exec, s[0:1]
	v_bfe_u32 v31, v5, 16, 1
	v_add3_u32 v31, v31, v5, s25
	v_or_b32_e32 v32, 0x400000, v5
	v_cmp_u_f32_e32 vcc, v5, v5
	v_cndmask_b32_e32 v5, v31, v32, vcc
	v_bfe_u32 v31, v6, 16, 1
	v_add3_u32 v31, v31, v6, s25
	v_or_b32_e32 v32, 0x400000, v6
	v_cmp_u_f32_e32 vcc, v6, v6
	v_cndmask_b32_e32 v6, v31, v32, vcc
	;; [unrolled: 5-line block ×6, first 2 shown]
	v_bfe_u32 v31, v3, 16, 1
	v_add3_u32 v31, v31, v3, s25
	v_or_b32_e32 v32, 0x400000, v3
	v_cmp_u_f32_e32 vcc, v3, v3
	v_and_b32_e32 v5, 0xffff0000, v5
	v_lshlrev_b32_e32 v30, 16, v30
	v_cndmask_b32_e32 v3, v31, v32, vcc
	v_bfe_u32 v31, v4, 16, 1
	v_mul_f32_e32 v5, v5, v30
	v_and_b32_e32 v6, 0xffff0000, v6
	v_lshlrev_b32_e32 v29, 16, v29
	v_add3_u32 v31, v31, v4, s25
	v_or_b32_e32 v32, 0x400000, v4
	v_cmp_u_f32_e32 vcc, v4, v4
	v_bfe_u32 v30, v5, 16, 1
	v_mul_f32_e32 v6, v6, v29
	v_and_b32_e32 v7, 0xffff0000, v7
	v_lshlrev_b32_e32 v28, 16, v28
	v_cndmask_b32_e32 v4, v31, v32, vcc
	v_add3_u32 v30, v30, v5, s25
	v_or_b32_e32 v31, 0x400000, v5
	v_cmp_u_f32_e32 vcc, v5, v5
	v_bfe_u32 v29, v6, 16, 1
	v_mul_f32_e32 v7, v7, v28
	v_and_b32_e32 v8, 0xffff0000, v8
	v_lshlrev_b32_e32 v16, 16, v16
	v_cndmask_b32_e32 v5, v30, v31, vcc
	;; [unrolled: 8-line block ×4, first 2 shown]
	v_add3_u32 v16, v16, v8, s25
	v_or_b32_e32 v28, 0x400000, v8
	v_cmp_u_f32_e32 vcc, v8, v8
	v_bfe_u32 v15, v1, 16, 1
	v_mul_f32_e32 v2, v2, v9
	v_cndmask_b32_e32 v8, v16, v28, vcc
	v_add3_u32 v15, v15, v1, s25
	v_or_b32_e32 v16, 0x400000, v1
	v_cmp_u_f32_e32 vcc, v1, v1
	v_bfe_u32 v9, v2, 16, 1
	v_cndmask_b32_e32 v1, v15, v16, vcc
	v_add3_u32 v9, v9, v2, s25
	v_or_b32_e32 v15, 0x400000, v2
	v_cmp_u_f32_e32 vcc, v2, v2
	v_cndmask_b32_e32 v2, v9, v15, vcc
	v_and_b32_e32 v3, 0xffff0000, v3
	v_lshlrev_b32_e32 v9, 16, v27
	v_mul_f32_e32 v3, v3, v9
	v_bfe_u32 v9, v3, 16, 1
	v_add3_u32 v9, v9, v3, s25
	v_or_b32_e32 v15, 0x400000, v3
	v_cmp_u_f32_e32 vcc, v3, v3
	v_cndmask_b32_e32 v3, v9, v15, vcc
	v_and_b32_e32 v4, 0xffff0000, v4
	v_lshlrev_b32_e32 v9, 16, v26
	v_mul_f32_e32 v4, v4, v9
	v_bfe_u32 v9, v4, 16, 1
	v_and_b32_e32 v6, 0xffff0000, v6
	v_and_b32_e32 v5, 0xffff0000, v5
	v_add3_u32 v9, v9, v4, s25
	v_or_b32_e32 v15, 0x400000, v4
	v_cmp_u_f32_e32 vcc, v4, v4
	v_add_f32_e32 v5, v5, v6
	v_and_b32_e32 v6, 0xffff0000, v8
	v_and_b32_e32 v7, 0xffff0000, v7
	v_cndmask_b32_e32 v4, v9, v15, vcc
	v_add_f32_e32 v6, v7, v6
	v_and_b32_e32 v2, 0xffff0000, v2
	v_and_b32_e32 v1, 0xffff0000, v1
	v_add_f32_e32 v5, v6, v5
	v_add_f32_e32 v1, v1, v2
	v_and_b32_e32 v2, 0xffff0000, v4
	v_and_b32_e32 v3, 0xffff0000, v3
	v_add_u32_e32 v17, 2, v17
	v_add_f32_e32 v1, v1, v5
	v_add_f32_e32 v2, v3, v2
	v_cmp_le_i32_e32 vcc, s30, v17
	v_add_f32_e32 v1, v2, v1
	s_or_b64 s[6:7], vcc, s[6:7]
	v_add_co_u32_e32 v13, vcc, 8, v13
	v_add_f32_e32 v22, v22, v1
	v_add_u32_e32 v20, 32, v20
	v_add_u32_e32 v21, 0x80, v21
	v_addc_co_u32_e32 v14, vcc, 0, v14, vcc
	s_andn2_b64 exec, exec, s[6:7]
	s_cbranch_execz .LBB301_128
.LBB301_78:                             ; =>This Inner Loop Header: Depth=1
	global_load_dword v1, v[13:14], off
	s_waitcnt vmcnt(0)
	v_mad_i64_i32 v[1:2], s[0:1], v1, s16, v[11:12]
	s_mov_b64 s[0:1], 0
	global_load_dwordx2 v[15:16], v[1:2], off
	ds_read2_b64 v[5:8], v21 offset1:1
	ds_read2_b64 v[1:4], v21 offset0:2 offset1:3
	s_waitcnt vmcnt(0)
	v_cmp_gt_i16_sdwa s[12:13], v15, s19 src0_sel:BYTE_0 src1_sel:DWORD
	s_and_saveexec_b64 s[14:15], s[12:13]
	s_xor_b64 s[12:13], exec, s[14:15]
	s_cbranch_execnz .LBB301_104
; %bb.79:                               ;   in Loop: Header=BB301_78 Depth=1
	s_or_saveexec_b64 s[12:13], s[12:13]
	v_bfrev_b32_e32 v26, 1
	s_xor_b64 exec, exec, s[12:13]
	s_cbranch_execnz .LBB301_107
.LBB301_80:                             ;   in Loop: Header=BB301_78 Depth=1
	s_or_b64 exec, exec, s[12:13]
	s_and_saveexec_b64 s[12:13], s[0:1]
	s_cbranch_execz .LBB301_82
.LBB301_81:                             ;   in Loop: Header=BB301_78 Depth=1
	v_and_b32_e32 v26, 7, v15
	v_ffbh_u32_e32 v26, v26
	v_and_b32_e32 v28, 0x7f, v15
	v_min_u32_e32 v26, 32, v26
	v_sub_u32_e32 v27, 29, v26
	v_cmp_gt_u32_e32 vcc, 8, v28
	v_subrev_u32_e32 v26, 28, v26
	v_bfe_u32 v29, v15, 3, 4
	v_cndmask_b32_e32 v26, 0, v26, vcc
	v_cndmask_b32_e32 v29, v29, v27, vcc
	v_lshlrev_b64 v[26:27], v26, v[15:16]
	v_lshlrev_b32_e32 v9, 24, v15
	v_lshlrev_b32_e32 v26, 20, v26
	v_and_b32_e32 v9, 0x80000000, v9
	v_lshl_add_u32 v27, v29, 23, v23
	v_and_b32_e32 v26, 0x700000, v26
	v_or3_b32 v9, v9, v27, v26
	v_cmp_ne_u32_e32 vcc, s19, v28
	v_cndmask_b32_e32 v26, v24, v9, vcc
.LBB301_82:                             ;   in Loop: Header=BB301_78 Depth=1
	s_or_b64 exec, exec, s[12:13]
	v_lshrrev_b16_e32 v9, 8, v15
	v_cmp_lt_i16_e32 vcc, s19, v9
	s_mov_b64 s[0:1], 0
	s_and_saveexec_b64 s[12:13], vcc
	s_xor_b64 s[12:13], exec, s[12:13]
	s_cbranch_execnz .LBB301_108
; %bb.83:                               ;   in Loop: Header=BB301_78 Depth=1
	s_or_saveexec_b64 s[12:13], s[12:13]
	v_bfrev_b32_e32 v27, 1
	s_xor_b64 exec, exec, s[12:13]
	s_cbranch_execnz .LBB301_111
.LBB301_84:                             ;   in Loop: Header=BB301_78 Depth=1
	s_or_b64 exec, exec, s[12:13]
	s_and_saveexec_b64 s[12:13], s[0:1]
	s_cbranch_execz .LBB301_86
.LBB301_85:                             ;   in Loop: Header=BB301_78 Depth=1
	v_and_b32_e32 v29, 7, v9
	v_ffbh_u32_e32 v27, v29
	v_min_u32_e32 v32, 32, v27
	v_subrev_u32_e32 v27, 28, v32
	v_lshlrev_b64 v[27:28], v27, v[9:10]
	v_and_b32_e32 v30, 0x7f, v9
	v_bfe_u32 v31, v9, 3, 4
	v_sub_u32_e32 v28, 29, v32
	v_and_b32_e32 v27, 7, v27
	v_cmp_gt_u32_e32 vcc, 8, v30
	v_cndmask_b32_e32 v28, v31, v28, vcc
	v_cndmask_b32_e32 v27, v29, v27, vcc
	v_lshlrev_b32_e32 v9, 24, v9
	v_lshlrev_b32_e32 v27, 20, v27
	v_and_b32_e32 v9, 0x80000000, v9
	v_lshl_add_u32 v28, v28, 23, v23
	v_or3_b32 v9, v9, v28, v27
	v_cmp_ne_u32_e32 vcc, s19, v30
	v_cndmask_b32_e32 v27, v24, v9, vcc
.LBB301_86:                             ;   in Loop: Header=BB301_78 Depth=1
	s_or_b64 exec, exec, s[12:13]
	v_lshrrev_b32_e32 v9, 16, v15
	v_cmp_gt_i16_sdwa s[12:13], v9, s19 src0_sel:BYTE_0 src1_sel:DWORD
	s_mov_b64 s[0:1], 0
	s_and_saveexec_b64 s[14:15], s[12:13]
	s_xor_b64 s[12:13], exec, s[14:15]
	s_cbranch_execnz .LBB301_112
; %bb.87:                               ;   in Loop: Header=BB301_78 Depth=1
	s_or_saveexec_b64 s[12:13], s[12:13]
	v_bfrev_b32_e32 v28, 1
	s_xor_b64 exec, exec, s[12:13]
	s_cbranch_execnz .LBB301_115
.LBB301_88:                             ;   in Loop: Header=BB301_78 Depth=1
	s_or_b64 exec, exec, s[12:13]
	s_and_saveexec_b64 s[12:13], s[0:1]
	s_cbranch_execz .LBB301_90
.LBB301_89:                             ;   in Loop: Header=BB301_78 Depth=1
	v_and_b32_e32 v30, 7, v9
	v_ffbh_u32_e32 v28, v30
	v_min_u32_e32 v33, 32, v28
	v_subrev_u32_e32 v28, 28, v33
	v_lshlrev_b64 v[28:29], v28, v[9:10]
	v_and_b32_e32 v31, 0x7f, v9
	v_bfe_u32 v32, v9, 3, 4
	v_sub_u32_e32 v29, 29, v33
	v_and_b32_e32 v28, 7, v28
	v_cmp_gt_u32_e32 vcc, 8, v31
	v_cndmask_b32_e32 v29, v32, v29, vcc
	v_cndmask_b32_e32 v28, v30, v28, vcc
	v_lshlrev_b32_e32 v9, 24, v9
	v_lshlrev_b32_e32 v28, 20, v28
	v_and_b32_e32 v9, 0x80000000, v9
	v_lshl_add_u32 v29, v29, 23, v23
	v_or3_b32 v9, v9, v29, v28
	v_cmp_ne_u32_e32 vcc, s19, v31
	v_cndmask_b32_e32 v28, v24, v9, vcc
.LBB301_90:                             ;   in Loop: Header=BB301_78 Depth=1
	s_or_b64 exec, exec, s[12:13]
	v_cmp_gt_i16_sdwa s[12:13], v16, s19 src0_sel:BYTE_0 src1_sel:DWORD
	s_mov_b64 s[0:1], 0
	s_and_saveexec_b64 s[14:15], s[12:13]
	s_xor_b64 s[12:13], exec, s[14:15]
	s_cbranch_execnz .LBB301_116
; %bb.91:                               ;   in Loop: Header=BB301_78 Depth=1
	s_or_saveexec_b64 s[12:13], s[12:13]
	v_bfrev_b32_e32 v29, 1
	s_xor_b64 exec, exec, s[12:13]
	s_cbranch_execnz .LBB301_119
.LBB301_92:                             ;   in Loop: Header=BB301_78 Depth=1
	s_or_b64 exec, exec, s[12:13]
	v_mov_b32_e32 v9, v16
	s_and_saveexec_b64 s[12:13], s[0:1]
	s_cbranch_execz .LBB301_94
.LBB301_93:                             ;   in Loop: Header=BB301_78 Depth=1
	v_and_b32_e32 v29, 7, v16
	v_ffbh_u32_e32 v29, v29
	v_and_b32_e32 v31, 0x7f, v16
	v_min_u32_e32 v29, 32, v29
	v_bfe_u32 v30, v16, 3, 4
	v_subrev_u32_e32 v32, 28, v29
	v_sub_u32_e32 v29, 29, v29
	v_cmp_gt_u32_e32 vcc, 8, v31
	v_cndmask_b32_e32 v33, v30, v29, vcc
	v_cndmask_b32_e32 v29, 0, v32, vcc
	v_lshlrev_b64 v[29:30], v29, v[9:10]
	v_lshlrev_b32_e32 v30, 24, v9
	v_lshlrev_b32_e32 v29, 20, v29
	v_and_b32_e32 v29, 0x700000, v29
	v_and_b32_e32 v30, 0x80000000, v30
	v_lshl_add_u32 v32, v33, 23, v23
	v_or3_b32 v29, v30, v32, v29
	v_cmp_ne_u32_e32 vcc, s19, v31
	v_cndmask_b32_e32 v29, v24, v29, vcc
.LBB301_94:                             ;   in Loop: Header=BB301_78 Depth=1
	s_or_b64 exec, exec, s[12:13]
	v_lshrrev_b16_e32 v9, 8, v9
	v_cmp_lt_i16_e32 vcc, s19, v9
	s_mov_b64 s[0:1], 0
	s_and_saveexec_b64 s[12:13], vcc
	s_xor_b64 s[12:13], exec, s[12:13]
	s_cbranch_execnz .LBB301_120
; %bb.95:                               ;   in Loop: Header=BB301_78 Depth=1
	s_or_saveexec_b64 s[12:13], s[12:13]
	v_bfrev_b32_e32 v30, 1
	s_xor_b64 exec, exec, s[12:13]
	s_cbranch_execnz .LBB301_123
.LBB301_96:                             ;   in Loop: Header=BB301_78 Depth=1
	s_or_b64 exec, exec, s[12:13]
	s_and_saveexec_b64 s[12:13], s[0:1]
	s_cbranch_execz .LBB301_98
.LBB301_97:                             ;   in Loop: Header=BB301_78 Depth=1
	v_and_b32_e32 v32, 7, v9
	v_ffbh_u32_e32 v30, v32
	v_min_u32_e32 v35, 32, v30
	v_subrev_u32_e32 v30, 28, v35
	v_lshlrev_b64 v[30:31], v30, v[9:10]
	v_and_b32_e32 v33, 0x7f, v9
	v_bfe_u32 v34, v9, 3, 4
	v_sub_u32_e32 v31, 29, v35
	v_and_b32_e32 v30, 7, v30
	v_cmp_gt_u32_e32 vcc, 8, v33
	v_cndmask_b32_e32 v31, v34, v31, vcc
	v_cndmask_b32_e32 v30, v32, v30, vcc
	v_lshlrev_b32_e32 v9, 24, v9
	v_lshlrev_b32_e32 v30, 20, v30
	v_and_b32_e32 v9, 0x80000000, v9
	v_lshl_add_u32 v31, v31, 23, v23
	v_or3_b32 v9, v9, v31, v30
	v_cmp_ne_u32_e32 vcc, s19, v33
	v_cndmask_b32_e32 v30, v24, v9, vcc
.LBB301_98:                             ;   in Loop: Header=BB301_78 Depth=1
	s_or_b64 exec, exec, s[12:13]
	v_lshrrev_b32_e32 v9, 16, v16
	v_cmp_gt_i16_sdwa s[12:13], v9, s19 src0_sel:BYTE_0 src1_sel:DWORD
	s_mov_b64 s[0:1], 0
	s_and_saveexec_b64 s[14:15], s[12:13]
	s_xor_b64 s[12:13], exec, s[14:15]
	s_cbranch_execnz .LBB301_124
; %bb.99:                               ;   in Loop: Header=BB301_78 Depth=1
	s_or_saveexec_b64 s[12:13], s[12:13]
	v_bfrev_b32_e32 v31, 1
	s_xor_b64 exec, exec, s[12:13]
	s_cbranch_execnz .LBB301_127
.LBB301_100:                            ;   in Loop: Header=BB301_78 Depth=1
	s_or_b64 exec, exec, s[12:13]
	s_and_saveexec_b64 s[12:13], s[0:1]
	s_cbranch_execz .LBB301_102
.LBB301_101:                            ;   in Loop: Header=BB301_78 Depth=1
	v_and_b32_e32 v33, 7, v9
	v_ffbh_u32_e32 v31, v33
	v_min_u32_e32 v36, 32, v31
	v_subrev_u32_e32 v31, 28, v36
	v_lshlrev_b64 v[31:32], v31, v[9:10]
	v_and_b32_e32 v34, 0x7f, v9
	v_bfe_u32 v35, v9, 3, 4
	v_sub_u32_e32 v32, 29, v36
	v_and_b32_e32 v31, 7, v31
	v_cmp_gt_u32_e32 vcc, 8, v34
	v_cndmask_b32_e32 v32, v35, v32, vcc
	v_cndmask_b32_e32 v31, v33, v31, vcc
	v_lshlrev_b32_e32 v9, 24, v9
	v_lshlrev_b32_e32 v31, 20, v31
	v_and_b32_e32 v9, 0x80000000, v9
	v_lshl_add_u32 v32, v32, 23, v23
	v_or3_b32 v9, v9, v32, v31
	v_cmp_ne_u32_e32 vcc, s19, v34
	v_cndmask_b32_e32 v31, v24, v9, vcc
.LBB301_102:                            ;   in Loop: Header=BB301_78 Depth=1
	s_or_b64 exec, exec, s[12:13]
	v_bfe_u32 v34, v15, 24, 3
	v_ffbh_u32_e32 v32, v34
	v_min_u32_e32 v37, 32, v32
	v_lshrrev_b32_e32 v9, 24, v15
	v_subrev_u32_e32 v32, 28, v37
	v_lshlrev_b64 v[32:33], v32, v[9:10]
	v_bfe_u32 v35, v15, 24, 7
	v_bfe_u32 v36, v9, 3, 4
	v_sub_u32_e32 v33, 29, v37
	v_and_b32_e32 v32, 7, v32
	v_cmp_gt_u32_e32 vcc, 8, v35
	v_cndmask_b32_e32 v33, v36, v33, vcc
	v_cndmask_b32_e32 v32, v34, v32, vcc
	v_lshlrev_b32_e32 v32, 20, v32
	v_and_b32_e32 v34, 0x80000000, v15
	v_lshl_add_u32 v33, v33, 23, v23
	v_or3_b32 v32, v34, v33, v32
	v_cmp_ne_u32_e32 vcc, s19, v35
	v_cndmask_b32_e32 v32, v24, v32, vcc
	v_cmp_ne_u32_e32 vcc, s24, v9
	v_bfe_u32 v35, v16, 24, 3
	v_cndmask_b32_e32 v9, v25, v32, vcc
	v_ffbh_u32_e32 v32, v35
	v_cmp_lt_u32_e32 vcc, s5, v15
	v_min_u32_e32 v38, 32, v32
	v_cndmask_b32_e32 v34, 0, v9, vcc
	v_lshrrev_b32_e32 v9, 24, v16
	v_subrev_u32_e32 v32, 28, v38
	v_lshlrev_b64 v[32:33], v32, v[9:10]
	v_bfe_u32 v36, v16, 24, 7
	v_bfe_u32 v37, v9, 3, 4
	v_sub_u32_e32 v33, 29, v38
	v_and_b32_e32 v32, 7, v32
	v_cmp_gt_u32_e32 vcc, 8, v36
	v_cndmask_b32_e32 v33, v37, v33, vcc
	v_cndmask_b32_e32 v32, v35, v32, vcc
	v_lshlrev_b32_e32 v32, 20, v32
	v_and_b32_e32 v35, 0x80000000, v16
	v_lshl_add_u32 v33, v33, 23, v23
	v_or3_b32 v32, v35, v33, v32
	v_cmp_ne_u32_e64 s[0:1], s19, v36
	v_cndmask_b32_e64 v32, v24, v32, s[0:1]
	v_cmp_ne_u32_e64 s[0:1], s24, v9
	v_cndmask_b32_e64 v9, v25, v32, s[0:1]
	v_cmp_lt_u64_e64 s[0:1], s[4:5], v[15:16]
	s_waitcnt lgkmcnt(0)
	v_mul_f32_e32 v28, s17, v28
	v_cndmask_b32_e64 v32, 0, v9, s[0:1]
	v_mul_f32_e32 v9, s17, v30
	v_bfe_u32 v15, v9, 16, 1
	v_add3_u32 v15, v15, v9, s25
	v_or_b32_e32 v16, 0x400000, v9
	v_cmp_u_f32_e64 s[0:1], v9, v9
	v_cndmask_b32_e64 v9, v15, v16, s[0:1]
	v_mul_f32_e32 v15, s17, v29
	v_bfe_u32 v16, v15, 16, 1
	v_add3_u32 v16, v16, v15, s25
	v_or_b32_e32 v29, 0x400000, v15
	v_cmp_u_f32_e64 s[0:1], v15, v15
	;; [unrolled: 6-line block ×3, first 2 shown]
	v_cndmask_b32_e64 v16, v29, v30, s[0:1]
	v_bfe_u32 v29, v28, 16, 1
	v_add3_u32 v29, v29, v28, s25
	v_or_b32_e32 v30, 0x400000, v28
	v_cmp_u_f32_e64 s[0:1], v28, v28
	v_mul_f32_e32 v27, s17, v27
	v_cndmask_b32_e64 v28, v29, v30, s[0:1]
	v_bfe_u32 v29, v27, 16, 1
	v_add3_u32 v29, v29, v27, s25
	v_or_b32_e32 v30, 0x400000, v27
	v_cmp_u_f32_e64 s[0:1], v27, v27
	v_cndmask_b32_e64 v27, v29, v30, s[0:1]
	v_mul_f32_e32 v26, s17, v26
	v_lshrrev_b32_e32 v29, 16, v27
	v_bfe_u32 v27, v26, 16, 1
	v_add3_u32 v27, v27, v26, s25
	v_or_b32_e32 v30, 0x400000, v26
	v_cmp_u_f32_e64 s[0:1], v26, v26
	v_cndmask_b32_e64 v26, v27, v30, s[0:1]
	v_lshrrev_b32_e32 v30, 16, v26
	v_mul_f32_e32 v26, s17, v31
	v_bfe_u32 v27, v26, 16, 1
	v_add3_u32 v27, v27, v26, s25
	v_or_b32_e32 v31, 0x400000, v26
	v_cmp_u_f32_e64 s[0:1], v26, v26
	v_cndmask_b32_e64 v26, v27, v31, s[0:1]
	v_lshrrev_b32_e32 v27, 16, v26
	v_mul_f32_e32 v26, s17, v32
	v_bfe_u32 v31, v26, 16, 1
	v_add3_u32 v31, v31, v26, s25
	v_or_b32_e32 v32, 0x400000, v26
	v_cmp_u_f32_e64 s[0:1], v26, v26
	v_cndmask_b32_e64 v26, v31, v32, s[0:1]
	v_cmp_eq_u32_e32 vcc, s18, v17
	v_lshrrev_b32_e32 v9, 16, v9
	v_lshrrev_b32_e32 v15, 16, v15
	;; [unrolled: 1-line block ×5, first 2 shown]
	s_and_saveexec_b64 s[0:1], vcc
	s_cbranch_execz .LBB301_77
; %bb.103:                              ;   in Loop: Header=BB301_78 Depth=1
	v_add_u32_e32 v31, -7, v20
	v_cmp_gt_i32_e32 vcc, s11, v31
	v_add_u32_e32 v31, -6, v20
	v_cndmask_b32_e32 v30, 0, v30, vcc
	v_cmp_gt_i32_e32 vcc, s11, v31
	v_add_u32_e32 v31, -5, v20
	v_cndmask_b32_e32 v29, 0, v29, vcc
	;; [unrolled: 3-line block ×6, first 2 shown]
	v_cmp_gt_i32_e32 vcc, s11, v31
	v_cndmask_b32_e32 v27, 0, v27, vcc
	v_cmp_gt_i32_e32 vcc, s11, v20
	v_cndmask_b32_e32 v26, 0, v26, vcc
	s_branch .LBB301_77
.LBB301_104:                            ;   in Loop: Header=BB301_78 Depth=1
	v_cmp_eq_u16_sdwa s[26:27], v15, s24 src0_sel:BYTE_0 src1_sel:DWORD
	s_mov_b64 s[0:1], -1
	s_and_saveexec_b64 s[14:15], s[26:27]
; %bb.105:                              ;   in Loop: Header=BB301_78 Depth=1
	s_xor_b64 s[0:1], exec, -1
; %bb.106:                              ;   in Loop: Header=BB301_78 Depth=1
	s_or_b64 exec, exec, s[14:15]
	s_and_b64 s[0:1], s[0:1], exec
	s_or_saveexec_b64 s[12:13], s[12:13]
	v_bfrev_b32_e32 v26, 1
	s_xor_b64 exec, exec, s[12:13]
	s_cbranch_execz .LBB301_80
.LBB301_107:                            ;   in Loop: Header=BB301_78 Depth=1
	v_cmp_ne_u16_sdwa s[14:15], v15, v10 src0_sel:BYTE_0 src1_sel:DWORD
	s_andn2_b64 s[0:1], s[0:1], exec
	s_and_b64 s[14:15], s[14:15], exec
	v_mov_b32_e32 v26, 0
	s_or_b64 s[0:1], s[0:1], s[14:15]
	s_or_b64 exec, exec, s[12:13]
	s_and_saveexec_b64 s[12:13], s[0:1]
	s_cbranch_execnz .LBB301_81
	s_branch .LBB301_82
.LBB301_108:                            ;   in Loop: Header=BB301_78 Depth=1
	v_cmp_eq_u16_e32 vcc, s24, v9
	s_mov_b64 s[0:1], -1
	s_and_saveexec_b64 s[14:15], vcc
; %bb.109:                              ;   in Loop: Header=BB301_78 Depth=1
	s_xor_b64 s[0:1], exec, -1
; %bb.110:                              ;   in Loop: Header=BB301_78 Depth=1
	s_or_b64 exec, exec, s[14:15]
	s_and_b64 s[0:1], s[0:1], exec
	s_or_saveexec_b64 s[12:13], s[12:13]
	v_bfrev_b32_e32 v27, 1
	s_xor_b64 exec, exec, s[12:13]
	s_cbranch_execz .LBB301_84
.LBB301_111:                            ;   in Loop: Header=BB301_78 Depth=1
	v_cmp_ne_u16_e32 vcc, 0, v9
	s_andn2_b64 s[0:1], s[0:1], exec
	s_and_b64 s[14:15], vcc, exec
	v_mov_b32_e32 v27, 0
	s_or_b64 s[0:1], s[0:1], s[14:15]
	s_or_b64 exec, exec, s[12:13]
	s_and_saveexec_b64 s[12:13], s[0:1]
	s_cbranch_execnz .LBB301_85
	s_branch .LBB301_86
.LBB301_112:                            ;   in Loop: Header=BB301_78 Depth=1
	v_cmp_eq_u16_sdwa s[26:27], v9, s24 src0_sel:BYTE_0 src1_sel:DWORD
	s_mov_b64 s[0:1], -1
	s_and_saveexec_b64 s[14:15], s[26:27]
; %bb.113:                              ;   in Loop: Header=BB301_78 Depth=1
	s_xor_b64 s[0:1], exec, -1
; %bb.114:                              ;   in Loop: Header=BB301_78 Depth=1
	s_or_b64 exec, exec, s[14:15]
	s_and_b64 s[0:1], s[0:1], exec
	s_or_saveexec_b64 s[12:13], s[12:13]
	v_bfrev_b32_e32 v28, 1
	s_xor_b64 exec, exec, s[12:13]
	s_cbranch_execz .LBB301_88
.LBB301_115:                            ;   in Loop: Header=BB301_78 Depth=1
	v_cmp_ne_u16_sdwa s[14:15], v9, v10 src0_sel:BYTE_0 src1_sel:DWORD
	s_andn2_b64 s[0:1], s[0:1], exec
	s_and_b64 s[14:15], s[14:15], exec
	v_mov_b32_e32 v28, 0
	s_or_b64 s[0:1], s[0:1], s[14:15]
	s_or_b64 exec, exec, s[12:13]
	s_and_saveexec_b64 s[12:13], s[0:1]
	s_cbranch_execnz .LBB301_89
	s_branch .LBB301_90
.LBB301_116:                            ;   in Loop: Header=BB301_78 Depth=1
	v_cmp_eq_u16_sdwa s[26:27], v16, s24 src0_sel:BYTE_0 src1_sel:DWORD
	s_mov_b64 s[0:1], -1
	s_and_saveexec_b64 s[14:15], s[26:27]
; %bb.117:                              ;   in Loop: Header=BB301_78 Depth=1
	s_xor_b64 s[0:1], exec, -1
; %bb.118:                              ;   in Loop: Header=BB301_78 Depth=1
	s_or_b64 exec, exec, s[14:15]
	s_and_b64 s[0:1], s[0:1], exec
	s_or_saveexec_b64 s[12:13], s[12:13]
	v_bfrev_b32_e32 v29, 1
	s_xor_b64 exec, exec, s[12:13]
	s_cbranch_execz .LBB301_92
.LBB301_119:                            ;   in Loop: Header=BB301_78 Depth=1
	v_cmp_ne_u16_sdwa s[14:15], v16, v10 src0_sel:BYTE_0 src1_sel:DWORD
	s_andn2_b64 s[0:1], s[0:1], exec
	s_and_b64 s[14:15], s[14:15], exec
	v_mov_b32_e32 v29, 0
	s_or_b64 s[0:1], s[0:1], s[14:15]
	s_or_b64 exec, exec, s[12:13]
	v_mov_b32_e32 v9, v16
	s_and_saveexec_b64 s[12:13], s[0:1]
	s_cbranch_execnz .LBB301_93
	s_branch .LBB301_94
.LBB301_120:                            ;   in Loop: Header=BB301_78 Depth=1
	v_cmp_eq_u16_e32 vcc, s24, v9
	s_mov_b64 s[0:1], -1
	s_and_saveexec_b64 s[14:15], vcc
; %bb.121:                              ;   in Loop: Header=BB301_78 Depth=1
	s_xor_b64 s[0:1], exec, -1
; %bb.122:                              ;   in Loop: Header=BB301_78 Depth=1
	s_or_b64 exec, exec, s[14:15]
	s_and_b64 s[0:1], s[0:1], exec
	s_or_saveexec_b64 s[12:13], s[12:13]
	v_bfrev_b32_e32 v30, 1
	s_xor_b64 exec, exec, s[12:13]
	s_cbranch_execz .LBB301_96
.LBB301_123:                            ;   in Loop: Header=BB301_78 Depth=1
	v_cmp_ne_u16_e32 vcc, 0, v9
	s_andn2_b64 s[0:1], s[0:1], exec
	s_and_b64 s[14:15], vcc, exec
	v_mov_b32_e32 v30, 0
	s_or_b64 s[0:1], s[0:1], s[14:15]
	s_or_b64 exec, exec, s[12:13]
	s_and_saveexec_b64 s[12:13], s[0:1]
	s_cbranch_execnz .LBB301_97
	s_branch .LBB301_98
.LBB301_124:                            ;   in Loop: Header=BB301_78 Depth=1
	v_cmp_eq_u16_sdwa s[26:27], v9, s24 src0_sel:BYTE_0 src1_sel:DWORD
	s_mov_b64 s[0:1], -1
	s_and_saveexec_b64 s[14:15], s[26:27]
; %bb.125:                              ;   in Loop: Header=BB301_78 Depth=1
	s_xor_b64 s[0:1], exec, -1
; %bb.126:                              ;   in Loop: Header=BB301_78 Depth=1
	s_or_b64 exec, exec, s[14:15]
	s_and_b64 s[0:1], s[0:1], exec
	s_or_saveexec_b64 s[12:13], s[12:13]
	v_bfrev_b32_e32 v31, 1
	s_xor_b64 exec, exec, s[12:13]
	s_cbranch_execz .LBB301_100
.LBB301_127:                            ;   in Loop: Header=BB301_78 Depth=1
	v_cmp_ne_u16_sdwa s[14:15], v9, v10 src0_sel:BYTE_0 src1_sel:DWORD
	s_andn2_b64 s[0:1], s[0:1], exec
	s_and_b64 s[14:15], s[14:15], exec
	v_mov_b32_e32 v31, 0
	s_or_b64 s[0:1], s[0:1], s[14:15]
	s_or_b64 exec, exec, s[12:13]
	s_and_saveexec_b64 s[12:13], s[0:1]
	s_cbranch_execnz .LBB301_101
	s_branch .LBB301_102
.LBB301_128:
	s_or_b64 exec, exec, s[6:7]
.LBB301_129:
	s_or_b64 exec, exec, s[2:3]
	ds_bpermute_b32 v1, v19, v22
	v_and_b32_e32 v2, 0x3c1, v0
	v_cmp_eq_u32_e32 vcc, 64, v2
	s_waitcnt lgkmcnt(0)
	s_barrier
	v_add_f32_e32 v1, v22, v1
	s_and_saveexec_b64 s[0:1], vcc
; %bb.130:
	v_mov_b32_e32 v3, 0x50
	v_lshl_add_u32 v3, v18, 1, v3
	ds_write_b32 v3, v1
; %bb.131:
	s_or_b64 exec, exec, s[0:1]
	v_lshrrev_b32_e32 v0, 1, v0
	v_cmp_eq_u32_e32 vcc, 0, v2
	s_waitcnt lgkmcnt(0)
	s_barrier
	s_and_saveexec_b64 s[0:1], vcc
	s_cbranch_execz .LBB301_133
; %bb.132:
	v_mov_b32_e32 v2, 0x50
	v_lshl_add_u32 v2, v0, 2, v2
	ds_read_b32 v2, v2
	s_waitcnt lgkmcnt(0)
	v_add_f32_e32 v1, v1, v2
.LBB301_133:
	s_or_b64 exec, exec, s[0:1]
	s_barrier
	s_and_saveexec_b64 s[0:1], vcc
	s_cbranch_execz .LBB301_135
; %bb.134:
	s_mul_i32 s0, s10, s21
	s_mul_i32 s0, s0, s9
	s_lshl_b32 s0, s0, 5
	s_ashr_i32 s1, s0, 31
	s_lshl_b64 s[0:1], s[0:1], 1
	s_add_u32 s2, s22, s0
	s_mul_i32 s0, s21, s20
	s_addc_u32 s3, s23, s1
	s_ashr_i32 s1, s0, 31
	s_lshl_b64 s[0:1], s[0:1], 1
	s_add_u32 s2, s2, s0
	s_addc_u32 s3, s3, s1
	s_lshl_b32 s0, s8, 5
	s_ashr_i32 s1, s0, 31
	s_lshl_b64 s[0:1], s[0:1], 1
	s_add_u32 s0, s2, s0
	v_bfe_u32 v2, v1, 16, 1
	s_movk_i32 s2, 0x7fff
	v_add3_u32 v2, v2, v1, s2
	v_or_b32_e32 v3, 0x400000, v1
	v_cmp_u_f32_e32 vcc, v1, v1
	s_addc_u32 s1, s3, s1
	v_lshlrev_b32_e32 v0, 1, v0
	v_cndmask_b32_e32 v1, v2, v3, vcc
	global_store_short_d16_hi v0, v1, s[0:1]
.LBB301_135:
	s_endpgm
	.section	.rodata,"a",@progbits
	.p2align	6, 0x0
	.amdhsa_kernel _ZN4vllm25paged_attention_v1_kernelI14__hip_bfloat16hLi32ELi16ELi128ELNS_18Fp8KVCacheDataTypeE1ELb0EEEvPT_PKS3_PKT0_S9_ifPKiSB_iPKfiiiSD_SD_iiiii
		.amdhsa_group_segment_fixed_size 80
		.amdhsa_private_segment_fixed_size 0
		.amdhsa_kernarg_size 384
		.amdhsa_user_sgpr_count 6
		.amdhsa_user_sgpr_private_segment_buffer 1
		.amdhsa_user_sgpr_dispatch_ptr 0
		.amdhsa_user_sgpr_queue_ptr 0
		.amdhsa_user_sgpr_kernarg_segment_ptr 1
		.amdhsa_user_sgpr_dispatch_id 0
		.amdhsa_user_sgpr_flat_scratch_init 0
		.amdhsa_user_sgpr_private_segment_size 0
		.amdhsa_uses_dynamic_stack 0
		.amdhsa_system_sgpr_private_segment_wavefront_offset 0
		.amdhsa_system_sgpr_workgroup_id_x 1
		.amdhsa_system_sgpr_workgroup_id_y 1
		.amdhsa_system_sgpr_workgroup_id_z 1
		.amdhsa_system_sgpr_workgroup_info 0
		.amdhsa_system_vgpr_workitem_id 0
		.amdhsa_next_free_vgpr 42
		.amdhsa_next_free_sgpr 44
		.amdhsa_reserve_vcc 1
		.amdhsa_reserve_flat_scratch 0
		.amdhsa_float_round_mode_32 0
		.amdhsa_float_round_mode_16_64 0
		.amdhsa_float_denorm_mode_32 3
		.amdhsa_float_denorm_mode_16_64 3
		.amdhsa_dx10_clamp 1
		.amdhsa_ieee_mode 1
		.amdhsa_fp16_overflow 0
		.amdhsa_exception_fp_ieee_invalid_op 0
		.amdhsa_exception_fp_denorm_src 0
		.amdhsa_exception_fp_ieee_div_zero 0
		.amdhsa_exception_fp_ieee_overflow 0
		.amdhsa_exception_fp_ieee_underflow 0
		.amdhsa_exception_fp_ieee_inexact 0
		.amdhsa_exception_int_div_zero 0
	.end_amdhsa_kernel
	.section	.text._ZN4vllm25paged_attention_v1_kernelI14__hip_bfloat16hLi32ELi16ELi128ELNS_18Fp8KVCacheDataTypeE1ELb0EEEvPT_PKS3_PKT0_S9_ifPKiSB_iPKfiiiSD_SD_iiiii,"axG",@progbits,_ZN4vllm25paged_attention_v1_kernelI14__hip_bfloat16hLi32ELi16ELi128ELNS_18Fp8KVCacheDataTypeE1ELb0EEEvPT_PKS3_PKT0_S9_ifPKiSB_iPKfiiiSD_SD_iiiii,comdat
.Lfunc_end301:
	.size	_ZN4vllm25paged_attention_v1_kernelI14__hip_bfloat16hLi32ELi16ELi128ELNS_18Fp8KVCacheDataTypeE1ELb0EEEvPT_PKS3_PKT0_S9_ifPKiSB_iPKfiiiSD_SD_iiiii, .Lfunc_end301-_ZN4vllm25paged_attention_v1_kernelI14__hip_bfloat16hLi32ELi16ELi128ELNS_18Fp8KVCacheDataTypeE1ELb0EEEvPT_PKS3_PKT0_S9_ifPKiSB_iPKfiiiSD_SD_iiiii
                                        ; -- End function
	.set _ZN4vllm25paged_attention_v1_kernelI14__hip_bfloat16hLi32ELi16ELi128ELNS_18Fp8KVCacheDataTypeE1ELb0EEEvPT_PKS3_PKT0_S9_ifPKiSB_iPKfiiiSD_SD_iiiii.num_vgpr, 42
	.set _ZN4vllm25paged_attention_v1_kernelI14__hip_bfloat16hLi32ELi16ELi128ELNS_18Fp8KVCacheDataTypeE1ELb0EEEvPT_PKS3_PKT0_S9_ifPKiSB_iPKfiiiSD_SD_iiiii.num_agpr, 0
	.set _ZN4vllm25paged_attention_v1_kernelI14__hip_bfloat16hLi32ELi16ELi128ELNS_18Fp8KVCacheDataTypeE1ELb0EEEvPT_PKS3_PKT0_S9_ifPKiSB_iPKfiiiSD_SD_iiiii.numbered_sgpr, 44
	.set _ZN4vllm25paged_attention_v1_kernelI14__hip_bfloat16hLi32ELi16ELi128ELNS_18Fp8KVCacheDataTypeE1ELb0EEEvPT_PKS3_PKT0_S9_ifPKiSB_iPKfiiiSD_SD_iiiii.num_named_barrier, 0
	.set _ZN4vllm25paged_attention_v1_kernelI14__hip_bfloat16hLi32ELi16ELi128ELNS_18Fp8KVCacheDataTypeE1ELb0EEEvPT_PKS3_PKT0_S9_ifPKiSB_iPKfiiiSD_SD_iiiii.private_seg_size, 0
	.set _ZN4vllm25paged_attention_v1_kernelI14__hip_bfloat16hLi32ELi16ELi128ELNS_18Fp8KVCacheDataTypeE1ELb0EEEvPT_PKS3_PKT0_S9_ifPKiSB_iPKfiiiSD_SD_iiiii.uses_vcc, 1
	.set _ZN4vllm25paged_attention_v1_kernelI14__hip_bfloat16hLi32ELi16ELi128ELNS_18Fp8KVCacheDataTypeE1ELb0EEEvPT_PKS3_PKT0_S9_ifPKiSB_iPKfiiiSD_SD_iiiii.uses_flat_scratch, 0
	.set _ZN4vllm25paged_attention_v1_kernelI14__hip_bfloat16hLi32ELi16ELi128ELNS_18Fp8KVCacheDataTypeE1ELb0EEEvPT_PKS3_PKT0_S9_ifPKiSB_iPKfiiiSD_SD_iiiii.has_dyn_sized_stack, 0
	.set _ZN4vllm25paged_attention_v1_kernelI14__hip_bfloat16hLi32ELi16ELi128ELNS_18Fp8KVCacheDataTypeE1ELb0EEEvPT_PKS3_PKT0_S9_ifPKiSB_iPKfiiiSD_SD_iiiii.has_recursion, 0
	.set _ZN4vllm25paged_attention_v1_kernelI14__hip_bfloat16hLi32ELi16ELi128ELNS_18Fp8KVCacheDataTypeE1ELb0EEEvPT_PKS3_PKT0_S9_ifPKiSB_iPKfiiiSD_SD_iiiii.has_indirect_call, 0
	.section	.AMDGPU.csdata,"",@progbits
; Kernel info:
; codeLenInByte = 7392
; TotalNumSgprs: 48
; NumVgprs: 42
; ScratchSize: 0
; MemoryBound: 0
; FloatMode: 240
; IeeeMode: 1
; LDSByteSize: 80 bytes/workgroup (compile time only)
; SGPRBlocks: 5
; VGPRBlocks: 10
; NumSGPRsForWavesPerEU: 48
; NumVGPRsForWavesPerEU: 42
; Occupancy: 5
; WaveLimiterHint : 1
; COMPUTE_PGM_RSRC2:SCRATCH_EN: 0
; COMPUTE_PGM_RSRC2:USER_SGPR: 6
; COMPUTE_PGM_RSRC2:TRAP_HANDLER: 0
; COMPUTE_PGM_RSRC2:TGID_X_EN: 1
; COMPUTE_PGM_RSRC2:TGID_Y_EN: 1
; COMPUTE_PGM_RSRC2:TGID_Z_EN: 1
; COMPUTE_PGM_RSRC2:TIDIG_COMP_CNT: 0
	.section	.text._ZN4vllm25paged_attention_v1_kernelI14__hip_bfloat16hLi64ELi16ELi128ELNS_18Fp8KVCacheDataTypeE1ELb0EEEvPT_PKS3_PKT0_S9_ifPKiSB_iPKfiiiSD_SD_iiiii,"axG",@progbits,_ZN4vllm25paged_attention_v1_kernelI14__hip_bfloat16hLi64ELi16ELi128ELNS_18Fp8KVCacheDataTypeE1ELb0EEEvPT_PKS3_PKT0_S9_ifPKiSB_iPKfiiiSD_SD_iiiii,comdat
	.protected	_ZN4vllm25paged_attention_v1_kernelI14__hip_bfloat16hLi64ELi16ELi128ELNS_18Fp8KVCacheDataTypeE1ELb0EEEvPT_PKS3_PKT0_S9_ifPKiSB_iPKfiiiSD_SD_iiiii ; -- Begin function _ZN4vllm25paged_attention_v1_kernelI14__hip_bfloat16hLi64ELi16ELi128ELNS_18Fp8KVCacheDataTypeE1ELb0EEEvPT_PKS3_PKT0_S9_ifPKiSB_iPKfiiiSD_SD_iiiii
	.globl	_ZN4vllm25paged_attention_v1_kernelI14__hip_bfloat16hLi64ELi16ELi128ELNS_18Fp8KVCacheDataTypeE1ELb0EEEvPT_PKS3_PKT0_S9_ifPKiSB_iPKfiiiSD_SD_iiiii
	.p2align	8
	.type	_ZN4vllm25paged_attention_v1_kernelI14__hip_bfloat16hLi64ELi16ELi128ELNS_18Fp8KVCacheDataTypeE1ELb0EEEvPT_PKS3_PKT0_S9_ifPKiSB_iPKfiiiSD_SD_iiiii,@function
_ZN4vllm25paged_attention_v1_kernelI14__hip_bfloat16hLi64ELi16ELi128ELNS_18Fp8KVCacheDataTypeE1ELb0EEEvPT_PKS3_PKT0_S9_ifPKiSB_iPKfiiiSD_SD_iiiii: ; @_ZN4vllm25paged_attention_v1_kernelI14__hip_bfloat16hLi64ELi16ELi128ELNS_18Fp8KVCacheDataTypeE1ELb0EEEvPT_PKS3_PKT0_S9_ifPKiSB_iPKfiiiSD_SD_iiiii
; %bb.0:
	s_load_dword s9, s[4:5], 0x80
	s_load_dwordx2 s[0:1], s[4:5], 0x30
	s_load_dwordx2 s[30:31], s[4:5], 0x20
	s_mov_b32 s10, s7
	s_ashr_i32 s11, s7, 31
	s_lshl_b64 s[2:3], s[10:11], 2
	s_waitcnt lgkmcnt(0)
	s_add_u32 s0, s0, s2
	s_addc_u32 s1, s1, s3
	s_abs_i32 s2, s30
	v_cvt_f32_u32_e32 v1, s2
	s_sub_i32 s11, 0, s2
	s_abs_i32 s7, s9
	s_xor_b32 s3, s9, s30
	v_rcp_iflag_f32_e32 v1, v1
	s_ashr_i32 s3, s3, 31
	s_mov_b32 s33, 0
	v_mul_f32_e32 v1, 0x4f7ffffe, v1
	v_cvt_u32_f32_e32 v1, v1
	v_readfirstlane_b32 s12, v1
	s_mul_i32 s11, s11, s12
	s_mul_hi_u32 s11, s12, s11
	s_add_i32 s12, s12, s11
	s_mul_hi_u32 s11, s7, s12
	s_mul_i32 s12, s11, s2
	s_sub_i32 s7, s7, s12
	s_add_i32 s12, s11, 1
	s_sub_i32 s13, s7, s2
	s_cmp_ge_u32 s7, s2
	s_cselect_b32 s11, s12, s11
	s_cselect_b32 s7, s13, s7
	s_add_i32 s12, s11, 1
	s_cmp_ge_u32 s7, s2
	s_cselect_b32 s2, s12, s11
	s_xor_b32 s2, s2, s3
	s_sub_i32 s18, s2, s3
	s_abs_i32 s11, s18
	v_cvt_f32_u32_e32 v1, s11
	s_load_dwordx2 s[2:3], s[4:5], 0x40
	s_sub_i32 s7, 0, s11
	s_abs_i32 s16, s6
	v_rcp_iflag_f32_e32 v1, v1
	v_mul_f32_e32 v1, 0x4f7ffffe, v1
	v_cvt_u32_f32_e32 v1, v1
	v_readfirstlane_b32 s12, v1
	s_mul_i32 s7, s7, s12
	s_mul_hi_u32 s7, s12, s7
	s_add_i32 s12, s12, s7
	s_waitcnt lgkmcnt(0)
	s_cmp_eq_u64 s[2:3], 0
	s_mul_hi_u32 s17, s16, s12
	s_cbranch_scc1 .LBB302_2
; %bb.1:
	s_ashr_i32 s7, s6, 31
	s_lshl_b64 s[12:13], s[6:7], 2
	s_add_u32 s2, s2, s12
	s_addc_u32 s3, s3, s13
	s_load_dword s33, s[2:3], 0x0
.LBB302_2:
	s_load_dword s30, s[0:1], 0x0
	s_load_dwordx4 s[12:15], s[4:5], 0x48
	s_ashr_i32 s2, s6, 31
	s_ashr_i32 s3, s18, 31
	v_and_b32_e32 v1, 3, v0
	s_lshl_b32 s20, s6, 6
	v_cmp_gt_u32_e32 vcc, 32, v0
	s_and_saveexec_b64 s[0:1], vcc
	s_cbranch_execz .LBB302_4
; %bb.3:
	s_load_dwordx2 s[6:7], s[4:5], 0x8
	s_waitcnt lgkmcnt(0)
	s_mul_i32 s18, s12, s10
	s_ashr_i32 s19, s18, 31
	s_lshl_b64 s[18:19], s[18:19], 1
	v_lshlrev_b32_e32 v2, 2, v0
	s_add_u32 s12, s6, s18
	s_addc_u32 s15, s7, s19
	s_ashr_i32 s21, s20, 31
	s_lshl_b64 s[6:7], s[20:21], 1
	s_add_u32 s6, s12, s6
	s_addc_u32 s7, s15, s7
	global_load_dword v2, v2, s[6:7]
	v_and_b32_e32 v3, 0x3fc, v0
	v_lshl_add_u32 v3, v1, 5, v3
	s_waitcnt vmcnt(0)
	ds_write_b32 v3, v2
.LBB302_4:
	s_or_b64 exec, exec, s[0:1]
	s_waitcnt lgkmcnt(0)
	s_add_i32 s1, s30, 15
	s_ashr_i32 s6, s1, 31
	s_lshr_b32 s6, s6, 28
	s_add_i32 s1, s1, s6
	s_ashr_i32 s21, s1, 4
	s_xor_b32 s1, s2, s3
	s_mul_i32 s2, s17, s11
	s_sub_i32 s2, s16, s2
	s_add_i32 s3, s17, 1
	s_sub_i32 s6, s2, s11
	s_load_dwordx2 s[24:25], s[4:5], 0x28
	s_load_dword s0, s[4:5], 0x38
	s_cmp_ge_u32 s2, s11
	s_cselect_b32 s3, s3, s17
	s_cselect_b32 s2, s6, s2
	s_add_i32 s6, s3, 1
	s_cmp_ge_u32 s2, s11
	s_cselect_b32 s2, s6, s3
	v_lshrrev_b32_e32 v20, 6, v0
	s_xor_b32 s2, s2, s1
	s_waitcnt lgkmcnt(0)
	s_mul_i32 s26, s0, s10
	s_sub_i32 s12, s2, s1
	s_ashr_i32 s27, s26, 31
	v_cmp_gt_i32_e64 s[0:1], s21, v20
	v_cmp_le_i32_e32 vcc, s21, v20
	v_mbcnt_lo_u32_b32 v5, -1, 0
	s_barrier
                                        ; implicit-def: $vgpr10
                                        ; implicit-def: $vgpr12
                                        ; implicit-def: $vgpr11
	s_and_saveexec_b64 s[2:3], vcc
	s_xor_b64 s[2:3], exec, s[2:3]
; %bb.5:
	v_mbcnt_hi_u32_b32 v10, -1, v5
	v_and_b32_e32 v12, 64, v10
	v_add_u32_e32 v11, 64, v12
                                        ; implicit-def: $vgpr1
                                        ; implicit-def: $vgpr5
; %bb.6:
	s_or_saveexec_b64 s[6:7], s[2:3]
	s_load_dwordx2 s[22:23], s[4:5], 0x0
	s_load_dwordx2 s[28:29], s[4:5], 0x18
	s_load_dword s11, s[4:5], 0x88
	s_load_dwordx4 s[16:19], s[4:5], 0x58
	v_mov_b32_e32 v30, 0xff7fffff
	s_mul_i32 s12, s12, s14
	v_lshrrev_b32_e32 v9, 4, v0
	s_xor_b64 exec, exec, s[6:7]
	s_cbranch_execz .LBB302_108
; %bb.7:
	s_load_dwordx2 s[2:3], s[4:5], 0x10
	s_ashr_i32 s4, s12, 31
	v_lshlrev_b32_e32 v2, 5, v1
	v_bfe_u32 v6, v0, 2, 4
	ds_read_b128 v[21:24], v2
	ds_read_b128 v[26:29], v2 offset:16
	s_waitcnt lgkmcnt(0)
	s_add_u32 s2, s2, s12
	s_addc_u32 s3, s3, s4
	v_lshlrev_b32_e32 v2, 4, v6
	v_mov_b32_e32 v3, s3
	v_add_co_u32_e32 v2, vcc, s2, v2
	v_addc_co_u32_e32 v3, vcc, 0, v3, vcc
	v_cmp_eq_u32_e32 vcc, 0, v1
	v_lshlrev_b32_e32 v1, 1, v1
	v_add_co_u32_e64 v1, s[2:3], v2, v1
	v_addc_co_u32_e64 v2, s[2:3], 0, v3, s[2:3]
	s_sub_i32 s38, 1, s30
	s_lshl_b64 s[2:3], s[26:27], 2
	s_add_u32 s2, s24, s2
	s_addc_u32 s3, s25, s3
	v_and_b32_e32 v3, 60, v9
	v_mbcnt_hi_u32_b32 v10, -1, v5
	v_mov_b32_e32 v4, s3
	v_add_co_u32_e64 v3, s[2:3], s2, v3
	v_and_b32_e32 v12, 64, v10
	v_addc_co_u32_e64 v4, s[2:3], 0, v4, s[2:3]
	v_add_u32_e32 v11, 64, v12
	v_xor_b32_e32 v5, 2, v10
	v_cmp_lt_i32_e64 s[2:3], v5, v11
	v_cndmask_b32_e64 v5, v10, v5, s[2:3]
	v_lshlrev_b32_e32 v31, 2, v5
	v_xor_b32_e32 v5, 1, v10
	v_cmp_lt_i32_e64 s[2:3], v5, v11
	s_load_dword s40, s[16:17], 0x0
	v_cndmask_b32_e64 v5, v10, v5, s[2:3]
	v_lshlrev_b32_e32 v32, 2, v5
	v_lshlrev_b32_e32 v5, 2, v6
	v_lshl_or_b32 v5, v20, 6, v5
	v_lshlrev_b32_e32 v13, 16, v21
	v_and_b32_e32 v14, 0xffff0000, v21
	v_lshlrev_b32_e32 v15, 16, v22
	v_and_b32_e32 v16, 0xffff0000, v22
	;; [unrolled: 2-line block ×8, first 2 shown]
	s_mov_b32 s39, s13
	v_cmp_neq_f32_e64 s[2:3], s33, 0
	v_lshl_or_b32 v33, v20, 4, v6
	v_add_u32_e32 v34, 0x90, v5
	s_mov_b64 s[14:15], 0
	s_movk_i32 s41, 0x80
	s_movk_i32 s42, 0x7f
	;; [unrolled: 1-line block ×3, first 2 shown]
	v_mov_b32_e32 v35, 0
	v_mov_b32_e32 v30, 0xff7fffff
	v_bfrev_b32_e32 v36, 60
	v_mov_b32_e32 v37, v20
	s_branch .LBB302_9
.LBB302_8:                              ;   in Loop: Header=BB302_9 Depth=1
	s_or_b64 exec, exec, s[16:17]
	v_add_u32_e32 v37, 2, v37
	v_cmp_le_i32_e64 s[4:5], s21, v37
	s_or_b64 s[14:15], s[4:5], s[14:15]
	v_add_co_u32_e64 v3, s[4:5], 8, v3
	v_add_u32_e32 v33, 32, v33
	v_add_u32_e32 v34, 0x80, v34
	v_addc_co_u32_e64 v4, s[4:5], 0, v4, s[4:5]
	s_andn2_b64 exec, exec, s[14:15]
	s_cbranch_execz .LBB302_107
.LBB302_9:                              ; =>This Inner Loop Header: Depth=1
	global_load_dword v5, v[3:4], off
	v_mov_b32_e32 v38, 0
	s_waitcnt vmcnt(0) lgkmcnt(0)
	v_mad_i64_i32 v[5:6], s[4:5], v5, s39, v[1:2]
	global_load_ushort v8, v[5:6], off
	s_waitcnt vmcnt(0)
	v_and_b32_e32 v7, 0xffff, v8
	v_cmp_ne_u16_sdwa s[4:5], v8, v35 src0_sel:BYTE_0 src1_sel:DWORD
	s_and_saveexec_b64 s[16:17], s[4:5]
	s_cbranch_execz .LBB302_15
; %bb.10:                               ;   in Loop: Header=BB302_9 Depth=1
	v_cmp_ne_u16_sdwa s[4:5], v7, s41 src0_sel:BYTE_0 src1_sel:DWORD
	v_bfrev_b32_e32 v38, 1
	s_and_saveexec_b64 s[34:35], s[4:5]
	s_cbranch_execz .LBB302_14
; %bb.11:                               ;   in Loop: Header=BB302_9 Depth=1
	v_and_b32_e32 v8, 0x7f, v7
	v_cmp_ne_u32_e64 s[4:5], s42, v8
	v_mov_b32_e32 v38, 0x7f800001
	s_and_saveexec_b64 s[36:37], s[4:5]
	s_cbranch_execz .LBB302_13
; %bb.12:                               ;   in Loop: Header=BB302_9 Depth=1
	v_and_b32_e32 v40, 7, v7
	v_ffbh_u32_e32 v38, v40
	v_min_u32_e32 v42, 32, v38
	v_subrev_u32_e32 v38, 28, v42
	v_lshlrev_b64 v[38:39], v38, v[7:8]
	v_lshrrev_b32_e32 v41, 3, v8
	v_sub_u32_e32 v39, 29, v42
	v_and_b32_e32 v38, 7, v38
	v_cmp_gt_u32_e64 s[4:5], 8, v8
	v_cndmask_b32_e64 v8, v41, v39, s[4:5]
	v_cndmask_b32_e64 v38, v40, v38, s[4:5]
	v_lshlrev_b32_e32 v39, 24, v7
	v_lshlrev_b32_e32 v38, 20, v38
	v_and_b32_e32 v39, 0x80000000, v39
	v_lshl_add_u32 v8, v8, 23, v36
	v_or3_b32 v38, v39, v8, v38
.LBB302_13:                             ;   in Loop: Header=BB302_9 Depth=1
	s_or_b64 exec, exec, s[36:37]
.LBB302_14:                             ;   in Loop: Header=BB302_9 Depth=1
	s_or_b64 exec, exec, s[34:35]
.LBB302_15:                             ;   in Loop: Header=BB302_9 Depth=1
	s_or_b64 exec, exec, s[16:17]
	v_lshrrev_b16_e32 v8, 8, v7
	v_cmp_ne_u16_e64 s[4:5], 0, v8
	v_mov_b32_e32 v40, 0
	v_mov_b32_e32 v39, 0
	s_and_saveexec_b64 s[16:17], s[4:5]
	s_cbranch_execz .LBB302_21
; %bb.16:                               ;   in Loop: Header=BB302_9 Depth=1
	v_cmp_ne_u16_e64 s[4:5], s41, v8
	v_bfrev_b32_e32 v39, 1
	s_and_saveexec_b64 s[34:35], s[4:5]
	s_cbranch_execz .LBB302_20
; %bb.17:                               ;   in Loop: Header=BB302_9 Depth=1
	v_and_b32_e32 v41, 0x7f, v8
	v_cmp_ne_u32_e64 s[4:5], s42, v41
	v_mov_b32_e32 v39, 0x7f800001
	s_and_saveexec_b64 s[36:37], s[4:5]
	s_cbranch_execz .LBB302_19
; %bb.18:                               ;   in Loop: Header=BB302_9 Depth=1
	v_and_b32_e32 v39, 7, v8
	v_ffbh_u32_e32 v42, v39
	v_min_u32_e32 v45, 32, v42
	v_subrev_u32_e32 v42, 28, v45
	v_lshlrev_b64 v[42:43], v42, v[8:9]
	v_lshrrev_b32_e32 v44, 3, v41
	v_sub_u32_e32 v8, 29, v45
	v_and_b32_e32 v42, 7, v42
	v_cmp_gt_u32_e64 s[4:5], 8, v41
	v_cndmask_b32_e64 v8, v44, v8, s[4:5]
	v_cndmask_b32_e64 v39, v39, v42, s[4:5]
	v_lshlrev_b32_e32 v7, 16, v7
	v_lshlrev_b32_e32 v39, 20, v39
	v_and_b32_e32 v7, 0x80000000, v7
	v_lshl_add_u32 v8, v8, 23, v36
	v_or3_b32 v39, v7, v8, v39
.LBB302_19:                             ;   in Loop: Header=BB302_9 Depth=1
	s_or_b64 exec, exec, s[36:37]
.LBB302_20:                             ;   in Loop: Header=BB302_9 Depth=1
	s_or_b64 exec, exec, s[34:35]
.LBB302_21:                             ;   in Loop: Header=BB302_9 Depth=1
	s_or_b64 exec, exec, s[16:17]
	global_load_ushort v8, v[5:6], off offset:8
	s_waitcnt vmcnt(0)
	v_and_b32_e32 v7, 0xffff, v8
	v_cmp_ne_u16_sdwa s[4:5], v8, v35 src0_sel:BYTE_0 src1_sel:DWORD
	s_and_saveexec_b64 s[16:17], s[4:5]
	s_cbranch_execz .LBB302_27
; %bb.22:                               ;   in Loop: Header=BB302_9 Depth=1
	v_cmp_ne_u16_sdwa s[4:5], v7, s41 src0_sel:BYTE_0 src1_sel:DWORD
	v_bfrev_b32_e32 v40, 1
	s_and_saveexec_b64 s[34:35], s[4:5]
	s_cbranch_execz .LBB302_26
; %bb.23:                               ;   in Loop: Header=BB302_9 Depth=1
	v_and_b32_e32 v8, 0x7f, v7
	v_cmp_ne_u32_e64 s[4:5], s42, v8
	v_mov_b32_e32 v40, 0x7f800001
	s_and_saveexec_b64 s[36:37], s[4:5]
	s_cbranch_execz .LBB302_25
; %bb.24:                               ;   in Loop: Header=BB302_9 Depth=1
	v_and_b32_e32 v42, 7, v7
	v_ffbh_u32_e32 v40, v42
	v_min_u32_e32 v44, 32, v40
	v_subrev_u32_e32 v40, 28, v44
	v_lshlrev_b64 v[40:41], v40, v[7:8]
	v_lshrrev_b32_e32 v43, 3, v8
	v_sub_u32_e32 v41, 29, v44
	v_and_b32_e32 v40, 7, v40
	v_cmp_gt_u32_e64 s[4:5], 8, v8
	v_cndmask_b32_e64 v8, v43, v41, s[4:5]
	v_cndmask_b32_e64 v40, v42, v40, s[4:5]
	v_lshlrev_b32_e32 v41, 24, v7
	v_lshlrev_b32_e32 v40, 20, v40
	v_and_b32_e32 v41, 0x80000000, v41
	v_lshl_add_u32 v8, v8, 23, v36
	v_or3_b32 v40, v41, v8, v40
.LBB302_25:                             ;   in Loop: Header=BB302_9 Depth=1
	s_or_b64 exec, exec, s[36:37]
.LBB302_26:                             ;   in Loop: Header=BB302_9 Depth=1
	s_or_b64 exec, exec, s[34:35]
.LBB302_27:                             ;   in Loop: Header=BB302_9 Depth=1
	s_or_b64 exec, exec, s[16:17]
	v_lshrrev_b16_e32 v8, 8, v7
	v_cmp_ne_u16_e64 s[4:5], 0, v8
	v_mov_b32_e32 v42, 0
	v_mov_b32_e32 v41, 0
	s_and_saveexec_b64 s[16:17], s[4:5]
	s_cbranch_execz .LBB302_33
; %bb.28:                               ;   in Loop: Header=BB302_9 Depth=1
	v_cmp_ne_u16_e64 s[4:5], s41, v8
	v_bfrev_b32_e32 v41, 1
	s_and_saveexec_b64 s[34:35], s[4:5]
	s_cbranch_execz .LBB302_32
; %bb.29:                               ;   in Loop: Header=BB302_9 Depth=1
	v_and_b32_e32 v43, 0x7f, v8
	v_cmp_ne_u32_e64 s[4:5], s42, v43
	v_mov_b32_e32 v41, 0x7f800001
	s_and_saveexec_b64 s[36:37], s[4:5]
	s_cbranch_execz .LBB302_31
; %bb.30:                               ;   in Loop: Header=BB302_9 Depth=1
	v_and_b32_e32 v41, 7, v8
	v_ffbh_u32_e32 v44, v41
	v_min_u32_e32 v47, 32, v44
	v_subrev_u32_e32 v44, 28, v47
	v_lshlrev_b64 v[44:45], v44, v[8:9]
	v_lshrrev_b32_e32 v46, 3, v43
	v_sub_u32_e32 v8, 29, v47
	v_and_b32_e32 v44, 7, v44
	v_cmp_gt_u32_e64 s[4:5], 8, v43
	v_cndmask_b32_e64 v8, v46, v8, s[4:5]
	v_cndmask_b32_e64 v41, v41, v44, s[4:5]
	v_lshlrev_b32_e32 v7, 16, v7
	v_lshlrev_b32_e32 v41, 20, v41
	v_and_b32_e32 v7, 0x80000000, v7
	v_lshl_add_u32 v8, v8, 23, v36
	v_or3_b32 v41, v7, v8, v41
.LBB302_31:                             ;   in Loop: Header=BB302_9 Depth=1
	s_or_b64 exec, exec, s[36:37]
.LBB302_32:                             ;   in Loop: Header=BB302_9 Depth=1
	s_or_b64 exec, exec, s[34:35]
.LBB302_33:                             ;   in Loop: Header=BB302_9 Depth=1
	s_or_b64 exec, exec, s[16:17]
	global_load_ushort v8, v[5:6], off offset:256
	s_waitcnt vmcnt(0)
	v_and_b32_e32 v7, 0xffff, v8
	v_cmp_ne_u16_sdwa s[4:5], v8, v35 src0_sel:BYTE_0 src1_sel:DWORD
	s_and_saveexec_b64 s[16:17], s[4:5]
	s_cbranch_execz .LBB302_39
; %bb.34:                               ;   in Loop: Header=BB302_9 Depth=1
	v_cmp_ne_u16_sdwa s[4:5], v7, s41 src0_sel:BYTE_0 src1_sel:DWORD
	v_bfrev_b32_e32 v42, 1
	s_and_saveexec_b64 s[34:35], s[4:5]
	s_cbranch_execz .LBB302_38
; %bb.35:                               ;   in Loop: Header=BB302_9 Depth=1
	v_and_b32_e32 v8, 0x7f, v7
	v_cmp_ne_u32_e64 s[4:5], s42, v8
	v_mov_b32_e32 v42, 0x7f800001
	s_and_saveexec_b64 s[36:37], s[4:5]
	s_cbranch_execz .LBB302_37
; %bb.36:                               ;   in Loop: Header=BB302_9 Depth=1
	v_and_b32_e32 v44, 7, v7
	v_ffbh_u32_e32 v42, v44
	v_min_u32_e32 v46, 32, v42
	v_subrev_u32_e32 v42, 28, v46
	v_lshlrev_b64 v[42:43], v42, v[7:8]
	v_lshrrev_b32_e32 v45, 3, v8
	v_sub_u32_e32 v43, 29, v46
	v_and_b32_e32 v42, 7, v42
	v_cmp_gt_u32_e64 s[4:5], 8, v8
	v_cndmask_b32_e64 v8, v45, v43, s[4:5]
	v_cndmask_b32_e64 v42, v44, v42, s[4:5]
	v_lshlrev_b32_e32 v43, 24, v7
	v_lshlrev_b32_e32 v42, 20, v42
	v_and_b32_e32 v43, 0x80000000, v43
	v_lshl_add_u32 v8, v8, 23, v36
	v_or3_b32 v42, v43, v8, v42
.LBB302_37:                             ;   in Loop: Header=BB302_9 Depth=1
	s_or_b64 exec, exec, s[36:37]
.LBB302_38:                             ;   in Loop: Header=BB302_9 Depth=1
	s_or_b64 exec, exec, s[34:35]
.LBB302_39:                             ;   in Loop: Header=BB302_9 Depth=1
	s_or_b64 exec, exec, s[16:17]
	v_lshrrev_b16_e32 v8, 8, v7
	v_cmp_ne_u16_e64 s[4:5], 0, v8
	v_mov_b32_e32 v44, 0
	v_mov_b32_e32 v43, 0
	s_and_saveexec_b64 s[16:17], s[4:5]
	s_cbranch_execz .LBB302_45
; %bb.40:                               ;   in Loop: Header=BB302_9 Depth=1
	v_cmp_ne_u16_e64 s[4:5], s41, v8
	v_bfrev_b32_e32 v43, 1
	s_and_saveexec_b64 s[34:35], s[4:5]
	s_cbranch_execz .LBB302_44
; %bb.41:                               ;   in Loop: Header=BB302_9 Depth=1
	v_and_b32_e32 v45, 0x7f, v8
	v_cmp_ne_u32_e64 s[4:5], s42, v45
	v_mov_b32_e32 v43, 0x7f800001
	s_and_saveexec_b64 s[36:37], s[4:5]
	s_cbranch_execz .LBB302_43
; %bb.42:                               ;   in Loop: Header=BB302_9 Depth=1
	v_and_b32_e32 v43, 7, v8
	v_ffbh_u32_e32 v46, v43
	v_min_u32_e32 v49, 32, v46
	v_subrev_u32_e32 v46, 28, v49
	v_lshlrev_b64 v[46:47], v46, v[8:9]
	v_lshrrev_b32_e32 v48, 3, v45
	v_sub_u32_e32 v8, 29, v49
	v_and_b32_e32 v46, 7, v46
	v_cmp_gt_u32_e64 s[4:5], 8, v45
	v_cndmask_b32_e64 v8, v48, v8, s[4:5]
	v_cndmask_b32_e64 v43, v43, v46, s[4:5]
	v_lshlrev_b32_e32 v7, 16, v7
	v_lshlrev_b32_e32 v43, 20, v43
	v_and_b32_e32 v7, 0x80000000, v7
	v_lshl_add_u32 v8, v8, 23, v36
	v_or3_b32 v43, v7, v8, v43
.LBB302_43:                             ;   in Loop: Header=BB302_9 Depth=1
	s_or_b64 exec, exec, s[36:37]
.LBB302_44:                             ;   in Loop: Header=BB302_9 Depth=1
	s_or_b64 exec, exec, s[34:35]
.LBB302_45:                             ;   in Loop: Header=BB302_9 Depth=1
	s_or_b64 exec, exec, s[16:17]
	global_load_ushort v8, v[5:6], off offset:264
	s_waitcnt vmcnt(0)
	v_and_b32_e32 v7, 0xffff, v8
	v_cmp_ne_u16_sdwa s[4:5], v8, v35 src0_sel:BYTE_0 src1_sel:DWORD
	s_and_saveexec_b64 s[16:17], s[4:5]
	s_cbranch_execz .LBB302_51
; %bb.46:                               ;   in Loop: Header=BB302_9 Depth=1
	v_cmp_ne_u16_sdwa s[4:5], v7, s41 src0_sel:BYTE_0 src1_sel:DWORD
	v_bfrev_b32_e32 v44, 1
	s_and_saveexec_b64 s[34:35], s[4:5]
	s_cbranch_execz .LBB302_50
; %bb.47:                               ;   in Loop: Header=BB302_9 Depth=1
	v_and_b32_e32 v8, 0x7f, v7
	v_cmp_ne_u32_e64 s[4:5], s42, v8
	v_mov_b32_e32 v44, 0x7f800001
	s_and_saveexec_b64 s[36:37], s[4:5]
	s_cbranch_execz .LBB302_49
; %bb.48:                               ;   in Loop: Header=BB302_9 Depth=1
	v_and_b32_e32 v46, 7, v7
	v_ffbh_u32_e32 v44, v46
	v_min_u32_e32 v48, 32, v44
	v_subrev_u32_e32 v44, 28, v48
	v_lshlrev_b64 v[44:45], v44, v[7:8]
	v_lshrrev_b32_e32 v47, 3, v8
	v_sub_u32_e32 v45, 29, v48
	v_and_b32_e32 v44, 7, v44
	v_cmp_gt_u32_e64 s[4:5], 8, v8
	v_cndmask_b32_e64 v8, v47, v45, s[4:5]
	v_cndmask_b32_e64 v44, v46, v44, s[4:5]
	v_lshlrev_b32_e32 v45, 24, v7
	v_lshlrev_b32_e32 v44, 20, v44
	v_and_b32_e32 v45, 0x80000000, v45
	v_lshl_add_u32 v8, v8, 23, v36
	v_or3_b32 v44, v45, v8, v44
.LBB302_49:                             ;   in Loop: Header=BB302_9 Depth=1
	s_or_b64 exec, exec, s[36:37]
.LBB302_50:                             ;   in Loop: Header=BB302_9 Depth=1
	s_or_b64 exec, exec, s[34:35]
.LBB302_51:                             ;   in Loop: Header=BB302_9 Depth=1
	s_or_b64 exec, exec, s[16:17]
	v_lshrrev_b16_e32 v8, 8, v7
	v_cmp_ne_u16_e64 s[4:5], 0, v8
	v_mov_b32_e32 v46, 0
	v_mov_b32_e32 v45, 0
	s_and_saveexec_b64 s[16:17], s[4:5]
	s_cbranch_execz .LBB302_57
; %bb.52:                               ;   in Loop: Header=BB302_9 Depth=1
	v_cmp_ne_u16_e64 s[4:5], s41, v8
	v_bfrev_b32_e32 v45, 1
	s_and_saveexec_b64 s[34:35], s[4:5]
	s_cbranch_execz .LBB302_56
; %bb.53:                               ;   in Loop: Header=BB302_9 Depth=1
	v_and_b32_e32 v47, 0x7f, v8
	v_cmp_ne_u32_e64 s[4:5], s42, v47
	v_mov_b32_e32 v45, 0x7f800001
	s_and_saveexec_b64 s[36:37], s[4:5]
	s_cbranch_execz .LBB302_55
; %bb.54:                               ;   in Loop: Header=BB302_9 Depth=1
	v_and_b32_e32 v45, 7, v8
	v_ffbh_u32_e32 v48, v45
	v_min_u32_e32 v51, 32, v48
	v_subrev_u32_e32 v48, 28, v51
	v_lshlrev_b64 v[48:49], v48, v[8:9]
	v_lshrrev_b32_e32 v50, 3, v47
	v_sub_u32_e32 v8, 29, v51
	v_and_b32_e32 v48, 7, v48
	v_cmp_gt_u32_e64 s[4:5], 8, v47
	v_cndmask_b32_e64 v8, v50, v8, s[4:5]
	v_cndmask_b32_e64 v45, v45, v48, s[4:5]
	v_lshlrev_b32_e32 v7, 16, v7
	v_lshlrev_b32_e32 v45, 20, v45
	v_and_b32_e32 v7, 0x80000000, v7
	v_lshl_add_u32 v8, v8, 23, v36
	v_or3_b32 v45, v7, v8, v45
.LBB302_55:                             ;   in Loop: Header=BB302_9 Depth=1
	s_or_b64 exec, exec, s[36:37]
.LBB302_56:                             ;   in Loop: Header=BB302_9 Depth=1
	s_or_b64 exec, exec, s[34:35]
.LBB302_57:                             ;   in Loop: Header=BB302_9 Depth=1
	s_or_b64 exec, exec, s[16:17]
	global_load_ushort v8, v[5:6], off offset:512
	s_waitcnt vmcnt(0)
	v_and_b32_e32 v7, 0xffff, v8
	v_cmp_ne_u16_sdwa s[4:5], v8, v35 src0_sel:BYTE_0 src1_sel:DWORD
	s_and_saveexec_b64 s[16:17], s[4:5]
	s_cbranch_execz .LBB302_63
; %bb.58:                               ;   in Loop: Header=BB302_9 Depth=1
	v_cmp_ne_u16_sdwa s[4:5], v7, s41 src0_sel:BYTE_0 src1_sel:DWORD
	v_bfrev_b32_e32 v46, 1
	s_and_saveexec_b64 s[34:35], s[4:5]
	s_cbranch_execz .LBB302_62
; %bb.59:                               ;   in Loop: Header=BB302_9 Depth=1
	v_and_b32_e32 v8, 0x7f, v7
	v_cmp_ne_u32_e64 s[4:5], s42, v8
	v_mov_b32_e32 v46, 0x7f800001
	s_and_saveexec_b64 s[36:37], s[4:5]
	s_cbranch_execz .LBB302_61
; %bb.60:                               ;   in Loop: Header=BB302_9 Depth=1
	v_and_b32_e32 v48, 7, v7
	v_ffbh_u32_e32 v46, v48
	v_min_u32_e32 v50, 32, v46
	v_subrev_u32_e32 v46, 28, v50
	v_lshlrev_b64 v[46:47], v46, v[7:8]
	v_lshrrev_b32_e32 v49, 3, v8
	v_sub_u32_e32 v47, 29, v50
	v_and_b32_e32 v46, 7, v46
	v_cmp_gt_u32_e64 s[4:5], 8, v8
	v_cndmask_b32_e64 v8, v49, v47, s[4:5]
	v_cndmask_b32_e64 v46, v48, v46, s[4:5]
	v_lshlrev_b32_e32 v47, 24, v7
	v_lshlrev_b32_e32 v46, 20, v46
	v_and_b32_e32 v47, 0x80000000, v47
	v_lshl_add_u32 v8, v8, 23, v36
	v_or3_b32 v46, v47, v8, v46
.LBB302_61:                             ;   in Loop: Header=BB302_9 Depth=1
	s_or_b64 exec, exec, s[36:37]
.LBB302_62:                             ;   in Loop: Header=BB302_9 Depth=1
	s_or_b64 exec, exec, s[34:35]
.LBB302_63:                             ;   in Loop: Header=BB302_9 Depth=1
	s_or_b64 exec, exec, s[16:17]
	v_lshrrev_b16_e32 v8, 8, v7
	v_cmp_ne_u16_e64 s[4:5], 0, v8
	v_mov_b32_e32 v48, 0
	v_mov_b32_e32 v47, 0
	s_and_saveexec_b64 s[16:17], s[4:5]
	s_cbranch_execz .LBB302_69
; %bb.64:                               ;   in Loop: Header=BB302_9 Depth=1
	v_cmp_ne_u16_e64 s[4:5], s41, v8
	v_bfrev_b32_e32 v47, 1
	s_and_saveexec_b64 s[34:35], s[4:5]
	s_cbranch_execz .LBB302_68
; %bb.65:                               ;   in Loop: Header=BB302_9 Depth=1
	v_and_b32_e32 v49, 0x7f, v8
	v_cmp_ne_u32_e64 s[4:5], s42, v49
	v_mov_b32_e32 v47, 0x7f800001
	s_and_saveexec_b64 s[36:37], s[4:5]
	s_cbranch_execz .LBB302_67
; %bb.66:                               ;   in Loop: Header=BB302_9 Depth=1
	v_and_b32_e32 v47, 7, v8
	v_ffbh_u32_e32 v50, v47
	v_min_u32_e32 v53, 32, v50
	v_subrev_u32_e32 v50, 28, v53
	v_lshlrev_b64 v[50:51], v50, v[8:9]
	v_lshrrev_b32_e32 v52, 3, v49
	v_sub_u32_e32 v8, 29, v53
	v_and_b32_e32 v50, 7, v50
	v_cmp_gt_u32_e64 s[4:5], 8, v49
	v_cndmask_b32_e64 v8, v52, v8, s[4:5]
	v_cndmask_b32_e64 v47, v47, v50, s[4:5]
	v_lshlrev_b32_e32 v7, 16, v7
	v_lshlrev_b32_e32 v47, 20, v47
	v_and_b32_e32 v7, 0x80000000, v7
	v_lshl_add_u32 v8, v8, 23, v36
	v_or3_b32 v47, v7, v8, v47
.LBB302_67:                             ;   in Loop: Header=BB302_9 Depth=1
	s_or_b64 exec, exec, s[36:37]
.LBB302_68:                             ;   in Loop: Header=BB302_9 Depth=1
	s_or_b64 exec, exec, s[34:35]
.LBB302_69:                             ;   in Loop: Header=BB302_9 Depth=1
	s_or_b64 exec, exec, s[16:17]
	global_load_ushort v8, v[5:6], off offset:520
	s_waitcnt vmcnt(0)
	v_and_b32_e32 v7, 0xffff, v8
	v_cmp_ne_u16_sdwa s[4:5], v8, v35 src0_sel:BYTE_0 src1_sel:DWORD
	s_and_saveexec_b64 s[16:17], s[4:5]
	s_cbranch_execz .LBB302_75
; %bb.70:                               ;   in Loop: Header=BB302_9 Depth=1
	v_cmp_ne_u16_sdwa s[4:5], v7, s41 src0_sel:BYTE_0 src1_sel:DWORD
	v_bfrev_b32_e32 v48, 1
	s_and_saveexec_b64 s[34:35], s[4:5]
	s_cbranch_execz .LBB302_74
; %bb.71:                               ;   in Loop: Header=BB302_9 Depth=1
	v_and_b32_e32 v8, 0x7f, v7
	v_cmp_ne_u32_e64 s[4:5], s42, v8
	v_mov_b32_e32 v48, 0x7f800001
	s_and_saveexec_b64 s[36:37], s[4:5]
	s_cbranch_execz .LBB302_73
; %bb.72:                               ;   in Loop: Header=BB302_9 Depth=1
	v_and_b32_e32 v50, 7, v7
	v_ffbh_u32_e32 v48, v50
	v_min_u32_e32 v52, 32, v48
	v_subrev_u32_e32 v48, 28, v52
	v_lshlrev_b64 v[48:49], v48, v[7:8]
	v_lshrrev_b32_e32 v51, 3, v8
	v_sub_u32_e32 v49, 29, v52
	v_and_b32_e32 v48, 7, v48
	v_cmp_gt_u32_e64 s[4:5], 8, v8
	v_cndmask_b32_e64 v8, v51, v49, s[4:5]
	v_cndmask_b32_e64 v48, v50, v48, s[4:5]
	v_lshlrev_b32_e32 v49, 24, v7
	v_lshlrev_b32_e32 v48, 20, v48
	v_and_b32_e32 v49, 0x80000000, v49
	v_lshl_add_u32 v8, v8, 23, v36
	v_or3_b32 v48, v49, v8, v48
.LBB302_73:                             ;   in Loop: Header=BB302_9 Depth=1
	s_or_b64 exec, exec, s[36:37]
.LBB302_74:                             ;   in Loop: Header=BB302_9 Depth=1
	s_or_b64 exec, exec, s[34:35]
.LBB302_75:                             ;   in Loop: Header=BB302_9 Depth=1
	s_or_b64 exec, exec, s[16:17]
	v_lshrrev_b16_e32 v8, 8, v7
	v_cmp_ne_u16_e64 s[4:5], 0, v8
	v_mov_b32_e32 v50, 0
	v_mov_b32_e32 v49, 0
	s_and_saveexec_b64 s[16:17], s[4:5]
	s_cbranch_execz .LBB302_81
; %bb.76:                               ;   in Loop: Header=BB302_9 Depth=1
	v_cmp_ne_u16_e64 s[4:5], s41, v8
	v_bfrev_b32_e32 v49, 1
	s_and_saveexec_b64 s[34:35], s[4:5]
	s_cbranch_execz .LBB302_80
; %bb.77:                               ;   in Loop: Header=BB302_9 Depth=1
	v_and_b32_e32 v51, 0x7f, v8
	v_cmp_ne_u32_e64 s[4:5], s42, v51
	v_mov_b32_e32 v49, 0x7f800001
	s_and_saveexec_b64 s[36:37], s[4:5]
	s_cbranch_execz .LBB302_79
; %bb.78:                               ;   in Loop: Header=BB302_9 Depth=1
	v_and_b32_e32 v49, 7, v8
	v_ffbh_u32_e32 v52, v49
	v_min_u32_e32 v55, 32, v52
	v_subrev_u32_e32 v52, 28, v55
	v_lshlrev_b64 v[52:53], v52, v[8:9]
	v_lshrrev_b32_e32 v54, 3, v51
	v_sub_u32_e32 v8, 29, v55
	v_and_b32_e32 v52, 7, v52
	v_cmp_gt_u32_e64 s[4:5], 8, v51
	v_cndmask_b32_e64 v8, v54, v8, s[4:5]
	v_cndmask_b32_e64 v49, v49, v52, s[4:5]
	v_lshlrev_b32_e32 v7, 16, v7
	v_lshlrev_b32_e32 v49, 20, v49
	v_and_b32_e32 v7, 0x80000000, v7
	v_lshl_add_u32 v8, v8, 23, v36
	v_or3_b32 v49, v7, v8, v49
.LBB302_79:                             ;   in Loop: Header=BB302_9 Depth=1
	s_or_b64 exec, exec, s[36:37]
.LBB302_80:                             ;   in Loop: Header=BB302_9 Depth=1
	s_or_b64 exec, exec, s[34:35]
.LBB302_81:                             ;   in Loop: Header=BB302_9 Depth=1
	s_or_b64 exec, exec, s[16:17]
	global_load_ushort v8, v[5:6], off offset:768
	s_waitcnt vmcnt(0)
	v_and_b32_e32 v7, 0xffff, v8
	v_cmp_ne_u16_sdwa s[4:5], v8, v35 src0_sel:BYTE_0 src1_sel:DWORD
	s_and_saveexec_b64 s[16:17], s[4:5]
	s_cbranch_execz .LBB302_87
; %bb.82:                               ;   in Loop: Header=BB302_9 Depth=1
	v_cmp_ne_u16_sdwa s[4:5], v7, s41 src0_sel:BYTE_0 src1_sel:DWORD
	v_bfrev_b32_e32 v50, 1
	s_and_saveexec_b64 s[34:35], s[4:5]
	s_cbranch_execz .LBB302_86
; %bb.83:                               ;   in Loop: Header=BB302_9 Depth=1
	v_and_b32_e32 v8, 0x7f, v7
	v_cmp_ne_u32_e64 s[4:5], s42, v8
	v_mov_b32_e32 v50, 0x7f800001
	s_and_saveexec_b64 s[36:37], s[4:5]
	s_cbranch_execz .LBB302_85
; %bb.84:                               ;   in Loop: Header=BB302_9 Depth=1
	v_and_b32_e32 v52, 7, v7
	v_ffbh_u32_e32 v50, v52
	v_min_u32_e32 v54, 32, v50
	v_subrev_u32_e32 v50, 28, v54
	v_lshlrev_b64 v[50:51], v50, v[7:8]
	v_lshrrev_b32_e32 v53, 3, v8
	v_sub_u32_e32 v51, 29, v54
	v_and_b32_e32 v50, 7, v50
	v_cmp_gt_u32_e64 s[4:5], 8, v8
	v_cndmask_b32_e64 v8, v53, v51, s[4:5]
	v_cndmask_b32_e64 v50, v52, v50, s[4:5]
	v_lshlrev_b32_e32 v51, 24, v7
	v_lshlrev_b32_e32 v50, 20, v50
	v_and_b32_e32 v51, 0x80000000, v51
	v_lshl_add_u32 v8, v8, 23, v36
	v_or3_b32 v50, v51, v8, v50
.LBB302_85:                             ;   in Loop: Header=BB302_9 Depth=1
	s_or_b64 exec, exec, s[36:37]
.LBB302_86:                             ;   in Loop: Header=BB302_9 Depth=1
	s_or_b64 exec, exec, s[34:35]
.LBB302_87:                             ;   in Loop: Header=BB302_9 Depth=1
	s_or_b64 exec, exec, s[16:17]
	v_lshrrev_b16_e32 v8, 8, v7
	v_cmp_ne_u16_e64 s[4:5], 0, v8
	v_mov_b32_e32 v52, 0
	v_mov_b32_e32 v51, 0
	s_and_saveexec_b64 s[16:17], s[4:5]
	s_cbranch_execz .LBB302_93
; %bb.88:                               ;   in Loop: Header=BB302_9 Depth=1
	v_cmp_ne_u16_e64 s[4:5], s41, v8
	v_bfrev_b32_e32 v51, 1
	s_and_saveexec_b64 s[34:35], s[4:5]
	s_cbranch_execz .LBB302_92
; %bb.89:                               ;   in Loop: Header=BB302_9 Depth=1
	v_and_b32_e32 v53, 0x7f, v8
	v_cmp_ne_u32_e64 s[4:5], s42, v53
	v_mov_b32_e32 v51, 0x7f800001
	s_and_saveexec_b64 s[36:37], s[4:5]
	s_cbranch_execz .LBB302_91
; %bb.90:                               ;   in Loop: Header=BB302_9 Depth=1
	v_and_b32_e32 v51, 7, v8
	v_ffbh_u32_e32 v54, v51
	v_min_u32_e32 v57, 32, v54
	v_subrev_u32_e32 v54, 28, v57
	v_lshlrev_b64 v[54:55], v54, v[8:9]
	v_lshrrev_b32_e32 v56, 3, v53
	v_sub_u32_e32 v8, 29, v57
	v_and_b32_e32 v54, 7, v54
	v_cmp_gt_u32_e64 s[4:5], 8, v53
	v_cndmask_b32_e64 v8, v56, v8, s[4:5]
	v_cndmask_b32_e64 v51, v51, v54, s[4:5]
	v_lshlrev_b32_e32 v7, 16, v7
	v_lshlrev_b32_e32 v51, 20, v51
	v_and_b32_e32 v7, 0x80000000, v7
	v_lshl_add_u32 v8, v8, 23, v36
	v_or3_b32 v51, v7, v8, v51
.LBB302_91:                             ;   in Loop: Header=BB302_9 Depth=1
	s_or_b64 exec, exec, s[36:37]
.LBB302_92:                             ;   in Loop: Header=BB302_9 Depth=1
	s_or_b64 exec, exec, s[34:35]
.LBB302_93:                             ;   in Loop: Header=BB302_9 Depth=1
	s_or_b64 exec, exec, s[16:17]
	global_load_ushort v6, v[5:6], off offset:776
	s_waitcnt vmcnt(0)
	v_and_b32_e32 v5, 0xffff, v6
	v_cmp_ne_u16_sdwa s[4:5], v6, v35 src0_sel:BYTE_0 src1_sel:DWORD
	s_and_saveexec_b64 s[16:17], s[4:5]
	s_cbranch_execz .LBB302_99
; %bb.94:                               ;   in Loop: Header=BB302_9 Depth=1
	v_cmp_ne_u16_sdwa s[4:5], v5, s41 src0_sel:BYTE_0 src1_sel:DWORD
	v_bfrev_b32_e32 v52, 1
	s_and_saveexec_b64 s[34:35], s[4:5]
	s_cbranch_execz .LBB302_98
; %bb.95:                               ;   in Loop: Header=BB302_9 Depth=1
	v_and_b32_e32 v6, 0x7f, v5
	v_cmp_ne_u32_e64 s[4:5], s42, v6
	v_mov_b32_e32 v52, 0x7f800001
	s_and_saveexec_b64 s[36:37], s[4:5]
	s_cbranch_execz .LBB302_97
; %bb.96:                               ;   in Loop: Header=BB302_9 Depth=1
	v_and_b32_e32 v52, 7, v5
	v_ffbh_u32_e32 v7, v52
	v_min_u32_e32 v54, 32, v7
	v_subrev_u32_e32 v7, 28, v54
	v_lshlrev_b64 v[7:8], v7, v[5:6]
	v_lshrrev_b32_e32 v53, 3, v6
	v_sub_u32_e32 v8, 29, v54
	v_and_b32_e32 v7, 7, v7
	v_cmp_gt_u32_e64 s[4:5], 8, v6
	v_cndmask_b32_e64 v6, v53, v8, s[4:5]
	v_cndmask_b32_e64 v7, v52, v7, s[4:5]
	v_lshlrev_b32_e32 v8, 24, v5
	v_lshlrev_b32_e32 v7, 20, v7
	v_and_b32_e32 v8, 0x80000000, v8
	v_lshl_add_u32 v6, v6, 23, v36
	v_or3_b32 v52, v8, v6, v7
.LBB302_97:                             ;   in Loop: Header=BB302_9 Depth=1
	s_or_b64 exec, exec, s[36:37]
.LBB302_98:                             ;   in Loop: Header=BB302_9 Depth=1
	s_or_b64 exec, exec, s[34:35]
.LBB302_99:                             ;   in Loop: Header=BB302_9 Depth=1
	s_or_b64 exec, exec, s[16:17]
	v_lshrrev_b16_e32 v6, 8, v5
	v_cmp_ne_u16_e64 s[4:5], 0, v6
	v_mov_b32_e32 v7, 0
	s_and_saveexec_b64 s[16:17], s[4:5]
	s_cbranch_execz .LBB302_105
; %bb.100:                              ;   in Loop: Header=BB302_9 Depth=1
	v_cmp_ne_u16_e64 s[4:5], s41, v6
	v_bfrev_b32_e32 v7, 1
	s_and_saveexec_b64 s[34:35], s[4:5]
	s_cbranch_execz .LBB302_104
; %bb.101:                              ;   in Loop: Header=BB302_9 Depth=1
	v_and_b32_e32 v8, 0x7f, v6
	v_cmp_ne_u32_e64 s[4:5], s42, v8
	v_mov_b32_e32 v7, 0x7f800001
	s_and_saveexec_b64 s[36:37], s[4:5]
	s_cbranch_execz .LBB302_103
; %bb.102:                              ;   in Loop: Header=BB302_9 Depth=1
	v_and_b32_e32 v53, 7, v6
	v_ffbh_u32_e32 v7, v53
	v_min_u32_e32 v55, 32, v7
	v_subrev_u32_e32 v7, 28, v55
	v_lshlrev_b64 v[6:7], v7, v[6:7]
	v_lshrrev_b32_e32 v54, 3, v8
	v_sub_u32_e32 v7, 29, v55
	v_and_b32_e32 v6, 7, v6
	v_cmp_gt_u32_e64 s[4:5], 8, v8
	v_cndmask_b32_e64 v7, v54, v7, s[4:5]
	v_cndmask_b32_e64 v6, v53, v6, s[4:5]
	v_lshlrev_b32_e32 v5, 16, v5
	v_lshlrev_b32_e32 v6, 20, v6
	v_and_b32_e32 v5, 0x80000000, v5
	v_lshl_add_u32 v7, v7, 23, v36
	v_or3_b32 v7, v5, v7, v6
.LBB302_103:                            ;   in Loop: Header=BB302_9 Depth=1
	s_or_b64 exec, exec, s[36:37]
.LBB302_104:                            ;   in Loop: Header=BB302_9 Depth=1
	s_or_b64 exec, exec, s[34:35]
.LBB302_105:                            ;   in Loop: Header=BB302_9 Depth=1
	s_or_b64 exec, exec, s[16:17]
	s_waitcnt lgkmcnt(0)
	v_mul_f32_e32 v5, s40, v52
	v_bfe_u32 v6, v5, 16, 1
	v_add3_u32 v6, v6, v5, s43
	v_or_b32_e32 v8, 0x400000, v5
	v_cmp_u_f32_e64 s[4:5], v5, v5
	v_cndmask_b32_e64 v5, v6, v8, s[4:5]
	v_mul_f32_e32 v6, s40, v51
	v_bfe_u32 v8, v6, 16, 1
	v_add3_u32 v8, v8, v6, s43
	v_or_b32_e32 v51, 0x400000, v6
	v_cmp_u_f32_e64 s[4:5], v6, v6
	v_cndmask_b32_e64 v6, v8, v51, s[4:5]
	v_mul_f32_e32 v8, s40, v50
	v_bfe_u32 v50, v8, 16, 1
	v_add3_u32 v50, v50, v8, s43
	v_or_b32_e32 v51, 0x400000, v8
	v_cmp_u_f32_e64 s[4:5], v8, v8
	v_mul_f32_e32 v49, s40, v49
	v_cndmask_b32_e64 v8, v50, v51, s[4:5]
	v_bfe_u32 v50, v49, 16, 1
	v_add3_u32 v50, v50, v49, s43
	v_or_b32_e32 v51, 0x400000, v49
	v_cmp_u_f32_e64 s[4:5], v49, v49
	v_mul_f32_e32 v48, s40, v48
	v_cndmask_b32_e64 v49, v50, v51, s[4:5]
	;; [unrolled: 6-line block ×12, first 2 shown]
	v_bfe_u32 v50, v38, 16, 1
	v_add3_u32 v50, v50, v38, s43
	v_or_b32_e32 v51, 0x400000, v38
	v_cmp_u_f32_e64 s[4:5], v38, v38
	v_cndmask_b32_e64 v38, v50, v51, s[4:5]
	v_and_b32_e32 v40, 0xffff0000, v40
	v_and_b32_e32 v38, 0xffff0000, v38
	;; [unrolled: 1-line block ×3, first 2 shown]
	v_mul_f32_e32 v40, v15, v40
	v_and_b32_e32 v39, 0xffff0000, v39
	v_fmac_f32_e32 v40, v13, v38
	v_mul_f32_e32 v38, v16, v41
	v_fmac_f32_e32 v38, v14, v39
	v_and_b32_e32 v39, 0xffff0000, v42
	v_and_b32_e32 v41, 0xffff0000, v43
	v_mul_f32_e32 v7, s40, v7
	v_fmac_f32_e32 v40, v17, v39
	v_fmac_f32_e32 v38, v18, v41
	v_and_b32_e32 v39, 0xffff0000, v44
	v_and_b32_e32 v41, 0xffff0000, v45
	v_bfe_u32 v50, v7, 16, 1
	v_fmac_f32_e32 v40, v19, v39
	v_fmac_f32_e32 v38, v21, v41
	v_and_b32_e32 v39, 0xffff0000, v46
	v_and_b32_e32 v41, 0xffff0000, v47
	v_add3_u32 v50, v50, v7, s43
	v_or_b32_e32 v51, 0x400000, v7
	v_cmp_u_f32_e64 s[4:5], v7, v7
	v_fmac_f32_e32 v40, v22, v39
	v_fmac_f32_e32 v38, v23, v41
	v_and_b32_e32 v39, 0xffff0000, v48
	v_and_b32_e32 v41, 0xffff0000, v49
	v_cndmask_b32_e64 v7, v50, v51, s[4:5]
	v_fmac_f32_e32 v40, v24, v39
	v_fmac_f32_e32 v38, v25, v41
	v_and_b32_e32 v8, 0xffff0000, v8
	v_and_b32_e32 v6, 0xffff0000, v6
	v_fmac_f32_e32 v40, v26, v8
	v_fmac_f32_e32 v38, v27, v6
	v_and_b32_e32 v5, 0xffff0000, v5
	v_and_b32_e32 v6, 0xffff0000, v7
	v_fmac_f32_e32 v40, v28, v5
	v_fmac_f32_e32 v38, v29, v6
	v_add_f32_e32 v5, v40, v38
	ds_bpermute_b32 v6, v31, v5
	s_waitcnt lgkmcnt(0)
	v_add_f32_e32 v5, v5, v6
	ds_bpermute_b32 v6, v32, v5
	s_and_saveexec_b64 s[16:17], vcc
	s_cbranch_execz .LBB302_8
; %bb.106:                              ;   in Loop: Header=BB302_9 Depth=1
	v_add_u32_e32 v7, s38, v33
	v_cvt_f32_i32_e32 v7, v7
	s_waitcnt lgkmcnt(0)
	v_add_f32_e32 v5, v5, v6
	v_cmp_gt_i32_e64 s[4:5], s30, v33
	v_max_f32_e32 v6, v30, v30
	v_mul_f32_e32 v7, s33, v7
	v_cndmask_b32_e64 v7, 0, v7, s[2:3]
	v_fmac_f32_e32 v7, s31, v5
	v_cndmask_b32_e64 v5, 0, v7, s[4:5]
	ds_write_b32 v34, v5
	v_max_f32_e32 v5, v6, v7
	v_cndmask_b32_e64 v30, v30, v5, s[4:5]
	s_branch .LBB302_8
.LBB302_107:
	s_or_b64 exec, exec, s[14:15]
.LBB302_108:
	s_or_b64 exec, exec, s[6:7]
	v_xor_b32_e32 v1, 32, v10
	v_cmp_lt_i32_e32 vcc, v1, v11
	v_cndmask_b32_e32 v1, v10, v1, vcc
	v_lshlrev_b32_e32 v1, 2, v1
	ds_bpermute_b32 v2, v1, v30
	v_xor_b32_e32 v4, 16, v10
	v_max_f32_e32 v3, v30, v30
	v_cmp_lt_i32_e32 vcc, v4, v11
	v_xor_b32_e32 v5, 8, v10
	s_waitcnt lgkmcnt(0)
	v_max_f32_e32 v2, v2, v2
	v_max_f32_e32 v3, v3, v2
	v_cndmask_b32_e32 v2, v10, v4, vcc
	v_lshlrev_b32_e32 v2, 2, v2
	ds_bpermute_b32 v4, v2, v3
	v_cmp_lt_i32_e32 vcc, v5, v11
	v_xor_b32_e32 v6, 4, v10
	v_and_b32_e32 v21, 63, v0
	s_waitcnt lgkmcnt(0)
	v_max_f32_e32 v4, v4, v4
	v_max_f32_e32 v3, v3, v4
	v_cndmask_b32_e32 v4, v10, v5, vcc
	v_lshlrev_b32_e32 v5, 2, v4
	ds_bpermute_b32 v4, v5, v3
	v_cmp_lt_i32_e32 vcc, v6, v11
	s_waitcnt lgkmcnt(0)
	v_max_f32_e32 v4, v4, v4
	v_max_f32_e32 v4, v3, v4
	v_cndmask_b32_e32 v3, v10, v6, vcc
	v_lshlrev_b32_e32 v6, 2, v3
	ds_bpermute_b32 v7, v6, v4
	v_cmp_eq_u32_e32 vcc, 0, v21
	v_lshlrev_b32_e32 v3, 2, v20
	s_and_saveexec_b64 s[2:3], vcc
	s_cbranch_execz .LBB302_110
; %bb.109:
	s_waitcnt lgkmcnt(0)
	v_max_f32_e32 v7, v7, v7
	v_max_f32_e32 v4, v4, v4
	;; [unrolled: 1-line block ×3, first 2 shown]
	ds_write_b32 v3, v4 offset:128
.LBB302_110:
	s_or_b64 exec, exec, s[2:3]
	v_cmp_gt_u32_e64 s[2:3], 2, v21
	s_waitcnt lgkmcnt(0)
	v_mov_b32_e32 v7, 0xff7fffff
	v_lshlrev_b32_e32 v4, 2, v21
	s_barrier
	s_and_saveexec_b64 s[4:5], s[2:3]
; %bb.111:
	ds_read_b32 v7, v4 offset:128
; %bb.112:
	s_or_b64 exec, exec, s[4:5]
	v_xor_b32_e32 v8, 1, v10
	v_cmp_lt_i32_e64 s[4:5], v8, v11
	v_cndmask_b32_e64 v8, v10, v8, s[4:5]
	v_lshlrev_b32_e32 v22, 2, v8
	s_waitcnt lgkmcnt(0)
	ds_bpermute_b32 v8, v22, v7
	v_max_f32_e32 v7, v7, v7
	s_lshl_b32 s4, s21, 4
	s_min_i32 s31, s4, s30
	v_cmp_gt_i32_e64 s[4:5], s31, v0
	s_waitcnt lgkmcnt(0)
	v_max_f32_e32 v8, v8, v8
	v_max_f32_e32 v7, v7, v8
	v_lshlrev_b32_e32 v8, 2, v12
	ds_bpermute_b32 v8, v8, v7
	v_mov_b32_e32 v7, 0
	s_and_saveexec_b64 s[14:15], s[4:5]
	s_cbranch_execz .LBB302_116
; %bb.113:
	v_mov_b32_e32 v7, 0x90
	v_lshl_add_u32 v12, v0, 2, v7
	v_mov_b32_e32 v7, 0
	s_mov_b64 s[16:17], 0
	v_mov_b32_e32 v13, v0
.LBB302_114:                            ; =>This Inner Loop Header: Depth=1
	ds_read_b32 v14, v12
	v_add_u32_e32 v13, 0x80, v13
	v_cmp_le_i32_e64 s[6:7], s31, v13
	s_or_b64 s[16:17], s[6:7], s[16:17]
	s_waitcnt lgkmcnt(0)
	v_sub_f32_e32 v14, v14, v8
	v_mul_f32_e32 v14, 0x3fb8aa3b, v14
	v_exp_f32_e32 v14, v14
	ds_write_b32 v12, v14
	v_add_f32_e32 v7, v7, v14
	v_add_u32_e32 v12, 0x200, v12
	s_andn2_b64 exec, exec, s[16:17]
	s_cbranch_execnz .LBB302_114
; %bb.115:
	s_or_b64 exec, exec, s[16:17]
.LBB302_116:
	s_or_b64 exec, exec, s[14:15]
	ds_bpermute_b32 v1, v1, v7
	s_waitcnt lgkmcnt(0)
	v_add_f32_e32 v1, v7, v1
	ds_bpermute_b32 v2, v2, v1
	s_waitcnt lgkmcnt(0)
	v_add_f32_e32 v1, v1, v2
	ds_bpermute_b32 v2, v5, v1
	v_xor_b32_e32 v5, 2, v10
	v_cmp_lt_i32_e64 s[6:7], v5, v11
	v_cndmask_b32_e64 v5, v10, v5, s[6:7]
	s_waitcnt lgkmcnt(0)
	v_add_f32_e32 v1, v1, v2
	ds_bpermute_b32 v2, v6, v1
	s_waitcnt lgkmcnt(0)
	v_add_f32_e32 v1, v1, v2
	v_lshlrev_b32_e32 v2, 2, v5
	ds_bpermute_b32 v2, v2, v1
	s_waitcnt lgkmcnt(0)
	v_add_f32_e32 v1, v1, v2
	ds_bpermute_b32 v2, v22, v1
	s_waitcnt lgkmcnt(0)
	v_add_f32_e32 v1, v1, v2
	s_and_saveexec_b64 s[6:7], vcc
; %bb.117:
	ds_write_b32 v3, v1 offset:136
; %bb.118:
	s_or_b64 exec, exec, s[6:7]
	s_waitcnt lgkmcnt(0)
	s_barrier
	s_and_saveexec_b64 s[6:7], s[2:3]
; %bb.119:
	ds_read_b32 v1, v4 offset:136
; %bb.120:
	s_or_b64 exec, exec, s[6:7]
	s_waitcnt lgkmcnt(0)
	ds_bpermute_b32 v2, v22, v1
	v_lshlrev_b32_e32 v3, 2, v10
	s_waitcnt lgkmcnt(0)
	v_add_f32_e32 v1, v1, v2
	v_and_b32_e32 v2, 0xffffff00, v3
	ds_bpermute_b32 v1, v2, v1
	s_and_saveexec_b64 s[2:3], s[4:5]
	s_cbranch_execz .LBB302_123
; %bb.121:
	s_waitcnt lgkmcnt(0)
	v_add_f32_e32 v2, 0x358637bd, v1
	v_div_scale_f32 v1, s[4:5], v2, v2, 1.0
	v_div_scale_f32 v3, vcc, 1.0, v2, 1.0
	s_mov_b64 s[4:5], 0
	v_rcp_f32_e32 v4, v1
	v_fma_f32 v5, -v1, v4, 1.0
	v_fmac_f32_e32 v4, v5, v4
	v_mul_f32_e32 v5, v3, v4
	v_fma_f32 v6, -v1, v5, v3
	v_fmac_f32_e32 v5, v6, v4
	v_fma_f32 v1, -v1, v5, v3
	v_div_fmas_f32 v3, v1, v4, v5
	v_mov_b32_e32 v1, 0x90
	v_lshl_add_u32 v1, v0, 2, v1
	v_div_fixup_f32 v2, v3, v2, 1.0
	v_mov_b32_e32 v3, v0
.LBB302_122:                            ; =>This Inner Loop Header: Depth=1
	ds_read_b32 v4, v1
	v_add_u32_e32 v3, 0x80, v3
	v_cmp_le_i32_e32 vcc, s31, v3
	s_or_b64 s[4:5], vcc, s[4:5]
	s_waitcnt lgkmcnt(0)
	v_mul_f32_e32 v4, v2, v4
	ds_write_b32 v1, v4
	v_add_u32_e32 v1, 0x200, v1
	s_andn2_b64 exec, exec, s[4:5]
	s_cbranch_execnz .LBB302_122
.LBB302_123:
	s_or_b64 exec, exec, s[2:3]
	v_mov_b32_e32 v25, 0
	v_and_b32_e32 v23, 1, v0
	v_mov_b32_e32 v27, 0
	s_waitcnt lgkmcnt(0)
	s_barrier
	s_and_saveexec_b64 s[2:3], s[0:1]
	s_cbranch_execz .LBB302_227
; %bb.124:
	v_lshlrev_b32_e32 v1, 3, v0
	s_ashr_i32 s0, s12, 31
	v_and_b32_e32 v2, 8, v1
	s_add_u32 s1, s28, s12
	v_and_b32_e32 v1, 0x1f8, v1
	s_addc_u32 s0, s29, s0
	v_add_co_u32_e32 v11, vcc, s1, v1
	v_lshlrev_b32_e32 v1, 4, v20
	s_load_dword s18, s[18:19], 0x0
	s_add_i32 s19, s21, -1
	v_mov_b32_e32 v3, s0
	v_or3_b32 v24, v1, v2, 7
	v_lshlrev_b32_e32 v1, 5, v23
	s_lshl_b64 s[0:1], s[26:27], 2
	v_lshl_or_b32 v1, v20, 6, v1
	s_add_u32 s0, s24, s0
	v_addc_co_u32_e32 v12, vcc, 0, v3, vcc
	v_add_u32_e32 v26, 0x90, v1
	v_and_b32_e32 v1, 60, v9
	s_addc_u32 s1, s25, s1
	s_mov_b32 s4, -1
	v_mov_b32_e32 v2, s1
	v_add_co_u32_e32 v13, vcc, s0, v1
	s_mov_b32 s31, s13
	s_mov_b32 s5, 0xffffff
	v_mov_b32_e32 v10, 0
	v_addc_co_u32_e32 v14, vcc, 0, v2, vcc
	s_mov_b64 s[6:7], 0
	s_movk_i32 s24, 0x80
	s_movk_i32 s25, 0x7f
	;; [unrolled: 1-line block ×3, first 2 shown]
	v_bfrev_b32_e32 v28, 60
	v_mov_b32_e32 v27, 0
	v_mov_b32_e32 v25, 0
	s_branch .LBB302_126
.LBB302_125:                            ;   in Loop: Header=BB302_126 Depth=1
	s_or_b64 exec, exec, s[0:1]
	v_bfe_u32 v35, v5, 16, 1
	v_add3_u32 v35, v35, v5, s26
	v_or_b32_e32 v36, 0x400000, v5
	v_cmp_u_f32_e32 vcc, v5, v5
	v_cndmask_b32_e32 v5, v35, v36, vcc
	v_bfe_u32 v35, v6, 16, 1
	v_add3_u32 v35, v35, v6, s26
	v_or_b32_e32 v36, 0x400000, v6
	v_cmp_u_f32_e32 vcc, v6, v6
	v_cndmask_b32_e32 v6, v35, v36, vcc
	;; [unrolled: 5-line block ×7, first 2 shown]
	v_bfe_u32 v35, v4, 16, 1
	v_and_b32_e32 v5, 0xffff0000, v5
	v_lshlrev_b32_e32 v34, 16, v34
	v_add3_u32 v35, v35, v4, s26
	v_or_b32_e32 v36, 0x400000, v4
	v_cmp_u_f32_e32 vcc, v4, v4
	v_mul_f32_e32 v34, v5, v34
	v_cndmask_b32_e32 v4, v35, v36, vcc
	v_bfe_u32 v35, v34, 16, 1
	v_and_b32_e32 v6, 0xffff0000, v6
	v_lshlrev_b32_e32 v33, 16, v33
	v_add3_u32 v35, v35, v34, s26
	v_or_b32_e32 v36, 0x400000, v34
	v_cmp_u_f32_e32 vcc, v34, v34
	v_mul_f32_e32 v33, v6, v33
	v_cndmask_b32_e32 v34, v35, v36, vcc
	;; [unrolled: 8-line block ×8, first 2 shown]
	v_bfe_u32 v35, v30, 16, 1
	v_and_b32_e32 v33, 0xffff0000, v33
	v_and_b32_e32 v34, 0xffff0000, v34
	;; [unrolled: 1-line block ×4, first 2 shown]
	v_add3_u32 v35, v35, v30, s26
	v_or_b32_e32 v36, 0x400000, v30
	v_cmp_u_f32_e32 vcc, v30, v30
	v_add_f32_e32 v33, v34, v33
	v_add_f32_e32 v29, v32, v29
	v_and_b32_e32 v18, 0xffff0000, v18
	v_and_b32_e32 v19, 0xffff0000, v19
	v_cndmask_b32_e32 v30, v35, v36, vcc
	v_add_f32_e32 v29, v29, v33
	v_add_f32_e32 v18, v19, v18
	;; [unrolled: 1-line block ×3, first 2 shown]
	v_and_b32_e32 v19, 0xffff0000, v30
	v_and_b32_e32 v29, 0xffff0000, v31
	v_add_f32_e32 v19, v29, v19
	v_add_f32_e32 v18, v19, v18
	;; [unrolled: 1-line block ×3, first 2 shown]
	v_lshlrev_b32_e32 v18, 16, v45
	v_mul_f32_e32 v5, v5, v18
	v_bfe_u32 v18, v5, 16, 1
	v_add3_u32 v18, v18, v5, s26
	v_or_b32_e32 v19, 0x400000, v5
	v_cmp_u_f32_e32 vcc, v5, v5
	v_cndmask_b32_e32 v5, v18, v19, vcc
	v_lshlrev_b32_e32 v18, 16, v43
	v_mul_f32_e32 v6, v6, v18
	v_bfe_u32 v18, v6, 16, 1
	v_add3_u32 v18, v18, v6, s26
	v_or_b32_e32 v19, 0x400000, v6
	v_cmp_u_f32_e32 vcc, v6, v6
	v_cndmask_b32_e32 v6, v18, v19, vcc
	v_lshlrev_b32_e32 v18, 16, v44
	v_mul_f32_e32 v7, v7, v18
	v_lshlrev_b32_e32 v16, 16, v16
	v_bfe_u32 v18, v7, 16, 1
	v_mul_f32_e32 v8, v8, v16
	v_lshlrev_b32_e32 v15, 16, v15
	v_add3_u32 v18, v18, v7, s26
	v_or_b32_e32 v19, 0x400000, v7
	v_cmp_u_f32_e32 vcc, v7, v7
	v_bfe_u32 v16, v8, 16, 1
	v_mul_f32_e32 v1, v1, v15
	v_lshlrev_b32_e32 v9, 16, v9
	v_cndmask_b32_e32 v7, v18, v19, vcc
	v_add3_u32 v16, v16, v8, s26
	v_or_b32_e32 v18, 0x400000, v8
	v_cmp_u_f32_e32 vcc, v8, v8
	v_bfe_u32 v15, v1, 16, 1
	v_mul_f32_e32 v2, v2, v9
	v_cndmask_b32_e32 v8, v16, v18, vcc
	v_add3_u32 v15, v15, v1, s26
	v_or_b32_e32 v16, 0x400000, v1
	v_cmp_u_f32_e32 vcc, v1, v1
	v_bfe_u32 v9, v2, 16, 1
	v_cndmask_b32_e32 v1, v15, v16, vcc
	v_add3_u32 v9, v9, v2, s26
	v_or_b32_e32 v15, 0x400000, v2
	v_cmp_u_f32_e32 vcc, v2, v2
	v_cndmask_b32_e32 v2, v9, v15, vcc
	v_lshlrev_b32_e32 v9, 16, v17
	v_mul_f32_e32 v3, v3, v9
	v_bfe_u32 v9, v3, 16, 1
	v_add3_u32 v9, v9, v3, s26
	v_or_b32_e32 v15, 0x400000, v3
	v_cmp_u_f32_e32 vcc, v3, v3
	v_cndmask_b32_e32 v3, v9, v15, vcc
	v_lshlrev_b32_e32 v9, 16, v42
	v_mul_f32_e32 v4, v4, v9
	v_bfe_u32 v9, v4, 16, 1
	v_and_b32_e32 v6, 0xffff0000, v6
	v_and_b32_e32 v5, 0xffff0000, v5
	v_add3_u32 v9, v9, v4, s26
	v_or_b32_e32 v15, 0x400000, v4
	v_cmp_u_f32_e32 vcc, v4, v4
	v_add_f32_e32 v5, v5, v6
	v_and_b32_e32 v6, 0xffff0000, v8
	v_and_b32_e32 v7, 0xffff0000, v7
	v_cndmask_b32_e32 v4, v9, v15, vcc
	v_add_f32_e32 v6, v7, v6
	v_and_b32_e32 v2, 0xffff0000, v2
	v_and_b32_e32 v1, 0xffff0000, v1
	v_add_f32_e32 v5, v6, v5
	v_add_f32_e32 v1, v1, v2
	v_and_b32_e32 v2, 0xffff0000, v4
	v_and_b32_e32 v3, 0xffff0000, v3
	v_add_u32_e32 v20, 2, v20
	v_add_f32_e32 v1, v1, v5
	v_add_f32_e32 v2, v3, v2
	v_cmp_le_i32_e32 vcc, s21, v20
	v_add_f32_e32 v1, v2, v1
	s_or_b64 s[6:7], vcc, s[6:7]
	v_add_co_u32_e32 v13, vcc, 8, v13
	v_add_f32_e32 v25, v25, v1
	v_add_u32_e32 v24, 32, v24
	v_add_u32_e32 v26, 0x80, v26
	v_addc_co_u32_e32 v14, vcc, 0, v14, vcc
	s_andn2_b64 exec, exec, s[6:7]
	s_cbranch_execz .LBB302_226
.LBB302_126:                            ; =>This Inner Loop Header: Depth=1
	global_load_dword v1, v[13:14], off
	v_mov_b32_e32 v30, 0
	s_waitcnt vmcnt(0)
	v_mad_i64_i32 v[15:16], s[0:1], v1, s31, v[11:12]
	global_load_dwordx2 v[17:18], v[15:16], off
	ds_read2_b64 v[5:8], v26 offset1:1
	ds_read2_b64 v[1:4], v26 offset0:2 offset1:3
	s_waitcnt vmcnt(0)
	v_cmp_ne_u16_sdwa s[12:13], v17, v10 src0_sel:BYTE_0 src1_sel:DWORD
	s_and_saveexec_b64 s[0:1], s[12:13]
	s_cbranch_execz .LBB302_132
; %bb.127:                              ;   in Loop: Header=BB302_126 Depth=1
	v_cmp_ne_u16_sdwa s[14:15], v17, s24 src0_sel:BYTE_0 src1_sel:DWORD
	v_bfrev_b32_e32 v30, 1
	s_and_saveexec_b64 s[12:13], s[14:15]
	s_cbranch_execz .LBB302_131
; %bb.128:                              ;   in Loop: Header=BB302_126 Depth=1
	v_and_b32_e32 v9, 0x7f, v17
	v_cmp_ne_u32_e32 vcc, s25, v9
	v_mov_b32_e32 v30, 0x7f800001
	s_and_saveexec_b64 s[14:15], vcc
	s_cbranch_execz .LBB302_130
; %bb.129:                              ;   in Loop: Header=BB302_126 Depth=1
	v_and_b32_e32 v19, 7, v17
	v_ffbh_u32_e32 v19, v19
	v_min_u32_e32 v19, 32, v19
	v_lshrrev_b32_e32 v29, 3, v9
	v_subrev_u32_e32 v30, 28, v19
	v_sub_u32_e32 v19, 29, v19
	v_cmp_gt_u32_e32 vcc, 8, v9
	v_cndmask_b32_e32 v9, v29, v19, vcc
	v_cndmask_b32_e32 v19, 0, v30, vcc
	v_lshlrev_b64 v[29:30], v19, v[17:18]
	v_lshl_add_u32 v9, v9, 23, v28
	v_lshlrev_b32_e32 v19, 20, v29
	v_lshlrev_b32_e32 v29, 24, v17
	v_and_b32_e32 v19, 0x700000, v19
	v_and_b32_e32 v29, 0x80000000, v29
	v_or3_b32 v30, v29, v9, v19
.LBB302_130:                            ;   in Loop: Header=BB302_126 Depth=1
	s_or_b64 exec, exec, s[14:15]
.LBB302_131:                            ;   in Loop: Header=BB302_126 Depth=1
	s_or_b64 exec, exec, s[12:13]
.LBB302_132:                            ;   in Loop: Header=BB302_126 Depth=1
	s_or_b64 exec, exec, s[0:1]
	v_lshrrev_b16_e32 v9, 8, v17
	v_cmp_ne_u16_e32 vcc, 0, v9
	v_mov_b32_e32 v32, 0
	v_mov_b32_e32 v31, 0
	s_and_saveexec_b64 s[0:1], vcc
	s_cbranch_execz .LBB302_138
; %bb.133:                              ;   in Loop: Header=BB302_126 Depth=1
	v_cmp_ne_u16_e32 vcc, s24, v9
	v_bfrev_b32_e32 v31, 1
	s_and_saveexec_b64 s[12:13], vcc
	s_cbranch_execz .LBB302_137
; %bb.134:                              ;   in Loop: Header=BB302_126 Depth=1
	v_and_b32_e32 v19, 0x7f, v9
	v_cmp_ne_u32_e32 vcc, s25, v19
	v_mov_b32_e32 v31, 0x7f800001
	s_and_saveexec_b64 s[14:15], vcc
	s_cbranch_execz .LBB302_136
; %bb.135:                              ;   in Loop: Header=BB302_126 Depth=1
	v_and_b32_e32 v29, 7, v9
	v_ffbh_u32_e32 v33, v29
	v_min_u32_e32 v35, 32, v33
	v_subrev_u32_e32 v33, 28, v35
	v_lshlrev_b64 v[33:34], v33, v[9:10]
	v_lshrrev_b32_e32 v31, 3, v19
	v_sub_u32_e32 v9, 29, v35
	v_and_b32_e32 v33, 7, v33
	v_cmp_gt_u32_e32 vcc, 8, v19
	v_cndmask_b32_e32 v9, v31, v9, vcc
	v_cndmask_b32_e32 v19, v29, v33, vcc
	v_lshlrev_b32_e32 v29, 16, v17
	v_lshlrev_b32_e32 v19, 20, v19
	v_and_b32_e32 v29, 0x80000000, v29
	v_lshl_add_u32 v9, v9, 23, v28
	v_or3_b32 v31, v29, v9, v19
.LBB302_136:                            ;   in Loop: Header=BB302_126 Depth=1
	s_or_b64 exec, exec, s[14:15]
.LBB302_137:                            ;   in Loop: Header=BB302_126 Depth=1
	s_or_b64 exec, exec, s[12:13]
.LBB302_138:                            ;   in Loop: Header=BB302_126 Depth=1
	s_or_b64 exec, exec, s[0:1]
	v_lshrrev_b32_e32 v9, 16, v17
	v_cmp_ne_u16_sdwa s[12:13], v9, v10 src0_sel:BYTE_0 src1_sel:DWORD
	s_and_saveexec_b64 s[0:1], s[12:13]
	s_cbranch_execz .LBB302_144
; %bb.139:                              ;   in Loop: Header=BB302_126 Depth=1
	v_cmp_ne_u16_sdwa s[14:15], v9, s24 src0_sel:BYTE_0 src1_sel:DWORD
	v_bfrev_b32_e32 v32, 1
	s_and_saveexec_b64 s[12:13], s[14:15]
	s_cbranch_execz .LBB302_143
; %bb.140:                              ;   in Loop: Header=BB302_126 Depth=1
	v_bfe_u32 v19, v17, 16, 7
	v_cmp_ne_u32_e32 vcc, s25, v19
	v_mov_b32_e32 v32, 0x7f800001
	s_and_saveexec_b64 s[14:15], vcc
	s_cbranch_execz .LBB302_142
; %bb.141:                              ;   in Loop: Header=BB302_126 Depth=1
	v_and_b32_e32 v29, 7, v9
	v_ffbh_u32_e32 v32, v29
	v_min_u32_e32 v35, 32, v32
	v_subrev_u32_e32 v32, 28, v35
	v_lshlrev_b64 v[32:33], v32, v[9:10]
	v_lshrrev_b32_e32 v34, 3, v19
	v_sub_u32_e32 v33, 29, v35
	v_and_b32_e32 v32, 7, v32
	v_cmp_gt_u32_e32 vcc, 8, v19
	v_cndmask_b32_e32 v19, v34, v33, vcc
	v_cndmask_b32_e32 v29, v29, v32, vcc
	v_lshlrev_b32_e32 v9, 24, v9
	v_lshlrev_b32_e32 v29, 20, v29
	v_and_b32_e32 v9, 0x80000000, v9
	v_lshl_add_u32 v19, v19, 23, v28
	v_or3_b32 v32, v9, v19, v29
.LBB302_142:                            ;   in Loop: Header=BB302_126 Depth=1
	s_or_b64 exec, exec, s[14:15]
.LBB302_143:                            ;   in Loop: Header=BB302_126 Depth=1
	s_or_b64 exec, exec, s[12:13]
.LBB302_144:                            ;   in Loop: Header=BB302_126 Depth=1
	s_or_b64 exec, exec, s[0:1]
	v_cmp_lt_u32_e32 vcc, s5, v17
	v_mov_b32_e32 v33, 0
	v_mov_b32_e32 v29, 0
	s_and_saveexec_b64 s[0:1], vcc
	s_cbranch_execz .LBB302_150
; %bb.145:                              ;   in Loop: Header=BB302_126 Depth=1
	v_lshrrev_b32_e32 v9, 24, v17
	v_cmp_ne_u32_e32 vcc, s24, v9
	v_bfrev_b32_e32 v29, 1
	s_and_saveexec_b64 s[12:13], vcc
	s_cbranch_execz .LBB302_149
; %bb.146:                              ;   in Loop: Header=BB302_126 Depth=1
	v_bfe_u32 v19, v17, 24, 7
	v_cmp_ne_u32_e32 vcc, s25, v19
	v_mov_b32_e32 v29, 0x7f800001
	s_and_saveexec_b64 s[14:15], vcc
	s_cbranch_execz .LBB302_148
; %bb.147:                              ;   in Loop: Header=BB302_126 Depth=1
	v_and_b32_e32 v29, 7, v9
	v_ffbh_u32_e32 v34, v29
	v_min_u32_e32 v37, 32, v34
	v_subrev_u32_e32 v34, 28, v37
	v_lshlrev_b64 v[34:35], v34, v[9:10]
	v_lshrrev_b32_e32 v36, 3, v19
	v_sub_u32_e32 v35, 29, v37
	v_and_b32_e32 v34, 7, v34
	v_cmp_gt_u32_e32 vcc, 8, v19
	v_cndmask_b32_e32 v19, v36, v35, vcc
	v_cndmask_b32_e32 v29, v29, v34, vcc
	v_lshlrev_b32_e32 v9, 24, v9
	v_lshlrev_b32_e32 v29, 20, v29
	v_and_b32_e32 v9, 0x80000000, v9
	v_lshl_add_u32 v19, v19, 23, v28
	v_or3_b32 v29, v9, v19, v29
.LBB302_148:                            ;   in Loop: Header=BB302_126 Depth=1
	s_or_b64 exec, exec, s[14:15]
.LBB302_149:                            ;   in Loop: Header=BB302_126 Depth=1
	s_or_b64 exec, exec, s[12:13]
.LBB302_150:                            ;   in Loop: Header=BB302_126 Depth=1
	s_or_b64 exec, exec, s[0:1]
	v_mov_b32_e32 v9, v18
	v_cmp_ne_u16_sdwa s[12:13], v18, v10 src0_sel:BYTE_0 src1_sel:DWORD
	s_and_saveexec_b64 s[0:1], s[12:13]
	s_cbranch_execz .LBB302_156
; %bb.151:                              ;   in Loop: Header=BB302_126 Depth=1
	v_cmp_ne_u16_sdwa s[14:15], v18, s24 src0_sel:BYTE_0 src1_sel:DWORD
	v_bfrev_b32_e32 v33, 1
	s_and_saveexec_b64 s[12:13], s[14:15]
	s_cbranch_execz .LBB302_155
; %bb.152:                              ;   in Loop: Header=BB302_126 Depth=1
	v_and_b32_e32 v19, 0x7f, v18
	v_cmp_ne_u32_e32 vcc, s25, v19
	v_mov_b32_e32 v33, 0x7f800001
	s_and_saveexec_b64 s[14:15], vcc
	s_cbranch_execz .LBB302_154
; %bb.153:                              ;   in Loop: Header=BB302_126 Depth=1
	v_and_b32_e32 v33, 7, v18
	v_ffbh_u32_e32 v33, v33
	v_min_u32_e32 v33, 32, v33
	v_lshrrev_b32_e32 v34, 3, v19
	v_subrev_u32_e32 v35, 28, v33
	v_sub_u32_e32 v33, 29, v33
	v_cmp_gt_u32_e32 vcc, 8, v19
	v_cndmask_b32_e32 v19, v34, v33, vcc
	v_cndmask_b32_e32 v33, 0, v35, vcc
	v_lshlrev_b64 v[33:34], v33, v[9:10]
	v_lshlrev_b32_e32 v34, 24, v9
	v_lshlrev_b32_e32 v33, 20, v33
	v_and_b32_e32 v33, 0x700000, v33
	v_and_b32_e32 v34, 0x80000000, v34
	v_lshl_add_u32 v19, v19, 23, v28
	v_or3_b32 v33, v34, v19, v33
.LBB302_154:                            ;   in Loop: Header=BB302_126 Depth=1
	s_or_b64 exec, exec, s[14:15]
.LBB302_155:                            ;   in Loop: Header=BB302_126 Depth=1
	s_or_b64 exec, exec, s[12:13]
.LBB302_156:                            ;   in Loop: Header=BB302_126 Depth=1
	s_or_b64 exec, exec, s[0:1]
	v_lshrrev_b16_e32 v19, 8, v9
	v_cmp_ne_u16_e32 vcc, 0, v19
	v_mov_b32_e32 v36, 0
	v_mov_b32_e32 v34, 0
	s_and_saveexec_b64 s[0:1], vcc
	s_cbranch_execz .LBB302_162
; %bb.157:                              ;   in Loop: Header=BB302_126 Depth=1
	v_cmp_ne_u16_e32 vcc, s24, v19
	v_bfrev_b32_e32 v34, 1
	s_and_saveexec_b64 s[12:13], vcc
	s_cbranch_execz .LBB302_161
; %bb.158:                              ;   in Loop: Header=BB302_126 Depth=1
	v_and_b32_e32 v35, 0x7f, v19
	v_cmp_ne_u32_e32 vcc, s25, v35
	v_mov_b32_e32 v34, 0x7f800001
	s_and_saveexec_b64 s[14:15], vcc
	s_cbranch_execz .LBB302_160
; %bb.159:                              ;   in Loop: Header=BB302_126 Depth=1
	v_and_b32_e32 v34, 7, v19
	v_ffbh_u32_e32 v37, v34
	v_min_u32_e32 v40, 32, v37
	v_subrev_u32_e32 v37, 28, v40
	v_lshlrev_b64 v[37:38], v37, v[19:20]
	v_lshrrev_b32_e32 v39, 3, v35
	v_sub_u32_e32 v19, 29, v40
	v_and_b32_e32 v37, 7, v37
	v_cmp_gt_u32_e32 vcc, 8, v35
	v_cndmask_b32_e32 v19, v39, v19, vcc
	v_cndmask_b32_e32 v34, v34, v37, vcc
	v_lshlrev_b32_e32 v9, 16, v9
	v_lshlrev_b32_e32 v34, 20, v34
	v_and_b32_e32 v9, 0x80000000, v9
	v_lshl_add_u32 v19, v19, 23, v28
	v_or3_b32 v34, v9, v19, v34
.LBB302_160:                            ;   in Loop: Header=BB302_126 Depth=1
	s_or_b64 exec, exec, s[14:15]
.LBB302_161:                            ;   in Loop: Header=BB302_126 Depth=1
	s_or_b64 exec, exec, s[12:13]
.LBB302_162:                            ;   in Loop: Header=BB302_126 Depth=1
	s_or_b64 exec, exec, s[0:1]
	v_lshrrev_b32_e32 v9, 16, v18
	v_cmp_ne_u16_sdwa s[12:13], v9, v10 src0_sel:BYTE_0 src1_sel:DWORD
	s_and_saveexec_b64 s[0:1], s[12:13]
	s_cbranch_execz .LBB302_168
; %bb.163:                              ;   in Loop: Header=BB302_126 Depth=1
	v_cmp_ne_u16_sdwa s[14:15], v9, s24 src0_sel:BYTE_0 src1_sel:DWORD
	v_bfrev_b32_e32 v36, 1
	s_and_saveexec_b64 s[12:13], s[14:15]
	s_cbranch_execz .LBB302_167
; %bb.164:                              ;   in Loop: Header=BB302_126 Depth=1
	v_bfe_u32 v19, v18, 16, 7
	v_cmp_ne_u32_e32 vcc, s25, v19
	v_mov_b32_e32 v36, 0x7f800001
	s_and_saveexec_b64 s[14:15], vcc
	s_cbranch_execz .LBB302_166
; %bb.165:                              ;   in Loop: Header=BB302_126 Depth=1
	v_and_b32_e32 v37, 7, v9
	v_ffbh_u32_e32 v35, v37
	v_min_u32_e32 v39, 32, v35
	v_subrev_u32_e32 v35, 28, v39
	v_lshlrev_b64 v[35:36], v35, v[9:10]
	v_lshrrev_b32_e32 v38, 3, v19
	v_sub_u32_e32 v36, 29, v39
	v_and_b32_e32 v35, 7, v35
	v_cmp_gt_u32_e32 vcc, 8, v19
	v_cndmask_b32_e32 v19, v38, v36, vcc
	v_cndmask_b32_e32 v35, v37, v35, vcc
	v_lshlrev_b32_e32 v9, 24, v9
	v_lshlrev_b32_e32 v35, 20, v35
	v_and_b32_e32 v9, 0x80000000, v9
	v_lshl_add_u32 v19, v19, 23, v28
	v_or3_b32 v36, v9, v19, v35
.LBB302_166:                            ;   in Loop: Header=BB302_126 Depth=1
	s_or_b64 exec, exec, s[14:15]
.LBB302_167:                            ;   in Loop: Header=BB302_126 Depth=1
	s_or_b64 exec, exec, s[12:13]
.LBB302_168:                            ;   in Loop: Header=BB302_126 Depth=1
	s_or_b64 exec, exec, s[0:1]
	v_cmp_lt_u64_e32 vcc, s[4:5], v[17:18]
	v_mov_b32_e32 v17, 0
	s_and_saveexec_b64 s[0:1], vcc
	s_cbranch_execz .LBB302_174
; %bb.169:                              ;   in Loop: Header=BB302_126 Depth=1
	v_lshrrev_b32_e32 v9, 24, v18
	v_cmp_ne_u32_e32 vcc, s24, v9
	v_bfrev_b32_e32 v17, 1
	s_and_saveexec_b64 s[12:13], vcc
	s_cbranch_execz .LBB302_173
; %bb.170:                              ;   in Loop: Header=BB302_126 Depth=1
	v_bfe_u32 v18, v18, 24, 7
	v_cmp_ne_u32_e32 vcc, s25, v18
	v_mov_b32_e32 v17, 0x7f800001
	s_and_saveexec_b64 s[14:15], vcc
	s_cbranch_execz .LBB302_172
; %bb.171:                              ;   in Loop: Header=BB302_126 Depth=1
	v_and_b32_e32 v17, 7, v9
	v_ffbh_u32_e32 v35, v17
	v_min_u32_e32 v35, 32, v35
	v_subrev_u32_e32 v37, 28, v35
	v_lshlrev_b64 v[37:38], v37, v[9:10]
	v_lshrrev_b32_e32 v19, 3, v18
	v_sub_u32_e32 v35, 29, v35
	v_and_b32_e32 v37, 7, v37
	v_cmp_gt_u32_e32 vcc, 8, v18
	v_cndmask_b32_e32 v18, v19, v35, vcc
	v_cndmask_b32_e32 v17, v17, v37, vcc
	v_lshlrev_b32_e32 v9, 24, v9
	v_lshlrev_b32_e32 v17, 20, v17
	v_and_b32_e32 v9, 0x80000000, v9
	v_lshl_add_u32 v18, v18, 23, v28
	v_or3_b32 v17, v9, v18, v17
.LBB302_172:                            ;   in Loop: Header=BB302_126 Depth=1
	s_or_b64 exec, exec, s[14:15]
.LBB302_173:                            ;   in Loop: Header=BB302_126 Depth=1
	s_or_b64 exec, exec, s[12:13]
.LBB302_174:                            ;   in Loop: Header=BB302_126 Depth=1
	s_or_b64 exec, exec, s[0:1]
	s_waitcnt lgkmcnt(0)
	v_mul_f32_e32 v9, s18, v34
	v_bfe_u32 v18, v9, 16, 1
	v_add3_u32 v18, v18, v9, s26
	v_or_b32_e32 v19, 0x400000, v9
	v_cmp_u_f32_e64 s[0:1], v9, v9
	v_cndmask_b32_e64 v9, v18, v19, s[0:1]
	v_lshrrev_b32_e32 v18, 16, v9
	v_mul_f32_e32 v9, s18, v33
	v_bfe_u32 v19, v9, 16, 1
	v_add3_u32 v19, v19, v9, s26
	v_or_b32_e32 v33, 0x400000, v9
	v_cmp_u_f32_e64 s[0:1], v9, v9
	v_cndmask_b32_e64 v9, v19, v33, s[0:1]
	v_lshrrev_b32_e32 v19, 16, v9
	;; [unrolled: 7-line block ×7, first 2 shown]
	v_mul_f32_e32 v9, s18, v17
	v_bfe_u32 v17, v9, 16, 1
	v_add3_u32 v17, v17, v9, s26
	v_or_b32_e32 v30, 0x400000, v9
	v_cmp_u_f32_e64 s[0:1], v9, v9
	v_cndmask_b32_e64 v9, v17, v30, s[0:1]
	v_add_u32_e32 v35, -7, v24
	v_cmp_eq_u32_e32 vcc, s19, v20
	v_lshrrev_b32_e32 v30, 16, v9
	v_add_u32_e32 v41, -6, v24
	v_add_u32_e32 v40, -5, v24
	;; [unrolled: 1-line block ×6, first 2 shown]
	s_and_saveexec_b64 s[12:13], vcc
	s_cbranch_execz .LBB302_176
; %bb.175:                              ;   in Loop: Header=BB302_126 Depth=1
	v_cmp_gt_i32_e64 s[0:1], s30, v35
	v_cndmask_b32_e64 v34, 0, v34, s[0:1]
	v_cmp_gt_i32_e64 s[0:1], s30, v41
	v_cndmask_b32_e64 v33, 0, v33, s[0:1]
	;; [unrolled: 2-line block ×8, first 2 shown]
.LBB302_176:                            ;   in Loop: Header=BB302_126 Depth=1
	s_or_b64 exec, exec, s[12:13]
	global_load_dwordx2 v[15:16], v[15:16], off offset:512
	v_mov_b32_e32 v43, 0
	v_mov_b32_e32 v42, 0
	s_waitcnt vmcnt(0)
	v_cmp_ne_u16_sdwa s[0:1], v15, v10 src0_sel:BYTE_0 src1_sel:DWORD
	s_and_saveexec_b64 s[12:13], s[0:1]
	s_cbranch_execz .LBB302_182
; %bb.177:                              ;   in Loop: Header=BB302_126 Depth=1
	v_cmp_ne_u16_sdwa s[0:1], v15, s24 src0_sel:BYTE_0 src1_sel:DWORD
	v_bfrev_b32_e32 v42, 1
	s_and_saveexec_b64 s[14:15], s[0:1]
	s_cbranch_execz .LBB302_181
; %bb.178:                              ;   in Loop: Header=BB302_126 Depth=1
	v_and_b32_e32 v9, 0x7f, v15
	v_cmp_ne_u32_e64 s[0:1], s25, v9
	v_mov_b32_e32 v42, 0x7f800001
	s_and_saveexec_b64 s[16:17], s[0:1]
	s_cbranch_execz .LBB302_180
; %bb.179:                              ;   in Loop: Header=BB302_126 Depth=1
	v_and_b32_e32 v17, 7, v15
	v_ffbh_u32_e32 v17, v17
	v_min_u32_e32 v17, 32, v17
	v_lshrrev_b32_e32 v42, 3, v9
	v_subrev_u32_e32 v44, 28, v17
	v_sub_u32_e32 v17, 29, v17
	v_cmp_gt_u32_e64 s[0:1], 8, v9
	v_cndmask_b32_e64 v9, v42, v17, s[0:1]
	v_cndmask_b32_e64 v17, 0, v44, s[0:1]
	v_lshlrev_b64 v[44:45], v17, v[15:16]
	v_lshlrev_b32_e32 v42, 24, v15
	v_lshlrev_b32_e32 v17, 20, v44
	v_and_b32_e32 v17, 0x700000, v17
	v_and_b32_e32 v42, 0x80000000, v42
	v_lshl_add_u32 v9, v9, 23, v28
	v_or3_b32 v42, v42, v9, v17
.LBB302_180:                            ;   in Loop: Header=BB302_126 Depth=1
	s_or_b64 exec, exec, s[16:17]
.LBB302_181:                            ;   in Loop: Header=BB302_126 Depth=1
	s_or_b64 exec, exec, s[14:15]
.LBB302_182:                            ;   in Loop: Header=BB302_126 Depth=1
	s_or_b64 exec, exec, s[12:13]
	v_lshrrev_b16_e32 v9, 8, v15
	v_cmp_ne_u16_e64 s[0:1], 0, v9
	s_and_saveexec_b64 s[12:13], s[0:1]
	s_cbranch_execz .LBB302_188
; %bb.183:                              ;   in Loop: Header=BB302_126 Depth=1
	v_cmp_ne_u16_e64 s[0:1], s24, v9
	v_bfrev_b32_e32 v43, 1
	s_and_saveexec_b64 s[14:15], s[0:1]
	s_cbranch_execz .LBB302_187
; %bb.184:                              ;   in Loop: Header=BB302_126 Depth=1
	v_and_b32_e32 v17, 0x7f, v9
	v_cmp_ne_u32_e64 s[0:1], s25, v17
	v_mov_b32_e32 v43, 0x7f800001
	s_and_saveexec_b64 s[16:17], s[0:1]
	s_cbranch_execz .LBB302_186
; %bb.185:                              ;   in Loop: Header=BB302_126 Depth=1
	v_and_b32_e32 v45, 7, v9
	v_ffbh_u32_e32 v43, v45
	v_min_u32_e32 v47, 32, v43
	v_subrev_u32_e32 v43, 28, v47
	v_lshlrev_b64 v[43:44], v43, v[9:10]
	v_lshrrev_b32_e32 v46, 3, v17
	v_sub_u32_e32 v9, 29, v47
	v_and_b32_e32 v43, 7, v43
	v_cmp_gt_u32_e64 s[0:1], 8, v17
	v_cndmask_b32_e64 v9, v46, v9, s[0:1]
	v_cndmask_b32_e64 v17, v45, v43, s[0:1]
	v_lshlrev_b32_e32 v43, 16, v15
	v_lshlrev_b32_e32 v17, 20, v17
	v_and_b32_e32 v43, 0x80000000, v43
	v_lshl_add_u32 v9, v9, 23, v28
	v_or3_b32 v43, v43, v9, v17
.LBB302_186:                            ;   in Loop: Header=BB302_126 Depth=1
	s_or_b64 exec, exec, s[16:17]
.LBB302_187:                            ;   in Loop: Header=BB302_126 Depth=1
	s_or_b64 exec, exec, s[14:15]
.LBB302_188:                            ;   in Loop: Header=BB302_126 Depth=1
	s_or_b64 exec, exec, s[12:13]
	v_lshrrev_b32_e32 v9, 16, v15
	v_cmp_ne_u16_sdwa s[0:1], v9, v10 src0_sel:BYTE_0 src1_sel:DWORD
	v_mov_b32_e32 v45, 0
	v_mov_b32_e32 v44, 0
	s_and_saveexec_b64 s[12:13], s[0:1]
	s_cbranch_execz .LBB302_194
; %bb.189:                              ;   in Loop: Header=BB302_126 Depth=1
	v_cmp_ne_u16_sdwa s[0:1], v9, s24 src0_sel:BYTE_0 src1_sel:DWORD
	v_bfrev_b32_e32 v44, 1
	s_and_saveexec_b64 s[14:15], s[0:1]
	s_cbranch_execz .LBB302_193
; %bb.190:                              ;   in Loop: Header=BB302_126 Depth=1
	v_bfe_u32 v17, v15, 16, 7
	v_cmp_ne_u32_e64 s[0:1], s25, v17
	v_mov_b32_e32 v44, 0x7f800001
	s_and_saveexec_b64 s[16:17], s[0:1]
	s_cbranch_execz .LBB302_192
; %bb.191:                              ;   in Loop: Header=BB302_126 Depth=1
	v_and_b32_e32 v44, 7, v9
	v_ffbh_u32_e32 v46, v44
	v_min_u32_e32 v49, 32, v46
	v_subrev_u32_e32 v46, 28, v49
	v_lshlrev_b64 v[46:47], v46, v[9:10]
	v_lshrrev_b32_e32 v48, 3, v17
	v_sub_u32_e32 v47, 29, v49
	v_and_b32_e32 v46, 7, v46
	v_cmp_gt_u32_e64 s[0:1], 8, v17
	v_cndmask_b32_e64 v17, v48, v47, s[0:1]
	v_cndmask_b32_e64 v44, v44, v46, s[0:1]
	v_lshlrev_b32_e32 v9, 24, v9
	v_lshlrev_b32_e32 v44, 20, v44
	v_and_b32_e32 v9, 0x80000000, v9
	v_lshl_add_u32 v17, v17, 23, v28
	v_or3_b32 v44, v9, v17, v44
.LBB302_192:                            ;   in Loop: Header=BB302_126 Depth=1
	s_or_b64 exec, exec, s[16:17]
.LBB302_193:                            ;   in Loop: Header=BB302_126 Depth=1
	s_or_b64 exec, exec, s[14:15]
.LBB302_194:                            ;   in Loop: Header=BB302_126 Depth=1
	s_or_b64 exec, exec, s[12:13]
	v_cmp_lt_u32_e64 s[0:1], s5, v15
	s_and_saveexec_b64 s[12:13], s[0:1]
	s_cbranch_execz .LBB302_200
; %bb.195:                              ;   in Loop: Header=BB302_126 Depth=1
	v_lshrrev_b32_e32 v9, 24, v15
	v_cmp_ne_u32_e64 s[0:1], s24, v9
	v_bfrev_b32_e32 v45, 1
	s_and_saveexec_b64 s[14:15], s[0:1]
	s_cbranch_execz .LBB302_199
; %bb.196:                              ;   in Loop: Header=BB302_126 Depth=1
	v_bfe_u32 v17, v15, 24, 7
	v_cmp_ne_u32_e64 s[0:1], s25, v17
	v_mov_b32_e32 v45, 0x7f800001
	s_and_saveexec_b64 s[16:17], s[0:1]
	s_cbranch_execz .LBB302_198
; %bb.197:                              ;   in Loop: Header=BB302_126 Depth=1
	v_and_b32_e32 v47, 7, v9
	v_ffbh_u32_e32 v45, v47
	v_min_u32_e32 v49, 32, v45
	v_subrev_u32_e32 v45, 28, v49
	v_lshlrev_b64 v[45:46], v45, v[9:10]
	v_lshrrev_b32_e32 v48, 3, v17
	v_sub_u32_e32 v46, 29, v49
	v_and_b32_e32 v45, 7, v45
	v_cmp_gt_u32_e64 s[0:1], 8, v17
	v_cndmask_b32_e64 v17, v48, v46, s[0:1]
	v_cndmask_b32_e64 v45, v47, v45, s[0:1]
	v_lshlrev_b32_e32 v9, 24, v9
	v_lshlrev_b32_e32 v45, 20, v45
	v_and_b32_e32 v9, 0x80000000, v9
	v_lshl_add_u32 v17, v17, 23, v28
	v_or3_b32 v45, v9, v17, v45
.LBB302_198:                            ;   in Loop: Header=BB302_126 Depth=1
	s_or_b64 exec, exec, s[16:17]
.LBB302_199:                            ;   in Loop: Header=BB302_126 Depth=1
	s_or_b64 exec, exec, s[14:15]
.LBB302_200:                            ;   in Loop: Header=BB302_126 Depth=1
	s_or_b64 exec, exec, s[12:13]
	v_mov_b32_e32 v9, v16
	v_cmp_ne_u16_sdwa s[0:1], v16, v10 src0_sel:BYTE_0 src1_sel:DWORD
	v_mov_b32_e32 v47, 0
	v_mov_b32_e32 v46, 0
	s_and_saveexec_b64 s[12:13], s[0:1]
	s_cbranch_execz .LBB302_206
; %bb.201:                              ;   in Loop: Header=BB302_126 Depth=1
	v_cmp_ne_u16_sdwa s[0:1], v16, s24 src0_sel:BYTE_0 src1_sel:DWORD
	v_bfrev_b32_e32 v46, 1
	s_and_saveexec_b64 s[14:15], s[0:1]
	s_cbranch_execz .LBB302_205
; %bb.202:                              ;   in Loop: Header=BB302_126 Depth=1
	v_and_b32_e32 v17, 0x7f, v16
	v_cmp_ne_u32_e64 s[0:1], s25, v17
	v_mov_b32_e32 v46, 0x7f800001
	s_and_saveexec_b64 s[16:17], s[0:1]
	s_cbranch_execz .LBB302_204
; %bb.203:                              ;   in Loop: Header=BB302_126 Depth=1
	v_and_b32_e32 v46, 7, v16
	v_ffbh_u32_e32 v46, v46
	v_min_u32_e32 v46, 32, v46
	v_lshrrev_b32_e32 v48, 3, v17
	v_subrev_u32_e32 v49, 28, v46
	v_sub_u32_e32 v46, 29, v46
	v_cmp_gt_u32_e64 s[0:1], 8, v17
	v_cndmask_b32_e64 v17, v48, v46, s[0:1]
	v_cndmask_b32_e64 v46, 0, v49, s[0:1]
	v_lshlrev_b64 v[48:49], v46, v[9:10]
	v_lshl_add_u32 v17, v17, 23, v28
	v_lshlrev_b32_e32 v46, 20, v48
	v_lshlrev_b32_e32 v48, 24, v9
	v_and_b32_e32 v46, 0x700000, v46
	v_and_b32_e32 v48, 0x80000000, v48
	v_or3_b32 v46, v48, v17, v46
.LBB302_204:                            ;   in Loop: Header=BB302_126 Depth=1
	s_or_b64 exec, exec, s[16:17]
.LBB302_205:                            ;   in Loop: Header=BB302_126 Depth=1
	s_or_b64 exec, exec, s[14:15]
.LBB302_206:                            ;   in Loop: Header=BB302_126 Depth=1
	s_or_b64 exec, exec, s[12:13]
	v_lshrrev_b16_e32 v17, 8, v9
	v_cmp_ne_u16_e64 s[0:1], 0, v17
	s_and_saveexec_b64 s[12:13], s[0:1]
	s_cbranch_execz .LBB302_212
; %bb.207:                              ;   in Loop: Header=BB302_126 Depth=1
	v_cmp_ne_u16_e64 s[0:1], s24, v17
	v_bfrev_b32_e32 v47, 1
	s_and_saveexec_b64 s[14:15], s[0:1]
	s_cbranch_execz .LBB302_211
; %bb.208:                              ;   in Loop: Header=BB302_126 Depth=1
	v_and_b32_e32 v48, 0x7f, v17
	v_cmp_ne_u32_e64 s[0:1], s25, v48
	v_mov_b32_e32 v47, 0x7f800001
	s_and_saveexec_b64 s[16:17], s[0:1]
	s_cbranch_execz .LBB302_210
; %bb.209:                              ;   in Loop: Header=BB302_126 Depth=1
	v_and_b32_e32 v47, 7, v17
	v_ffbh_u32_e32 v49, v47
	v_min_u32_e32 v52, 32, v49
	v_subrev_u32_e32 v49, 28, v52
	v_lshlrev_b64 v[49:50], v49, v[17:18]
	v_lshrrev_b32_e32 v51, 3, v48
	v_sub_u32_e32 v17, 29, v52
	v_and_b32_e32 v49, 7, v49
	v_cmp_gt_u32_e64 s[0:1], 8, v48
	v_cndmask_b32_e64 v17, v51, v17, s[0:1]
	v_cndmask_b32_e64 v47, v47, v49, s[0:1]
	v_lshlrev_b32_e32 v9, 16, v9
	v_lshlrev_b32_e32 v47, 20, v47
	v_and_b32_e32 v9, 0x80000000, v9
	v_lshl_add_u32 v17, v17, 23, v28
	v_or3_b32 v47, v9, v17, v47
.LBB302_210:                            ;   in Loop: Header=BB302_126 Depth=1
	s_or_b64 exec, exec, s[16:17]
.LBB302_211:                            ;   in Loop: Header=BB302_126 Depth=1
	s_or_b64 exec, exec, s[14:15]
.LBB302_212:                            ;   in Loop: Header=BB302_126 Depth=1
	s_or_b64 exec, exec, s[12:13]
	v_lshrrev_b32_e32 v9, 16, v16
	v_cmp_ne_u16_sdwa s[0:1], v9, v10 src0_sel:BYTE_0 src1_sel:DWORD
	v_mov_b32_e32 v48, 0
	v_mov_b32_e32 v17, 0
	s_and_saveexec_b64 s[12:13], s[0:1]
	s_cbranch_execz .LBB302_218
; %bb.213:                              ;   in Loop: Header=BB302_126 Depth=1
	v_cmp_ne_u16_sdwa s[0:1], v9, s24 src0_sel:BYTE_0 src1_sel:DWORD
	v_bfrev_b32_e32 v17, 1
	s_and_saveexec_b64 s[14:15], s[0:1]
	s_cbranch_execz .LBB302_217
; %bb.214:                              ;   in Loop: Header=BB302_126 Depth=1
	v_bfe_u32 v49, v16, 16, 7
	v_cmp_ne_u32_e64 s[0:1], s25, v49
	v_mov_b32_e32 v17, 0x7f800001
	s_and_saveexec_b64 s[16:17], s[0:1]
	s_cbranch_execz .LBB302_216
; %bb.215:                              ;   in Loop: Header=BB302_126 Depth=1
	v_and_b32_e32 v17, 7, v9
	v_ffbh_u32_e32 v50, v17
	v_min_u32_e32 v53, 32, v50
	v_subrev_u32_e32 v50, 28, v53
	v_lshlrev_b64 v[50:51], v50, v[9:10]
	v_lshrrev_b32_e32 v52, 3, v49
	v_sub_u32_e32 v51, 29, v53
	v_and_b32_e32 v50, 7, v50
	v_cmp_gt_u32_e64 s[0:1], 8, v49
	v_cndmask_b32_e64 v49, v52, v51, s[0:1]
	v_cndmask_b32_e64 v17, v17, v50, s[0:1]
	v_lshlrev_b32_e32 v9, 24, v9
	v_lshlrev_b32_e32 v17, 20, v17
	v_and_b32_e32 v9, 0x80000000, v9
	v_lshl_add_u32 v49, v49, 23, v28
	v_or3_b32 v17, v9, v49, v17
.LBB302_216:                            ;   in Loop: Header=BB302_126 Depth=1
	s_or_b64 exec, exec, s[16:17]
.LBB302_217:                            ;   in Loop: Header=BB302_126 Depth=1
	s_or_b64 exec, exec, s[14:15]
.LBB302_218:                            ;   in Loop: Header=BB302_126 Depth=1
	s_or_b64 exec, exec, s[12:13]
	v_cmp_lt_u64_e64 s[0:1], s[4:5], v[15:16]
	s_and_saveexec_b64 s[12:13], s[0:1]
	s_cbranch_execz .LBB302_224
; %bb.219:                              ;   in Loop: Header=BB302_126 Depth=1
	v_lshrrev_b32_e32 v9, 24, v16
	v_cmp_ne_u32_e64 s[0:1], s24, v9
	v_bfrev_b32_e32 v48, 1
	s_and_saveexec_b64 s[14:15], s[0:1]
	s_cbranch_execz .LBB302_223
; %bb.220:                              ;   in Loop: Header=BB302_126 Depth=1
	v_bfe_u32 v15, v16, 24, 7
	v_cmp_ne_u32_e64 s[0:1], s25, v15
	v_mov_b32_e32 v48, 0x7f800001
	s_and_saveexec_b64 s[16:17], s[0:1]
	s_cbranch_execz .LBB302_222
; %bb.221:                              ;   in Loop: Header=BB302_126 Depth=1
	v_and_b32_e32 v16, 7, v9
	v_ffbh_u32_e32 v48, v16
	v_min_u32_e32 v51, 32, v48
	v_subrev_u32_e32 v48, 28, v51
	v_lshlrev_b64 v[48:49], v48, v[9:10]
	v_lshrrev_b32_e32 v50, 3, v15
	v_sub_u32_e32 v49, 29, v51
	v_and_b32_e32 v48, 7, v48
	v_cmp_gt_u32_e64 s[0:1], 8, v15
	v_cndmask_b32_e64 v15, v50, v49, s[0:1]
	v_cndmask_b32_e64 v16, v16, v48, s[0:1]
	v_lshlrev_b32_e32 v9, 24, v9
	v_lshlrev_b32_e32 v16, 20, v16
	v_and_b32_e32 v9, 0x80000000, v9
	v_lshl_add_u32 v15, v15, 23, v28
	v_or3_b32 v48, v9, v15, v16
.LBB302_222:                            ;   in Loop: Header=BB302_126 Depth=1
	s_or_b64 exec, exec, s[16:17]
.LBB302_223:                            ;   in Loop: Header=BB302_126 Depth=1
	s_or_b64 exec, exec, s[14:15]
.LBB302_224:                            ;   in Loop: Header=BB302_126 Depth=1
	s_or_b64 exec, exec, s[12:13]
	v_mul_f32_e32 v9, s18, v47
	v_bfe_u32 v15, v9, 16, 1
	v_add3_u32 v15, v15, v9, s26
	v_or_b32_e32 v16, 0x400000, v9
	v_cmp_u_f32_e64 s[0:1], v9, v9
	v_cndmask_b32_e64 v9, v15, v16, s[0:1]
	v_mul_f32_e32 v15, s18, v46
	v_bfe_u32 v16, v15, 16, 1
	v_add3_u32 v16, v16, v15, s26
	v_or_b32_e32 v46, 0x400000, v15
	v_cmp_u_f32_e64 s[0:1], v15, v15
	v_cndmask_b32_e64 v15, v16, v46, s[0:1]
	v_mul_f32_e32 v16, s18, v45
	v_bfe_u32 v45, v16, 16, 1
	v_add3_u32 v45, v45, v16, s26
	v_or_b32_e32 v46, 0x400000, v16
	v_cmp_u_f32_e64 s[0:1], v16, v16
	v_mul_f32_e32 v44, s18, v44
	v_cndmask_b32_e64 v16, v45, v46, s[0:1]
	v_bfe_u32 v45, v44, 16, 1
	v_add3_u32 v45, v45, v44, s26
	v_or_b32_e32 v46, 0x400000, v44
	v_cmp_u_f32_e64 s[0:1], v44, v44
	v_mul_f32_e32 v43, s18, v43
	v_cndmask_b32_e64 v44, v45, v46, s[0:1]
	;; [unrolled: 6-line block ×3, first 2 shown]
	v_bfe_u32 v45, v42, 16, 1
	v_add3_u32 v45, v45, v42, s26
	v_or_b32_e32 v46, 0x400000, v42
	v_cmp_u_f32_e64 s[0:1], v42, v42
	v_cndmask_b32_e64 v42, v45, v46, s[0:1]
	v_mul_f32_e32 v17, s18, v17
	v_lshrrev_b32_e32 v45, 16, v42
	v_bfe_u32 v42, v17, 16, 1
	v_add3_u32 v42, v42, v17, s26
	v_or_b32_e32 v46, 0x400000, v17
	v_cmp_u_f32_e64 s[0:1], v17, v17
	v_cndmask_b32_e64 v17, v42, v46, s[0:1]
	v_mul_f32_e32 v42, s18, v48
	v_bfe_u32 v46, v42, 16, 1
	v_add3_u32 v46, v46, v42, s26
	v_or_b32_e32 v47, 0x400000, v42
	v_cmp_u_f32_e64 s[0:1], v42, v42
	v_cndmask_b32_e64 v42, v46, v47, s[0:1]
	v_lshrrev_b32_e32 v9, 16, v9
	v_lshrrev_b32_e32 v15, 16, v15
	;; [unrolled: 1-line block ×7, first 2 shown]
	s_and_saveexec_b64 s[0:1], vcc
	s_cbranch_execz .LBB302_125
; %bb.225:                              ;   in Loop: Header=BB302_126 Depth=1
	v_cmp_gt_i32_e32 vcc, s30, v35
	v_cndmask_b32_e32 v45, 0, v45, vcc
	v_cmp_gt_i32_e32 vcc, s30, v41
	v_cndmask_b32_e32 v43, 0, v43, vcc
	;; [unrolled: 2-line block ×8, first 2 shown]
	s_branch .LBB302_125
.LBB302_226:
	s_or_b64 exec, exec, s[6:7]
.LBB302_227:
	s_or_b64 exec, exec, s[2:3]
	ds_bpermute_b32 v1, v22, v27
	ds_bpermute_b32 v3, v22, v25
	s_waitcnt lgkmcnt(0)
	s_barrier
	v_add_f32_e32 v2, v27, v1
	v_add_f32_e32 v1, v25, v3
	v_and_b32_e32 v3, 0x3c1, v0
	v_cmp_eq_u32_e32 vcc, 64, v3
	s_and_saveexec_b64 s[0:1], vcc
; %bb.228:
	v_mov_b32_e32 v4, 0x90
	v_lshl_add_u32 v4, v21, 1, v4
	ds_write2_b32 v4, v2, v1 offset1:32
; %bb.229:
	s_or_b64 exec, exec, s[0:1]
	v_cmp_gt_u32_e32 vcc, 64, v0
	v_lshrrev_b32_e32 v0, 1, v0
	s_waitcnt lgkmcnt(0)
	s_barrier
	s_and_saveexec_b64 s[0:1], vcc
	s_cbranch_execz .LBB302_235
; %bb.230:
	v_mov_b32_e32 v4, 0x90
	v_cmp_eq_u32_e32 vcc, 0, v23
	v_lshl_add_u32 v4, v0, 2, v4
	s_and_saveexec_b64 s[2:3], vcc
	s_cbranch_execz .LBB302_232
; %bb.231:
	ds_read_b32 v5, v4
	s_waitcnt lgkmcnt(0)
	v_add_f32_e32 v2, v2, v5
.LBB302_232:
	s_or_b64 exec, exec, s[2:3]
	s_and_saveexec_b64 s[2:3], vcc
	s_cbranch_execz .LBB302_234
; %bb.233:
	ds_read_b32 v4, v4 offset:128
	s_waitcnt lgkmcnt(0)
	v_add_f32_e32 v1, v1, v4
.LBB302_234:
	s_or_b64 exec, exec, s[2:3]
.LBB302_235:
	s_or_b64 exec, exec, s[0:1]
	v_cmp_eq_u32_e32 vcc, 0, v3
	s_barrier
	s_and_saveexec_b64 s[0:1], vcc
	s_cbranch_execz .LBB302_237
; %bb.236:
	s_mul_i32 s0, s10, s11
	s_mul_i32 s0, s0, s9
	s_lshl_b32 s0, s0, 6
	s_ashr_i32 s1, s0, 31
	s_lshl_b64 s[0:1], s[0:1], 1
	s_add_u32 s2, s22, s0
	s_mul_i32 s0, s11, s20
	s_addc_u32 s3, s23, s1
	s_ashr_i32 s1, s0, 31
	s_lshl_b64 s[0:1], s[0:1], 1
	s_add_u32 s2, s2, s0
	s_addc_u32 s3, s3, s1
	s_lshl_b32 s0, s8, 6
	s_ashr_i32 s1, s0, 31
	s_lshl_b64 s[0:1], s[0:1], 1
	s_add_u32 s0, s2, s0
	v_bfe_u32 v3, v2, 16, 1
	s_movk_i32 s2, 0x7fff
	v_add3_u32 v3, v3, v2, s2
	v_or_b32_e32 v4, 0x400000, v2
	v_cmp_u_f32_e32 vcc, v2, v2
	s_addc_u32 s1, s3, s1
	v_cndmask_b32_e32 v2, v3, v4, vcc
	v_lshlrev_b32_e32 v0, 1, v0
	global_store_short_d16_hi v0, v2, s[0:1]
	v_bfe_u32 v2, v1, 16, 1
	v_add3_u32 v2, v2, v1, s2
	v_or_b32_e32 v3, 0x400000, v1
	v_cmp_u_f32_e32 vcc, v1, v1
	v_cndmask_b32_e32 v1, v2, v3, vcc
	global_store_short_d16_hi v0, v1, s[0:1] offset:64
.LBB302_237:
	s_endpgm
	.section	.rodata,"a",@progbits
	.p2align	6, 0x0
	.amdhsa_kernel _ZN4vllm25paged_attention_v1_kernelI14__hip_bfloat16hLi64ELi16ELi128ELNS_18Fp8KVCacheDataTypeE1ELb0EEEvPT_PKS3_PKT0_S9_ifPKiSB_iPKfiiiSD_SD_iiiii
		.amdhsa_group_segment_fixed_size 144
		.amdhsa_private_segment_fixed_size 0
		.amdhsa_kernarg_size 384
		.amdhsa_user_sgpr_count 6
		.amdhsa_user_sgpr_private_segment_buffer 1
		.amdhsa_user_sgpr_dispatch_ptr 0
		.amdhsa_user_sgpr_queue_ptr 0
		.amdhsa_user_sgpr_kernarg_segment_ptr 1
		.amdhsa_user_sgpr_dispatch_id 0
		.amdhsa_user_sgpr_flat_scratch_init 0
		.amdhsa_user_sgpr_private_segment_size 0
		.amdhsa_uses_dynamic_stack 0
		.amdhsa_system_sgpr_private_segment_wavefront_offset 0
		.amdhsa_system_sgpr_workgroup_id_x 1
		.amdhsa_system_sgpr_workgroup_id_y 1
		.amdhsa_system_sgpr_workgroup_id_z 1
		.amdhsa_system_sgpr_workgroup_info 0
		.amdhsa_system_vgpr_workitem_id 0
		.amdhsa_next_free_vgpr 58
		.amdhsa_next_free_sgpr 44
		.amdhsa_reserve_vcc 1
		.amdhsa_reserve_flat_scratch 0
		.amdhsa_float_round_mode_32 0
		.amdhsa_float_round_mode_16_64 0
		.amdhsa_float_denorm_mode_32 3
		.amdhsa_float_denorm_mode_16_64 3
		.amdhsa_dx10_clamp 1
		.amdhsa_ieee_mode 1
		.amdhsa_fp16_overflow 0
		.amdhsa_exception_fp_ieee_invalid_op 0
		.amdhsa_exception_fp_denorm_src 0
		.amdhsa_exception_fp_ieee_div_zero 0
		.amdhsa_exception_fp_ieee_overflow 0
		.amdhsa_exception_fp_ieee_underflow 0
		.amdhsa_exception_fp_ieee_inexact 0
		.amdhsa_exception_int_div_zero 0
	.end_amdhsa_kernel
	.section	.text._ZN4vllm25paged_attention_v1_kernelI14__hip_bfloat16hLi64ELi16ELi128ELNS_18Fp8KVCacheDataTypeE1ELb0EEEvPT_PKS3_PKT0_S9_ifPKiSB_iPKfiiiSD_SD_iiiii,"axG",@progbits,_ZN4vllm25paged_attention_v1_kernelI14__hip_bfloat16hLi64ELi16ELi128ELNS_18Fp8KVCacheDataTypeE1ELb0EEEvPT_PKS3_PKT0_S9_ifPKiSB_iPKfiiiSD_SD_iiiii,comdat
.Lfunc_end302:
	.size	_ZN4vllm25paged_attention_v1_kernelI14__hip_bfloat16hLi64ELi16ELi128ELNS_18Fp8KVCacheDataTypeE1ELb0EEEvPT_PKS3_PKT0_S9_ifPKiSB_iPKfiiiSD_SD_iiiii, .Lfunc_end302-_ZN4vllm25paged_attention_v1_kernelI14__hip_bfloat16hLi64ELi16ELi128ELNS_18Fp8KVCacheDataTypeE1ELb0EEEvPT_PKS3_PKT0_S9_ifPKiSB_iPKfiiiSD_SD_iiiii
                                        ; -- End function
	.set _ZN4vllm25paged_attention_v1_kernelI14__hip_bfloat16hLi64ELi16ELi128ELNS_18Fp8KVCacheDataTypeE1ELb0EEEvPT_PKS3_PKT0_S9_ifPKiSB_iPKfiiiSD_SD_iiiii.num_vgpr, 58
	.set _ZN4vllm25paged_attention_v1_kernelI14__hip_bfloat16hLi64ELi16ELi128ELNS_18Fp8KVCacheDataTypeE1ELb0EEEvPT_PKS3_PKT0_S9_ifPKiSB_iPKfiiiSD_SD_iiiii.num_agpr, 0
	.set _ZN4vllm25paged_attention_v1_kernelI14__hip_bfloat16hLi64ELi16ELi128ELNS_18Fp8KVCacheDataTypeE1ELb0EEEvPT_PKS3_PKT0_S9_ifPKiSB_iPKfiiiSD_SD_iiiii.numbered_sgpr, 44
	.set _ZN4vllm25paged_attention_v1_kernelI14__hip_bfloat16hLi64ELi16ELi128ELNS_18Fp8KVCacheDataTypeE1ELb0EEEvPT_PKS3_PKT0_S9_ifPKiSB_iPKfiiiSD_SD_iiiii.num_named_barrier, 0
	.set _ZN4vllm25paged_attention_v1_kernelI14__hip_bfloat16hLi64ELi16ELi128ELNS_18Fp8KVCacheDataTypeE1ELb0EEEvPT_PKS3_PKT0_S9_ifPKiSB_iPKfiiiSD_SD_iiiii.private_seg_size, 0
	.set _ZN4vllm25paged_attention_v1_kernelI14__hip_bfloat16hLi64ELi16ELi128ELNS_18Fp8KVCacheDataTypeE1ELb0EEEvPT_PKS3_PKT0_S9_ifPKiSB_iPKfiiiSD_SD_iiiii.uses_vcc, 1
	.set _ZN4vllm25paged_attention_v1_kernelI14__hip_bfloat16hLi64ELi16ELi128ELNS_18Fp8KVCacheDataTypeE1ELb0EEEvPT_PKS3_PKT0_S9_ifPKiSB_iPKfiiiSD_SD_iiiii.uses_flat_scratch, 0
	.set _ZN4vllm25paged_attention_v1_kernelI14__hip_bfloat16hLi64ELi16ELi128ELNS_18Fp8KVCacheDataTypeE1ELb0EEEvPT_PKS3_PKT0_S9_ifPKiSB_iPKfiiiSD_SD_iiiii.has_dyn_sized_stack, 0
	.set _ZN4vllm25paged_attention_v1_kernelI14__hip_bfloat16hLi64ELi16ELi128ELNS_18Fp8KVCacheDataTypeE1ELb0EEEvPT_PKS3_PKT0_S9_ifPKiSB_iPKfiiiSD_SD_iiiii.has_recursion, 0
	.set _ZN4vllm25paged_attention_v1_kernelI14__hip_bfloat16hLi64ELi16ELi128ELNS_18Fp8KVCacheDataTypeE1ELb0EEEvPT_PKS3_PKT0_S9_ifPKiSB_iPKfiiiSD_SD_iiiii.has_indirect_call, 0
	.section	.AMDGPU.csdata,"",@progbits
; Kernel info:
; codeLenInByte = 11460
; TotalNumSgprs: 48
; NumVgprs: 58
; ScratchSize: 0
; MemoryBound: 0
; FloatMode: 240
; IeeeMode: 1
; LDSByteSize: 144 bytes/workgroup (compile time only)
; SGPRBlocks: 5
; VGPRBlocks: 14
; NumSGPRsForWavesPerEU: 48
; NumVGPRsForWavesPerEU: 58
; Occupancy: 4
; WaveLimiterHint : 1
; COMPUTE_PGM_RSRC2:SCRATCH_EN: 0
; COMPUTE_PGM_RSRC2:USER_SGPR: 6
; COMPUTE_PGM_RSRC2:TRAP_HANDLER: 0
; COMPUTE_PGM_RSRC2:TGID_X_EN: 1
; COMPUTE_PGM_RSRC2:TGID_Y_EN: 1
; COMPUTE_PGM_RSRC2:TGID_Z_EN: 1
; COMPUTE_PGM_RSRC2:TIDIG_COMP_CNT: 0
	.section	.text._ZN4vllm25paged_attention_v1_kernelI14__hip_bfloat16hLi80ELi16ELi128ELNS_18Fp8KVCacheDataTypeE1ELb0EEEvPT_PKS3_PKT0_S9_ifPKiSB_iPKfiiiSD_SD_iiiii,"axG",@progbits,_ZN4vllm25paged_attention_v1_kernelI14__hip_bfloat16hLi80ELi16ELi128ELNS_18Fp8KVCacheDataTypeE1ELb0EEEvPT_PKS3_PKT0_S9_ifPKiSB_iPKfiiiSD_SD_iiiii,comdat
	.protected	_ZN4vllm25paged_attention_v1_kernelI14__hip_bfloat16hLi80ELi16ELi128ELNS_18Fp8KVCacheDataTypeE1ELb0EEEvPT_PKS3_PKT0_S9_ifPKiSB_iPKfiiiSD_SD_iiiii ; -- Begin function _ZN4vllm25paged_attention_v1_kernelI14__hip_bfloat16hLi80ELi16ELi128ELNS_18Fp8KVCacheDataTypeE1ELb0EEEvPT_PKS3_PKT0_S9_ifPKiSB_iPKfiiiSD_SD_iiiii
	.globl	_ZN4vllm25paged_attention_v1_kernelI14__hip_bfloat16hLi80ELi16ELi128ELNS_18Fp8KVCacheDataTypeE1ELb0EEEvPT_PKS3_PKT0_S9_ifPKiSB_iPKfiiiSD_SD_iiiii
	.p2align	8
	.type	_ZN4vllm25paged_attention_v1_kernelI14__hip_bfloat16hLi80ELi16ELi128ELNS_18Fp8KVCacheDataTypeE1ELb0EEEvPT_PKS3_PKT0_S9_ifPKiSB_iPKfiiiSD_SD_iiiii,@function
_ZN4vllm25paged_attention_v1_kernelI14__hip_bfloat16hLi80ELi16ELi128ELNS_18Fp8KVCacheDataTypeE1ELb0EEEvPT_PKS3_PKT0_S9_ifPKiSB_iPKfiiiSD_SD_iiiii: ; @_ZN4vllm25paged_attention_v1_kernelI14__hip_bfloat16hLi80ELi16ELi128ELNS_18Fp8KVCacheDataTypeE1ELb0EEEvPT_PKS3_PKT0_S9_ifPKiSB_iPKfiiiSD_SD_iiiii
; %bb.0:
	s_load_dword s9, s[4:5], 0x80
	s_load_dwordx2 s[0:1], s[4:5], 0x30
	s_load_dwordx2 s[30:31], s[4:5], 0x20
	s_mov_b32 s10, s7
	s_ashr_i32 s11, s7, 31
	s_lshl_b64 s[2:3], s[10:11], 2
	s_waitcnt lgkmcnt(0)
	s_add_u32 s0, s0, s2
	s_addc_u32 s1, s1, s3
	s_abs_i32 s2, s30
	v_cvt_f32_u32_e32 v1, s2
	s_sub_i32 s11, 0, s2
	s_abs_i32 s7, s9
	s_xor_b32 s3, s9, s30
	v_rcp_iflag_f32_e32 v1, v1
	s_ashr_i32 s3, s3, 31
	s_mov_b32 s33, 0
	v_mul_f32_e32 v1, 0x4f7ffffe, v1
	v_cvt_u32_f32_e32 v1, v1
	v_readfirstlane_b32 s12, v1
	s_mul_i32 s11, s11, s12
	s_mul_hi_u32 s11, s12, s11
	s_add_i32 s12, s12, s11
	s_mul_hi_u32 s11, s7, s12
	s_mul_i32 s12, s11, s2
	s_sub_i32 s7, s7, s12
	s_add_i32 s12, s11, 1
	s_sub_i32 s13, s7, s2
	s_cmp_ge_u32 s7, s2
	s_cselect_b32 s11, s12, s11
	s_cselect_b32 s7, s13, s7
	s_add_i32 s12, s11, 1
	s_cmp_ge_u32 s7, s2
	s_cselect_b32 s2, s12, s11
	s_xor_b32 s2, s2, s3
	s_sub_i32 s18, s2, s3
	s_abs_i32 s11, s18
	v_cvt_f32_u32_e32 v1, s11
	s_load_dwordx2 s[2:3], s[4:5], 0x40
	s_sub_i32 s7, 0, s11
	s_abs_i32 s16, s6
	v_rcp_iflag_f32_e32 v1, v1
	v_mul_f32_e32 v1, 0x4f7ffffe, v1
	v_cvt_u32_f32_e32 v1, v1
	v_readfirstlane_b32 s12, v1
	s_mul_i32 s7, s7, s12
	s_mul_hi_u32 s7, s12, s7
	s_add_i32 s12, s12, s7
	s_waitcnt lgkmcnt(0)
	s_cmp_eq_u64 s[2:3], 0
	s_mul_hi_u32 s17, s16, s12
	s_cbranch_scc1 .LBB303_2
; %bb.1:
	s_ashr_i32 s7, s6, 31
	s_lshl_b64 s[12:13], s[6:7], 2
	s_add_u32 s2, s2, s12
	s_addc_u32 s3, s3, s13
	s_load_dword s33, s[2:3], 0x0
.LBB303_2:
	s_load_dword s30, s[0:1], 0x0
	s_load_dwordx4 s[12:15], s[4:5], 0x48
	s_ashr_i32 s2, s6, 31
	s_ashr_i32 s3, s18, 31
	v_and_b32_e32 v1, 3, v0
	s_mul_i32 s20, s6, 0x50
	v_cmp_gt_u32_e32 vcc, 40, v0
	s_and_saveexec_b64 s[0:1], vcc
	s_cbranch_execz .LBB303_4
; %bb.3:
	s_load_dwordx2 s[6:7], s[4:5], 0x8
	s_waitcnt lgkmcnt(0)
	s_mul_i32 s18, s12, s10
	s_ashr_i32 s19, s18, 31
	s_lshl_b64 s[18:19], s[18:19], 1
	v_lshlrev_b32_e32 v2, 2, v0
	s_add_u32 s12, s6, s18
	s_addc_u32 s15, s7, s19
	s_ashr_i32 s21, s20, 31
	s_lshl_b64 s[6:7], s[20:21], 1
	s_add_u32 s6, s12, s6
	s_addc_u32 s7, s15, s7
	global_load_dword v2, v2, s[6:7]
	v_and_b32_e32 v3, 0x3fc, v0
	v_mad_u32_u24 v3, v1, 40, v3
	s_waitcnt vmcnt(0)
	ds_write_b32 v3, v2
.LBB303_4:
	s_or_b64 exec, exec, s[0:1]
	s_waitcnt lgkmcnt(0)
	s_add_i32 s1, s30, 15
	s_ashr_i32 s6, s1, 31
	s_lshr_b32 s6, s6, 28
	s_add_i32 s1, s1, s6
	s_ashr_i32 s21, s1, 4
	s_xor_b32 s1, s2, s3
	s_mul_i32 s2, s17, s11
	s_sub_i32 s2, s16, s2
	s_add_i32 s3, s17, 1
	s_sub_i32 s6, s2, s11
	s_load_dwordx2 s[24:25], s[4:5], 0x28
	s_load_dword s0, s[4:5], 0x38
	s_cmp_ge_u32 s2, s11
	s_cselect_b32 s3, s3, s17
	s_cselect_b32 s2, s6, s2
	s_add_i32 s6, s3, 1
	s_cmp_ge_u32 s2, s11
	s_cselect_b32 s2, s6, s3
	v_lshrrev_b32_e32 v22, 6, v0
	s_xor_b32 s2, s2, s1
	s_waitcnt lgkmcnt(0)
	s_mul_i32 s26, s0, s10
	s_sub_i32 s12, s2, s1
	s_ashr_i32 s27, s26, 31
	v_cmp_le_i32_e64 s[0:1], s21, v22
	v_mbcnt_lo_u32_b32 v5, -1, 0
	s_barrier
                                        ; implicit-def: $vgpr10
                                        ; implicit-def: $vgpr12
                                        ; implicit-def: $vgpr11
	s_and_saveexec_b64 s[2:3], s[0:1]
	s_xor_b64 s[2:3], exec, s[2:3]
; %bb.5:
	v_mbcnt_hi_u32_b32 v10, -1, v5
	v_and_b32_e32 v12, 64, v10
	v_add_u32_e32 v11, 64, v12
                                        ; implicit-def: $vgpr1
                                        ; implicit-def: $vgpr5
; %bb.6:
	s_or_saveexec_b64 s[6:7], s[2:3]
	s_load_dwordx2 s[22:23], s[4:5], 0x0
	s_load_dwordx2 s[28:29], s[4:5], 0x18
	s_load_dword s11, s[4:5], 0x88
	s_load_dwordx4 s[16:19], s[4:5], 0x58
	v_mov_b32_e32 v34, 0xff7fffff
	s_mul_i32 s12, s12, s14
	v_lshrrev_b32_e32 v35, 4, v0
	s_xor_b64 exec, exec, s[6:7]
	s_cbranch_execz .LBB303_132
; %bb.7:
	v_mul_u32_u24_e32 v2, 40, v1
	s_load_dwordx2 s[2:3], s[4:5], 0x10
	ds_read2_b64 v[17:20], v2 offset1:1
	ds_read2_b64 v[26:29], v2 offset0:2 offset1:3
	ds_read_b64 v[2:3], v2 offset:32
	s_ashr_i32 s4, s12, 31
	v_bfe_u32 v6, v0, 2, 4
	s_waitcnt lgkmcnt(0)
	s_add_u32 s2, s2, s12
	s_addc_u32 s3, s3, s4
	v_lshlrev_b32_e32 v30, 16, v2
	v_and_b32_e32 v31, 0xffff0000, v2
	v_lshlrev_b32_e32 v2, 4, v6
	v_lshlrev_b32_e32 v32, 16, v3
	v_and_b32_e32 v33, 0xffff0000, v3
	v_mov_b32_e32 v3, s3
	v_add_co_u32_e32 v2, vcc, s2, v2
	v_addc_co_u32_e32 v3, vcc, 0, v3, vcc
	v_cmp_eq_u32_e32 vcc, 0, v1
	v_lshlrev_b32_e32 v1, 1, v1
	v_add_co_u32_e64 v1, s[2:3], v2, v1
	v_addc_co_u32_e64 v2, s[2:3], 0, v3, s[2:3]
	s_sub_i32 s38, 1, s30
	s_lshl_b64 s[2:3], s[26:27], 2
	s_add_u32 s2, s24, s2
	s_addc_u32 s3, s25, s3
	v_and_b32_e32 v3, 60, v35
	v_mbcnt_hi_u32_b32 v10, -1, v5
	v_mov_b32_e32 v4, s3
	v_add_co_u32_e64 v3, s[2:3], s2, v3
	v_and_b32_e32 v12, 64, v10
	v_addc_co_u32_e64 v4, s[2:3], 0, v4, s[2:3]
	v_add_u32_e32 v11, 64, v12
	v_xor_b32_e32 v5, 2, v10
	v_cmp_lt_i32_e64 s[2:3], v5, v11
	v_cndmask_b32_e64 v5, v10, v5, s[2:3]
	v_lshlrev_b32_e32 v35, 2, v5
	v_xor_b32_e32 v5, 1, v10
	v_cmp_lt_i32_e64 s[2:3], v5, v11
	s_load_dword s40, s[16:17], 0x0
	v_cndmask_b32_e64 v5, v10, v5, s[2:3]
	v_lshlrev_b32_e32 v36, 2, v5
	v_lshlrev_b32_e32 v5, 2, v6
	v_lshl_or_b32 v5, v22, 6, v5
	v_lshlrev_b32_e32 v13, 16, v17
	v_and_b32_e32 v14, 0xffff0000, v17
	v_lshlrev_b32_e32 v15, 16, v18
	v_and_b32_e32 v16, 0xffff0000, v18
	;; [unrolled: 2-line block ×8, first 2 shown]
	s_mov_b32 s39, s13
	v_cmp_neq_f32_e64 s[2:3], s33, 0
	v_lshl_or_b32 v37, v22, 4, v6
	v_add_u32_e32 v38, 0xb0, v5
	s_mov_b64 s[14:15], 0
	s_movk_i32 s41, 0x80
	s_movk_i32 s42, 0x7f
	;; [unrolled: 1-line block ×3, first 2 shown]
	v_mov_b32_e32 v39, 0
	v_mov_b32_e32 v34, 0xff7fffff
	v_bfrev_b32_e32 v40, 60
	v_mov_b32_e32 v41, v22
	s_branch .LBB303_9
.LBB303_8:                              ;   in Loop: Header=BB303_9 Depth=1
	s_or_b64 exec, exec, s[16:17]
	v_add_u32_e32 v41, 2, v41
	v_cmp_le_i32_e64 s[4:5], s21, v41
	s_or_b64 s[14:15], s[4:5], s[14:15]
	v_add_co_u32_e64 v3, s[4:5], 8, v3
	v_add_u32_e32 v37, 32, v37
	v_add_u32_e32 v38, 0x80, v38
	v_addc_co_u32_e64 v4, s[4:5], 0, v4, s[4:5]
	s_andn2_b64 exec, exec, s[14:15]
	s_cbranch_execz .LBB303_131
.LBB303_9:                              ; =>This Inner Loop Header: Depth=1
	global_load_dword v5, v[3:4], off
	v_mov_b32_e32 v42, 0
	s_waitcnt vmcnt(0) lgkmcnt(0)
	v_mad_i64_i32 v[5:6], s[4:5], v5, s39, v[1:2]
	global_load_ushort v8, v[5:6], off
	s_waitcnt vmcnt(0)
	v_and_b32_e32 v7, 0xffff, v8
	v_cmp_ne_u16_sdwa s[4:5], v8, v39 src0_sel:BYTE_0 src1_sel:DWORD
	s_and_saveexec_b64 s[16:17], s[4:5]
	s_cbranch_execz .LBB303_15
; %bb.10:                               ;   in Loop: Header=BB303_9 Depth=1
	v_cmp_ne_u16_sdwa s[4:5], v7, s41 src0_sel:BYTE_0 src1_sel:DWORD
	v_bfrev_b32_e32 v42, 1
	s_and_saveexec_b64 s[34:35], s[4:5]
	s_cbranch_execz .LBB303_14
; %bb.11:                               ;   in Loop: Header=BB303_9 Depth=1
	v_and_b32_e32 v8, 0x7f, v7
	v_cmp_ne_u32_e64 s[4:5], s42, v8
	v_mov_b32_e32 v42, 0x7f800001
	s_and_saveexec_b64 s[36:37], s[4:5]
	s_cbranch_execz .LBB303_13
; %bb.12:                               ;   in Loop: Header=BB303_9 Depth=1
	v_and_b32_e32 v44, 7, v7
	v_ffbh_u32_e32 v42, v44
	v_min_u32_e32 v46, 32, v42
	v_subrev_u32_e32 v42, 28, v46
	v_lshlrev_b64 v[42:43], v42, v[7:8]
	v_lshrrev_b32_e32 v45, 3, v8
	v_sub_u32_e32 v43, 29, v46
	v_and_b32_e32 v42, 7, v42
	v_cmp_gt_u32_e64 s[4:5], 8, v8
	v_cndmask_b32_e64 v8, v45, v43, s[4:5]
	v_cndmask_b32_e64 v42, v44, v42, s[4:5]
	v_lshlrev_b32_e32 v43, 24, v7
	v_lshlrev_b32_e32 v42, 20, v42
	v_and_b32_e32 v43, 0x80000000, v43
	v_lshl_add_u32 v8, v8, 23, v40
	v_or3_b32 v42, v43, v8, v42
.LBB303_13:                             ;   in Loop: Header=BB303_9 Depth=1
	s_or_b64 exec, exec, s[36:37]
.LBB303_14:                             ;   in Loop: Header=BB303_9 Depth=1
	s_or_b64 exec, exec, s[34:35]
.LBB303_15:                             ;   in Loop: Header=BB303_9 Depth=1
	s_or_b64 exec, exec, s[16:17]
	v_lshrrev_b16_e32 v8, 8, v7
	v_cmp_ne_u16_e64 s[4:5], 0, v8
	v_mov_b32_e32 v44, 0
	v_mov_b32_e32 v43, 0
	s_and_saveexec_b64 s[16:17], s[4:5]
	s_cbranch_execz .LBB303_21
; %bb.16:                               ;   in Loop: Header=BB303_9 Depth=1
	v_cmp_ne_u16_e64 s[4:5], s41, v8
	v_bfrev_b32_e32 v43, 1
	s_and_saveexec_b64 s[34:35], s[4:5]
	s_cbranch_execz .LBB303_20
; %bb.17:                               ;   in Loop: Header=BB303_9 Depth=1
	v_and_b32_e32 v45, 0x7f, v8
	v_cmp_ne_u32_e64 s[4:5], s42, v45
	v_mov_b32_e32 v43, 0x7f800001
	s_and_saveexec_b64 s[36:37], s[4:5]
	s_cbranch_execz .LBB303_19
; %bb.18:                               ;   in Loop: Header=BB303_9 Depth=1
	v_and_b32_e32 v43, 7, v8
	v_ffbh_u32_e32 v46, v43
	v_min_u32_e32 v49, 32, v46
	v_subrev_u32_e32 v46, 28, v49
	v_lshlrev_b64 v[46:47], v46, v[8:9]
	v_lshrrev_b32_e32 v48, 3, v45
	v_sub_u32_e32 v8, 29, v49
	v_and_b32_e32 v46, 7, v46
	v_cmp_gt_u32_e64 s[4:5], 8, v45
	v_cndmask_b32_e64 v8, v48, v8, s[4:5]
	v_cndmask_b32_e64 v43, v43, v46, s[4:5]
	v_lshlrev_b32_e32 v7, 16, v7
	v_lshlrev_b32_e32 v43, 20, v43
	v_and_b32_e32 v7, 0x80000000, v7
	v_lshl_add_u32 v8, v8, 23, v40
	v_or3_b32 v43, v7, v8, v43
.LBB303_19:                             ;   in Loop: Header=BB303_9 Depth=1
	s_or_b64 exec, exec, s[36:37]
.LBB303_20:                             ;   in Loop: Header=BB303_9 Depth=1
	s_or_b64 exec, exec, s[34:35]
.LBB303_21:                             ;   in Loop: Header=BB303_9 Depth=1
	s_or_b64 exec, exec, s[16:17]
	global_load_ushort v8, v[5:6], off offset:8
	s_waitcnt vmcnt(0)
	v_and_b32_e32 v7, 0xffff, v8
	v_cmp_ne_u16_sdwa s[4:5], v8, v39 src0_sel:BYTE_0 src1_sel:DWORD
	s_and_saveexec_b64 s[16:17], s[4:5]
	s_cbranch_execz .LBB303_27
; %bb.22:                               ;   in Loop: Header=BB303_9 Depth=1
	v_cmp_ne_u16_sdwa s[4:5], v7, s41 src0_sel:BYTE_0 src1_sel:DWORD
	v_bfrev_b32_e32 v44, 1
	s_and_saveexec_b64 s[34:35], s[4:5]
	s_cbranch_execz .LBB303_26
; %bb.23:                               ;   in Loop: Header=BB303_9 Depth=1
	v_and_b32_e32 v8, 0x7f, v7
	v_cmp_ne_u32_e64 s[4:5], s42, v8
	v_mov_b32_e32 v44, 0x7f800001
	s_and_saveexec_b64 s[36:37], s[4:5]
	s_cbranch_execz .LBB303_25
; %bb.24:                               ;   in Loop: Header=BB303_9 Depth=1
	v_and_b32_e32 v46, 7, v7
	v_ffbh_u32_e32 v44, v46
	v_min_u32_e32 v48, 32, v44
	v_subrev_u32_e32 v44, 28, v48
	v_lshlrev_b64 v[44:45], v44, v[7:8]
	v_lshrrev_b32_e32 v47, 3, v8
	v_sub_u32_e32 v45, 29, v48
	v_and_b32_e32 v44, 7, v44
	v_cmp_gt_u32_e64 s[4:5], 8, v8
	v_cndmask_b32_e64 v8, v47, v45, s[4:5]
	v_cndmask_b32_e64 v44, v46, v44, s[4:5]
	v_lshlrev_b32_e32 v45, 24, v7
	v_lshlrev_b32_e32 v44, 20, v44
	v_and_b32_e32 v45, 0x80000000, v45
	v_lshl_add_u32 v8, v8, 23, v40
	v_or3_b32 v44, v45, v8, v44
.LBB303_25:                             ;   in Loop: Header=BB303_9 Depth=1
	s_or_b64 exec, exec, s[36:37]
.LBB303_26:                             ;   in Loop: Header=BB303_9 Depth=1
	s_or_b64 exec, exec, s[34:35]
.LBB303_27:                             ;   in Loop: Header=BB303_9 Depth=1
	s_or_b64 exec, exec, s[16:17]
	v_lshrrev_b16_e32 v8, 8, v7
	v_cmp_ne_u16_e64 s[4:5], 0, v8
	v_mov_b32_e32 v46, 0
	v_mov_b32_e32 v45, 0
	s_and_saveexec_b64 s[16:17], s[4:5]
	s_cbranch_execz .LBB303_33
; %bb.28:                               ;   in Loop: Header=BB303_9 Depth=1
	v_cmp_ne_u16_e64 s[4:5], s41, v8
	v_bfrev_b32_e32 v45, 1
	s_and_saveexec_b64 s[34:35], s[4:5]
	s_cbranch_execz .LBB303_32
; %bb.29:                               ;   in Loop: Header=BB303_9 Depth=1
	v_and_b32_e32 v47, 0x7f, v8
	v_cmp_ne_u32_e64 s[4:5], s42, v47
	v_mov_b32_e32 v45, 0x7f800001
	s_and_saveexec_b64 s[36:37], s[4:5]
	s_cbranch_execz .LBB303_31
; %bb.30:                               ;   in Loop: Header=BB303_9 Depth=1
	v_and_b32_e32 v45, 7, v8
	v_ffbh_u32_e32 v48, v45
	v_min_u32_e32 v51, 32, v48
	v_subrev_u32_e32 v48, 28, v51
	v_lshlrev_b64 v[48:49], v48, v[8:9]
	v_lshrrev_b32_e32 v50, 3, v47
	v_sub_u32_e32 v8, 29, v51
	v_and_b32_e32 v48, 7, v48
	v_cmp_gt_u32_e64 s[4:5], 8, v47
	v_cndmask_b32_e64 v8, v50, v8, s[4:5]
	v_cndmask_b32_e64 v45, v45, v48, s[4:5]
	v_lshlrev_b32_e32 v7, 16, v7
	v_lshlrev_b32_e32 v45, 20, v45
	v_and_b32_e32 v7, 0x80000000, v7
	v_lshl_add_u32 v8, v8, 23, v40
	v_or3_b32 v45, v7, v8, v45
.LBB303_31:                             ;   in Loop: Header=BB303_9 Depth=1
	s_or_b64 exec, exec, s[36:37]
.LBB303_32:                             ;   in Loop: Header=BB303_9 Depth=1
	s_or_b64 exec, exec, s[34:35]
.LBB303_33:                             ;   in Loop: Header=BB303_9 Depth=1
	s_or_b64 exec, exec, s[16:17]
	global_load_ushort v8, v[5:6], off offset:256
	s_waitcnt vmcnt(0)
	v_and_b32_e32 v7, 0xffff, v8
	v_cmp_ne_u16_sdwa s[4:5], v8, v39 src0_sel:BYTE_0 src1_sel:DWORD
	s_and_saveexec_b64 s[16:17], s[4:5]
	s_cbranch_execz .LBB303_39
; %bb.34:                               ;   in Loop: Header=BB303_9 Depth=1
	v_cmp_ne_u16_sdwa s[4:5], v7, s41 src0_sel:BYTE_0 src1_sel:DWORD
	v_bfrev_b32_e32 v46, 1
	s_and_saveexec_b64 s[34:35], s[4:5]
	s_cbranch_execz .LBB303_38
; %bb.35:                               ;   in Loop: Header=BB303_9 Depth=1
	v_and_b32_e32 v8, 0x7f, v7
	v_cmp_ne_u32_e64 s[4:5], s42, v8
	v_mov_b32_e32 v46, 0x7f800001
	s_and_saveexec_b64 s[36:37], s[4:5]
	s_cbranch_execz .LBB303_37
; %bb.36:                               ;   in Loop: Header=BB303_9 Depth=1
	v_and_b32_e32 v48, 7, v7
	v_ffbh_u32_e32 v46, v48
	v_min_u32_e32 v50, 32, v46
	v_subrev_u32_e32 v46, 28, v50
	v_lshlrev_b64 v[46:47], v46, v[7:8]
	v_lshrrev_b32_e32 v49, 3, v8
	v_sub_u32_e32 v47, 29, v50
	v_and_b32_e32 v46, 7, v46
	v_cmp_gt_u32_e64 s[4:5], 8, v8
	v_cndmask_b32_e64 v8, v49, v47, s[4:5]
	v_cndmask_b32_e64 v46, v48, v46, s[4:5]
	v_lshlrev_b32_e32 v47, 24, v7
	v_lshlrev_b32_e32 v46, 20, v46
	v_and_b32_e32 v47, 0x80000000, v47
	v_lshl_add_u32 v8, v8, 23, v40
	v_or3_b32 v46, v47, v8, v46
.LBB303_37:                             ;   in Loop: Header=BB303_9 Depth=1
	s_or_b64 exec, exec, s[36:37]
.LBB303_38:                             ;   in Loop: Header=BB303_9 Depth=1
	s_or_b64 exec, exec, s[34:35]
.LBB303_39:                             ;   in Loop: Header=BB303_9 Depth=1
	s_or_b64 exec, exec, s[16:17]
	v_lshrrev_b16_e32 v8, 8, v7
	v_cmp_ne_u16_e64 s[4:5], 0, v8
	v_mov_b32_e32 v48, 0
	v_mov_b32_e32 v47, 0
	s_and_saveexec_b64 s[16:17], s[4:5]
	s_cbranch_execz .LBB303_45
; %bb.40:                               ;   in Loop: Header=BB303_9 Depth=1
	v_cmp_ne_u16_e64 s[4:5], s41, v8
	v_bfrev_b32_e32 v47, 1
	s_and_saveexec_b64 s[34:35], s[4:5]
	s_cbranch_execz .LBB303_44
; %bb.41:                               ;   in Loop: Header=BB303_9 Depth=1
	v_and_b32_e32 v49, 0x7f, v8
	v_cmp_ne_u32_e64 s[4:5], s42, v49
	v_mov_b32_e32 v47, 0x7f800001
	s_and_saveexec_b64 s[36:37], s[4:5]
	s_cbranch_execz .LBB303_43
; %bb.42:                               ;   in Loop: Header=BB303_9 Depth=1
	v_and_b32_e32 v47, 7, v8
	v_ffbh_u32_e32 v50, v47
	v_min_u32_e32 v53, 32, v50
	v_subrev_u32_e32 v50, 28, v53
	v_lshlrev_b64 v[50:51], v50, v[8:9]
	v_lshrrev_b32_e32 v52, 3, v49
	v_sub_u32_e32 v8, 29, v53
	v_and_b32_e32 v50, 7, v50
	v_cmp_gt_u32_e64 s[4:5], 8, v49
	v_cndmask_b32_e64 v8, v52, v8, s[4:5]
	v_cndmask_b32_e64 v47, v47, v50, s[4:5]
	v_lshlrev_b32_e32 v7, 16, v7
	v_lshlrev_b32_e32 v47, 20, v47
	v_and_b32_e32 v7, 0x80000000, v7
	v_lshl_add_u32 v8, v8, 23, v40
	v_or3_b32 v47, v7, v8, v47
.LBB303_43:                             ;   in Loop: Header=BB303_9 Depth=1
	s_or_b64 exec, exec, s[36:37]
.LBB303_44:                             ;   in Loop: Header=BB303_9 Depth=1
	s_or_b64 exec, exec, s[34:35]
.LBB303_45:                             ;   in Loop: Header=BB303_9 Depth=1
	s_or_b64 exec, exec, s[16:17]
	global_load_ushort v8, v[5:6], off offset:264
	s_waitcnt vmcnt(0)
	v_and_b32_e32 v7, 0xffff, v8
	v_cmp_ne_u16_sdwa s[4:5], v8, v39 src0_sel:BYTE_0 src1_sel:DWORD
	s_and_saveexec_b64 s[16:17], s[4:5]
	s_cbranch_execz .LBB303_51
; %bb.46:                               ;   in Loop: Header=BB303_9 Depth=1
	v_cmp_ne_u16_sdwa s[4:5], v7, s41 src0_sel:BYTE_0 src1_sel:DWORD
	v_bfrev_b32_e32 v48, 1
	s_and_saveexec_b64 s[34:35], s[4:5]
	s_cbranch_execz .LBB303_50
; %bb.47:                               ;   in Loop: Header=BB303_9 Depth=1
	v_and_b32_e32 v8, 0x7f, v7
	v_cmp_ne_u32_e64 s[4:5], s42, v8
	v_mov_b32_e32 v48, 0x7f800001
	s_and_saveexec_b64 s[36:37], s[4:5]
	s_cbranch_execz .LBB303_49
; %bb.48:                               ;   in Loop: Header=BB303_9 Depth=1
	v_and_b32_e32 v50, 7, v7
	v_ffbh_u32_e32 v48, v50
	v_min_u32_e32 v52, 32, v48
	v_subrev_u32_e32 v48, 28, v52
	v_lshlrev_b64 v[48:49], v48, v[7:8]
	v_lshrrev_b32_e32 v51, 3, v8
	v_sub_u32_e32 v49, 29, v52
	v_and_b32_e32 v48, 7, v48
	v_cmp_gt_u32_e64 s[4:5], 8, v8
	v_cndmask_b32_e64 v8, v51, v49, s[4:5]
	v_cndmask_b32_e64 v48, v50, v48, s[4:5]
	v_lshlrev_b32_e32 v49, 24, v7
	v_lshlrev_b32_e32 v48, 20, v48
	v_and_b32_e32 v49, 0x80000000, v49
	v_lshl_add_u32 v8, v8, 23, v40
	v_or3_b32 v48, v49, v8, v48
.LBB303_49:                             ;   in Loop: Header=BB303_9 Depth=1
	s_or_b64 exec, exec, s[36:37]
.LBB303_50:                             ;   in Loop: Header=BB303_9 Depth=1
	s_or_b64 exec, exec, s[34:35]
.LBB303_51:                             ;   in Loop: Header=BB303_9 Depth=1
	s_or_b64 exec, exec, s[16:17]
	v_lshrrev_b16_e32 v8, 8, v7
	v_cmp_ne_u16_e64 s[4:5], 0, v8
	v_mov_b32_e32 v50, 0
	v_mov_b32_e32 v49, 0
	s_and_saveexec_b64 s[16:17], s[4:5]
	s_cbranch_execz .LBB303_57
; %bb.52:                               ;   in Loop: Header=BB303_9 Depth=1
	v_cmp_ne_u16_e64 s[4:5], s41, v8
	v_bfrev_b32_e32 v49, 1
	s_and_saveexec_b64 s[34:35], s[4:5]
	s_cbranch_execz .LBB303_56
; %bb.53:                               ;   in Loop: Header=BB303_9 Depth=1
	v_and_b32_e32 v51, 0x7f, v8
	v_cmp_ne_u32_e64 s[4:5], s42, v51
	v_mov_b32_e32 v49, 0x7f800001
	s_and_saveexec_b64 s[36:37], s[4:5]
	s_cbranch_execz .LBB303_55
; %bb.54:                               ;   in Loop: Header=BB303_9 Depth=1
	v_and_b32_e32 v49, 7, v8
	v_ffbh_u32_e32 v52, v49
	v_min_u32_e32 v55, 32, v52
	v_subrev_u32_e32 v52, 28, v55
	v_lshlrev_b64 v[52:53], v52, v[8:9]
	v_lshrrev_b32_e32 v54, 3, v51
	v_sub_u32_e32 v8, 29, v55
	v_and_b32_e32 v52, 7, v52
	v_cmp_gt_u32_e64 s[4:5], 8, v51
	v_cndmask_b32_e64 v8, v54, v8, s[4:5]
	v_cndmask_b32_e64 v49, v49, v52, s[4:5]
	v_lshlrev_b32_e32 v7, 16, v7
	v_lshlrev_b32_e32 v49, 20, v49
	v_and_b32_e32 v7, 0x80000000, v7
	v_lshl_add_u32 v8, v8, 23, v40
	v_or3_b32 v49, v7, v8, v49
.LBB303_55:                             ;   in Loop: Header=BB303_9 Depth=1
	s_or_b64 exec, exec, s[36:37]
.LBB303_56:                             ;   in Loop: Header=BB303_9 Depth=1
	s_or_b64 exec, exec, s[34:35]
.LBB303_57:                             ;   in Loop: Header=BB303_9 Depth=1
	s_or_b64 exec, exec, s[16:17]
	global_load_ushort v8, v[5:6], off offset:512
	s_waitcnt vmcnt(0)
	v_and_b32_e32 v7, 0xffff, v8
	v_cmp_ne_u16_sdwa s[4:5], v8, v39 src0_sel:BYTE_0 src1_sel:DWORD
	s_and_saveexec_b64 s[16:17], s[4:5]
	s_cbranch_execz .LBB303_63
; %bb.58:                               ;   in Loop: Header=BB303_9 Depth=1
	v_cmp_ne_u16_sdwa s[4:5], v7, s41 src0_sel:BYTE_0 src1_sel:DWORD
	v_bfrev_b32_e32 v50, 1
	s_and_saveexec_b64 s[34:35], s[4:5]
	s_cbranch_execz .LBB303_62
; %bb.59:                               ;   in Loop: Header=BB303_9 Depth=1
	v_and_b32_e32 v8, 0x7f, v7
	v_cmp_ne_u32_e64 s[4:5], s42, v8
	v_mov_b32_e32 v50, 0x7f800001
	s_and_saveexec_b64 s[36:37], s[4:5]
	s_cbranch_execz .LBB303_61
; %bb.60:                               ;   in Loop: Header=BB303_9 Depth=1
	v_and_b32_e32 v52, 7, v7
	v_ffbh_u32_e32 v50, v52
	v_min_u32_e32 v54, 32, v50
	v_subrev_u32_e32 v50, 28, v54
	v_lshlrev_b64 v[50:51], v50, v[7:8]
	v_lshrrev_b32_e32 v53, 3, v8
	v_sub_u32_e32 v51, 29, v54
	v_and_b32_e32 v50, 7, v50
	v_cmp_gt_u32_e64 s[4:5], 8, v8
	v_cndmask_b32_e64 v8, v53, v51, s[4:5]
	v_cndmask_b32_e64 v50, v52, v50, s[4:5]
	v_lshlrev_b32_e32 v51, 24, v7
	v_lshlrev_b32_e32 v50, 20, v50
	v_and_b32_e32 v51, 0x80000000, v51
	v_lshl_add_u32 v8, v8, 23, v40
	v_or3_b32 v50, v51, v8, v50
.LBB303_61:                             ;   in Loop: Header=BB303_9 Depth=1
	s_or_b64 exec, exec, s[36:37]
.LBB303_62:                             ;   in Loop: Header=BB303_9 Depth=1
	s_or_b64 exec, exec, s[34:35]
.LBB303_63:                             ;   in Loop: Header=BB303_9 Depth=1
	s_or_b64 exec, exec, s[16:17]
	v_lshrrev_b16_e32 v8, 8, v7
	v_cmp_ne_u16_e64 s[4:5], 0, v8
	v_mov_b32_e32 v52, 0
	v_mov_b32_e32 v51, 0
	s_and_saveexec_b64 s[16:17], s[4:5]
	s_cbranch_execz .LBB303_69
; %bb.64:                               ;   in Loop: Header=BB303_9 Depth=1
	v_cmp_ne_u16_e64 s[4:5], s41, v8
	v_bfrev_b32_e32 v51, 1
	s_and_saveexec_b64 s[34:35], s[4:5]
	s_cbranch_execz .LBB303_68
; %bb.65:                               ;   in Loop: Header=BB303_9 Depth=1
	v_and_b32_e32 v53, 0x7f, v8
	v_cmp_ne_u32_e64 s[4:5], s42, v53
	v_mov_b32_e32 v51, 0x7f800001
	s_and_saveexec_b64 s[36:37], s[4:5]
	s_cbranch_execz .LBB303_67
; %bb.66:                               ;   in Loop: Header=BB303_9 Depth=1
	v_and_b32_e32 v51, 7, v8
	v_ffbh_u32_e32 v54, v51
	v_min_u32_e32 v57, 32, v54
	v_subrev_u32_e32 v54, 28, v57
	v_lshlrev_b64 v[54:55], v54, v[8:9]
	v_lshrrev_b32_e32 v56, 3, v53
	v_sub_u32_e32 v8, 29, v57
	v_and_b32_e32 v54, 7, v54
	v_cmp_gt_u32_e64 s[4:5], 8, v53
	v_cndmask_b32_e64 v8, v56, v8, s[4:5]
	v_cndmask_b32_e64 v51, v51, v54, s[4:5]
	v_lshlrev_b32_e32 v7, 16, v7
	v_lshlrev_b32_e32 v51, 20, v51
	v_and_b32_e32 v7, 0x80000000, v7
	v_lshl_add_u32 v8, v8, 23, v40
	v_or3_b32 v51, v7, v8, v51
.LBB303_67:                             ;   in Loop: Header=BB303_9 Depth=1
	s_or_b64 exec, exec, s[36:37]
.LBB303_68:                             ;   in Loop: Header=BB303_9 Depth=1
	s_or_b64 exec, exec, s[34:35]
.LBB303_69:                             ;   in Loop: Header=BB303_9 Depth=1
	s_or_b64 exec, exec, s[16:17]
	global_load_ushort v8, v[5:6], off offset:520
	s_waitcnt vmcnt(0)
	v_and_b32_e32 v7, 0xffff, v8
	v_cmp_ne_u16_sdwa s[4:5], v8, v39 src0_sel:BYTE_0 src1_sel:DWORD
	s_and_saveexec_b64 s[16:17], s[4:5]
	s_cbranch_execz .LBB303_75
; %bb.70:                               ;   in Loop: Header=BB303_9 Depth=1
	v_cmp_ne_u16_sdwa s[4:5], v7, s41 src0_sel:BYTE_0 src1_sel:DWORD
	v_bfrev_b32_e32 v52, 1
	s_and_saveexec_b64 s[34:35], s[4:5]
	s_cbranch_execz .LBB303_74
; %bb.71:                               ;   in Loop: Header=BB303_9 Depth=1
	v_and_b32_e32 v8, 0x7f, v7
	v_cmp_ne_u32_e64 s[4:5], s42, v8
	v_mov_b32_e32 v52, 0x7f800001
	s_and_saveexec_b64 s[36:37], s[4:5]
	s_cbranch_execz .LBB303_73
; %bb.72:                               ;   in Loop: Header=BB303_9 Depth=1
	v_and_b32_e32 v54, 7, v7
	v_ffbh_u32_e32 v52, v54
	v_min_u32_e32 v56, 32, v52
	v_subrev_u32_e32 v52, 28, v56
	v_lshlrev_b64 v[52:53], v52, v[7:8]
	v_lshrrev_b32_e32 v55, 3, v8
	v_sub_u32_e32 v53, 29, v56
	v_and_b32_e32 v52, 7, v52
	v_cmp_gt_u32_e64 s[4:5], 8, v8
	v_cndmask_b32_e64 v8, v55, v53, s[4:5]
	v_cndmask_b32_e64 v52, v54, v52, s[4:5]
	v_lshlrev_b32_e32 v53, 24, v7
	v_lshlrev_b32_e32 v52, 20, v52
	v_and_b32_e32 v53, 0x80000000, v53
	v_lshl_add_u32 v8, v8, 23, v40
	v_or3_b32 v52, v53, v8, v52
.LBB303_73:                             ;   in Loop: Header=BB303_9 Depth=1
	s_or_b64 exec, exec, s[36:37]
.LBB303_74:                             ;   in Loop: Header=BB303_9 Depth=1
	s_or_b64 exec, exec, s[34:35]
.LBB303_75:                             ;   in Loop: Header=BB303_9 Depth=1
	s_or_b64 exec, exec, s[16:17]
	v_lshrrev_b16_e32 v8, 8, v7
	v_cmp_ne_u16_e64 s[4:5], 0, v8
	v_mov_b32_e32 v54, 0
	v_mov_b32_e32 v53, 0
	s_and_saveexec_b64 s[16:17], s[4:5]
	s_cbranch_execz .LBB303_81
; %bb.76:                               ;   in Loop: Header=BB303_9 Depth=1
	v_cmp_ne_u16_e64 s[4:5], s41, v8
	v_bfrev_b32_e32 v53, 1
	s_and_saveexec_b64 s[34:35], s[4:5]
	s_cbranch_execz .LBB303_80
; %bb.77:                               ;   in Loop: Header=BB303_9 Depth=1
	v_and_b32_e32 v55, 0x7f, v8
	v_cmp_ne_u32_e64 s[4:5], s42, v55
	v_mov_b32_e32 v53, 0x7f800001
	s_and_saveexec_b64 s[36:37], s[4:5]
	s_cbranch_execz .LBB303_79
; %bb.78:                               ;   in Loop: Header=BB303_9 Depth=1
	v_and_b32_e32 v53, 7, v8
	v_ffbh_u32_e32 v56, v53
	v_min_u32_e32 v59, 32, v56
	v_subrev_u32_e32 v56, 28, v59
	v_lshlrev_b64 v[56:57], v56, v[8:9]
	v_lshrrev_b32_e32 v58, 3, v55
	v_sub_u32_e32 v8, 29, v59
	v_and_b32_e32 v56, 7, v56
	v_cmp_gt_u32_e64 s[4:5], 8, v55
	v_cndmask_b32_e64 v8, v58, v8, s[4:5]
	v_cndmask_b32_e64 v53, v53, v56, s[4:5]
	v_lshlrev_b32_e32 v7, 16, v7
	v_lshlrev_b32_e32 v53, 20, v53
	v_and_b32_e32 v7, 0x80000000, v7
	v_lshl_add_u32 v8, v8, 23, v40
	v_or3_b32 v53, v7, v8, v53
.LBB303_79:                             ;   in Loop: Header=BB303_9 Depth=1
	s_or_b64 exec, exec, s[36:37]
.LBB303_80:                             ;   in Loop: Header=BB303_9 Depth=1
	s_or_b64 exec, exec, s[34:35]
.LBB303_81:                             ;   in Loop: Header=BB303_9 Depth=1
	s_or_b64 exec, exec, s[16:17]
	global_load_ushort v8, v[5:6], off offset:768
	s_waitcnt vmcnt(0)
	v_and_b32_e32 v7, 0xffff, v8
	v_cmp_ne_u16_sdwa s[4:5], v8, v39 src0_sel:BYTE_0 src1_sel:DWORD
	s_and_saveexec_b64 s[16:17], s[4:5]
	s_cbranch_execz .LBB303_87
; %bb.82:                               ;   in Loop: Header=BB303_9 Depth=1
	v_cmp_ne_u16_sdwa s[4:5], v7, s41 src0_sel:BYTE_0 src1_sel:DWORD
	v_bfrev_b32_e32 v54, 1
	s_and_saveexec_b64 s[34:35], s[4:5]
	s_cbranch_execz .LBB303_86
; %bb.83:                               ;   in Loop: Header=BB303_9 Depth=1
	v_and_b32_e32 v8, 0x7f, v7
	v_cmp_ne_u32_e64 s[4:5], s42, v8
	v_mov_b32_e32 v54, 0x7f800001
	s_and_saveexec_b64 s[36:37], s[4:5]
	s_cbranch_execz .LBB303_85
; %bb.84:                               ;   in Loop: Header=BB303_9 Depth=1
	v_and_b32_e32 v56, 7, v7
	v_ffbh_u32_e32 v54, v56
	v_min_u32_e32 v58, 32, v54
	v_subrev_u32_e32 v54, 28, v58
	v_lshlrev_b64 v[54:55], v54, v[7:8]
	v_lshrrev_b32_e32 v57, 3, v8
	v_sub_u32_e32 v55, 29, v58
	v_and_b32_e32 v54, 7, v54
	v_cmp_gt_u32_e64 s[4:5], 8, v8
	v_cndmask_b32_e64 v8, v57, v55, s[4:5]
	v_cndmask_b32_e64 v54, v56, v54, s[4:5]
	v_lshlrev_b32_e32 v55, 24, v7
	v_lshlrev_b32_e32 v54, 20, v54
	v_and_b32_e32 v55, 0x80000000, v55
	v_lshl_add_u32 v8, v8, 23, v40
	v_or3_b32 v54, v55, v8, v54
.LBB303_85:                             ;   in Loop: Header=BB303_9 Depth=1
	s_or_b64 exec, exec, s[36:37]
.LBB303_86:                             ;   in Loop: Header=BB303_9 Depth=1
	s_or_b64 exec, exec, s[34:35]
.LBB303_87:                             ;   in Loop: Header=BB303_9 Depth=1
	s_or_b64 exec, exec, s[16:17]
	v_lshrrev_b16_e32 v8, 8, v7
	v_cmp_ne_u16_e64 s[4:5], 0, v8
	v_mov_b32_e32 v56, 0
	v_mov_b32_e32 v55, 0
	s_and_saveexec_b64 s[16:17], s[4:5]
	s_cbranch_execz .LBB303_93
; %bb.88:                               ;   in Loop: Header=BB303_9 Depth=1
	v_cmp_ne_u16_e64 s[4:5], s41, v8
	v_bfrev_b32_e32 v55, 1
	s_and_saveexec_b64 s[34:35], s[4:5]
	s_cbranch_execz .LBB303_92
; %bb.89:                               ;   in Loop: Header=BB303_9 Depth=1
	v_and_b32_e32 v57, 0x7f, v8
	v_cmp_ne_u32_e64 s[4:5], s42, v57
	v_mov_b32_e32 v55, 0x7f800001
	s_and_saveexec_b64 s[36:37], s[4:5]
	s_cbranch_execz .LBB303_91
; %bb.90:                               ;   in Loop: Header=BB303_9 Depth=1
	v_and_b32_e32 v55, 7, v8
	v_ffbh_u32_e32 v58, v55
	v_min_u32_e32 v61, 32, v58
	v_subrev_u32_e32 v58, 28, v61
	v_lshlrev_b64 v[58:59], v58, v[8:9]
	v_lshrrev_b32_e32 v60, 3, v57
	v_sub_u32_e32 v8, 29, v61
	v_and_b32_e32 v58, 7, v58
	v_cmp_gt_u32_e64 s[4:5], 8, v57
	v_cndmask_b32_e64 v8, v60, v8, s[4:5]
	v_cndmask_b32_e64 v55, v55, v58, s[4:5]
	v_lshlrev_b32_e32 v7, 16, v7
	v_lshlrev_b32_e32 v55, 20, v55
	v_and_b32_e32 v7, 0x80000000, v7
	v_lshl_add_u32 v8, v8, 23, v40
	v_or3_b32 v55, v7, v8, v55
.LBB303_91:                             ;   in Loop: Header=BB303_9 Depth=1
	s_or_b64 exec, exec, s[36:37]
.LBB303_92:                             ;   in Loop: Header=BB303_9 Depth=1
	s_or_b64 exec, exec, s[34:35]
.LBB303_93:                             ;   in Loop: Header=BB303_9 Depth=1
	s_or_b64 exec, exec, s[16:17]
	global_load_ushort v8, v[5:6], off offset:776
	s_waitcnt vmcnt(0)
	v_and_b32_e32 v7, 0xffff, v8
	v_cmp_ne_u16_sdwa s[4:5], v8, v39 src0_sel:BYTE_0 src1_sel:DWORD
	s_and_saveexec_b64 s[16:17], s[4:5]
	s_cbranch_execz .LBB303_99
; %bb.94:                               ;   in Loop: Header=BB303_9 Depth=1
	v_cmp_ne_u16_sdwa s[4:5], v7, s41 src0_sel:BYTE_0 src1_sel:DWORD
	v_bfrev_b32_e32 v56, 1
	s_and_saveexec_b64 s[34:35], s[4:5]
	s_cbranch_execz .LBB303_98
; %bb.95:                               ;   in Loop: Header=BB303_9 Depth=1
	v_and_b32_e32 v8, 0x7f, v7
	v_cmp_ne_u32_e64 s[4:5], s42, v8
	v_mov_b32_e32 v56, 0x7f800001
	s_and_saveexec_b64 s[36:37], s[4:5]
	s_cbranch_execz .LBB303_97
; %bb.96:                               ;   in Loop: Header=BB303_9 Depth=1
	v_and_b32_e32 v58, 7, v7
	v_ffbh_u32_e32 v56, v58
	v_min_u32_e32 v60, 32, v56
	v_subrev_u32_e32 v56, 28, v60
	v_lshlrev_b64 v[56:57], v56, v[7:8]
	v_lshrrev_b32_e32 v59, 3, v8
	v_sub_u32_e32 v57, 29, v60
	v_and_b32_e32 v56, 7, v56
	v_cmp_gt_u32_e64 s[4:5], 8, v8
	v_cndmask_b32_e64 v8, v59, v57, s[4:5]
	v_cndmask_b32_e64 v56, v58, v56, s[4:5]
	v_lshlrev_b32_e32 v57, 24, v7
	v_lshlrev_b32_e32 v56, 20, v56
	v_and_b32_e32 v57, 0x80000000, v57
	v_lshl_add_u32 v8, v8, 23, v40
	v_or3_b32 v56, v57, v8, v56
.LBB303_97:                             ;   in Loop: Header=BB303_9 Depth=1
	s_or_b64 exec, exec, s[36:37]
.LBB303_98:                             ;   in Loop: Header=BB303_9 Depth=1
	s_or_b64 exec, exec, s[34:35]
.LBB303_99:                             ;   in Loop: Header=BB303_9 Depth=1
	s_or_b64 exec, exec, s[16:17]
	v_lshrrev_b16_e32 v8, 8, v7
	v_cmp_ne_u16_e64 s[4:5], 0, v8
	v_mov_b32_e32 v58, 0
	v_mov_b32_e32 v57, 0
	s_and_saveexec_b64 s[16:17], s[4:5]
	s_cbranch_execz .LBB303_105
; %bb.100:                              ;   in Loop: Header=BB303_9 Depth=1
	v_cmp_ne_u16_e64 s[4:5], s41, v8
	v_bfrev_b32_e32 v57, 1
	s_and_saveexec_b64 s[34:35], s[4:5]
	s_cbranch_execz .LBB303_104
; %bb.101:                              ;   in Loop: Header=BB303_9 Depth=1
	v_and_b32_e32 v59, 0x7f, v8
	v_cmp_ne_u32_e64 s[4:5], s42, v59
	v_mov_b32_e32 v57, 0x7f800001
	s_and_saveexec_b64 s[36:37], s[4:5]
	s_cbranch_execz .LBB303_103
; %bb.102:                              ;   in Loop: Header=BB303_9 Depth=1
	v_and_b32_e32 v57, 7, v8
	v_lshrrev_b32_e32 v61, 3, v59
	v_cmp_gt_u32_e64 s[4:5], 8, v59
	v_ffbh_u32_e32 v59, v57
	v_min_u32_e32 v62, 32, v59
	v_subrev_u32_e32 v59, 28, v62
	v_lshlrev_b64 v[59:60], v59, v[8:9]
	v_sub_u32_e32 v8, 29, v62
	v_and_b32_e32 v59, 7, v59
	v_cndmask_b32_e64 v8, v61, v8, s[4:5]
	v_cndmask_b32_e64 v57, v57, v59, s[4:5]
	v_lshlrev_b32_e32 v7, 16, v7
	v_lshlrev_b32_e32 v57, 20, v57
	v_and_b32_e32 v7, 0x80000000, v7
	v_lshl_add_u32 v8, v8, 23, v40
	v_or3_b32 v57, v7, v8, v57
.LBB303_103:                            ;   in Loop: Header=BB303_9 Depth=1
	s_or_b64 exec, exec, s[36:37]
.LBB303_104:                            ;   in Loop: Header=BB303_9 Depth=1
	s_or_b64 exec, exec, s[34:35]
.LBB303_105:                            ;   in Loop: Header=BB303_9 Depth=1
	s_or_b64 exec, exec, s[16:17]
	global_load_ushort v8, v[5:6], off offset:1024
	s_waitcnt vmcnt(0)
	v_and_b32_e32 v7, 0xffff, v8
	v_cmp_ne_u16_sdwa s[4:5], v8, v39 src0_sel:BYTE_0 src1_sel:DWORD
	s_and_saveexec_b64 s[16:17], s[4:5]
	s_cbranch_execz .LBB303_111
; %bb.106:                              ;   in Loop: Header=BB303_9 Depth=1
	v_cmp_ne_u16_sdwa s[4:5], v7, s41 src0_sel:BYTE_0 src1_sel:DWORD
	v_bfrev_b32_e32 v58, 1
	s_and_saveexec_b64 s[34:35], s[4:5]
	s_cbranch_execz .LBB303_110
; %bb.107:                              ;   in Loop: Header=BB303_9 Depth=1
	v_and_b32_e32 v8, 0x7f, v7
	v_cmp_ne_u32_e64 s[4:5], s42, v8
	v_mov_b32_e32 v58, 0x7f800001
	s_and_saveexec_b64 s[36:37], s[4:5]
	s_cbranch_execz .LBB303_109
; %bb.108:                              ;   in Loop: Header=BB303_9 Depth=1
	v_and_b32_e32 v60, 7, v7
	v_ffbh_u32_e32 v58, v60
	v_min_u32_e32 v62, 32, v58
	v_subrev_u32_e32 v58, 28, v62
	v_lshlrev_b64 v[58:59], v58, v[7:8]
	v_lshrrev_b32_e32 v61, 3, v8
	v_sub_u32_e32 v59, 29, v62
	v_and_b32_e32 v58, 7, v58
	v_cmp_gt_u32_e64 s[4:5], 8, v8
	v_cndmask_b32_e64 v8, v61, v59, s[4:5]
	v_cndmask_b32_e64 v58, v60, v58, s[4:5]
	v_lshlrev_b32_e32 v59, 24, v7
	v_lshlrev_b32_e32 v58, 20, v58
	v_and_b32_e32 v59, 0x80000000, v59
	v_lshl_add_u32 v8, v8, 23, v40
	v_or3_b32 v58, v59, v8, v58
.LBB303_109:                            ;   in Loop: Header=BB303_9 Depth=1
	s_or_b64 exec, exec, s[36:37]
.LBB303_110:                            ;   in Loop: Header=BB303_9 Depth=1
	s_or_b64 exec, exec, s[34:35]
.LBB303_111:                            ;   in Loop: Header=BB303_9 Depth=1
	s_or_b64 exec, exec, s[16:17]
	v_lshrrev_b16_e32 v8, 8, v7
	v_cmp_ne_u16_e64 s[4:5], 0, v8
	v_mov_b32_e32 v60, 0
	v_mov_b32_e32 v59, 0
	s_and_saveexec_b64 s[16:17], s[4:5]
	s_cbranch_execz .LBB303_117
; %bb.112:                              ;   in Loop: Header=BB303_9 Depth=1
	v_cmp_ne_u16_e64 s[4:5], s41, v8
	v_bfrev_b32_e32 v59, 1
	s_and_saveexec_b64 s[34:35], s[4:5]
	s_cbranch_execz .LBB303_116
; %bb.113:                              ;   in Loop: Header=BB303_9 Depth=1
	v_and_b32_e32 v61, 0x7f, v8
	v_cmp_ne_u32_e64 s[4:5], s42, v61
	v_mov_b32_e32 v59, 0x7f800001
	s_and_saveexec_b64 s[36:37], s[4:5]
	s_cbranch_execz .LBB303_115
; %bb.114:                              ;   in Loop: Header=BB303_9 Depth=1
	v_and_b32_e32 v59, 7, v8
	v_lshrrev_b32_e32 v63, 3, v61
	v_cmp_gt_u32_e64 s[4:5], 8, v61
	v_ffbh_u32_e32 v61, v59
	v_min_u32_e32 v9, 32, v61
	v_subrev_u32_e32 v61, 28, v9
	v_lshlrev_b64 v[61:62], v61, v[8:9]
	v_sub_u32_e32 v8, 29, v9
	v_and_b32_e32 v9, 7, v61
	v_cndmask_b32_e64 v8, v63, v8, s[4:5]
	v_cndmask_b32_e64 v9, v59, v9, s[4:5]
	v_lshlrev_b32_e32 v7, 16, v7
	v_lshlrev_b32_e32 v9, 20, v9
	v_and_b32_e32 v7, 0x80000000, v7
	v_lshl_add_u32 v8, v8, 23, v40
	v_or3_b32 v59, v7, v8, v9
.LBB303_115:                            ;   in Loop: Header=BB303_9 Depth=1
	s_or_b64 exec, exec, s[36:37]
.LBB303_116:                            ;   in Loop: Header=BB303_9 Depth=1
	s_or_b64 exec, exec, s[34:35]
.LBB303_117:                            ;   in Loop: Header=BB303_9 Depth=1
	s_or_b64 exec, exec, s[16:17]
	global_load_ushort v6, v[5:6], off offset:1032
	s_waitcnt vmcnt(0)
	v_and_b32_e32 v5, 0xffff, v6
	v_cmp_ne_u16_sdwa s[4:5], v6, v39 src0_sel:BYTE_0 src1_sel:DWORD
	s_and_saveexec_b64 s[16:17], s[4:5]
	s_cbranch_execz .LBB303_123
; %bb.118:                              ;   in Loop: Header=BB303_9 Depth=1
	v_cmp_ne_u16_sdwa s[4:5], v5, s41 src0_sel:BYTE_0 src1_sel:DWORD
	v_bfrev_b32_e32 v60, 1
	s_and_saveexec_b64 s[34:35], s[4:5]
	s_cbranch_execz .LBB303_122
; %bb.119:                              ;   in Loop: Header=BB303_9 Depth=1
	v_and_b32_e32 v6, 0x7f, v5
	v_cmp_ne_u32_e64 s[4:5], s42, v6
	v_mov_b32_e32 v60, 0x7f800001
	s_and_saveexec_b64 s[36:37], s[4:5]
	s_cbranch_execz .LBB303_121
; %bb.120:                              ;   in Loop: Header=BB303_9 Depth=1
	v_and_b32_e32 v9, 7, v5
	v_ffbh_u32_e32 v7, v9
	v_min_u32_e32 v61, 32, v7
	v_subrev_u32_e32 v7, 28, v61
	v_lshlrev_b64 v[7:8], v7, v[5:6]
	v_lshrrev_b32_e32 v60, 3, v6
	v_sub_u32_e32 v8, 29, v61
	v_and_b32_e32 v7, 7, v7
	v_cmp_gt_u32_e64 s[4:5], 8, v6
	v_cndmask_b32_e64 v6, v60, v8, s[4:5]
	v_cndmask_b32_e64 v7, v9, v7, s[4:5]
	v_lshlrev_b32_e32 v8, 24, v5
	v_lshlrev_b32_e32 v7, 20, v7
	v_and_b32_e32 v8, 0x80000000, v8
	v_lshl_add_u32 v6, v6, 23, v40
	v_or3_b32 v60, v8, v6, v7
.LBB303_121:                            ;   in Loop: Header=BB303_9 Depth=1
	s_or_b64 exec, exec, s[36:37]
.LBB303_122:                            ;   in Loop: Header=BB303_9 Depth=1
	s_or_b64 exec, exec, s[34:35]
.LBB303_123:                            ;   in Loop: Header=BB303_9 Depth=1
	s_or_b64 exec, exec, s[16:17]
	v_lshrrev_b16_e32 v6, 8, v5
	v_cmp_ne_u16_e64 s[4:5], 0, v6
	v_mov_b32_e32 v8, 0
	s_and_saveexec_b64 s[16:17], s[4:5]
	s_cbranch_execz .LBB303_129
; %bb.124:                              ;   in Loop: Header=BB303_9 Depth=1
	v_cmp_ne_u16_e64 s[4:5], s41, v6
	v_bfrev_b32_e32 v8, 1
	s_and_saveexec_b64 s[34:35], s[4:5]
	s_cbranch_execz .LBB303_128
; %bb.125:                              ;   in Loop: Header=BB303_9 Depth=1
	v_and_b32_e32 v7, 0x7f, v6
	v_cmp_ne_u32_e64 s[4:5], s42, v7
	v_mov_b32_e32 v8, 0x7f800001
	s_and_saveexec_b64 s[36:37], s[4:5]
	s_cbranch_execz .LBB303_127
; %bb.126:                              ;   in Loop: Header=BB303_9 Depth=1
	v_and_b32_e32 v8, 7, v6
	v_lshrrev_b32_e32 v9, 3, v7
	v_cmp_gt_u32_e64 s[4:5], 8, v7
	v_ffbh_u32_e32 v7, v8
	v_min_u32_e32 v61, 32, v7
	v_subrev_u32_e32 v7, 28, v61
	v_lshlrev_b64 v[6:7], v7, v[6:7]
	v_sub_u32_e32 v7, 29, v61
	v_and_b32_e32 v6, 7, v6
	v_cndmask_b32_e64 v7, v9, v7, s[4:5]
	v_cndmask_b32_e64 v6, v8, v6, s[4:5]
	v_lshlrev_b32_e32 v5, 16, v5
	v_lshlrev_b32_e32 v6, 20, v6
	v_and_b32_e32 v5, 0x80000000, v5
	v_lshl_add_u32 v7, v7, 23, v40
	v_or3_b32 v8, v5, v7, v6
.LBB303_127:                            ;   in Loop: Header=BB303_9 Depth=1
	s_or_b64 exec, exec, s[36:37]
.LBB303_128:                            ;   in Loop: Header=BB303_9 Depth=1
	s_or_b64 exec, exec, s[34:35]
.LBB303_129:                            ;   in Loop: Header=BB303_9 Depth=1
	s_or_b64 exec, exec, s[16:17]
	s_waitcnt lgkmcnt(0)
	v_mul_f32_e32 v5, s40, v60
	v_bfe_u32 v6, v5, 16, 1
	v_add3_u32 v6, v6, v5, s43
	v_or_b32_e32 v7, 0x400000, v5
	v_cmp_u_f32_e64 s[4:5], v5, v5
	v_cndmask_b32_e64 v5, v6, v7, s[4:5]
	v_mul_f32_e32 v6, s40, v59
	v_bfe_u32 v7, v6, 16, 1
	v_add3_u32 v7, v7, v6, s43
	v_or_b32_e32 v9, 0x400000, v6
	v_cmp_u_f32_e64 s[4:5], v6, v6
	v_cndmask_b32_e64 v6, v7, v9, s[4:5]
	;; [unrolled: 6-line block ×3, first 2 shown]
	v_mul_f32_e32 v9, s40, v57
	v_bfe_u32 v57, v9, 16, 1
	v_add3_u32 v57, v57, v9, s43
	v_or_b32_e32 v58, 0x400000, v9
	v_cmp_u_f32_e64 s[4:5], v9, v9
	v_mul_f32_e32 v9, s40, v56
	v_bfe_u32 v56, v9, 16, 1
	v_cndmask_b32_e64 v57, v57, v58, s[4:5]
	v_add3_u32 v56, v56, v9, s43
	v_or_b32_e32 v58, 0x400000, v9
	v_cmp_u_f32_e64 s[4:5], v9, v9
	v_mul_f32_e32 v9, s40, v55
	v_bfe_u32 v55, v9, 16, 1
	v_cndmask_b32_e64 v56, v56, v58, s[4:5]
	v_add3_u32 v55, v55, v9, s43
	v_or_b32_e32 v58, 0x400000, v9
	v_cmp_u_f32_e64 s[4:5], v9, v9
	v_mul_f32_e32 v54, s40, v54
	v_cndmask_b32_e64 v9, v55, v58, s[4:5]
	v_bfe_u32 v55, v54, 16, 1
	v_add3_u32 v55, v55, v54, s43
	v_or_b32_e32 v58, 0x400000, v54
	v_cmp_u_f32_e64 s[4:5], v54, v54
	v_mul_f32_e32 v53, s40, v53
	v_cndmask_b32_e64 v54, v55, v58, s[4:5]
	v_bfe_u32 v55, v53, 16, 1
	;; [unrolled: 6-line block ×13, first 2 shown]
	v_add3_u32 v55, v55, v42, s43
	v_or_b32_e32 v58, 0x400000, v42
	v_cmp_u_f32_e64 s[4:5], v42, v42
	v_cndmask_b32_e64 v42, v55, v58, s[4:5]
	v_and_b32_e32 v44, 0xffff0000, v44
	v_and_b32_e32 v42, 0xffff0000, v42
	;; [unrolled: 1-line block ×3, first 2 shown]
	v_mul_f32_e32 v44, v15, v44
	v_and_b32_e32 v43, 0xffff0000, v43
	v_fmac_f32_e32 v44, v13, v42
	v_mul_f32_e32 v42, v16, v45
	v_fmac_f32_e32 v42, v14, v43
	v_and_b32_e32 v43, 0xffff0000, v46
	v_and_b32_e32 v45, 0xffff0000, v47
	v_fmac_f32_e32 v44, v17, v43
	v_fmac_f32_e32 v42, v18, v45
	v_and_b32_e32 v43, 0xffff0000, v48
	v_and_b32_e32 v45, 0xffff0000, v49
	v_fmac_f32_e32 v44, v19, v43
	v_fmac_f32_e32 v42, v20, v45
	v_and_b32_e32 v43, 0xffff0000, v50
	v_and_b32_e32 v45, 0xffff0000, v51
	v_mul_f32_e32 v8, s40, v8
	v_fmac_f32_e32 v44, v21, v43
	v_fmac_f32_e32 v42, v23, v45
	v_and_b32_e32 v43, 0xffff0000, v52
	v_and_b32_e32 v45, 0xffff0000, v53
	v_bfe_u32 v55, v8, 16, 1
	v_fmac_f32_e32 v44, v24, v43
	v_fmac_f32_e32 v42, v25, v45
	v_and_b32_e32 v43, 0xffff0000, v54
	v_and_b32_e32 v9, 0xffff0000, v9
	v_add3_u32 v55, v55, v8, s43
	v_or_b32_e32 v58, 0x400000, v8
	v_cmp_u_f32_e64 s[4:5], v8, v8
	v_fmac_f32_e32 v44, v26, v43
	v_fmac_f32_e32 v42, v27, v9
	v_and_b32_e32 v9, 0xffff0000, v56
	v_and_b32_e32 v43, 0xffff0000, v57
	v_cndmask_b32_e64 v8, v55, v58, s[4:5]
	v_fmac_f32_e32 v44, v28, v9
	v_fmac_f32_e32 v42, v29, v43
	v_and_b32_e32 v7, 0xffff0000, v7
	v_and_b32_e32 v6, 0xffff0000, v6
	v_fmac_f32_e32 v44, v30, v7
	v_fmac_f32_e32 v42, v31, v6
	v_and_b32_e32 v5, 0xffff0000, v5
	v_and_b32_e32 v6, 0xffff0000, v8
	v_fmac_f32_e32 v44, v32, v5
	v_fmac_f32_e32 v42, v33, v6
	v_add_f32_e32 v5, v44, v42
	ds_bpermute_b32 v6, v35, v5
	s_waitcnt lgkmcnt(0)
	v_add_f32_e32 v5, v5, v6
	ds_bpermute_b32 v6, v36, v5
	s_and_saveexec_b64 s[16:17], vcc
	s_cbranch_execz .LBB303_8
; %bb.130:                              ;   in Loop: Header=BB303_9 Depth=1
	v_add_u32_e32 v7, s38, v37
	v_cvt_f32_i32_e32 v7, v7
	s_waitcnt lgkmcnt(0)
	v_add_f32_e32 v5, v5, v6
	v_cmp_gt_i32_e64 s[4:5], s30, v37
	v_max_f32_e32 v6, v34, v34
	v_mul_f32_e32 v7, s33, v7
	v_cndmask_b32_e64 v7, 0, v7, s[2:3]
	v_fmac_f32_e32 v7, s31, v5
	v_cndmask_b32_e64 v5, 0, v7, s[4:5]
	ds_write_b32 v38, v5
	v_max_f32_e32 v5, v6, v7
	v_cndmask_b32_e64 v34, v34, v5, s[4:5]
	s_branch .LBB303_8
.LBB303_131:
	s_or_b64 exec, exec, s[14:15]
	v_lshrrev_b32_e32 v35, 4, v0
.LBB303_132:
	s_or_b64 exec, exec, s[6:7]
	v_xor_b32_e32 v1, 32, v10
	v_cmp_lt_i32_e32 vcc, v1, v11
	v_cndmask_b32_e32 v1, v10, v1, vcc
	v_lshlrev_b32_e32 v2, 2, v1
	ds_bpermute_b32 v1, v2, v34
	v_xor_b32_e32 v4, 16, v10
	v_max_f32_e32 v3, v34, v34
	v_cmp_lt_i32_e32 vcc, v4, v11
	v_xor_b32_e32 v5, 8, v10
	s_waitcnt lgkmcnt(0)
	v_max_f32_e32 v1, v1, v1
	v_max_f32_e32 v1, v3, v1
	v_cndmask_b32_e32 v3, v10, v4, vcc
	v_lshlrev_b32_e32 v3, 2, v3
	ds_bpermute_b32 v4, v3, v1
	v_cmp_lt_i32_e32 vcc, v5, v11
	v_xor_b32_e32 v7, 4, v10
	s_waitcnt lgkmcnt(0)
	v_max_f32_e32 v4, v4, v4
	v_max_f32_e32 v1, v1, v4
	v_cndmask_b32_e32 v4, v10, v5, vcc
	v_lshlrev_b32_e32 v6, 2, v4
	ds_bpermute_b32 v4, v6, v1
	v_cmp_lt_i32_e32 vcc, v7, v11
	s_waitcnt lgkmcnt(0)
	v_max_f32_e32 v4, v4, v4
	v_max_f32_e32 v5, v1, v4
	v_cndmask_b32_e32 v1, v10, v7, vcc
	v_lshlrev_b32_e32 v7, 2, v1
	ds_bpermute_b32 v8, v7, v5
	v_and_b32_e32 v1, 63, v0
	v_cmp_eq_u32_e32 vcc, 0, v1
	v_lshlrev_b32_e32 v4, 2, v22
	s_and_saveexec_b64 s[2:3], vcc
	s_cbranch_execz .LBB303_134
; %bb.133:
	s_waitcnt lgkmcnt(0)
	v_max_f32_e32 v8, v8, v8
	v_max_f32_e32 v5, v5, v5
	;; [unrolled: 1-line block ×3, first 2 shown]
	ds_write_b32 v4, v5 offset:160
.LBB303_134:
	s_or_b64 exec, exec, s[2:3]
	v_cmp_gt_u32_e64 s[2:3], 2, v1
	s_waitcnt lgkmcnt(0)
	v_mov_b32_e32 v8, 0xff7fffff
	v_lshlrev_b32_e32 v5, 2, v1
	s_barrier
	s_and_saveexec_b64 s[4:5], s[2:3]
; %bb.135:
	ds_read_b32 v8, v5 offset:160
; %bb.136:
	s_or_b64 exec, exec, s[4:5]
	v_xor_b32_e32 v9, 1, v10
	v_cmp_lt_i32_e64 s[4:5], v9, v11
	v_cndmask_b32_e64 v9, v10, v9, s[4:5]
	v_lshlrev_b32_e32 v23, 2, v9
	s_waitcnt lgkmcnt(0)
	ds_bpermute_b32 v9, v23, v8
	v_max_f32_e32 v8, v8, v8
	s_lshl_b32 s4, s21, 4
	s_min_i32 s31, s4, s30
	v_cmp_gt_i32_e64 s[4:5], s31, v0
	s_waitcnt lgkmcnt(0)
	v_max_f32_e32 v9, v9, v9
	v_max_f32_e32 v8, v8, v9
	v_lshlrev_b32_e32 v9, 2, v12
	ds_bpermute_b32 v12, v9, v8
	v_mov_b32_e32 v8, 0
	s_and_saveexec_b64 s[14:15], s[4:5]
	s_cbranch_execz .LBB303_140
; %bb.137:
	v_mov_b32_e32 v8, 0xb0
	v_lshl_add_u32 v13, v0, 2, v8
	v_mov_b32_e32 v8, 0
	s_mov_b64 s[16:17], 0
	v_mov_b32_e32 v14, v0
.LBB303_138:                            ; =>This Inner Loop Header: Depth=1
	ds_read_b32 v9, v13
	v_add_u32_e32 v14, 0x80, v14
	v_cmp_le_i32_e64 s[6:7], s31, v14
	s_or_b64 s[16:17], s[6:7], s[16:17]
	s_waitcnt lgkmcnt(0)
	v_sub_f32_e32 v9, v9, v12
	v_mul_f32_e32 v9, 0x3fb8aa3b, v9
	v_exp_f32_e32 v9, v9
	ds_write_b32 v13, v9
	v_add_f32_e32 v8, v8, v9
	v_add_u32_e32 v13, 0x200, v13
	s_andn2_b64 exec, exec, s[16:17]
	s_cbranch_execnz .LBB303_138
; %bb.139:
	s_or_b64 exec, exec, s[16:17]
.LBB303_140:
	s_or_b64 exec, exec, s[14:15]
	ds_bpermute_b32 v2, v2, v8
	s_waitcnt lgkmcnt(0)
	v_add_f32_e32 v2, v8, v2
	ds_bpermute_b32 v3, v3, v2
	s_waitcnt lgkmcnt(0)
	v_add_f32_e32 v2, v2, v3
	ds_bpermute_b32 v3, v6, v2
	v_xor_b32_e32 v6, 2, v10
	v_cmp_lt_i32_e64 s[6:7], v6, v11
	v_cndmask_b32_e64 v6, v10, v6, s[6:7]
	s_waitcnt lgkmcnt(0)
	v_add_f32_e32 v2, v2, v3
	ds_bpermute_b32 v3, v7, v2
	s_waitcnt lgkmcnt(0)
	v_add_f32_e32 v2, v2, v3
	v_lshlrev_b32_e32 v3, 2, v6
	ds_bpermute_b32 v3, v3, v2
	s_waitcnt lgkmcnt(0)
	v_add_f32_e32 v2, v2, v3
	ds_bpermute_b32 v3, v23, v2
	s_waitcnt lgkmcnt(0)
	v_add_f32_e32 v2, v2, v3
	s_and_saveexec_b64 s[6:7], vcc
; %bb.141:
	ds_write_b32 v4, v2 offset:168
; %bb.142:
	s_or_b64 exec, exec, s[6:7]
	s_waitcnt lgkmcnt(0)
	s_barrier
	s_and_saveexec_b64 s[6:7], s[2:3]
; %bb.143:
	ds_read_b32 v2, v5 offset:168
; %bb.144:
	s_or_b64 exec, exec, s[6:7]
	s_waitcnt lgkmcnt(0)
	ds_bpermute_b32 v3, v23, v2
	v_lshlrev_b32_e32 v4, 2, v10
	s_waitcnt lgkmcnt(0)
	v_add_f32_e32 v2, v2, v3
	v_and_b32_e32 v3, 0xffffff00, v4
	ds_bpermute_b32 v2, v3, v2
	s_and_saveexec_b64 s[2:3], s[4:5]
	s_cbranch_execz .LBB303_147
; %bb.145:
	s_waitcnt lgkmcnt(0)
	v_add_f32_e32 v3, 0x358637bd, v2
	v_div_scale_f32 v2, s[4:5], v3, v3, 1.0
	v_div_scale_f32 v4, vcc, 1.0, v3, 1.0
	s_mov_b64 s[4:5], 0
	v_rcp_f32_e32 v5, v2
	v_fma_f32 v6, -v2, v5, 1.0
	v_fmac_f32_e32 v5, v6, v5
	v_mul_f32_e32 v6, v4, v5
	v_fma_f32 v7, -v2, v6, v4
	v_fmac_f32_e32 v6, v7, v5
	v_fma_f32 v2, -v2, v6, v4
	v_div_fmas_f32 v4, v2, v5, v6
	v_mov_b32_e32 v2, 0xb0
	v_lshl_add_u32 v2, v0, 2, v2
	v_div_fixup_f32 v3, v4, v3, 1.0
	v_mov_b32_e32 v4, v0
.LBB303_146:                            ; =>This Inner Loop Header: Depth=1
	ds_read_b32 v5, v2
	v_add_u32_e32 v4, 0x80, v4
	v_cmp_le_i32_e32 vcc, s31, v4
	s_or_b64 s[4:5], vcc, s[4:5]
	s_waitcnt lgkmcnt(0)
	v_mul_f32_e32 v5, v3, v5
	ds_write_b32 v2, v5
	v_add_u32_e32 v2, 0x200, v2
	s_andn2_b64 exec, exec, s[4:5]
	s_cbranch_execnz .LBB303_146
.LBB303_147:
	s_or_b64 exec, exec, s[2:3]
	v_lshrrev_b32_e32 v24, 1, v1
	s_waitcnt lgkmcnt(0)
	s_barrier
	s_and_saveexec_b64 s[2:3], s[0:1]
	s_xor_b64 s[0:1], exec, s[2:3]
; %bb.148:
	v_lshrrev_b32_e32 v24, 1, v1
                                        ; implicit-def: $vgpr22
                                        ; implicit-def: $vgpr35
; %bb.149:
	s_or_saveexec_b64 s[4:5], s[0:1]
	v_mov_b32_e32 v28, 0
	v_and_b32_e32 v25, 1, v0
	v_mov_b32_e32 v29, 0
	v_mov_b32_e32 v31, 0
	s_xor_b64 exec, exec, s[4:5]
	s_cbranch_execz .LBB303_305
; %bb.150:
	s_ashr_i32 s0, s12, 31
	v_lshlrev_b32_e32 v1, 3, v0
	s_add_u32 s2, s28, s12
	v_and_b32_e32 v1, 8, v1
	s_addc_u32 s3, s29, s0
	v_or_b32_e32 v2, 64, v24
	s_movk_i32 s0, 0x50
	v_cmp_gt_u32_e32 vcc, s0, v2
	v_lshl_or_b32 v27, v2, 4, v1
	v_lshlrev_b32_e32 v2, 4, v22
	s_add_i32 s28, s21, -1
	v_lshl_or_b32 v26, v24, 4, v1
	s_load_dword s29, s[18:19], 0x0
	v_or3_b32 v30, v2, v1, 7
	v_lshlrev_b32_e32 v1, 5, v25
	s_lshl_b64 s[0:1], s[26:27], 2
	v_lshl_or_b32 v1, v22, 6, v1
	s_add_u32 s0, s24, s0
	v_add_u32_e32 v32, 0xb0, v1
	v_and_b32_e32 v1, 60, v35
	s_addc_u32 s1, s25, s1
	s_mov_b32 s6, -1
	v_mov_b32_e32 v2, s1
	v_add_co_u32_e64 v11, s[0:1], s0, v1
	v_mov_b32_e32 v14, s3
	s_mov_b32 s31, s13
	s_mov_b32 s7, 0xffffff
	v_mov_b32_e32 v10, 0
	v_addc_co_u32_e64 v12, s[0:1], 0, v2, s[0:1]
	s_mov_b64 s[12:13], 0
	v_mov_b32_e32 v13, s2
	s_movk_i32 s26, 0x80
	s_movk_i32 s27, 0x7f
	;; [unrolled: 1-line block ×3, first 2 shown]
	s_mov_b32 s34, 0x7060302
	v_bfrev_b32_e32 v33, 60
	v_mov_b32_e32 v31, 0
	v_mov_b32_e32 v29, 0
	;; [unrolled: 1-line block ×3, first 2 shown]
	s_branch .LBB303_153
.LBB303_151:                            ;   in Loop: Header=BB303_153 Depth=1
	s_or_b64 exec, exec, s[2:3]
	v_lshlrev_b32_e32 v9, 16, v7
	v_lshlrev_b32_e32 v40, 16, v47
	v_mul_f32_e32 v9, v9, v40
	v_bfe_u32 v40, v9, 16, 1
	v_add3_u32 v40, v40, v9, s33
	v_or_b32_e32 v47, 0x400000, v9
	v_cmp_u_f32_e64 s[0:1], v9, v9
	v_cndmask_b32_e64 v9, v40, v47, s[0:1]
	v_and_b32_e32 v40, 0xffff0000, v7
	v_lshlrev_b32_e32 v46, 16, v46
	v_mul_f32_e32 v40, v40, v46
	v_bfe_u32 v46, v40, 16, 1
	v_add3_u32 v46, v46, v40, s33
	v_or_b32_e32 v47, 0x400000, v40
	v_cmp_u_f32_e64 s[0:1], v40, v40
	v_cndmask_b32_e64 v40, v46, v47, s[0:1]
	v_lshlrev_b32_e32 v46, 16, v6
	v_lshlrev_b32_e32 v16, 16, v16
	v_mul_f32_e32 v16, v46, v16
	v_bfe_u32 v46, v16, 16, 1
	v_add3_u32 v46, v46, v16, s33
	v_or_b32_e32 v47, 0x400000, v16
	v_cmp_u_f32_e64 s[0:1], v16, v16
	v_cndmask_b32_e64 v16, v46, v47, s[0:1]
	v_and_b32_e32 v46, 0xffff0000, v6
	v_lshlrev_b32_e32 v3, 16, v3
	v_mul_f32_e32 v3, v46, v3
	v_bfe_u32 v46, v3, 16, 1
	v_add3_u32 v46, v46, v3, s33
	v_or_b32_e32 v47, 0x400000, v3
	v_cmp_u_f32_e64 s[0:1], v3, v3
	v_cndmask_b32_e64 v3, v46, v47, s[0:1]
	;; [unrolled: 16-line block ×3, first 2 shown]
	v_lshlrev_b32_e32 v46, 16, v4
	v_lshlrev_b32_e32 v15, 16, v15
	v_mul_f32_e32 v15, v46, v15
	v_bfe_u32 v46, v15, 16, 1
	v_add3_u32 v46, v46, v15, s33
	v_or_b32_e32 v47, 0x400000, v15
	v_cmp_u_f32_e64 s[0:1], v15, v15
	v_cndmask_b32_e64 v15, v46, v47, s[0:1]
	v_and_b32_e32 v46, 0xffff0000, v4
	v_lshlrev_b32_e32 v8, 16, v8
	v_mul_f32_e32 v8, v46, v8
	v_bfe_u32 v46, v8, 16, 1
	v_and_b32_e32 v40, 0xffff0000, v40
	v_and_b32_e32 v9, 0xffff0000, v9
	;; [unrolled: 1-line block ×4, first 2 shown]
	v_add3_u32 v46, v46, v8, s33
	v_or_b32_e32 v47, 0x400000, v8
	v_cmp_u_f32_e64 s[0:1], v8, v8
	v_add_f32_e32 v9, v9, v40
	v_add_f32_e32 v3, v16, v3
	v_and_b32_e32 v1, 0xffff0000, v1
	v_and_b32_e32 v2, 0xffff0000, v2
	v_cndmask_b32_e64 v8, v46, v47, s[0:1]
	v_add_f32_e32 v3, v3, v9
	v_add_f32_e32 v1, v2, v1
	;; [unrolled: 1-line block ×3, first 2 shown]
	v_and_b32_e32 v2, 0xffff0000, v8
	v_and_b32_e32 v3, 0xffff0000, v15
	v_add_f32_e32 v2, v3, v2
	v_add_f32_e32 v1, v2, v1
	;; [unrolled: 1-line block ×3, first 2 shown]
.LBB303_152:                            ;   in Loop: Header=BB303_153 Depth=1
	s_or_b64 exec, exec, s[14:15]
	v_and_b32_e32 v1, 0xffff0000, v7
	v_lshlrev_b32_e32 v2, 16, v44
	v_mul_f32_e32 v2, v1, v2
	v_bfe_u32 v3, v2, 16, 1
	v_add3_u32 v3, v3, v2, s33
	v_or_b32_e32 v8, 0x400000, v2
	v_cmp_u_f32_e64 s[0:1], v2, v2
	v_cndmask_b32_e64 v2, v3, v8, s[0:1]
	v_lshlrev_b32_e32 v3, 16, v7
	v_lshlrev_b32_e32 v7, 16, v45
	v_mul_f32_e32 v7, v3, v7
	v_bfe_u32 v8, v7, 16, 1
	v_add3_u32 v8, v8, v7, s33
	v_or_b32_e32 v9, 0x400000, v7
	v_cmp_u_f32_e64 s[0:1], v7, v7
	v_cndmask_b32_e64 v7, v8, v9, s[0:1]
	v_and_b32_e32 v8, 0xffff0000, v6
	v_lshlrev_b32_e32 v9, 16, v41
	v_mul_f32_e32 v9, v8, v9
	v_bfe_u32 v15, v9, 16, 1
	v_add3_u32 v15, v15, v9, s33
	v_or_b32_e32 v16, 0x400000, v9
	v_cmp_u_f32_e64 s[0:1], v9, v9
	v_cndmask_b32_e64 v9, v15, v16, s[0:1]
	v_lshlrev_b32_e32 v6, 16, v6
	v_lshlrev_b32_e32 v15, 16, v42
	v_mul_f32_e32 v15, v6, v15
	v_bfe_u32 v16, v15, 16, 1
	v_add3_u32 v16, v16, v15, s33
	v_or_b32_e32 v40, 0x400000, v15
	v_cmp_u_f32_e64 s[0:1], v15, v15
	v_cndmask_b32_e64 v15, v16, v40, s[0:1]
	v_and_b32_e32 v16, 0xffff0000, v5
	v_lshlrev_b32_e32 v17, 16, v17
	v_mul_f32_e32 v17, v16, v17
	v_bfe_u32 v40, v17, 16, 1
	v_lshlrev_b32_e32 v5, 16, v5
	v_lshlrev_b32_e32 v18, 16, v18
	v_add3_u32 v40, v40, v17, s33
	v_or_b32_e32 v41, 0x400000, v17
	v_cmp_u_f32_e64 s[0:1], v17, v17
	v_mul_f32_e32 v18, v5, v18
	v_cndmask_b32_e64 v17, v40, v41, s[0:1]
	v_bfe_u32 v40, v18, 16, 1
	v_add3_u32 v40, v40, v18, s33
	v_or_b32_e32 v41, 0x400000, v18
	v_cmp_u_f32_e64 s[0:1], v18, v18
	v_cndmask_b32_e64 v18, v40, v41, s[0:1]
	v_and_b32_e32 v40, 0xffff0000, v4
	v_lshlrev_b32_e32 v41, 16, v43
	v_mul_f32_e32 v41, v40, v41
	v_bfe_u32 v42, v41, 16, 1
	v_lshlrev_b32_e32 v4, 16, v4
	v_lshlrev_b32_e32 v19, 16, v19
	v_and_b32_e32 v7, 0xffff0000, v7
	v_and_b32_e32 v2, 0xffff0000, v2
	v_add3_u32 v42, v42, v41, s33
	v_or_b32_e32 v43, 0x400000, v41
	v_cmp_u_f32_e64 s[0:1], v41, v41
	v_mul_f32_e32 v19, v4, v19
	v_add_f32_e32 v2, v7, v2
	v_and_b32_e32 v7, 0xffff0000, v15
	v_and_b32_e32 v9, 0xffff0000, v9
	v_cndmask_b32_e64 v41, v42, v43, s[0:1]
	v_bfe_u32 v42, v19, 16, 1
	v_add_f32_e32 v7, v7, v9
	v_add3_u32 v42, v42, v19, s33
	v_or_b32_e32 v43, 0x400000, v19
	v_cmp_u_f32_e64 s[0:1], v19, v19
	v_add_f32_e32 v2, v7, v2
	v_and_b32_e32 v7, 0xffff0000, v18
	v_and_b32_e32 v9, 0xffff0000, v17
	v_cndmask_b32_e64 v19, v42, v43, s[0:1]
	v_add_f32_e32 v7, v7, v9
	v_add_f32_e32 v2, v7, v2
	v_and_b32_e32 v7, 0xffff0000, v19
	v_and_b32_e32 v9, 0xffff0000, v41
	v_add_f32_e32 v7, v7, v9
	v_add_f32_e32 v2, v7, v2
	;; [unrolled: 1-line block ×3, first 2 shown]
	v_lshlrev_b32_e32 v2, 16, v38
	v_mul_f32_e32 v1, v1, v2
	v_bfe_u32 v2, v1, 16, 1
	v_add3_u32 v2, v2, v1, s33
	v_or_b32_e32 v7, 0x400000, v1
	v_cmp_u_f32_e64 s[0:1], v1, v1
	v_cndmask_b32_e64 v1, v2, v7, s[0:1]
	v_lshlrev_b32_e32 v2, 16, v39
	v_mul_f32_e32 v2, v3, v2
	v_bfe_u32 v3, v2, 16, 1
	v_add3_u32 v3, v3, v2, s33
	v_or_b32_e32 v7, 0x400000, v2
	v_cmp_u_f32_e64 s[0:1], v2, v2
	v_cndmask_b32_e64 v2, v3, v7, s[0:1]
	;; [unrolled: 7-line block ×7, first 2 shown]
	v_lshlrev_b32_e32 v9, 16, v34
	v_and_b32_e32 v2, 0xffff0000, v2
	v_and_b32_e32 v1, 0xffff0000, v1
	v_mul_f32_e32 v4, v4, v9
	v_add_f32_e32 v1, v2, v1
	v_and_b32_e32 v2, 0xffff0000, v6
	v_and_b32_e32 v3, 0xffff0000, v3
	v_bfe_u32 v9, v4, 16, 1
	v_add_f32_e32 v2, v2, v3
	v_add3_u32 v9, v9, v4, s33
	v_or_b32_e32 v15, 0x400000, v4
	v_cmp_u_f32_e64 s[0:1], v4, v4
	v_add_f32_e32 v1, v2, v1
	v_and_b32_e32 v2, 0xffff0000, v5
	v_and_b32_e32 v3, 0xffff0000, v7
	v_cndmask_b32_e64 v4, v9, v15, s[0:1]
	v_add_f32_e32 v2, v2, v3
	v_add_f32_e32 v1, v2, v1
	v_and_b32_e32 v2, 0xffff0000, v4
	v_and_b32_e32 v3, 0xffff0000, v8
	v_add_u32_e32 v22, 2, v22
	v_add_f32_e32 v2, v2, v3
	v_cmp_le_i32_e64 s[0:1], s21, v22
	v_add_f32_e32 v1, v2, v1
	s_or_b64 s[12:13], s[0:1], s[12:13]
	v_add_co_u32_e64 v11, s[0:1], 8, v11
	v_add_f32_e32 v28, v28, v1
	v_add_u32_e32 v30, 32, v30
	v_add_u32_e32 v32, 0x80, v32
	v_addc_co_u32_e64 v12, s[0:1], 0, v12, s[0:1]
	s_andn2_b64 exec, exec, s[12:13]
	s_cbranch_execz .LBB303_304
.LBB303_153:                            ; =>This Inner Loop Header: Depth=1
	global_load_dword v1, v[11:12], off
	v_mov_b32_e32 v34, 0
	s_waitcnt vmcnt(0)
	v_mad_i64_i32 v[15:16], s[0:1], v1, s31, v[13:14]
	v_add_co_u32_e64 v17, s[0:1], v15, v26
	v_addc_co_u32_e64 v18, s[0:1], 0, v16, s[0:1]
	global_load_dwordx2 v[19:20], v[17:18], off
	ds_read2_b64 v[5:8], v32 offset1:1
	ds_read2_b64 v[1:4], v32 offset0:2 offset1:3
	s_waitcnt vmcnt(0)
	v_cmp_ne_u16_sdwa s[0:1], v19, v10 src0_sel:BYTE_0 src1_sel:DWORD
	s_and_saveexec_b64 s[2:3], s[0:1]
	s_cbranch_execz .LBB303_159
; %bb.154:                              ;   in Loop: Header=BB303_153 Depth=1
	v_cmp_ne_u16_sdwa s[0:1], v19, s26 src0_sel:BYTE_0 src1_sel:DWORD
	v_bfrev_b32_e32 v34, 1
	s_and_saveexec_b64 s[14:15], s[0:1]
	s_cbranch_execz .LBB303_158
; %bb.155:                              ;   in Loop: Header=BB303_153 Depth=1
	v_and_b32_e32 v9, 0x7f, v19
	v_cmp_ne_u32_e64 s[0:1], s27, v9
	v_mov_b32_e32 v34, 0x7f800001
	s_and_saveexec_b64 s[16:17], s[0:1]
	s_cbranch_execz .LBB303_157
; %bb.156:                              ;   in Loop: Header=BB303_153 Depth=1
	v_and_b32_e32 v21, 7, v19
	v_ffbh_u32_e32 v21, v21
	v_min_u32_e32 v21, 32, v21
	v_lshrrev_b32_e32 v34, 3, v9
	v_subrev_u32_e32 v35, 28, v21
	v_sub_u32_e32 v21, 29, v21
	v_cmp_gt_u32_e64 s[0:1], 8, v9
	v_cndmask_b32_e64 v9, v34, v21, s[0:1]
	v_cndmask_b32_e64 v21, 0, v35, s[0:1]
	v_lshlrev_b64 v[34:35], v21, v[19:20]
	v_lshl_add_u32 v9, v9, 23, v33
	v_lshlrev_b32_e32 v21, 20, v34
	v_lshlrev_b32_e32 v34, 24, v19
	v_and_b32_e32 v21, 0x700000, v21
	v_and_b32_e32 v34, 0x80000000, v34
	v_or3_b32 v34, v34, v9, v21
.LBB303_157:                            ;   in Loop: Header=BB303_153 Depth=1
	s_or_b64 exec, exec, s[16:17]
.LBB303_158:                            ;   in Loop: Header=BB303_153 Depth=1
	s_or_b64 exec, exec, s[14:15]
.LBB303_159:                            ;   in Loop: Header=BB303_153 Depth=1
	s_or_b64 exec, exec, s[2:3]
	v_lshrrev_b16_e32 v9, 8, v19
	v_cmp_ne_u16_e64 s[0:1], 0, v9
	v_mov_b32_e32 v36, 0
	v_mov_b32_e32 v37, 0
	s_and_saveexec_b64 s[2:3], s[0:1]
	s_cbranch_execz .LBB303_165
; %bb.160:                              ;   in Loop: Header=BB303_153 Depth=1
	v_cmp_ne_u16_e64 s[0:1], s26, v9
	v_bfrev_b32_e32 v37, 1
	s_and_saveexec_b64 s[14:15], s[0:1]
	s_cbranch_execz .LBB303_164
; %bb.161:                              ;   in Loop: Header=BB303_153 Depth=1
	v_and_b32_e32 v21, 0x7f, v9
	v_cmp_ne_u32_e64 s[0:1], s27, v21
	v_mov_b32_e32 v37, 0x7f800001
	s_and_saveexec_b64 s[16:17], s[0:1]
	s_cbranch_execz .LBB303_163
; %bb.162:                              ;   in Loop: Header=BB303_153 Depth=1
	v_and_b32_e32 v35, 7, v9
	v_ffbh_u32_e32 v37, v35
	v_min_u32_e32 v40, 32, v37
	v_subrev_u32_e32 v37, 28, v40
	v_lshlrev_b64 v[37:38], v37, v[9:10]
	v_lshrrev_b32_e32 v39, 3, v21
	v_sub_u32_e32 v9, 29, v40
	v_and_b32_e32 v37, 7, v37
	v_cmp_gt_u32_e64 s[0:1], 8, v21
	v_cndmask_b32_e64 v9, v39, v9, s[0:1]
	v_cndmask_b32_e64 v21, v35, v37, s[0:1]
	v_lshlrev_b32_e32 v35, 16, v19
	v_lshlrev_b32_e32 v21, 20, v21
	v_and_b32_e32 v35, 0x80000000, v35
	v_lshl_add_u32 v9, v9, 23, v33
	v_or3_b32 v37, v35, v9, v21
.LBB303_163:                            ;   in Loop: Header=BB303_153 Depth=1
	s_or_b64 exec, exec, s[16:17]
.LBB303_164:                            ;   in Loop: Header=BB303_153 Depth=1
	s_or_b64 exec, exec, s[14:15]
.LBB303_165:                            ;   in Loop: Header=BB303_153 Depth=1
	s_or_b64 exec, exec, s[2:3]
	v_lshrrev_b32_e32 v9, 16, v19
	v_cmp_ne_u16_sdwa s[0:1], v9, v10 src0_sel:BYTE_0 src1_sel:DWORD
	s_and_saveexec_b64 s[2:3], s[0:1]
	s_cbranch_execz .LBB303_171
; %bb.166:                              ;   in Loop: Header=BB303_153 Depth=1
	v_cmp_ne_u16_sdwa s[0:1], v9, s26 src0_sel:BYTE_0 src1_sel:DWORD
	v_bfrev_b32_e32 v36, 1
	s_and_saveexec_b64 s[14:15], s[0:1]
	s_cbranch_execz .LBB303_170
; %bb.167:                              ;   in Loop: Header=BB303_153 Depth=1
	v_bfe_u32 v21, v19, 16, 7
	v_cmp_ne_u32_e64 s[0:1], s27, v21
	v_mov_b32_e32 v36, 0x7f800001
	s_and_saveexec_b64 s[16:17], s[0:1]
	s_cbranch_execz .LBB303_169
; %bb.168:                              ;   in Loop: Header=BB303_153 Depth=1
	v_and_b32_e32 v38, 7, v9
	v_ffbh_u32_e32 v35, v38
	v_min_u32_e32 v40, 32, v35
	v_subrev_u32_e32 v35, 28, v40
	v_lshlrev_b64 v[35:36], v35, v[9:10]
	v_lshrrev_b32_e32 v39, 3, v21
	v_sub_u32_e32 v36, 29, v40
	v_and_b32_e32 v35, 7, v35
	v_cmp_gt_u32_e64 s[0:1], 8, v21
	v_cndmask_b32_e64 v21, v39, v36, s[0:1]
	v_cndmask_b32_e64 v35, v38, v35, s[0:1]
	v_lshlrev_b32_e32 v9, 24, v9
	v_lshlrev_b32_e32 v35, 20, v35
	v_and_b32_e32 v9, 0x80000000, v9
	v_lshl_add_u32 v21, v21, 23, v33
	v_or3_b32 v36, v9, v21, v35
.LBB303_169:                            ;   in Loop: Header=BB303_153 Depth=1
	s_or_b64 exec, exec, s[16:17]
.LBB303_170:                            ;   in Loop: Header=BB303_153 Depth=1
	s_or_b64 exec, exec, s[14:15]
.LBB303_171:                            ;   in Loop: Header=BB303_153 Depth=1
	s_or_b64 exec, exec, s[2:3]
	v_cmp_lt_u32_e64 s[0:1], s7, v19
	v_mov_b32_e32 v38, 0
	v_mov_b32_e32 v35, 0
	s_and_saveexec_b64 s[2:3], s[0:1]
	s_cbranch_execz .LBB303_177
; %bb.172:                              ;   in Loop: Header=BB303_153 Depth=1
	v_lshrrev_b32_e32 v9, 24, v19
	v_cmp_ne_u32_e64 s[0:1], s26, v9
	v_bfrev_b32_e32 v35, 1
	s_and_saveexec_b64 s[14:15], s[0:1]
	s_cbranch_execz .LBB303_176
; %bb.173:                              ;   in Loop: Header=BB303_153 Depth=1
	v_bfe_u32 v21, v19, 24, 7
	v_cmp_ne_u32_e64 s[0:1], s27, v21
	v_mov_b32_e32 v35, 0x7f800001
	s_and_saveexec_b64 s[16:17], s[0:1]
	s_cbranch_execz .LBB303_175
; %bb.174:                              ;   in Loop: Header=BB303_153 Depth=1
	v_and_b32_e32 v35, 7, v9
	v_ffbh_u32_e32 v39, v35
	v_min_u32_e32 v42, 32, v39
	v_subrev_u32_e32 v39, 28, v42
	v_lshlrev_b64 v[39:40], v39, v[9:10]
	v_lshrrev_b32_e32 v41, 3, v21
	v_sub_u32_e32 v40, 29, v42
	v_and_b32_e32 v39, 7, v39
	v_cmp_gt_u32_e64 s[0:1], 8, v21
	v_cndmask_b32_e64 v21, v41, v40, s[0:1]
	v_cndmask_b32_e64 v35, v35, v39, s[0:1]
	v_lshlrev_b32_e32 v9, 24, v9
	v_lshlrev_b32_e32 v35, 20, v35
	v_and_b32_e32 v9, 0x80000000, v9
	v_lshl_add_u32 v21, v21, 23, v33
	v_or3_b32 v35, v9, v21, v35
.LBB303_175:                            ;   in Loop: Header=BB303_153 Depth=1
	s_or_b64 exec, exec, s[16:17]
.LBB303_176:                            ;   in Loop: Header=BB303_153 Depth=1
	s_or_b64 exec, exec, s[14:15]
.LBB303_177:                            ;   in Loop: Header=BB303_153 Depth=1
	s_or_b64 exec, exec, s[2:3]
	v_mov_b32_e32 v9, v20
	v_cmp_ne_u16_sdwa s[0:1], v20, v10 src0_sel:BYTE_0 src1_sel:DWORD
	s_and_saveexec_b64 s[2:3], s[0:1]
	s_cbranch_execz .LBB303_183
; %bb.178:                              ;   in Loop: Header=BB303_153 Depth=1
	v_cmp_ne_u16_sdwa s[0:1], v20, s26 src0_sel:BYTE_0 src1_sel:DWORD
	v_bfrev_b32_e32 v38, 1
	s_and_saveexec_b64 s[14:15], s[0:1]
	s_cbranch_execz .LBB303_182
; %bb.179:                              ;   in Loop: Header=BB303_153 Depth=1
	v_and_b32_e32 v21, 0x7f, v20
	v_cmp_ne_u32_e64 s[0:1], s27, v21
	v_mov_b32_e32 v38, 0x7f800001
	s_and_saveexec_b64 s[16:17], s[0:1]
	s_cbranch_execz .LBB303_181
; %bb.180:                              ;   in Loop: Header=BB303_153 Depth=1
	v_and_b32_e32 v38, 7, v20
	v_ffbh_u32_e32 v38, v38
	v_min_u32_e32 v38, 32, v38
	v_lshrrev_b32_e32 v39, 3, v21
	v_subrev_u32_e32 v40, 28, v38
	v_sub_u32_e32 v38, 29, v38
	v_cmp_gt_u32_e64 s[0:1], 8, v21
	v_cndmask_b32_e64 v21, v39, v38, s[0:1]
	v_cndmask_b32_e64 v38, 0, v40, s[0:1]
	v_lshlrev_b64 v[38:39], v38, v[9:10]
	v_lshlrev_b32_e32 v39, 24, v9
	v_lshlrev_b32_e32 v38, 20, v38
	v_and_b32_e32 v38, 0x700000, v38
	v_and_b32_e32 v39, 0x80000000, v39
	v_lshl_add_u32 v21, v21, 23, v33
	v_or3_b32 v38, v39, v21, v38
.LBB303_181:                            ;   in Loop: Header=BB303_153 Depth=1
	s_or_b64 exec, exec, s[16:17]
.LBB303_182:                            ;   in Loop: Header=BB303_153 Depth=1
	s_or_b64 exec, exec, s[14:15]
.LBB303_183:                            ;   in Loop: Header=BB303_153 Depth=1
	s_or_b64 exec, exec, s[2:3]
	v_lshrrev_b16_e32 v21, 8, v9
	v_cmp_ne_u16_e64 s[0:1], 0, v21
	v_mov_b32_e32 v41, 0
	v_mov_b32_e32 v39, 0
	s_and_saveexec_b64 s[2:3], s[0:1]
	s_cbranch_execz .LBB303_189
; %bb.184:                              ;   in Loop: Header=BB303_153 Depth=1
	v_cmp_ne_u16_e64 s[0:1], s26, v21
	v_bfrev_b32_e32 v39, 1
	s_and_saveexec_b64 s[14:15], s[0:1]
	s_cbranch_execz .LBB303_188
; %bb.185:                              ;   in Loop: Header=BB303_153 Depth=1
	v_and_b32_e32 v40, 0x7f, v21
	v_cmp_ne_u32_e64 s[0:1], s27, v40
	v_mov_b32_e32 v39, 0x7f800001
	s_and_saveexec_b64 s[16:17], s[0:1]
	s_cbranch_execz .LBB303_187
; %bb.186:                              ;   in Loop: Header=BB303_153 Depth=1
	v_and_b32_e32 v39, 7, v21
	v_ffbh_u32_e32 v42, v39
	v_min_u32_e32 v45, 32, v42
	v_subrev_u32_e32 v42, 28, v45
	v_lshlrev_b64 v[42:43], v42, v[21:22]
	v_lshrrev_b32_e32 v44, 3, v40
	v_sub_u32_e32 v21, 29, v45
	v_and_b32_e32 v42, 7, v42
	v_cmp_gt_u32_e64 s[0:1], 8, v40
	v_cndmask_b32_e64 v21, v44, v21, s[0:1]
	v_cndmask_b32_e64 v39, v39, v42, s[0:1]
	v_lshlrev_b32_e32 v9, 16, v9
	v_lshlrev_b32_e32 v39, 20, v39
	v_and_b32_e32 v9, 0x80000000, v9
	v_lshl_add_u32 v21, v21, 23, v33
	v_or3_b32 v39, v9, v21, v39
.LBB303_187:                            ;   in Loop: Header=BB303_153 Depth=1
	s_or_b64 exec, exec, s[16:17]
.LBB303_188:                            ;   in Loop: Header=BB303_153 Depth=1
	s_or_b64 exec, exec, s[14:15]
.LBB303_189:                            ;   in Loop: Header=BB303_153 Depth=1
	s_or_b64 exec, exec, s[2:3]
	v_lshrrev_b32_e32 v9, 16, v20
	v_cmp_ne_u16_sdwa s[0:1], v9, v10 src0_sel:BYTE_0 src1_sel:DWORD
	s_and_saveexec_b64 s[2:3], s[0:1]
	s_cbranch_execz .LBB303_195
; %bb.190:                              ;   in Loop: Header=BB303_153 Depth=1
	v_cmp_ne_u16_sdwa s[0:1], v9, s26 src0_sel:BYTE_0 src1_sel:DWORD
	v_bfrev_b32_e32 v41, 1
	s_and_saveexec_b64 s[14:15], s[0:1]
	s_cbranch_execz .LBB303_194
; %bb.191:                              ;   in Loop: Header=BB303_153 Depth=1
	v_bfe_u32 v21, v20, 16, 7
	v_cmp_ne_u32_e64 s[0:1], s27, v21
	v_mov_b32_e32 v41, 0x7f800001
	s_and_saveexec_b64 s[16:17], s[0:1]
	s_cbranch_execz .LBB303_193
; %bb.192:                              ;   in Loop: Header=BB303_153 Depth=1
	v_and_b32_e32 v42, 7, v9
	v_ffbh_u32_e32 v40, v42
	v_min_u32_e32 v44, 32, v40
	v_subrev_u32_e32 v40, 28, v44
	v_lshlrev_b64 v[40:41], v40, v[9:10]
	v_lshrrev_b32_e32 v43, 3, v21
	v_sub_u32_e32 v41, 29, v44
	v_and_b32_e32 v40, 7, v40
	v_cmp_gt_u32_e64 s[0:1], 8, v21
	v_cndmask_b32_e64 v21, v43, v41, s[0:1]
	v_cndmask_b32_e64 v40, v42, v40, s[0:1]
	v_lshlrev_b32_e32 v9, 24, v9
	v_lshlrev_b32_e32 v40, 20, v40
	v_and_b32_e32 v9, 0x80000000, v9
	v_lshl_add_u32 v21, v21, 23, v33
	v_or3_b32 v41, v9, v21, v40
.LBB303_193:                            ;   in Loop: Header=BB303_153 Depth=1
	s_or_b64 exec, exec, s[16:17]
.LBB303_194:                            ;   in Loop: Header=BB303_153 Depth=1
	s_or_b64 exec, exec, s[14:15]
.LBB303_195:                            ;   in Loop: Header=BB303_153 Depth=1
	s_or_b64 exec, exec, s[2:3]
	v_cmp_lt_u64_e64 s[0:1], s[6:7], v[19:20]
	v_mov_b32_e32 v19, 0
	s_and_saveexec_b64 s[2:3], s[0:1]
	s_cbranch_execz .LBB303_201
; %bb.196:                              ;   in Loop: Header=BB303_153 Depth=1
	v_lshrrev_b32_e32 v9, 24, v20
	v_cmp_ne_u32_e64 s[0:1], s26, v9
	v_bfrev_b32_e32 v19, 1
	s_and_saveexec_b64 s[14:15], s[0:1]
	s_cbranch_execz .LBB303_200
; %bb.197:                              ;   in Loop: Header=BB303_153 Depth=1
	v_bfe_u32 v20, v20, 24, 7
	v_cmp_ne_u32_e64 s[0:1], s27, v20
	v_mov_b32_e32 v19, 0x7f800001
	s_and_saveexec_b64 s[16:17], s[0:1]
	s_cbranch_execz .LBB303_199
; %bb.198:                              ;   in Loop: Header=BB303_153 Depth=1
	v_and_b32_e32 v19, 7, v9
	v_ffbh_u32_e32 v40, v19
	v_min_u32_e32 v40, 32, v40
	v_subrev_u32_e32 v42, 28, v40
	v_lshlrev_b64 v[42:43], v42, v[9:10]
	v_lshrrev_b32_e32 v21, 3, v20
	v_sub_u32_e32 v40, 29, v40
	v_and_b32_e32 v42, 7, v42
	v_cmp_gt_u32_e64 s[0:1], 8, v20
	v_cndmask_b32_e64 v20, v21, v40, s[0:1]
	v_cndmask_b32_e64 v19, v19, v42, s[0:1]
	v_lshlrev_b32_e32 v9, 24, v9
	v_lshlrev_b32_e32 v19, 20, v19
	v_and_b32_e32 v9, 0x80000000, v9
	v_lshl_add_u32 v20, v20, 23, v33
	v_or3_b32 v19, v9, v20, v19
.LBB303_199:                            ;   in Loop: Header=BB303_153 Depth=1
	s_or_b64 exec, exec, s[16:17]
.LBB303_200:                            ;   in Loop: Header=BB303_153 Depth=1
	s_or_b64 exec, exec, s[14:15]
.LBB303_201:                            ;   in Loop: Header=BB303_153 Depth=1
	s_or_b64 exec, exec, s[2:3]
	s_waitcnt lgkmcnt(0)
	v_mul_f32_e32 v9, s29, v39
	v_bfe_u32 v20, v9, 16, 1
	v_add3_u32 v20, v20, v9, s33
	v_or_b32_e32 v21, 0x400000, v9
	v_cmp_u_f32_e64 s[2:3], v9, v9
	v_cndmask_b32_e64 v9, v20, v21, s[2:3]
	v_lshrrev_b32_e32 v20, 16, v9
	v_mul_f32_e32 v9, s29, v38
	v_bfe_u32 v21, v9, 16, 1
	v_add3_u32 v21, v21, v9, s33
	v_or_b32_e32 v38, 0x400000, v9
	v_cmp_u_f32_e64 s[2:3], v9, v9
	v_cndmask_b32_e64 v9, v21, v38, s[2:3]
	v_lshrrev_b32_e32 v21, 16, v9
	;; [unrolled: 7-line block ×7, first 2 shown]
	v_mul_f32_e32 v9, s29, v19
	v_bfe_u32 v19, v9, 16, 1
	v_add3_u32 v19, v19, v9, s33
	v_or_b32_e32 v37, 0x400000, v9
	v_cmp_u_f32_e64 s[2:3], v9, v9
	v_cndmask_b32_e64 v9, v19, v37, s[2:3]
	v_add_u32_e32 v40, -7, v30
	v_cmp_eq_u32_e64 s[0:1], s28, v22
	v_lshrrev_b32_e32 v37, 16, v9
	s_and_saveexec_b64 s[14:15], s[0:1]
	s_cbranch_execz .LBB303_203
; %bb.202:                              ;   in Loop: Header=BB303_153 Depth=1
	v_cmp_gt_i32_e64 s[2:3], s30, v40
	v_add_u32_e32 v9, -6, v30
	v_cndmask_b32_e64 v39, 0, v39, s[2:3]
	v_cmp_gt_i32_e64 s[2:3], s30, v9
	v_add_u32_e32 v9, -5, v30
	v_cndmask_b32_e64 v38, 0, v38, s[2:3]
	v_cmp_gt_i32_e64 s[2:3], s30, v9
	v_add_u32_e32 v9, -4, v30
	v_cndmask_b32_e64 v36, 0, v36, s[2:3]
	v_cmp_gt_i32_e64 s[2:3], s30, v9
	v_add_u32_e32 v9, -3, v30
	v_cndmask_b32_e64 v35, 0, v35, s[2:3]
	v_cmp_gt_i32_e64 s[2:3], s30, v9
	v_add_u32_e32 v9, -2, v30
	v_cndmask_b32_e64 v21, 0, v21, s[2:3]
	v_cmp_gt_i32_e64 s[2:3], s30, v9
	v_add_u32_e32 v9, -1, v30
	v_cndmask_b32_e64 v20, 0, v20, s[2:3]
	v_cmp_gt_i32_e64 s[2:3], s30, v9
	v_cndmask_b32_e64 v34, 0, v34, s[2:3]
	v_cmp_gt_i32_e64 s[2:3], s30, v30
	v_cndmask_b32_e64 v37, 0, v37, s[2:3]
.LBB303_203:                            ;   in Loop: Header=BB303_153 Depth=1
	s_or_b64 exec, exec, s[14:15]
	global_load_dwordx2 v[17:18], v[17:18], off offset:512
	v_mov_b32_e32 v44, 0
	v_mov_b32_e32 v43, 0
	s_waitcnt vmcnt(0)
	v_cmp_ne_u16_sdwa s[2:3], v17, v10 src0_sel:BYTE_0 src1_sel:DWORD
	s_and_saveexec_b64 s[14:15], s[2:3]
	s_cbranch_execz .LBB303_209
; %bb.204:                              ;   in Loop: Header=BB303_153 Depth=1
	v_cmp_ne_u16_sdwa s[2:3], v17, s26 src0_sel:BYTE_0 src1_sel:DWORD
	v_bfrev_b32_e32 v43, 1
	s_and_saveexec_b64 s[16:17], s[2:3]
	s_cbranch_execz .LBB303_208
; %bb.205:                              ;   in Loop: Header=BB303_153 Depth=1
	v_and_b32_e32 v9, 0x7f, v17
	v_cmp_ne_u32_e64 s[2:3], s27, v9
	v_mov_b32_e32 v43, 0x7f800001
	s_and_saveexec_b64 s[18:19], s[2:3]
	s_cbranch_execz .LBB303_207
; %bb.206:                              ;   in Loop: Header=BB303_153 Depth=1
	v_and_b32_e32 v19, 7, v17
	v_ffbh_u32_e32 v19, v19
	v_min_u32_e32 v19, 32, v19
	v_lshrrev_b32_e32 v41, 3, v9
	v_subrev_u32_e32 v42, 28, v19
	v_sub_u32_e32 v19, 29, v19
	v_cmp_gt_u32_e64 s[2:3], 8, v9
	v_cndmask_b32_e64 v9, v41, v19, s[2:3]
	v_cndmask_b32_e64 v19, 0, v42, s[2:3]
	v_lshlrev_b64 v[41:42], v19, v[17:18]
	v_lshl_add_u32 v9, v9, 23, v33
	v_lshlrev_b32_e32 v19, 20, v41
	v_lshlrev_b32_e32 v41, 24, v17
	v_and_b32_e32 v19, 0x700000, v19
	v_and_b32_e32 v41, 0x80000000, v41
	v_or3_b32 v43, v41, v9, v19
.LBB303_207:                            ;   in Loop: Header=BB303_153 Depth=1
	s_or_b64 exec, exec, s[18:19]
.LBB303_208:                            ;   in Loop: Header=BB303_153 Depth=1
	s_or_b64 exec, exec, s[16:17]
.LBB303_209:                            ;   in Loop: Header=BB303_153 Depth=1
	s_or_b64 exec, exec, s[14:15]
	v_lshrrev_b16_e32 v9, 8, v17
	v_cmp_ne_u16_e64 s[2:3], 0, v9
	s_and_saveexec_b64 s[14:15], s[2:3]
	s_cbranch_execz .LBB303_215
; %bb.210:                              ;   in Loop: Header=BB303_153 Depth=1
	v_cmp_ne_u16_e64 s[2:3], s26, v9
	v_bfrev_b32_e32 v44, 1
	s_and_saveexec_b64 s[16:17], s[2:3]
	s_cbranch_execz .LBB303_214
; %bb.211:                              ;   in Loop: Header=BB303_153 Depth=1
	v_and_b32_e32 v19, 0x7f, v9
	v_cmp_ne_u32_e64 s[2:3], s27, v19
	v_mov_b32_e32 v44, 0x7f800001
	s_and_saveexec_b64 s[18:19], s[2:3]
	s_cbranch_execz .LBB303_213
; %bb.212:                              ;   in Loop: Header=BB303_153 Depth=1
	v_and_b32_e32 v44, 7, v9
	v_ffbh_u32_e32 v41, v44
	v_min_u32_e32 v46, 32, v41
	v_subrev_u32_e32 v41, 28, v46
	v_lshlrev_b64 v[41:42], v41, v[9:10]
	v_lshrrev_b32_e32 v45, 3, v19
	v_sub_u32_e32 v9, 29, v46
	v_and_b32_e32 v41, 7, v41
	v_cmp_gt_u32_e64 s[2:3], 8, v19
	v_cndmask_b32_e64 v9, v45, v9, s[2:3]
	v_cndmask_b32_e64 v19, v44, v41, s[2:3]
	v_lshlrev_b32_e32 v41, 16, v17
	v_lshlrev_b32_e32 v19, 20, v19
	v_and_b32_e32 v41, 0x80000000, v41
	v_lshl_add_u32 v9, v9, 23, v33
	v_or3_b32 v44, v41, v9, v19
.LBB303_213:                            ;   in Loop: Header=BB303_153 Depth=1
	s_or_b64 exec, exec, s[18:19]
.LBB303_214:                            ;   in Loop: Header=BB303_153 Depth=1
	s_or_b64 exec, exec, s[16:17]
.LBB303_215:                            ;   in Loop: Header=BB303_153 Depth=1
	s_or_b64 exec, exec, s[14:15]
	v_lshrrev_b32_e32 v9, 16, v17
	v_cmp_ne_u16_sdwa s[2:3], v9, v10 src0_sel:BYTE_0 src1_sel:DWORD
	v_mov_b32_e32 v41, 0
	v_mov_b32_e32 v42, 0
	s_and_saveexec_b64 s[14:15], s[2:3]
	s_cbranch_execz .LBB303_221
; %bb.216:                              ;   in Loop: Header=BB303_153 Depth=1
	v_cmp_ne_u16_sdwa s[2:3], v9, s26 src0_sel:BYTE_0 src1_sel:DWORD
	v_bfrev_b32_e32 v42, 1
	s_and_saveexec_b64 s[16:17], s[2:3]
	s_cbranch_execz .LBB303_220
; %bb.217:                              ;   in Loop: Header=BB303_153 Depth=1
	v_bfe_u32 v19, v17, 16, 7
	v_cmp_ne_u32_e64 s[2:3], s27, v19
	v_mov_b32_e32 v42, 0x7f800001
	s_and_saveexec_b64 s[18:19], s[2:3]
	s_cbranch_execz .LBB303_219
; %bb.218:                              ;   in Loop: Header=BB303_153 Depth=1
	v_and_b32_e32 v42, 7, v9
	v_ffbh_u32_e32 v45, v42
	v_min_u32_e32 v48, 32, v45
	v_subrev_u32_e32 v45, 28, v48
	v_lshlrev_b64 v[45:46], v45, v[9:10]
	v_lshrrev_b32_e32 v47, 3, v19
	v_sub_u32_e32 v46, 29, v48
	v_and_b32_e32 v45, 7, v45
	v_cmp_gt_u32_e64 s[2:3], 8, v19
	v_cndmask_b32_e64 v19, v47, v46, s[2:3]
	v_cndmask_b32_e64 v42, v42, v45, s[2:3]
	v_lshlrev_b32_e32 v9, 24, v9
	v_lshlrev_b32_e32 v42, 20, v42
	v_and_b32_e32 v9, 0x80000000, v9
	v_lshl_add_u32 v19, v19, 23, v33
	v_or3_b32 v42, v9, v19, v42
.LBB303_219:                            ;   in Loop: Header=BB303_153 Depth=1
	s_or_b64 exec, exec, s[18:19]
.LBB303_220:                            ;   in Loop: Header=BB303_153 Depth=1
	s_or_b64 exec, exec, s[16:17]
.LBB303_221:                            ;   in Loop: Header=BB303_153 Depth=1
	s_or_b64 exec, exec, s[14:15]
	v_cmp_lt_u32_e64 s[2:3], s7, v17
	s_and_saveexec_b64 s[14:15], s[2:3]
	s_cbranch_execz .LBB303_227
; %bb.222:                              ;   in Loop: Header=BB303_153 Depth=1
	v_lshrrev_b32_e32 v9, 24, v17
	v_cmp_ne_u32_e64 s[2:3], s26, v9
	v_bfrev_b32_e32 v41, 1
	s_and_saveexec_b64 s[16:17], s[2:3]
	s_cbranch_execz .LBB303_226
; %bb.223:                              ;   in Loop: Header=BB303_153 Depth=1
	v_bfe_u32 v19, v17, 24, 7
	v_cmp_ne_u32_e64 s[2:3], s27, v19
	v_mov_b32_e32 v41, 0x7f800001
	s_and_saveexec_b64 s[18:19], s[2:3]
	s_cbranch_execz .LBB303_225
; %bb.224:                              ;   in Loop: Header=BB303_153 Depth=1
	v_and_b32_e32 v41, 7, v9
	v_ffbh_u32_e32 v45, v41
	v_min_u32_e32 v48, 32, v45
	v_subrev_u32_e32 v45, 28, v48
	v_lshlrev_b64 v[45:46], v45, v[9:10]
	v_lshrrev_b32_e32 v47, 3, v19
	v_sub_u32_e32 v46, 29, v48
	v_and_b32_e32 v45, 7, v45
	v_cmp_gt_u32_e64 s[2:3], 8, v19
	v_cndmask_b32_e64 v19, v47, v46, s[2:3]
	v_cndmask_b32_e64 v41, v41, v45, s[2:3]
	v_lshlrev_b32_e32 v9, 24, v9
	v_lshlrev_b32_e32 v41, 20, v41
	v_and_b32_e32 v9, 0x80000000, v9
	v_lshl_add_u32 v19, v19, 23, v33
	v_or3_b32 v41, v9, v19, v41
.LBB303_225:                            ;   in Loop: Header=BB303_153 Depth=1
	s_or_b64 exec, exec, s[18:19]
.LBB303_226:                            ;   in Loop: Header=BB303_153 Depth=1
	s_or_b64 exec, exec, s[16:17]
.LBB303_227:                            ;   in Loop: Header=BB303_153 Depth=1
	s_or_b64 exec, exec, s[14:15]
	v_mov_b32_e32 v9, v18
	v_cmp_ne_u16_sdwa s[2:3], v18, v10 src0_sel:BYTE_0 src1_sel:DWORD
	v_mov_b32_e32 v46, 0
	v_mov_b32_e32 v45, 0
	s_and_saveexec_b64 s[14:15], s[2:3]
	s_cbranch_execz .LBB303_233
; %bb.228:                              ;   in Loop: Header=BB303_153 Depth=1
	v_cmp_ne_u16_sdwa s[2:3], v18, s26 src0_sel:BYTE_0 src1_sel:DWORD
	v_bfrev_b32_e32 v45, 1
	s_and_saveexec_b64 s[16:17], s[2:3]
	s_cbranch_execz .LBB303_232
; %bb.229:                              ;   in Loop: Header=BB303_153 Depth=1
	v_and_b32_e32 v19, 0x7f, v18
	v_cmp_ne_u32_e64 s[2:3], s27, v19
	v_mov_b32_e32 v45, 0x7f800001
	s_and_saveexec_b64 s[18:19], s[2:3]
	s_cbranch_execz .LBB303_231
; %bb.230:                              ;   in Loop: Header=BB303_153 Depth=1
	v_and_b32_e32 v45, 7, v18
	v_ffbh_u32_e32 v45, v45
	v_min_u32_e32 v45, 32, v45
	v_lshrrev_b32_e32 v47, 3, v19
	v_subrev_u32_e32 v48, 28, v45
	v_sub_u32_e32 v45, 29, v45
	v_cmp_gt_u32_e64 s[2:3], 8, v19
	v_cndmask_b32_e64 v19, v47, v45, s[2:3]
	v_cndmask_b32_e64 v45, 0, v48, s[2:3]
	v_lshlrev_b64 v[47:48], v45, v[9:10]
	v_lshl_add_u32 v19, v19, 23, v33
	v_lshlrev_b32_e32 v45, 20, v47
	v_lshlrev_b32_e32 v47, 24, v9
	v_and_b32_e32 v45, 0x700000, v45
	v_and_b32_e32 v47, 0x80000000, v47
	v_or3_b32 v45, v47, v19, v45
.LBB303_231:                            ;   in Loop: Header=BB303_153 Depth=1
	s_or_b64 exec, exec, s[18:19]
.LBB303_232:                            ;   in Loop: Header=BB303_153 Depth=1
	s_or_b64 exec, exec, s[16:17]
.LBB303_233:                            ;   in Loop: Header=BB303_153 Depth=1
	s_or_b64 exec, exec, s[14:15]
	v_lshrrev_b16_e32 v19, 8, v9
	v_cmp_ne_u16_e64 s[2:3], 0, v19
	s_and_saveexec_b64 s[14:15], s[2:3]
	s_cbranch_execz .LBB303_239
; %bb.234:                              ;   in Loop: Header=BB303_153 Depth=1
	v_cmp_ne_u16_e64 s[2:3], s26, v19
	v_bfrev_b32_e32 v46, 1
	s_and_saveexec_b64 s[16:17], s[2:3]
	s_cbranch_execz .LBB303_238
; %bb.235:                              ;   in Loop: Header=BB303_153 Depth=1
	v_and_b32_e32 v47, 0x7f, v19
	v_cmp_ne_u32_e64 s[2:3], s27, v47
	v_mov_b32_e32 v46, 0x7f800001
	s_and_saveexec_b64 s[18:19], s[2:3]
	s_cbranch_execz .LBB303_237
; %bb.236:                              ;   in Loop: Header=BB303_153 Depth=1
	v_and_b32_e32 v46, 7, v19
	v_ffbh_u32_e32 v48, v46
	v_min_u32_e32 v51, 32, v48
	v_subrev_u32_e32 v48, 28, v51
	v_lshlrev_b64 v[48:49], v48, v[19:20]
	v_lshrrev_b32_e32 v50, 3, v47
	v_sub_u32_e32 v19, 29, v51
	v_and_b32_e32 v48, 7, v48
	v_cmp_gt_u32_e64 s[2:3], 8, v47
	v_cndmask_b32_e64 v19, v50, v19, s[2:3]
	v_cndmask_b32_e64 v46, v46, v48, s[2:3]
	v_lshlrev_b32_e32 v9, 16, v9
	v_lshlrev_b32_e32 v46, 20, v46
	v_and_b32_e32 v9, 0x80000000, v9
	v_lshl_add_u32 v19, v19, 23, v33
	v_or3_b32 v46, v9, v19, v46
.LBB303_237:                            ;   in Loop: Header=BB303_153 Depth=1
	s_or_b64 exec, exec, s[18:19]
.LBB303_238:                            ;   in Loop: Header=BB303_153 Depth=1
	s_or_b64 exec, exec, s[16:17]
.LBB303_239:                            ;   in Loop: Header=BB303_153 Depth=1
	s_or_b64 exec, exec, s[14:15]
	v_lshrrev_b32_e32 v9, 16, v18
	v_cmp_ne_u16_sdwa s[2:3], v9, v10 src0_sel:BYTE_0 src1_sel:DWORD
	v_mov_b32_e32 v47, 0
	v_mov_b32_e32 v19, 0
	s_and_saveexec_b64 s[14:15], s[2:3]
	s_cbranch_execz .LBB303_245
; %bb.240:                              ;   in Loop: Header=BB303_153 Depth=1
	v_cmp_ne_u16_sdwa s[2:3], v9, s26 src0_sel:BYTE_0 src1_sel:DWORD
	v_bfrev_b32_e32 v19, 1
	s_and_saveexec_b64 s[16:17], s[2:3]
	s_cbranch_execz .LBB303_244
; %bb.241:                              ;   in Loop: Header=BB303_153 Depth=1
	v_bfe_u32 v48, v18, 16, 7
	v_cmp_ne_u32_e64 s[2:3], s27, v48
	v_mov_b32_e32 v19, 0x7f800001
	s_and_saveexec_b64 s[18:19], s[2:3]
	s_cbranch_execz .LBB303_243
; %bb.242:                              ;   in Loop: Header=BB303_153 Depth=1
	v_and_b32_e32 v19, 7, v9
	v_ffbh_u32_e32 v49, v19
	v_min_u32_e32 v52, 32, v49
	v_subrev_u32_e32 v49, 28, v52
	v_lshlrev_b64 v[49:50], v49, v[9:10]
	v_lshrrev_b32_e32 v51, 3, v48
	v_sub_u32_e32 v50, 29, v52
	v_and_b32_e32 v49, 7, v49
	v_cmp_gt_u32_e64 s[2:3], 8, v48
	v_cndmask_b32_e64 v48, v51, v50, s[2:3]
	v_cndmask_b32_e64 v19, v19, v49, s[2:3]
	v_lshlrev_b32_e32 v9, 24, v9
	v_lshlrev_b32_e32 v19, 20, v19
	v_and_b32_e32 v9, 0x80000000, v9
	v_lshl_add_u32 v48, v48, 23, v33
	v_or3_b32 v19, v9, v48, v19
.LBB303_243:                            ;   in Loop: Header=BB303_153 Depth=1
	s_or_b64 exec, exec, s[18:19]
.LBB303_244:                            ;   in Loop: Header=BB303_153 Depth=1
	s_or_b64 exec, exec, s[16:17]
.LBB303_245:                            ;   in Loop: Header=BB303_153 Depth=1
	s_or_b64 exec, exec, s[14:15]
	v_cmp_lt_u64_e64 s[2:3], s[6:7], v[17:18]
	s_and_saveexec_b64 s[14:15], s[2:3]
	s_cbranch_execz .LBB303_251
; %bb.246:                              ;   in Loop: Header=BB303_153 Depth=1
	v_lshrrev_b32_e32 v9, 24, v18
	v_cmp_ne_u32_e64 s[2:3], s26, v9
	v_bfrev_b32_e32 v47, 1
	s_and_saveexec_b64 s[16:17], s[2:3]
	s_cbranch_execz .LBB303_250
; %bb.247:                              ;   in Loop: Header=BB303_153 Depth=1
	v_bfe_u32 v17, v18, 24, 7
	v_cmp_ne_u32_e64 s[2:3], s27, v17
	v_mov_b32_e32 v47, 0x7f800001
	s_and_saveexec_b64 s[18:19], s[2:3]
	s_cbranch_execz .LBB303_249
; %bb.248:                              ;   in Loop: Header=BB303_153 Depth=1
	v_and_b32_e32 v18, 7, v9
	v_ffbh_u32_e32 v47, v18
	v_min_u32_e32 v50, 32, v47
	v_subrev_u32_e32 v47, 28, v50
	v_lshlrev_b64 v[47:48], v47, v[9:10]
	v_lshrrev_b32_e32 v49, 3, v17
	v_sub_u32_e32 v48, 29, v50
	v_and_b32_e32 v47, 7, v47
	v_cmp_gt_u32_e64 s[2:3], 8, v17
	v_cndmask_b32_e64 v17, v49, v48, s[2:3]
	v_cndmask_b32_e64 v18, v18, v47, s[2:3]
	v_lshlrev_b32_e32 v9, 24, v9
	v_lshlrev_b32_e32 v18, 20, v18
	v_and_b32_e32 v9, 0x80000000, v9
	v_lshl_add_u32 v17, v17, 23, v33
	v_or3_b32 v47, v9, v17, v18
.LBB303_249:                            ;   in Loop: Header=BB303_153 Depth=1
	s_or_b64 exec, exec, s[18:19]
.LBB303_250:                            ;   in Loop: Header=BB303_153 Depth=1
	s_or_b64 exec, exec, s[16:17]
.LBB303_251:                            ;   in Loop: Header=BB303_153 Depth=1
	s_or_b64 exec, exec, s[14:15]
	v_mul_f32_e32 v9, s29, v46
	v_bfe_u32 v17, v9, 16, 1
	v_add3_u32 v17, v17, v9, s33
	v_or_b32_e32 v18, 0x400000, v9
	v_cmp_u_f32_e64 s[2:3], v9, v9
	v_cndmask_b32_e64 v9, v17, v18, s[2:3]
	v_lshrrev_b32_e32 v17, 16, v9
	v_mul_f32_e32 v9, s29, v45
	v_bfe_u32 v18, v9, 16, 1
	v_add3_u32 v18, v18, v9, s33
	v_or_b32_e32 v45, 0x400000, v9
	v_cmp_u_f32_e64 s[2:3], v9, v9
	v_cndmask_b32_e64 v9, v18, v45, s[2:3]
	v_lshrrev_b32_e32 v18, 16, v9
	;; [unrolled: 7-line block ×8, first 2 shown]
	s_and_saveexec_b64 s[14:15], s[0:1]
	s_cbranch_execz .LBB303_253
; %bb.252:                              ;   in Loop: Header=BB303_153 Depth=1
	v_cmp_gt_i32_e64 s[2:3], s30, v40
	v_add_u32_e32 v9, -6, v30
	v_cndmask_b32_e64 v45, 0, v45, s[2:3]
	v_cmp_gt_i32_e64 s[2:3], s30, v9
	v_add_u32_e32 v9, -5, v30
	v_cndmask_b32_e64 v44, 0, v44, s[2:3]
	;; [unrolled: 3-line block ×6, first 2 shown]
	v_cmp_gt_i32_e64 s[2:3], s30, v9
	v_cndmask_b32_e64 v19, 0, v19, s[2:3]
	v_cmp_gt_i32_e64 s[2:3], s30, v30
	v_cndmask_b32_e64 v43, 0, v43, s[2:3]
.LBB303_253:                            ;   in Loop: Header=BB303_153 Depth=1
	s_or_b64 exec, exec, s[14:15]
	v_bfe_u32 v9, v5, 16, 1
	v_add3_u32 v9, v9, v5, s33
	v_or_b32_e32 v46, 0x400000, v5
	v_cmp_u_f32_e64 s[2:3], v5, v5
	v_cndmask_b32_e64 v5, v9, v46, s[2:3]
	v_bfe_u32 v9, v6, 16, 1
	v_add3_u32 v9, v9, v6, s33
	v_or_b32_e32 v46, 0x400000, v6
	v_cmp_u_f32_e64 s[2:3], v6, v6
	v_cndmask_b32_e64 v6, v9, v46, s[2:3]
	v_bfe_u32 v9, v7, 16, 1
	v_add3_u32 v9, v9, v7, s33
	v_or_b32_e32 v46, 0x400000, v7
	v_cmp_u_f32_e64 s[2:3], v7, v7
	v_bfe_u32 v7, v8, 16, 1
	v_cndmask_b32_e64 v9, v9, v46, s[2:3]
	v_add3_u32 v7, v7, v8, s33
	v_or_b32_e32 v46, 0x400000, v8
	v_cmp_u_f32_e64 s[2:3], v8, v8
	v_cndmask_b32_e64 v8, v7, v46, s[2:3]
	v_bfe_u32 v7, v1, 16, 1
	v_add3_u32 v7, v7, v1, s33
	v_or_b32_e32 v46, 0x400000, v1
	v_cmp_u_f32_e64 s[2:3], v1, v1
	v_cndmask_b32_e64 v1, v7, v46, s[2:3]
	v_bfe_u32 v7, v2, 16, 1
	;; [unrolled: 5-line block ×4, first 2 shown]
	v_add3_u32 v7, v7, v4, s33
	v_or_b32_e32 v46, 0x400000, v4
	v_cmp_u_f32_e64 s[2:3], v4, v4
	v_cndmask_b32_e64 v4, v7, v46, s[2:3]
	v_perm_b32 v7, v6, v5, s34
	v_perm_b32 v6, v8, v9, s34
	;; [unrolled: 1-line block ×4, first 2 shown]
	s_and_saveexec_b64 s[14:15], vcc
	s_cbranch_execz .LBB303_152
; %bb.254:                              ;   in Loop: Header=BB303_153 Depth=1
	v_add_co_u32_e64 v1, s[2:3], v15, v27
	v_addc_co_u32_e64 v2, s[2:3], 0, v16, s[2:3]
	global_load_dwordx2 v[1:2], v[1:2], off
	v_mov_b32_e32 v15, 0
	v_mov_b32_e32 v8, 0
	s_waitcnt vmcnt(0)
	v_cmp_ne_u16_sdwa s[2:3], v1, v10 src0_sel:BYTE_0 src1_sel:DWORD
	s_and_saveexec_b64 s[16:17], s[2:3]
	s_cbranch_execz .LBB303_260
; %bb.255:                              ;   in Loop: Header=BB303_153 Depth=1
	v_cmp_ne_u16_sdwa s[2:3], v1, s26 src0_sel:BYTE_0 src1_sel:DWORD
	v_bfrev_b32_e32 v8, 1
	s_and_saveexec_b64 s[18:19], s[2:3]
	s_cbranch_execz .LBB303_259
; %bb.256:                              ;   in Loop: Header=BB303_153 Depth=1
	v_and_b32_e32 v3, 0x7f, v1
	v_cmp_ne_u32_e64 s[2:3], s27, v3
	v_mov_b32_e32 v8, 0x7f800001
	s_and_saveexec_b64 s[24:25], s[2:3]
	s_cbranch_execz .LBB303_258
; %bb.257:                              ;   in Loop: Header=BB303_153 Depth=1
	v_and_b32_e32 v8, 7, v1
	v_ffbh_u32_e32 v8, v8
	v_min_u32_e32 v8, 32, v8
	v_lshrrev_b32_e32 v9, 3, v3
	v_subrev_u32_e32 v16, 28, v8
	v_sub_u32_e32 v8, 29, v8
	v_cmp_gt_u32_e64 s[2:3], 8, v3
	v_cndmask_b32_e64 v3, v9, v8, s[2:3]
	v_cndmask_b32_e64 v8, 0, v16, s[2:3]
	v_lshlrev_b64 v[8:9], v8, v[1:2]
	v_lshlrev_b32_e32 v9, 24, v1
	v_lshlrev_b32_e32 v8, 20, v8
	v_and_b32_e32 v8, 0x700000, v8
	v_and_b32_e32 v9, 0x80000000, v9
	v_lshl_add_u32 v3, v3, 23, v33
	v_or3_b32 v8, v9, v3, v8
.LBB303_258:                            ;   in Loop: Header=BB303_153 Depth=1
	s_or_b64 exec, exec, s[24:25]
.LBB303_259:                            ;   in Loop: Header=BB303_153 Depth=1
	s_or_b64 exec, exec, s[18:19]
.LBB303_260:                            ;   in Loop: Header=BB303_153 Depth=1
	s_or_b64 exec, exec, s[16:17]
	v_lshrrev_b16_e32 v3, 8, v1
	v_cmp_ne_u16_e64 s[2:3], 0, v3
	s_and_saveexec_b64 s[16:17], s[2:3]
	s_cbranch_execz .LBB303_266
; %bb.261:                              ;   in Loop: Header=BB303_153 Depth=1
	v_cmp_ne_u16_e64 s[2:3], s26, v3
	v_bfrev_b32_e32 v15, 1
	s_and_saveexec_b64 s[18:19], s[2:3]
	s_cbranch_execz .LBB303_265
; %bb.262:                              ;   in Loop: Header=BB303_153 Depth=1
	v_and_b32_e32 v9, 0x7f, v3
	v_cmp_ne_u32_e64 s[2:3], s27, v9
	v_mov_b32_e32 v15, 0x7f800001
	s_and_saveexec_b64 s[24:25], s[2:3]
	s_cbranch_execz .LBB303_264
; %bb.263:                              ;   in Loop: Header=BB303_153 Depth=1
	v_and_b32_e32 v46, 7, v3
	v_ffbh_u32_e32 v15, v46
	v_min_u32_e32 v48, 32, v15
	v_subrev_u32_e32 v15, 28, v48
	v_lshlrev_b64 v[15:16], v15, v[3:4]
	v_lshrrev_b32_e32 v47, 3, v9
	v_sub_u32_e32 v3, 29, v48
	v_and_b32_e32 v15, 7, v15
	v_cmp_gt_u32_e64 s[2:3], 8, v9
	v_cndmask_b32_e64 v3, v47, v3, s[2:3]
	v_cndmask_b32_e64 v9, v46, v15, s[2:3]
	v_lshlrev_b32_e32 v15, 16, v1
	v_lshlrev_b32_e32 v9, 20, v9
	v_and_b32_e32 v15, 0x80000000, v15
	v_lshl_add_u32 v3, v3, 23, v33
	v_or3_b32 v15, v15, v3, v9
.LBB303_264:                            ;   in Loop: Header=BB303_153 Depth=1
	s_or_b64 exec, exec, s[24:25]
.LBB303_265:                            ;   in Loop: Header=BB303_153 Depth=1
	s_or_b64 exec, exec, s[18:19]
.LBB303_266:                            ;   in Loop: Header=BB303_153 Depth=1
	s_or_b64 exec, exec, s[16:17]
	v_lshrrev_b32_e32 v3, 16, v1
	v_cmp_ne_u16_sdwa s[2:3], v3, v10 src0_sel:BYTE_0 src1_sel:DWORD
	v_mov_b32_e32 v46, 0
	v_mov_b32_e32 v16, 0
	s_and_saveexec_b64 s[16:17], s[2:3]
	s_cbranch_execz .LBB303_272
; %bb.267:                              ;   in Loop: Header=BB303_153 Depth=1
	v_cmp_ne_u16_sdwa s[2:3], v3, s26 src0_sel:BYTE_0 src1_sel:DWORD
	v_bfrev_b32_e32 v16, 1
	s_and_saveexec_b64 s[18:19], s[2:3]
	s_cbranch_execz .LBB303_271
; %bb.268:                              ;   in Loop: Header=BB303_153 Depth=1
	v_bfe_u32 v9, v1, 16, 7
	v_cmp_ne_u32_e64 s[2:3], s27, v9
	v_mov_b32_e32 v16, 0x7f800001
	s_and_saveexec_b64 s[24:25], s[2:3]
	s_cbranch_execz .LBB303_270
; %bb.269:                              ;   in Loop: Header=BB303_153 Depth=1
	v_and_b32_e32 v16, 7, v3
	v_ffbh_u32_e32 v47, v16
	v_min_u32_e32 v50, 32, v47
	v_subrev_u32_e32 v47, 28, v50
	v_lshlrev_b64 v[47:48], v47, v[3:4]
	v_lshrrev_b32_e32 v49, 3, v9
	v_sub_u32_e32 v48, 29, v50
	v_and_b32_e32 v47, 7, v47
	v_cmp_gt_u32_e64 s[2:3], 8, v9
	v_cndmask_b32_e64 v9, v49, v48, s[2:3]
	v_cndmask_b32_e64 v16, v16, v47, s[2:3]
	v_lshlrev_b32_e32 v3, 24, v3
	v_lshlrev_b32_e32 v16, 20, v16
	v_and_b32_e32 v3, 0x80000000, v3
	v_lshl_add_u32 v9, v9, 23, v33
	v_or3_b32 v16, v3, v9, v16
.LBB303_270:                            ;   in Loop: Header=BB303_153 Depth=1
	s_or_b64 exec, exec, s[24:25]
.LBB303_271:                            ;   in Loop: Header=BB303_153 Depth=1
	s_or_b64 exec, exec, s[18:19]
.LBB303_272:                            ;   in Loop: Header=BB303_153 Depth=1
	s_or_b64 exec, exec, s[16:17]
	v_cmp_lt_u32_e64 s[2:3], s7, v1
	s_and_saveexec_b64 s[16:17], s[2:3]
	s_cbranch_execz .LBB303_278
; %bb.273:                              ;   in Loop: Header=BB303_153 Depth=1
	v_lshrrev_b32_e32 v3, 24, v1
	v_cmp_ne_u32_e64 s[2:3], s26, v3
	v_bfrev_b32_e32 v46, 1
	s_and_saveexec_b64 s[18:19], s[2:3]
	s_cbranch_execz .LBB303_277
; %bb.274:                              ;   in Loop: Header=BB303_153 Depth=1
	v_bfe_u32 v9, v1, 24, 7
	v_cmp_ne_u32_e64 s[2:3], s27, v9
	v_mov_b32_e32 v46, 0x7f800001
	s_and_saveexec_b64 s[24:25], s[2:3]
	s_cbranch_execz .LBB303_276
; %bb.275:                              ;   in Loop: Header=BB303_153 Depth=1
	v_and_b32_e32 v48, 7, v3
	v_ffbh_u32_e32 v46, v48
	v_min_u32_e32 v50, 32, v46
	v_subrev_u32_e32 v46, 28, v50
	v_lshlrev_b64 v[46:47], v46, v[3:4]
	v_lshrrev_b32_e32 v49, 3, v9
	v_sub_u32_e32 v47, 29, v50
	v_and_b32_e32 v46, 7, v46
	v_cmp_gt_u32_e64 s[2:3], 8, v9
	v_cndmask_b32_e64 v9, v49, v47, s[2:3]
	v_cndmask_b32_e64 v46, v48, v46, s[2:3]
	v_lshlrev_b32_e32 v3, 24, v3
	v_lshlrev_b32_e32 v46, 20, v46
	v_and_b32_e32 v3, 0x80000000, v3
	v_lshl_add_u32 v9, v9, 23, v33
	v_or3_b32 v46, v3, v9, v46
.LBB303_276:                            ;   in Loop: Header=BB303_153 Depth=1
	s_or_b64 exec, exec, s[24:25]
.LBB303_277:                            ;   in Loop: Header=BB303_153 Depth=1
	s_or_b64 exec, exec, s[18:19]
.LBB303_278:                            ;   in Loop: Header=BB303_153 Depth=1
	s_or_b64 exec, exec, s[16:17]
	v_mov_b32_e32 v9, v2
	v_cmp_ne_u16_sdwa s[2:3], v2, v10 src0_sel:BYTE_0 src1_sel:DWORD
	v_mov_b32_e32 v48, 0
	v_mov_b32_e32 v47, 0
	s_and_saveexec_b64 s[16:17], s[2:3]
	s_cbranch_execz .LBB303_284
; %bb.279:                              ;   in Loop: Header=BB303_153 Depth=1
	v_cmp_ne_u16_sdwa s[2:3], v2, s26 src0_sel:BYTE_0 src1_sel:DWORD
	v_bfrev_b32_e32 v47, 1
	s_and_saveexec_b64 s[18:19], s[2:3]
	s_cbranch_execz .LBB303_283
; %bb.280:                              ;   in Loop: Header=BB303_153 Depth=1
	v_and_b32_e32 v3, 0x7f, v2
	v_cmp_ne_u32_e64 s[2:3], s27, v3
	v_mov_b32_e32 v47, 0x7f800001
	s_and_saveexec_b64 s[24:25], s[2:3]
	s_cbranch_execz .LBB303_282
; %bb.281:                              ;   in Loop: Header=BB303_153 Depth=1
	v_and_b32_e32 v47, 7, v2
	v_ffbh_u32_e32 v47, v47
	v_min_u32_e32 v47, 32, v47
	v_lshrrev_b32_e32 v49, 3, v3
	v_subrev_u32_e32 v50, 28, v47
	v_sub_u32_e32 v47, 29, v47
	v_cmp_gt_u32_e64 s[2:3], 8, v3
	v_cndmask_b32_e64 v3, v49, v47, s[2:3]
	v_cndmask_b32_e64 v47, 0, v50, s[2:3]
	v_lshlrev_b64 v[49:50], v47, v[9:10]
	v_lshl_add_u32 v3, v3, 23, v33
	v_lshlrev_b32_e32 v47, 20, v49
	v_lshlrev_b32_e32 v49, 24, v9
	v_and_b32_e32 v47, 0x700000, v47
	v_and_b32_e32 v49, 0x80000000, v49
	v_or3_b32 v47, v49, v3, v47
.LBB303_282:                            ;   in Loop: Header=BB303_153 Depth=1
	s_or_b64 exec, exec, s[24:25]
.LBB303_283:                            ;   in Loop: Header=BB303_153 Depth=1
	s_or_b64 exec, exec, s[18:19]
.LBB303_284:                            ;   in Loop: Header=BB303_153 Depth=1
	s_or_b64 exec, exec, s[16:17]
	v_lshrrev_b16_e32 v3, 8, v9
	v_cmp_ne_u16_e64 s[2:3], 0, v3
	s_and_saveexec_b64 s[16:17], s[2:3]
	s_cbranch_execz .LBB303_290
; %bb.285:                              ;   in Loop: Header=BB303_153 Depth=1
	v_cmp_ne_u16_e64 s[2:3], s26, v3
	v_bfrev_b32_e32 v48, 1
	s_and_saveexec_b64 s[18:19], s[2:3]
	s_cbranch_execz .LBB303_289
; %bb.286:                              ;   in Loop: Header=BB303_153 Depth=1
	v_and_b32_e32 v49, 0x7f, v3
	v_cmp_ne_u32_e64 s[2:3], s27, v49
	v_mov_b32_e32 v48, 0x7f800001
	s_and_saveexec_b64 s[24:25], s[2:3]
	s_cbranch_execz .LBB303_288
; %bb.287:                              ;   in Loop: Header=BB303_153 Depth=1
	v_and_b32_e32 v48, 7, v3
	v_ffbh_u32_e32 v50, v48
	v_min_u32_e32 v53, 32, v50
	v_subrev_u32_e32 v50, 28, v53
	v_lshlrev_b64 v[50:51], v50, v[3:4]
	v_lshrrev_b32_e32 v52, 3, v49
	v_sub_u32_e32 v3, 29, v53
	v_and_b32_e32 v50, 7, v50
	v_cmp_gt_u32_e64 s[2:3], 8, v49
	v_cndmask_b32_e64 v3, v52, v3, s[2:3]
	v_cndmask_b32_e64 v48, v48, v50, s[2:3]
	v_lshlrev_b32_e32 v9, 16, v9
	v_lshlrev_b32_e32 v48, 20, v48
	v_and_b32_e32 v9, 0x80000000, v9
	v_lshl_add_u32 v3, v3, 23, v33
	v_or3_b32 v48, v9, v3, v48
.LBB303_288:                            ;   in Loop: Header=BB303_153 Depth=1
	s_or_b64 exec, exec, s[24:25]
.LBB303_289:                            ;   in Loop: Header=BB303_153 Depth=1
	s_or_b64 exec, exec, s[18:19]
.LBB303_290:                            ;   in Loop: Header=BB303_153 Depth=1
	s_or_b64 exec, exec, s[16:17]
	v_lshrrev_b32_e32 v3, 16, v2
	v_cmp_ne_u16_sdwa s[2:3], v3, v10 src0_sel:BYTE_0 src1_sel:DWORD
	v_mov_b32_e32 v9, 0
	v_mov_b32_e32 v49, 0
	s_and_saveexec_b64 s[16:17], s[2:3]
	s_cbranch_execz .LBB303_296
; %bb.291:                              ;   in Loop: Header=BB303_153 Depth=1
	v_cmp_ne_u16_sdwa s[2:3], v3, s26 src0_sel:BYTE_0 src1_sel:DWORD
	v_bfrev_b32_e32 v49, 1
	s_and_saveexec_b64 s[18:19], s[2:3]
	s_cbranch_execz .LBB303_295
; %bb.292:                              ;   in Loop: Header=BB303_153 Depth=1
	v_bfe_u32 v50, v2, 16, 7
	v_cmp_ne_u32_e64 s[2:3], s27, v50
	v_mov_b32_e32 v49, 0x7f800001
	s_and_saveexec_b64 s[24:25], s[2:3]
	s_cbranch_execz .LBB303_294
; %bb.293:                              ;   in Loop: Header=BB303_153 Depth=1
	v_and_b32_e32 v49, 7, v3
	v_ffbh_u32_e32 v51, v49
	v_min_u32_e32 v54, 32, v51
	v_subrev_u32_e32 v51, 28, v54
	v_lshlrev_b64 v[51:52], v51, v[3:4]
	v_lshrrev_b32_e32 v53, 3, v50
	v_sub_u32_e32 v52, 29, v54
	v_and_b32_e32 v51, 7, v51
	v_cmp_gt_u32_e64 s[2:3], 8, v50
	v_cndmask_b32_e64 v50, v53, v52, s[2:3]
	v_cndmask_b32_e64 v49, v49, v51, s[2:3]
	v_lshlrev_b32_e32 v3, 24, v3
	v_lshlrev_b32_e32 v49, 20, v49
	v_and_b32_e32 v3, 0x80000000, v3
	v_lshl_add_u32 v50, v50, 23, v33
	v_or3_b32 v49, v3, v50, v49
.LBB303_294:                            ;   in Loop: Header=BB303_153 Depth=1
	s_or_b64 exec, exec, s[24:25]
.LBB303_295:                            ;   in Loop: Header=BB303_153 Depth=1
	s_or_b64 exec, exec, s[18:19]
.LBB303_296:                            ;   in Loop: Header=BB303_153 Depth=1
	s_or_b64 exec, exec, s[16:17]
	v_cmp_lt_u64_e64 s[2:3], s[6:7], v[1:2]
	s_and_saveexec_b64 s[16:17], s[2:3]
	s_cbranch_execz .LBB303_302
; %bb.297:                              ;   in Loop: Header=BB303_153 Depth=1
	v_lshrrev_b32_e32 v1, 24, v2
	v_cmp_ne_u32_e64 s[2:3], s26, v1
	v_bfrev_b32_e32 v9, 1
	s_and_saveexec_b64 s[18:19], s[2:3]
	s_cbranch_execz .LBB303_301
; %bb.298:                              ;   in Loop: Header=BB303_153 Depth=1
	v_bfe_u32 v2, v2, 24, 7
	v_cmp_ne_u32_e64 s[2:3], s27, v2
	v_mov_b32_e32 v9, 0x7f800001
	s_and_saveexec_b64 s[24:25], s[2:3]
	s_cbranch_execz .LBB303_300
; %bb.299:                              ;   in Loop: Header=BB303_153 Depth=1
	v_and_b32_e32 v3, 7, v1
	v_ffbh_u32_e32 v50, v3
	v_min_u32_e32 v52, 32, v50
	v_subrev_u32_e32 v50, 28, v52
	v_lshlrev_b64 v[50:51], v50, v[1:2]
	v_lshrrev_b32_e32 v9, 3, v2
	v_sub_u32_e32 v51, 29, v52
	v_and_b32_e32 v50, 7, v50
	v_cmp_gt_u32_e64 s[2:3], 8, v2
	v_cndmask_b32_e64 v2, v9, v51, s[2:3]
	v_cndmask_b32_e64 v3, v3, v50, s[2:3]
	v_lshlrev_b32_e32 v1, 24, v1
	v_lshlrev_b32_e32 v3, 20, v3
	v_and_b32_e32 v1, 0x80000000, v1
	v_lshl_add_u32 v2, v2, 23, v33
	v_or3_b32 v9, v1, v2, v3
.LBB303_300:                            ;   in Loop: Header=BB303_153 Depth=1
	s_or_b64 exec, exec, s[24:25]
.LBB303_301:                            ;   in Loop: Header=BB303_153 Depth=1
	s_or_b64 exec, exec, s[18:19]
.LBB303_302:                            ;   in Loop: Header=BB303_153 Depth=1
	s_or_b64 exec, exec, s[16:17]
	v_mul_f32_e32 v1, s29, v48
	v_bfe_u32 v2, v1, 16, 1
	v_add3_u32 v2, v2, v1, s33
	v_or_b32_e32 v3, 0x400000, v1
	v_cmp_u_f32_e64 s[2:3], v1, v1
	v_cndmask_b32_e64 v1, v2, v3, s[2:3]
	v_mul_f32_e32 v2, s29, v47
	v_bfe_u32 v3, v2, 16, 1
	v_add3_u32 v3, v3, v2, s33
	v_or_b32_e32 v47, 0x400000, v2
	v_cmp_u_f32_e64 s[2:3], v2, v2
	v_cndmask_b32_e64 v2, v3, v47, s[2:3]
	v_mul_f32_e32 v3, s29, v46
	v_bfe_u32 v46, v3, 16, 1
	v_add3_u32 v46, v46, v3, s33
	v_or_b32_e32 v47, 0x400000, v3
	v_cmp_u_f32_e64 s[2:3], v3, v3
	v_mul_f32_e32 v16, s29, v16
	v_cndmask_b32_e64 v3, v46, v47, s[2:3]
	v_bfe_u32 v46, v16, 16, 1
	v_add3_u32 v46, v46, v16, s33
	v_or_b32_e32 v47, 0x400000, v16
	v_cmp_u_f32_e64 s[2:3], v16, v16
	v_mul_f32_e32 v15, s29, v15
	v_cndmask_b32_e64 v16, v46, v47, s[2:3]
	v_bfe_u32 v46, v15, 16, 1
	v_add3_u32 v46, v46, v15, s33
	v_or_b32_e32 v47, 0x400000, v15
	v_cmp_u_f32_e64 s[2:3], v15, v15
	v_cndmask_b32_e64 v15, v46, v47, s[2:3]
	v_mul_f32_e32 v8, s29, v8
	v_lshrrev_b32_e32 v46, 16, v15
	v_bfe_u32 v15, v8, 16, 1
	v_add3_u32 v15, v15, v8, s33
	v_or_b32_e32 v47, 0x400000, v8
	v_cmp_u_f32_e64 s[2:3], v8, v8
	v_cndmask_b32_e64 v8, v15, v47, s[2:3]
	v_lshrrev_b32_e32 v47, 16, v8
	v_mul_f32_e32 v8, s29, v49
	v_bfe_u32 v15, v8, 16, 1
	v_add3_u32 v15, v15, v8, s33
	v_or_b32_e32 v48, 0x400000, v8
	v_cmp_u_f32_e64 s[2:3], v8, v8
	v_cndmask_b32_e64 v8, v15, v48, s[2:3]
	v_lshrrev_b32_e32 v15, 16, v8
	v_mul_f32_e32 v8, s29, v9
	v_bfe_u32 v9, v8, 16, 1
	v_add3_u32 v9, v9, v8, s33
	v_or_b32_e32 v48, 0x400000, v8
	v_cmp_u_f32_e64 s[2:3], v8, v8
	v_cndmask_b32_e64 v8, v9, v48, s[2:3]
	v_lshrrev_b32_e32 v1, 16, v1
	v_lshrrev_b32_e32 v2, 16, v2
	v_lshrrev_b32_e32 v3, 16, v3
	v_lshrrev_b32_e32 v16, 16, v16
	v_lshrrev_b32_e32 v8, 16, v8
	s_and_saveexec_b64 s[2:3], s[0:1]
	s_cbranch_execz .LBB303_151
; %bb.303:                              ;   in Loop: Header=BB303_153 Depth=1
	v_cmp_gt_i32_e64 s[0:1], s30, v40
	v_add_u32_e32 v9, -6, v30
	v_cndmask_b32_e64 v47, 0, v47, s[0:1]
	v_cmp_gt_i32_e64 s[0:1], s30, v9
	v_add_u32_e32 v9, -5, v30
	v_cndmask_b32_e64 v46, 0, v46, s[0:1]
	;; [unrolled: 3-line block ×6, first 2 shown]
	v_cmp_gt_i32_e64 s[0:1], s30, v9
	v_cndmask_b32_e64 v15, 0, v15, s[0:1]
	v_cmp_gt_i32_e64 s[0:1], s30, v30
	v_cndmask_b32_e64 v8, 0, v8, s[0:1]
	s_branch .LBB303_151
.LBB303_304:
	s_or_b64 exec, exec, s[12:13]
.LBB303_305:
	s_or_b64 exec, exec, s[4:5]
	ds_bpermute_b32 v1, v23, v28
	ds_bpermute_b32 v4, v23, v31
	;; [unrolled: 1-line block ×3, first 2 shown]
	v_cmp_eq_u32_e32 vcc, 0, v25
	s_waitcnt lgkmcnt(0)
	v_add_f32_e32 v3, v28, v1
	v_add_f32_e32 v1, v31, v4
	v_and_b32_e32 v4, 0x3c0, v0
	v_add_f32_e32 v2, v29, v2
	v_cmp_eq_u32_e64 s[0:1], 64, v4
	s_barrier
	s_and_saveexec_b64 s[2:3], s[0:1]
	s_cbranch_execz .LBB303_310
; %bb.306:
	s_and_saveexec_b64 s[0:1], vcc
; %bb.307:
	v_mov_b32_e32 v4, 0xb0
	v_lshl_add_u32 v4, v24, 2, v4
	ds_write2_b32 v4, v3, v2 offset1:32
; %bb.308:
	s_or_b64 exec, exec, s[0:1]
	v_or_b32_e32 v4, 64, v24
	s_movk_i32 s0, 0x50
	v_cmp_gt_u32_e64 s[0:1], s0, v4
	s_and_b64 s[0:1], vcc, s[0:1]
	s_and_b64 exec, exec, s[0:1]
; %bb.309:
	v_mov_b32_e32 v4, 0xb0
	v_lshl_add_u32 v4, v24, 2, v4
	ds_write_b32 v4, v1 offset:256
.LBB303_310:
	s_or_b64 exec, exec, s[2:3]
	v_cmp_gt_u32_e64 s[0:1], 64, v0
	v_lshrrev_b32_e32 v0, 1, v0
	s_waitcnt lgkmcnt(0)
	s_barrier
	s_and_saveexec_b64 s[4:5], s[0:1]
	s_cbranch_execz .LBB303_318
; %bb.311:
	s_and_saveexec_b64 s[2:3], vcc
	s_cbranch_execz .LBB303_313
; %bb.312:
	v_mov_b32_e32 v4, 0xb0
	v_lshl_add_u32 v4, v0, 2, v4
	ds_read_b32 v4, v4
	s_waitcnt lgkmcnt(0)
	v_add_f32_e32 v3, v3, v4
.LBB303_313:
	s_or_b64 exec, exec, s[2:3]
	v_or_b32_e32 v4, 32, v0
	s_movk_i32 s6, 0x50
	v_cmp_gt_u32_e64 s[2:3], s6, v4
	s_and_b64 s[12:13], vcc, s[2:3]
	s_and_saveexec_b64 s[2:3], s[12:13]
	s_cbranch_execz .LBB303_315
; %bb.314:
	v_mov_b32_e32 v4, 0xb0
	v_lshl_add_u32 v4, v0, 2, v4
	ds_read_b32 v4, v4 offset:128
	s_waitcnt lgkmcnt(0)
	v_add_f32_e32 v2, v2, v4
.LBB303_315:
	s_or_b64 exec, exec, s[2:3]
	v_or_b32_e32 v4, 64, v0
	v_cmp_gt_u32_e64 s[2:3], s6, v4
	s_and_b64 s[6:7], vcc, s[2:3]
	s_and_saveexec_b64 s[2:3], s[6:7]
	s_cbranch_execz .LBB303_317
; %bb.316:
	v_mov_b32_e32 v4, 0xb0
	v_lshl_add_u32 v4, v0, 2, v4
	ds_read_b32 v4, v4 offset:256
	s_waitcnt lgkmcnt(0)
	v_add_f32_e32 v1, v1, v4
.LBB303_317:
	s_or_b64 exec, exec, s[2:3]
.LBB303_318:
	s_or_b64 exec, exec, s[4:5]
	s_barrier
	s_and_saveexec_b64 s[2:3], s[0:1]
	s_cbranch_execz .LBB303_325
; %bb.319:
	s_mul_i32 s0, s10, s11
	s_mul_i32 s0, s0, s9
	s_mulk_i32 s0, 0x50
	s_ashr_i32 s1, s0, 31
	s_lshl_b64 s[0:1], s[0:1], 1
	s_add_u32 s2, s22, s0
	s_mul_i32 s0, s11, s20
	s_addc_u32 s3, s23, s1
	s_ashr_i32 s1, s0, 31
	s_lshl_b64 s[0:1], s[0:1], 1
	s_add_u32 s2, s2, s0
	s_mul_i32 s0, s8, 0x50
	s_addc_u32 s3, s3, s1
	s_ashr_i32 s1, s0, 31
	s_lshl_b64 s[0:1], s[0:1], 1
	s_add_u32 s2, s2, s0
	s_movk_i32 s6, 0x50
	s_addc_u32 s3, s3, s1
	v_lshlrev_b32_e32 v4, 1, v0
	s_and_saveexec_b64 s[4:5], vcc
	s_cbranch_execz .LBB303_321
; %bb.320:
	v_bfe_u32 v5, v3, 16, 1
	s_movk_i32 s0, 0x7fff
	v_add3_u32 v5, v5, v3, s0
	v_or_b32_e32 v6, 0x400000, v3
	v_cmp_u_f32_e64 s[0:1], v3, v3
	v_cndmask_b32_e64 v3, v5, v6, s[0:1]
	global_store_short_d16_hi v4, v3, s[2:3]
.LBB303_321:
	s_or_b64 exec, exec, s[4:5]
	v_or_b32_e32 v3, 32, v0
	v_cmp_gt_u32_e64 s[0:1], s6, v3
	s_and_b64 s[0:1], vcc, s[0:1]
	s_and_saveexec_b64 s[4:5], s[0:1]
	s_cbranch_execz .LBB303_323
; %bb.322:
	v_bfe_u32 v3, v2, 16, 1
	s_movk_i32 s0, 0x7fff
	v_add3_u32 v3, v3, v2, s0
	v_or_b32_e32 v5, 0x400000, v2
	v_cmp_u_f32_e64 s[0:1], v2, v2
	v_cndmask_b32_e64 v2, v3, v5, s[0:1]
	global_store_short_d16_hi v4, v2, s[2:3] offset:64
.LBB303_323:
	s_or_b64 exec, exec, s[4:5]
	v_or_b32_e32 v0, 64, v0
	s_movk_i32 s0, 0x50
	v_cmp_gt_u32_e64 s[0:1], s0, v0
	s_and_b64 s[0:1], vcc, s[0:1]
	s_and_b64 exec, exec, s[0:1]
	s_cbranch_execz .LBB303_325
; %bb.324:
	v_bfe_u32 v0, v1, 16, 1
	s_movk_i32 s0, 0x7fff
	v_add3_u32 v0, v0, v1, s0
	v_or_b32_e32 v2, 0x400000, v1
	v_cmp_u_f32_e32 vcc, v1, v1
	v_cndmask_b32_e32 v0, v0, v2, vcc
	global_store_short_d16_hi v4, v0, s[2:3] offset:128
.LBB303_325:
	s_endpgm
	.section	.rodata,"a",@progbits
	.p2align	6, 0x0
	.amdhsa_kernel _ZN4vllm25paged_attention_v1_kernelI14__hip_bfloat16hLi80ELi16ELi128ELNS_18Fp8KVCacheDataTypeE1ELb0EEEvPT_PKS3_PKT0_S9_ifPKiSB_iPKfiiiSD_SD_iiiii
		.amdhsa_group_segment_fixed_size 176
		.amdhsa_private_segment_fixed_size 0
		.amdhsa_kernarg_size 384
		.amdhsa_user_sgpr_count 6
		.amdhsa_user_sgpr_private_segment_buffer 1
		.amdhsa_user_sgpr_dispatch_ptr 0
		.amdhsa_user_sgpr_queue_ptr 0
		.amdhsa_user_sgpr_kernarg_segment_ptr 1
		.amdhsa_user_sgpr_dispatch_id 0
		.amdhsa_user_sgpr_flat_scratch_init 0
		.amdhsa_user_sgpr_private_segment_size 0
		.amdhsa_uses_dynamic_stack 0
		.amdhsa_system_sgpr_private_segment_wavefront_offset 0
		.amdhsa_system_sgpr_workgroup_id_x 1
		.amdhsa_system_sgpr_workgroup_id_y 1
		.amdhsa_system_sgpr_workgroup_id_z 1
		.amdhsa_system_sgpr_workgroup_info 0
		.amdhsa_system_vgpr_workitem_id 0
		.amdhsa_next_free_vgpr 64
		.amdhsa_next_free_sgpr 44
		.amdhsa_reserve_vcc 1
		.amdhsa_reserve_flat_scratch 0
		.amdhsa_float_round_mode_32 0
		.amdhsa_float_round_mode_16_64 0
		.amdhsa_float_denorm_mode_32 3
		.amdhsa_float_denorm_mode_16_64 3
		.amdhsa_dx10_clamp 1
		.amdhsa_ieee_mode 1
		.amdhsa_fp16_overflow 0
		.amdhsa_exception_fp_ieee_invalid_op 0
		.amdhsa_exception_fp_denorm_src 0
		.amdhsa_exception_fp_ieee_div_zero 0
		.amdhsa_exception_fp_ieee_overflow 0
		.amdhsa_exception_fp_ieee_underflow 0
		.amdhsa_exception_fp_ieee_inexact 0
		.amdhsa_exception_int_div_zero 0
	.end_amdhsa_kernel
	.section	.text._ZN4vllm25paged_attention_v1_kernelI14__hip_bfloat16hLi80ELi16ELi128ELNS_18Fp8KVCacheDataTypeE1ELb0EEEvPT_PKS3_PKT0_S9_ifPKiSB_iPKfiiiSD_SD_iiiii,"axG",@progbits,_ZN4vllm25paged_attention_v1_kernelI14__hip_bfloat16hLi80ELi16ELi128ELNS_18Fp8KVCacheDataTypeE1ELb0EEEvPT_PKS3_PKT0_S9_ifPKiSB_iPKfiiiSD_SD_iiiii,comdat
.Lfunc_end303:
	.size	_ZN4vllm25paged_attention_v1_kernelI14__hip_bfloat16hLi80ELi16ELi128ELNS_18Fp8KVCacheDataTypeE1ELb0EEEvPT_PKS3_PKT0_S9_ifPKiSB_iPKfiiiSD_SD_iiiii, .Lfunc_end303-_ZN4vllm25paged_attention_v1_kernelI14__hip_bfloat16hLi80ELi16ELi128ELNS_18Fp8KVCacheDataTypeE1ELb0EEEvPT_PKS3_PKT0_S9_ifPKiSB_iPKfiiiSD_SD_iiiii
                                        ; -- End function
	.set _ZN4vllm25paged_attention_v1_kernelI14__hip_bfloat16hLi80ELi16ELi128ELNS_18Fp8KVCacheDataTypeE1ELb0EEEvPT_PKS3_PKT0_S9_ifPKiSB_iPKfiiiSD_SD_iiiii.num_vgpr, 64
	.set _ZN4vllm25paged_attention_v1_kernelI14__hip_bfloat16hLi80ELi16ELi128ELNS_18Fp8KVCacheDataTypeE1ELb0EEEvPT_PKS3_PKT0_S9_ifPKiSB_iPKfiiiSD_SD_iiiii.num_agpr, 0
	.set _ZN4vllm25paged_attention_v1_kernelI14__hip_bfloat16hLi80ELi16ELi128ELNS_18Fp8KVCacheDataTypeE1ELb0EEEvPT_PKS3_PKT0_S9_ifPKiSB_iPKfiiiSD_SD_iiiii.numbered_sgpr, 44
	.set _ZN4vllm25paged_attention_v1_kernelI14__hip_bfloat16hLi80ELi16ELi128ELNS_18Fp8KVCacheDataTypeE1ELb0EEEvPT_PKS3_PKT0_S9_ifPKiSB_iPKfiiiSD_SD_iiiii.num_named_barrier, 0
	.set _ZN4vllm25paged_attention_v1_kernelI14__hip_bfloat16hLi80ELi16ELi128ELNS_18Fp8KVCacheDataTypeE1ELb0EEEvPT_PKS3_PKT0_S9_ifPKiSB_iPKfiiiSD_SD_iiiii.private_seg_size, 0
	.set _ZN4vllm25paged_attention_v1_kernelI14__hip_bfloat16hLi80ELi16ELi128ELNS_18Fp8KVCacheDataTypeE1ELb0EEEvPT_PKS3_PKT0_S9_ifPKiSB_iPKfiiiSD_SD_iiiii.uses_vcc, 1
	.set _ZN4vllm25paged_attention_v1_kernelI14__hip_bfloat16hLi80ELi16ELi128ELNS_18Fp8KVCacheDataTypeE1ELb0EEEvPT_PKS3_PKT0_S9_ifPKiSB_iPKfiiiSD_SD_iiiii.uses_flat_scratch, 0
	.set _ZN4vllm25paged_attention_v1_kernelI14__hip_bfloat16hLi80ELi16ELi128ELNS_18Fp8KVCacheDataTypeE1ELb0EEEvPT_PKS3_PKT0_S9_ifPKiSB_iPKfiiiSD_SD_iiiii.has_dyn_sized_stack, 0
	.set _ZN4vllm25paged_attention_v1_kernelI14__hip_bfloat16hLi80ELi16ELi128ELNS_18Fp8KVCacheDataTypeE1ELb0EEEvPT_PKS3_PKT0_S9_ifPKiSB_iPKfiiiSD_SD_iiiii.has_recursion, 0
	.set _ZN4vllm25paged_attention_v1_kernelI14__hip_bfloat16hLi80ELi16ELi128ELNS_18Fp8KVCacheDataTypeE1ELb0EEEvPT_PKS3_PKT0_S9_ifPKiSB_iPKfiiiSD_SD_iiiii.has_indirect_call, 0
	.section	.AMDGPU.csdata,"",@progbits
; Kernel info:
; codeLenInByte = 15892
; TotalNumSgprs: 48
; NumVgprs: 64
; ScratchSize: 0
; MemoryBound: 0
; FloatMode: 240
; IeeeMode: 1
; LDSByteSize: 176 bytes/workgroup (compile time only)
; SGPRBlocks: 5
; VGPRBlocks: 15
; NumSGPRsForWavesPerEU: 48
; NumVGPRsForWavesPerEU: 64
; Occupancy: 4
; WaveLimiterHint : 1
; COMPUTE_PGM_RSRC2:SCRATCH_EN: 0
; COMPUTE_PGM_RSRC2:USER_SGPR: 6
; COMPUTE_PGM_RSRC2:TRAP_HANDLER: 0
; COMPUTE_PGM_RSRC2:TGID_X_EN: 1
; COMPUTE_PGM_RSRC2:TGID_Y_EN: 1
; COMPUTE_PGM_RSRC2:TGID_Z_EN: 1
; COMPUTE_PGM_RSRC2:TIDIG_COMP_CNT: 0
	.section	.text._ZN4vllm25paged_attention_v1_kernelI14__hip_bfloat16hLi96ELi16ELi128ELNS_18Fp8KVCacheDataTypeE1ELb0EEEvPT_PKS3_PKT0_S9_ifPKiSB_iPKfiiiSD_SD_iiiii,"axG",@progbits,_ZN4vllm25paged_attention_v1_kernelI14__hip_bfloat16hLi96ELi16ELi128ELNS_18Fp8KVCacheDataTypeE1ELb0EEEvPT_PKS3_PKT0_S9_ifPKiSB_iPKfiiiSD_SD_iiiii,comdat
	.protected	_ZN4vllm25paged_attention_v1_kernelI14__hip_bfloat16hLi96ELi16ELi128ELNS_18Fp8KVCacheDataTypeE1ELb0EEEvPT_PKS3_PKT0_S9_ifPKiSB_iPKfiiiSD_SD_iiiii ; -- Begin function _ZN4vllm25paged_attention_v1_kernelI14__hip_bfloat16hLi96ELi16ELi128ELNS_18Fp8KVCacheDataTypeE1ELb0EEEvPT_PKS3_PKT0_S9_ifPKiSB_iPKfiiiSD_SD_iiiii
	.globl	_ZN4vllm25paged_attention_v1_kernelI14__hip_bfloat16hLi96ELi16ELi128ELNS_18Fp8KVCacheDataTypeE1ELb0EEEvPT_PKS3_PKT0_S9_ifPKiSB_iPKfiiiSD_SD_iiiii
	.p2align	8
	.type	_ZN4vllm25paged_attention_v1_kernelI14__hip_bfloat16hLi96ELi16ELi128ELNS_18Fp8KVCacheDataTypeE1ELb0EEEvPT_PKS3_PKT0_S9_ifPKiSB_iPKfiiiSD_SD_iiiii,@function
_ZN4vllm25paged_attention_v1_kernelI14__hip_bfloat16hLi96ELi16ELi128ELNS_18Fp8KVCacheDataTypeE1ELb0EEEvPT_PKS3_PKT0_S9_ifPKiSB_iPKfiiiSD_SD_iiiii: ; @_ZN4vllm25paged_attention_v1_kernelI14__hip_bfloat16hLi96ELi16ELi128ELNS_18Fp8KVCacheDataTypeE1ELb0EEEvPT_PKS3_PKT0_S9_ifPKiSB_iPKfiiiSD_SD_iiiii
; %bb.0:
	s_mov_b64 s[46:47], s[2:3]
	s_mov_b64 s[44:45], s[0:1]
	s_add_u32 s44, s44, s9
	s_load_dword s9, s[4:5], 0x80
	s_load_dwordx2 s[0:1], s[4:5], 0x30
	s_load_dwordx2 s[30:31], s[4:5], 0x20
	s_addc_u32 s45, s45, 0
	s_mov_b32 s10, s7
	s_ashr_i32 s11, s7, 31
	s_lshl_b64 s[2:3], s[10:11], 2
	s_waitcnt lgkmcnt(0)
	s_add_u32 s0, s0, s2
	s_addc_u32 s1, s1, s3
	s_abs_i32 s2, s30
	v_mov_b32_e32 v11, v0
	v_cvt_f32_u32_e32 v0, s2
	s_sub_i32 s11, 0, s2
	s_abs_i32 s7, s9
	s_xor_b32 s3, s9, s30
	v_rcp_iflag_f32_e32 v0, v0
	s_ashr_i32 s3, s3, 31
	s_mov_b32 s33, 0
	v_mul_f32_e32 v0, 0x4f7ffffe, v0
	v_cvt_u32_f32_e32 v0, v0
	v_readfirstlane_b32 s12, v0
	s_mul_i32 s11, s11, s12
	s_mul_hi_u32 s11, s12, s11
	s_add_i32 s12, s12, s11
	s_mul_hi_u32 s11, s7, s12
	s_mul_i32 s12, s11, s2
	s_sub_i32 s7, s7, s12
	s_add_i32 s12, s11, 1
	s_sub_i32 s13, s7, s2
	s_cmp_ge_u32 s7, s2
	s_cselect_b32 s11, s12, s11
	s_cselect_b32 s7, s13, s7
	s_add_i32 s12, s11, 1
	s_cmp_ge_u32 s7, s2
	s_cselect_b32 s2, s12, s11
	s_xor_b32 s2, s2, s3
	s_sub_i32 s18, s2, s3
	s_abs_i32 s11, s18
	v_cvt_f32_u32_e32 v0, s11
	s_load_dwordx2 s[2:3], s[4:5], 0x40
	s_sub_i32 s7, 0, s11
	s_abs_i32 s16, s6
	v_rcp_iflag_f32_e32 v0, v0
	v_mul_f32_e32 v0, 0x4f7ffffe, v0
	v_cvt_u32_f32_e32 v0, v0
	v_readfirstlane_b32 s12, v0
	s_mul_i32 s7, s7, s12
	s_mul_hi_u32 s7, s12, s7
	s_add_i32 s12, s12, s7
	s_waitcnt lgkmcnt(0)
	s_cmp_eq_u64 s[2:3], 0
	s_mul_hi_u32 s17, s16, s12
	s_cbranch_scc1 .LBB304_2
; %bb.1:
	s_ashr_i32 s7, s6, 31
	s_lshl_b64 s[12:13], s[6:7], 2
	s_add_u32 s2, s2, s12
	s_addc_u32 s3, s3, s13
	s_load_dword s33, s[2:3], 0x0
.LBB304_2:
	s_load_dword s30, s[0:1], 0x0
	s_load_dwordx4 s[12:15], s[4:5], 0x48
	s_ashr_i32 s2, s6, 31
	s_ashr_i32 s3, s18, 31
	v_and_b32_e32 v1, 3, v11
	s_mul_i32 s20, s6, 0x60
	v_cmp_gt_u32_e32 vcc, 48, v11
	s_and_saveexec_b64 s[0:1], vcc
	s_cbranch_execz .LBB304_4
; %bb.3:
	s_load_dwordx2 s[6:7], s[4:5], 0x8
	s_waitcnt lgkmcnt(0)
	s_mul_i32 s18, s12, s10
	s_ashr_i32 s19, s18, 31
	s_lshl_b64 s[18:19], s[18:19], 1
	v_lshlrev_b32_e32 v0, 2, v11
	s_add_u32 s12, s6, s18
	s_addc_u32 s15, s7, s19
	s_ashr_i32 s21, s20, 31
	s_lshl_b64 s[6:7], s[20:21], 1
	s_add_u32 s6, s12, s6
	s_addc_u32 s7, s15, s7
	global_load_dword v0, v0, s[6:7]
	v_and_b32_e32 v2, 0x3fc, v11
	v_mad_u32_u24 v2, v1, 48, v2
	s_waitcnt vmcnt(0)
	ds_write_b32 v2, v0
.LBB304_4:
	s_or_b64 exec, exec, s[0:1]
	s_waitcnt lgkmcnt(0)
	s_add_i32 s1, s30, 15
	s_ashr_i32 s6, s1, 31
	s_lshr_b32 s6, s6, 28
	s_add_i32 s1, s1, s6
	s_ashr_i32 s21, s1, 4
	s_xor_b32 s1, s2, s3
	s_mul_i32 s2, s17, s11
	s_sub_i32 s2, s16, s2
	s_add_i32 s3, s17, 1
	s_sub_i32 s6, s2, s11
	s_load_dwordx2 s[24:25], s[4:5], 0x28
	s_load_dword s0, s[4:5], 0x38
	s_cmp_ge_u32 s2, s11
	s_cselect_b32 s3, s3, s17
	s_cselect_b32 s2, s6, s2
	s_add_i32 s6, s3, 1
	s_cmp_ge_u32 s2, s11
	s_cselect_b32 s2, s6, s3
	v_lshrrev_b32_e32 v20, 6, v11
	s_xor_b32 s2, s2, s1
	s_waitcnt lgkmcnt(0)
	s_mul_i32 s26, s0, s10
	s_sub_i32 s12, s2, s1
	s_ashr_i32 s27, s26, 31
	v_cmp_gt_i32_e64 s[0:1], s21, v20
	v_cmp_le_i32_e32 vcc, s21, v20
	v_mbcnt_lo_u32_b32 v0, -1, 0
	s_barrier
                                        ; implicit-def: $vgpr12
                                        ; implicit-def: $vgpr8
                                        ; implicit-def: $vgpr14
	s_and_saveexec_b64 s[2:3], vcc
	s_xor_b64 s[2:3], exec, s[2:3]
; %bb.5:
	v_mbcnt_hi_u32_b32 v12, -1, v0
	v_and_b32_e32 v8, 64, v12
	v_add_u32_e32 v14, 64, v8
                                        ; implicit-def: $vgpr1
                                        ; implicit-def: $vgpr0
; %bb.6:
	s_or_saveexec_b64 s[6:7], s[2:3]
	s_load_dwordx2 s[22:23], s[4:5], 0x0
	s_load_dwordx2 s[28:29], s[4:5], 0x18
	s_load_dword s11, s[4:5], 0x88
	s_load_dwordx4 s[16:19], s[4:5], 0x58
	v_mov_b32_e32 v38, 0xff7fffff
	s_mul_i32 s12, s12, s14
	v_lshrrev_b32_e32 v13, 4, v11
	s_xor_b64 exec, exec, s[6:7]
	s_cbranch_execz .LBB304_156
; %bb.7:
	v_mul_u32_u24_e32 v10, 48, v1
	ds_read_b128 v[2:5], v10
	ds_read_b128 v[6:9], v10 offset:16
	s_load_dwordx2 s[2:3], s[4:5], 0x10
	s_ashr_i32 s4, s12, 31
	s_waitcnt lgkmcnt(0)
	s_load_dword s40, s[16:17], 0x0
	v_lshlrev_b32_e32 v12, 16, v2
	v_and_b32_e32 v2, 0xffff0000, v2
	buffer_store_dword v2, off, s[44:47], 0 offset:4 ; 4-byte Folded Spill
	v_lshlrev_b32_e32 v2, 16, v3
	buffer_store_dword v2, off, s[44:47], 0 offset:8 ; 4-byte Folded Spill
	v_and_b32_e32 v2, 0xffff0000, v3
	buffer_store_dword v2, off, s[44:47], 0 offset:12 ; 4-byte Folded Spill
	v_lshlrev_b32_e32 v17, 16, v4
	v_and_b32_e32 v18, 0xffff0000, v4
	v_lshlrev_b32_e32 v19, 16, v5
	v_and_b32_e32 v21, 0xffff0000, v5
	ds_read_b128 v[2:5], v10 offset:32
	s_add_u32 s2, s2, s12
	s_addc_u32 s3, s3, s4
	s_sub_i32 s38, 1, s30
	v_lshlrev_b32_e32 v22, 16, v6
	s_waitcnt lgkmcnt(0)
	v_lshlrev_b32_e32 v36, 16, v5
	v_and_b32_e32 v37, 0xffff0000, v5
	v_bfe_u32 v5, v11, 2, 4
	v_lshlrev_b32_e32 v30, 16, v2
	v_and_b32_e32 v31, 0xffff0000, v2
	v_lshlrev_b32_e32 v2, 4, v5
	v_lshlrev_b32_e32 v32, 16, v3
	v_and_b32_e32 v33, 0xffff0000, v3
	v_mov_b32_e32 v3, s3
	v_add_co_u32_e32 v2, vcc, s2, v2
	v_addc_co_u32_e32 v3, vcc, 0, v3, vcc
	v_cmp_eq_u32_e32 vcc, 0, v1
	v_lshlrev_b32_e32 v1, 1, v1
	v_add_co_u32_e64 v1, s[2:3], v2, v1
	v_addc_co_u32_e64 v2, s[2:3], 0, v3, s[2:3]
	s_lshl_b64 s[2:3], s[26:27], 2
	s_add_u32 s2, s24, s2
	v_and_b32_e32 v23, 0xffff0000, v6
	s_addc_u32 s3, s25, s3
	v_and_b32_e32 v3, 60, v13
	v_mbcnt_hi_u32_b32 v6, -1, v0
	v_lshlrev_b32_e32 v34, 16, v4
	v_and_b32_e32 v35, 0xffff0000, v4
	v_mov_b32_e32 v4, s3
	v_add_co_u32_e64 v3, s[2:3], s2, v3
	v_and_b32_e32 v0, 64, v6
	v_lshlrev_b32_e32 v24, 16, v7
	v_and_b32_e32 v25, 0xffff0000, v7
	v_addc_co_u32_e64 v4, s[2:3], 0, v4, s[2:3]
	buffer_store_dword v0, off, s[44:47], 0 offset:28 ; 4-byte Folded Spill
	v_add_u32_e32 v7, 64, v0
	v_xor_b32_e32 v0, 2, v6
	v_cmp_lt_i32_e64 s[2:3], v0, v7
	v_cndmask_b32_e64 v0, v6, v0, s[2:3]
	v_lshlrev_b32_e32 v39, 2, v0
	v_xor_b32_e32 v0, 1, v6
	v_cmp_lt_i32_e64 s[2:3], v0, v7
	v_cndmask_b32_e64 v0, v6, v0, s[2:3]
	v_lshlrev_b32_e32 v40, 2, v0
	v_lshlrev_b32_e32 v0, 2, v5
	v_lshl_or_b32 v0, v20, 6, v0
	v_lshlrev_b32_e32 v26, 16, v8
	v_and_b32_e32 v27, 0xffff0000, v8
	v_lshlrev_b32_e32 v28, 16, v9
	v_and_b32_e32 v29, 0xffff0000, v9
	s_mov_b32 s39, s13
	v_cmp_neq_f32_e64 s[2:3], s33, 0
	v_lshl_or_b32 v41, v20, 4, v5
	v_add_u32_e32 v42, 0xd0, v0
	s_mov_b64 s[14:15], 0
	s_movk_i32 s41, 0x80
	s_movk_i32 s42, 0x7f
	;; [unrolled: 1-line block ×3, first 2 shown]
	v_mov_b32_e32 v43, 0
	v_mov_b32_e32 v38, 0xff7fffff
	v_bfrev_b32_e32 v44, 60
	v_mov_b32_e32 v45, v20
	buffer_store_dword v12, off, s[44:47], 0 ; 4-byte Folded Spill
	buffer_store_dword v11, off, s[44:47], 0 offset:16 ; 4-byte Folded Spill
	buffer_store_dword v13, off, s[44:47], 0 offset:20 ; 4-byte Folded Spill
	;; [unrolled: 1-line block ×3, first 2 shown]
	s_branch .LBB304_9
.LBB304_8:                              ;   in Loop: Header=BB304_9 Depth=1
	s_or_b64 exec, exec, s[16:17]
	v_add_u32_e32 v45, 2, v45
	v_cmp_le_i32_e64 s[4:5], s21, v45
	s_or_b64 s[14:15], s[4:5], s[14:15]
	v_add_co_u32_e64 v3, s[4:5], 8, v3
	v_add_u32_e32 v41, 32, v41
	v_add_u32_e32 v42, 0x80, v42
	v_addc_co_u32_e64 v4, s[4:5], 0, v4, s[4:5]
	s_andn2_b64 exec, exec, s[14:15]
	s_cbranch_execz .LBB304_155
.LBB304_9:                              ; =>This Inner Loop Header: Depth=1
	global_load_dword v0, v[3:4], off
	v_mov_b32_e32 v46, 0
	s_waitcnt vmcnt(0) lgkmcnt(0)
	v_mad_i64_i32 v[5:6], s[4:5], v0, s39, v[1:2]
	global_load_ushort v0, v[5:6], off
	s_waitcnt vmcnt(0)
	v_and_b32_e32 v7, 0xffff, v0
	v_cmp_ne_u16_sdwa s[4:5], v0, v43 src0_sel:BYTE_0 src1_sel:DWORD
	s_and_saveexec_b64 s[16:17], s[4:5]
	s_cbranch_execz .LBB304_15
; %bb.10:                               ;   in Loop: Header=BB304_9 Depth=1
	v_cmp_ne_u16_sdwa s[4:5], v7, s41 src0_sel:BYTE_0 src1_sel:DWORD
	v_bfrev_b32_e32 v46, 1
	s_and_saveexec_b64 s[34:35], s[4:5]
	s_cbranch_execz .LBB304_14
; %bb.11:                               ;   in Loop: Header=BB304_9 Depth=1
	v_and_b32_e32 v0, 0x7f, v7
	v_cmp_ne_u32_e64 s[4:5], s42, v0
	v_mov_b32_e32 v46, 0x7f800001
	s_and_saveexec_b64 s[36:37], s[4:5]
	s_cbranch_execz .LBB304_13
; %bb.12:                               ;   in Loop: Header=BB304_9 Depth=1
	v_and_b32_e32 v10, 7, v7
	v_ffbh_u32_e32 v8, v10
	v_min_u32_e32 v12, 32, v8
	v_subrev_u32_e32 v8, 28, v12
	v_lshlrev_b64 v[8:9], v8, v[7:8]
	v_lshrrev_b32_e32 v11, 3, v0
	v_sub_u32_e32 v9, 29, v12
	v_and_b32_e32 v8, 7, v8
	v_cmp_gt_u32_e64 s[4:5], 8, v0
	v_cndmask_b32_e64 v0, v11, v9, s[4:5]
	v_cndmask_b32_e64 v8, v10, v8, s[4:5]
	v_lshlrev_b32_e32 v9, 24, v7
	v_lshlrev_b32_e32 v8, 20, v8
	v_and_b32_e32 v9, 0x80000000, v9
	v_lshl_add_u32 v0, v0, 23, v44
	v_or3_b32 v46, v9, v0, v8
.LBB304_13:                             ;   in Loop: Header=BB304_9 Depth=1
	s_or_b64 exec, exec, s[36:37]
.LBB304_14:                             ;   in Loop: Header=BB304_9 Depth=1
	s_or_b64 exec, exec, s[34:35]
.LBB304_15:                             ;   in Loop: Header=BB304_9 Depth=1
	s_or_b64 exec, exec, s[16:17]
	v_lshrrev_b16_e32 v8, 8, v7
	v_cmp_ne_u16_e64 s[4:5], 0, v8
	v_mov_b32_e32 v48, 0
	v_mov_b32_e32 v47, 0
	s_and_saveexec_b64 s[16:17], s[4:5]
	s_cbranch_execz .LBB304_21
; %bb.16:                               ;   in Loop: Header=BB304_9 Depth=1
	v_cmp_ne_u16_e64 s[4:5], s41, v8
	v_bfrev_b32_e32 v47, 1
	s_and_saveexec_b64 s[34:35], s[4:5]
	s_cbranch_execz .LBB304_20
; %bb.17:                               ;   in Loop: Header=BB304_9 Depth=1
	v_and_b32_e32 v0, 0x7f, v8
	v_cmp_ne_u32_e64 s[4:5], s42, v0
	v_mov_b32_e32 v47, 0x7f800001
	s_and_saveexec_b64 s[36:37], s[4:5]
	s_cbranch_execz .LBB304_19
; %bb.18:                               ;   in Loop: Header=BB304_9 Depth=1
	v_and_b32_e32 v10, 7, v8
	v_ffbh_u32_e32 v9, v10
	v_min_u32_e32 v12, 32, v9
	v_subrev_u32_e32 v9, 28, v12
	v_lshlrev_b64 v[8:9], v9, v[8:9]
	v_lshrrev_b32_e32 v11, 3, v0
	v_sub_u32_e32 v9, 29, v12
	v_and_b32_e32 v8, 7, v8
	v_cmp_gt_u32_e64 s[4:5], 8, v0
	v_cndmask_b32_e64 v0, v11, v9, s[4:5]
	v_cndmask_b32_e64 v8, v10, v8, s[4:5]
	v_lshlrev_b32_e32 v7, 16, v7
	v_lshlrev_b32_e32 v8, 20, v8
	v_and_b32_e32 v7, 0x80000000, v7
	v_lshl_add_u32 v0, v0, 23, v44
	v_or3_b32 v47, v7, v0, v8
.LBB304_19:                             ;   in Loop: Header=BB304_9 Depth=1
	s_or_b64 exec, exec, s[36:37]
.LBB304_20:                             ;   in Loop: Header=BB304_9 Depth=1
	s_or_b64 exec, exec, s[34:35]
.LBB304_21:                             ;   in Loop: Header=BB304_9 Depth=1
	s_or_b64 exec, exec, s[16:17]
	global_load_ushort v0, v[5:6], off offset:8
	s_waitcnt vmcnt(0)
	v_and_b32_e32 v7, 0xffff, v0
	v_cmp_ne_u16_sdwa s[4:5], v0, v43 src0_sel:BYTE_0 src1_sel:DWORD
	s_and_saveexec_b64 s[16:17], s[4:5]
	s_cbranch_execz .LBB304_27
; %bb.22:                               ;   in Loop: Header=BB304_9 Depth=1
	v_cmp_ne_u16_sdwa s[4:5], v7, s41 src0_sel:BYTE_0 src1_sel:DWORD
	v_bfrev_b32_e32 v48, 1
	s_and_saveexec_b64 s[34:35], s[4:5]
	s_cbranch_execz .LBB304_26
; %bb.23:                               ;   in Loop: Header=BB304_9 Depth=1
	v_and_b32_e32 v0, 0x7f, v7
	v_cmp_ne_u32_e64 s[4:5], s42, v0
	v_mov_b32_e32 v48, 0x7f800001
	s_and_saveexec_b64 s[36:37], s[4:5]
	s_cbranch_execz .LBB304_25
; %bb.24:                               ;   in Loop: Header=BB304_9 Depth=1
	v_and_b32_e32 v10, 7, v7
	v_ffbh_u32_e32 v8, v10
	v_min_u32_e32 v12, 32, v8
	v_subrev_u32_e32 v8, 28, v12
	v_lshlrev_b64 v[8:9], v8, v[7:8]
	v_lshrrev_b32_e32 v11, 3, v0
	v_sub_u32_e32 v9, 29, v12
	v_and_b32_e32 v8, 7, v8
	v_cmp_gt_u32_e64 s[4:5], 8, v0
	v_cndmask_b32_e64 v0, v11, v9, s[4:5]
	v_cndmask_b32_e64 v8, v10, v8, s[4:5]
	v_lshlrev_b32_e32 v9, 24, v7
	v_lshlrev_b32_e32 v8, 20, v8
	v_and_b32_e32 v9, 0x80000000, v9
	v_lshl_add_u32 v0, v0, 23, v44
	v_or3_b32 v48, v9, v0, v8
.LBB304_25:                             ;   in Loop: Header=BB304_9 Depth=1
	s_or_b64 exec, exec, s[36:37]
.LBB304_26:                             ;   in Loop: Header=BB304_9 Depth=1
	s_or_b64 exec, exec, s[34:35]
.LBB304_27:                             ;   in Loop: Header=BB304_9 Depth=1
	s_or_b64 exec, exec, s[16:17]
	v_lshrrev_b16_e32 v8, 8, v7
	v_cmp_ne_u16_e64 s[4:5], 0, v8
	v_mov_b32_e32 v50, 0
	v_mov_b32_e32 v49, 0
	s_and_saveexec_b64 s[16:17], s[4:5]
	s_cbranch_execz .LBB304_33
; %bb.28:                               ;   in Loop: Header=BB304_9 Depth=1
	v_cmp_ne_u16_e64 s[4:5], s41, v8
	v_bfrev_b32_e32 v49, 1
	s_and_saveexec_b64 s[34:35], s[4:5]
	s_cbranch_execz .LBB304_32
; %bb.29:                               ;   in Loop: Header=BB304_9 Depth=1
	v_and_b32_e32 v0, 0x7f, v8
	v_cmp_ne_u32_e64 s[4:5], s42, v0
	v_mov_b32_e32 v49, 0x7f800001
	s_and_saveexec_b64 s[36:37], s[4:5]
	s_cbranch_execz .LBB304_31
; %bb.30:                               ;   in Loop: Header=BB304_9 Depth=1
	v_and_b32_e32 v10, 7, v8
	v_ffbh_u32_e32 v9, v10
	v_min_u32_e32 v12, 32, v9
	v_subrev_u32_e32 v9, 28, v12
	v_lshlrev_b64 v[8:9], v9, v[8:9]
	v_lshrrev_b32_e32 v11, 3, v0
	v_sub_u32_e32 v9, 29, v12
	v_and_b32_e32 v8, 7, v8
	v_cmp_gt_u32_e64 s[4:5], 8, v0
	v_cndmask_b32_e64 v0, v11, v9, s[4:5]
	v_cndmask_b32_e64 v8, v10, v8, s[4:5]
	v_lshlrev_b32_e32 v7, 16, v7
	v_lshlrev_b32_e32 v8, 20, v8
	v_and_b32_e32 v7, 0x80000000, v7
	v_lshl_add_u32 v0, v0, 23, v44
	v_or3_b32 v49, v7, v0, v8
.LBB304_31:                             ;   in Loop: Header=BB304_9 Depth=1
	s_or_b64 exec, exec, s[36:37]
.LBB304_32:                             ;   in Loop: Header=BB304_9 Depth=1
	s_or_b64 exec, exec, s[34:35]
.LBB304_33:                             ;   in Loop: Header=BB304_9 Depth=1
	s_or_b64 exec, exec, s[16:17]
	global_load_ushort v0, v[5:6], off offset:256
	s_waitcnt vmcnt(0)
	v_and_b32_e32 v7, 0xffff, v0
	v_cmp_ne_u16_sdwa s[4:5], v0, v43 src0_sel:BYTE_0 src1_sel:DWORD
	s_and_saveexec_b64 s[16:17], s[4:5]
	s_cbranch_execz .LBB304_39
; %bb.34:                               ;   in Loop: Header=BB304_9 Depth=1
	v_cmp_ne_u16_sdwa s[4:5], v7, s41 src0_sel:BYTE_0 src1_sel:DWORD
	v_bfrev_b32_e32 v50, 1
	s_and_saveexec_b64 s[34:35], s[4:5]
	s_cbranch_execz .LBB304_38
; %bb.35:                               ;   in Loop: Header=BB304_9 Depth=1
	v_and_b32_e32 v0, 0x7f, v7
	v_cmp_ne_u32_e64 s[4:5], s42, v0
	v_mov_b32_e32 v50, 0x7f800001
	s_and_saveexec_b64 s[36:37], s[4:5]
	s_cbranch_execz .LBB304_37
; %bb.36:                               ;   in Loop: Header=BB304_9 Depth=1
	v_and_b32_e32 v10, 7, v7
	v_ffbh_u32_e32 v8, v10
	v_min_u32_e32 v12, 32, v8
	v_subrev_u32_e32 v8, 28, v12
	v_lshlrev_b64 v[8:9], v8, v[7:8]
	v_lshrrev_b32_e32 v11, 3, v0
	v_sub_u32_e32 v9, 29, v12
	v_and_b32_e32 v8, 7, v8
	v_cmp_gt_u32_e64 s[4:5], 8, v0
	v_cndmask_b32_e64 v0, v11, v9, s[4:5]
	v_cndmask_b32_e64 v8, v10, v8, s[4:5]
	v_lshlrev_b32_e32 v9, 24, v7
	v_lshlrev_b32_e32 v8, 20, v8
	v_and_b32_e32 v9, 0x80000000, v9
	v_lshl_add_u32 v0, v0, 23, v44
	v_or3_b32 v50, v9, v0, v8
.LBB304_37:                             ;   in Loop: Header=BB304_9 Depth=1
	s_or_b64 exec, exec, s[36:37]
.LBB304_38:                             ;   in Loop: Header=BB304_9 Depth=1
	s_or_b64 exec, exec, s[34:35]
.LBB304_39:                             ;   in Loop: Header=BB304_9 Depth=1
	s_or_b64 exec, exec, s[16:17]
	v_lshrrev_b16_e32 v8, 8, v7
	v_cmp_ne_u16_e64 s[4:5], 0, v8
	v_mov_b32_e32 v52, 0
	v_mov_b32_e32 v51, 0
	s_and_saveexec_b64 s[16:17], s[4:5]
	s_cbranch_execz .LBB304_45
; %bb.40:                               ;   in Loop: Header=BB304_9 Depth=1
	v_cmp_ne_u16_e64 s[4:5], s41, v8
	v_bfrev_b32_e32 v51, 1
	s_and_saveexec_b64 s[34:35], s[4:5]
	s_cbranch_execz .LBB304_44
; %bb.41:                               ;   in Loop: Header=BB304_9 Depth=1
	v_and_b32_e32 v0, 0x7f, v8
	v_cmp_ne_u32_e64 s[4:5], s42, v0
	v_mov_b32_e32 v51, 0x7f800001
	s_and_saveexec_b64 s[36:37], s[4:5]
	s_cbranch_execz .LBB304_43
; %bb.42:                               ;   in Loop: Header=BB304_9 Depth=1
	v_and_b32_e32 v10, 7, v8
	v_ffbh_u32_e32 v9, v10
	v_min_u32_e32 v12, 32, v9
	v_subrev_u32_e32 v9, 28, v12
	v_lshlrev_b64 v[8:9], v9, v[8:9]
	v_lshrrev_b32_e32 v11, 3, v0
	v_sub_u32_e32 v9, 29, v12
	v_and_b32_e32 v8, 7, v8
	v_cmp_gt_u32_e64 s[4:5], 8, v0
	v_cndmask_b32_e64 v0, v11, v9, s[4:5]
	v_cndmask_b32_e64 v8, v10, v8, s[4:5]
	v_lshlrev_b32_e32 v7, 16, v7
	v_lshlrev_b32_e32 v8, 20, v8
	v_and_b32_e32 v7, 0x80000000, v7
	v_lshl_add_u32 v0, v0, 23, v44
	v_or3_b32 v51, v7, v0, v8
.LBB304_43:                             ;   in Loop: Header=BB304_9 Depth=1
	s_or_b64 exec, exec, s[36:37]
.LBB304_44:                             ;   in Loop: Header=BB304_9 Depth=1
	s_or_b64 exec, exec, s[34:35]
.LBB304_45:                             ;   in Loop: Header=BB304_9 Depth=1
	s_or_b64 exec, exec, s[16:17]
	global_load_ushort v0, v[5:6], off offset:264
	s_waitcnt vmcnt(0)
	v_and_b32_e32 v7, 0xffff, v0
	v_cmp_ne_u16_sdwa s[4:5], v0, v43 src0_sel:BYTE_0 src1_sel:DWORD
	s_and_saveexec_b64 s[16:17], s[4:5]
	s_cbranch_execz .LBB304_51
; %bb.46:                               ;   in Loop: Header=BB304_9 Depth=1
	v_cmp_ne_u16_sdwa s[4:5], v7, s41 src0_sel:BYTE_0 src1_sel:DWORD
	v_bfrev_b32_e32 v52, 1
	s_and_saveexec_b64 s[34:35], s[4:5]
	s_cbranch_execz .LBB304_50
; %bb.47:                               ;   in Loop: Header=BB304_9 Depth=1
	v_and_b32_e32 v0, 0x7f, v7
	v_cmp_ne_u32_e64 s[4:5], s42, v0
	v_mov_b32_e32 v52, 0x7f800001
	s_and_saveexec_b64 s[36:37], s[4:5]
	s_cbranch_execz .LBB304_49
; %bb.48:                               ;   in Loop: Header=BB304_9 Depth=1
	v_and_b32_e32 v10, 7, v7
	v_ffbh_u32_e32 v8, v10
	v_min_u32_e32 v12, 32, v8
	v_subrev_u32_e32 v8, 28, v12
	v_lshlrev_b64 v[8:9], v8, v[7:8]
	v_lshrrev_b32_e32 v11, 3, v0
	v_sub_u32_e32 v9, 29, v12
	v_and_b32_e32 v8, 7, v8
	v_cmp_gt_u32_e64 s[4:5], 8, v0
	v_cndmask_b32_e64 v0, v11, v9, s[4:5]
	v_cndmask_b32_e64 v8, v10, v8, s[4:5]
	v_lshlrev_b32_e32 v9, 24, v7
	v_lshlrev_b32_e32 v8, 20, v8
	v_and_b32_e32 v9, 0x80000000, v9
	v_lshl_add_u32 v0, v0, 23, v44
	v_or3_b32 v52, v9, v0, v8
.LBB304_49:                             ;   in Loop: Header=BB304_9 Depth=1
	s_or_b64 exec, exec, s[36:37]
.LBB304_50:                             ;   in Loop: Header=BB304_9 Depth=1
	s_or_b64 exec, exec, s[34:35]
.LBB304_51:                             ;   in Loop: Header=BB304_9 Depth=1
	s_or_b64 exec, exec, s[16:17]
	v_lshrrev_b16_e32 v8, 8, v7
	v_cmp_ne_u16_e64 s[4:5], 0, v8
	v_mov_b32_e32 v54, 0
	v_mov_b32_e32 v53, 0
	s_and_saveexec_b64 s[16:17], s[4:5]
	s_cbranch_execz .LBB304_57
; %bb.52:                               ;   in Loop: Header=BB304_9 Depth=1
	v_cmp_ne_u16_e64 s[4:5], s41, v8
	v_bfrev_b32_e32 v53, 1
	s_and_saveexec_b64 s[34:35], s[4:5]
	s_cbranch_execz .LBB304_56
; %bb.53:                               ;   in Loop: Header=BB304_9 Depth=1
	v_and_b32_e32 v0, 0x7f, v8
	v_cmp_ne_u32_e64 s[4:5], s42, v0
	v_mov_b32_e32 v53, 0x7f800001
	s_and_saveexec_b64 s[36:37], s[4:5]
	s_cbranch_execz .LBB304_55
; %bb.54:                               ;   in Loop: Header=BB304_9 Depth=1
	v_and_b32_e32 v10, 7, v8
	v_ffbh_u32_e32 v9, v10
	v_min_u32_e32 v12, 32, v9
	v_subrev_u32_e32 v9, 28, v12
	v_lshlrev_b64 v[8:9], v9, v[8:9]
	v_lshrrev_b32_e32 v11, 3, v0
	v_sub_u32_e32 v9, 29, v12
	v_and_b32_e32 v8, 7, v8
	v_cmp_gt_u32_e64 s[4:5], 8, v0
	v_cndmask_b32_e64 v0, v11, v9, s[4:5]
	v_cndmask_b32_e64 v8, v10, v8, s[4:5]
	v_lshlrev_b32_e32 v7, 16, v7
	v_lshlrev_b32_e32 v8, 20, v8
	v_and_b32_e32 v7, 0x80000000, v7
	v_lshl_add_u32 v0, v0, 23, v44
	v_or3_b32 v53, v7, v0, v8
.LBB304_55:                             ;   in Loop: Header=BB304_9 Depth=1
	s_or_b64 exec, exec, s[36:37]
.LBB304_56:                             ;   in Loop: Header=BB304_9 Depth=1
	s_or_b64 exec, exec, s[34:35]
.LBB304_57:                             ;   in Loop: Header=BB304_9 Depth=1
	s_or_b64 exec, exec, s[16:17]
	global_load_ushort v0, v[5:6], off offset:512
	s_waitcnt vmcnt(0)
	v_and_b32_e32 v7, 0xffff, v0
	v_cmp_ne_u16_sdwa s[4:5], v0, v43 src0_sel:BYTE_0 src1_sel:DWORD
	s_and_saveexec_b64 s[16:17], s[4:5]
	s_cbranch_execz .LBB304_63
; %bb.58:                               ;   in Loop: Header=BB304_9 Depth=1
	v_cmp_ne_u16_sdwa s[4:5], v7, s41 src0_sel:BYTE_0 src1_sel:DWORD
	v_bfrev_b32_e32 v54, 1
	s_and_saveexec_b64 s[34:35], s[4:5]
	s_cbranch_execz .LBB304_62
; %bb.59:                               ;   in Loop: Header=BB304_9 Depth=1
	v_and_b32_e32 v0, 0x7f, v7
	v_cmp_ne_u32_e64 s[4:5], s42, v0
	v_mov_b32_e32 v54, 0x7f800001
	s_and_saveexec_b64 s[36:37], s[4:5]
	s_cbranch_execz .LBB304_61
; %bb.60:                               ;   in Loop: Header=BB304_9 Depth=1
	v_and_b32_e32 v10, 7, v7
	v_ffbh_u32_e32 v8, v10
	v_min_u32_e32 v12, 32, v8
	v_subrev_u32_e32 v8, 28, v12
	v_lshlrev_b64 v[8:9], v8, v[7:8]
	v_lshrrev_b32_e32 v11, 3, v0
	v_sub_u32_e32 v9, 29, v12
	v_and_b32_e32 v8, 7, v8
	v_cmp_gt_u32_e64 s[4:5], 8, v0
	v_cndmask_b32_e64 v0, v11, v9, s[4:5]
	v_cndmask_b32_e64 v8, v10, v8, s[4:5]
	v_lshlrev_b32_e32 v9, 24, v7
	v_lshlrev_b32_e32 v8, 20, v8
	v_and_b32_e32 v9, 0x80000000, v9
	v_lshl_add_u32 v0, v0, 23, v44
	v_or3_b32 v54, v9, v0, v8
.LBB304_61:                             ;   in Loop: Header=BB304_9 Depth=1
	s_or_b64 exec, exec, s[36:37]
.LBB304_62:                             ;   in Loop: Header=BB304_9 Depth=1
	s_or_b64 exec, exec, s[34:35]
.LBB304_63:                             ;   in Loop: Header=BB304_9 Depth=1
	s_or_b64 exec, exec, s[16:17]
	v_lshrrev_b16_e32 v8, 8, v7
	v_cmp_ne_u16_e64 s[4:5], 0, v8
	v_mov_b32_e32 v56, 0
	v_mov_b32_e32 v55, 0
	s_and_saveexec_b64 s[16:17], s[4:5]
	s_cbranch_execz .LBB304_69
; %bb.64:                               ;   in Loop: Header=BB304_9 Depth=1
	v_cmp_ne_u16_e64 s[4:5], s41, v8
	v_bfrev_b32_e32 v55, 1
	s_and_saveexec_b64 s[34:35], s[4:5]
	s_cbranch_execz .LBB304_68
; %bb.65:                               ;   in Loop: Header=BB304_9 Depth=1
	v_and_b32_e32 v0, 0x7f, v8
	v_cmp_ne_u32_e64 s[4:5], s42, v0
	v_mov_b32_e32 v55, 0x7f800001
	s_and_saveexec_b64 s[36:37], s[4:5]
	s_cbranch_execz .LBB304_67
; %bb.66:                               ;   in Loop: Header=BB304_9 Depth=1
	v_and_b32_e32 v10, 7, v8
	v_ffbh_u32_e32 v9, v10
	v_min_u32_e32 v12, 32, v9
	v_subrev_u32_e32 v9, 28, v12
	v_lshlrev_b64 v[8:9], v9, v[8:9]
	v_lshrrev_b32_e32 v11, 3, v0
	v_sub_u32_e32 v9, 29, v12
	v_and_b32_e32 v8, 7, v8
	v_cmp_gt_u32_e64 s[4:5], 8, v0
	v_cndmask_b32_e64 v0, v11, v9, s[4:5]
	v_cndmask_b32_e64 v8, v10, v8, s[4:5]
	v_lshlrev_b32_e32 v7, 16, v7
	v_lshlrev_b32_e32 v8, 20, v8
	v_and_b32_e32 v7, 0x80000000, v7
	v_lshl_add_u32 v0, v0, 23, v44
	v_or3_b32 v55, v7, v0, v8
.LBB304_67:                             ;   in Loop: Header=BB304_9 Depth=1
	s_or_b64 exec, exec, s[36:37]
.LBB304_68:                             ;   in Loop: Header=BB304_9 Depth=1
	s_or_b64 exec, exec, s[34:35]
.LBB304_69:                             ;   in Loop: Header=BB304_9 Depth=1
	s_or_b64 exec, exec, s[16:17]
	global_load_ushort v0, v[5:6], off offset:520
	s_waitcnt vmcnt(0)
	v_and_b32_e32 v7, 0xffff, v0
	v_cmp_ne_u16_sdwa s[4:5], v0, v43 src0_sel:BYTE_0 src1_sel:DWORD
	s_and_saveexec_b64 s[16:17], s[4:5]
	s_cbranch_execz .LBB304_75
; %bb.70:                               ;   in Loop: Header=BB304_9 Depth=1
	v_cmp_ne_u16_sdwa s[4:5], v7, s41 src0_sel:BYTE_0 src1_sel:DWORD
	v_bfrev_b32_e32 v56, 1
	s_and_saveexec_b64 s[34:35], s[4:5]
	s_cbranch_execz .LBB304_74
; %bb.71:                               ;   in Loop: Header=BB304_9 Depth=1
	v_and_b32_e32 v0, 0x7f, v7
	v_cmp_ne_u32_e64 s[4:5], s42, v0
	v_mov_b32_e32 v56, 0x7f800001
	s_and_saveexec_b64 s[36:37], s[4:5]
	s_cbranch_execz .LBB304_73
; %bb.72:                               ;   in Loop: Header=BB304_9 Depth=1
	v_and_b32_e32 v10, 7, v7
	v_ffbh_u32_e32 v8, v10
	v_min_u32_e32 v12, 32, v8
	v_subrev_u32_e32 v8, 28, v12
	v_lshlrev_b64 v[8:9], v8, v[7:8]
	v_lshrrev_b32_e32 v11, 3, v0
	v_sub_u32_e32 v9, 29, v12
	v_and_b32_e32 v8, 7, v8
	v_cmp_gt_u32_e64 s[4:5], 8, v0
	v_cndmask_b32_e64 v0, v11, v9, s[4:5]
	v_cndmask_b32_e64 v8, v10, v8, s[4:5]
	v_lshlrev_b32_e32 v9, 24, v7
	v_lshlrev_b32_e32 v8, 20, v8
	v_and_b32_e32 v9, 0x80000000, v9
	v_lshl_add_u32 v0, v0, 23, v44
	v_or3_b32 v56, v9, v0, v8
.LBB304_73:                             ;   in Loop: Header=BB304_9 Depth=1
	s_or_b64 exec, exec, s[36:37]
.LBB304_74:                             ;   in Loop: Header=BB304_9 Depth=1
	s_or_b64 exec, exec, s[34:35]
.LBB304_75:                             ;   in Loop: Header=BB304_9 Depth=1
	s_or_b64 exec, exec, s[16:17]
	v_lshrrev_b16_e32 v8, 8, v7
	v_cmp_ne_u16_e64 s[4:5], 0, v8
	v_mov_b32_e32 v58, 0
	v_mov_b32_e32 v57, 0
	s_and_saveexec_b64 s[16:17], s[4:5]
	s_cbranch_execz .LBB304_81
; %bb.76:                               ;   in Loop: Header=BB304_9 Depth=1
	v_cmp_ne_u16_e64 s[4:5], s41, v8
	v_bfrev_b32_e32 v57, 1
	s_and_saveexec_b64 s[34:35], s[4:5]
	s_cbranch_execz .LBB304_80
; %bb.77:                               ;   in Loop: Header=BB304_9 Depth=1
	v_and_b32_e32 v0, 0x7f, v8
	v_cmp_ne_u32_e64 s[4:5], s42, v0
	v_mov_b32_e32 v57, 0x7f800001
	s_and_saveexec_b64 s[36:37], s[4:5]
	s_cbranch_execz .LBB304_79
; %bb.78:                               ;   in Loop: Header=BB304_9 Depth=1
	v_and_b32_e32 v10, 7, v8
	v_lshrrev_b32_e32 v11, 3, v0
	v_cmp_gt_u32_e64 s[4:5], 8, v0
	v_ffbh_u32_e32 v0, v10
	v_min_u32_e32 v0, 32, v0
	v_subrev_u32_e32 v9, 28, v0
	v_lshlrev_b64 v[8:9], v9, v[8:9]
	v_sub_u32_e32 v0, 29, v0
	v_and_b32_e32 v8, 7, v8
	v_cndmask_b32_e64 v0, v11, v0, s[4:5]
	v_cndmask_b32_e64 v8, v10, v8, s[4:5]
	v_lshlrev_b32_e32 v7, 16, v7
	v_lshlrev_b32_e32 v8, 20, v8
	v_and_b32_e32 v7, 0x80000000, v7
	v_lshl_add_u32 v0, v0, 23, v44
	v_or3_b32 v57, v7, v0, v8
.LBB304_79:                             ;   in Loop: Header=BB304_9 Depth=1
	s_or_b64 exec, exec, s[36:37]
.LBB304_80:                             ;   in Loop: Header=BB304_9 Depth=1
	s_or_b64 exec, exec, s[34:35]
.LBB304_81:                             ;   in Loop: Header=BB304_9 Depth=1
	s_or_b64 exec, exec, s[16:17]
	global_load_ushort v0, v[5:6], off offset:768
	s_waitcnt vmcnt(0)
	v_and_b32_e32 v7, 0xffff, v0
	v_cmp_ne_u16_sdwa s[4:5], v0, v43 src0_sel:BYTE_0 src1_sel:DWORD
	s_and_saveexec_b64 s[16:17], s[4:5]
	s_cbranch_execz .LBB304_87
; %bb.82:                               ;   in Loop: Header=BB304_9 Depth=1
	v_cmp_ne_u16_sdwa s[4:5], v7, s41 src0_sel:BYTE_0 src1_sel:DWORD
	v_bfrev_b32_e32 v58, 1
	s_and_saveexec_b64 s[34:35], s[4:5]
	s_cbranch_execz .LBB304_86
; %bb.83:                               ;   in Loop: Header=BB304_9 Depth=1
	v_and_b32_e32 v0, 0x7f, v7
	v_cmp_ne_u32_e64 s[4:5], s42, v0
	v_mov_b32_e32 v58, 0x7f800001
	s_and_saveexec_b64 s[36:37], s[4:5]
	s_cbranch_execz .LBB304_85
; %bb.84:                               ;   in Loop: Header=BB304_9 Depth=1
	v_and_b32_e32 v10, 7, v7
	v_ffbh_u32_e32 v8, v10
	v_min_u32_e32 v12, 32, v8
	v_subrev_u32_e32 v8, 28, v12
	v_lshlrev_b64 v[8:9], v8, v[7:8]
	v_lshrrev_b32_e32 v11, 3, v0
	v_sub_u32_e32 v9, 29, v12
	v_and_b32_e32 v8, 7, v8
	v_cmp_gt_u32_e64 s[4:5], 8, v0
	v_cndmask_b32_e64 v0, v11, v9, s[4:5]
	v_cndmask_b32_e64 v8, v10, v8, s[4:5]
	v_lshlrev_b32_e32 v9, 24, v7
	v_lshlrev_b32_e32 v8, 20, v8
	v_and_b32_e32 v9, 0x80000000, v9
	v_lshl_add_u32 v0, v0, 23, v44
	v_or3_b32 v58, v9, v0, v8
.LBB304_85:                             ;   in Loop: Header=BB304_9 Depth=1
	s_or_b64 exec, exec, s[36:37]
.LBB304_86:                             ;   in Loop: Header=BB304_9 Depth=1
	s_or_b64 exec, exec, s[34:35]
.LBB304_87:                             ;   in Loop: Header=BB304_9 Depth=1
	s_or_b64 exec, exec, s[16:17]
	v_lshrrev_b16_e32 v8, 8, v7
	v_cmp_ne_u16_e64 s[4:5], 0, v8
	v_mov_b32_e32 v60, 0
	v_mov_b32_e32 v59, 0
	s_and_saveexec_b64 s[16:17], s[4:5]
	s_cbranch_execz .LBB304_93
; %bb.88:                               ;   in Loop: Header=BB304_9 Depth=1
	v_cmp_ne_u16_e64 s[4:5], s41, v8
	v_bfrev_b32_e32 v59, 1
	s_and_saveexec_b64 s[34:35], s[4:5]
	s_cbranch_execz .LBB304_92
; %bb.89:                               ;   in Loop: Header=BB304_9 Depth=1
	v_and_b32_e32 v0, 0x7f, v8
	v_cmp_ne_u32_e64 s[4:5], s42, v0
	v_mov_b32_e32 v59, 0x7f800001
	s_and_saveexec_b64 s[36:37], s[4:5]
	s_cbranch_execz .LBB304_91
; %bb.90:                               ;   in Loop: Header=BB304_9 Depth=1
	v_and_b32_e32 v10, 7, v8
	v_lshrrev_b32_e32 v11, 3, v0
	v_cmp_gt_u32_e64 s[4:5], 8, v0
	v_ffbh_u32_e32 v0, v10
	v_min_u32_e32 v0, 32, v0
	v_subrev_u32_e32 v9, 28, v0
	v_lshlrev_b64 v[8:9], v9, v[8:9]
	v_sub_u32_e32 v0, 29, v0
	v_and_b32_e32 v8, 7, v8
	v_cndmask_b32_e64 v0, v11, v0, s[4:5]
	v_cndmask_b32_e64 v8, v10, v8, s[4:5]
	v_lshlrev_b32_e32 v7, 16, v7
	v_lshlrev_b32_e32 v8, 20, v8
	v_and_b32_e32 v7, 0x80000000, v7
	v_lshl_add_u32 v0, v0, 23, v44
	v_or3_b32 v59, v7, v0, v8
.LBB304_91:                             ;   in Loop: Header=BB304_9 Depth=1
	s_or_b64 exec, exec, s[36:37]
.LBB304_92:                             ;   in Loop: Header=BB304_9 Depth=1
	s_or_b64 exec, exec, s[34:35]
.LBB304_93:                             ;   in Loop: Header=BB304_9 Depth=1
	s_or_b64 exec, exec, s[16:17]
	global_load_ushort v0, v[5:6], off offset:776
	s_waitcnt vmcnt(0)
	v_and_b32_e32 v7, 0xffff, v0
	v_cmp_ne_u16_sdwa s[4:5], v0, v43 src0_sel:BYTE_0 src1_sel:DWORD
	s_and_saveexec_b64 s[16:17], s[4:5]
	s_cbranch_execz .LBB304_99
; %bb.94:                               ;   in Loop: Header=BB304_9 Depth=1
	v_cmp_ne_u16_sdwa s[4:5], v7, s41 src0_sel:BYTE_0 src1_sel:DWORD
	v_bfrev_b32_e32 v60, 1
	s_and_saveexec_b64 s[34:35], s[4:5]
	s_cbranch_execz .LBB304_98
; %bb.95:                               ;   in Loop: Header=BB304_9 Depth=1
	v_and_b32_e32 v0, 0x7f, v7
	v_cmp_ne_u32_e64 s[4:5], s42, v0
	v_mov_b32_e32 v60, 0x7f800001
	s_and_saveexec_b64 s[36:37], s[4:5]
	s_cbranch_execz .LBB304_97
; %bb.96:                               ;   in Loop: Header=BB304_9 Depth=1
	v_and_b32_e32 v10, 7, v7
	v_lshrrev_b32_e32 v11, 3, v0
	v_cmp_gt_u32_e64 s[4:5], 8, v0
	v_ffbh_u32_e32 v0, v10
	v_min_u32_e32 v0, 32, v0
	v_subrev_u32_e32 v8, 28, v0
	v_lshlrev_b64 v[8:9], v8, v[7:8]
	v_sub_u32_e32 v0, 29, v0
	v_and_b32_e32 v8, 7, v8
	v_cndmask_b32_e64 v0, v11, v0, s[4:5]
	v_cndmask_b32_e64 v8, v10, v8, s[4:5]
	v_lshlrev_b32_e32 v9, 24, v7
	v_lshlrev_b32_e32 v8, 20, v8
	v_and_b32_e32 v9, 0x80000000, v9
	v_lshl_add_u32 v0, v0, 23, v44
	v_or3_b32 v60, v9, v0, v8
.LBB304_97:                             ;   in Loop: Header=BB304_9 Depth=1
	s_or_b64 exec, exec, s[36:37]
.LBB304_98:                             ;   in Loop: Header=BB304_9 Depth=1
	s_or_b64 exec, exec, s[34:35]
.LBB304_99:                             ;   in Loop: Header=BB304_9 Depth=1
	s_or_b64 exec, exec, s[16:17]
	v_lshrrev_b16_e32 v8, 8, v7
	v_cmp_ne_u16_e64 s[4:5], 0, v8
	v_mov_b32_e32 v62, 0
	v_mov_b32_e32 v61, 0
	s_and_saveexec_b64 s[16:17], s[4:5]
	s_cbranch_execz .LBB304_105
; %bb.100:                              ;   in Loop: Header=BB304_9 Depth=1
	v_cmp_ne_u16_e64 s[4:5], s41, v8
	v_bfrev_b32_e32 v61, 1
	s_and_saveexec_b64 s[34:35], s[4:5]
	s_cbranch_execz .LBB304_104
; %bb.101:                              ;   in Loop: Header=BB304_9 Depth=1
	v_and_b32_e32 v0, 0x7f, v8
	v_cmp_ne_u32_e64 s[4:5], s42, v0
	v_mov_b32_e32 v61, 0x7f800001
	s_and_saveexec_b64 s[36:37], s[4:5]
	s_cbranch_execz .LBB304_103
; %bb.102:                              ;   in Loop: Header=BB304_9 Depth=1
	v_and_b32_e32 v10, 7, v8
	v_lshrrev_b32_e32 v11, 3, v0
	v_cmp_gt_u32_e64 s[4:5], 8, v0
	v_ffbh_u32_e32 v0, v10
	v_min_u32_e32 v0, 32, v0
	v_subrev_u32_e32 v9, 28, v0
	v_lshlrev_b64 v[8:9], v9, v[8:9]
	v_sub_u32_e32 v0, 29, v0
	v_and_b32_e32 v8, 7, v8
	v_cndmask_b32_e64 v0, v11, v0, s[4:5]
	v_cndmask_b32_e64 v8, v10, v8, s[4:5]
	v_lshlrev_b32_e32 v7, 16, v7
	v_lshlrev_b32_e32 v8, 20, v8
	v_and_b32_e32 v7, 0x80000000, v7
	v_lshl_add_u32 v0, v0, 23, v44
	v_or3_b32 v61, v7, v0, v8
.LBB304_103:                            ;   in Loop: Header=BB304_9 Depth=1
	s_or_b64 exec, exec, s[36:37]
.LBB304_104:                            ;   in Loop: Header=BB304_9 Depth=1
	s_or_b64 exec, exec, s[34:35]
.LBB304_105:                            ;   in Loop: Header=BB304_9 Depth=1
	s_or_b64 exec, exec, s[16:17]
	global_load_ushort v0, v[5:6], off offset:1024
	s_waitcnt vmcnt(0)
	v_and_b32_e32 v7, 0xffff, v0
	v_cmp_ne_u16_sdwa s[4:5], v0, v43 src0_sel:BYTE_0 src1_sel:DWORD
	s_and_saveexec_b64 s[16:17], s[4:5]
	s_cbranch_execz .LBB304_111
; %bb.106:                              ;   in Loop: Header=BB304_9 Depth=1
	v_cmp_ne_u16_sdwa s[4:5], v7, s41 src0_sel:BYTE_0 src1_sel:DWORD
	v_bfrev_b32_e32 v62, 1
	s_and_saveexec_b64 s[34:35], s[4:5]
	s_cbranch_execz .LBB304_110
; %bb.107:                              ;   in Loop: Header=BB304_9 Depth=1
	v_and_b32_e32 v0, 0x7f, v7
	v_cmp_ne_u32_e64 s[4:5], s42, v0
	v_mov_b32_e32 v62, 0x7f800001
	s_and_saveexec_b64 s[36:37], s[4:5]
	s_cbranch_execz .LBB304_109
; %bb.108:                              ;   in Loop: Header=BB304_9 Depth=1
	v_and_b32_e32 v10, 7, v7
	v_lshrrev_b32_e32 v11, 3, v0
	v_cmp_gt_u32_e64 s[4:5], 8, v0
	v_ffbh_u32_e32 v0, v10
	v_min_u32_e32 v0, 32, v0
	v_subrev_u32_e32 v8, 28, v0
	v_lshlrev_b64 v[8:9], v8, v[7:8]
	v_sub_u32_e32 v0, 29, v0
	v_and_b32_e32 v8, 7, v8
	v_cndmask_b32_e64 v0, v11, v0, s[4:5]
	v_cndmask_b32_e64 v8, v10, v8, s[4:5]
	v_lshlrev_b32_e32 v9, 24, v7
	v_lshlrev_b32_e32 v8, 20, v8
	v_and_b32_e32 v9, 0x80000000, v9
	v_lshl_add_u32 v0, v0, 23, v44
	v_or3_b32 v62, v9, v0, v8
.LBB304_109:                            ;   in Loop: Header=BB304_9 Depth=1
	s_or_b64 exec, exec, s[36:37]
.LBB304_110:                            ;   in Loop: Header=BB304_9 Depth=1
	s_or_b64 exec, exec, s[34:35]
.LBB304_111:                            ;   in Loop: Header=BB304_9 Depth=1
	s_or_b64 exec, exec, s[16:17]
	v_lshrrev_b16_e32 v8, 8, v7
	v_cmp_ne_u16_e64 s[4:5], 0, v8
	v_mov_b32_e32 v9, 0
	v_mov_b32_e32 v63, 0
	s_and_saveexec_b64 s[16:17], s[4:5]
	s_cbranch_execz .LBB304_117
; %bb.112:                              ;   in Loop: Header=BB304_9 Depth=1
	v_cmp_ne_u16_e64 s[4:5], s41, v8
	v_bfrev_b32_e32 v63, 1
	s_and_saveexec_b64 s[34:35], s[4:5]
	s_cbranch_execz .LBB304_116
; %bb.113:                              ;   in Loop: Header=BB304_9 Depth=1
	v_and_b32_e32 v0, 0x7f, v8
	v_cmp_ne_u32_e64 s[4:5], s42, v0
	v_mov_b32_e32 v63, 0x7f800001
	s_and_saveexec_b64 s[36:37], s[4:5]
	s_cbranch_execz .LBB304_115
; %bb.114:                              ;   in Loop: Header=BB304_9 Depth=1
	v_and_b32_e32 v12, 7, v8
	v_lshrrev_b32_e32 v13, 3, v0
	v_cmp_gt_u32_e64 s[4:5], 8, v0
	v_ffbh_u32_e32 v0, v12
	v_min_u32_e32 v0, 32, v0
	v_subrev_u32_e32 v10, 28, v0
	v_lshlrev_b64 v[10:11], v10, v[8:9]
	v_sub_u32_e32 v0, 29, v0
	v_and_b32_e32 v8, 7, v10
	v_cndmask_b32_e64 v0, v13, v0, s[4:5]
	v_cndmask_b32_e64 v8, v12, v8, s[4:5]
	v_lshlrev_b32_e32 v7, 16, v7
	v_lshlrev_b32_e32 v8, 20, v8
	v_and_b32_e32 v7, 0x80000000, v7
	v_lshl_add_u32 v0, v0, 23, v44
	v_or3_b32 v63, v7, v0, v8
.LBB304_115:                            ;   in Loop: Header=BB304_9 Depth=1
	s_or_b64 exec, exec, s[36:37]
.LBB304_116:                            ;   in Loop: Header=BB304_9 Depth=1
	s_or_b64 exec, exec, s[34:35]
.LBB304_117:                            ;   in Loop: Header=BB304_9 Depth=1
	s_or_b64 exec, exec, s[16:17]
	global_load_ushort v0, v[5:6], off offset:1032
	s_waitcnt vmcnt(0)
	v_and_b32_e32 v7, 0xffff, v0
	v_cmp_ne_u16_sdwa s[4:5], v0, v43 src0_sel:BYTE_0 src1_sel:DWORD
	s_and_saveexec_b64 s[16:17], s[4:5]
	s_cbranch_execz .LBB304_123
; %bb.118:                              ;   in Loop: Header=BB304_9 Depth=1
	v_cmp_ne_u16_sdwa s[4:5], v7, s41 src0_sel:BYTE_0 src1_sel:DWORD
	v_bfrev_b32_e32 v9, 1
	s_and_saveexec_b64 s[34:35], s[4:5]
	s_cbranch_execz .LBB304_122
; %bb.119:                              ;   in Loop: Header=BB304_9 Depth=1
	v_and_b32_e32 v0, 0x7f, v7
	v_cmp_ne_u32_e64 s[4:5], s42, v0
	v_mov_b32_e32 v9, 0x7f800001
	s_and_saveexec_b64 s[36:37], s[4:5]
	s_cbranch_execz .LBB304_121
; %bb.120:                              ;   in Loop: Header=BB304_9 Depth=1
	v_and_b32_e32 v10, 7, v7
	v_lshrrev_b32_e32 v11, 3, v0
	v_cmp_gt_u32_e64 s[4:5], 8, v0
	v_ffbh_u32_e32 v0, v10
	v_min_u32_e32 v0, 32, v0
	v_subrev_u32_e32 v8, 28, v0
	v_lshlrev_b64 v[8:9], v8, v[7:8]
	v_sub_u32_e32 v0, 29, v0
	v_and_b32_e32 v8, 7, v8
	v_cndmask_b32_e64 v0, v11, v0, s[4:5]
	v_cndmask_b32_e64 v8, v10, v8, s[4:5]
	v_lshlrev_b32_e32 v9, 24, v7
	v_lshlrev_b32_e32 v8, 20, v8
	v_and_b32_e32 v9, 0x80000000, v9
	v_lshl_add_u32 v0, v0, 23, v44
	v_or3_b32 v9, v9, v0, v8
.LBB304_121:                            ;   in Loop: Header=BB304_9 Depth=1
	s_or_b64 exec, exec, s[36:37]
.LBB304_122:                            ;   in Loop: Header=BB304_9 Depth=1
	s_or_b64 exec, exec, s[34:35]
.LBB304_123:                            ;   in Loop: Header=BB304_9 Depth=1
	s_or_b64 exec, exec, s[16:17]
	v_lshrrev_b16_e32 v8, 8, v7
	v_cmp_ne_u16_e64 s[4:5], 0, v8
	v_mov_b32_e32 v11, 0
	v_mov_b32_e32 v12, 0
	s_and_saveexec_b64 s[16:17], s[4:5]
	s_cbranch_execz .LBB304_129
; %bb.124:                              ;   in Loop: Header=BB304_9 Depth=1
	v_cmp_ne_u16_e64 s[4:5], s41, v8
	v_bfrev_b32_e32 v12, 1
	s_and_saveexec_b64 s[34:35], s[4:5]
	s_cbranch_execz .LBB304_128
; %bb.125:                              ;   in Loop: Header=BB304_9 Depth=1
	v_and_b32_e32 v0, 0x7f, v8
	v_cmp_ne_u32_e64 s[4:5], s42, v0
	v_mov_b32_e32 v12, 0x7f800001
	s_and_saveexec_b64 s[36:37], s[4:5]
	s_cbranch_execz .LBB304_127
; %bb.126:                              ;   in Loop: Header=BB304_9 Depth=1
	v_and_b32_e32 v10, 7, v8
	v_lshrrev_b32_e32 v14, 3, v0
	v_cmp_gt_u32_e64 s[4:5], 8, v0
	v_ffbh_u32_e32 v0, v10
	v_min_u32_e32 v0, 32, v0
	v_subrev_u32_e32 v12, 28, v0
	v_lshlrev_b64 v[12:13], v12, v[8:9]
	v_sub_u32_e32 v0, 29, v0
	v_and_b32_e32 v8, 7, v12
	v_cndmask_b32_e64 v0, v14, v0, s[4:5]
	v_cndmask_b32_e64 v8, v10, v8, s[4:5]
	v_lshlrev_b32_e32 v7, 16, v7
	v_lshlrev_b32_e32 v8, 20, v8
	v_and_b32_e32 v7, 0x80000000, v7
	v_lshl_add_u32 v0, v0, 23, v44
	v_or3_b32 v12, v7, v0, v8
.LBB304_127:                            ;   in Loop: Header=BB304_9 Depth=1
	s_or_b64 exec, exec, s[36:37]
.LBB304_128:                            ;   in Loop: Header=BB304_9 Depth=1
	s_or_b64 exec, exec, s[34:35]
.LBB304_129:                            ;   in Loop: Header=BB304_9 Depth=1
	s_or_b64 exec, exec, s[16:17]
	global_load_ushort v0, v[5:6], off offset:1280
	s_waitcnt vmcnt(0)
	v_and_b32_e32 v7, 0xffff, v0
	v_cmp_ne_u16_sdwa s[4:5], v0, v43 src0_sel:BYTE_0 src1_sel:DWORD
	s_and_saveexec_b64 s[16:17], s[4:5]
	s_cbranch_execz .LBB304_135
; %bb.130:                              ;   in Loop: Header=BB304_9 Depth=1
	v_cmp_ne_u16_sdwa s[4:5], v7, s41 src0_sel:BYTE_0 src1_sel:DWORD
	v_bfrev_b32_e32 v11, 1
	s_and_saveexec_b64 s[34:35], s[4:5]
	s_cbranch_execz .LBB304_134
; %bb.131:                              ;   in Loop: Header=BB304_9 Depth=1
	v_and_b32_e32 v0, 0x7f, v7
	v_cmp_ne_u32_e64 s[4:5], s42, v0
	v_mov_b32_e32 v11, 0x7f800001
	s_and_saveexec_b64 s[36:37], s[4:5]
	s_cbranch_execz .LBB304_133
; %bb.132:                              ;   in Loop: Header=BB304_9 Depth=1
	v_and_b32_e32 v8, 7, v7
	v_lshrrev_b32_e32 v13, 3, v0
	v_cmp_gt_u32_e64 s[4:5], 8, v0
	v_ffbh_u32_e32 v0, v8
	v_min_u32_e32 v0, 32, v0
	v_subrev_u32_e32 v10, 28, v0
	v_lshlrev_b64 v[10:11], v10, v[7:8]
	v_sub_u32_e32 v0, 29, v0
	v_and_b32_e32 v10, 7, v10
	v_cndmask_b32_e64 v0, v13, v0, s[4:5]
	v_cndmask_b32_e64 v8, v8, v10, s[4:5]
	v_lshlrev_b32_e32 v10, 24, v7
	v_lshlrev_b32_e32 v8, 20, v8
	v_and_b32_e32 v10, 0x80000000, v10
	v_lshl_add_u32 v0, v0, 23, v44
	v_or3_b32 v11, v10, v0, v8
.LBB304_133:                            ;   in Loop: Header=BB304_9 Depth=1
	s_or_b64 exec, exec, s[36:37]
.LBB304_134:                            ;   in Loop: Header=BB304_9 Depth=1
	s_or_b64 exec, exec, s[34:35]
.LBB304_135:                            ;   in Loop: Header=BB304_9 Depth=1
	s_or_b64 exec, exec, s[16:17]
	v_lshrrev_b16_e32 v8, 8, v7
	v_cmp_ne_u16_e64 s[4:5], 0, v8
	v_mov_b32_e32 v13, 0
	v_mov_b32_e32 v10, 0
	s_and_saveexec_b64 s[16:17], s[4:5]
	s_cbranch_execz .LBB304_141
; %bb.136:                              ;   in Loop: Header=BB304_9 Depth=1
	v_cmp_ne_u16_e64 s[4:5], s41, v8
	v_bfrev_b32_e32 v10, 1
	s_and_saveexec_b64 s[34:35], s[4:5]
	s_cbranch_execz .LBB304_140
; %bb.137:                              ;   in Loop: Header=BB304_9 Depth=1
	v_and_b32_e32 v0, 0x7f, v8
	v_cmp_ne_u32_e64 s[4:5], s42, v0
	v_mov_b32_e32 v10, 0x7f800001
	s_and_saveexec_b64 s[36:37], s[4:5]
	s_cbranch_execz .LBB304_139
; %bb.138:                              ;   in Loop: Header=BB304_9 Depth=1
	v_and_b32_e32 v10, 7, v8
	v_lshrrev_b32_e32 v16, 3, v0
	v_cmp_gt_u32_e64 s[4:5], 8, v0
	v_ffbh_u32_e32 v0, v10
	v_min_u32_e32 v0, 32, v0
	v_subrev_u32_e32 v14, 28, v0
	v_lshlrev_b64 v[14:15], v14, v[8:9]
	v_sub_u32_e32 v0, 29, v0
	v_and_b32_e32 v8, 7, v14
	v_cndmask_b32_e64 v0, v16, v0, s[4:5]
	v_cndmask_b32_e64 v8, v10, v8, s[4:5]
	v_lshlrev_b32_e32 v7, 16, v7
	v_lshlrev_b32_e32 v8, 20, v8
	v_and_b32_e32 v7, 0x80000000, v7
	v_lshl_add_u32 v0, v0, 23, v44
	v_or3_b32 v10, v7, v0, v8
.LBB304_139:                            ;   in Loop: Header=BB304_9 Depth=1
	s_or_b64 exec, exec, s[36:37]
.LBB304_140:                            ;   in Loop: Header=BB304_9 Depth=1
	s_or_b64 exec, exec, s[34:35]
.LBB304_141:                            ;   in Loop: Header=BB304_9 Depth=1
	s_or_b64 exec, exec, s[16:17]
	global_load_ushort v0, v[5:6], off offset:1288
	s_waitcnt vmcnt(0)
	v_and_b32_e32 v5, 0xffff, v0
	v_cmp_ne_u16_sdwa s[4:5], v0, v43 src0_sel:BYTE_0 src1_sel:DWORD
	s_and_saveexec_b64 s[16:17], s[4:5]
	s_cbranch_execz .LBB304_147
; %bb.142:                              ;   in Loop: Header=BB304_9 Depth=1
	v_cmp_ne_u16_sdwa s[4:5], v5, s41 src0_sel:BYTE_0 src1_sel:DWORD
	v_bfrev_b32_e32 v13, 1
	s_and_saveexec_b64 s[34:35], s[4:5]
	s_cbranch_execz .LBB304_146
; %bb.143:                              ;   in Loop: Header=BB304_9 Depth=1
	v_and_b32_e32 v0, 0x7f, v5
	v_cmp_ne_u32_e64 s[4:5], s42, v0
	v_mov_b32_e32 v13, 0x7f800001
	s_and_saveexec_b64 s[36:37], s[4:5]
	s_cbranch_execz .LBB304_145
; %bb.144:                              ;   in Loop: Header=BB304_9 Depth=1
	v_and_b32_e32 v8, 7, v5
	v_lshrrev_b32_e32 v13, 3, v0
	v_cmp_gt_u32_e64 s[4:5], 8, v0
	v_ffbh_u32_e32 v0, v8
	v_min_u32_e32 v0, 32, v0
	v_subrev_u32_e32 v6, 28, v0
	v_lshlrev_b64 v[6:7], v6, v[5:6]
	v_sub_u32_e32 v0, 29, v0
	v_and_b32_e32 v6, 7, v6
	v_cndmask_b32_e64 v0, v13, v0, s[4:5]
	v_cndmask_b32_e64 v6, v8, v6, s[4:5]
	v_lshlrev_b32_e32 v7, 24, v5
	v_lshlrev_b32_e32 v6, 20, v6
	v_and_b32_e32 v7, 0x80000000, v7
	v_lshl_add_u32 v0, v0, 23, v44
	v_or3_b32 v13, v7, v0, v6
.LBB304_145:                            ;   in Loop: Header=BB304_9 Depth=1
	s_or_b64 exec, exec, s[36:37]
.LBB304_146:                            ;   in Loop: Header=BB304_9 Depth=1
	s_or_b64 exec, exec, s[34:35]
.LBB304_147:                            ;   in Loop: Header=BB304_9 Depth=1
	s_or_b64 exec, exec, s[16:17]
	v_lshrrev_b16_e32 v6, 8, v5
	v_cmp_ne_u16_e64 s[4:5], 0, v6
	v_mov_b32_e32 v0, 0
	s_and_saveexec_b64 s[16:17], s[4:5]
	s_cbranch_execz .LBB304_153
; %bb.148:                              ;   in Loop: Header=BB304_9 Depth=1
	v_cmp_ne_u16_e64 s[4:5], s41, v6
	v_bfrev_b32_e32 v0, 1
	s_and_saveexec_b64 s[34:35], s[4:5]
	s_cbranch_execz .LBB304_152
; %bb.149:                              ;   in Loop: Header=BB304_9 Depth=1
	v_and_b32_e32 v7, 0x7f, v6
	v_cmp_ne_u32_e64 s[4:5], s42, v7
	v_mov_b32_e32 v0, 0x7f800001
	s_and_saveexec_b64 s[36:37], s[4:5]
	s_cbranch_execz .LBB304_151
; %bb.150:                              ;   in Loop: Header=BB304_9 Depth=1
	v_and_b32_e32 v0, 7, v6
	v_lshrrev_b32_e32 v8, 3, v7
	v_cmp_gt_u32_e64 s[4:5], 8, v7
	v_ffbh_u32_e32 v7, v0
	v_min_u32_e32 v14, 32, v7
	v_subrev_u32_e32 v7, 28, v14
	v_lshlrev_b64 v[6:7], v7, v[6:7]
	v_sub_u32_e32 v7, 29, v14
	v_and_b32_e32 v6, 7, v6
	v_cndmask_b32_e64 v7, v8, v7, s[4:5]
	v_cndmask_b32_e64 v0, v0, v6, s[4:5]
	v_lshlrev_b32_e32 v5, 16, v5
	v_lshlrev_b32_e32 v0, 20, v0
	v_and_b32_e32 v5, 0x80000000, v5
	v_lshl_add_u32 v6, v7, 23, v44
	v_or3_b32 v0, v5, v6, v0
.LBB304_151:                            ;   in Loop: Header=BB304_9 Depth=1
	s_or_b64 exec, exec, s[36:37]
.LBB304_152:                            ;   in Loop: Header=BB304_9 Depth=1
	s_or_b64 exec, exec, s[34:35]
.LBB304_153:                            ;   in Loop: Header=BB304_9 Depth=1
	s_or_b64 exec, exec, s[16:17]
	v_mul_f32_e32 v5, s40, v13
	v_bfe_u32 v6, v5, 16, 1
	v_add3_u32 v6, v6, v5, s43
	v_or_b32_e32 v7, 0x400000, v5
	v_cmp_u_f32_e64 s[4:5], v5, v5
	v_cndmask_b32_e64 v5, v6, v7, s[4:5]
	v_mul_f32_e32 v6, s40, v10
	v_bfe_u32 v7, v6, 16, 1
	v_add3_u32 v7, v7, v6, s43
	v_or_b32_e32 v8, 0x400000, v6
	v_cmp_u_f32_e64 s[4:5], v6, v6
	v_cndmask_b32_e64 v6, v7, v8, s[4:5]
	;; [unrolled: 6-line block ×3, first 2 shown]
	v_mul_f32_e32 v8, s40, v12
	v_bfe_u32 v10, v8, 16, 1
	v_add3_u32 v10, v10, v8, s43
	v_or_b32_e32 v11, 0x400000, v8
	v_cmp_u_f32_e64 s[4:5], v8, v8
	v_mul_f32_e32 v9, s40, v9
	v_cndmask_b32_e64 v8, v10, v11, s[4:5]
	v_bfe_u32 v10, v9, 16, 1
	v_add3_u32 v10, v10, v9, s43
	v_or_b32_e32 v11, 0x400000, v9
	v_cmp_u_f32_e64 s[4:5], v9, v9
	v_cndmask_b32_e64 v9, v10, v11, s[4:5]
	v_mul_f32_e32 v10, s40, v63
	v_bfe_u32 v11, v10, 16, 1
	v_add3_u32 v11, v11, v10, s43
	v_or_b32_e32 v12, 0x400000, v10
	v_cmp_u_f32_e64 s[4:5], v10, v10
	v_cndmask_b32_e64 v10, v11, v12, s[4:5]
	v_mul_f32_e32 v11, s40, v62
	;; [unrolled: 6-line block ×7, first 2 shown]
	v_bfe_u32 v57, v16, 16, 1
	v_add3_u32 v57, v57, v16, s43
	v_or_b32_e32 v58, 0x400000, v16
	v_cmp_u_f32_e64 s[4:5], v16, v16
	v_mul_f32_e32 v56, s40, v56
	v_cndmask_b32_e64 v16, v57, v58, s[4:5]
	v_bfe_u32 v57, v56, 16, 1
	v_add3_u32 v57, v57, v56, s43
	v_or_b32_e32 v58, 0x400000, v56
	v_cmp_u_f32_e64 s[4:5], v56, v56
	v_mul_f32_e32 v55, s40, v55
	v_cndmask_b32_e64 v56, v57, v58, s[4:5]
	;; [unrolled: 6-line block ×12, first 2 shown]
	v_bfe_u32 v57, v0, 16, 1
	v_add3_u32 v57, v57, v0, s43
	v_or_b32_e32 v58, 0x400000, v0
	v_cmp_u_f32_e64 s[4:5], v0, v0
	v_cndmask_b32_e64 v0, v57, v58, s[4:5]
	buffer_load_dword v57, off, s[44:47], 0 offset:8 ; 4-byte Folded Reload
	v_and_b32_e32 v48, 0xffff0000, v48
	v_and_b32_e32 v46, 0xffff0000, v46
	;; [unrolled: 1-line block ×17, first 2 shown]
	s_waitcnt vmcnt(0)
	v_mul_f32_e32 v48, v57, v48
	buffer_load_dword v57, off, s[44:47], 0 ; 4-byte Folded Reload
	s_waitcnt vmcnt(0)
	v_fmac_f32_e32 v48, v57, v46
	buffer_load_dword v46, off, s[44:47], 0 offset:12 ; 4-byte Folded Reload
	s_waitcnt vmcnt(0)
	v_mul_f32_e32 v46, v46, v49
	buffer_load_dword v49, off, s[44:47], 0 offset:4 ; 4-byte Folded Reload
	s_waitcnt vmcnt(0)
	v_fmac_f32_e32 v46, v49, v47
	v_and_b32_e32 v47, 0xffff0000, v50
	v_and_b32_e32 v49, 0xffff0000, v51
	v_fmac_f32_e32 v48, v17, v47
	v_fmac_f32_e32 v46, v18, v49
	v_and_b32_e32 v47, 0xffff0000, v52
	v_and_b32_e32 v49, 0xffff0000, v53
	v_fmac_f32_e32 v48, v19, v47
	;; [unrolled: 4-line block ×3, first 2 shown]
	v_fmac_f32_e32 v46, v23, v49
	v_and_b32_e32 v47, 0xffff0000, v56
	v_fmac_f32_e32 v48, v24, v47
	v_fmac_f32_e32 v46, v25, v16
	;; [unrolled: 1-line block ×14, first 2 shown]
	v_add_f32_e32 v0, v48, v46
	ds_bpermute_b32 v5, v39, v0
	s_waitcnt lgkmcnt(0)
	v_add_f32_e32 v0, v0, v5
	ds_bpermute_b32 v5, v40, v0
	s_and_saveexec_b64 s[16:17], vcc
	s_cbranch_execz .LBB304_8
; %bb.154:                              ;   in Loop: Header=BB304_9 Depth=1
	v_add_u32_e32 v6, s38, v41
	v_cvt_f32_i32_e32 v6, v6
	s_waitcnt lgkmcnt(0)
	v_add_f32_e32 v0, v0, v5
	v_cmp_gt_i32_e64 s[4:5], s30, v41
	v_max_f32_e32 v5, v38, v38
	v_mul_f32_e32 v6, s33, v6
	v_cndmask_b32_e64 v6, 0, v6, s[2:3]
	v_fmac_f32_e32 v6, s31, v0
	v_cndmask_b32_e64 v0, 0, v6, s[4:5]
	ds_write_b32 v42, v0
	v_max_f32_e32 v0, v5, v6
	v_cndmask_b32_e64 v38, v38, v0, s[4:5]
	s_branch .LBB304_8
.LBB304_155:
	s_or_b64 exec, exec, s[14:15]
	buffer_load_dword v11, off, s[44:47], 0 offset:16 ; 4-byte Folded Reload
	buffer_load_dword v13, off, s[44:47], 0 offset:20 ; 4-byte Folded Reload
	buffer_load_dword v12, off, s[44:47], 0 offset:24 ; 4-byte Folded Reload
	buffer_load_dword v8, off, s[44:47], 0 offset:28 ; 4-byte Folded Reload
	s_waitcnt vmcnt(0)
	v_add_u32_e32 v14, 64, v8
.LBB304_156:
	s_or_b64 exec, exec, s[6:7]
	v_xor_b32_e32 v0, 32, v12
	v_cmp_lt_i32_e32 vcc, v0, v14
	v_cndmask_b32_e32 v0, v12, v0, vcc
	v_lshlrev_b32_e32 v0, 2, v0
	ds_bpermute_b32 v1, v0, v38
	v_xor_b32_e32 v3, 16, v12
	v_max_f32_e32 v2, v38, v38
	v_cmp_lt_i32_e32 vcc, v3, v14
	v_xor_b32_e32 v4, 8, v12
	s_waitcnt lgkmcnt(0)
	v_max_f32_e32 v1, v1, v1
	v_max_f32_e32 v2, v2, v1
	v_cndmask_b32_e32 v1, v12, v3, vcc
	v_lshlrev_b32_e32 v1, 2, v1
	ds_bpermute_b32 v3, v1, v2
	v_cmp_lt_i32_e32 vcc, v4, v14
	v_xor_b32_e32 v5, 4, v12
	v_and_b32_e32 v21, 63, v11
	s_waitcnt lgkmcnt(0)
	v_max_f32_e32 v3, v3, v3
	v_max_f32_e32 v2, v2, v3
	v_cndmask_b32_e32 v3, v12, v4, vcc
	v_lshlrev_b32_e32 v4, 2, v3
	ds_bpermute_b32 v3, v4, v2
	v_cmp_lt_i32_e32 vcc, v5, v14
	s_waitcnt lgkmcnt(0)
	v_max_f32_e32 v3, v3, v3
	v_max_f32_e32 v3, v2, v3
	v_cndmask_b32_e32 v2, v12, v5, vcc
	v_lshlrev_b32_e32 v5, 2, v2
	ds_bpermute_b32 v6, v5, v3
	v_cmp_eq_u32_e32 vcc, 0, v21
	v_lshlrev_b32_e32 v2, 2, v20
	s_and_saveexec_b64 s[2:3], vcc
	s_cbranch_execz .LBB304_158
; %bb.157:
	s_waitcnt lgkmcnt(0)
	v_max_f32_e32 v6, v6, v6
	v_max_f32_e32 v3, v3, v3
	;; [unrolled: 1-line block ×3, first 2 shown]
	ds_write_b32 v2, v3 offset:192
.LBB304_158:
	s_or_b64 exec, exec, s[2:3]
	v_cmp_gt_u32_e64 s[2:3], 2, v21
	s_waitcnt lgkmcnt(0)
	v_mov_b32_e32 v6, 0xff7fffff
	v_lshlrev_b32_e32 v3, 2, v21
	s_barrier
	s_and_saveexec_b64 s[4:5], s[2:3]
; %bb.159:
	ds_read_b32 v6, v3 offset:192
; %bb.160:
	s_or_b64 exec, exec, s[4:5]
	v_xor_b32_e32 v7, 1, v12
	v_cmp_lt_i32_e64 s[4:5], v7, v14
	v_cndmask_b32_e64 v7, v12, v7, s[4:5]
	v_lshlrev_b32_e32 v22, 2, v7
	s_waitcnt lgkmcnt(0)
	ds_bpermute_b32 v7, v22, v6
	v_max_f32_e32 v6, v6, v6
	s_lshl_b32 s4, s21, 4
	s_min_i32 s31, s4, s30
	v_cmp_gt_i32_e64 s[4:5], s31, v11
	s_waitcnt lgkmcnt(0)
	v_max_f32_e32 v7, v7, v7
	v_max_f32_e32 v6, v6, v7
	v_lshlrev_b32_e32 v7, 2, v8
	ds_bpermute_b32 v7, v7, v6
	v_mov_b32_e32 v6, 0
	s_and_saveexec_b64 s[14:15], s[4:5]
	s_cbranch_execz .LBB304_164
; %bb.161:
	v_mov_b32_e32 v6, 0xd0
	v_lshl_add_u32 v8, v11, 2, v6
	v_mov_b32_e32 v6, 0
	s_mov_b64 s[16:17], 0
	v_mov_b32_e32 v9, v11
.LBB304_162:                            ; =>This Inner Loop Header: Depth=1
	ds_read_b32 v10, v8
	v_add_u32_e32 v9, 0x80, v9
	v_cmp_le_i32_e64 s[6:7], s31, v9
	s_or_b64 s[16:17], s[6:7], s[16:17]
	s_waitcnt lgkmcnt(0)
	v_sub_f32_e32 v10, v10, v7
	v_mul_f32_e32 v10, 0x3fb8aa3b, v10
	v_exp_f32_e32 v10, v10
	ds_write_b32 v8, v10
	v_add_f32_e32 v6, v6, v10
	v_add_u32_e32 v8, 0x200, v8
	s_andn2_b64 exec, exec, s[16:17]
	s_cbranch_execnz .LBB304_162
; %bb.163:
	s_or_b64 exec, exec, s[16:17]
.LBB304_164:
	s_or_b64 exec, exec, s[14:15]
	ds_bpermute_b32 v0, v0, v6
	s_waitcnt lgkmcnt(0)
	v_add_f32_e32 v0, v6, v0
	ds_bpermute_b32 v1, v1, v0
	s_waitcnt lgkmcnt(0)
	v_add_f32_e32 v0, v0, v1
	ds_bpermute_b32 v1, v4, v0
	v_xor_b32_e32 v4, 2, v12
	v_cmp_lt_i32_e64 s[6:7], v4, v14
	v_cndmask_b32_e64 v4, v12, v4, s[6:7]
	s_waitcnt lgkmcnt(0)
	v_add_f32_e32 v0, v0, v1
	ds_bpermute_b32 v1, v5, v0
	s_waitcnt lgkmcnt(0)
	v_add_f32_e32 v0, v0, v1
	v_lshlrev_b32_e32 v1, 2, v4
	ds_bpermute_b32 v1, v1, v0
	s_waitcnt lgkmcnt(0)
	v_add_f32_e32 v0, v0, v1
	ds_bpermute_b32 v1, v22, v0
	s_waitcnt lgkmcnt(0)
	v_add_f32_e32 v0, v0, v1
	s_and_saveexec_b64 s[6:7], vcc
; %bb.165:
	ds_write_b32 v2, v0 offset:200
; %bb.166:
	s_or_b64 exec, exec, s[6:7]
	s_waitcnt lgkmcnt(0)
	s_barrier
	s_and_saveexec_b64 s[6:7], s[2:3]
; %bb.167:
	ds_read_b32 v0, v3 offset:200
; %bb.168:
	s_or_b64 exec, exec, s[6:7]
	s_waitcnt lgkmcnt(0)
	ds_bpermute_b32 v1, v22, v0
	v_lshlrev_b32_e32 v2, 2, v12
	s_waitcnt lgkmcnt(0)
	v_add_f32_e32 v0, v0, v1
	v_and_b32_e32 v1, 0xffffff00, v2
	ds_bpermute_b32 v0, v1, v0
	s_and_saveexec_b64 s[2:3], s[4:5]
	s_cbranch_execz .LBB304_171
; %bb.169:
	s_waitcnt lgkmcnt(0)
	v_add_f32_e32 v1, 0x358637bd, v0
	v_div_scale_f32 v0, s[4:5], v1, v1, 1.0
	v_div_scale_f32 v2, vcc, 1.0, v1, 1.0
	s_mov_b64 s[4:5], 0
	v_rcp_f32_e32 v3, v0
	v_fma_f32 v4, -v0, v3, 1.0
	v_fmac_f32_e32 v3, v4, v3
	v_mul_f32_e32 v4, v2, v3
	v_fma_f32 v5, -v0, v4, v2
	v_fmac_f32_e32 v4, v5, v3
	v_fma_f32 v0, -v0, v4, v2
	v_div_fmas_f32 v2, v0, v3, v4
	v_mov_b32_e32 v0, 0xd0
	v_lshl_add_u32 v0, v11, 2, v0
	v_div_fixup_f32 v1, v2, v1, 1.0
	v_mov_b32_e32 v2, v11
.LBB304_170:                            ; =>This Inner Loop Header: Depth=1
	ds_read_b32 v3, v0
	v_add_u32_e32 v2, 0x80, v2
	v_cmp_le_i32_e32 vcc, s31, v2
	s_or_b64 s[4:5], vcc, s[4:5]
	s_waitcnt lgkmcnt(0)
	v_mul_f32_e32 v3, v1, v3
	ds_write_b32 v0, v3
	v_add_u32_e32 v0, 0x200, v0
	s_andn2_b64 exec, exec, s[4:5]
	s_cbranch_execnz .LBB304_170
.LBB304_171:
	s_or_b64 exec, exec, s[2:3]
	v_mov_b32_e32 v24, 0
	v_and_b32_e32 v23, 1, v11
	v_mov_b32_e32 v27, 0
	v_mov_b32_e32 v25, 0
	s_waitcnt lgkmcnt(0)
	s_barrier
	s_and_saveexec_b64 s[2:3], s[0:1]
	s_cbranch_execz .LBB304_325
; %bb.172:
	v_lshlrev_b32_e32 v0, 3, v11
	s_ashr_i32 s0, s12, 31
	v_and_b32_e32 v1, 8, v0
	s_add_u32 s1, s28, s12
	v_and_b32_e32 v0, 0x1f8, v0
	v_mov_b32_e32 v62, v11
	s_addc_u32 s0, s29, s0
	v_add_co_u32_e32 v11, vcc, s1, v0
	v_lshlrev_b32_e32 v0, 4, v20
	s_load_dword s18, s[18:19], 0x0
	s_add_i32 s19, s21, -1
	v_mov_b32_e32 v2, s0
	v_or3_b32 v26, v0, v1, 7
	v_lshlrev_b32_e32 v0, 5, v23
	s_lshl_b64 s[0:1], s[26:27], 2
	v_lshl_or_b32 v0, v20, 6, v0
	s_add_u32 s0, s24, s0
	v_addc_co_u32_e32 v12, vcc, 0, v2, vcc
	v_add_u32_e32 v28, 0xd0, v0
	v_and_b32_e32 v0, 60, v13
	s_addc_u32 s1, s25, s1
	s_mov_b32 s4, -1
	v_mov_b32_e32 v1, s1
	v_add_co_u32_e32 v13, vcc, s0, v0
	s_mov_b32 s31, s13
	s_mov_b32 s5, 0xffffff
	v_mov_b32_e32 v10, 0
	v_addc_co_u32_e32 v14, vcc, 0, v1, vcc
	s_mov_b64 s[6:7], 0
	s_movk_i32 s24, 0x80
	s_movk_i32 s25, 0x7f
	;; [unrolled: 1-line block ×3, first 2 shown]
	v_bfrev_b32_e32 v29, 60
	v_mov_b32_e32 v25, 0
	v_mov_b32_e32 v27, 0
	;; [unrolled: 1-line block ×3, first 2 shown]
	s_branch .LBB304_174
.LBB304_173:                            ;   in Loop: Header=BB304_174 Depth=1
	s_or_b64 exec, exec, s[0:1]
	v_bfe_u32 v38, v5, 16, 1
	v_add3_u32 v38, v38, v5, s26
	v_or_b32_e32 v39, 0x400000, v5
	v_cmp_u_f32_e32 vcc, v5, v5
	v_cndmask_b32_e32 v5, v38, v39, vcc
	v_bfe_u32 v38, v6, 16, 1
	v_add3_u32 v38, v38, v6, s26
	v_or_b32_e32 v39, 0x400000, v6
	v_cmp_u_f32_e32 vcc, v6, v6
	v_cndmask_b32_e32 v6, v38, v39, vcc
	;; [unrolled: 5-line block ×4, first 2 shown]
	v_bfe_u32 v38, v1, 16, 1
	v_add3_u32 v38, v38, v1, s26
	v_or_b32_e32 v39, 0x400000, v1
	v_cmp_u_f32_e32 vcc, v1, v1
	v_bfe_u32 v1, v2, 16, 1
	v_cndmask_b32_e32 v38, v38, v39, vcc
	v_add3_u32 v1, v1, v2, s26
	v_or_b32_e32 v39, 0x400000, v2
	v_cmp_u_f32_e32 vcc, v2, v2
	v_cndmask_b32_e32 v39, v1, v39, vcc
	v_bfe_u32 v1, v3, 16, 1
	v_add3_u32 v1, v1, v3, s26
	v_or_b32_e32 v2, 0x400000, v3
	v_cmp_u_f32_e32 vcc, v3, v3
	v_cndmask_b32_e32 v40, v1, v2, vcc
	v_bfe_u32 v1, v4, 16, 1
	v_add3_u32 v1, v1, v4, s26
	v_or_b32_e32 v2, 0x400000, v4
	v_cmp_u_f32_e32 vcc, v4, v4
	v_cndmask_b32_e32 v4, v1, v2, vcc
	v_and_b32_e32 v1, 0xffff0000, v6
	v_lshlrev_b32_e32 v2, 16, v49
	v_mul_f32_e32 v2, v1, v2
	v_bfe_u32 v3, v2, 16, 1
	v_add3_u32 v3, v3, v2, s26
	v_or_b32_e32 v6, 0x400000, v2
	v_cmp_u_f32_e32 vcc, v2, v2
	v_and_b32_e32 v5, 0xffff0000, v5
	v_lshlrev_b32_e32 v2, 16, v50
	v_mul_f32_e32 v2, v5, v2
	v_cndmask_b32_e32 v41, v3, v6, vcc
	v_bfe_u32 v3, v2, 16, 1
	v_add3_u32 v3, v3, v2, s26
	v_or_b32_e32 v6, 0x400000, v2
	v_cmp_u_f32_e32 vcc, v2, v2
	v_cndmask_b32_e32 v42, v3, v6, vcc
	v_and_b32_e32 v2, 0xffff0000, v8
	v_lshlrev_b32_e32 v3, 16, v46
	v_mul_f32_e32 v3, v2, v3
	v_bfe_u32 v6, v3, 16, 1
	v_add3_u32 v6, v6, v3, s26
	v_or_b32_e32 v8, 0x400000, v3
	v_cmp_u_f32_e32 vcc, v3, v3
	v_cndmask_b32_e32 v43, v6, v8, vcc
	v_and_b32_e32 v6, 0xffff0000, v7
	v_lshlrev_b32_e32 v3, 16, v47
	v_mul_f32_e32 v3, v6, v3
	;; [unrolled: 8-line block ×4, first 2 shown]
	v_bfe_u32 v19, v8, 16, 1
	v_add3_u32 v19, v19, v8, s26
	v_or_b32_e32 v38, 0x400000, v8
	v_cmp_u_f32_e32 vcc, v8, v8
	v_and_b32_e32 v4, 0xffff0000, v4
	v_lshlrev_b32_e32 v8, 16, v48
	v_mul_f32_e32 v8, v4, v8
	v_cndmask_b32_e32 v19, v19, v38, vcc
	v_bfe_u32 v38, v8, 16, 1
	v_add3_u32 v38, v38, v8, s26
	v_or_b32_e32 v39, 0x400000, v8
	v_cmp_u_f32_e32 vcc, v8, v8
	v_cndmask_b32_e32 v38, v38, v39, vcc
	v_and_b32_e32 v8, 0xffff0000, v40
	v_lshlrev_b32_e32 v39, 16, v45
	v_mul_f32_e32 v39, v8, v39
	v_bfe_u32 v40, v39, 16, 1
	v_add3_u32 v40, v40, v39, s26
	v_or_b32_e32 v45, 0x400000, v39
	v_cmp_u_f32_e32 vcc, v39, v39
	v_cndmask_b32_e32 v39, v40, v45, vcc
	v_and_b32_e32 v40, 0xffff0000, v42
	v_and_b32_e32 v41, 0xffff0000, v41
	v_add_f32_e32 v40, v40, v41
	v_and_b32_e32 v41, 0xffff0000, v44
	v_and_b32_e32 v42, 0xffff0000, v43
	v_add_f32_e32 v41, v41, v42
	;; [unrolled: 3-line block ×3, first 2 shown]
	v_add_f32_e32 v18, v19, v18
	v_and_b32_e32 v19, 0xffff0000, v39
	v_and_b32_e32 v38, 0xffff0000, v38
	v_add_f32_e32 v18, v18, v40
	v_add_f32_e32 v19, v19, v38
	;; [unrolled: 1-line block ×4, first 2 shown]
	v_lshlrev_b32_e32 v18, 16, v36
	v_mul_f32_e32 v18, v1, v18
	v_bfe_u32 v19, v18, 16, 1
	v_add3_u32 v19, v19, v18, s26
	v_or_b32_e32 v36, 0x400000, v18
	v_cmp_u_f32_e32 vcc, v18, v18
	v_cndmask_b32_e32 v18, v19, v36, vcc
	v_lshlrev_b32_e32 v19, 16, v37
	v_mul_f32_e32 v19, v5, v19
	v_bfe_u32 v36, v19, 16, 1
	v_lshlrev_b32_e32 v33, 16, v33
	v_add3_u32 v36, v36, v19, s26
	v_or_b32_e32 v37, 0x400000, v19
	v_cmp_u_f32_e32 vcc, v19, v19
	v_mul_f32_e32 v33, v2, v33
	v_cndmask_b32_e32 v19, v36, v37, vcc
	v_bfe_u32 v36, v33, 16, 1
	v_lshlrev_b32_e32 v34, 16, v34
	v_add3_u32 v36, v36, v33, s26
	v_or_b32_e32 v37, 0x400000, v33
	v_cmp_u_f32_e32 vcc, v33, v33
	v_mul_f32_e32 v34, v6, v34
	v_cndmask_b32_e32 v33, v36, v37, vcc
	;; [unrolled: 7-line block ×5, first 2 shown]
	v_bfe_u32 v36, v35, 16, 1
	v_lshlrev_b32_e32 v32, 16, v32
	v_and_b32_e32 v19, 0xffff0000, v19
	v_and_b32_e32 v18, 0xffff0000, v18
	v_add3_u32 v36, v36, v35, s26
	v_or_b32_e32 v37, 0x400000, v35
	v_cmp_u_f32_e32 vcc, v35, v35
	v_mul_f32_e32 v32, v8, v32
	v_add_f32_e32 v18, v19, v18
	v_and_b32_e32 v19, 0xffff0000, v34
	v_and_b32_e32 v33, 0xffff0000, v33
	v_cndmask_b32_e32 v35, v36, v37, vcc
	v_bfe_u32 v36, v32, 16, 1
	v_add_f32_e32 v19, v19, v33
	v_add3_u32 v36, v36, v32, s26
	v_or_b32_e32 v37, 0x400000, v32
	v_cmp_u_f32_e32 vcc, v32, v32
	v_add_f32_e32 v18, v19, v18
	v_and_b32_e32 v19, 0xffff0000, v31
	v_and_b32_e32 v30, 0xffff0000, v30
	v_cndmask_b32_e32 v32, v36, v37, vcc
	v_add_f32_e32 v19, v19, v30
	v_add_f32_e32 v18, v19, v18
	v_and_b32_e32 v19, 0xffff0000, v32
	v_and_b32_e32 v30, 0xffff0000, v35
	v_add_f32_e32 v19, v19, v30
	v_add_f32_e32 v18, v19, v18
	;; [unrolled: 1-line block ×3, first 2 shown]
	v_lshlrev_b32_e32 v18, 16, v51
	v_mul_f32_e32 v5, v5, v18
	v_bfe_u32 v18, v5, 16, 1
	v_add3_u32 v18, v18, v5, s26
	v_or_b32_e32 v19, 0x400000, v5
	v_cmp_u_f32_e32 vcc, v5, v5
	v_cndmask_b32_e32 v5, v18, v19, vcc
	v_lshlrev_b32_e32 v18, 16, v52
	v_mul_f32_e32 v1, v1, v18
	v_bfe_u32 v18, v1, 16, 1
	v_add3_u32 v18, v18, v1, s26
	v_or_b32_e32 v19, 0x400000, v1
	v_cmp_u_f32_e32 vcc, v1, v1
	v_cndmask_b32_e32 v1, v18, v19, vcc
	v_lshlrev_b32_e32 v18, 16, v53
	v_mul_f32_e32 v6, v6, v18
	v_lshlrev_b32_e32 v16, 16, v16
	v_bfe_u32 v18, v6, 16, 1
	v_mul_f32_e32 v2, v2, v16
	v_lshlrev_b32_e32 v15, 16, v15
	v_add3_u32 v18, v18, v6, s26
	v_or_b32_e32 v19, 0x400000, v6
	v_cmp_u_f32_e32 vcc, v6, v6
	v_bfe_u32 v16, v2, 16, 1
	v_mul_f32_e32 v7, v7, v15
	v_lshlrev_b32_e32 v9, 16, v9
	v_cndmask_b32_e32 v6, v18, v19, vcc
	v_add3_u32 v16, v16, v2, s26
	v_or_b32_e32 v18, 0x400000, v2
	v_cmp_u_f32_e32 vcc, v2, v2
	v_bfe_u32 v15, v7, 16, 1
	v_mul_f32_e32 v3, v3, v9
	v_lshlrev_b32_e32 v0, 16, v0
	v_cndmask_b32_e32 v2, v16, v18, vcc
	v_add3_u32 v15, v15, v7, s26
	v_or_b32_e32 v16, 0x400000, v7
	v_cmp_u_f32_e32 vcc, v7, v7
	v_bfe_u32 v9, v3, 16, 1
	v_mul_f32_e32 v0, v8, v0
	v_cndmask_b32_e32 v7, v15, v16, vcc
	v_add3_u32 v9, v9, v3, s26
	v_or_b32_e32 v15, 0x400000, v3
	v_cmp_u_f32_e32 vcc, v3, v3
	v_bfe_u32 v8, v0, 16, 1
	v_cndmask_b32_e32 v3, v9, v15, vcc
	v_add3_u32 v8, v8, v0, s26
	v_or_b32_e32 v9, 0x400000, v0
	v_cmp_u_f32_e32 vcc, v0, v0
	v_cndmask_b32_e32 v0, v8, v9, vcc
	v_lshlrev_b32_e32 v8, 16, v17
	v_and_b32_e32 v1, 0xffff0000, v1
	v_and_b32_e32 v5, 0xffff0000, v5
	v_mul_f32_e32 v4, v4, v8
	v_add_f32_e32 v1, v5, v1
	v_and_b32_e32 v2, 0xffff0000, v2
	v_and_b32_e32 v5, 0xffff0000, v6
	v_bfe_u32 v8, v4, 16, 1
	v_add_f32_e32 v2, v5, v2
	v_add3_u32 v8, v8, v4, s26
	v_or_b32_e32 v9, 0x400000, v4
	v_cmp_u_f32_e32 vcc, v4, v4
	v_add_f32_e32 v1, v2, v1
	v_and_b32_e32 v2, 0xffff0000, v3
	v_and_b32_e32 v3, 0xffff0000, v7
	v_cndmask_b32_e32 v4, v8, v9, vcc
	v_add_f32_e32 v2, v3, v2
	v_add_f32_e32 v1, v2, v1
	v_and_b32_e32 v2, 0xffff0000, v4
	v_and_b32_e32 v0, 0xffff0000, v0
	v_add_u32_e32 v20, 2, v20
	v_add_f32_e32 v0, v0, v2
	v_cmp_le_i32_e32 vcc, s21, v20
	v_add_f32_e32 v0, v0, v1
	s_or_b64 s[6:7], vcc, s[6:7]
	v_add_co_u32_e32 v13, vcc, 8, v13
	v_add_f32_e32 v25, v25, v0
	v_add_u32_e32 v26, 32, v26
	v_add_u32_e32 v28, 0x80, v28
	v_addc_co_u32_e32 v14, vcc, 0, v14, vcc
	s_andn2_b64 exec, exec, s[6:7]
	s_cbranch_execz .LBB304_324
.LBB304_174:                            ; =>This Inner Loop Header: Depth=1
	global_load_dword v0, v[13:14], off
	v_mov_b32_e32 v32, 0
	s_waitcnt vmcnt(0)
	v_mad_i64_i32 v[15:16], s[0:1], v0, s31, v[11:12]
	global_load_dwordx2 v[17:18], v[15:16], off
	ds_read2_b64 v[5:8], v28 offset1:1
	ds_read2_b64 v[1:4], v28 offset0:2 offset1:3
	s_waitcnt vmcnt(0)
	v_cmp_ne_u16_sdwa s[12:13], v17, v10 src0_sel:BYTE_0 src1_sel:DWORD
	s_and_saveexec_b64 s[0:1], s[12:13]
	s_cbranch_execz .LBB304_180
; %bb.175:                              ;   in Loop: Header=BB304_174 Depth=1
	v_cmp_ne_u16_sdwa s[14:15], v17, s24 src0_sel:BYTE_0 src1_sel:DWORD
	v_bfrev_b32_e32 v32, 1
	s_and_saveexec_b64 s[12:13], s[14:15]
	s_cbranch_execz .LBB304_179
; %bb.176:                              ;   in Loop: Header=BB304_174 Depth=1
	v_and_b32_e32 v0, 0x7f, v17
	v_cmp_ne_u32_e32 vcc, s25, v0
	v_mov_b32_e32 v32, 0x7f800001
	s_and_saveexec_b64 s[14:15], vcc
	s_cbranch_execz .LBB304_178
; %bb.177:                              ;   in Loop: Header=BB304_174 Depth=1
	v_and_b32_e32 v9, 7, v17
	v_ffbh_u32_e32 v9, v9
	v_min_u32_e32 v9, 32, v9
	v_lshrrev_b32_e32 v19, 3, v0
	v_subrev_u32_e32 v30, 28, v9
	v_sub_u32_e32 v9, 29, v9
	v_cmp_gt_u32_e32 vcc, 8, v0
	v_cndmask_b32_e32 v0, v19, v9, vcc
	v_cndmask_b32_e32 v9, 0, v30, vcc
	v_lshlrev_b64 v[30:31], v9, v[17:18]
	v_lshlrev_b32_e32 v19, 24, v17
	v_lshlrev_b32_e32 v9, 20, v30
	v_and_b32_e32 v9, 0x700000, v9
	v_and_b32_e32 v19, 0x80000000, v19
	v_lshl_add_u32 v0, v0, 23, v29
	v_or3_b32 v32, v19, v0, v9
.LBB304_178:                            ;   in Loop: Header=BB304_174 Depth=1
	s_or_b64 exec, exec, s[14:15]
.LBB304_179:                            ;   in Loop: Header=BB304_174 Depth=1
	s_or_b64 exec, exec, s[12:13]
.LBB304_180:                            ;   in Loop: Header=BB304_174 Depth=1
	s_or_b64 exec, exec, s[0:1]
	v_lshrrev_b16_e32 v9, 8, v17
	v_cmp_ne_u16_e32 vcc, 0, v9
	v_mov_b32_e32 v34, 0
	v_mov_b32_e32 v35, 0
	s_and_saveexec_b64 s[0:1], vcc
	s_cbranch_execz .LBB304_186
; %bb.181:                              ;   in Loop: Header=BB304_174 Depth=1
	v_cmp_ne_u16_e32 vcc, s24, v9
	v_bfrev_b32_e32 v35, 1
	s_and_saveexec_b64 s[12:13], vcc
	s_cbranch_execz .LBB304_185
; %bb.182:                              ;   in Loop: Header=BB304_174 Depth=1
	v_and_b32_e32 v0, 0x7f, v9
	v_cmp_ne_u32_e32 vcc, s25, v0
	v_mov_b32_e32 v35, 0x7f800001
	s_and_saveexec_b64 s[14:15], vcc
	s_cbranch_execz .LBB304_184
; %bb.183:                              ;   in Loop: Header=BB304_174 Depth=1
	v_and_b32_e32 v19, 7, v9
	v_ffbh_u32_e32 v30, v19
	v_min_u32_e32 v35, 32, v30
	v_subrev_u32_e32 v30, 28, v35
	v_lshlrev_b64 v[30:31], v30, v[9:10]
	v_lshrrev_b32_e32 v33, 3, v0
	v_sub_u32_e32 v9, 29, v35
	v_and_b32_e32 v30, 7, v30
	v_cmp_gt_u32_e32 vcc, 8, v0
	v_cndmask_b32_e32 v0, v33, v9, vcc
	v_cndmask_b32_e32 v9, v19, v30, vcc
	v_lshlrev_b32_e32 v19, 16, v17
	v_lshlrev_b32_e32 v9, 20, v9
	v_and_b32_e32 v19, 0x80000000, v19
	v_lshl_add_u32 v0, v0, 23, v29
	v_or3_b32 v35, v19, v0, v9
.LBB304_184:                            ;   in Loop: Header=BB304_174 Depth=1
	s_or_b64 exec, exec, s[14:15]
.LBB304_185:                            ;   in Loop: Header=BB304_174 Depth=1
	s_or_b64 exec, exec, s[12:13]
.LBB304_186:                            ;   in Loop: Header=BB304_174 Depth=1
	s_or_b64 exec, exec, s[0:1]
	v_lshrrev_b32_e32 v9, 16, v17
	v_cmp_ne_u16_sdwa s[12:13], v9, v10 src0_sel:BYTE_0 src1_sel:DWORD
	s_and_saveexec_b64 s[0:1], s[12:13]
	s_cbranch_execz .LBB304_192
; %bb.187:                              ;   in Loop: Header=BB304_174 Depth=1
	v_cmp_ne_u16_sdwa s[14:15], v9, s24 src0_sel:BYTE_0 src1_sel:DWORD
	v_bfrev_b32_e32 v34, 1
	s_and_saveexec_b64 s[12:13], s[14:15]
	s_cbranch_execz .LBB304_191
; %bb.188:                              ;   in Loop: Header=BB304_174 Depth=1
	v_bfe_u32 v0, v17, 16, 7
	v_cmp_ne_u32_e32 vcc, s25, v0
	v_mov_b32_e32 v34, 0x7f800001
	s_and_saveexec_b64 s[14:15], vcc
	s_cbranch_execz .LBB304_190
; %bb.189:                              ;   in Loop: Header=BB304_174 Depth=1
	v_and_b32_e32 v19, 7, v9
	v_ffbh_u32_e32 v30, v19
	v_min_u32_e32 v34, 32, v30
	v_subrev_u32_e32 v30, 28, v34
	v_lshlrev_b64 v[30:31], v30, v[9:10]
	v_lshrrev_b32_e32 v33, 3, v0
	v_sub_u32_e32 v31, 29, v34
	v_and_b32_e32 v30, 7, v30
	v_cmp_gt_u32_e32 vcc, 8, v0
	v_cndmask_b32_e32 v0, v33, v31, vcc
	v_cndmask_b32_e32 v19, v19, v30, vcc
	v_lshlrev_b32_e32 v9, 24, v9
	v_lshlrev_b32_e32 v19, 20, v19
	v_and_b32_e32 v9, 0x80000000, v9
	v_lshl_add_u32 v0, v0, 23, v29
	v_or3_b32 v34, v9, v0, v19
.LBB304_190:                            ;   in Loop: Header=BB304_174 Depth=1
	s_or_b64 exec, exec, s[14:15]
.LBB304_191:                            ;   in Loop: Header=BB304_174 Depth=1
	s_or_b64 exec, exec, s[12:13]
.LBB304_192:                            ;   in Loop: Header=BB304_174 Depth=1
	s_or_b64 exec, exec, s[0:1]
	v_cmp_lt_u32_e32 vcc, s5, v17
	v_mov_b32_e32 v31, 0
	v_mov_b32_e32 v0, 0
	s_and_saveexec_b64 s[0:1], vcc
	s_cbranch_execz .LBB304_198
; %bb.193:                              ;   in Loop: Header=BB304_174 Depth=1
	v_lshrrev_b32_e32 v9, 24, v17
	v_cmp_ne_u32_e32 vcc, s24, v9
	v_bfrev_b32_e32 v0, 1
	s_and_saveexec_b64 s[12:13], vcc
	s_cbranch_execz .LBB304_197
; %bb.194:                              ;   in Loop: Header=BB304_174 Depth=1
	v_bfe_u32 v19, v17, 24, 7
	v_cmp_ne_u32_e32 vcc, s25, v19
	v_mov_b32_e32 v0, 0x7f800001
	s_and_saveexec_b64 s[14:15], vcc
	s_cbranch_execz .LBB304_196
; %bb.195:                              ;   in Loop: Header=BB304_174 Depth=1
	v_and_b32_e32 v0, 7, v9
	v_ffbh_u32_e32 v33, v0
	v_min_u32_e32 v33, 32, v33
	v_subrev_u32_e32 v36, 28, v33
	v_lshlrev_b64 v[36:37], v36, v[9:10]
	v_lshrrev_b32_e32 v30, 3, v19
	v_sub_u32_e32 v33, 29, v33
	v_and_b32_e32 v36, 7, v36
	v_cmp_gt_u32_e32 vcc, 8, v19
	v_cndmask_b32_e32 v19, v30, v33, vcc
	v_cndmask_b32_e32 v0, v0, v36, vcc
	v_lshlrev_b32_e32 v9, 24, v9
	v_lshlrev_b32_e32 v0, 20, v0
	v_and_b32_e32 v9, 0x80000000, v9
	v_lshl_add_u32 v19, v19, 23, v29
	v_or3_b32 v0, v9, v19, v0
.LBB304_196:                            ;   in Loop: Header=BB304_174 Depth=1
	s_or_b64 exec, exec, s[14:15]
.LBB304_197:                            ;   in Loop: Header=BB304_174 Depth=1
	s_or_b64 exec, exec, s[12:13]
.LBB304_198:                            ;   in Loop: Header=BB304_174 Depth=1
	s_or_b64 exec, exec, s[0:1]
	v_mov_b32_e32 v9, v18
	v_cmp_ne_u16_sdwa s[12:13], v18, v10 src0_sel:BYTE_0 src1_sel:DWORD
	s_and_saveexec_b64 s[0:1], s[12:13]
	s_cbranch_execz .LBB304_204
; %bb.199:                              ;   in Loop: Header=BB304_174 Depth=1
	v_cmp_ne_u16_sdwa s[14:15], v18, s24 src0_sel:BYTE_0 src1_sel:DWORD
	v_bfrev_b32_e32 v31, 1
	s_and_saveexec_b64 s[12:13], s[14:15]
	s_cbranch_execz .LBB304_203
; %bb.200:                              ;   in Loop: Header=BB304_174 Depth=1
	v_and_b32_e32 v19, 0x7f, v18
	v_cmp_ne_u32_e32 vcc, s25, v19
	v_mov_b32_e32 v31, 0x7f800001
	s_and_saveexec_b64 s[14:15], vcc
	s_cbranch_execz .LBB304_202
; %bb.201:                              ;   in Loop: Header=BB304_174 Depth=1
	v_and_b32_e32 v30, 7, v18
	v_ffbh_u32_e32 v30, v30
	v_min_u32_e32 v30, 32, v30
	v_lshrrev_b32_e32 v31, 3, v19
	v_subrev_u32_e32 v33, 28, v30
	v_sub_u32_e32 v30, 29, v30
	v_cmp_gt_u32_e32 vcc, 8, v19
	v_cndmask_b32_e32 v19, v31, v30, vcc
	v_cndmask_b32_e32 v30, 0, v33, vcc
	v_lshlrev_b64 v[30:31], v30, v[9:10]
	v_lshlrev_b32_e32 v31, 24, v9
	v_lshlrev_b32_e32 v30, 20, v30
	v_and_b32_e32 v30, 0x700000, v30
	v_and_b32_e32 v31, 0x80000000, v31
	v_lshl_add_u32 v19, v19, 23, v29
	v_or3_b32 v31, v31, v19, v30
.LBB304_202:                            ;   in Loop: Header=BB304_174 Depth=1
	s_or_b64 exec, exec, s[14:15]
.LBB304_203:                            ;   in Loop: Header=BB304_174 Depth=1
	s_or_b64 exec, exec, s[12:13]
.LBB304_204:                            ;   in Loop: Header=BB304_174 Depth=1
	s_or_b64 exec, exec, s[0:1]
	v_lshrrev_b16_e32 v19, 8, v9
	v_cmp_ne_u16_e32 vcc, 0, v19
	v_mov_b32_e32 v39, 0
	v_mov_b32_e32 v30, 0
	s_and_saveexec_b64 s[0:1], vcc
	s_cbranch_execz .LBB304_210
; %bb.205:                              ;   in Loop: Header=BB304_174 Depth=1
	v_cmp_ne_u16_e32 vcc, s24, v19
	v_bfrev_b32_e32 v30, 1
	s_and_saveexec_b64 s[12:13], vcc
	s_cbranch_execz .LBB304_209
; %bb.206:                              ;   in Loop: Header=BB304_174 Depth=1
	v_and_b32_e32 v33, 0x7f, v19
	v_cmp_ne_u32_e32 vcc, s25, v33
	v_mov_b32_e32 v30, 0x7f800001
	s_and_saveexec_b64 s[14:15], vcc
	s_cbranch_execz .LBB304_208
; %bb.207:                              ;   in Loop: Header=BB304_174 Depth=1
	v_and_b32_e32 v30, 7, v19
	v_ffbh_u32_e32 v36, v30
	v_min_u32_e32 v40, 32, v36
	v_subrev_u32_e32 v36, 28, v40
	v_lshlrev_b64 v[36:37], v36, v[19:20]
	v_lshrrev_b32_e32 v38, 3, v33
	v_sub_u32_e32 v19, 29, v40
	v_and_b32_e32 v36, 7, v36
	v_cmp_gt_u32_e32 vcc, 8, v33
	v_cndmask_b32_e32 v19, v38, v19, vcc
	v_cndmask_b32_e32 v30, v30, v36, vcc
	v_lshlrev_b32_e32 v9, 16, v9
	v_lshlrev_b32_e32 v30, 20, v30
	v_and_b32_e32 v9, 0x80000000, v9
	v_lshl_add_u32 v19, v19, 23, v29
	v_or3_b32 v30, v9, v19, v30
.LBB304_208:                            ;   in Loop: Header=BB304_174 Depth=1
	s_or_b64 exec, exec, s[14:15]
.LBB304_209:                            ;   in Loop: Header=BB304_174 Depth=1
	s_or_b64 exec, exec, s[12:13]
.LBB304_210:                            ;   in Loop: Header=BB304_174 Depth=1
	s_or_b64 exec, exec, s[0:1]
	v_lshrrev_b32_e32 v9, 16, v18
	v_cmp_ne_u16_sdwa s[12:13], v9, v10 src0_sel:BYTE_0 src1_sel:DWORD
	s_and_saveexec_b64 s[0:1], s[12:13]
	s_cbranch_execz .LBB304_216
; %bb.211:                              ;   in Loop: Header=BB304_174 Depth=1
	v_cmp_ne_u16_sdwa s[14:15], v9, s24 src0_sel:BYTE_0 src1_sel:DWORD
	v_bfrev_b32_e32 v39, 1
	s_and_saveexec_b64 s[12:13], s[14:15]
	s_cbranch_execz .LBB304_215
; %bb.212:                              ;   in Loop: Header=BB304_174 Depth=1
	v_bfe_u32 v19, v18, 16, 7
	v_cmp_ne_u32_e32 vcc, s25, v19
	v_mov_b32_e32 v39, 0x7f800001
	s_and_saveexec_b64 s[14:15], vcc
	s_cbranch_execz .LBB304_214
; %bb.213:                              ;   in Loop: Header=BB304_174 Depth=1
	v_and_b32_e32 v33, 7, v9
	v_ffbh_u32_e32 v36, v33
	v_min_u32_e32 v39, 32, v36
	v_subrev_u32_e32 v36, 28, v39
	v_lshlrev_b64 v[36:37], v36, v[9:10]
	v_lshrrev_b32_e32 v38, 3, v19
	v_sub_u32_e32 v37, 29, v39
	v_and_b32_e32 v36, 7, v36
	v_cmp_gt_u32_e32 vcc, 8, v19
	v_cndmask_b32_e32 v19, v38, v37, vcc
	v_cndmask_b32_e32 v33, v33, v36, vcc
	v_lshlrev_b32_e32 v9, 24, v9
	v_lshlrev_b32_e32 v33, 20, v33
	v_and_b32_e32 v9, 0x80000000, v9
	v_lshl_add_u32 v19, v19, 23, v29
	v_or3_b32 v39, v9, v19, v33
.LBB304_214:                            ;   in Loop: Header=BB304_174 Depth=1
	s_or_b64 exec, exec, s[14:15]
.LBB304_215:                            ;   in Loop: Header=BB304_174 Depth=1
	s_or_b64 exec, exec, s[12:13]
.LBB304_216:                            ;   in Loop: Header=BB304_174 Depth=1
	s_or_b64 exec, exec, s[0:1]
	v_cmp_lt_u64_e32 vcc, s[4:5], v[17:18]
	v_mov_b32_e32 v17, 0
	s_and_saveexec_b64 s[0:1], vcc
	s_cbranch_execz .LBB304_222
; %bb.217:                              ;   in Loop: Header=BB304_174 Depth=1
	v_lshrrev_b32_e32 v9, 24, v18
	v_cmp_ne_u32_e32 vcc, s24, v9
	v_bfrev_b32_e32 v17, 1
	s_and_saveexec_b64 s[12:13], vcc
	s_cbranch_execz .LBB304_221
; %bb.218:                              ;   in Loop: Header=BB304_174 Depth=1
	v_bfe_u32 v18, v18, 24, 7
	v_cmp_ne_u32_e32 vcc, s25, v18
	v_mov_b32_e32 v17, 0x7f800001
	s_and_saveexec_b64 s[14:15], vcc
	s_cbranch_execz .LBB304_220
; %bb.219:                              ;   in Loop: Header=BB304_174 Depth=1
	v_and_b32_e32 v17, 7, v9
	v_ffbh_u32_e32 v33, v17
	v_min_u32_e32 v33, 32, v33
	v_subrev_u32_e32 v36, 28, v33
	v_lshlrev_b64 v[36:37], v36, v[9:10]
	v_lshrrev_b32_e32 v19, 3, v18
	v_sub_u32_e32 v33, 29, v33
	v_and_b32_e32 v36, 7, v36
	v_cmp_gt_u32_e32 vcc, 8, v18
	v_cndmask_b32_e32 v18, v19, v33, vcc
	v_cndmask_b32_e32 v17, v17, v36, vcc
	v_lshlrev_b32_e32 v9, 24, v9
	v_lshlrev_b32_e32 v17, 20, v17
	v_and_b32_e32 v9, 0x80000000, v9
	v_lshl_add_u32 v18, v18, 23, v29
	v_or3_b32 v17, v9, v18, v17
.LBB304_220:                            ;   in Loop: Header=BB304_174 Depth=1
	s_or_b64 exec, exec, s[14:15]
.LBB304_221:                            ;   in Loop: Header=BB304_174 Depth=1
	s_or_b64 exec, exec, s[12:13]
.LBB304_222:                            ;   in Loop: Header=BB304_174 Depth=1
	s_or_b64 exec, exec, s[0:1]
	s_waitcnt lgkmcnt(0)
	v_mul_f32_e32 v9, s18, v30
	v_bfe_u32 v18, v9, 16, 1
	v_add3_u32 v18, v18, v9, s26
	v_or_b32_e32 v19, 0x400000, v9
	v_cmp_u_f32_e64 s[0:1], v9, v9
	v_cndmask_b32_e64 v9, v18, v19, s[0:1]
	v_lshrrev_b32_e32 v30, 16, v9
	v_mul_f32_e32 v9, s18, v31
	v_bfe_u32 v18, v9, 16, 1
	v_add3_u32 v18, v18, v9, s26
	v_or_b32_e32 v19, 0x400000, v9
	v_cmp_u_f32_e64 s[0:1], v9, v9
	v_cndmask_b32_e64 v9, v18, v19, s[0:1]
	v_mul_f32_e32 v0, s18, v0
	v_lshrrev_b32_e32 v31, 16, v9
	v_bfe_u32 v9, v0, 16, 1
	v_add3_u32 v9, v9, v0, s26
	v_or_b32_e32 v18, 0x400000, v0
	v_cmp_u_f32_e64 s[0:1], v0, v0
	v_cndmask_b32_e64 v0, v9, v18, s[0:1]
	v_lshrrev_b32_e32 v33, 16, v0
	v_mul_f32_e32 v0, s18, v34
	v_bfe_u32 v9, v0, 16, 1
	v_add3_u32 v9, v9, v0, s26
	v_or_b32_e32 v18, 0x400000, v0
	v_cmp_u_f32_e64 s[0:1], v0, v0
	v_cndmask_b32_e64 v0, v9, v18, s[0:1]
	v_lshrrev_b32_e32 v34, 16, v0
	v_mul_f32_e32 v0, s18, v35
	;; [unrolled: 7-line block ×5, first 2 shown]
	v_bfe_u32 v9, v0, 16, 1
	v_add3_u32 v9, v9, v0, s26
	v_or_b32_e32 v17, 0x400000, v0
	v_cmp_u_f32_e64 s[0:1], v0, v0
	v_cndmask_b32_e64 v0, v9, v17, s[0:1]
	v_add_u32_e32 v38, -7, v26
	v_cmp_eq_u32_e32 vcc, s19, v20
	v_lshrrev_b32_e32 v35, 16, v0
	v_add_u32_e32 v44, -6, v26
	v_add_u32_e32 v43, -5, v26
	;; [unrolled: 1-line block ×6, first 2 shown]
	s_and_saveexec_b64 s[12:13], vcc
	s_cbranch_execz .LBB304_224
; %bb.223:                              ;   in Loop: Header=BB304_174 Depth=1
	v_cmp_gt_i32_e64 s[0:1], s30, v38
	v_cndmask_b32_e64 v37, 0, v37, s[0:1]
	v_cmp_gt_i32_e64 s[0:1], s30, v44
	v_cndmask_b32_e64 v36, 0, v36, s[0:1]
	v_cmp_gt_i32_e64 s[0:1], s30, v43
	v_cndmask_b32_e64 v34, 0, v34, s[0:1]
	v_cmp_gt_i32_e64 s[0:1], s30, v42
	v_cndmask_b32_e64 v33, 0, v33, s[0:1]
	v_cmp_gt_i32_e64 s[0:1], s30, v41
	v_cndmask_b32_e64 v31, 0, v31, s[0:1]
	v_cmp_gt_i32_e64 s[0:1], s30, v40
	v_cndmask_b32_e64 v30, 0, v30, s[0:1]
	v_cmp_gt_i32_e64 s[0:1], s30, v39
	v_cndmask_b32_e64 v32, 0, v32, s[0:1]
	v_cmp_gt_i32_e64 s[0:1], s30, v26
	v_cndmask_b32_e64 v35, 0, v35, s[0:1]
.LBB304_224:                            ;   in Loop: Header=BB304_174 Depth=1
	s_or_b64 exec, exec, s[12:13]
	global_load_dwordx2 v[17:18], v[15:16], off offset:512
	v_mov_b32_e32 v48, 0
	v_mov_b32_e32 v45, 0
	s_waitcnt vmcnt(0)
	v_cmp_ne_u16_sdwa s[0:1], v17, v10 src0_sel:BYTE_0 src1_sel:DWORD
	s_and_saveexec_b64 s[12:13], s[0:1]
	s_cbranch_execz .LBB304_230
; %bb.225:                              ;   in Loop: Header=BB304_174 Depth=1
	v_cmp_ne_u16_sdwa s[0:1], v17, s24 src0_sel:BYTE_0 src1_sel:DWORD
	v_bfrev_b32_e32 v45, 1
	s_and_saveexec_b64 s[14:15], s[0:1]
	s_cbranch_execz .LBB304_229
; %bb.226:                              ;   in Loop: Header=BB304_174 Depth=1
	v_and_b32_e32 v0, 0x7f, v17
	v_cmp_ne_u32_e64 s[0:1], s25, v0
	v_mov_b32_e32 v45, 0x7f800001
	s_and_saveexec_b64 s[16:17], s[0:1]
	s_cbranch_execz .LBB304_228
; %bb.227:                              ;   in Loop: Header=BB304_174 Depth=1
	v_and_b32_e32 v9, 7, v17
	v_ffbh_u32_e32 v9, v9
	v_min_u32_e32 v9, 32, v9
	v_lshrrev_b32_e32 v19, 3, v0
	v_subrev_u32_e32 v45, 28, v9
	v_sub_u32_e32 v9, 29, v9
	v_cmp_gt_u32_e64 s[0:1], 8, v0
	v_cndmask_b32_e64 v0, v19, v9, s[0:1]
	v_cndmask_b32_e64 v9, 0, v45, s[0:1]
	v_lshlrev_b64 v[45:46], v9, v[17:18]
	v_lshlrev_b32_e32 v19, 24, v17
	v_lshlrev_b32_e32 v9, 20, v45
	v_and_b32_e32 v9, 0x700000, v9
	v_and_b32_e32 v19, 0x80000000, v19
	v_lshl_add_u32 v0, v0, 23, v29
	v_or3_b32 v45, v19, v0, v9
.LBB304_228:                            ;   in Loop: Header=BB304_174 Depth=1
	s_or_b64 exec, exec, s[16:17]
.LBB304_229:                            ;   in Loop: Header=BB304_174 Depth=1
	s_or_b64 exec, exec, s[14:15]
.LBB304_230:                            ;   in Loop: Header=BB304_174 Depth=1
	s_or_b64 exec, exec, s[12:13]
	v_lshrrev_b16_e32 v9, 8, v17
	v_cmp_ne_u16_e64 s[0:1], 0, v9
	s_and_saveexec_b64 s[12:13], s[0:1]
	s_cbranch_execz .LBB304_236
; %bb.231:                              ;   in Loop: Header=BB304_174 Depth=1
	v_cmp_ne_u16_e64 s[0:1], s24, v9
	v_bfrev_b32_e32 v48, 1
	s_and_saveexec_b64 s[14:15], s[0:1]
	s_cbranch_execz .LBB304_235
; %bb.232:                              ;   in Loop: Header=BB304_174 Depth=1
	v_and_b32_e32 v0, 0x7f, v9
	v_cmp_ne_u32_e64 s[0:1], s25, v0
	v_mov_b32_e32 v48, 0x7f800001
	s_and_saveexec_b64 s[16:17], s[0:1]
	s_cbranch_execz .LBB304_234
; %bb.233:                              ;   in Loop: Header=BB304_174 Depth=1
	v_and_b32_e32 v19, 7, v9
	v_ffbh_u32_e32 v46, v19
	v_min_u32_e32 v49, 32, v46
	v_subrev_u32_e32 v46, 28, v49
	v_lshlrev_b64 v[46:47], v46, v[9:10]
	v_lshrrev_b32_e32 v48, 3, v0
	v_sub_u32_e32 v9, 29, v49
	v_and_b32_e32 v46, 7, v46
	v_cmp_gt_u32_e64 s[0:1], 8, v0
	v_cndmask_b32_e64 v0, v48, v9, s[0:1]
	v_cndmask_b32_e64 v9, v19, v46, s[0:1]
	v_lshlrev_b32_e32 v19, 16, v17
	v_lshlrev_b32_e32 v9, 20, v9
	v_and_b32_e32 v19, 0x80000000, v19
	v_lshl_add_u32 v0, v0, 23, v29
	v_or3_b32 v48, v19, v0, v9
.LBB304_234:                            ;   in Loop: Header=BB304_174 Depth=1
	s_or_b64 exec, exec, s[16:17]
.LBB304_235:                            ;   in Loop: Header=BB304_174 Depth=1
	s_or_b64 exec, exec, s[14:15]
.LBB304_236:                            ;   in Loop: Header=BB304_174 Depth=1
	s_or_b64 exec, exec, s[12:13]
	v_lshrrev_b32_e32 v9, 16, v17
	v_cmp_ne_u16_sdwa s[0:1], v9, v10 src0_sel:BYTE_0 src1_sel:DWORD
	v_mov_b32_e32 v46, 0
	v_mov_b32_e32 v47, 0
	s_and_saveexec_b64 s[12:13], s[0:1]
	s_cbranch_execz .LBB304_242
; %bb.237:                              ;   in Loop: Header=BB304_174 Depth=1
	v_cmp_ne_u16_sdwa s[0:1], v9, s24 src0_sel:BYTE_0 src1_sel:DWORD
	v_bfrev_b32_e32 v47, 1
	s_and_saveexec_b64 s[14:15], s[0:1]
	s_cbranch_execz .LBB304_241
; %bb.238:                              ;   in Loop: Header=BB304_174 Depth=1
	v_bfe_u32 v0, v17, 16, 7
	v_cmp_ne_u32_e64 s[0:1], s25, v0
	v_mov_b32_e32 v47, 0x7f800001
	s_and_saveexec_b64 s[16:17], s[0:1]
	s_cbranch_execz .LBB304_240
; %bb.239:                              ;   in Loop: Header=BB304_174 Depth=1
	v_and_b32_e32 v19, 7, v9
	v_ffbh_u32_e32 v49, v19
	v_min_u32_e32 v51, 32, v49
	v_subrev_u32_e32 v49, 28, v51
	v_lshlrev_b64 v[49:50], v49, v[9:10]
	v_lshrrev_b32_e32 v47, 3, v0
	v_sub_u32_e32 v50, 29, v51
	v_and_b32_e32 v49, 7, v49
	v_cmp_gt_u32_e64 s[0:1], 8, v0
	v_cndmask_b32_e64 v0, v47, v50, s[0:1]
	v_cndmask_b32_e64 v19, v19, v49, s[0:1]
	v_lshlrev_b32_e32 v9, 24, v9
	v_lshlrev_b32_e32 v19, 20, v19
	v_and_b32_e32 v9, 0x80000000, v9
	v_lshl_add_u32 v0, v0, 23, v29
	v_or3_b32 v47, v9, v0, v19
.LBB304_240:                            ;   in Loop: Header=BB304_174 Depth=1
	s_or_b64 exec, exec, s[16:17]
.LBB304_241:                            ;   in Loop: Header=BB304_174 Depth=1
	s_or_b64 exec, exec, s[14:15]
.LBB304_242:                            ;   in Loop: Header=BB304_174 Depth=1
	s_or_b64 exec, exec, s[12:13]
	v_cmp_lt_u32_e64 s[0:1], s5, v17
	s_and_saveexec_b64 s[12:13], s[0:1]
	s_cbranch_execz .LBB304_248
; %bb.243:                              ;   in Loop: Header=BB304_174 Depth=1
	v_lshrrev_b32_e32 v9, 24, v17
	v_cmp_ne_u32_e64 s[0:1], s24, v9
	v_bfrev_b32_e32 v46, 1
	s_and_saveexec_b64 s[14:15], s[0:1]
	s_cbranch_execz .LBB304_247
; %bb.244:                              ;   in Loop: Header=BB304_174 Depth=1
	v_bfe_u32 v0, v17, 24, 7
	v_cmp_ne_u32_e64 s[0:1], s25, v0
	v_mov_b32_e32 v46, 0x7f800001
	s_and_saveexec_b64 s[16:17], s[0:1]
	s_cbranch_execz .LBB304_246
; %bb.245:                              ;   in Loop: Header=BB304_174 Depth=1
	v_and_b32_e32 v19, 7, v9
	v_ffbh_u32_e32 v49, v19
	v_min_u32_e32 v51, 32, v49
	v_subrev_u32_e32 v49, 28, v51
	v_lshlrev_b64 v[49:50], v49, v[9:10]
	v_lshrrev_b32_e32 v46, 3, v0
	v_sub_u32_e32 v50, 29, v51
	v_and_b32_e32 v49, 7, v49
	v_cmp_gt_u32_e64 s[0:1], 8, v0
	v_cndmask_b32_e64 v0, v46, v50, s[0:1]
	v_cndmask_b32_e64 v19, v19, v49, s[0:1]
	v_lshlrev_b32_e32 v9, 24, v9
	v_lshlrev_b32_e32 v19, 20, v19
	v_and_b32_e32 v9, 0x80000000, v9
	v_lshl_add_u32 v0, v0, 23, v29
	v_or3_b32 v46, v9, v0, v19
.LBB304_246:                            ;   in Loop: Header=BB304_174 Depth=1
	s_or_b64 exec, exec, s[16:17]
.LBB304_247:                            ;   in Loop: Header=BB304_174 Depth=1
	s_or_b64 exec, exec, s[14:15]
.LBB304_248:                            ;   in Loop: Header=BB304_174 Depth=1
	s_or_b64 exec, exec, s[12:13]
	v_mov_b32_e32 v9, v18
	v_cmp_ne_u16_sdwa s[0:1], v18, v10 src0_sel:BYTE_0 src1_sel:DWORD
	v_mov_b32_e32 v49, 0
	v_mov_b32_e32 v0, 0
	s_and_saveexec_b64 s[12:13], s[0:1]
	s_cbranch_execz .LBB304_254
; %bb.249:                              ;   in Loop: Header=BB304_174 Depth=1
	v_cmp_ne_u16_sdwa s[0:1], v18, s24 src0_sel:BYTE_0 src1_sel:DWORD
	v_bfrev_b32_e32 v0, 1
	s_and_saveexec_b64 s[14:15], s[0:1]
	s_cbranch_execz .LBB304_253
; %bb.250:                              ;   in Loop: Header=BB304_174 Depth=1
	v_and_b32_e32 v19, 0x7f, v18
	v_cmp_ne_u32_e64 s[0:1], s25, v19
	v_mov_b32_e32 v0, 0x7f800001
	s_and_saveexec_b64 s[16:17], s[0:1]
	s_cbranch_execz .LBB304_252
; %bb.251:                              ;   in Loop: Header=BB304_174 Depth=1
	v_and_b32_e32 v0, 7, v18
	v_ffbh_u32_e32 v0, v0
	v_min_u32_e32 v0, 32, v0
	v_subrev_u32_e32 v51, 28, v0
	v_cmp_gt_u32_e64 s[0:1], 8, v19
	v_lshrrev_b32_e32 v50, 3, v19
	v_sub_u32_e32 v0, 29, v0
	v_cndmask_b32_e64 v19, 0, v51, s[0:1]
	v_cndmask_b32_e64 v0, v50, v0, s[0:1]
	v_lshlrev_b64 v[50:51], v19, v[9:10]
	v_lshl_add_u32 v0, v0, 23, v29
	v_lshlrev_b32_e32 v19, 20, v50
	v_lshlrev_b32_e32 v50, 24, v9
	v_and_b32_e32 v19, 0x700000, v19
	v_and_b32_e32 v50, 0x80000000, v50
	v_or3_b32 v0, v50, v0, v19
.LBB304_252:                            ;   in Loop: Header=BB304_174 Depth=1
	s_or_b64 exec, exec, s[16:17]
.LBB304_253:                            ;   in Loop: Header=BB304_174 Depth=1
	s_or_b64 exec, exec, s[14:15]
.LBB304_254:                            ;   in Loop: Header=BB304_174 Depth=1
	s_or_b64 exec, exec, s[12:13]
	v_lshrrev_b16_e32 v19, 8, v9
	v_cmp_ne_u16_e64 s[0:1], 0, v19
	s_and_saveexec_b64 s[12:13], s[0:1]
	s_cbranch_execz .LBB304_260
; %bb.255:                              ;   in Loop: Header=BB304_174 Depth=1
	v_cmp_ne_u16_e64 s[0:1], s24, v19
	v_bfrev_b32_e32 v49, 1
	s_and_saveexec_b64 s[14:15], s[0:1]
	s_cbranch_execz .LBB304_259
; %bb.256:                              ;   in Loop: Header=BB304_174 Depth=1
	v_and_b32_e32 v50, 0x7f, v19
	v_cmp_ne_u32_e64 s[0:1], s25, v50
	v_mov_b32_e32 v49, 0x7f800001
	s_and_saveexec_b64 s[16:17], s[0:1]
	s_cbranch_execz .LBB304_258
; %bb.257:                              ;   in Loop: Header=BB304_174 Depth=1
	v_and_b32_e32 v49, 7, v19
	v_ffbh_u32_e32 v51, v49
	v_min_u32_e32 v54, 32, v51
	v_subrev_u32_e32 v51, 28, v54
	v_lshlrev_b64 v[51:52], v51, v[19:20]
	v_lshrrev_b32_e32 v53, 3, v50
	v_sub_u32_e32 v19, 29, v54
	v_and_b32_e32 v51, 7, v51
	v_cmp_gt_u32_e64 s[0:1], 8, v50
	v_cndmask_b32_e64 v19, v53, v19, s[0:1]
	v_cndmask_b32_e64 v49, v49, v51, s[0:1]
	v_lshlrev_b32_e32 v9, 16, v9
	v_lshlrev_b32_e32 v49, 20, v49
	v_and_b32_e32 v9, 0x80000000, v9
	v_lshl_add_u32 v19, v19, 23, v29
	v_or3_b32 v49, v9, v19, v49
.LBB304_258:                            ;   in Loop: Header=BB304_174 Depth=1
	s_or_b64 exec, exec, s[16:17]
.LBB304_259:                            ;   in Loop: Header=BB304_174 Depth=1
	s_or_b64 exec, exec, s[14:15]
.LBB304_260:                            ;   in Loop: Header=BB304_174 Depth=1
	s_or_b64 exec, exec, s[12:13]
	v_lshrrev_b32_e32 v9, 16, v18
	v_cmp_ne_u16_sdwa s[0:1], v9, v10 src0_sel:BYTE_0 src1_sel:DWORD
	v_mov_b32_e32 v51, 0
	v_mov_b32_e32 v52, 0
	s_and_saveexec_b64 s[12:13], s[0:1]
	s_cbranch_execz .LBB304_266
; %bb.261:                              ;   in Loop: Header=BB304_174 Depth=1
	v_cmp_ne_u16_sdwa s[0:1], v9, s24 src0_sel:BYTE_0 src1_sel:DWORD
	v_bfrev_b32_e32 v52, 1
	s_and_saveexec_b64 s[14:15], s[0:1]
	s_cbranch_execz .LBB304_265
; %bb.262:                              ;   in Loop: Header=BB304_174 Depth=1
	v_bfe_u32 v19, v18, 16, 7
	v_cmp_ne_u32_e64 s[0:1], s25, v19
	v_mov_b32_e32 v52, 0x7f800001
	s_and_saveexec_b64 s[16:17], s[0:1]
	s_cbranch_execz .LBB304_264
; %bb.263:                              ;   in Loop: Header=BB304_174 Depth=1
	v_and_b32_e32 v50, 7, v9
	v_ffbh_u32_e32 v52, v50
	v_min_u32_e32 v55, 32, v52
	v_subrev_u32_e32 v52, 28, v55
	v_lshlrev_b64 v[52:53], v52, v[9:10]
	v_lshrrev_b32_e32 v54, 3, v19
	v_sub_u32_e32 v53, 29, v55
	v_and_b32_e32 v52, 7, v52
	v_cmp_gt_u32_e64 s[0:1], 8, v19
	v_cndmask_b32_e64 v19, v54, v53, s[0:1]
	v_cndmask_b32_e64 v50, v50, v52, s[0:1]
	v_lshlrev_b32_e32 v9, 24, v9
	v_lshlrev_b32_e32 v50, 20, v50
	v_and_b32_e32 v9, 0x80000000, v9
	v_lshl_add_u32 v19, v19, 23, v29
	v_or3_b32 v52, v9, v19, v50
.LBB304_264:                            ;   in Loop: Header=BB304_174 Depth=1
	s_or_b64 exec, exec, s[16:17]
.LBB304_265:                            ;   in Loop: Header=BB304_174 Depth=1
	s_or_b64 exec, exec, s[14:15]
.LBB304_266:                            ;   in Loop: Header=BB304_174 Depth=1
	s_or_b64 exec, exec, s[12:13]
	v_cmp_lt_u64_e64 s[0:1], s[4:5], v[17:18]
	s_and_saveexec_b64 s[12:13], s[0:1]
	s_cbranch_execz .LBB304_272
; %bb.267:                              ;   in Loop: Header=BB304_174 Depth=1
	v_lshrrev_b32_e32 v9, 24, v18
	v_cmp_ne_u32_e64 s[0:1], s24, v9
	v_bfrev_b32_e32 v51, 1
	s_and_saveexec_b64 s[14:15], s[0:1]
	s_cbranch_execz .LBB304_271
; %bb.268:                              ;   in Loop: Header=BB304_174 Depth=1
	v_bfe_u32 v17, v18, 24, 7
	v_cmp_ne_u32_e64 s[0:1], s25, v17
	v_mov_b32_e32 v51, 0x7f800001
	s_and_saveexec_b64 s[16:17], s[0:1]
	s_cbranch_execz .LBB304_270
; %bb.269:                              ;   in Loop: Header=BB304_174 Depth=1
	v_and_b32_e32 v50, 7, v9
	v_ffbh_u32_e32 v18, v50
	v_min_u32_e32 v53, 32, v18
	v_subrev_u32_e32 v18, 28, v53
	v_lshlrev_b64 v[18:19], v18, v[9:10]
	v_lshrrev_b32_e32 v51, 3, v17
	v_sub_u32_e32 v19, 29, v53
	v_and_b32_e32 v18, 7, v18
	v_cmp_gt_u32_e64 s[0:1], 8, v17
	v_cndmask_b32_e64 v17, v51, v19, s[0:1]
	v_cndmask_b32_e64 v18, v50, v18, s[0:1]
	v_lshlrev_b32_e32 v9, 24, v9
	v_lshlrev_b32_e32 v18, 20, v18
	v_and_b32_e32 v9, 0x80000000, v9
	v_lshl_add_u32 v17, v17, 23, v29
	v_or3_b32 v51, v9, v17, v18
.LBB304_270:                            ;   in Loop: Header=BB304_174 Depth=1
	s_or_b64 exec, exec, s[16:17]
.LBB304_271:                            ;   in Loop: Header=BB304_174 Depth=1
	s_or_b64 exec, exec, s[14:15]
.LBB304_272:                            ;   in Loop: Header=BB304_174 Depth=1
	s_or_b64 exec, exec, s[12:13]
	v_mul_f32_e32 v9, s18, v49
	v_bfe_u32 v17, v9, 16, 1
	v_add3_u32 v17, v17, v9, s26
	v_or_b32_e32 v18, 0x400000, v9
	v_cmp_u_f32_e64 s[0:1], v9, v9
	v_cndmask_b32_e64 v9, v17, v18, s[0:1]
	v_mul_f32_e32 v0, s18, v0
	v_lshrrev_b32_e32 v18, 16, v9
	v_bfe_u32 v9, v0, 16, 1
	v_add3_u32 v9, v9, v0, s26
	v_or_b32_e32 v17, 0x400000, v0
	v_cmp_u_f32_e64 s[0:1], v0, v0
	v_cndmask_b32_e64 v0, v9, v17, s[0:1]
	v_lshrrev_b32_e32 v19, 16, v0
	v_mul_f32_e32 v0, s18, v46
	v_bfe_u32 v9, v0, 16, 1
	v_add3_u32 v9, v9, v0, s26
	v_or_b32_e32 v17, 0x400000, v0
	v_cmp_u_f32_e64 s[0:1], v0, v0
	v_cndmask_b32_e64 v0, v9, v17, s[0:1]
	v_lshrrev_b32_e32 v46, 16, v0
	v_mul_f32_e32 v0, s18, v47
	;; [unrolled: 7-line block ×6, first 2 shown]
	v_bfe_u32 v9, v0, 16, 1
	v_add3_u32 v9, v9, v0, s26
	v_or_b32_e32 v17, 0x400000, v0
	v_cmp_u_f32_e64 s[0:1], v0, v0
	v_cndmask_b32_e64 v0, v9, v17, s[0:1]
	v_lshrrev_b32_e32 v48, 16, v0
	s_and_saveexec_b64 s[12:13], vcc
	s_cbranch_execz .LBB304_274
; %bb.273:                              ;   in Loop: Header=BB304_174 Depth=1
	v_cmp_gt_i32_e64 s[0:1], s30, v38
	v_cndmask_b32_e64 v50, 0, v50, s[0:1]
	v_cmp_gt_i32_e64 s[0:1], s30, v44
	v_cndmask_b32_e64 v49, 0, v49, s[0:1]
	;; [unrolled: 2-line block ×8, first 2 shown]
.LBB304_274:                            ;   in Loop: Header=BB304_174 Depth=1
	s_or_b64 exec, exec, s[12:13]
	global_load_dwordx2 v[15:16], v[15:16], off offset:1024
	v_mov_b32_e32 v52, 0
	v_mov_b32_e32 v51, 0
	s_waitcnt vmcnt(0)
	v_cmp_ne_u16_sdwa s[0:1], v15, v10 src0_sel:BYTE_0 src1_sel:DWORD
	s_and_saveexec_b64 s[12:13], s[0:1]
	s_cbranch_execz .LBB304_280
; %bb.275:                              ;   in Loop: Header=BB304_174 Depth=1
	v_cmp_ne_u16_sdwa s[0:1], v15, s24 src0_sel:BYTE_0 src1_sel:DWORD
	v_bfrev_b32_e32 v51, 1
	s_and_saveexec_b64 s[14:15], s[0:1]
	s_cbranch_execz .LBB304_279
; %bb.276:                              ;   in Loop: Header=BB304_174 Depth=1
	v_and_b32_e32 v0, 0x7f, v15
	v_cmp_ne_u32_e64 s[0:1], s25, v0
	v_mov_b32_e32 v51, 0x7f800001
	s_and_saveexec_b64 s[16:17], s[0:1]
	s_cbranch_execz .LBB304_278
; %bb.277:                              ;   in Loop: Header=BB304_174 Depth=1
	v_and_b32_e32 v9, 7, v15
	v_ffbh_u32_e32 v9, v9
	v_min_u32_e32 v9, 32, v9
	v_lshrrev_b32_e32 v17, 3, v0
	v_subrev_u32_e32 v51, 28, v9
	v_sub_u32_e32 v9, 29, v9
	v_cmp_gt_u32_e64 s[0:1], 8, v0
	v_cndmask_b32_e64 v0, v17, v9, s[0:1]
	v_cndmask_b32_e64 v9, 0, v51, s[0:1]
	v_lshlrev_b64 v[53:54], v9, v[15:16]
	v_lshlrev_b32_e32 v17, 24, v15
	v_lshlrev_b32_e32 v9, 20, v53
	v_and_b32_e32 v9, 0x700000, v9
	v_and_b32_e32 v17, 0x80000000, v17
	v_lshl_add_u32 v0, v0, 23, v29
	v_or3_b32 v51, v17, v0, v9
.LBB304_278:                            ;   in Loop: Header=BB304_174 Depth=1
	s_or_b64 exec, exec, s[16:17]
.LBB304_279:                            ;   in Loop: Header=BB304_174 Depth=1
	s_or_b64 exec, exec, s[14:15]
.LBB304_280:                            ;   in Loop: Header=BB304_174 Depth=1
	s_or_b64 exec, exec, s[12:13]
	v_lshrrev_b16_e32 v9, 8, v15
	v_cmp_ne_u16_e64 s[0:1], 0, v9
	s_and_saveexec_b64 s[12:13], s[0:1]
	s_cbranch_execz .LBB304_286
; %bb.281:                              ;   in Loop: Header=BB304_174 Depth=1
	v_cmp_ne_u16_e64 s[0:1], s24, v9
	v_bfrev_b32_e32 v52, 1
	s_and_saveexec_b64 s[14:15], s[0:1]
	s_cbranch_execz .LBB304_285
; %bb.282:                              ;   in Loop: Header=BB304_174 Depth=1
	v_and_b32_e32 v0, 0x7f, v9
	v_cmp_ne_u32_e64 s[0:1], s25, v0
	v_mov_b32_e32 v52, 0x7f800001
	s_and_saveexec_b64 s[16:17], s[0:1]
	s_cbranch_execz .LBB304_284
; %bb.283:                              ;   in Loop: Header=BB304_174 Depth=1
	v_and_b32_e32 v17, 7, v9
	v_ffbh_u32_e32 v52, v17
	v_min_u32_e32 v55, 32, v52
	v_subrev_u32_e32 v52, 28, v55
	v_lshlrev_b64 v[52:53], v52, v[9:10]
	v_lshrrev_b32_e32 v54, 3, v0
	v_sub_u32_e32 v9, 29, v55
	v_and_b32_e32 v52, 7, v52
	v_cmp_gt_u32_e64 s[0:1], 8, v0
	v_cndmask_b32_e64 v0, v54, v9, s[0:1]
	v_cndmask_b32_e64 v9, v17, v52, s[0:1]
	v_lshlrev_b32_e32 v17, 16, v15
	v_lshlrev_b32_e32 v9, 20, v9
	v_and_b32_e32 v17, 0x80000000, v17
	v_lshl_add_u32 v0, v0, 23, v29
	v_or3_b32 v52, v17, v0, v9
.LBB304_284:                            ;   in Loop: Header=BB304_174 Depth=1
	s_or_b64 exec, exec, s[16:17]
.LBB304_285:                            ;   in Loop: Header=BB304_174 Depth=1
	s_or_b64 exec, exec, s[14:15]
.LBB304_286:                            ;   in Loop: Header=BB304_174 Depth=1
	s_or_b64 exec, exec, s[12:13]
	v_lshrrev_b32_e32 v9, 16, v15
	v_cmp_ne_u16_sdwa s[0:1], v9, v10 src0_sel:BYTE_0 src1_sel:DWORD
	v_mov_b32_e32 v54, 0
	v_mov_b32_e32 v53, 0
	s_and_saveexec_b64 s[12:13], s[0:1]
	s_cbranch_execz .LBB304_292
; %bb.287:                              ;   in Loop: Header=BB304_174 Depth=1
	v_cmp_ne_u16_sdwa s[0:1], v9, s24 src0_sel:BYTE_0 src1_sel:DWORD
	v_bfrev_b32_e32 v53, 1
	s_and_saveexec_b64 s[14:15], s[0:1]
	s_cbranch_execz .LBB304_291
; %bb.288:                              ;   in Loop: Header=BB304_174 Depth=1
	v_bfe_u32 v0, v15, 16, 7
	v_cmp_ne_u32_e64 s[0:1], s25, v0
	v_mov_b32_e32 v53, 0x7f800001
	s_and_saveexec_b64 s[16:17], s[0:1]
	s_cbranch_execz .LBB304_290
; %bb.289:                              ;   in Loop: Header=BB304_174 Depth=1
	v_and_b32_e32 v17, 7, v9
	v_ffbh_u32_e32 v55, v17
	v_min_u32_e32 v57, 32, v55
	v_subrev_u32_e32 v55, 28, v57
	v_lshlrev_b64 v[55:56], v55, v[9:10]
	v_lshrrev_b32_e32 v53, 3, v0
	v_sub_u32_e32 v56, 29, v57
	v_and_b32_e32 v55, 7, v55
	v_cmp_gt_u32_e64 s[0:1], 8, v0
	v_cndmask_b32_e64 v0, v53, v56, s[0:1]
	v_cndmask_b32_e64 v17, v17, v55, s[0:1]
	v_lshlrev_b32_e32 v9, 24, v9
	v_lshlrev_b32_e32 v17, 20, v17
	v_and_b32_e32 v9, 0x80000000, v9
	v_lshl_add_u32 v0, v0, 23, v29
	v_or3_b32 v53, v9, v0, v17
.LBB304_290:                            ;   in Loop: Header=BB304_174 Depth=1
	s_or_b64 exec, exec, s[16:17]
.LBB304_291:                            ;   in Loop: Header=BB304_174 Depth=1
	s_or_b64 exec, exec, s[14:15]
.LBB304_292:                            ;   in Loop: Header=BB304_174 Depth=1
	s_or_b64 exec, exec, s[12:13]
	v_cmp_lt_u32_e64 s[0:1], s5, v15
	s_and_saveexec_b64 s[12:13], s[0:1]
	s_cbranch_execz .LBB304_298
; %bb.293:                              ;   in Loop: Header=BB304_174 Depth=1
	v_lshrrev_b32_e32 v9, 24, v15
	v_cmp_ne_u32_e64 s[0:1], s24, v9
	v_bfrev_b32_e32 v54, 1
	s_and_saveexec_b64 s[14:15], s[0:1]
	s_cbranch_execz .LBB304_297
; %bb.294:                              ;   in Loop: Header=BB304_174 Depth=1
	v_bfe_u32 v0, v15, 24, 7
	v_cmp_ne_u32_e64 s[0:1], s25, v0
	v_mov_b32_e32 v54, 0x7f800001
	s_and_saveexec_b64 s[16:17], s[0:1]
	s_cbranch_execz .LBB304_296
; %bb.295:                              ;   in Loop: Header=BB304_174 Depth=1
	v_and_b32_e32 v17, 7, v9
	v_ffbh_u32_e32 v54, v17
	v_min_u32_e32 v57, 32, v54
	v_subrev_u32_e32 v54, 28, v57
	v_lshlrev_b64 v[54:55], v54, v[9:10]
	v_lshrrev_b32_e32 v56, 3, v0
	v_sub_u32_e32 v55, 29, v57
	v_and_b32_e32 v54, 7, v54
	v_cmp_gt_u32_e64 s[0:1], 8, v0
	v_cndmask_b32_e64 v0, v56, v55, s[0:1]
	v_cndmask_b32_e64 v17, v17, v54, s[0:1]
	v_lshlrev_b32_e32 v9, 24, v9
	v_lshlrev_b32_e32 v17, 20, v17
	v_and_b32_e32 v9, 0x80000000, v9
	v_lshl_add_u32 v0, v0, 23, v29
	v_or3_b32 v54, v9, v0, v17
.LBB304_296:                            ;   in Loop: Header=BB304_174 Depth=1
	s_or_b64 exec, exec, s[16:17]
.LBB304_297:                            ;   in Loop: Header=BB304_174 Depth=1
	s_or_b64 exec, exec, s[14:15]
.LBB304_298:                            ;   in Loop: Header=BB304_174 Depth=1
	s_or_b64 exec, exec, s[12:13]
	v_mov_b32_e32 v9, v16
	v_cmp_ne_u16_sdwa s[0:1], v16, v10 src0_sel:BYTE_0 src1_sel:DWORD
	v_mov_b32_e32 v55, 0
	v_mov_b32_e32 v0, 0
	s_and_saveexec_b64 s[12:13], s[0:1]
	s_cbranch_execz .LBB304_304
; %bb.299:                              ;   in Loop: Header=BB304_174 Depth=1
	v_cmp_ne_u16_sdwa s[0:1], v16, s24 src0_sel:BYTE_0 src1_sel:DWORD
	v_bfrev_b32_e32 v0, 1
	s_and_saveexec_b64 s[14:15], s[0:1]
	s_cbranch_execz .LBB304_303
; %bb.300:                              ;   in Loop: Header=BB304_174 Depth=1
	v_and_b32_e32 v17, 0x7f, v16
	v_cmp_ne_u32_e64 s[0:1], s25, v17
	v_mov_b32_e32 v0, 0x7f800001
	s_and_saveexec_b64 s[16:17], s[0:1]
	s_cbranch_execz .LBB304_302
; %bb.301:                              ;   in Loop: Header=BB304_174 Depth=1
	v_and_b32_e32 v0, 7, v16
	v_ffbh_u32_e32 v0, v0
	v_min_u32_e32 v0, 32, v0
	v_subrev_u32_e32 v57, 28, v0
	v_cmp_gt_u32_e64 s[0:1], 8, v17
	v_lshrrev_b32_e32 v56, 3, v17
	v_sub_u32_e32 v0, 29, v0
	v_cndmask_b32_e64 v17, 0, v57, s[0:1]
	v_cndmask_b32_e64 v0, v56, v0, s[0:1]
	v_lshlrev_b64 v[56:57], v17, v[9:10]
	v_lshl_add_u32 v0, v0, 23, v29
	v_lshlrev_b32_e32 v17, 20, v56
	v_lshlrev_b32_e32 v56, 24, v9
	v_and_b32_e32 v17, 0x700000, v17
	v_and_b32_e32 v56, 0x80000000, v56
	v_or3_b32 v0, v56, v0, v17
.LBB304_302:                            ;   in Loop: Header=BB304_174 Depth=1
	s_or_b64 exec, exec, s[16:17]
.LBB304_303:                            ;   in Loop: Header=BB304_174 Depth=1
	s_or_b64 exec, exec, s[14:15]
.LBB304_304:                            ;   in Loop: Header=BB304_174 Depth=1
	s_or_b64 exec, exec, s[12:13]
	v_lshrrev_b16_e32 v17, 8, v9
	v_cmp_ne_u16_e64 s[0:1], 0, v17
	s_and_saveexec_b64 s[12:13], s[0:1]
	s_cbranch_execz .LBB304_310
; %bb.305:                              ;   in Loop: Header=BB304_174 Depth=1
	v_cmp_ne_u16_e64 s[0:1], s24, v17
	v_bfrev_b32_e32 v55, 1
	s_and_saveexec_b64 s[14:15], s[0:1]
	s_cbranch_execz .LBB304_309
; %bb.306:                              ;   in Loop: Header=BB304_174 Depth=1
	v_and_b32_e32 v56, 0x7f, v17
	v_cmp_ne_u32_e64 s[0:1], s25, v56
	v_mov_b32_e32 v55, 0x7f800001
	s_and_saveexec_b64 s[16:17], s[0:1]
	s_cbranch_execz .LBB304_308
; %bb.307:                              ;   in Loop: Header=BB304_174 Depth=1
	v_and_b32_e32 v55, 7, v17
	v_ffbh_u32_e32 v57, v55
	v_min_u32_e32 v60, 32, v57
	v_subrev_u32_e32 v57, 28, v60
	v_lshlrev_b64 v[57:58], v57, v[17:18]
	v_lshrrev_b32_e32 v59, 3, v56
	v_sub_u32_e32 v17, 29, v60
	v_and_b32_e32 v57, 7, v57
	v_cmp_gt_u32_e64 s[0:1], 8, v56
	v_cndmask_b32_e64 v17, v59, v17, s[0:1]
	v_cndmask_b32_e64 v55, v55, v57, s[0:1]
	v_lshlrev_b32_e32 v9, 16, v9
	v_lshlrev_b32_e32 v55, 20, v55
	v_and_b32_e32 v9, 0x80000000, v9
	v_lshl_add_u32 v17, v17, 23, v29
	v_or3_b32 v55, v9, v17, v55
.LBB304_308:                            ;   in Loop: Header=BB304_174 Depth=1
	s_or_b64 exec, exec, s[16:17]
.LBB304_309:                            ;   in Loop: Header=BB304_174 Depth=1
	s_or_b64 exec, exec, s[14:15]
.LBB304_310:                            ;   in Loop: Header=BB304_174 Depth=1
	s_or_b64 exec, exec, s[12:13]
	v_lshrrev_b32_e32 v9, 16, v16
	v_cmp_ne_u16_sdwa s[0:1], v9, v10 src0_sel:BYTE_0 src1_sel:DWORD
	v_mov_b32_e32 v17, 0
	v_mov_b32_e32 v56, 0
	s_and_saveexec_b64 s[12:13], s[0:1]
	s_cbranch_execz .LBB304_316
; %bb.311:                              ;   in Loop: Header=BB304_174 Depth=1
	v_cmp_ne_u16_sdwa s[0:1], v9, s24 src0_sel:BYTE_0 src1_sel:DWORD
	v_bfrev_b32_e32 v56, 1
	s_and_saveexec_b64 s[14:15], s[0:1]
	s_cbranch_execz .LBB304_315
; %bb.312:                              ;   in Loop: Header=BB304_174 Depth=1
	v_bfe_u32 v57, v16, 16, 7
	v_cmp_ne_u32_e64 s[0:1], s25, v57
	v_mov_b32_e32 v56, 0x7f800001
	s_and_saveexec_b64 s[16:17], s[0:1]
	s_cbranch_execz .LBB304_314
; %bb.313:                              ;   in Loop: Header=BB304_174 Depth=1
	v_and_b32_e32 v56, 7, v9
	v_ffbh_u32_e32 v58, v56
	v_min_u32_e32 v61, 32, v58
	v_subrev_u32_e32 v58, 28, v61
	v_lshlrev_b64 v[58:59], v58, v[9:10]
	v_lshrrev_b32_e32 v60, 3, v57
	v_sub_u32_e32 v59, 29, v61
	v_and_b32_e32 v58, 7, v58
	v_cmp_gt_u32_e64 s[0:1], 8, v57
	v_cndmask_b32_e64 v57, v60, v59, s[0:1]
	v_cndmask_b32_e64 v56, v56, v58, s[0:1]
	v_lshlrev_b32_e32 v9, 24, v9
	v_lshlrev_b32_e32 v56, 20, v56
	v_and_b32_e32 v9, 0x80000000, v9
	v_lshl_add_u32 v57, v57, 23, v29
	v_or3_b32 v56, v9, v57, v56
.LBB304_314:                            ;   in Loop: Header=BB304_174 Depth=1
	s_or_b64 exec, exec, s[16:17]
.LBB304_315:                            ;   in Loop: Header=BB304_174 Depth=1
	s_or_b64 exec, exec, s[14:15]
.LBB304_316:                            ;   in Loop: Header=BB304_174 Depth=1
	s_or_b64 exec, exec, s[12:13]
	v_cmp_lt_u64_e64 s[0:1], s[4:5], v[15:16]
	s_and_saveexec_b64 s[12:13], s[0:1]
	s_cbranch_execz .LBB304_322
; %bb.317:                              ;   in Loop: Header=BB304_174 Depth=1
	v_lshrrev_b32_e32 v9, 24, v16
	v_cmp_ne_u32_e64 s[0:1], s24, v9
	v_bfrev_b32_e32 v17, 1
	s_and_saveexec_b64 s[14:15], s[0:1]
	s_cbranch_execz .LBB304_321
; %bb.318:                              ;   in Loop: Header=BB304_174 Depth=1
	v_bfe_u32 v15, v16, 24, 7
	v_cmp_ne_u32_e64 s[0:1], s25, v15
	v_mov_b32_e32 v17, 0x7f800001
	s_and_saveexec_b64 s[16:17], s[0:1]
	s_cbranch_execz .LBB304_320
; %bb.319:                              ;   in Loop: Header=BB304_174 Depth=1
	v_and_b32_e32 v57, 7, v9
	v_ffbh_u32_e32 v16, v57
	v_min_u32_e32 v59, 32, v16
	v_subrev_u32_e32 v16, 28, v59
	v_lshlrev_b64 v[16:17], v16, v[9:10]
	v_lshrrev_b32_e32 v58, 3, v15
	v_sub_u32_e32 v17, 29, v59
	v_and_b32_e32 v16, 7, v16
	v_cmp_gt_u32_e64 s[0:1], 8, v15
	v_cndmask_b32_e64 v15, v58, v17, s[0:1]
	v_cndmask_b32_e64 v16, v57, v16, s[0:1]
	v_lshlrev_b32_e32 v9, 24, v9
	v_lshlrev_b32_e32 v16, 20, v16
	v_and_b32_e32 v9, 0x80000000, v9
	v_lshl_add_u32 v15, v15, 23, v29
	v_or3_b32 v17, v9, v15, v16
.LBB304_320:                            ;   in Loop: Header=BB304_174 Depth=1
	s_or_b64 exec, exec, s[16:17]
.LBB304_321:                            ;   in Loop: Header=BB304_174 Depth=1
	s_or_b64 exec, exec, s[14:15]
.LBB304_322:                            ;   in Loop: Header=BB304_174 Depth=1
	s_or_b64 exec, exec, s[12:13]
	v_mul_f32_e32 v9, s18, v55
	v_bfe_u32 v15, v9, 16, 1
	v_add3_u32 v15, v15, v9, s26
	v_or_b32_e32 v16, 0x400000, v9
	v_cmp_u_f32_e64 s[0:1], v9, v9
	v_mul_f32_e32 v0, s18, v0
	v_cndmask_b32_e64 v9, v15, v16, s[0:1]
	v_bfe_u32 v15, v0, 16, 1
	v_add3_u32 v15, v15, v0, s26
	v_or_b32_e32 v16, 0x400000, v0
	v_cmp_u_f32_e64 s[0:1], v0, v0
	v_cndmask_b32_e64 v0, v15, v16, s[0:1]
	v_lshrrev_b32_e32 v15, 16, v0
	v_mul_f32_e32 v0, s18, v54
	v_bfe_u32 v16, v0, 16, 1
	v_add3_u32 v16, v16, v0, s26
	v_or_b32_e32 v54, 0x400000, v0
	v_cmp_u_f32_e64 s[0:1], v0, v0
	v_cndmask_b32_e64 v0, v16, v54, s[0:1]
	v_lshrrev_b32_e32 v16, 16, v0
	v_mul_f32_e32 v0, s18, v53
	;; [unrolled: 7-line block ×5, first 2 shown]
	v_bfe_u32 v54, v0, 16, 1
	v_add3_u32 v54, v54, v0, s26
	v_or_b32_e32 v55, 0x400000, v0
	v_cmp_u_f32_e64 s[0:1], v0, v0
	v_mul_f32_e32 v17, s18, v17
	v_cndmask_b32_e64 v0, v54, v55, s[0:1]
	v_bfe_u32 v54, v17, 16, 1
	v_add3_u32 v54, v54, v17, s26
	v_or_b32_e32 v55, 0x400000, v17
	v_cmp_u_f32_e64 s[0:1], v17, v17
	v_cndmask_b32_e64 v17, v54, v55, s[0:1]
	v_lshrrev_b32_e32 v9, 16, v9
	v_lshrrev_b32_e32 v0, 16, v0
	;; [unrolled: 1-line block ×3, first 2 shown]
	s_and_saveexec_b64 s[0:1], vcc
	s_cbranch_execz .LBB304_173
; %bb.323:                              ;   in Loop: Header=BB304_174 Depth=1
	v_cmp_gt_i32_e32 vcc, s30, v38
	v_cndmask_b32_e32 v51, 0, v51, vcc
	v_cmp_gt_i32_e32 vcc, s30, v44
	v_cndmask_b32_e32 v52, 0, v52, vcc
	;; [unrolled: 2-line block ×8, first 2 shown]
	s_branch .LBB304_173
.LBB304_324:
	s_or_b64 exec, exec, s[6:7]
	v_mov_b32_e32 v11, v62
.LBB304_325:
	s_or_b64 exec, exec, s[2:3]
	ds_bpermute_b32 v0, v22, v24
	ds_bpermute_b32 v1, v22, v27
	ds_bpermute_b32 v3, v22, v25
	v_and_b32_e32 v4, 0x3c1, v11
	v_cmp_eq_u32_e32 vcc, 64, v4
	s_waitcnt lgkmcnt(2)
	v_add_f32_e32 v2, v24, v0
	s_waitcnt lgkmcnt(1)
	v_add_f32_e32 v1, v27, v1
	;; [unrolled: 2-line block ×3, first 2 shown]
	s_barrier
	s_and_saveexec_b64 s[0:1], vcc
	s_cbranch_execz .LBB304_327
; %bb.326:
	v_mov_b32_e32 v3, 0xd0
	v_lshl_add_u32 v3, v21, 1, v3
	ds_write2_b32 v3, v2, v1 offset1:32
	ds_write_b32 v3, v0 offset:256
.LBB304_327:
	s_or_b64 exec, exec, s[0:1]
	v_cmp_gt_u32_e32 vcc, 64, v11
	v_lshrrev_b32_e32 v3, 1, v11
	s_waitcnt lgkmcnt(0)
	s_barrier
	s_and_saveexec_b64 s[0:1], vcc
	s_cbranch_execz .LBB304_333
; %bb.328:
	v_mov_b32_e32 v5, 0xd0
	v_cmp_eq_u32_e32 vcc, 0, v23
	v_lshl_add_u32 v5, v3, 2, v5
	s_and_saveexec_b64 s[2:3], vcc
	s_cbranch_execnz .LBB304_336
; %bb.329:
	s_or_b64 exec, exec, s[2:3]
	s_and_saveexec_b64 s[2:3], vcc
	s_cbranch_execnz .LBB304_337
.LBB304_330:
	s_or_b64 exec, exec, s[2:3]
	s_and_saveexec_b64 s[2:3], vcc
	s_cbranch_execz .LBB304_332
.LBB304_331:
	ds_read_b32 v5, v5 offset:256
	s_waitcnt lgkmcnt(0)
	v_add_f32_e32 v0, v0, v5
.LBB304_332:
	s_or_b64 exec, exec, s[2:3]
.LBB304_333:
	s_or_b64 exec, exec, s[0:1]
	v_cmp_eq_u32_e32 vcc, 0, v4
	s_barrier
	s_and_saveexec_b64 s[0:1], vcc
	s_cbranch_execz .LBB304_335
; %bb.334:
	s_mul_i32 s0, s10, s11
	s_mul_i32 s0, s0, s9
	s_mulk_i32 s0, 0x60
	s_ashr_i32 s1, s0, 31
	s_lshl_b64 s[0:1], s[0:1], 1
	s_add_u32 s2, s22, s0
	s_mul_i32 s0, s11, s20
	s_addc_u32 s3, s23, s1
	s_ashr_i32 s1, s0, 31
	s_lshl_b64 s[0:1], s[0:1], 1
	s_add_u32 s2, s2, s0
	s_mul_i32 s0, s8, 0x60
	s_addc_u32 s3, s3, s1
	s_ashr_i32 s1, s0, 31
	s_lshl_b64 s[0:1], s[0:1], 1
	s_add_u32 s0, s2, s0
	v_bfe_u32 v4, v2, 16, 1
	s_movk_i32 s2, 0x7fff
	v_add3_u32 v4, v4, v2, s2
	v_or_b32_e32 v5, 0x400000, v2
	v_cmp_u_f32_e32 vcc, v2, v2
	s_addc_u32 s1, s3, s1
	v_lshlrev_b32_e32 v3, 1, v3
	v_cndmask_b32_e32 v2, v4, v5, vcc
	global_store_short_d16_hi v3, v2, s[0:1]
	v_bfe_u32 v2, v1, 16, 1
	v_add3_u32 v2, v2, v1, s2
	v_or_b32_e32 v4, 0x400000, v1
	v_cmp_u_f32_e32 vcc, v1, v1
	v_cndmask_b32_e32 v1, v2, v4, vcc
	global_store_short_d16_hi v3, v1, s[0:1] offset:64
	v_bfe_u32 v1, v0, 16, 1
	v_add3_u32 v1, v1, v0, s2
	v_or_b32_e32 v2, 0x400000, v0
	v_cmp_u_f32_e32 vcc, v0, v0
	v_cndmask_b32_e32 v0, v1, v2, vcc
	global_store_short_d16_hi v3, v0, s[0:1] offset:128
.LBB304_335:
	s_endpgm
.LBB304_336:
	ds_read_b32 v6, v5
	s_waitcnt lgkmcnt(0)
	v_add_f32_e32 v2, v2, v6
	s_or_b64 exec, exec, s[2:3]
	s_and_saveexec_b64 s[2:3], vcc
	s_cbranch_execz .LBB304_330
.LBB304_337:
	ds_read_b32 v6, v5 offset:128
	s_waitcnt lgkmcnt(0)
	v_add_f32_e32 v1, v1, v6
	s_or_b64 exec, exec, s[2:3]
	s_and_saveexec_b64 s[2:3], vcc
	s_cbranch_execnz .LBB304_331
	s_branch .LBB304_332
	.section	.rodata,"a",@progbits
	.p2align	6, 0x0
	.amdhsa_kernel _ZN4vllm25paged_attention_v1_kernelI14__hip_bfloat16hLi96ELi16ELi128ELNS_18Fp8KVCacheDataTypeE1ELb0EEEvPT_PKS3_PKT0_S9_ifPKiSB_iPKfiiiSD_SD_iiiii
		.amdhsa_group_segment_fixed_size 208
		.amdhsa_private_segment_fixed_size 36
		.amdhsa_kernarg_size 384
		.amdhsa_user_sgpr_count 6
		.amdhsa_user_sgpr_private_segment_buffer 1
		.amdhsa_user_sgpr_dispatch_ptr 0
		.amdhsa_user_sgpr_queue_ptr 0
		.amdhsa_user_sgpr_kernarg_segment_ptr 1
		.amdhsa_user_sgpr_dispatch_id 0
		.amdhsa_user_sgpr_flat_scratch_init 0
		.amdhsa_user_sgpr_private_segment_size 0
		.amdhsa_uses_dynamic_stack 0
		.amdhsa_system_sgpr_private_segment_wavefront_offset 1
		.amdhsa_system_sgpr_workgroup_id_x 1
		.amdhsa_system_sgpr_workgroup_id_y 1
		.amdhsa_system_sgpr_workgroup_id_z 1
		.amdhsa_system_sgpr_workgroup_info 0
		.amdhsa_system_vgpr_workitem_id 0
		.amdhsa_next_free_vgpr 64
		.amdhsa_next_free_sgpr 48
		.amdhsa_reserve_vcc 1
		.amdhsa_reserve_flat_scratch 0
		.amdhsa_float_round_mode_32 0
		.amdhsa_float_round_mode_16_64 0
		.amdhsa_float_denorm_mode_32 3
		.amdhsa_float_denorm_mode_16_64 3
		.amdhsa_dx10_clamp 1
		.amdhsa_ieee_mode 1
		.amdhsa_fp16_overflow 0
		.amdhsa_exception_fp_ieee_invalid_op 0
		.amdhsa_exception_fp_denorm_src 0
		.amdhsa_exception_fp_ieee_div_zero 0
		.amdhsa_exception_fp_ieee_overflow 0
		.amdhsa_exception_fp_ieee_underflow 0
		.amdhsa_exception_fp_ieee_inexact 0
		.amdhsa_exception_int_div_zero 0
	.end_amdhsa_kernel
	.section	.text._ZN4vllm25paged_attention_v1_kernelI14__hip_bfloat16hLi96ELi16ELi128ELNS_18Fp8KVCacheDataTypeE1ELb0EEEvPT_PKS3_PKT0_S9_ifPKiSB_iPKfiiiSD_SD_iiiii,"axG",@progbits,_ZN4vllm25paged_attention_v1_kernelI14__hip_bfloat16hLi96ELi16ELi128ELNS_18Fp8KVCacheDataTypeE1ELb0EEEvPT_PKS3_PKT0_S9_ifPKiSB_iPKfiiiSD_SD_iiiii,comdat
.Lfunc_end304:
	.size	_ZN4vllm25paged_attention_v1_kernelI14__hip_bfloat16hLi96ELi16ELi128ELNS_18Fp8KVCacheDataTypeE1ELb0EEEvPT_PKS3_PKT0_S9_ifPKiSB_iPKfiiiSD_SD_iiiii, .Lfunc_end304-_ZN4vllm25paged_attention_v1_kernelI14__hip_bfloat16hLi96ELi16ELi128ELNS_18Fp8KVCacheDataTypeE1ELb0EEEvPT_PKS3_PKT0_S9_ifPKiSB_iPKfiiiSD_SD_iiiii
                                        ; -- End function
	.set _ZN4vllm25paged_attention_v1_kernelI14__hip_bfloat16hLi96ELi16ELi128ELNS_18Fp8KVCacheDataTypeE1ELb0EEEvPT_PKS3_PKT0_S9_ifPKiSB_iPKfiiiSD_SD_iiiii.num_vgpr, 64
	.set _ZN4vllm25paged_attention_v1_kernelI14__hip_bfloat16hLi96ELi16ELi128ELNS_18Fp8KVCacheDataTypeE1ELb0EEEvPT_PKS3_PKT0_S9_ifPKiSB_iPKfiiiSD_SD_iiiii.num_agpr, 0
	.set _ZN4vllm25paged_attention_v1_kernelI14__hip_bfloat16hLi96ELi16ELi128ELNS_18Fp8KVCacheDataTypeE1ELb0EEEvPT_PKS3_PKT0_S9_ifPKiSB_iPKfiiiSD_SD_iiiii.numbered_sgpr, 48
	.set _ZN4vllm25paged_attention_v1_kernelI14__hip_bfloat16hLi96ELi16ELi128ELNS_18Fp8KVCacheDataTypeE1ELb0EEEvPT_PKS3_PKT0_S9_ifPKiSB_iPKfiiiSD_SD_iiiii.num_named_barrier, 0
	.set _ZN4vllm25paged_attention_v1_kernelI14__hip_bfloat16hLi96ELi16ELi128ELNS_18Fp8KVCacheDataTypeE1ELb0EEEvPT_PKS3_PKT0_S9_ifPKiSB_iPKfiiiSD_SD_iiiii.private_seg_size, 36
	.set _ZN4vllm25paged_attention_v1_kernelI14__hip_bfloat16hLi96ELi16ELi128ELNS_18Fp8KVCacheDataTypeE1ELb0EEEvPT_PKS3_PKT0_S9_ifPKiSB_iPKfiiiSD_SD_iiiii.uses_vcc, 1
	.set _ZN4vllm25paged_attention_v1_kernelI14__hip_bfloat16hLi96ELi16ELi128ELNS_18Fp8KVCacheDataTypeE1ELb0EEEvPT_PKS3_PKT0_S9_ifPKiSB_iPKfiiiSD_SD_iiiii.uses_flat_scratch, 0
	.set _ZN4vllm25paged_attention_v1_kernelI14__hip_bfloat16hLi96ELi16ELi128ELNS_18Fp8KVCacheDataTypeE1ELb0EEEvPT_PKS3_PKT0_S9_ifPKiSB_iPKfiiiSD_SD_iiiii.has_dyn_sized_stack, 0
	.set _ZN4vllm25paged_attention_v1_kernelI14__hip_bfloat16hLi96ELi16ELi128ELNS_18Fp8KVCacheDataTypeE1ELb0EEEvPT_PKS3_PKT0_S9_ifPKiSB_iPKfiiiSD_SD_iiiii.has_recursion, 0
	.set _ZN4vllm25paged_attention_v1_kernelI14__hip_bfloat16hLi96ELi16ELi128ELNS_18Fp8KVCacheDataTypeE1ELb0EEEvPT_PKS3_PKT0_S9_ifPKiSB_iPKfiiiSD_SD_iiiii.has_indirect_call, 0
	.section	.AMDGPU.csdata,"",@progbits
; Kernel info:
; codeLenInByte = 16188
; TotalNumSgprs: 52
; NumVgprs: 64
; ScratchSize: 36
; MemoryBound: 0
; FloatMode: 240
; IeeeMode: 1
; LDSByteSize: 208 bytes/workgroup (compile time only)
; SGPRBlocks: 6
; VGPRBlocks: 15
; NumSGPRsForWavesPerEU: 52
; NumVGPRsForWavesPerEU: 64
; Occupancy: 4
; WaveLimiterHint : 1
; COMPUTE_PGM_RSRC2:SCRATCH_EN: 1
; COMPUTE_PGM_RSRC2:USER_SGPR: 6
; COMPUTE_PGM_RSRC2:TRAP_HANDLER: 0
; COMPUTE_PGM_RSRC2:TGID_X_EN: 1
; COMPUTE_PGM_RSRC2:TGID_Y_EN: 1
; COMPUTE_PGM_RSRC2:TGID_Z_EN: 1
; COMPUTE_PGM_RSRC2:TIDIG_COMP_CNT: 0
	.section	.text._ZN4vllm25paged_attention_v1_kernelI14__hip_bfloat16hLi112ELi16ELi128ELNS_18Fp8KVCacheDataTypeE1ELb0EEEvPT_PKS3_PKT0_S9_ifPKiSB_iPKfiiiSD_SD_iiiii,"axG",@progbits,_ZN4vllm25paged_attention_v1_kernelI14__hip_bfloat16hLi112ELi16ELi128ELNS_18Fp8KVCacheDataTypeE1ELb0EEEvPT_PKS3_PKT0_S9_ifPKiSB_iPKfiiiSD_SD_iiiii,comdat
	.protected	_ZN4vllm25paged_attention_v1_kernelI14__hip_bfloat16hLi112ELi16ELi128ELNS_18Fp8KVCacheDataTypeE1ELb0EEEvPT_PKS3_PKT0_S9_ifPKiSB_iPKfiiiSD_SD_iiiii ; -- Begin function _ZN4vllm25paged_attention_v1_kernelI14__hip_bfloat16hLi112ELi16ELi128ELNS_18Fp8KVCacheDataTypeE1ELb0EEEvPT_PKS3_PKT0_S9_ifPKiSB_iPKfiiiSD_SD_iiiii
	.globl	_ZN4vllm25paged_attention_v1_kernelI14__hip_bfloat16hLi112ELi16ELi128ELNS_18Fp8KVCacheDataTypeE1ELb0EEEvPT_PKS3_PKT0_S9_ifPKiSB_iPKfiiiSD_SD_iiiii
	.p2align	8
	.type	_ZN4vllm25paged_attention_v1_kernelI14__hip_bfloat16hLi112ELi16ELi128ELNS_18Fp8KVCacheDataTypeE1ELb0EEEvPT_PKS3_PKT0_S9_ifPKiSB_iPKfiiiSD_SD_iiiii,@function
_ZN4vllm25paged_attention_v1_kernelI14__hip_bfloat16hLi112ELi16ELi128ELNS_18Fp8KVCacheDataTypeE1ELb0EEEvPT_PKS3_PKT0_S9_ifPKiSB_iPKfiiiSD_SD_iiiii: ; @_ZN4vllm25paged_attention_v1_kernelI14__hip_bfloat16hLi112ELi16ELi128ELNS_18Fp8KVCacheDataTypeE1ELb0EEEvPT_PKS3_PKT0_S9_ifPKiSB_iPKfiiiSD_SD_iiiii
; %bb.0:
	s_mov_b64 s[46:47], s[2:3]
	s_mov_b64 s[44:45], s[0:1]
	s_add_u32 s44, s44, s9
	s_load_dword s9, s[4:5], 0x80
	s_load_dwordx2 s[0:1], s[4:5], 0x30
	s_load_dwordx2 s[30:31], s[4:5], 0x20
	s_addc_u32 s45, s45, 0
	s_mov_b32 s10, s7
	s_ashr_i32 s11, s7, 31
	s_lshl_b64 s[2:3], s[10:11], 2
	s_waitcnt lgkmcnt(0)
	s_add_u32 s0, s0, s2
	s_addc_u32 s1, s1, s3
	s_abs_i32 s2, s30
	v_mov_b32_e32 v12, v0
	v_cvt_f32_u32_e32 v0, s2
	s_sub_i32 s11, 0, s2
	s_abs_i32 s7, s9
	s_xor_b32 s3, s9, s30
	v_rcp_iflag_f32_e32 v0, v0
	s_ashr_i32 s3, s3, 31
	s_mov_b32 s33, 0
	v_mul_f32_e32 v0, 0x4f7ffffe, v0
	v_cvt_u32_f32_e32 v0, v0
	v_readfirstlane_b32 s12, v0
	s_mul_i32 s11, s11, s12
	s_mul_hi_u32 s11, s12, s11
	s_add_i32 s12, s12, s11
	s_mul_hi_u32 s11, s7, s12
	s_mul_i32 s12, s11, s2
	s_sub_i32 s7, s7, s12
	s_add_i32 s12, s11, 1
	s_sub_i32 s13, s7, s2
	s_cmp_ge_u32 s7, s2
	s_cselect_b32 s11, s12, s11
	s_cselect_b32 s7, s13, s7
	s_add_i32 s12, s11, 1
	s_cmp_ge_u32 s7, s2
	s_cselect_b32 s2, s12, s11
	s_xor_b32 s2, s2, s3
	s_sub_i32 s18, s2, s3
	s_abs_i32 s11, s18
	v_cvt_f32_u32_e32 v0, s11
	s_load_dwordx2 s[2:3], s[4:5], 0x40
	s_sub_i32 s7, 0, s11
	s_abs_i32 s16, s6
	v_rcp_iflag_f32_e32 v0, v0
	v_mul_f32_e32 v0, 0x4f7ffffe, v0
	v_cvt_u32_f32_e32 v0, v0
	v_readfirstlane_b32 s12, v0
	s_mul_i32 s7, s7, s12
	s_mul_hi_u32 s7, s12, s7
	s_add_i32 s12, s12, s7
	s_waitcnt lgkmcnt(0)
	s_cmp_eq_u64 s[2:3], 0
	s_mul_hi_u32 s17, s16, s12
	s_cbranch_scc1 .LBB305_2
; %bb.1:
	s_ashr_i32 s7, s6, 31
	s_lshl_b64 s[12:13], s[6:7], 2
	s_add_u32 s2, s2, s12
	s_addc_u32 s3, s3, s13
	s_load_dword s33, s[2:3], 0x0
.LBB305_2:
	s_load_dword s30, s[0:1], 0x0
	s_load_dwordx4 s[12:15], s[4:5], 0x48
	s_ashr_i32 s2, s6, 31
	s_ashr_i32 s3, s18, 31
	v_and_b32_e32 v0, 3, v12
	s_mul_i32 s20, s6, 0x70
	v_cmp_gt_u32_e32 vcc, 56, v12
	s_and_saveexec_b64 s[0:1], vcc
	s_cbranch_execz .LBB305_4
; %bb.3:
	s_load_dwordx2 s[6:7], s[4:5], 0x8
	s_waitcnt lgkmcnt(0)
	s_mul_i32 s18, s12, s10
	s_ashr_i32 s19, s18, 31
	s_lshl_b64 s[18:19], s[18:19], 1
	v_lshlrev_b32_e32 v1, 2, v12
	s_add_u32 s12, s6, s18
	s_addc_u32 s15, s7, s19
	s_ashr_i32 s21, s20, 31
	s_lshl_b64 s[6:7], s[20:21], 1
	s_add_u32 s6, s12, s6
	s_addc_u32 s7, s15, s7
	global_load_dword v1, v1, s[6:7]
	v_and_b32_e32 v2, 0x3fc, v12
	v_mad_u32_u24 v2, v0, 56, v2
	s_waitcnt vmcnt(0)
	ds_write_b32 v2, v1
.LBB305_4:
	s_or_b64 exec, exec, s[0:1]
	s_waitcnt lgkmcnt(0)
	s_add_i32 s1, s30, 15
	s_ashr_i32 s6, s1, 31
	s_lshr_b32 s6, s6, 28
	s_add_i32 s1, s1, s6
	s_ashr_i32 s21, s1, 4
	s_xor_b32 s1, s2, s3
	s_mul_i32 s2, s17, s11
	s_sub_i32 s2, s16, s2
	s_add_i32 s3, s17, 1
	s_sub_i32 s6, s2, s11
	s_load_dwordx2 s[24:25], s[4:5], 0x28
	s_load_dword s0, s[4:5], 0x38
	s_cmp_ge_u32 s2, s11
	s_cselect_b32 s3, s3, s17
	s_cselect_b32 s2, s6, s2
	s_add_i32 s6, s3, 1
	s_cmp_ge_u32 s2, s11
	s_cselect_b32 s2, s6, s3
	v_lshrrev_b32_e32 v22, 6, v12
	s_xor_b32 s2, s2, s1
	s_waitcnt lgkmcnt(0)
	s_mul_i32 s26, s0, s10
	s_sub_i32 s12, s2, s1
	s_ashr_i32 s27, s26, 31
	v_cmp_le_i32_e64 s[0:1], s21, v22
	v_mbcnt_lo_u32_b32 v5, -1, 0
	s_barrier
                                        ; implicit-def: $vgpr14
                                        ; implicit-def: $vgpr9
                                        ; implicit-def: $vgpr15
	s_and_saveexec_b64 s[2:3], s[0:1]
	s_xor_b64 s[2:3], exec, s[2:3]
; %bb.5:
	v_mbcnt_hi_u32_b32 v14, -1, v5
	v_and_b32_e32 v9, 64, v14
	v_add_u32_e32 v15, 64, v9
                                        ; implicit-def: $vgpr0
                                        ; implicit-def: $vgpr5
; %bb.6:
	s_or_saveexec_b64 s[6:7], s[2:3]
	s_load_dwordx2 s[22:23], s[4:5], 0x0
	s_load_dwordx2 s[28:29], s[4:5], 0x18
	s_load_dword s11, s[4:5], 0x88
	s_load_dwordx4 s[16:19], s[4:5], 0x58
	v_mov_b32_e32 v42, 0xff7fffff
	s_mul_i32 s12, s12, s14
	v_lshrrev_b32_e32 v13, 4, v12
	s_xor_b64 exec, exec, s[6:7]
	s_cbranch_execz .LBB305_180
; %bb.7:
	v_mul_u32_u24_e32 v10, 56, v0
	ds_read2_b64 v[1:4], v10 offset1:1
	ds_read2_b64 v[6:9], v10 offset0:2 offset1:3
	s_load_dwordx2 s[2:3], s[4:5], 0x10
	s_ashr_i32 s4, s12, 31
	v_mbcnt_hi_u32_b32 v5, -1, v5
	s_waitcnt lgkmcnt(0)
	v_lshlrev_b32_e32 v11, 16, v1
	v_and_b32_e32 v1, 0xffff0000, v1
	buffer_store_dword v1, off, s[44:47], 0 offset:4 ; 4-byte Folded Spill
	v_lshlrev_b32_e32 v1, 16, v2
	buffer_store_dword v1, off, s[44:47], 0 offset:8 ; 4-byte Folded Spill
	v_and_b32_e32 v1, 0xffff0000, v2
	buffer_store_dword v1, off, s[44:47], 0 offset:12 ; 4-byte Folded Spill
	v_lshlrev_b32_e32 v1, 16, v3
	buffer_store_dword v1, off, s[44:47], 0 offset:16 ; 4-byte Folded Spill
	v_and_b32_e32 v1, 0xffff0000, v3
	buffer_store_dword v1, off, s[44:47], 0 offset:20 ; 4-byte Folded Spill
	v_lshlrev_b32_e32 v1, 16, v4
	buffer_store_dword v1, off, s[44:47], 0 offset:24 ; 4-byte Folded Spill
	v_and_b32_e32 v1, 0xffff0000, v4
	buffer_store_dword v1, off, s[44:47], 0 offset:28 ; 4-byte Folded Spill
	v_lshlrev_b32_e32 v1, 16, v6
	buffer_store_dword v1, off, s[44:47], 0 offset:32 ; 4-byte Folded Spill
	v_and_b32_e32 v1, 0xffff0000, v6
	buffer_store_dword v1, off, s[44:47], 0 offset:36 ; 4-byte Folded Spill
	v_lshlrev_b32_e32 v1, 16, v7
	buffer_store_dword v1, off, s[44:47], 0 offset:40 ; 4-byte Folded Spill
	v_and_b32_e32 v1, 0xffff0000, v7
	buffer_store_dword v11, off, s[44:47], 0 ; 4-byte Folded Spill
	buffer_store_dword v1, off, s[44:47], 0 offset:44 ; 4-byte Folded Spill
	ds_read_b64 v[6:7], v10 offset:48
	ds_read2_b64 v[1:4], v10 offset0:4 offset1:5
	s_add_u32 s2, s2, s12
	s_addc_u32 s3, s3, s4
	s_sub_i32 s38, 1, s30
	s_waitcnt lgkmcnt(1)
	v_lshlrev_b32_e32 v38, 16, v6
	v_and_b32_e32 v39, 0xffff0000, v6
	v_bfe_u32 v6, v12, 2, 4
	s_waitcnt lgkmcnt(0)
	v_lshlrev_b32_e32 v30, 16, v1
	v_and_b32_e32 v31, 0xffff0000, v1
	v_lshlrev_b32_e32 v1, 4, v6
	v_lshlrev_b32_e32 v32, 16, v2
	v_and_b32_e32 v33, 0xffff0000, v2
	v_mov_b32_e32 v2, s3
	v_add_co_u32_e32 v1, vcc, s2, v1
	v_addc_co_u32_e32 v2, vcc, 0, v2, vcc
	v_cmp_eq_u32_e32 vcc, 0, v0
	v_lshlrev_b32_e32 v0, 1, v0
	v_add_co_u32_e64 v1, s[2:3], v1, v0
	v_addc_co_u32_e64 v2, s[2:3], 0, v2, s[2:3]
	s_lshl_b64 s[2:3], s[26:27], 2
	s_add_u32 s2, s24, s2
	s_addc_u32 s3, s25, s3
	v_and_b32_e32 v0, 60, v13
	v_lshlrev_b32_e32 v34, 16, v3
	v_and_b32_e32 v35, 0xffff0000, v3
	v_lshlrev_b32_e32 v36, 16, v4
	v_and_b32_e32 v37, 0xffff0000, v4
	v_mov_b32_e32 v4, s3
	v_add_co_u32_e64 v3, s[2:3], s2, v0
	v_and_b32_e32 v0, 64, v5
	v_lshlrev_b32_e32 v40, 16, v7
	v_and_b32_e32 v41, 0xffff0000, v7
	v_addc_co_u32_e64 v4, s[2:3], 0, v4, s[2:3]
	buffer_store_dword v0, off, s[44:47], 0 offset:60 ; 4-byte Folded Spill
	v_add_u32_e32 v7, 64, v0
	v_xor_b32_e32 v0, 2, v5
	v_cmp_lt_i32_e64 s[2:3], v0, v7
	v_cndmask_b32_e64 v0, v5, v0, s[2:3]
	v_lshlrev_b32_e32 v43, 2, v0
	v_xor_b32_e32 v0, 1, v5
	v_cmp_lt_i32_e64 s[2:3], v0, v7
	s_load_dword s40, s[16:17], 0x0
	v_cndmask_b32_e64 v0, v5, v0, s[2:3]
	v_lshlrev_b32_e32 v44, 2, v0
	v_lshlrev_b32_e32 v0, 2, v6
	v_lshl_or_b32 v0, v22, 6, v0
	v_lshlrev_b32_e32 v26, 16, v8
	v_and_b32_e32 v27, 0xffff0000, v8
	v_lshlrev_b32_e32 v28, 16, v9
	v_and_b32_e32 v29, 0xffff0000, v9
	s_mov_b32 s39, s13
	v_cmp_neq_f32_e64 s[2:3], s33, 0
	v_lshl_or_b32 v45, v22, 4, v6
	v_add_u32_e32 v46, 0xf0, v0
	s_mov_b64 s[14:15], 0
	s_movk_i32 s41, 0x80
	s_movk_i32 s42, 0x7f
	s_movk_i32 s43, 0x7fff
	v_mov_b32_e32 v47, 0
	v_mov_b32_e32 v42, 0xff7fffff
	v_bfrev_b32_e32 v48, 60
	v_mov_b32_e32 v49, v22
	buffer_store_dword v12, off, s[44:47], 0 offset:48 ; 4-byte Folded Spill
	buffer_store_dword v13, off, s[44:47], 0 offset:52 ; 4-byte Folded Spill
	;; [unrolled: 1-line block ×3, first 2 shown]
	s_branch .LBB305_9
.LBB305_8:                              ;   in Loop: Header=BB305_9 Depth=1
	s_or_b64 exec, exec, s[16:17]
	v_add_u32_e32 v49, 2, v49
	v_cmp_le_i32_e64 s[4:5], s21, v49
	s_or_b64 s[14:15], s[4:5], s[14:15]
	v_add_co_u32_e64 v3, s[4:5], 8, v3
	v_add_u32_e32 v45, 32, v45
	v_add_u32_e32 v46, 0x80, v46
	v_addc_co_u32_e64 v4, s[4:5], 0, v4, s[4:5]
	s_andn2_b64 exec, exec, s[14:15]
	s_cbranch_execz .LBB305_179
.LBB305_9:                              ; =>This Inner Loop Header: Depth=1
	global_load_dword v0, v[3:4], off
	v_mov_b32_e32 v50, 0
	s_waitcnt vmcnt(0) lgkmcnt(0)
	v_mad_i64_i32 v[5:6], s[4:5], v0, s39, v[1:2]
	global_load_ushort v0, v[5:6], off
	s_waitcnt vmcnt(0)
	v_and_b32_e32 v7, 0xffff, v0
	v_cmp_ne_u16_sdwa s[4:5], v0, v47 src0_sel:BYTE_0 src1_sel:DWORD
	s_and_saveexec_b64 s[16:17], s[4:5]
	s_cbranch_execz .LBB305_15
; %bb.10:                               ;   in Loop: Header=BB305_9 Depth=1
	v_cmp_ne_u16_sdwa s[4:5], v7, s41 src0_sel:BYTE_0 src1_sel:DWORD
	v_bfrev_b32_e32 v50, 1
	s_and_saveexec_b64 s[34:35], s[4:5]
	s_cbranch_execz .LBB305_14
; %bb.11:                               ;   in Loop: Header=BB305_9 Depth=1
	v_and_b32_e32 v0, 0x7f, v7
	v_cmp_ne_u32_e64 s[4:5], s42, v0
	v_mov_b32_e32 v50, 0x7f800001
	s_and_saveexec_b64 s[36:37], s[4:5]
	s_cbranch_execz .LBB305_13
; %bb.12:                               ;   in Loop: Header=BB305_9 Depth=1
	v_and_b32_e32 v10, 7, v7
	v_ffbh_u32_e32 v8, v10
	v_min_u32_e32 v12, 32, v8
	v_subrev_u32_e32 v8, 28, v12
	v_lshlrev_b64 v[8:9], v8, v[7:8]
	v_lshrrev_b32_e32 v11, 3, v0
	v_sub_u32_e32 v9, 29, v12
	v_and_b32_e32 v8, 7, v8
	v_cmp_gt_u32_e64 s[4:5], 8, v0
	v_cndmask_b32_e64 v0, v11, v9, s[4:5]
	v_cndmask_b32_e64 v8, v10, v8, s[4:5]
	v_lshlrev_b32_e32 v9, 24, v7
	v_lshlrev_b32_e32 v8, 20, v8
	v_and_b32_e32 v9, 0x80000000, v9
	v_lshl_add_u32 v0, v0, 23, v48
	v_or3_b32 v50, v9, v0, v8
.LBB305_13:                             ;   in Loop: Header=BB305_9 Depth=1
	s_or_b64 exec, exec, s[36:37]
.LBB305_14:                             ;   in Loop: Header=BB305_9 Depth=1
	s_or_b64 exec, exec, s[34:35]
.LBB305_15:                             ;   in Loop: Header=BB305_9 Depth=1
	s_or_b64 exec, exec, s[16:17]
	v_lshrrev_b16_e32 v8, 8, v7
	v_cmp_ne_u16_e64 s[4:5], 0, v8
	v_mov_b32_e32 v52, 0
	v_mov_b32_e32 v51, 0
	s_and_saveexec_b64 s[16:17], s[4:5]
	s_cbranch_execz .LBB305_21
; %bb.16:                               ;   in Loop: Header=BB305_9 Depth=1
	v_cmp_ne_u16_e64 s[4:5], s41, v8
	v_bfrev_b32_e32 v51, 1
	s_and_saveexec_b64 s[34:35], s[4:5]
	s_cbranch_execz .LBB305_20
; %bb.17:                               ;   in Loop: Header=BB305_9 Depth=1
	v_and_b32_e32 v0, 0x7f, v8
	v_cmp_ne_u32_e64 s[4:5], s42, v0
	v_mov_b32_e32 v51, 0x7f800001
	s_and_saveexec_b64 s[36:37], s[4:5]
	s_cbranch_execz .LBB305_19
; %bb.18:                               ;   in Loop: Header=BB305_9 Depth=1
	v_and_b32_e32 v10, 7, v8
	v_ffbh_u32_e32 v9, v10
	v_min_u32_e32 v12, 32, v9
	v_subrev_u32_e32 v9, 28, v12
	v_lshlrev_b64 v[8:9], v9, v[8:9]
	v_lshrrev_b32_e32 v11, 3, v0
	v_sub_u32_e32 v9, 29, v12
	v_and_b32_e32 v8, 7, v8
	v_cmp_gt_u32_e64 s[4:5], 8, v0
	v_cndmask_b32_e64 v0, v11, v9, s[4:5]
	v_cndmask_b32_e64 v8, v10, v8, s[4:5]
	v_lshlrev_b32_e32 v7, 16, v7
	v_lshlrev_b32_e32 v8, 20, v8
	v_and_b32_e32 v7, 0x80000000, v7
	v_lshl_add_u32 v0, v0, 23, v48
	v_or3_b32 v51, v7, v0, v8
.LBB305_19:                             ;   in Loop: Header=BB305_9 Depth=1
	s_or_b64 exec, exec, s[36:37]
.LBB305_20:                             ;   in Loop: Header=BB305_9 Depth=1
	s_or_b64 exec, exec, s[34:35]
.LBB305_21:                             ;   in Loop: Header=BB305_9 Depth=1
	s_or_b64 exec, exec, s[16:17]
	global_load_ushort v0, v[5:6], off offset:8
	s_waitcnt vmcnt(0)
	v_and_b32_e32 v7, 0xffff, v0
	v_cmp_ne_u16_sdwa s[4:5], v0, v47 src0_sel:BYTE_0 src1_sel:DWORD
	s_and_saveexec_b64 s[16:17], s[4:5]
	s_cbranch_execz .LBB305_27
; %bb.22:                               ;   in Loop: Header=BB305_9 Depth=1
	v_cmp_ne_u16_sdwa s[4:5], v7, s41 src0_sel:BYTE_0 src1_sel:DWORD
	v_bfrev_b32_e32 v52, 1
	s_and_saveexec_b64 s[34:35], s[4:5]
	s_cbranch_execz .LBB305_26
; %bb.23:                               ;   in Loop: Header=BB305_9 Depth=1
	v_and_b32_e32 v0, 0x7f, v7
	v_cmp_ne_u32_e64 s[4:5], s42, v0
	v_mov_b32_e32 v52, 0x7f800001
	s_and_saveexec_b64 s[36:37], s[4:5]
	s_cbranch_execz .LBB305_25
; %bb.24:                               ;   in Loop: Header=BB305_9 Depth=1
	v_and_b32_e32 v10, 7, v7
	v_ffbh_u32_e32 v8, v10
	v_min_u32_e32 v12, 32, v8
	v_subrev_u32_e32 v8, 28, v12
	v_lshlrev_b64 v[8:9], v8, v[7:8]
	v_lshrrev_b32_e32 v11, 3, v0
	v_sub_u32_e32 v9, 29, v12
	v_and_b32_e32 v8, 7, v8
	v_cmp_gt_u32_e64 s[4:5], 8, v0
	v_cndmask_b32_e64 v0, v11, v9, s[4:5]
	v_cndmask_b32_e64 v8, v10, v8, s[4:5]
	v_lshlrev_b32_e32 v9, 24, v7
	v_lshlrev_b32_e32 v8, 20, v8
	v_and_b32_e32 v9, 0x80000000, v9
	v_lshl_add_u32 v0, v0, 23, v48
	v_or3_b32 v52, v9, v0, v8
.LBB305_25:                             ;   in Loop: Header=BB305_9 Depth=1
	s_or_b64 exec, exec, s[36:37]
.LBB305_26:                             ;   in Loop: Header=BB305_9 Depth=1
	s_or_b64 exec, exec, s[34:35]
.LBB305_27:                             ;   in Loop: Header=BB305_9 Depth=1
	s_or_b64 exec, exec, s[16:17]
	v_lshrrev_b16_e32 v8, 8, v7
	v_cmp_ne_u16_e64 s[4:5], 0, v8
	v_mov_b32_e32 v54, 0
	v_mov_b32_e32 v53, 0
	s_and_saveexec_b64 s[16:17], s[4:5]
	s_cbranch_execz .LBB305_33
; %bb.28:                               ;   in Loop: Header=BB305_9 Depth=1
	v_cmp_ne_u16_e64 s[4:5], s41, v8
	v_bfrev_b32_e32 v53, 1
	s_and_saveexec_b64 s[34:35], s[4:5]
	s_cbranch_execz .LBB305_32
; %bb.29:                               ;   in Loop: Header=BB305_9 Depth=1
	v_and_b32_e32 v0, 0x7f, v8
	v_cmp_ne_u32_e64 s[4:5], s42, v0
	v_mov_b32_e32 v53, 0x7f800001
	s_and_saveexec_b64 s[36:37], s[4:5]
	s_cbranch_execz .LBB305_31
; %bb.30:                               ;   in Loop: Header=BB305_9 Depth=1
	v_and_b32_e32 v10, 7, v8
	v_ffbh_u32_e32 v9, v10
	v_min_u32_e32 v12, 32, v9
	v_subrev_u32_e32 v9, 28, v12
	v_lshlrev_b64 v[8:9], v9, v[8:9]
	v_lshrrev_b32_e32 v11, 3, v0
	v_sub_u32_e32 v9, 29, v12
	v_and_b32_e32 v8, 7, v8
	v_cmp_gt_u32_e64 s[4:5], 8, v0
	v_cndmask_b32_e64 v0, v11, v9, s[4:5]
	v_cndmask_b32_e64 v8, v10, v8, s[4:5]
	v_lshlrev_b32_e32 v7, 16, v7
	v_lshlrev_b32_e32 v8, 20, v8
	v_and_b32_e32 v7, 0x80000000, v7
	v_lshl_add_u32 v0, v0, 23, v48
	v_or3_b32 v53, v7, v0, v8
.LBB305_31:                             ;   in Loop: Header=BB305_9 Depth=1
	s_or_b64 exec, exec, s[36:37]
.LBB305_32:                             ;   in Loop: Header=BB305_9 Depth=1
	s_or_b64 exec, exec, s[34:35]
.LBB305_33:                             ;   in Loop: Header=BB305_9 Depth=1
	s_or_b64 exec, exec, s[16:17]
	global_load_ushort v0, v[5:6], off offset:256
	s_waitcnt vmcnt(0)
	v_and_b32_e32 v7, 0xffff, v0
	v_cmp_ne_u16_sdwa s[4:5], v0, v47 src0_sel:BYTE_0 src1_sel:DWORD
	s_and_saveexec_b64 s[16:17], s[4:5]
	s_cbranch_execz .LBB305_39
; %bb.34:                               ;   in Loop: Header=BB305_9 Depth=1
	v_cmp_ne_u16_sdwa s[4:5], v7, s41 src0_sel:BYTE_0 src1_sel:DWORD
	v_bfrev_b32_e32 v54, 1
	s_and_saveexec_b64 s[34:35], s[4:5]
	s_cbranch_execz .LBB305_38
; %bb.35:                               ;   in Loop: Header=BB305_9 Depth=1
	v_and_b32_e32 v0, 0x7f, v7
	v_cmp_ne_u32_e64 s[4:5], s42, v0
	v_mov_b32_e32 v54, 0x7f800001
	s_and_saveexec_b64 s[36:37], s[4:5]
	s_cbranch_execz .LBB305_37
; %bb.36:                               ;   in Loop: Header=BB305_9 Depth=1
	v_and_b32_e32 v10, 7, v7
	v_ffbh_u32_e32 v8, v10
	v_min_u32_e32 v12, 32, v8
	v_subrev_u32_e32 v8, 28, v12
	v_lshlrev_b64 v[8:9], v8, v[7:8]
	v_lshrrev_b32_e32 v11, 3, v0
	v_sub_u32_e32 v9, 29, v12
	v_and_b32_e32 v8, 7, v8
	v_cmp_gt_u32_e64 s[4:5], 8, v0
	v_cndmask_b32_e64 v0, v11, v9, s[4:5]
	v_cndmask_b32_e64 v8, v10, v8, s[4:5]
	v_lshlrev_b32_e32 v9, 24, v7
	v_lshlrev_b32_e32 v8, 20, v8
	v_and_b32_e32 v9, 0x80000000, v9
	v_lshl_add_u32 v0, v0, 23, v48
	v_or3_b32 v54, v9, v0, v8
.LBB305_37:                             ;   in Loop: Header=BB305_9 Depth=1
	s_or_b64 exec, exec, s[36:37]
.LBB305_38:                             ;   in Loop: Header=BB305_9 Depth=1
	s_or_b64 exec, exec, s[34:35]
.LBB305_39:                             ;   in Loop: Header=BB305_9 Depth=1
	s_or_b64 exec, exec, s[16:17]
	v_lshrrev_b16_e32 v8, 8, v7
	v_cmp_ne_u16_e64 s[4:5], 0, v8
	v_mov_b32_e32 v56, 0
	v_mov_b32_e32 v55, 0
	s_and_saveexec_b64 s[16:17], s[4:5]
	s_cbranch_execz .LBB305_45
; %bb.40:                               ;   in Loop: Header=BB305_9 Depth=1
	v_cmp_ne_u16_e64 s[4:5], s41, v8
	v_bfrev_b32_e32 v55, 1
	s_and_saveexec_b64 s[34:35], s[4:5]
	s_cbranch_execz .LBB305_44
; %bb.41:                               ;   in Loop: Header=BB305_9 Depth=1
	v_and_b32_e32 v0, 0x7f, v8
	v_cmp_ne_u32_e64 s[4:5], s42, v0
	v_mov_b32_e32 v55, 0x7f800001
	s_and_saveexec_b64 s[36:37], s[4:5]
	s_cbranch_execz .LBB305_43
; %bb.42:                               ;   in Loop: Header=BB305_9 Depth=1
	v_and_b32_e32 v10, 7, v8
	v_ffbh_u32_e32 v9, v10
	v_min_u32_e32 v12, 32, v9
	v_subrev_u32_e32 v9, 28, v12
	v_lshlrev_b64 v[8:9], v9, v[8:9]
	v_lshrrev_b32_e32 v11, 3, v0
	v_sub_u32_e32 v9, 29, v12
	v_and_b32_e32 v8, 7, v8
	v_cmp_gt_u32_e64 s[4:5], 8, v0
	v_cndmask_b32_e64 v0, v11, v9, s[4:5]
	v_cndmask_b32_e64 v8, v10, v8, s[4:5]
	v_lshlrev_b32_e32 v7, 16, v7
	v_lshlrev_b32_e32 v8, 20, v8
	v_and_b32_e32 v7, 0x80000000, v7
	v_lshl_add_u32 v0, v0, 23, v48
	v_or3_b32 v55, v7, v0, v8
.LBB305_43:                             ;   in Loop: Header=BB305_9 Depth=1
	s_or_b64 exec, exec, s[36:37]
.LBB305_44:                             ;   in Loop: Header=BB305_9 Depth=1
	s_or_b64 exec, exec, s[34:35]
.LBB305_45:                             ;   in Loop: Header=BB305_9 Depth=1
	s_or_b64 exec, exec, s[16:17]
	global_load_ushort v0, v[5:6], off offset:264
	s_waitcnt vmcnt(0)
	v_and_b32_e32 v7, 0xffff, v0
	v_cmp_ne_u16_sdwa s[4:5], v0, v47 src0_sel:BYTE_0 src1_sel:DWORD
	s_and_saveexec_b64 s[16:17], s[4:5]
	s_cbranch_execz .LBB305_51
; %bb.46:                               ;   in Loop: Header=BB305_9 Depth=1
	v_cmp_ne_u16_sdwa s[4:5], v7, s41 src0_sel:BYTE_0 src1_sel:DWORD
	v_bfrev_b32_e32 v56, 1
	s_and_saveexec_b64 s[34:35], s[4:5]
	s_cbranch_execz .LBB305_50
; %bb.47:                               ;   in Loop: Header=BB305_9 Depth=1
	v_and_b32_e32 v0, 0x7f, v7
	v_cmp_ne_u32_e64 s[4:5], s42, v0
	v_mov_b32_e32 v56, 0x7f800001
	s_and_saveexec_b64 s[36:37], s[4:5]
	s_cbranch_execz .LBB305_49
; %bb.48:                               ;   in Loop: Header=BB305_9 Depth=1
	v_and_b32_e32 v10, 7, v7
	v_ffbh_u32_e32 v8, v10
	v_min_u32_e32 v12, 32, v8
	v_subrev_u32_e32 v8, 28, v12
	v_lshlrev_b64 v[8:9], v8, v[7:8]
	v_lshrrev_b32_e32 v11, 3, v0
	v_sub_u32_e32 v9, 29, v12
	v_and_b32_e32 v8, 7, v8
	v_cmp_gt_u32_e64 s[4:5], 8, v0
	v_cndmask_b32_e64 v0, v11, v9, s[4:5]
	v_cndmask_b32_e64 v8, v10, v8, s[4:5]
	v_lshlrev_b32_e32 v9, 24, v7
	v_lshlrev_b32_e32 v8, 20, v8
	v_and_b32_e32 v9, 0x80000000, v9
	v_lshl_add_u32 v0, v0, 23, v48
	v_or3_b32 v56, v9, v0, v8
.LBB305_49:                             ;   in Loop: Header=BB305_9 Depth=1
	s_or_b64 exec, exec, s[36:37]
.LBB305_50:                             ;   in Loop: Header=BB305_9 Depth=1
	s_or_b64 exec, exec, s[34:35]
.LBB305_51:                             ;   in Loop: Header=BB305_9 Depth=1
	s_or_b64 exec, exec, s[16:17]
	v_lshrrev_b16_e32 v8, 8, v7
	v_cmp_ne_u16_e64 s[4:5], 0, v8
	v_mov_b32_e32 v58, 0
	v_mov_b32_e32 v57, 0
	s_and_saveexec_b64 s[16:17], s[4:5]
	s_cbranch_execz .LBB305_57
; %bb.52:                               ;   in Loop: Header=BB305_9 Depth=1
	v_cmp_ne_u16_e64 s[4:5], s41, v8
	v_bfrev_b32_e32 v57, 1
	s_and_saveexec_b64 s[34:35], s[4:5]
	s_cbranch_execz .LBB305_56
; %bb.53:                               ;   in Loop: Header=BB305_9 Depth=1
	v_and_b32_e32 v0, 0x7f, v8
	v_cmp_ne_u32_e64 s[4:5], s42, v0
	v_mov_b32_e32 v57, 0x7f800001
	s_and_saveexec_b64 s[36:37], s[4:5]
	s_cbranch_execz .LBB305_55
; %bb.54:                               ;   in Loop: Header=BB305_9 Depth=1
	v_and_b32_e32 v10, 7, v8
	v_lshrrev_b32_e32 v11, 3, v0
	v_cmp_gt_u32_e64 s[4:5], 8, v0
	v_ffbh_u32_e32 v0, v10
	v_min_u32_e32 v0, 32, v0
	v_subrev_u32_e32 v9, 28, v0
	v_lshlrev_b64 v[8:9], v9, v[8:9]
	v_sub_u32_e32 v0, 29, v0
	v_and_b32_e32 v8, 7, v8
	v_cndmask_b32_e64 v0, v11, v0, s[4:5]
	v_cndmask_b32_e64 v8, v10, v8, s[4:5]
	v_lshlrev_b32_e32 v7, 16, v7
	v_lshlrev_b32_e32 v8, 20, v8
	v_and_b32_e32 v7, 0x80000000, v7
	v_lshl_add_u32 v0, v0, 23, v48
	v_or3_b32 v57, v7, v0, v8
.LBB305_55:                             ;   in Loop: Header=BB305_9 Depth=1
	s_or_b64 exec, exec, s[36:37]
.LBB305_56:                             ;   in Loop: Header=BB305_9 Depth=1
	s_or_b64 exec, exec, s[34:35]
.LBB305_57:                             ;   in Loop: Header=BB305_9 Depth=1
	s_or_b64 exec, exec, s[16:17]
	global_load_ushort v0, v[5:6], off offset:512
	s_waitcnt vmcnt(0)
	v_and_b32_e32 v7, 0xffff, v0
	v_cmp_ne_u16_sdwa s[4:5], v0, v47 src0_sel:BYTE_0 src1_sel:DWORD
	s_and_saveexec_b64 s[16:17], s[4:5]
	s_cbranch_execz .LBB305_63
; %bb.58:                               ;   in Loop: Header=BB305_9 Depth=1
	v_cmp_ne_u16_sdwa s[4:5], v7, s41 src0_sel:BYTE_0 src1_sel:DWORD
	v_bfrev_b32_e32 v58, 1
	s_and_saveexec_b64 s[34:35], s[4:5]
	s_cbranch_execz .LBB305_62
; %bb.59:                               ;   in Loop: Header=BB305_9 Depth=1
	v_and_b32_e32 v0, 0x7f, v7
	v_cmp_ne_u32_e64 s[4:5], s42, v0
	v_mov_b32_e32 v58, 0x7f800001
	s_and_saveexec_b64 s[36:37], s[4:5]
	s_cbranch_execz .LBB305_61
; %bb.60:                               ;   in Loop: Header=BB305_9 Depth=1
	v_and_b32_e32 v10, 7, v7
	v_ffbh_u32_e32 v8, v10
	v_min_u32_e32 v12, 32, v8
	v_subrev_u32_e32 v8, 28, v12
	v_lshlrev_b64 v[8:9], v8, v[7:8]
	v_lshrrev_b32_e32 v11, 3, v0
	v_sub_u32_e32 v9, 29, v12
	v_and_b32_e32 v8, 7, v8
	v_cmp_gt_u32_e64 s[4:5], 8, v0
	v_cndmask_b32_e64 v0, v11, v9, s[4:5]
	v_cndmask_b32_e64 v8, v10, v8, s[4:5]
	v_lshlrev_b32_e32 v9, 24, v7
	v_lshlrev_b32_e32 v8, 20, v8
	v_and_b32_e32 v9, 0x80000000, v9
	v_lshl_add_u32 v0, v0, 23, v48
	v_or3_b32 v58, v9, v0, v8
.LBB305_61:                             ;   in Loop: Header=BB305_9 Depth=1
	s_or_b64 exec, exec, s[36:37]
.LBB305_62:                             ;   in Loop: Header=BB305_9 Depth=1
	s_or_b64 exec, exec, s[34:35]
.LBB305_63:                             ;   in Loop: Header=BB305_9 Depth=1
	s_or_b64 exec, exec, s[16:17]
	v_lshrrev_b16_e32 v8, 8, v7
	v_cmp_ne_u16_e64 s[4:5], 0, v8
	v_mov_b32_e32 v60, 0
	v_mov_b32_e32 v59, 0
	s_and_saveexec_b64 s[16:17], s[4:5]
	s_cbranch_execz .LBB305_69
; %bb.64:                               ;   in Loop: Header=BB305_9 Depth=1
	v_cmp_ne_u16_e64 s[4:5], s41, v8
	v_bfrev_b32_e32 v59, 1
	s_and_saveexec_b64 s[34:35], s[4:5]
	s_cbranch_execz .LBB305_68
; %bb.65:                               ;   in Loop: Header=BB305_9 Depth=1
	v_and_b32_e32 v0, 0x7f, v8
	v_cmp_ne_u32_e64 s[4:5], s42, v0
	v_mov_b32_e32 v59, 0x7f800001
	s_and_saveexec_b64 s[36:37], s[4:5]
	s_cbranch_execz .LBB305_67
; %bb.66:                               ;   in Loop: Header=BB305_9 Depth=1
	v_and_b32_e32 v10, 7, v8
	v_lshrrev_b32_e32 v11, 3, v0
	v_cmp_gt_u32_e64 s[4:5], 8, v0
	v_ffbh_u32_e32 v0, v10
	v_min_u32_e32 v0, 32, v0
	v_subrev_u32_e32 v9, 28, v0
	v_lshlrev_b64 v[8:9], v9, v[8:9]
	v_sub_u32_e32 v0, 29, v0
	v_and_b32_e32 v8, 7, v8
	v_cndmask_b32_e64 v0, v11, v0, s[4:5]
	v_cndmask_b32_e64 v8, v10, v8, s[4:5]
	v_lshlrev_b32_e32 v7, 16, v7
	v_lshlrev_b32_e32 v8, 20, v8
	v_and_b32_e32 v7, 0x80000000, v7
	v_lshl_add_u32 v0, v0, 23, v48
	v_or3_b32 v59, v7, v0, v8
.LBB305_67:                             ;   in Loop: Header=BB305_9 Depth=1
	s_or_b64 exec, exec, s[36:37]
.LBB305_68:                             ;   in Loop: Header=BB305_9 Depth=1
	s_or_b64 exec, exec, s[34:35]
.LBB305_69:                             ;   in Loop: Header=BB305_9 Depth=1
	s_or_b64 exec, exec, s[16:17]
	global_load_ushort v0, v[5:6], off offset:520
	s_waitcnt vmcnt(0)
	v_and_b32_e32 v7, 0xffff, v0
	v_cmp_ne_u16_sdwa s[4:5], v0, v47 src0_sel:BYTE_0 src1_sel:DWORD
	s_and_saveexec_b64 s[16:17], s[4:5]
	s_cbranch_execz .LBB305_75
; %bb.70:                               ;   in Loop: Header=BB305_9 Depth=1
	v_cmp_ne_u16_sdwa s[4:5], v7, s41 src0_sel:BYTE_0 src1_sel:DWORD
	v_bfrev_b32_e32 v60, 1
	s_and_saveexec_b64 s[34:35], s[4:5]
	s_cbranch_execz .LBB305_74
; %bb.71:                               ;   in Loop: Header=BB305_9 Depth=1
	v_and_b32_e32 v0, 0x7f, v7
	v_cmp_ne_u32_e64 s[4:5], s42, v0
	v_mov_b32_e32 v60, 0x7f800001
	s_and_saveexec_b64 s[36:37], s[4:5]
	s_cbranch_execz .LBB305_73
; %bb.72:                               ;   in Loop: Header=BB305_9 Depth=1
	v_and_b32_e32 v10, 7, v7
	v_lshrrev_b32_e32 v11, 3, v0
	v_cmp_gt_u32_e64 s[4:5], 8, v0
	v_ffbh_u32_e32 v0, v10
	v_min_u32_e32 v0, 32, v0
	v_subrev_u32_e32 v8, 28, v0
	v_lshlrev_b64 v[8:9], v8, v[7:8]
	v_sub_u32_e32 v0, 29, v0
	v_and_b32_e32 v8, 7, v8
	v_cndmask_b32_e64 v0, v11, v0, s[4:5]
	v_cndmask_b32_e64 v8, v10, v8, s[4:5]
	v_lshlrev_b32_e32 v9, 24, v7
	v_lshlrev_b32_e32 v8, 20, v8
	v_and_b32_e32 v9, 0x80000000, v9
	v_lshl_add_u32 v0, v0, 23, v48
	v_or3_b32 v60, v9, v0, v8
.LBB305_73:                             ;   in Loop: Header=BB305_9 Depth=1
	s_or_b64 exec, exec, s[36:37]
.LBB305_74:                             ;   in Loop: Header=BB305_9 Depth=1
	s_or_b64 exec, exec, s[34:35]
.LBB305_75:                             ;   in Loop: Header=BB305_9 Depth=1
	s_or_b64 exec, exec, s[16:17]
	v_lshrrev_b16_e32 v8, 8, v7
	v_cmp_ne_u16_e64 s[4:5], 0, v8
	v_mov_b32_e32 v62, 0
	v_mov_b32_e32 v61, 0
	s_and_saveexec_b64 s[16:17], s[4:5]
	s_cbranch_execz .LBB305_81
; %bb.76:                               ;   in Loop: Header=BB305_9 Depth=1
	v_cmp_ne_u16_e64 s[4:5], s41, v8
	v_bfrev_b32_e32 v61, 1
	s_and_saveexec_b64 s[34:35], s[4:5]
	s_cbranch_execz .LBB305_80
; %bb.77:                               ;   in Loop: Header=BB305_9 Depth=1
	v_and_b32_e32 v0, 0x7f, v8
	v_cmp_ne_u32_e64 s[4:5], s42, v0
	v_mov_b32_e32 v61, 0x7f800001
	s_and_saveexec_b64 s[36:37], s[4:5]
	s_cbranch_execz .LBB305_79
; %bb.78:                               ;   in Loop: Header=BB305_9 Depth=1
	v_and_b32_e32 v10, 7, v8
	v_lshrrev_b32_e32 v11, 3, v0
	v_cmp_gt_u32_e64 s[4:5], 8, v0
	v_ffbh_u32_e32 v0, v10
	v_min_u32_e32 v0, 32, v0
	v_subrev_u32_e32 v9, 28, v0
	v_lshlrev_b64 v[8:9], v9, v[8:9]
	v_sub_u32_e32 v0, 29, v0
	v_and_b32_e32 v8, 7, v8
	v_cndmask_b32_e64 v0, v11, v0, s[4:5]
	v_cndmask_b32_e64 v8, v10, v8, s[4:5]
	v_lshlrev_b32_e32 v7, 16, v7
	v_lshlrev_b32_e32 v8, 20, v8
	v_and_b32_e32 v7, 0x80000000, v7
	v_lshl_add_u32 v0, v0, 23, v48
	v_or3_b32 v61, v7, v0, v8
.LBB305_79:                             ;   in Loop: Header=BB305_9 Depth=1
	s_or_b64 exec, exec, s[36:37]
.LBB305_80:                             ;   in Loop: Header=BB305_9 Depth=1
	s_or_b64 exec, exec, s[34:35]
.LBB305_81:                             ;   in Loop: Header=BB305_9 Depth=1
	s_or_b64 exec, exec, s[16:17]
	global_load_ushort v0, v[5:6], off offset:768
	s_waitcnt vmcnt(0)
	v_and_b32_e32 v7, 0xffff, v0
	v_cmp_ne_u16_sdwa s[4:5], v0, v47 src0_sel:BYTE_0 src1_sel:DWORD
	s_and_saveexec_b64 s[16:17], s[4:5]
	s_cbranch_execz .LBB305_87
; %bb.82:                               ;   in Loop: Header=BB305_9 Depth=1
	v_cmp_ne_u16_sdwa s[4:5], v7, s41 src0_sel:BYTE_0 src1_sel:DWORD
	v_bfrev_b32_e32 v62, 1
	s_and_saveexec_b64 s[34:35], s[4:5]
	s_cbranch_execz .LBB305_86
; %bb.83:                               ;   in Loop: Header=BB305_9 Depth=1
	v_and_b32_e32 v0, 0x7f, v7
	v_cmp_ne_u32_e64 s[4:5], s42, v0
	v_mov_b32_e32 v62, 0x7f800001
	s_and_saveexec_b64 s[36:37], s[4:5]
	s_cbranch_execz .LBB305_85
; %bb.84:                               ;   in Loop: Header=BB305_9 Depth=1
	v_and_b32_e32 v10, 7, v7
	v_lshrrev_b32_e32 v11, 3, v0
	v_cmp_gt_u32_e64 s[4:5], 8, v0
	v_ffbh_u32_e32 v0, v10
	v_min_u32_e32 v0, 32, v0
	v_subrev_u32_e32 v8, 28, v0
	v_lshlrev_b64 v[8:9], v8, v[7:8]
	v_sub_u32_e32 v0, 29, v0
	v_and_b32_e32 v8, 7, v8
	v_cndmask_b32_e64 v0, v11, v0, s[4:5]
	v_cndmask_b32_e64 v8, v10, v8, s[4:5]
	v_lshlrev_b32_e32 v9, 24, v7
	v_lshlrev_b32_e32 v8, 20, v8
	v_and_b32_e32 v9, 0x80000000, v9
	v_lshl_add_u32 v0, v0, 23, v48
	v_or3_b32 v62, v9, v0, v8
.LBB305_85:                             ;   in Loop: Header=BB305_9 Depth=1
	s_or_b64 exec, exec, s[36:37]
.LBB305_86:                             ;   in Loop: Header=BB305_9 Depth=1
	s_or_b64 exec, exec, s[34:35]
.LBB305_87:                             ;   in Loop: Header=BB305_9 Depth=1
	s_or_b64 exec, exec, s[16:17]
	v_lshrrev_b16_e32 v8, 8, v7
	v_cmp_ne_u16_e64 s[4:5], 0, v8
	v_mov_b32_e32 v9, 0
	v_mov_b32_e32 v63, 0
	s_and_saveexec_b64 s[16:17], s[4:5]
	s_cbranch_execz .LBB305_93
; %bb.88:                               ;   in Loop: Header=BB305_9 Depth=1
	v_cmp_ne_u16_e64 s[4:5], s41, v8
	v_bfrev_b32_e32 v63, 1
	s_and_saveexec_b64 s[34:35], s[4:5]
	s_cbranch_execz .LBB305_92
; %bb.89:                               ;   in Loop: Header=BB305_9 Depth=1
	v_and_b32_e32 v0, 0x7f, v8
	v_cmp_ne_u32_e64 s[4:5], s42, v0
	v_mov_b32_e32 v63, 0x7f800001
	s_and_saveexec_b64 s[36:37], s[4:5]
	s_cbranch_execz .LBB305_91
; %bb.90:                               ;   in Loop: Header=BB305_9 Depth=1
	v_and_b32_e32 v12, 7, v8
	v_lshrrev_b32_e32 v13, 3, v0
	v_cmp_gt_u32_e64 s[4:5], 8, v0
	v_ffbh_u32_e32 v0, v12
	v_min_u32_e32 v0, 32, v0
	v_subrev_u32_e32 v10, 28, v0
	v_lshlrev_b64 v[10:11], v10, v[8:9]
	v_sub_u32_e32 v0, 29, v0
	v_and_b32_e32 v8, 7, v10
	v_cndmask_b32_e64 v0, v13, v0, s[4:5]
	v_cndmask_b32_e64 v8, v12, v8, s[4:5]
	v_lshlrev_b32_e32 v7, 16, v7
	v_lshlrev_b32_e32 v8, 20, v8
	v_and_b32_e32 v7, 0x80000000, v7
	v_lshl_add_u32 v0, v0, 23, v48
	v_or3_b32 v63, v7, v0, v8
.LBB305_91:                             ;   in Loop: Header=BB305_9 Depth=1
	s_or_b64 exec, exec, s[36:37]
.LBB305_92:                             ;   in Loop: Header=BB305_9 Depth=1
	s_or_b64 exec, exec, s[34:35]
.LBB305_93:                             ;   in Loop: Header=BB305_9 Depth=1
	s_or_b64 exec, exec, s[16:17]
	global_load_ushort v0, v[5:6], off offset:776
	s_waitcnt vmcnt(0)
	v_and_b32_e32 v7, 0xffff, v0
	v_cmp_ne_u16_sdwa s[4:5], v0, v47 src0_sel:BYTE_0 src1_sel:DWORD
	s_and_saveexec_b64 s[16:17], s[4:5]
	s_cbranch_execz .LBB305_99
; %bb.94:                               ;   in Loop: Header=BB305_9 Depth=1
	v_cmp_ne_u16_sdwa s[4:5], v7, s41 src0_sel:BYTE_0 src1_sel:DWORD
	v_bfrev_b32_e32 v9, 1
	s_and_saveexec_b64 s[34:35], s[4:5]
	s_cbranch_execz .LBB305_98
; %bb.95:                               ;   in Loop: Header=BB305_9 Depth=1
	v_and_b32_e32 v0, 0x7f, v7
	v_cmp_ne_u32_e64 s[4:5], s42, v0
	v_mov_b32_e32 v9, 0x7f800001
	s_and_saveexec_b64 s[36:37], s[4:5]
	s_cbranch_execz .LBB305_97
; %bb.96:                               ;   in Loop: Header=BB305_9 Depth=1
	v_and_b32_e32 v10, 7, v7
	v_lshrrev_b32_e32 v11, 3, v0
	v_cmp_gt_u32_e64 s[4:5], 8, v0
	v_ffbh_u32_e32 v0, v10
	v_min_u32_e32 v0, 32, v0
	v_subrev_u32_e32 v8, 28, v0
	v_lshlrev_b64 v[8:9], v8, v[7:8]
	v_sub_u32_e32 v0, 29, v0
	v_and_b32_e32 v8, 7, v8
	v_cndmask_b32_e64 v0, v11, v0, s[4:5]
	v_cndmask_b32_e64 v8, v10, v8, s[4:5]
	v_lshlrev_b32_e32 v9, 24, v7
	v_lshlrev_b32_e32 v8, 20, v8
	v_and_b32_e32 v9, 0x80000000, v9
	v_lshl_add_u32 v0, v0, 23, v48
	v_or3_b32 v9, v9, v0, v8
.LBB305_97:                             ;   in Loop: Header=BB305_9 Depth=1
	s_or_b64 exec, exec, s[36:37]
.LBB305_98:                             ;   in Loop: Header=BB305_9 Depth=1
	s_or_b64 exec, exec, s[34:35]
.LBB305_99:                             ;   in Loop: Header=BB305_9 Depth=1
	s_or_b64 exec, exec, s[16:17]
	v_lshrrev_b16_e32 v8, 8, v7
	v_cmp_ne_u16_e64 s[4:5], 0, v8
	v_mov_b32_e32 v11, 0
	v_mov_b32_e32 v12, 0
	s_and_saveexec_b64 s[16:17], s[4:5]
	s_cbranch_execz .LBB305_105
; %bb.100:                              ;   in Loop: Header=BB305_9 Depth=1
	v_cmp_ne_u16_e64 s[4:5], s41, v8
	v_bfrev_b32_e32 v12, 1
	s_and_saveexec_b64 s[34:35], s[4:5]
	s_cbranch_execz .LBB305_104
; %bb.101:                              ;   in Loop: Header=BB305_9 Depth=1
	v_and_b32_e32 v0, 0x7f, v8
	v_cmp_ne_u32_e64 s[4:5], s42, v0
	v_mov_b32_e32 v12, 0x7f800001
	s_and_saveexec_b64 s[36:37], s[4:5]
	s_cbranch_execz .LBB305_103
; %bb.102:                              ;   in Loop: Header=BB305_9 Depth=1
	v_and_b32_e32 v10, 7, v8
	v_lshrrev_b32_e32 v14, 3, v0
	v_cmp_gt_u32_e64 s[4:5], 8, v0
	v_ffbh_u32_e32 v0, v10
	v_min_u32_e32 v0, 32, v0
	v_subrev_u32_e32 v12, 28, v0
	v_lshlrev_b64 v[12:13], v12, v[8:9]
	v_sub_u32_e32 v0, 29, v0
	v_and_b32_e32 v8, 7, v12
	v_cndmask_b32_e64 v0, v14, v0, s[4:5]
	v_cndmask_b32_e64 v8, v10, v8, s[4:5]
	v_lshlrev_b32_e32 v7, 16, v7
	v_lshlrev_b32_e32 v8, 20, v8
	v_and_b32_e32 v7, 0x80000000, v7
	v_lshl_add_u32 v0, v0, 23, v48
	v_or3_b32 v12, v7, v0, v8
.LBB305_103:                            ;   in Loop: Header=BB305_9 Depth=1
	s_or_b64 exec, exec, s[36:37]
.LBB305_104:                            ;   in Loop: Header=BB305_9 Depth=1
	s_or_b64 exec, exec, s[34:35]
.LBB305_105:                            ;   in Loop: Header=BB305_9 Depth=1
	s_or_b64 exec, exec, s[16:17]
	global_load_ushort v0, v[5:6], off offset:1024
	s_waitcnt vmcnt(0)
	v_and_b32_e32 v7, 0xffff, v0
	v_cmp_ne_u16_sdwa s[4:5], v0, v47 src0_sel:BYTE_0 src1_sel:DWORD
	s_and_saveexec_b64 s[16:17], s[4:5]
	s_cbranch_execz .LBB305_111
; %bb.106:                              ;   in Loop: Header=BB305_9 Depth=1
	v_cmp_ne_u16_sdwa s[4:5], v7, s41 src0_sel:BYTE_0 src1_sel:DWORD
	v_bfrev_b32_e32 v11, 1
	s_and_saveexec_b64 s[34:35], s[4:5]
	s_cbranch_execz .LBB305_110
; %bb.107:                              ;   in Loop: Header=BB305_9 Depth=1
	v_and_b32_e32 v0, 0x7f, v7
	v_cmp_ne_u32_e64 s[4:5], s42, v0
	v_mov_b32_e32 v11, 0x7f800001
	s_and_saveexec_b64 s[36:37], s[4:5]
	s_cbranch_execz .LBB305_109
; %bb.108:                              ;   in Loop: Header=BB305_9 Depth=1
	v_and_b32_e32 v8, 7, v7
	v_lshrrev_b32_e32 v13, 3, v0
	v_cmp_gt_u32_e64 s[4:5], 8, v0
	v_ffbh_u32_e32 v0, v8
	v_min_u32_e32 v0, 32, v0
	v_subrev_u32_e32 v10, 28, v0
	v_lshlrev_b64 v[10:11], v10, v[7:8]
	v_sub_u32_e32 v0, 29, v0
	v_and_b32_e32 v10, 7, v10
	v_cndmask_b32_e64 v0, v13, v0, s[4:5]
	v_cndmask_b32_e64 v8, v8, v10, s[4:5]
	v_lshlrev_b32_e32 v10, 24, v7
	v_lshlrev_b32_e32 v8, 20, v8
	v_and_b32_e32 v10, 0x80000000, v10
	v_lshl_add_u32 v0, v0, 23, v48
	v_or3_b32 v11, v10, v0, v8
.LBB305_109:                            ;   in Loop: Header=BB305_9 Depth=1
	s_or_b64 exec, exec, s[36:37]
.LBB305_110:                            ;   in Loop: Header=BB305_9 Depth=1
	s_or_b64 exec, exec, s[34:35]
.LBB305_111:                            ;   in Loop: Header=BB305_9 Depth=1
	s_or_b64 exec, exec, s[16:17]
	v_lshrrev_b16_e32 v8, 8, v7
	v_cmp_ne_u16_e64 s[4:5], 0, v8
	v_mov_b32_e32 v10, 0
	v_mov_b32_e32 v0, 0
	s_and_saveexec_b64 s[16:17], s[4:5]
	s_cbranch_execz .LBB305_117
; %bb.112:                              ;   in Loop: Header=BB305_9 Depth=1
	v_cmp_ne_u16_e64 s[4:5], s41, v8
	v_bfrev_b32_e32 v0, 1
	s_and_saveexec_b64 s[34:35], s[4:5]
	s_cbranch_execz .LBB305_116
; %bb.113:                              ;   in Loop: Header=BB305_9 Depth=1
	v_and_b32_e32 v13, 0x7f, v8
	v_cmp_ne_u32_e64 s[4:5], s42, v13
	v_mov_b32_e32 v0, 0x7f800001
	s_and_saveexec_b64 s[36:37], s[4:5]
	s_cbranch_execz .LBB305_115
; %bb.114:                              ;   in Loop: Header=BB305_9 Depth=1
	v_and_b32_e32 v0, 7, v8
	v_lshrrev_b32_e32 v15, 3, v13
	v_cmp_gt_u32_e64 s[4:5], 8, v13
	v_ffbh_u32_e32 v13, v0
	v_min_u32_e32 v16, 32, v13
	v_subrev_u32_e32 v13, 28, v16
	v_lshlrev_b64 v[13:14], v13, v[8:9]
	v_sub_u32_e32 v8, 29, v16
	v_and_b32_e32 v13, 7, v13
	v_cndmask_b32_e64 v8, v15, v8, s[4:5]
	v_cndmask_b32_e64 v0, v0, v13, s[4:5]
	v_lshlrev_b32_e32 v7, 16, v7
	v_lshlrev_b32_e32 v0, 20, v0
	v_and_b32_e32 v7, 0x80000000, v7
	v_lshl_add_u32 v8, v8, 23, v48
	v_or3_b32 v0, v7, v8, v0
.LBB305_115:                            ;   in Loop: Header=BB305_9 Depth=1
	s_or_b64 exec, exec, s[36:37]
.LBB305_116:                            ;   in Loop: Header=BB305_9 Depth=1
	s_or_b64 exec, exec, s[34:35]
.LBB305_117:                            ;   in Loop: Header=BB305_9 Depth=1
	s_or_b64 exec, exec, s[16:17]
	global_load_ushort v8, v[5:6], off offset:1032
	s_waitcnt vmcnt(0)
	v_and_b32_e32 v7, 0xffff, v8
	v_cmp_ne_u16_sdwa s[4:5], v8, v47 src0_sel:BYTE_0 src1_sel:DWORD
	s_and_saveexec_b64 s[16:17], s[4:5]
	s_cbranch_execz .LBB305_123
; %bb.118:                              ;   in Loop: Header=BB305_9 Depth=1
	v_cmp_ne_u16_sdwa s[4:5], v7, s41 src0_sel:BYTE_0 src1_sel:DWORD
	v_bfrev_b32_e32 v10, 1
	s_and_saveexec_b64 s[34:35], s[4:5]
	s_cbranch_execz .LBB305_122
; %bb.119:                              ;   in Loop: Header=BB305_9 Depth=1
	v_and_b32_e32 v8, 0x7f, v7
	v_cmp_ne_u32_e64 s[4:5], s42, v8
	v_mov_b32_e32 v10, 0x7f800001
	s_and_saveexec_b64 s[36:37], s[4:5]
	s_cbranch_execz .LBB305_121
; %bb.120:                              ;   in Loop: Header=BB305_9 Depth=1
	v_and_b32_e32 v10, 7, v7
	v_lshrrev_b32_e32 v15, 3, v8
	v_cmp_gt_u32_e64 s[4:5], 8, v8
	v_ffbh_u32_e32 v8, v10
	v_min_u32_e32 v8, 32, v8
	v_subrev_u32_e32 v13, 28, v8
	v_lshlrev_b64 v[13:14], v13, v[7:8]
	v_sub_u32_e32 v8, 29, v8
	v_and_b32_e32 v13, 7, v13
	v_cndmask_b32_e64 v8, v15, v8, s[4:5]
	v_cndmask_b32_e64 v10, v10, v13, s[4:5]
	v_lshlrev_b32_e32 v13, 24, v7
	v_lshlrev_b32_e32 v10, 20, v10
	v_and_b32_e32 v13, 0x80000000, v13
	v_lshl_add_u32 v8, v8, 23, v48
	v_or3_b32 v10, v13, v8, v10
.LBB305_121:                            ;   in Loop: Header=BB305_9 Depth=1
	s_or_b64 exec, exec, s[36:37]
.LBB305_122:                            ;   in Loop: Header=BB305_9 Depth=1
	s_or_b64 exec, exec, s[34:35]
.LBB305_123:                            ;   in Loop: Header=BB305_9 Depth=1
	s_or_b64 exec, exec, s[16:17]
	v_lshrrev_b16_e32 v8, 8, v7
	v_cmp_ne_u16_e64 s[4:5], 0, v8
	v_mov_b32_e32 v14, 0
	v_mov_b32_e32 v13, 0
	s_and_saveexec_b64 s[16:17], s[4:5]
	s_cbranch_execz .LBB305_129
; %bb.124:                              ;   in Loop: Header=BB305_9 Depth=1
	v_cmp_ne_u16_e64 s[4:5], s41, v8
	v_bfrev_b32_e32 v13, 1
	s_and_saveexec_b64 s[34:35], s[4:5]
	s_cbranch_execz .LBB305_128
; %bb.125:                              ;   in Loop: Header=BB305_9 Depth=1
	v_and_b32_e32 v15, 0x7f, v8
	v_cmp_ne_u32_e64 s[4:5], s42, v15
	v_mov_b32_e32 v13, 0x7f800001
	s_and_saveexec_b64 s[36:37], s[4:5]
	s_cbranch_execz .LBB305_127
; %bb.126:                              ;   in Loop: Header=BB305_9 Depth=1
	v_and_b32_e32 v13, 7, v8
	v_lshrrev_b32_e32 v17, 3, v15
	v_cmp_gt_u32_e64 s[4:5], 8, v15
	v_ffbh_u32_e32 v15, v13
	v_min_u32_e32 v18, 32, v15
	v_subrev_u32_e32 v15, 28, v18
	v_lshlrev_b64 v[15:16], v15, v[8:9]
	v_sub_u32_e32 v8, 29, v18
	v_and_b32_e32 v15, 7, v15
	v_cndmask_b32_e64 v8, v17, v8, s[4:5]
	v_cndmask_b32_e64 v13, v13, v15, s[4:5]
	v_lshlrev_b32_e32 v7, 16, v7
	v_lshlrev_b32_e32 v13, 20, v13
	v_and_b32_e32 v7, 0x80000000, v7
	v_lshl_add_u32 v8, v8, 23, v48
	v_or3_b32 v13, v7, v8, v13
.LBB305_127:                            ;   in Loop: Header=BB305_9 Depth=1
	s_or_b64 exec, exec, s[36:37]
.LBB305_128:                            ;   in Loop: Header=BB305_9 Depth=1
	s_or_b64 exec, exec, s[34:35]
.LBB305_129:                            ;   in Loop: Header=BB305_9 Depth=1
	s_or_b64 exec, exec, s[16:17]
	global_load_ushort v8, v[5:6], off offset:1280
	s_waitcnt vmcnt(0)
	v_and_b32_e32 v7, 0xffff, v8
	v_cmp_ne_u16_sdwa s[4:5], v8, v47 src0_sel:BYTE_0 src1_sel:DWORD
	s_and_saveexec_b64 s[16:17], s[4:5]
	s_cbranch_execz .LBB305_135
; %bb.130:                              ;   in Loop: Header=BB305_9 Depth=1
	v_cmp_ne_u16_sdwa s[4:5], v7, s41 src0_sel:BYTE_0 src1_sel:DWORD
	v_bfrev_b32_e32 v14, 1
	s_and_saveexec_b64 s[34:35], s[4:5]
	s_cbranch_execz .LBB305_134
; %bb.131:                              ;   in Loop: Header=BB305_9 Depth=1
	v_and_b32_e32 v8, 0x7f, v7
	v_cmp_ne_u32_e64 s[4:5], s42, v8
	v_mov_b32_e32 v14, 0x7f800001
	s_and_saveexec_b64 s[36:37], s[4:5]
	s_cbranch_execz .LBB305_133
; %bb.132:                              ;   in Loop: Header=BB305_9 Depth=1
	v_and_b32_e32 v16, 7, v7
	v_lshrrev_b32_e32 v17, 3, v8
	v_cmp_gt_u32_e64 s[4:5], 8, v8
	v_ffbh_u32_e32 v8, v16
	v_min_u32_e32 v8, 32, v8
	v_subrev_u32_e32 v14, 28, v8
	v_lshlrev_b64 v[14:15], v14, v[7:8]
	v_sub_u32_e32 v8, 29, v8
	v_and_b32_e32 v14, 7, v14
	v_cndmask_b32_e64 v8, v17, v8, s[4:5]
	v_cndmask_b32_e64 v14, v16, v14, s[4:5]
	v_lshlrev_b32_e32 v15, 24, v7
	v_lshlrev_b32_e32 v14, 20, v14
	v_and_b32_e32 v15, 0x80000000, v15
	v_lshl_add_u32 v8, v8, 23, v48
	v_or3_b32 v14, v15, v8, v14
.LBB305_133:                            ;   in Loop: Header=BB305_9 Depth=1
	s_or_b64 exec, exec, s[36:37]
.LBB305_134:                            ;   in Loop: Header=BB305_9 Depth=1
	s_or_b64 exec, exec, s[34:35]
.LBB305_135:                            ;   in Loop: Header=BB305_9 Depth=1
	s_or_b64 exec, exec, s[16:17]
	v_lshrrev_b16_e32 v8, 8, v7
	v_cmp_ne_u16_e64 s[4:5], 0, v8
	v_mov_b32_e32 v16, 0
	v_mov_b32_e32 v15, 0
	s_and_saveexec_b64 s[16:17], s[4:5]
	s_cbranch_execz .LBB305_141
; %bb.136:                              ;   in Loop: Header=BB305_9 Depth=1
	v_cmp_ne_u16_e64 s[4:5], s41, v8
	v_bfrev_b32_e32 v15, 1
	s_and_saveexec_b64 s[34:35], s[4:5]
	s_cbranch_execz .LBB305_140
; %bb.137:                              ;   in Loop: Header=BB305_9 Depth=1
	v_and_b32_e32 v17, 0x7f, v8
	v_cmp_ne_u32_e64 s[4:5], s42, v17
	v_mov_b32_e32 v15, 0x7f800001
	s_and_saveexec_b64 s[36:37], s[4:5]
	s_cbranch_execz .LBB305_139
; %bb.138:                              ;   in Loop: Header=BB305_9 Depth=1
	v_and_b32_e32 v15, 7, v8
	v_lshrrev_b32_e32 v19, 3, v17
	v_cmp_gt_u32_e64 s[4:5], 8, v17
	v_ffbh_u32_e32 v17, v15
	v_min_u32_e32 v20, 32, v17
	v_subrev_u32_e32 v17, 28, v20
	v_lshlrev_b64 v[17:18], v17, v[8:9]
	v_sub_u32_e32 v8, 29, v20
	v_and_b32_e32 v17, 7, v17
	v_cndmask_b32_e64 v8, v19, v8, s[4:5]
	v_cndmask_b32_e64 v15, v15, v17, s[4:5]
	v_lshlrev_b32_e32 v7, 16, v7
	v_lshlrev_b32_e32 v15, 20, v15
	v_and_b32_e32 v7, 0x80000000, v7
	v_lshl_add_u32 v8, v8, 23, v48
	v_or3_b32 v15, v7, v8, v15
.LBB305_139:                            ;   in Loop: Header=BB305_9 Depth=1
	s_or_b64 exec, exec, s[36:37]
.LBB305_140:                            ;   in Loop: Header=BB305_9 Depth=1
	s_or_b64 exec, exec, s[34:35]
.LBB305_141:                            ;   in Loop: Header=BB305_9 Depth=1
	s_or_b64 exec, exec, s[16:17]
	global_load_ushort v8, v[5:6], off offset:1288
	s_waitcnt vmcnt(0)
	v_and_b32_e32 v7, 0xffff, v8
	v_cmp_ne_u16_sdwa s[4:5], v8, v47 src0_sel:BYTE_0 src1_sel:DWORD
	s_and_saveexec_b64 s[16:17], s[4:5]
	s_cbranch_execz .LBB305_147
; %bb.142:                              ;   in Loop: Header=BB305_9 Depth=1
	v_cmp_ne_u16_sdwa s[4:5], v7, s41 src0_sel:BYTE_0 src1_sel:DWORD
	v_bfrev_b32_e32 v16, 1
	s_and_saveexec_b64 s[34:35], s[4:5]
	s_cbranch_execz .LBB305_146
; %bb.143:                              ;   in Loop: Header=BB305_9 Depth=1
	v_and_b32_e32 v8, 0x7f, v7
	v_cmp_ne_u32_e64 s[4:5], s42, v8
	v_mov_b32_e32 v16, 0x7f800001
	s_and_saveexec_b64 s[36:37], s[4:5]
	s_cbranch_execz .LBB305_145
; %bb.144:                              ;   in Loop: Header=BB305_9 Depth=1
	v_and_b32_e32 v18, 7, v7
	v_lshrrev_b32_e32 v19, 3, v8
	v_cmp_gt_u32_e64 s[4:5], 8, v8
	v_ffbh_u32_e32 v8, v18
	v_min_u32_e32 v8, 32, v8
	v_subrev_u32_e32 v16, 28, v8
	v_lshlrev_b64 v[16:17], v16, v[7:8]
	v_sub_u32_e32 v8, 29, v8
	v_and_b32_e32 v16, 7, v16
	v_cndmask_b32_e64 v8, v19, v8, s[4:5]
	v_cndmask_b32_e64 v16, v18, v16, s[4:5]
	v_lshlrev_b32_e32 v17, 24, v7
	v_lshlrev_b32_e32 v16, 20, v16
	v_and_b32_e32 v17, 0x80000000, v17
	v_lshl_add_u32 v8, v8, 23, v48
	v_or3_b32 v16, v17, v8, v16
.LBB305_145:                            ;   in Loop: Header=BB305_9 Depth=1
	s_or_b64 exec, exec, s[36:37]
.LBB305_146:                            ;   in Loop: Header=BB305_9 Depth=1
	s_or_b64 exec, exec, s[34:35]
.LBB305_147:                            ;   in Loop: Header=BB305_9 Depth=1
	s_or_b64 exec, exec, s[16:17]
	v_lshrrev_b16_e32 v8, 8, v7
	v_cmp_ne_u16_e64 s[4:5], 0, v8
	v_mov_b32_e32 v18, 0
	v_mov_b32_e32 v17, 0
	s_and_saveexec_b64 s[16:17], s[4:5]
	s_cbranch_execz .LBB305_153
; %bb.148:                              ;   in Loop: Header=BB305_9 Depth=1
	v_cmp_ne_u16_e64 s[4:5], s41, v8
	v_bfrev_b32_e32 v17, 1
	s_and_saveexec_b64 s[34:35], s[4:5]
	s_cbranch_execz .LBB305_152
; %bb.149:                              ;   in Loop: Header=BB305_9 Depth=1
	v_and_b32_e32 v19, 0x7f, v8
	v_cmp_ne_u32_e64 s[4:5], s42, v19
	v_mov_b32_e32 v17, 0x7f800001
	s_and_saveexec_b64 s[36:37], s[4:5]
	s_cbranch_execz .LBB305_151
; %bb.150:                              ;   in Loop: Header=BB305_9 Depth=1
	v_and_b32_e32 v17, 7, v8
	v_lshrrev_b32_e32 v21, 3, v19
	v_cmp_gt_u32_e64 s[4:5], 8, v19
	v_ffbh_u32_e32 v19, v17
	v_min_u32_e32 v23, 32, v19
	v_subrev_u32_e32 v19, 28, v23
	v_lshlrev_b64 v[19:20], v19, v[8:9]
	v_sub_u32_e32 v8, 29, v23
	v_and_b32_e32 v19, 7, v19
	v_cndmask_b32_e64 v8, v21, v8, s[4:5]
	v_cndmask_b32_e64 v17, v17, v19, s[4:5]
	v_lshlrev_b32_e32 v7, 16, v7
	v_lshlrev_b32_e32 v17, 20, v17
	v_and_b32_e32 v7, 0x80000000, v7
	v_lshl_add_u32 v8, v8, 23, v48
	v_or3_b32 v17, v7, v8, v17
.LBB305_151:                            ;   in Loop: Header=BB305_9 Depth=1
	s_or_b64 exec, exec, s[36:37]
.LBB305_152:                            ;   in Loop: Header=BB305_9 Depth=1
	s_or_b64 exec, exec, s[34:35]
.LBB305_153:                            ;   in Loop: Header=BB305_9 Depth=1
	s_or_b64 exec, exec, s[16:17]
	global_load_ushort v8, v[5:6], off offset:1536
	s_waitcnt vmcnt(0)
	v_and_b32_e32 v7, 0xffff, v8
	v_cmp_ne_u16_sdwa s[4:5], v8, v47 src0_sel:BYTE_0 src1_sel:DWORD
	s_and_saveexec_b64 s[16:17], s[4:5]
	s_cbranch_execz .LBB305_159
; %bb.154:                              ;   in Loop: Header=BB305_9 Depth=1
	v_cmp_ne_u16_sdwa s[4:5], v7, s41 src0_sel:BYTE_0 src1_sel:DWORD
	v_bfrev_b32_e32 v18, 1
	s_and_saveexec_b64 s[34:35], s[4:5]
	s_cbranch_execz .LBB305_158
; %bb.155:                              ;   in Loop: Header=BB305_9 Depth=1
	v_and_b32_e32 v8, 0x7f, v7
	v_cmp_ne_u32_e64 s[4:5], s42, v8
	v_mov_b32_e32 v18, 0x7f800001
	s_and_saveexec_b64 s[36:37], s[4:5]
	s_cbranch_execz .LBB305_157
; %bb.156:                              ;   in Loop: Header=BB305_9 Depth=1
	v_and_b32_e32 v20, 7, v7
	v_lshrrev_b32_e32 v21, 3, v8
	v_cmp_gt_u32_e64 s[4:5], 8, v8
	v_ffbh_u32_e32 v8, v20
	v_min_u32_e32 v8, 32, v8
	v_subrev_u32_e32 v18, 28, v8
	v_lshlrev_b64 v[18:19], v18, v[7:8]
	v_sub_u32_e32 v8, 29, v8
	v_and_b32_e32 v18, 7, v18
	v_cndmask_b32_e64 v8, v21, v8, s[4:5]
	v_cndmask_b32_e64 v18, v20, v18, s[4:5]
	v_lshlrev_b32_e32 v19, 24, v7
	v_lshlrev_b32_e32 v18, 20, v18
	v_and_b32_e32 v19, 0x80000000, v19
	v_lshl_add_u32 v8, v8, 23, v48
	v_or3_b32 v18, v19, v8, v18
.LBB305_157:                            ;   in Loop: Header=BB305_9 Depth=1
	s_or_b64 exec, exec, s[36:37]
.LBB305_158:                            ;   in Loop: Header=BB305_9 Depth=1
	s_or_b64 exec, exec, s[34:35]
.LBB305_159:                            ;   in Loop: Header=BB305_9 Depth=1
	s_or_b64 exec, exec, s[16:17]
	v_lshrrev_b16_e32 v8, 8, v7
	v_cmp_ne_u16_e64 s[4:5], 0, v8
	v_mov_b32_e32 v21, 0
	v_mov_b32_e32 v20, 0
	s_and_saveexec_b64 s[16:17], s[4:5]
	s_cbranch_execz .LBB305_165
; %bb.160:                              ;   in Loop: Header=BB305_9 Depth=1
	v_cmp_ne_u16_e64 s[4:5], s41, v8
	v_bfrev_b32_e32 v20, 1
	s_and_saveexec_b64 s[34:35], s[4:5]
	s_cbranch_execz .LBB305_164
; %bb.161:                              ;   in Loop: Header=BB305_9 Depth=1
	v_and_b32_e32 v19, 0x7f, v8
	v_cmp_ne_u32_e64 s[4:5], s42, v19
	v_mov_b32_e32 v20, 0x7f800001
	s_and_saveexec_b64 s[36:37], s[4:5]
	s_cbranch_execz .LBB305_163
; %bb.162:                              ;   in Loop: Header=BB305_9 Depth=1
	v_and_b32_e32 v23, 7, v8
	v_lshrrev_b32_e32 v24, 3, v19
	v_cmp_gt_u32_e64 s[4:5], 8, v19
	v_ffbh_u32_e32 v19, v23
	v_min_u32_e32 v25, 32, v19
	v_subrev_u32_e32 v19, 28, v25
	v_lshlrev_b64 v[19:20], v19, v[8:9]
	v_sub_u32_e32 v8, 29, v25
	v_and_b32_e32 v19, 7, v19
	v_cndmask_b32_e64 v8, v24, v8, s[4:5]
	v_cndmask_b32_e64 v19, v23, v19, s[4:5]
	v_lshlrev_b32_e32 v7, 16, v7
	v_lshlrev_b32_e32 v19, 20, v19
	v_and_b32_e32 v7, 0x80000000, v7
	v_lshl_add_u32 v8, v8, 23, v48
	v_or3_b32 v20, v7, v8, v19
.LBB305_163:                            ;   in Loop: Header=BB305_9 Depth=1
	s_or_b64 exec, exec, s[36:37]
.LBB305_164:                            ;   in Loop: Header=BB305_9 Depth=1
	s_or_b64 exec, exec, s[34:35]
.LBB305_165:                            ;   in Loop: Header=BB305_9 Depth=1
	s_or_b64 exec, exec, s[16:17]
	global_load_ushort v6, v[5:6], off offset:1544
	s_waitcnt vmcnt(0)
	v_and_b32_e32 v5, 0xffff, v6
	v_cmp_ne_u16_sdwa s[4:5], v6, v47 src0_sel:BYTE_0 src1_sel:DWORD
	s_and_saveexec_b64 s[16:17], s[4:5]
	s_cbranch_execz .LBB305_171
; %bb.166:                              ;   in Loop: Header=BB305_9 Depth=1
	v_cmp_ne_u16_sdwa s[4:5], v5, s41 src0_sel:BYTE_0 src1_sel:DWORD
	v_bfrev_b32_e32 v21, 1
	s_and_saveexec_b64 s[34:35], s[4:5]
	s_cbranch_execz .LBB305_170
; %bb.167:                              ;   in Loop: Header=BB305_9 Depth=1
	v_and_b32_e32 v6, 0x7f, v5
	v_cmp_ne_u32_e64 s[4:5], s42, v6
	v_mov_b32_e32 v21, 0x7f800001
	s_and_saveexec_b64 s[36:37], s[4:5]
	s_cbranch_execz .LBB305_169
; %bb.168:                              ;   in Loop: Header=BB305_9 Depth=1
	v_and_b32_e32 v8, 7, v5
	v_lshrrev_b32_e32 v19, 3, v6
	v_cmp_gt_u32_e64 s[4:5], 8, v6
	v_ffbh_u32_e32 v6, v8
	v_min_u32_e32 v21, 32, v6
	v_subrev_u32_e32 v6, 28, v21
	v_lshlrev_b64 v[6:7], v6, v[5:6]
	v_sub_u32_e32 v7, 29, v21
	v_and_b32_e32 v6, 7, v6
	v_cndmask_b32_e64 v7, v19, v7, s[4:5]
	v_cndmask_b32_e64 v6, v8, v6, s[4:5]
	v_lshlrev_b32_e32 v8, 24, v5
	v_lshlrev_b32_e32 v6, 20, v6
	v_and_b32_e32 v8, 0x80000000, v8
	v_lshl_add_u32 v7, v7, 23, v48
	v_or3_b32 v21, v8, v7, v6
.LBB305_169:                            ;   in Loop: Header=BB305_9 Depth=1
	s_or_b64 exec, exec, s[36:37]
.LBB305_170:                            ;   in Loop: Header=BB305_9 Depth=1
	s_or_b64 exec, exec, s[34:35]
.LBB305_171:                            ;   in Loop: Header=BB305_9 Depth=1
	s_or_b64 exec, exec, s[16:17]
	v_lshrrev_b16_e32 v6, 8, v5
	v_cmp_ne_u16_e64 s[4:5], 0, v6
	v_mov_b32_e32 v19, 0
	s_and_saveexec_b64 s[16:17], s[4:5]
	s_cbranch_execz .LBB305_177
; %bb.172:                              ;   in Loop: Header=BB305_9 Depth=1
	v_cmp_ne_u16_e64 s[4:5], s41, v6
	v_bfrev_b32_e32 v19, 1
	s_and_saveexec_b64 s[34:35], s[4:5]
	s_cbranch_execz .LBB305_176
; %bb.173:                              ;   in Loop: Header=BB305_9 Depth=1
	v_and_b32_e32 v7, 0x7f, v6
	v_cmp_ne_u32_e64 s[4:5], s42, v7
	v_mov_b32_e32 v19, 0x7f800001
	s_and_saveexec_b64 s[36:37], s[4:5]
	s_cbranch_execz .LBB305_175
; %bb.174:                              ;   in Loop: Header=BB305_9 Depth=1
	v_and_b32_e32 v8, 7, v6
	v_lshrrev_b32_e32 v19, 3, v7
	v_cmp_gt_u32_e64 s[4:5], 8, v7
	v_ffbh_u32_e32 v7, v8
	v_min_u32_e32 v23, 32, v7
	v_subrev_u32_e32 v7, 28, v23
	v_lshlrev_b64 v[6:7], v7, v[6:7]
	v_sub_u32_e32 v7, 29, v23
	v_and_b32_e32 v6, 7, v6
	v_cndmask_b32_e64 v7, v19, v7, s[4:5]
	v_cndmask_b32_e64 v6, v8, v6, s[4:5]
	v_lshlrev_b32_e32 v5, 16, v5
	v_lshlrev_b32_e32 v6, 20, v6
	v_and_b32_e32 v5, 0x80000000, v5
	v_lshl_add_u32 v7, v7, 23, v48
	v_or3_b32 v19, v5, v7, v6
.LBB305_175:                            ;   in Loop: Header=BB305_9 Depth=1
	s_or_b64 exec, exec, s[36:37]
.LBB305_176:                            ;   in Loop: Header=BB305_9 Depth=1
	s_or_b64 exec, exec, s[34:35]
.LBB305_177:                            ;   in Loop: Header=BB305_9 Depth=1
	s_or_b64 exec, exec, s[16:17]
	s_waitcnt lgkmcnt(0)
	v_mul_f32_e32 v5, s40, v21
	v_bfe_u32 v6, v5, 16, 1
	v_add3_u32 v6, v6, v5, s43
	v_or_b32_e32 v7, 0x400000, v5
	v_cmp_u_f32_e64 s[4:5], v5, v5
	v_cndmask_b32_e64 v5, v6, v7, s[4:5]
	v_mul_f32_e32 v6, s40, v20
	v_bfe_u32 v7, v6, 16, 1
	v_add3_u32 v7, v7, v6, s43
	v_or_b32_e32 v8, 0x400000, v6
	v_cmp_u_f32_e64 s[4:5], v6, v6
	v_cndmask_b32_e64 v6, v7, v8, s[4:5]
	;; [unrolled: 6-line block ×3, first 2 shown]
	v_mul_f32_e32 v8, s40, v17
	v_bfe_u32 v17, v8, 16, 1
	v_add3_u32 v17, v17, v8, s43
	v_or_b32_e32 v18, 0x400000, v8
	v_cmp_u_f32_e64 s[4:5], v8, v8
	v_mul_f32_e32 v16, s40, v16
	v_cndmask_b32_e64 v8, v17, v18, s[4:5]
	v_bfe_u32 v17, v16, 16, 1
	v_add3_u32 v17, v17, v16, s43
	v_or_b32_e32 v18, 0x400000, v16
	v_cmp_u_f32_e64 s[4:5], v16, v16
	v_mul_f32_e32 v15, s40, v15
	v_cndmask_b32_e64 v16, v17, v18, s[4:5]
	;; [unrolled: 6-line block ×9, first 2 shown]
	v_bfe_u32 v17, v9, 16, 1
	v_add3_u32 v17, v17, v9, s43
	v_or_b32_e32 v18, 0x400000, v9
	v_cmp_u_f32_e64 s[4:5], v9, v9
	v_cndmask_b32_e64 v9, v17, v18, s[4:5]
	v_mul_f32_e32 v17, s40, v63
	v_bfe_u32 v18, v17, 16, 1
	v_add3_u32 v18, v18, v17, s43
	v_or_b32_e32 v20, 0x400000, v17
	v_cmp_u_f32_e64 s[4:5], v17, v17
	v_cndmask_b32_e64 v17, v18, v20, s[4:5]
	v_mul_f32_e32 v18, s40, v62
	;; [unrolled: 6-line block ×7, first 2 shown]
	v_bfe_u32 v57, v25, 16, 1
	v_add3_u32 v57, v57, v25, s43
	v_or_b32_e32 v58, 0x400000, v25
	v_cmp_u_f32_e64 s[4:5], v25, v25
	v_mul_f32_e32 v56, s40, v56
	v_cndmask_b32_e64 v25, v57, v58, s[4:5]
	v_bfe_u32 v57, v56, 16, 1
	v_add3_u32 v57, v57, v56, s43
	v_or_b32_e32 v58, 0x400000, v56
	v_cmp_u_f32_e64 s[4:5], v56, v56
	v_mul_f32_e32 v55, s40, v55
	v_cndmask_b32_e64 v56, v57, v58, s[4:5]
	;; [unrolled: 6-line block ×8, first 2 shown]
	v_bfe_u32 v57, v19, 16, 1
	v_add3_u32 v57, v57, v19, s43
	v_or_b32_e32 v58, 0x400000, v19
	v_cmp_u_f32_e64 s[4:5], v19, v19
	v_cndmask_b32_e64 v19, v57, v58, s[4:5]
	buffer_load_dword v57, off, s[44:47], 0 offset:8 ; 4-byte Folded Reload
	v_and_b32_e32 v52, 0xffff0000, v52
	v_and_b32_e32 v50, 0xffff0000, v50
	v_and_b32_e32 v53, 0xffff0000, v53
	v_and_b32_e32 v51, 0xffff0000, v51
	v_and_b32_e32 v25, 0xffff0000, v25
	v_and_b32_e32 v24, 0xffff0000, v24
	v_and_b32_e32 v23, 0xffff0000, v23
	v_and_b32_e32 v21, 0xffff0000, v21
	v_and_b32_e32 v20, 0xffff0000, v20
	v_and_b32_e32 v18, 0xffff0000, v18
	v_and_b32_e32 v17, 0xffff0000, v17
	v_and_b32_e32 v9, 0xffff0000, v9
	v_and_b32_e32 v12, 0xffff0000, v12
	v_and_b32_e32 v0, 0xffff0000, v0
	v_and_b32_e32 v8, 0xffff0000, v8
	v_and_b32_e32 v6, 0xffff0000, v6
	s_waitcnt vmcnt(0)
	v_mul_f32_e32 v52, v57, v52
	buffer_load_dword v57, off, s[44:47], 0 ; 4-byte Folded Reload
	s_waitcnt vmcnt(0)
	v_fmac_f32_e32 v52, v57, v50
	buffer_load_dword v50, off, s[44:47], 0 offset:12 ; 4-byte Folded Reload
	s_waitcnt vmcnt(0)
	v_mul_f32_e32 v50, v50, v53
	buffer_load_dword v53, off, s[44:47], 0 offset:4 ; 4-byte Folded Reload
	s_waitcnt vmcnt(0)
	v_fmac_f32_e32 v50, v53, v51
	v_and_b32_e32 v51, 0xffff0000, v54
	buffer_load_dword v54, off, s[44:47], 0 offset:16 ; 4-byte Folded Reload
	v_and_b32_e32 v53, 0xffff0000, v55
	s_waitcnt vmcnt(0)
	v_fmac_f32_e32 v52, v54, v51
	buffer_load_dword v51, off, s[44:47], 0 offset:20 ; 4-byte Folded Reload
	s_waitcnt vmcnt(0)
	v_fmac_f32_e32 v50, v51, v53
	buffer_load_dword v53, off, s[44:47], 0 offset:24 ; 4-byte Folded Reload
	v_and_b32_e32 v51, 0xffff0000, v56
	s_waitcnt vmcnt(0)
	v_fmac_f32_e32 v52, v53, v51
	buffer_load_dword v51, off, s[44:47], 0 offset:28 ; 4-byte Folded Reload
	s_waitcnt vmcnt(0)
	v_fmac_f32_e32 v50, v51, v25
	buffer_load_dword v25, off, s[44:47], 0 offset:32 ; 4-byte Folded Reload
	;; [unrolled: 3-line block ×5, first 2 shown]
	v_fmac_f32_e32 v52, v26, v18
	v_fmac_f32_e32 v52, v28, v9
	v_and_b32_e32 v9, 0xffff0000, v11
	v_fmac_f32_e32 v52, v30, v9
	v_and_b32_e32 v9, 0xffff0000, v13
	s_waitcnt vmcnt(0)
	v_fmac_f32_e32 v50, v21, v20
	v_fmac_f32_e32 v50, v27, v17
	v_fmac_f32_e32 v50, v29, v12
	v_fmac_f32_e32 v50, v31, v0
	v_and_b32_e32 v0, 0xffff0000, v10
	v_fmac_f32_e32 v52, v32, v0
	v_fmac_f32_e32 v50, v33, v9
	v_and_b32_e32 v0, 0xffff0000, v14
	v_and_b32_e32 v9, 0xffff0000, v15
	v_fmac_f32_e32 v52, v34, v0
	v_fmac_f32_e32 v50, v35, v9
	v_and_b32_e32 v0, 0xffff0000, v16
	v_fmac_f32_e32 v52, v36, v0
	v_fmac_f32_e32 v50, v37, v8
	;; [unrolled: 3-line block ×3, first 2 shown]
	v_and_b32_e32 v0, 0xffff0000, v5
	v_and_b32_e32 v5, 0xffff0000, v19
	v_fmac_f32_e32 v52, v40, v0
	v_fmac_f32_e32 v50, v41, v5
	v_add_f32_e32 v0, v52, v50
	ds_bpermute_b32 v5, v43, v0
	s_waitcnt lgkmcnt(0)
	v_add_f32_e32 v0, v0, v5
	ds_bpermute_b32 v5, v44, v0
	s_and_saveexec_b64 s[16:17], vcc
	s_cbranch_execz .LBB305_8
; %bb.178:                              ;   in Loop: Header=BB305_9 Depth=1
	v_add_u32_e32 v6, s38, v45
	v_cvt_f32_i32_e32 v6, v6
	s_waitcnt lgkmcnt(0)
	v_add_f32_e32 v0, v0, v5
	v_cmp_gt_i32_e64 s[4:5], s30, v45
	v_max_f32_e32 v5, v42, v42
	v_mul_f32_e32 v6, s33, v6
	v_cndmask_b32_e64 v6, 0, v6, s[2:3]
	v_fmac_f32_e32 v6, s31, v0
	v_cndmask_b32_e64 v0, 0, v6, s[4:5]
	ds_write_b32 v46, v0
	v_max_f32_e32 v0, v5, v6
	v_cndmask_b32_e64 v42, v42, v0, s[4:5]
	s_branch .LBB305_8
.LBB305_179:
	s_or_b64 exec, exec, s[14:15]
	buffer_load_dword v12, off, s[44:47], 0 offset:48 ; 4-byte Folded Reload
	buffer_load_dword v13, off, s[44:47], 0 offset:52 ; 4-byte Folded Reload
	;; [unrolled: 1-line block ×4, first 2 shown]
	s_waitcnt vmcnt(0)
	v_add_u32_e32 v15, 64, v9
.LBB305_180:
	s_or_b64 exec, exec, s[6:7]
	v_xor_b32_e32 v0, 32, v14
	v_cmp_lt_i32_e32 vcc, v0, v15
	v_cndmask_b32_e32 v0, v14, v0, vcc
	v_lshlrev_b32_e32 v1, 2, v0
	ds_bpermute_b32 v0, v1, v42
	v_xor_b32_e32 v3, 16, v14
	v_max_f32_e32 v2, v42, v42
	v_cmp_lt_i32_e32 vcc, v3, v15
	v_xor_b32_e32 v4, 8, v14
	s_waitcnt lgkmcnt(0)
	v_max_f32_e32 v0, v0, v0
	v_max_f32_e32 v0, v2, v0
	v_cndmask_b32_e32 v2, v14, v3, vcc
	v_lshlrev_b32_e32 v2, 2, v2
	ds_bpermute_b32 v3, v2, v0
	v_cmp_lt_i32_e32 vcc, v4, v15
	v_xor_b32_e32 v6, 4, v14
	s_waitcnt lgkmcnt(0)
	v_max_f32_e32 v3, v3, v3
	v_max_f32_e32 v0, v0, v3
	v_cndmask_b32_e32 v3, v14, v4, vcc
	v_lshlrev_b32_e32 v5, 2, v3
	ds_bpermute_b32 v3, v5, v0
	v_cmp_lt_i32_e32 vcc, v6, v15
	s_waitcnt lgkmcnt(0)
	v_max_f32_e32 v3, v3, v3
	v_max_f32_e32 v4, v0, v3
	v_cndmask_b32_e32 v0, v14, v6, vcc
	v_lshlrev_b32_e32 v6, 2, v0
	ds_bpermute_b32 v7, v6, v4
	v_and_b32_e32 v0, 63, v12
	v_cmp_eq_u32_e32 vcc, 0, v0
	v_lshlrev_b32_e32 v3, 2, v22
	s_and_saveexec_b64 s[2:3], vcc
	s_cbranch_execz .LBB305_182
; %bb.181:
	s_waitcnt lgkmcnt(0)
	v_max_f32_e32 v7, v7, v7
	v_max_f32_e32 v4, v4, v4
	;; [unrolled: 1-line block ×3, first 2 shown]
	ds_write_b32 v3, v4 offset:224
.LBB305_182:
	s_or_b64 exec, exec, s[2:3]
	v_cmp_gt_u32_e64 s[2:3], 2, v0
	s_waitcnt lgkmcnt(0)
	v_mov_b32_e32 v7, 0xff7fffff
	v_lshlrev_b32_e32 v4, 2, v0
	s_barrier
	s_and_saveexec_b64 s[4:5], s[2:3]
; %bb.183:
	ds_read_b32 v7, v4 offset:224
; %bb.184:
	s_or_b64 exec, exec, s[4:5]
	v_xor_b32_e32 v8, 1, v14
	v_cmp_lt_i32_e64 s[4:5], v8, v15
	v_cndmask_b32_e64 v8, v14, v8, s[4:5]
	v_lshlrev_b32_e32 v23, 2, v8
	s_waitcnt lgkmcnt(0)
	ds_bpermute_b32 v8, v23, v7
	v_max_f32_e32 v7, v7, v7
	s_lshl_b32 s4, s21, 4
	s_min_i32 s31, s4, s30
	v_cmp_gt_i32_e64 s[4:5], s31, v12
	s_waitcnt lgkmcnt(0)
	v_max_f32_e32 v8, v8, v8
	v_max_f32_e32 v7, v7, v8
	v_lshlrev_b32_e32 v8, 2, v9
	ds_bpermute_b32 v8, v8, v7
	v_mov_b32_e32 v7, 0
	s_and_saveexec_b64 s[14:15], s[4:5]
	s_cbranch_execz .LBB305_188
; %bb.185:
	v_mov_b32_e32 v7, 0xf0
	v_lshl_add_u32 v9, v12, 2, v7
	v_mov_b32_e32 v7, 0
	s_mov_b64 s[16:17], 0
	v_mov_b32_e32 v10, v12
.LBB305_186:                            ; =>This Inner Loop Header: Depth=1
	ds_read_b32 v11, v9
	v_add_u32_e32 v10, 0x80, v10
	v_cmp_le_i32_e64 s[6:7], s31, v10
	s_or_b64 s[16:17], s[6:7], s[16:17]
	s_waitcnt lgkmcnt(0)
	v_sub_f32_e32 v11, v11, v8
	v_mul_f32_e32 v11, 0x3fb8aa3b, v11
	v_exp_f32_e32 v11, v11
	ds_write_b32 v9, v11
	v_add_f32_e32 v7, v7, v11
	v_add_u32_e32 v9, 0x200, v9
	s_andn2_b64 exec, exec, s[16:17]
	s_cbranch_execnz .LBB305_186
; %bb.187:
	s_or_b64 exec, exec, s[16:17]
.LBB305_188:
	s_or_b64 exec, exec, s[14:15]
	ds_bpermute_b32 v1, v1, v7
	s_waitcnt lgkmcnt(0)
	v_add_f32_e32 v1, v7, v1
	ds_bpermute_b32 v2, v2, v1
	s_waitcnt lgkmcnt(0)
	v_add_f32_e32 v1, v1, v2
	ds_bpermute_b32 v2, v5, v1
	v_xor_b32_e32 v5, 2, v14
	v_cmp_lt_i32_e64 s[6:7], v5, v15
	v_cndmask_b32_e64 v5, v14, v5, s[6:7]
	s_waitcnt lgkmcnt(0)
	v_add_f32_e32 v1, v1, v2
	ds_bpermute_b32 v2, v6, v1
	s_waitcnt lgkmcnt(0)
	v_add_f32_e32 v1, v1, v2
	v_lshlrev_b32_e32 v2, 2, v5
	ds_bpermute_b32 v2, v2, v1
	s_waitcnt lgkmcnt(0)
	v_add_f32_e32 v1, v1, v2
	ds_bpermute_b32 v2, v23, v1
	s_waitcnt lgkmcnt(0)
	v_add_f32_e32 v1, v1, v2
	s_and_saveexec_b64 s[6:7], vcc
; %bb.189:
	ds_write_b32 v3, v1 offset:232
; %bb.190:
	s_or_b64 exec, exec, s[6:7]
	s_waitcnt lgkmcnt(0)
	s_barrier
	s_and_saveexec_b64 s[6:7], s[2:3]
; %bb.191:
	ds_read_b32 v1, v4 offset:232
; %bb.192:
	s_or_b64 exec, exec, s[6:7]
	s_waitcnt lgkmcnt(0)
	ds_bpermute_b32 v2, v23, v1
	v_lshlrev_b32_e32 v3, 2, v14
	s_waitcnt lgkmcnt(0)
	v_add_f32_e32 v1, v1, v2
	v_and_b32_e32 v2, 0xffffff00, v3
	ds_bpermute_b32 v1, v2, v1
	s_and_saveexec_b64 s[2:3], s[4:5]
	s_cbranch_execz .LBB305_195
; %bb.193:
	s_waitcnt lgkmcnt(0)
	v_add_f32_e32 v2, 0x358637bd, v1
	v_div_scale_f32 v1, s[4:5], v2, v2, 1.0
	v_div_scale_f32 v3, vcc, 1.0, v2, 1.0
	s_mov_b64 s[4:5], 0
	v_rcp_f32_e32 v4, v1
	v_fma_f32 v5, -v1, v4, 1.0
	v_fmac_f32_e32 v4, v5, v4
	v_mul_f32_e32 v5, v3, v4
	v_fma_f32 v6, -v1, v5, v3
	v_fmac_f32_e32 v5, v6, v4
	v_fma_f32 v1, -v1, v5, v3
	v_div_fmas_f32 v3, v1, v4, v5
	v_mov_b32_e32 v1, 0xf0
	v_lshl_add_u32 v1, v12, 2, v1
	v_div_fixup_f32 v2, v3, v2, 1.0
	v_mov_b32_e32 v3, v12
.LBB305_194:                            ; =>This Inner Loop Header: Depth=1
	ds_read_b32 v4, v1
	v_add_u32_e32 v3, 0x80, v3
	v_cmp_le_i32_e32 vcc, s31, v3
	s_or_b64 s[4:5], vcc, s[4:5]
	s_waitcnt lgkmcnt(0)
	v_mul_f32_e32 v4, v2, v4
	ds_write_b32 v1, v4
	v_add_u32_e32 v1, 0x200, v1
	s_andn2_b64 exec, exec, s[4:5]
	s_cbranch_execnz .LBB305_194
.LBB305_195:
	s_or_b64 exec, exec, s[2:3]
	v_lshrrev_b32_e32 v24, 1, v0
	s_waitcnt lgkmcnt(0)
	s_barrier
	s_and_saveexec_b64 s[2:3], s[0:1]
	s_xor_b64 s[0:1], exec, s[2:3]
; %bb.196:
	v_lshrrev_b32_e32 v24, 1, v0
                                        ; implicit-def: $vgpr22
                                        ; implicit-def: $vgpr13
; %bb.197:
	s_or_saveexec_b64 s[4:5], s[0:1]
	v_mov_b32_e32 v27, 0
	v_and_b32_e32 v25, 1, v12
	v_mov_b32_e32 v29, 0
	v_mov_b32_e32 v28, 0
	;; [unrolled: 1-line block ×3, first 2 shown]
	s_xor_b64 exec, exec, s[4:5]
	s_cbranch_execz .LBB305_403
; %bb.198:
	s_ashr_i32 s0, s12, 31
	v_lshlrev_b32_e32 v0, 3, v12
	s_add_u32 s2, s28, s12
	v_and_b32_e32 v0, 8, v0
	s_addc_u32 s3, s29, s0
	v_or_b32_e32 v1, 0x60, v24
	s_movk_i32 s0, 0x70
	v_cmp_gt_u32_e32 vcc, s0, v1
	v_lshl_or_b32 v31, v1, 4, v0
	v_lshlrev_b32_e32 v1, 4, v22
	s_add_i32 s28, s21, -1
	v_lshl_or_b32 v26, v24, 4, v0
	s_load_dword s29, s[18:19], 0x0
	v_or3_b32 v32, v1, v0, 7
	v_lshlrev_b32_e32 v0, 5, v25
	s_lshl_b64 s[0:1], s[26:27], 2
	v_lshl_or_b32 v0, v22, 6, v0
	s_add_u32 s0, s24, s0
	v_add_u32_e32 v33, 0xf0, v0
	v_and_b32_e32 v0, 60, v13
	s_addc_u32 s1, s25, s1
	s_mov_b32 s6, -1
	v_mov_b32_e32 v1, s1
	v_add_co_u32_e64 v11, s[0:1], s0, v0
	v_mov_b32_e32 v14, s3
	v_mov_b32_e32 v62, v12
	s_mov_b32 s31, s13
	s_mov_b32 s7, 0xffffff
	v_mov_b32_e32 v10, 0
	v_addc_co_u32_e64 v12, s[0:1], 0, v1, s[0:1]
	s_mov_b64 s[12:13], 0
	v_mov_b32_e32 v13, s2
	s_movk_i32 s26, 0x80
	s_movk_i32 s27, 0x7f
	;; [unrolled: 1-line block ×3, first 2 shown]
	s_mov_b32 s34, 0x7060302
	v_bfrev_b32_e32 v34, 60
	v_mov_b32_e32 v30, 0
	v_mov_b32_e32 v28, 0
	;; [unrolled: 1-line block ×4, first 2 shown]
	s_branch .LBB305_201
.LBB305_199:                            ;   in Loop: Header=BB305_201 Depth=1
	s_or_b64 exec, exec, s[2:3]
	v_lshlrev_b32_e32 v9, 16, v7
	v_lshlrev_b32_e32 v43, 16, v55
	v_mul_f32_e32 v9, v9, v43
	v_bfe_u32 v43, v9, 16, 1
	v_add3_u32 v43, v43, v9, s33
	v_or_b32_e32 v55, 0x400000, v9
	v_cmp_u_f32_e64 s[0:1], v9, v9
	v_cndmask_b32_e64 v9, v43, v55, s[0:1]
	v_and_b32_e32 v43, 0xffff0000, v7
	v_lshlrev_b32_e32 v54, 16, v54
	v_mul_f32_e32 v43, v43, v54
	v_bfe_u32 v54, v43, 16, 1
	v_add3_u32 v54, v54, v43, s33
	v_or_b32_e32 v55, 0x400000, v43
	v_cmp_u_f32_e64 s[0:1], v43, v43
	v_cndmask_b32_e64 v43, v54, v55, s[0:1]
	v_lshlrev_b32_e32 v54, 16, v6
	v_lshlrev_b32_e32 v16, 16, v16
	v_mul_f32_e32 v16, v54, v16
	v_bfe_u32 v54, v16, 16, 1
	v_add3_u32 v54, v54, v16, s33
	v_or_b32_e32 v55, 0x400000, v16
	v_cmp_u_f32_e64 s[0:1], v16, v16
	v_cndmask_b32_e64 v16, v54, v55, s[0:1]
	v_and_b32_e32 v54, 0xffff0000, v6
	v_lshlrev_b32_e32 v3, 16, v3
	v_mul_f32_e32 v3, v54, v3
	v_bfe_u32 v54, v3, 16, 1
	v_add3_u32 v54, v54, v3, s33
	v_or_b32_e32 v55, 0x400000, v3
	v_cmp_u_f32_e64 s[0:1], v3, v3
	v_cndmask_b32_e64 v3, v54, v55, s[0:1]
	;; [unrolled: 16-line block ×3, first 2 shown]
	v_lshlrev_b32_e32 v54, 16, v4
	v_lshlrev_b32_e32 v15, 16, v15
	v_mul_f32_e32 v15, v54, v15
	v_bfe_u32 v54, v15, 16, 1
	v_add3_u32 v54, v54, v15, s33
	v_or_b32_e32 v55, 0x400000, v15
	v_cmp_u_f32_e64 s[0:1], v15, v15
	v_cndmask_b32_e64 v15, v54, v55, s[0:1]
	v_and_b32_e32 v54, 0xffff0000, v4
	v_lshlrev_b32_e32 v8, 16, v8
	v_mul_f32_e32 v8, v54, v8
	v_bfe_u32 v54, v8, 16, 1
	v_and_b32_e32 v43, 0xffff0000, v43
	v_and_b32_e32 v9, 0xffff0000, v9
	;; [unrolled: 1-line block ×4, first 2 shown]
	v_add3_u32 v54, v54, v8, s33
	v_or_b32_e32 v55, 0x400000, v8
	v_cmp_u_f32_e64 s[0:1], v8, v8
	v_add_f32_e32 v9, v9, v43
	v_add_f32_e32 v3, v16, v3
	v_and_b32_e32 v1, 0xffff0000, v1
	v_and_b32_e32 v2, 0xffff0000, v2
	v_cndmask_b32_e64 v8, v54, v55, s[0:1]
	v_add_f32_e32 v3, v3, v9
	v_add_f32_e32 v1, v2, v1
	;; [unrolled: 1-line block ×3, first 2 shown]
	v_and_b32_e32 v2, 0xffff0000, v8
	v_and_b32_e32 v3, 0xffff0000, v15
	v_add_f32_e32 v2, v3, v2
	v_add_f32_e32 v1, v2, v1
	v_add_f32_e32 v30, v30, v1
.LBB305_200:                            ;   in Loop: Header=BB305_201 Depth=1
	s_or_b64 exec, exec, s[14:15]
	v_and_b32_e32 v1, 0xffff0000, v7
	v_lshlrev_b32_e32 v2, 16, v52
	v_mul_f32_e32 v2, v1, v2
	v_bfe_u32 v3, v2, 16, 1
	v_add3_u32 v3, v3, v2, s33
	v_or_b32_e32 v8, 0x400000, v2
	v_cmp_u_f32_e64 s[0:1], v2, v2
	v_cndmask_b32_e64 v9, v3, v8, s[0:1]
	v_lshlrev_b32_e32 v2, 16, v7
	v_lshlrev_b32_e32 v3, 16, v53
	v_mul_f32_e32 v3, v2, v3
	v_bfe_u32 v7, v3, 16, 1
	v_add3_u32 v7, v7, v3, s33
	v_or_b32_e32 v8, 0x400000, v3
	v_cmp_u_f32_e64 s[0:1], v3, v3
	v_cndmask_b32_e64 v15, v7, v8, s[0:1]
	v_and_b32_e32 v3, 0xffff0000, v6
	v_lshlrev_b32_e32 v7, 16, v19
	v_mul_f32_e32 v7, v3, v7
	v_bfe_u32 v8, v7, 16, 1
	v_add3_u32 v8, v8, v7, s33
	v_or_b32_e32 v16, 0x400000, v7
	v_cmp_u_f32_e64 s[0:1], v7, v7
	v_lshlrev_b32_e32 v6, 16, v6
	v_lshlrev_b32_e32 v7, 16, v50
	v_mul_f32_e32 v7, v6, v7
	v_cndmask_b32_e64 v16, v8, v16, s[0:1]
	v_bfe_u32 v8, v7, 16, 1
	v_add3_u32 v8, v8, v7, s33
	v_or_b32_e32 v19, 0x400000, v7
	v_cmp_u_f32_e64 s[0:1], v7, v7
	v_cndmask_b32_e64 v19, v8, v19, s[0:1]
	v_and_b32_e32 v7, 0xffff0000, v5
	v_lshlrev_b32_e32 v8, 16, v17
	v_mul_f32_e32 v8, v7, v8
	v_bfe_u32 v17, v8, 16, 1
	v_add3_u32 v17, v17, v8, s33
	v_or_b32_e32 v43, 0x400000, v8
	v_cmp_u_f32_e64 s[0:1], v8, v8
	v_lshlrev_b32_e32 v5, 16, v5
	v_lshlrev_b32_e32 v8, 16, v18
	v_mul_f32_e32 v8, v5, v8
	v_bfe_u32 v18, v8, 16, 1
	v_cndmask_b32_e64 v17, v17, v43, s[0:1]
	v_add3_u32 v18, v18, v8, s33
	v_or_b32_e32 v43, 0x400000, v8
	v_cmp_u_f32_e64 s[0:1], v8, v8
	v_cndmask_b32_e64 v18, v18, v43, s[0:1]
	v_and_b32_e32 v8, 0xffff0000, v4
	v_lshlrev_b32_e32 v43, 16, v51
	v_mul_f32_e32 v43, v8, v43
	v_bfe_u32 v50, v43, 16, 1
	v_lshlrev_b32_e32 v4, 16, v4
	v_lshlrev_b32_e32 v0, 16, v0
	v_and_b32_e32 v15, 0xffff0000, v15
	v_and_b32_e32 v9, 0xffff0000, v9
	v_add3_u32 v50, v50, v43, s33
	v_or_b32_e32 v51, 0x400000, v43
	v_cmp_u_f32_e64 s[0:1], v43, v43
	v_mul_f32_e32 v0, v4, v0
	v_add_f32_e32 v9, v15, v9
	v_and_b32_e32 v15, 0xffff0000, v19
	v_and_b32_e32 v16, 0xffff0000, v16
	v_cndmask_b32_e64 v43, v50, v51, s[0:1]
	v_bfe_u32 v50, v0, 16, 1
	v_add_f32_e32 v15, v15, v16
	v_add3_u32 v50, v50, v0, s33
	v_or_b32_e32 v51, 0x400000, v0
	v_cmp_u_f32_e64 s[0:1], v0, v0
	v_add_f32_e32 v9, v15, v9
	v_and_b32_e32 v15, 0xffff0000, v18
	v_and_b32_e32 v16, 0xffff0000, v17
	v_cndmask_b32_e64 v0, v50, v51, s[0:1]
	v_add_f32_e32 v15, v15, v16
	v_add_f32_e32 v9, v15, v9
	v_and_b32_e32 v0, 0xffff0000, v0
	v_and_b32_e32 v15, 0xffff0000, v43
	v_add_f32_e32 v0, v0, v15
	v_add_f32_e32 v0, v0, v9
	;; [unrolled: 1-line block ×3, first 2 shown]
	v_lshlrev_b32_e32 v0, 16, v48
	v_mul_f32_e32 v0, v1, v0
	v_bfe_u32 v9, v0, 16, 1
	v_add3_u32 v9, v9, v0, s33
	v_or_b32_e32 v15, 0x400000, v0
	v_cmp_u_f32_e64 s[0:1], v0, v0
	v_cndmask_b32_e64 v0, v9, v15, s[0:1]
	v_lshlrev_b32_e32 v9, 16, v49
	v_mul_f32_e32 v9, v2, v9
	v_bfe_u32 v15, v9, 16, 1
	v_add3_u32 v15, v15, v9, s33
	v_or_b32_e32 v16, 0x400000, v9
	v_cmp_u_f32_e64 s[0:1], v9, v9
	v_cndmask_b32_e64 v9, v15, v16, s[0:1]
	v_lshlrev_b32_e32 v15, 16, v45
	v_mul_f32_e32 v15, v3, v15
	v_bfe_u32 v16, v15, 16, 1
	v_add3_u32 v16, v16, v15, s33
	v_or_b32_e32 v17, 0x400000, v15
	v_cmp_u_f32_e64 s[0:1], v15, v15
	v_cndmask_b32_e64 v15, v16, v17, s[0:1]
	v_lshlrev_b32_e32 v16, 16, v46
	v_mul_f32_e32 v16, v6, v16
	v_bfe_u32 v17, v16, 16, 1
	v_add3_u32 v17, v17, v16, s33
	v_or_b32_e32 v18, 0x400000, v16
	v_cmp_u_f32_e64 s[0:1], v16, v16
	v_cndmask_b32_e64 v16, v17, v18, s[0:1]
	v_lshlrev_b32_e32 v17, 16, v20
	v_mul_f32_e32 v17, v7, v17
	v_bfe_u32 v18, v17, 16, 1
	v_add3_u32 v18, v18, v17, s33
	v_or_b32_e32 v19, 0x400000, v17
	v_cmp_u_f32_e64 s[0:1], v17, v17
	v_cndmask_b32_e64 v17, v18, v19, s[0:1]
	v_lshlrev_b32_e32 v18, 16, v21
	v_mul_f32_e32 v18, v5, v18
	v_bfe_u32 v19, v18, 16, 1
	v_add3_u32 v19, v19, v18, s33
	v_or_b32_e32 v20, 0x400000, v18
	v_cmp_u_f32_e64 s[0:1], v18, v18
	v_cndmask_b32_e64 v18, v19, v20, s[0:1]
	v_lshlrev_b32_e32 v19, 16, v47
	v_mul_f32_e32 v19, v8, v19
	v_bfe_u32 v20, v19, 16, 1
	v_add3_u32 v20, v20, v19, s33
	v_or_b32_e32 v21, 0x400000, v19
	v_cmp_u_f32_e64 s[0:1], v19, v19
	v_cndmask_b32_e64 v19, v20, v21, s[0:1]
	v_lshlrev_b32_e32 v20, 16, v44
	v_and_b32_e32 v9, 0xffff0000, v9
	v_and_b32_e32 v0, 0xffff0000, v0
	v_mul_f32_e32 v20, v4, v20
	v_add_f32_e32 v0, v9, v0
	v_and_b32_e32 v9, 0xffff0000, v16
	v_and_b32_e32 v15, 0xffff0000, v15
	v_bfe_u32 v21, v20, 16, 1
	v_add_f32_e32 v9, v9, v15
	v_add3_u32 v21, v21, v20, s33
	v_or_b32_e32 v43, 0x400000, v20
	v_cmp_u_f32_e64 s[0:1], v20, v20
	v_add_f32_e32 v0, v9, v0
	v_and_b32_e32 v9, 0xffff0000, v18
	v_and_b32_e32 v15, 0xffff0000, v17
	v_cndmask_b32_e64 v20, v21, v43, s[0:1]
	v_add_f32_e32 v9, v9, v15
	v_add_f32_e32 v0, v9, v0
	v_and_b32_e32 v9, 0xffff0000, v20
	v_and_b32_e32 v15, 0xffff0000, v19
	v_add_f32_e32 v9, v9, v15
	v_add_f32_e32 v0, v9, v0
	;; [unrolled: 1-line block ×3, first 2 shown]
	v_lshlrev_b32_e32 v0, 16, v41
	v_mul_f32_e32 v0, v1, v0
	v_bfe_u32 v1, v0, 16, 1
	v_add3_u32 v1, v1, v0, s33
	v_or_b32_e32 v9, 0x400000, v0
	v_cmp_u_f32_e64 s[0:1], v0, v0
	v_cndmask_b32_e64 v0, v1, v9, s[0:1]
	v_lshlrev_b32_e32 v1, 16, v42
	v_mul_f32_e32 v1, v2, v1
	v_bfe_u32 v2, v1, 16, 1
	v_add3_u32 v2, v2, v1, s33
	v_or_b32_e32 v9, 0x400000, v1
	v_cmp_u_f32_e64 s[0:1], v1, v1
	v_cndmask_b32_e64 v1, v2, v9, s[0:1]
	;; [unrolled: 7-line block ×7, first 2 shown]
	v_lshlrev_b32_e32 v8, 16, v37
	v_and_b32_e32 v1, 0xffff0000, v1
	v_and_b32_e32 v0, 0xffff0000, v0
	v_mul_f32_e32 v4, v4, v8
	v_add_f32_e32 v0, v1, v0
	v_and_b32_e32 v1, 0xffff0000, v3
	v_and_b32_e32 v2, 0xffff0000, v2
	v_bfe_u32 v8, v4, 16, 1
	v_add_f32_e32 v1, v1, v2
	v_add3_u32 v8, v8, v4, s33
	v_or_b32_e32 v9, 0x400000, v4
	v_cmp_u_f32_e64 s[0:1], v4, v4
	v_add_f32_e32 v0, v1, v0
	v_and_b32_e32 v1, 0xffff0000, v5
	v_and_b32_e32 v2, 0xffff0000, v6
	v_cndmask_b32_e64 v4, v8, v9, s[0:1]
	v_add_f32_e32 v1, v1, v2
	v_add_f32_e32 v0, v1, v0
	v_and_b32_e32 v1, 0xffff0000, v4
	v_and_b32_e32 v2, 0xffff0000, v7
	v_add_u32_e32 v22, 2, v22
	v_add_f32_e32 v1, v1, v2
	v_cmp_le_i32_e64 s[0:1], s21, v22
	v_add_f32_e32 v0, v1, v0
	s_or_b64 s[12:13], s[0:1], s[12:13]
	v_add_co_u32_e64 v11, s[0:1], 8, v11
	v_add_f32_e32 v27, v27, v0
	v_add_u32_e32 v32, 32, v32
	v_add_u32_e32 v33, 0x80, v33
	v_addc_co_u32_e64 v12, s[0:1], 0, v12, s[0:1]
	s_andn2_b64 exec, exec, s[12:13]
	s_cbranch_execz .LBB305_402
.LBB305_201:                            ; =>This Inner Loop Header: Depth=1
	global_load_dword v0, v[11:12], off
	s_waitcnt vmcnt(0)
	v_mad_i64_i32 v[15:16], s[0:1], v0, s31, v[13:14]
	v_mov_b32_e32 v0, 0
	v_add_co_u32_e64 v17, s[0:1], v15, v26
	v_addc_co_u32_e64 v18, s[0:1], 0, v16, s[0:1]
	global_load_dwordx2 v[19:20], v[17:18], off
	ds_read2_b64 v[5:8], v33 offset1:1
	ds_read2_b64 v[1:4], v33 offset0:2 offset1:3
	s_waitcnt vmcnt(0)
	v_cmp_ne_u16_sdwa s[0:1], v19, v10 src0_sel:BYTE_0 src1_sel:DWORD
	s_and_saveexec_b64 s[2:3], s[0:1]
	s_cbranch_execz .LBB305_207
; %bb.202:                              ;   in Loop: Header=BB305_201 Depth=1
	v_cmp_ne_u16_sdwa s[0:1], v19, s26 src0_sel:BYTE_0 src1_sel:DWORD
	v_bfrev_b32_e32 v0, 1
	s_and_saveexec_b64 s[14:15], s[0:1]
	s_cbranch_execz .LBB305_206
; %bb.203:                              ;   in Loop: Header=BB305_201 Depth=1
	v_and_b32_e32 v9, 0x7f, v19
	v_cmp_ne_u32_e64 s[0:1], s27, v9
	v_mov_b32_e32 v0, 0x7f800001
	s_and_saveexec_b64 s[16:17], s[0:1]
	s_cbranch_execz .LBB305_205
; %bb.204:                              ;   in Loop: Header=BB305_201 Depth=1
	v_and_b32_e32 v0, 7, v19
	v_ffbh_u32_e32 v0, v0
	v_min_u32_e32 v0, 32, v0
	v_subrev_u32_e32 v35, 28, v0
	v_cmp_gt_u32_e64 s[0:1], 8, v9
	v_lshrrev_b32_e32 v21, 3, v9
	v_cndmask_b32_e64 v9, 0, v35, s[0:1]
	v_lshlrev_b64 v[35:36], v9, v[19:20]
	v_sub_u32_e32 v0, 29, v0
	v_cndmask_b32_e64 v0, v21, v0, s[0:1]
	v_lshlrev_b32_e32 v9, 20, v35
	v_lshlrev_b32_e32 v21, 24, v19
	v_and_b32_e32 v9, 0x700000, v9
	v_and_b32_e32 v21, 0x80000000, v21
	v_lshl_add_u32 v0, v0, 23, v34
	v_or3_b32 v0, v21, v0, v9
.LBB305_205:                            ;   in Loop: Header=BB305_201 Depth=1
	s_or_b64 exec, exec, s[16:17]
.LBB305_206:                            ;   in Loop: Header=BB305_201 Depth=1
	s_or_b64 exec, exec, s[14:15]
.LBB305_207:                            ;   in Loop: Header=BB305_201 Depth=1
	s_or_b64 exec, exec, s[2:3]
	v_lshrrev_b16_e32 v9, 8, v19
	v_cmp_ne_u16_e64 s[0:1], 0, v9
	v_mov_b32_e32 v39, 0
	v_mov_b32_e32 v37, 0
	s_and_saveexec_b64 s[2:3], s[0:1]
	s_cbranch_execz .LBB305_213
; %bb.208:                              ;   in Loop: Header=BB305_201 Depth=1
	v_cmp_ne_u16_e64 s[0:1], s26, v9
	v_bfrev_b32_e32 v37, 1
	s_and_saveexec_b64 s[14:15], s[0:1]
	s_cbranch_execz .LBB305_212
; %bb.209:                              ;   in Loop: Header=BB305_201 Depth=1
	v_and_b32_e32 v21, 0x7f, v9
	v_cmp_ne_u32_e64 s[0:1], s27, v21
	v_mov_b32_e32 v37, 0x7f800001
	s_and_saveexec_b64 s[16:17], s[0:1]
	s_cbranch_execz .LBB305_211
; %bb.210:                              ;   in Loop: Header=BB305_201 Depth=1
	v_and_b32_e32 v37, 7, v9
	v_ffbh_u32_e32 v35, v37
	v_min_u32_e32 v40, 32, v35
	v_subrev_u32_e32 v35, 28, v40
	v_lshlrev_b64 v[35:36], v35, v[9:10]
	v_lshrrev_b32_e32 v38, 3, v21
	v_sub_u32_e32 v9, 29, v40
	v_and_b32_e32 v35, 7, v35
	v_cmp_gt_u32_e64 s[0:1], 8, v21
	v_cndmask_b32_e64 v9, v38, v9, s[0:1]
	v_cndmask_b32_e64 v21, v37, v35, s[0:1]
	v_lshlrev_b32_e32 v35, 16, v19
	v_lshlrev_b32_e32 v21, 20, v21
	v_and_b32_e32 v35, 0x80000000, v35
	v_lshl_add_u32 v9, v9, 23, v34
	v_or3_b32 v37, v35, v9, v21
.LBB305_211:                            ;   in Loop: Header=BB305_201 Depth=1
	s_or_b64 exec, exec, s[16:17]
.LBB305_212:                            ;   in Loop: Header=BB305_201 Depth=1
	s_or_b64 exec, exec, s[14:15]
.LBB305_213:                            ;   in Loop: Header=BB305_201 Depth=1
	s_or_b64 exec, exec, s[2:3]
	v_lshrrev_b32_e32 v9, 16, v19
	v_cmp_ne_u16_sdwa s[0:1], v9, v10 src0_sel:BYTE_0 src1_sel:DWORD
	s_and_saveexec_b64 s[2:3], s[0:1]
	s_cbranch_execz .LBB305_219
; %bb.214:                              ;   in Loop: Header=BB305_201 Depth=1
	v_cmp_ne_u16_sdwa s[0:1], v9, s26 src0_sel:BYTE_0 src1_sel:DWORD
	v_bfrev_b32_e32 v39, 1
	s_and_saveexec_b64 s[14:15], s[0:1]
	s_cbranch_execz .LBB305_218
; %bb.215:                              ;   in Loop: Header=BB305_201 Depth=1
	v_bfe_u32 v21, v19, 16, 7
	v_cmp_ne_u32_e64 s[0:1], s27, v21
	v_mov_b32_e32 v39, 0x7f800001
	s_and_saveexec_b64 s[16:17], s[0:1]
	s_cbranch_execz .LBB305_217
; %bb.216:                              ;   in Loop: Header=BB305_201 Depth=1
	v_and_b32_e32 v38, 7, v9
	v_ffbh_u32_e32 v35, v38
	v_min_u32_e32 v40, 32, v35
	v_subrev_u32_e32 v35, 28, v40
	v_lshlrev_b64 v[35:36], v35, v[9:10]
	v_lshrrev_b32_e32 v39, 3, v21
	v_sub_u32_e32 v36, 29, v40
	v_and_b32_e32 v35, 7, v35
	v_cmp_gt_u32_e64 s[0:1], 8, v21
	v_cndmask_b32_e64 v21, v39, v36, s[0:1]
	v_cndmask_b32_e64 v35, v38, v35, s[0:1]
	v_lshlrev_b32_e32 v9, 24, v9
	v_lshlrev_b32_e32 v35, 20, v35
	v_and_b32_e32 v9, 0x80000000, v9
	v_lshl_add_u32 v21, v21, 23, v34
	v_or3_b32 v39, v9, v21, v35
.LBB305_217:                            ;   in Loop: Header=BB305_201 Depth=1
	s_or_b64 exec, exec, s[16:17]
.LBB305_218:                            ;   in Loop: Header=BB305_201 Depth=1
	s_or_b64 exec, exec, s[14:15]
.LBB305_219:                            ;   in Loop: Header=BB305_201 Depth=1
	s_or_b64 exec, exec, s[2:3]
	v_cmp_lt_u32_e64 s[0:1], s7, v19
	v_mov_b32_e32 v36, 0
	v_mov_b32_e32 v38, 0
	s_and_saveexec_b64 s[2:3], s[0:1]
	s_cbranch_execz .LBB305_225
; %bb.220:                              ;   in Loop: Header=BB305_201 Depth=1
	v_lshrrev_b32_e32 v9, 24, v19
	v_cmp_ne_u32_e64 s[0:1], s26, v9
	v_bfrev_b32_e32 v38, 1
	s_and_saveexec_b64 s[14:15], s[0:1]
	s_cbranch_execz .LBB305_224
; %bb.221:                              ;   in Loop: Header=BB305_201 Depth=1
	v_bfe_u32 v21, v19, 24, 7
	v_cmp_ne_u32_e64 s[0:1], s27, v21
	v_mov_b32_e32 v38, 0x7f800001
	s_and_saveexec_b64 s[16:17], s[0:1]
	s_cbranch_execz .LBB305_223
; %bb.222:                              ;   in Loop: Header=BB305_201 Depth=1
	v_and_b32_e32 v35, 7, v9
	v_ffbh_u32_e32 v40, v35
	v_min_u32_e32 v42, 32, v40
	v_subrev_u32_e32 v40, 28, v42
	v_lshlrev_b64 v[40:41], v40, v[9:10]
	v_lshrrev_b32_e32 v38, 3, v21
	v_sub_u32_e32 v41, 29, v42
	v_and_b32_e32 v40, 7, v40
	v_cmp_gt_u32_e64 s[0:1], 8, v21
	v_cndmask_b32_e64 v21, v38, v41, s[0:1]
	v_cndmask_b32_e64 v35, v35, v40, s[0:1]
	v_lshlrev_b32_e32 v9, 24, v9
	v_lshlrev_b32_e32 v35, 20, v35
	v_and_b32_e32 v9, 0x80000000, v9
	v_lshl_add_u32 v21, v21, 23, v34
	v_or3_b32 v38, v9, v21, v35
.LBB305_223:                            ;   in Loop: Header=BB305_201 Depth=1
	s_or_b64 exec, exec, s[16:17]
.LBB305_224:                            ;   in Loop: Header=BB305_201 Depth=1
	s_or_b64 exec, exec, s[14:15]
.LBB305_225:                            ;   in Loop: Header=BB305_201 Depth=1
	s_or_b64 exec, exec, s[2:3]
	v_mov_b32_e32 v9, v20
	v_cmp_ne_u16_sdwa s[0:1], v20, v10 src0_sel:BYTE_0 src1_sel:DWORD
	s_and_saveexec_b64 s[2:3], s[0:1]
	s_cbranch_execz .LBB305_231
; %bb.226:                              ;   in Loop: Header=BB305_201 Depth=1
	v_cmp_ne_u16_sdwa s[0:1], v20, s26 src0_sel:BYTE_0 src1_sel:DWORD
	v_bfrev_b32_e32 v36, 1
	s_and_saveexec_b64 s[14:15], s[0:1]
	s_cbranch_execz .LBB305_230
; %bb.227:                              ;   in Loop: Header=BB305_201 Depth=1
	v_and_b32_e32 v21, 0x7f, v20
	v_cmp_ne_u32_e64 s[0:1], s27, v21
	v_mov_b32_e32 v36, 0x7f800001
	s_and_saveexec_b64 s[16:17], s[0:1]
	s_cbranch_execz .LBB305_229
; %bb.228:                              ;   in Loop: Header=BB305_201 Depth=1
	v_and_b32_e32 v35, 7, v20
	v_ffbh_u32_e32 v35, v35
	v_min_u32_e32 v35, 32, v35
	v_lshrrev_b32_e32 v36, 3, v21
	v_subrev_u32_e32 v40, 28, v35
	v_sub_u32_e32 v35, 29, v35
	v_cmp_gt_u32_e64 s[0:1], 8, v21
	v_cndmask_b32_e64 v21, v36, v35, s[0:1]
	v_cndmask_b32_e64 v35, 0, v40, s[0:1]
	v_lshlrev_b64 v[35:36], v35, v[9:10]
	v_lshlrev_b32_e32 v36, 24, v9
	v_lshlrev_b32_e32 v35, 20, v35
	v_and_b32_e32 v35, 0x700000, v35
	v_and_b32_e32 v36, 0x80000000, v36
	v_lshl_add_u32 v21, v21, 23, v34
	v_or3_b32 v36, v36, v21, v35
.LBB305_229:                            ;   in Loop: Header=BB305_201 Depth=1
	s_or_b64 exec, exec, s[16:17]
.LBB305_230:                            ;   in Loop: Header=BB305_201 Depth=1
	s_or_b64 exec, exec, s[14:15]
.LBB305_231:                            ;   in Loop: Header=BB305_201 Depth=1
	s_or_b64 exec, exec, s[2:3]
	v_lshrrev_b16_e32 v21, 8, v9
	v_cmp_ne_u16_e64 s[0:1], 0, v21
	v_mov_b32_e32 v40, 0
	v_mov_b32_e32 v35, 0
	s_and_saveexec_b64 s[2:3], s[0:1]
	s_cbranch_execz .LBB305_237
; %bb.232:                              ;   in Loop: Header=BB305_201 Depth=1
	v_cmp_ne_u16_e64 s[0:1], s26, v21
	v_bfrev_b32_e32 v35, 1
	s_and_saveexec_b64 s[14:15], s[0:1]
	s_cbranch_execz .LBB305_236
; %bb.233:                              ;   in Loop: Header=BB305_201 Depth=1
	v_and_b32_e32 v41, 0x7f, v21
	v_cmp_ne_u32_e64 s[0:1], s27, v41
	v_mov_b32_e32 v35, 0x7f800001
	s_and_saveexec_b64 s[16:17], s[0:1]
	s_cbranch_execz .LBB305_235
; %bb.234:                              ;   in Loop: Header=BB305_201 Depth=1
	v_and_b32_e32 v35, 7, v21
	v_ffbh_u32_e32 v42, v35
	v_min_u32_e32 v45, 32, v42
	v_subrev_u32_e32 v42, 28, v45
	v_lshlrev_b64 v[42:43], v42, v[21:22]
	v_lshrrev_b32_e32 v44, 3, v41
	v_sub_u32_e32 v21, 29, v45
	v_and_b32_e32 v42, 7, v42
	v_cmp_gt_u32_e64 s[0:1], 8, v41
	v_cndmask_b32_e64 v21, v44, v21, s[0:1]
	v_cndmask_b32_e64 v35, v35, v42, s[0:1]
	v_lshlrev_b32_e32 v9, 16, v9
	v_lshlrev_b32_e32 v35, 20, v35
	v_and_b32_e32 v9, 0x80000000, v9
	v_lshl_add_u32 v21, v21, 23, v34
	v_or3_b32 v35, v9, v21, v35
.LBB305_235:                            ;   in Loop: Header=BB305_201 Depth=1
	s_or_b64 exec, exec, s[16:17]
.LBB305_236:                            ;   in Loop: Header=BB305_201 Depth=1
	s_or_b64 exec, exec, s[14:15]
.LBB305_237:                            ;   in Loop: Header=BB305_201 Depth=1
	s_or_b64 exec, exec, s[2:3]
	v_lshrrev_b32_e32 v9, 16, v20
	v_cmp_ne_u16_sdwa s[0:1], v9, v10 src0_sel:BYTE_0 src1_sel:DWORD
	s_and_saveexec_b64 s[2:3], s[0:1]
	s_cbranch_execz .LBB305_243
; %bb.238:                              ;   in Loop: Header=BB305_201 Depth=1
	v_cmp_ne_u16_sdwa s[0:1], v9, s26 src0_sel:BYTE_0 src1_sel:DWORD
	v_bfrev_b32_e32 v40, 1
	s_and_saveexec_b64 s[14:15], s[0:1]
	s_cbranch_execz .LBB305_242
; %bb.239:                              ;   in Loop: Header=BB305_201 Depth=1
	v_bfe_u32 v21, v20, 16, 7
	v_cmp_ne_u32_e64 s[0:1], s27, v21
	v_mov_b32_e32 v40, 0x7f800001
	s_and_saveexec_b64 s[16:17], s[0:1]
	s_cbranch_execz .LBB305_241
; %bb.240:                              ;   in Loop: Header=BB305_201 Depth=1
	v_and_b32_e32 v42, 7, v9
	v_ffbh_u32_e32 v40, v42
	v_min_u32_e32 v44, 32, v40
	v_subrev_u32_e32 v40, 28, v44
	v_lshlrev_b64 v[40:41], v40, v[9:10]
	v_lshrrev_b32_e32 v43, 3, v21
	v_sub_u32_e32 v41, 29, v44
	v_and_b32_e32 v40, 7, v40
	v_cmp_gt_u32_e64 s[0:1], 8, v21
	v_cndmask_b32_e64 v21, v43, v41, s[0:1]
	v_cndmask_b32_e64 v40, v42, v40, s[0:1]
	v_lshlrev_b32_e32 v9, 24, v9
	v_lshlrev_b32_e32 v40, 20, v40
	v_and_b32_e32 v9, 0x80000000, v9
	v_lshl_add_u32 v21, v21, 23, v34
	v_or3_b32 v40, v9, v21, v40
.LBB305_241:                            ;   in Loop: Header=BB305_201 Depth=1
	s_or_b64 exec, exec, s[16:17]
.LBB305_242:                            ;   in Loop: Header=BB305_201 Depth=1
	s_or_b64 exec, exec, s[14:15]
.LBB305_243:                            ;   in Loop: Header=BB305_201 Depth=1
	s_or_b64 exec, exec, s[2:3]
	v_cmp_lt_u64_e64 s[0:1], s[6:7], v[19:20]
	v_mov_b32_e32 v19, 0
	s_and_saveexec_b64 s[2:3], s[0:1]
	s_cbranch_execz .LBB305_249
; %bb.244:                              ;   in Loop: Header=BB305_201 Depth=1
	v_lshrrev_b32_e32 v9, 24, v20
	v_cmp_ne_u32_e64 s[0:1], s26, v9
	v_bfrev_b32_e32 v19, 1
	s_and_saveexec_b64 s[14:15], s[0:1]
	s_cbranch_execz .LBB305_248
; %bb.245:                              ;   in Loop: Header=BB305_201 Depth=1
	v_bfe_u32 v20, v20, 24, 7
	v_cmp_ne_u32_e64 s[0:1], s27, v20
	v_mov_b32_e32 v19, 0x7f800001
	s_and_saveexec_b64 s[16:17], s[0:1]
	s_cbranch_execz .LBB305_247
; %bb.246:                              ;   in Loop: Header=BB305_201 Depth=1
	v_and_b32_e32 v19, 7, v9
	v_ffbh_u32_e32 v41, v19
	v_min_u32_e32 v43, 32, v41
	v_subrev_u32_e32 v41, 28, v43
	v_lshlrev_b64 v[41:42], v41, v[9:10]
	v_lshrrev_b32_e32 v21, 3, v20
	v_sub_u32_e32 v42, 29, v43
	v_and_b32_e32 v41, 7, v41
	v_cmp_gt_u32_e64 s[0:1], 8, v20
	v_cndmask_b32_e64 v20, v21, v42, s[0:1]
	v_cndmask_b32_e64 v19, v19, v41, s[0:1]
	v_lshlrev_b32_e32 v9, 24, v9
	v_lshlrev_b32_e32 v19, 20, v19
	v_and_b32_e32 v9, 0x80000000, v9
	v_lshl_add_u32 v20, v20, 23, v34
	v_or3_b32 v19, v9, v20, v19
.LBB305_247:                            ;   in Loop: Header=BB305_201 Depth=1
	s_or_b64 exec, exec, s[16:17]
.LBB305_248:                            ;   in Loop: Header=BB305_201 Depth=1
	s_or_b64 exec, exec, s[14:15]
.LBB305_249:                            ;   in Loop: Header=BB305_201 Depth=1
	s_or_b64 exec, exec, s[2:3]
	s_waitcnt lgkmcnt(0)
	v_mul_f32_e32 v9, s29, v35
	v_bfe_u32 v20, v9, 16, 1
	v_add3_u32 v20, v20, v9, s33
	v_or_b32_e32 v21, 0x400000, v9
	v_cmp_u_f32_e64 s[2:3], v9, v9
	v_cndmask_b32_e64 v9, v20, v21, s[2:3]
	v_lshrrev_b32_e32 v35, 16, v9
	v_mul_f32_e32 v9, s29, v36
	v_bfe_u32 v20, v9, 16, 1
	v_add3_u32 v20, v20, v9, s33
	v_or_b32_e32 v21, 0x400000, v9
	v_cmp_u_f32_e64 s[2:3], v9, v9
	v_cndmask_b32_e64 v9, v20, v21, s[2:3]
	v_lshrrev_b32_e32 v36, 16, v9
	;; [unrolled: 7-line block ×4, first 2 shown]
	v_mul_f32_e32 v9, s29, v37
	v_bfe_u32 v20, v9, 16, 1
	v_add3_u32 v20, v20, v9, s33
	v_or_b32_e32 v21, 0x400000, v9
	v_cmp_u_f32_e64 s[2:3], v9, v9
	v_cndmask_b32_e64 v9, v20, v21, s[2:3]
	v_mul_f32_e32 v0, s29, v0
	v_lshrrev_b32_e32 v41, 16, v9
	v_bfe_u32 v9, v0, 16, 1
	v_add3_u32 v9, v9, v0, s33
	v_or_b32_e32 v20, 0x400000, v0
	v_cmp_u_f32_e64 s[2:3], v0, v0
	v_cndmask_b32_e64 v0, v9, v20, s[2:3]
	v_lshrrev_b32_e32 v42, 16, v0
	v_mul_f32_e32 v0, s29, v40
	v_bfe_u32 v9, v0, 16, 1
	v_add3_u32 v9, v9, v0, s33
	v_or_b32_e32 v20, 0x400000, v0
	v_cmp_u_f32_e64 s[2:3], v0, v0
	v_cndmask_b32_e64 v0, v9, v20, s[2:3]
	v_lshrrev_b32_e32 v37, 16, v0
	v_mul_f32_e32 v0, s29, v19
	v_bfe_u32 v9, v0, 16, 1
	v_add3_u32 v9, v9, v0, s33
	v_or_b32_e32 v19, 0x400000, v0
	v_cmp_u_f32_e64 s[2:3], v0, v0
	v_cndmask_b32_e64 v0, v9, v19, s[2:3]
	v_add_u32_e32 v43, -7, v32
	v_cmp_eq_u32_e64 s[0:1], s28, v22
	v_lshrrev_b32_e32 v40, 16, v0
	s_and_saveexec_b64 s[14:15], s[0:1]
	s_cbranch_execz .LBB305_251
; %bb.250:                              ;   in Loop: Header=BB305_201 Depth=1
	v_cmp_gt_i32_e64 s[2:3], s30, v43
	v_add_u32_e32 v0, -6, v32
	v_cndmask_b32_e64 v42, 0, v42, s[2:3]
	v_cmp_gt_i32_e64 s[2:3], s30, v0
	v_add_u32_e32 v0, -5, v32
	v_cndmask_b32_e64 v41, 0, v41, s[2:3]
	;; [unrolled: 3-line block ×6, first 2 shown]
	v_cmp_gt_i32_e64 s[2:3], s30, v0
	v_cndmask_b32_e64 v37, 0, v37, s[2:3]
	v_cmp_gt_i32_e64 s[2:3], s30, v32
	v_cndmask_b32_e64 v40, 0, v40, s[2:3]
.LBB305_251:                            ;   in Loop: Header=BB305_201 Depth=1
	s_or_b64 exec, exec, s[14:15]
	global_load_dwordx2 v[19:20], v[17:18], off offset:512
	v_mov_b32_e32 v44, 0
	v_mov_b32_e32 v0, 0
	s_waitcnt vmcnt(0)
	v_cmp_ne_u16_sdwa s[2:3], v19, v10 src0_sel:BYTE_0 src1_sel:DWORD
	s_and_saveexec_b64 s[14:15], s[2:3]
	s_cbranch_execz .LBB305_257
; %bb.252:                              ;   in Loop: Header=BB305_201 Depth=1
	v_cmp_ne_u16_sdwa s[2:3], v19, s26 src0_sel:BYTE_0 src1_sel:DWORD
	v_bfrev_b32_e32 v0, 1
	s_and_saveexec_b64 s[16:17], s[2:3]
	s_cbranch_execz .LBB305_256
; %bb.253:                              ;   in Loop: Header=BB305_201 Depth=1
	v_and_b32_e32 v9, 0x7f, v19
	v_cmp_ne_u32_e64 s[2:3], s27, v9
	v_mov_b32_e32 v0, 0x7f800001
	s_and_saveexec_b64 s[18:19], s[2:3]
	s_cbranch_execz .LBB305_255
; %bb.254:                              ;   in Loop: Header=BB305_201 Depth=1
	v_and_b32_e32 v0, 7, v19
	v_ffbh_u32_e32 v0, v0
	v_min_u32_e32 v0, 32, v0
	v_subrev_u32_e32 v45, 28, v0
	v_cmp_gt_u32_e64 s[2:3], 8, v9
	v_lshrrev_b32_e32 v21, 3, v9
	v_cndmask_b32_e64 v9, 0, v45, s[2:3]
	v_lshlrev_b64 v[45:46], v9, v[19:20]
	v_sub_u32_e32 v0, 29, v0
	v_cndmask_b32_e64 v0, v21, v0, s[2:3]
	v_lshlrev_b32_e32 v9, 20, v45
	v_lshlrev_b32_e32 v21, 24, v19
	v_and_b32_e32 v9, 0x700000, v9
	v_and_b32_e32 v21, 0x80000000, v21
	v_lshl_add_u32 v0, v0, 23, v34
	v_or3_b32 v0, v21, v0, v9
.LBB305_255:                            ;   in Loop: Header=BB305_201 Depth=1
	s_or_b64 exec, exec, s[18:19]
.LBB305_256:                            ;   in Loop: Header=BB305_201 Depth=1
	s_or_b64 exec, exec, s[16:17]
.LBB305_257:                            ;   in Loop: Header=BB305_201 Depth=1
	s_or_b64 exec, exec, s[14:15]
	v_lshrrev_b16_e32 v9, 8, v19
	v_cmp_ne_u16_e64 s[2:3], 0, v9
	s_and_saveexec_b64 s[14:15], s[2:3]
	s_cbranch_execz .LBB305_263
; %bb.258:                              ;   in Loop: Header=BB305_201 Depth=1
	v_cmp_ne_u16_e64 s[2:3], s26, v9
	v_bfrev_b32_e32 v44, 1
	s_and_saveexec_b64 s[16:17], s[2:3]
	s_cbranch_execz .LBB305_262
; %bb.259:                              ;   in Loop: Header=BB305_201 Depth=1
	v_and_b32_e32 v21, 0x7f, v9
	v_cmp_ne_u32_e64 s[2:3], s27, v21
	v_mov_b32_e32 v44, 0x7f800001
	s_and_saveexec_b64 s[18:19], s[2:3]
	s_cbranch_execz .LBB305_261
; %bb.260:                              ;   in Loop: Header=BB305_201 Depth=1
	v_and_b32_e32 v46, 7, v9
	v_ffbh_u32_e32 v44, v46
	v_min_u32_e32 v48, 32, v44
	v_subrev_u32_e32 v44, 28, v48
	v_lshlrev_b64 v[44:45], v44, v[9:10]
	v_lshrrev_b32_e32 v47, 3, v21
	v_sub_u32_e32 v9, 29, v48
	v_and_b32_e32 v44, 7, v44
	v_cmp_gt_u32_e64 s[2:3], 8, v21
	v_cndmask_b32_e64 v9, v47, v9, s[2:3]
	v_cndmask_b32_e64 v21, v46, v44, s[2:3]
	v_lshlrev_b32_e32 v44, 16, v19
	v_lshlrev_b32_e32 v21, 20, v21
	v_and_b32_e32 v44, 0x80000000, v44
	v_lshl_add_u32 v9, v9, 23, v34
	v_or3_b32 v44, v44, v9, v21
.LBB305_261:                            ;   in Loop: Header=BB305_201 Depth=1
	s_or_b64 exec, exec, s[18:19]
.LBB305_262:                            ;   in Loop: Header=BB305_201 Depth=1
	s_or_b64 exec, exec, s[16:17]
.LBB305_263:                            ;   in Loop: Header=BB305_201 Depth=1
	s_or_b64 exec, exec, s[14:15]
	v_lshrrev_b32_e32 v9, 16, v19
	v_cmp_ne_u16_sdwa s[2:3], v9, v10 src0_sel:BYTE_0 src1_sel:DWORD
	v_mov_b32_e32 v45, 0
	v_mov_b32_e32 v46, 0
	s_and_saveexec_b64 s[14:15], s[2:3]
	s_cbranch_execz .LBB305_269
; %bb.264:                              ;   in Loop: Header=BB305_201 Depth=1
	v_cmp_ne_u16_sdwa s[2:3], v9, s26 src0_sel:BYTE_0 src1_sel:DWORD
	v_bfrev_b32_e32 v46, 1
	s_and_saveexec_b64 s[16:17], s[2:3]
	s_cbranch_execz .LBB305_268
; %bb.265:                              ;   in Loop: Header=BB305_201 Depth=1
	v_bfe_u32 v21, v19, 16, 7
	v_cmp_ne_u32_e64 s[2:3], s27, v21
	v_mov_b32_e32 v46, 0x7f800001
	s_and_saveexec_b64 s[18:19], s[2:3]
	s_cbranch_execz .LBB305_267
; %bb.266:                              ;   in Loop: Header=BB305_201 Depth=1
	v_and_b32_e32 v48, 7, v9
	v_ffbh_u32_e32 v46, v48
	v_min_u32_e32 v50, 32, v46
	v_subrev_u32_e32 v46, 28, v50
	v_lshlrev_b64 v[46:47], v46, v[9:10]
	v_lshrrev_b32_e32 v49, 3, v21
	v_sub_u32_e32 v47, 29, v50
	v_and_b32_e32 v46, 7, v46
	v_cmp_gt_u32_e64 s[2:3], 8, v21
	v_cndmask_b32_e64 v21, v49, v47, s[2:3]
	v_cndmask_b32_e64 v46, v48, v46, s[2:3]
	v_lshlrev_b32_e32 v9, 24, v9
	v_lshlrev_b32_e32 v46, 20, v46
	v_and_b32_e32 v9, 0x80000000, v9
	v_lshl_add_u32 v21, v21, 23, v34
	v_or3_b32 v46, v9, v21, v46
.LBB305_267:                            ;   in Loop: Header=BB305_201 Depth=1
	s_or_b64 exec, exec, s[18:19]
.LBB305_268:                            ;   in Loop: Header=BB305_201 Depth=1
	s_or_b64 exec, exec, s[16:17]
.LBB305_269:                            ;   in Loop: Header=BB305_201 Depth=1
	s_or_b64 exec, exec, s[14:15]
	v_cmp_lt_u32_e64 s[2:3], s7, v19
	s_and_saveexec_b64 s[14:15], s[2:3]
	s_cbranch_execz .LBB305_275
; %bb.270:                              ;   in Loop: Header=BB305_201 Depth=1
	v_lshrrev_b32_e32 v9, 24, v19
	v_cmp_ne_u32_e64 s[2:3], s26, v9
	v_bfrev_b32_e32 v45, 1
	s_and_saveexec_b64 s[16:17], s[2:3]
	s_cbranch_execz .LBB305_274
; %bb.271:                              ;   in Loop: Header=BB305_201 Depth=1
	v_bfe_u32 v21, v19, 24, 7
	v_cmp_ne_u32_e64 s[2:3], s27, v21
	v_mov_b32_e32 v45, 0x7f800001
	s_and_saveexec_b64 s[18:19], s[2:3]
	s_cbranch_execz .LBB305_273
; %bb.272:                              ;   in Loop: Header=BB305_201 Depth=1
	v_and_b32_e32 v45, 7, v9
	v_ffbh_u32_e32 v47, v45
	v_min_u32_e32 v50, 32, v47
	v_subrev_u32_e32 v47, 28, v50
	v_lshlrev_b64 v[47:48], v47, v[9:10]
	v_lshrrev_b32_e32 v49, 3, v21
	v_sub_u32_e32 v48, 29, v50
	v_and_b32_e32 v47, 7, v47
	v_cmp_gt_u32_e64 s[2:3], 8, v21
	v_cndmask_b32_e64 v21, v49, v48, s[2:3]
	v_cndmask_b32_e64 v45, v45, v47, s[2:3]
	v_lshlrev_b32_e32 v9, 24, v9
	v_lshlrev_b32_e32 v45, 20, v45
	v_and_b32_e32 v9, 0x80000000, v9
	v_lshl_add_u32 v21, v21, 23, v34
	v_or3_b32 v45, v9, v21, v45
.LBB305_273:                            ;   in Loop: Header=BB305_201 Depth=1
	s_or_b64 exec, exec, s[18:19]
.LBB305_274:                            ;   in Loop: Header=BB305_201 Depth=1
	s_or_b64 exec, exec, s[16:17]
.LBB305_275:                            ;   in Loop: Header=BB305_201 Depth=1
	s_or_b64 exec, exec, s[14:15]
	v_mov_b32_e32 v9, v20
	v_cmp_ne_u16_sdwa s[2:3], v20, v10 src0_sel:BYTE_0 src1_sel:DWORD
	v_mov_b32_e32 v48, 0
	v_mov_b32_e32 v47, 0
	s_and_saveexec_b64 s[14:15], s[2:3]
	s_cbranch_execz .LBB305_281
; %bb.276:                              ;   in Loop: Header=BB305_201 Depth=1
	v_cmp_ne_u16_sdwa s[2:3], v20, s26 src0_sel:BYTE_0 src1_sel:DWORD
	v_bfrev_b32_e32 v47, 1
	s_and_saveexec_b64 s[16:17], s[2:3]
	s_cbranch_execz .LBB305_280
; %bb.277:                              ;   in Loop: Header=BB305_201 Depth=1
	v_and_b32_e32 v21, 0x7f, v20
	v_cmp_ne_u32_e64 s[2:3], s27, v21
	v_mov_b32_e32 v47, 0x7f800001
	s_and_saveexec_b64 s[18:19], s[2:3]
	s_cbranch_execz .LBB305_279
; %bb.278:                              ;   in Loop: Header=BB305_201 Depth=1
	v_and_b32_e32 v47, 7, v20
	v_ffbh_u32_e32 v47, v47
	v_min_u32_e32 v47, 32, v47
	v_lshrrev_b32_e32 v49, 3, v21
	v_subrev_u32_e32 v50, 28, v47
	v_sub_u32_e32 v47, 29, v47
	v_cmp_gt_u32_e64 s[2:3], 8, v21
	v_cndmask_b32_e64 v21, v49, v47, s[2:3]
	v_cndmask_b32_e64 v47, 0, v50, s[2:3]
	v_lshlrev_b64 v[49:50], v47, v[9:10]
	v_lshl_add_u32 v21, v21, 23, v34
	v_lshlrev_b32_e32 v47, 20, v49
	v_lshlrev_b32_e32 v49, 24, v9
	v_and_b32_e32 v47, 0x700000, v47
	v_and_b32_e32 v49, 0x80000000, v49
	v_or3_b32 v47, v49, v21, v47
.LBB305_279:                            ;   in Loop: Header=BB305_201 Depth=1
	s_or_b64 exec, exec, s[18:19]
.LBB305_280:                            ;   in Loop: Header=BB305_201 Depth=1
	s_or_b64 exec, exec, s[16:17]
.LBB305_281:                            ;   in Loop: Header=BB305_201 Depth=1
	s_or_b64 exec, exec, s[14:15]
	v_lshrrev_b16_e32 v21, 8, v9
	v_cmp_ne_u16_e64 s[2:3], 0, v21
	s_and_saveexec_b64 s[14:15], s[2:3]
	s_cbranch_execz .LBB305_287
; %bb.282:                              ;   in Loop: Header=BB305_201 Depth=1
	v_cmp_ne_u16_e64 s[2:3], s26, v21
	v_bfrev_b32_e32 v48, 1
	s_and_saveexec_b64 s[16:17], s[2:3]
	s_cbranch_execz .LBB305_286
; %bb.283:                              ;   in Loop: Header=BB305_201 Depth=1
	v_and_b32_e32 v49, 0x7f, v21
	v_cmp_ne_u32_e64 s[2:3], s27, v49
	v_mov_b32_e32 v48, 0x7f800001
	s_and_saveexec_b64 s[18:19], s[2:3]
	s_cbranch_execz .LBB305_285
; %bb.284:                              ;   in Loop: Header=BB305_201 Depth=1
	v_and_b32_e32 v48, 7, v21
	v_ffbh_u32_e32 v50, v48
	v_min_u32_e32 v53, 32, v50
	v_subrev_u32_e32 v50, 28, v53
	v_lshlrev_b64 v[50:51], v50, v[21:22]
	v_lshrrev_b32_e32 v52, 3, v49
	v_sub_u32_e32 v21, 29, v53
	v_and_b32_e32 v50, 7, v50
	v_cmp_gt_u32_e64 s[2:3], 8, v49
	v_cndmask_b32_e64 v21, v52, v21, s[2:3]
	v_cndmask_b32_e64 v48, v48, v50, s[2:3]
	v_lshlrev_b32_e32 v9, 16, v9
	v_lshlrev_b32_e32 v48, 20, v48
	v_and_b32_e32 v9, 0x80000000, v9
	v_lshl_add_u32 v21, v21, 23, v34
	v_or3_b32 v48, v9, v21, v48
.LBB305_285:                            ;   in Loop: Header=BB305_201 Depth=1
	s_or_b64 exec, exec, s[18:19]
.LBB305_286:                            ;   in Loop: Header=BB305_201 Depth=1
	s_or_b64 exec, exec, s[16:17]
.LBB305_287:                            ;   in Loop: Header=BB305_201 Depth=1
	s_or_b64 exec, exec, s[14:15]
	v_lshrrev_b32_e32 v9, 16, v20
	v_cmp_ne_u16_sdwa s[2:3], v9, v10 src0_sel:BYTE_0 src1_sel:DWORD
	v_mov_b32_e32 v50, 0
	v_mov_b32_e32 v51, 0
	s_and_saveexec_b64 s[14:15], s[2:3]
	s_cbranch_execz .LBB305_293
; %bb.288:                              ;   in Loop: Header=BB305_201 Depth=1
	v_cmp_ne_u16_sdwa s[2:3], v9, s26 src0_sel:BYTE_0 src1_sel:DWORD
	v_bfrev_b32_e32 v51, 1
	s_and_saveexec_b64 s[16:17], s[2:3]
	s_cbranch_execz .LBB305_292
; %bb.289:                              ;   in Loop: Header=BB305_201 Depth=1
	v_bfe_u32 v21, v20, 16, 7
	v_cmp_ne_u32_e64 s[2:3], s27, v21
	v_mov_b32_e32 v51, 0x7f800001
	s_and_saveexec_b64 s[18:19], s[2:3]
	s_cbranch_execz .LBB305_291
; %bb.290:                              ;   in Loop: Header=BB305_201 Depth=1
	v_and_b32_e32 v49, 7, v9
	v_ffbh_u32_e32 v51, v49
	v_min_u32_e32 v54, 32, v51
	v_subrev_u32_e32 v51, 28, v54
	v_lshlrev_b64 v[51:52], v51, v[9:10]
	v_lshrrev_b32_e32 v53, 3, v21
	v_sub_u32_e32 v52, 29, v54
	v_and_b32_e32 v51, 7, v51
	v_cmp_gt_u32_e64 s[2:3], 8, v21
	v_cndmask_b32_e64 v21, v53, v52, s[2:3]
	v_cndmask_b32_e64 v49, v49, v51, s[2:3]
	v_lshlrev_b32_e32 v9, 24, v9
	v_lshlrev_b32_e32 v49, 20, v49
	v_and_b32_e32 v9, 0x80000000, v9
	v_lshl_add_u32 v21, v21, 23, v34
	v_or3_b32 v51, v9, v21, v49
.LBB305_291:                            ;   in Loop: Header=BB305_201 Depth=1
	s_or_b64 exec, exec, s[18:19]
.LBB305_292:                            ;   in Loop: Header=BB305_201 Depth=1
	s_or_b64 exec, exec, s[16:17]
.LBB305_293:                            ;   in Loop: Header=BB305_201 Depth=1
	s_or_b64 exec, exec, s[14:15]
	v_cmp_lt_u64_e64 s[2:3], s[6:7], v[19:20]
	s_and_saveexec_b64 s[14:15], s[2:3]
	s_cbranch_execz .LBB305_299
; %bb.294:                              ;   in Loop: Header=BB305_201 Depth=1
	v_lshrrev_b32_e32 v9, 24, v20
	v_cmp_ne_u32_e64 s[2:3], s26, v9
	v_bfrev_b32_e32 v50, 1
	s_and_saveexec_b64 s[16:17], s[2:3]
	s_cbranch_execz .LBB305_298
; %bb.295:                              ;   in Loop: Header=BB305_201 Depth=1
	v_bfe_u32 v19, v20, 24, 7
	v_cmp_ne_u32_e64 s[2:3], s27, v19
	v_mov_b32_e32 v50, 0x7f800001
	s_and_saveexec_b64 s[18:19], s[2:3]
	s_cbranch_execz .LBB305_297
; %bb.296:                              ;   in Loop: Header=BB305_201 Depth=1
	v_and_b32_e32 v49, 7, v9
	v_ffbh_u32_e32 v20, v49
	v_min_u32_e32 v52, 32, v20
	v_subrev_u32_e32 v20, 28, v52
	v_lshlrev_b64 v[20:21], v20, v[9:10]
	v_lshrrev_b32_e32 v50, 3, v19
	v_sub_u32_e32 v21, 29, v52
	v_and_b32_e32 v20, 7, v20
	v_cmp_gt_u32_e64 s[2:3], 8, v19
	v_cndmask_b32_e64 v19, v50, v21, s[2:3]
	v_cndmask_b32_e64 v20, v49, v20, s[2:3]
	v_lshlrev_b32_e32 v9, 24, v9
	v_lshlrev_b32_e32 v20, 20, v20
	v_and_b32_e32 v9, 0x80000000, v9
	v_lshl_add_u32 v19, v19, 23, v34
	v_or3_b32 v50, v9, v19, v20
.LBB305_297:                            ;   in Loop: Header=BB305_201 Depth=1
	s_or_b64 exec, exec, s[18:19]
.LBB305_298:                            ;   in Loop: Header=BB305_201 Depth=1
	s_or_b64 exec, exec, s[16:17]
.LBB305_299:                            ;   in Loop: Header=BB305_201 Depth=1
	s_or_b64 exec, exec, s[14:15]
	v_mul_f32_e32 v9, s29, v48
	v_bfe_u32 v19, v9, 16, 1
	v_add3_u32 v19, v19, v9, s33
	v_or_b32_e32 v20, 0x400000, v9
	v_cmp_u_f32_e64 s[2:3], v9, v9
	v_cndmask_b32_e64 v9, v19, v20, s[2:3]
	v_lshrrev_b32_e32 v20, 16, v9
	v_mul_f32_e32 v9, s29, v47
	v_bfe_u32 v19, v9, 16, 1
	v_add3_u32 v19, v19, v9, s33
	v_or_b32_e32 v21, 0x400000, v9
	v_cmp_u_f32_e64 s[2:3], v9, v9
	v_cndmask_b32_e64 v9, v19, v21, s[2:3]
	v_lshrrev_b32_e32 v21, 16, v9
	v_mul_f32_e32 v9, s29, v45
	v_bfe_u32 v19, v9, 16, 1
	v_add3_u32 v19, v19, v9, s33
	v_or_b32_e32 v45, 0x400000, v9
	v_cmp_u_f32_e64 s[2:3], v9, v9
	v_cndmask_b32_e64 v9, v19, v45, s[2:3]
	v_lshrrev_b32_e32 v45, 16, v9
	v_mul_f32_e32 v9, s29, v46
	v_bfe_u32 v19, v9, 16, 1
	v_add3_u32 v19, v19, v9, s33
	v_or_b32_e32 v46, 0x400000, v9
	v_cmp_u_f32_e64 s[2:3], v9, v9
	v_cndmask_b32_e64 v9, v19, v46, s[2:3]
	v_lshrrev_b32_e32 v46, 16, v9
	v_mul_f32_e32 v9, s29, v44
	v_bfe_u32 v19, v9, 16, 1
	v_add3_u32 v19, v19, v9, s33
	v_or_b32_e32 v44, 0x400000, v9
	v_cmp_u_f32_e64 s[2:3], v9, v9
	v_cndmask_b32_e64 v9, v19, v44, s[2:3]
	v_mul_f32_e32 v0, s29, v0
	v_lshrrev_b32_e32 v48, 16, v9
	v_bfe_u32 v9, v0, 16, 1
	v_add3_u32 v9, v9, v0, s33
	v_or_b32_e32 v19, 0x400000, v0
	v_cmp_u_f32_e64 s[2:3], v0, v0
	v_cndmask_b32_e64 v0, v9, v19, s[2:3]
	v_lshrrev_b32_e32 v49, 16, v0
	v_mul_f32_e32 v0, s29, v51
	v_bfe_u32 v9, v0, 16, 1
	v_add3_u32 v9, v9, v0, s33
	v_or_b32_e32 v19, 0x400000, v0
	v_cmp_u_f32_e64 s[2:3], v0, v0
	v_cndmask_b32_e64 v0, v9, v19, s[2:3]
	v_lshrrev_b32_e32 v44, 16, v0
	v_mul_f32_e32 v0, s29, v50
	v_bfe_u32 v9, v0, 16, 1
	v_add3_u32 v9, v9, v0, s33
	v_or_b32_e32 v19, 0x400000, v0
	v_cmp_u_f32_e64 s[2:3], v0, v0
	v_cndmask_b32_e64 v0, v9, v19, s[2:3]
	v_lshrrev_b32_e32 v47, 16, v0
	s_and_saveexec_b64 s[14:15], s[0:1]
	s_cbranch_execz .LBB305_301
; %bb.300:                              ;   in Loop: Header=BB305_201 Depth=1
	v_cmp_gt_i32_e64 s[2:3], s30, v43
	v_add_u32_e32 v0, -6, v32
	v_cndmask_b32_e64 v49, 0, v49, s[2:3]
	v_cmp_gt_i32_e64 s[2:3], s30, v0
	v_add_u32_e32 v0, -5, v32
	v_cndmask_b32_e64 v48, 0, v48, s[2:3]
	;; [unrolled: 3-line block ×6, first 2 shown]
	v_cmp_gt_i32_e64 s[2:3], s30, v0
	v_cndmask_b32_e64 v44, 0, v44, s[2:3]
	v_cmp_gt_i32_e64 s[2:3], s30, v32
	v_cndmask_b32_e64 v47, 0, v47, s[2:3]
.LBB305_301:                            ;   in Loop: Header=BB305_201 Depth=1
	s_or_b64 exec, exec, s[14:15]
	global_load_dwordx2 v[17:18], v[17:18], off offset:1024
	v_mov_b32_e32 v51, 0
	v_mov_b32_e32 v0, 0
	s_waitcnt vmcnt(0)
	v_cmp_ne_u16_sdwa s[2:3], v17, v10 src0_sel:BYTE_0 src1_sel:DWORD
	s_and_saveexec_b64 s[14:15], s[2:3]
	s_cbranch_execz .LBB305_307
; %bb.302:                              ;   in Loop: Header=BB305_201 Depth=1
	v_cmp_ne_u16_sdwa s[2:3], v17, s26 src0_sel:BYTE_0 src1_sel:DWORD
	v_bfrev_b32_e32 v0, 1
	s_and_saveexec_b64 s[16:17], s[2:3]
	s_cbranch_execz .LBB305_306
; %bb.303:                              ;   in Loop: Header=BB305_201 Depth=1
	v_and_b32_e32 v9, 0x7f, v17
	v_cmp_ne_u32_e64 s[2:3], s27, v9
	v_mov_b32_e32 v0, 0x7f800001
	s_and_saveexec_b64 s[18:19], s[2:3]
	s_cbranch_execz .LBB305_305
; %bb.304:                              ;   in Loop: Header=BB305_201 Depth=1
	v_and_b32_e32 v0, 7, v17
	v_ffbh_u32_e32 v0, v0
	v_min_u32_e32 v0, 32, v0
	v_subrev_u32_e32 v50, 28, v0
	v_cmp_gt_u32_e64 s[2:3], 8, v9
	v_lshrrev_b32_e32 v19, 3, v9
	v_cndmask_b32_e64 v9, 0, v50, s[2:3]
	v_lshlrev_b64 v[52:53], v9, v[17:18]
	v_sub_u32_e32 v0, 29, v0
	v_cndmask_b32_e64 v0, v19, v0, s[2:3]
	v_lshlrev_b32_e32 v9, 20, v52
	v_lshlrev_b32_e32 v19, 24, v17
	v_and_b32_e32 v9, 0x700000, v9
	v_and_b32_e32 v19, 0x80000000, v19
	v_lshl_add_u32 v0, v0, 23, v34
	v_or3_b32 v0, v19, v0, v9
.LBB305_305:                            ;   in Loop: Header=BB305_201 Depth=1
	s_or_b64 exec, exec, s[18:19]
.LBB305_306:                            ;   in Loop: Header=BB305_201 Depth=1
	s_or_b64 exec, exec, s[16:17]
.LBB305_307:                            ;   in Loop: Header=BB305_201 Depth=1
	s_or_b64 exec, exec, s[14:15]
	v_lshrrev_b16_e32 v9, 8, v17
	v_cmp_ne_u16_e64 s[2:3], 0, v9
	s_and_saveexec_b64 s[14:15], s[2:3]
	s_cbranch_execz .LBB305_313
; %bb.308:                              ;   in Loop: Header=BB305_201 Depth=1
	v_cmp_ne_u16_e64 s[2:3], s26, v9
	v_bfrev_b32_e32 v51, 1
	s_and_saveexec_b64 s[16:17], s[2:3]
	s_cbranch_execz .LBB305_312
; %bb.309:                              ;   in Loop: Header=BB305_201 Depth=1
	v_and_b32_e32 v19, 0x7f, v9
	v_cmp_ne_u32_e64 s[2:3], s27, v19
	v_mov_b32_e32 v51, 0x7f800001
	s_and_saveexec_b64 s[18:19], s[2:3]
	s_cbranch_execz .LBB305_311
; %bb.310:                              ;   in Loop: Header=BB305_201 Depth=1
	v_and_b32_e32 v52, 7, v9
	v_ffbh_u32_e32 v50, v52
	v_min_u32_e32 v54, 32, v50
	v_subrev_u32_e32 v50, 28, v54
	v_lshlrev_b64 v[50:51], v50, v[9:10]
	v_lshrrev_b32_e32 v53, 3, v19
	v_sub_u32_e32 v9, 29, v54
	v_and_b32_e32 v50, 7, v50
	v_cmp_gt_u32_e64 s[2:3], 8, v19
	v_cndmask_b32_e64 v9, v53, v9, s[2:3]
	v_cndmask_b32_e64 v19, v52, v50, s[2:3]
	v_lshlrev_b32_e32 v50, 16, v17
	v_lshlrev_b32_e32 v19, 20, v19
	v_and_b32_e32 v50, 0x80000000, v50
	v_lshl_add_u32 v9, v9, 23, v34
	v_or3_b32 v51, v50, v9, v19
.LBB305_311:                            ;   in Loop: Header=BB305_201 Depth=1
	s_or_b64 exec, exec, s[18:19]
.LBB305_312:                            ;   in Loop: Header=BB305_201 Depth=1
	s_or_b64 exec, exec, s[16:17]
.LBB305_313:                            ;   in Loop: Header=BB305_201 Depth=1
	s_or_b64 exec, exec, s[14:15]
	v_lshrrev_b32_e32 v9, 16, v17
	v_cmp_ne_u16_sdwa s[2:3], v9, v10 src0_sel:BYTE_0 src1_sel:DWORD
	v_mov_b32_e32 v52, 0
	v_mov_b32_e32 v50, 0
	s_and_saveexec_b64 s[14:15], s[2:3]
	s_cbranch_execz .LBB305_319
; %bb.314:                              ;   in Loop: Header=BB305_201 Depth=1
	v_cmp_ne_u16_sdwa s[2:3], v9, s26 src0_sel:BYTE_0 src1_sel:DWORD
	v_bfrev_b32_e32 v50, 1
	s_and_saveexec_b64 s[16:17], s[2:3]
	s_cbranch_execz .LBB305_318
; %bb.315:                              ;   in Loop: Header=BB305_201 Depth=1
	v_bfe_u32 v19, v17, 16, 7
	v_cmp_ne_u32_e64 s[2:3], s27, v19
	v_mov_b32_e32 v50, 0x7f800001
	s_and_saveexec_b64 s[18:19], s[2:3]
	s_cbranch_execz .LBB305_317
; %bb.316:                              ;   in Loop: Header=BB305_201 Depth=1
	v_and_b32_e32 v50, 7, v9
	v_ffbh_u32_e32 v53, v50
	v_min_u32_e32 v56, 32, v53
	v_subrev_u32_e32 v53, 28, v56
	v_lshlrev_b64 v[53:54], v53, v[9:10]
	v_lshrrev_b32_e32 v55, 3, v19
	v_sub_u32_e32 v54, 29, v56
	v_and_b32_e32 v53, 7, v53
	v_cmp_gt_u32_e64 s[2:3], 8, v19
	v_cndmask_b32_e64 v19, v55, v54, s[2:3]
	v_cndmask_b32_e64 v50, v50, v53, s[2:3]
	v_lshlrev_b32_e32 v9, 24, v9
	v_lshlrev_b32_e32 v50, 20, v50
	v_and_b32_e32 v9, 0x80000000, v9
	v_lshl_add_u32 v19, v19, 23, v34
	v_or3_b32 v50, v9, v19, v50
.LBB305_317:                            ;   in Loop: Header=BB305_201 Depth=1
	s_or_b64 exec, exec, s[18:19]
.LBB305_318:                            ;   in Loop: Header=BB305_201 Depth=1
	s_or_b64 exec, exec, s[16:17]
.LBB305_319:                            ;   in Loop: Header=BB305_201 Depth=1
	s_or_b64 exec, exec, s[14:15]
	v_cmp_lt_u32_e64 s[2:3], s7, v17
	s_and_saveexec_b64 s[14:15], s[2:3]
	s_cbranch_execz .LBB305_325
; %bb.320:                              ;   in Loop: Header=BB305_201 Depth=1
	v_lshrrev_b32_e32 v9, 24, v17
	v_cmp_ne_u32_e64 s[2:3], s26, v9
	v_bfrev_b32_e32 v52, 1
	s_and_saveexec_b64 s[16:17], s[2:3]
	s_cbranch_execz .LBB305_324
; %bb.321:                              ;   in Loop: Header=BB305_201 Depth=1
	v_bfe_u32 v19, v17, 24, 7
	v_cmp_ne_u32_e64 s[2:3], s27, v19
	v_mov_b32_e32 v52, 0x7f800001
	s_and_saveexec_b64 s[18:19], s[2:3]
	s_cbranch_execz .LBB305_323
; %bb.322:                              ;   in Loop: Header=BB305_201 Depth=1
	v_and_b32_e32 v54, 7, v9
	v_ffbh_u32_e32 v52, v54
	v_min_u32_e32 v56, 32, v52
	v_subrev_u32_e32 v52, 28, v56
	v_lshlrev_b64 v[52:53], v52, v[9:10]
	v_lshrrev_b32_e32 v55, 3, v19
	v_sub_u32_e32 v53, 29, v56
	v_and_b32_e32 v52, 7, v52
	v_cmp_gt_u32_e64 s[2:3], 8, v19
	v_cndmask_b32_e64 v19, v55, v53, s[2:3]
	v_cndmask_b32_e64 v52, v54, v52, s[2:3]
	v_lshlrev_b32_e32 v9, 24, v9
	v_lshlrev_b32_e32 v52, 20, v52
	v_and_b32_e32 v9, 0x80000000, v9
	v_lshl_add_u32 v19, v19, 23, v34
	v_or3_b32 v52, v9, v19, v52
.LBB305_323:                            ;   in Loop: Header=BB305_201 Depth=1
	s_or_b64 exec, exec, s[18:19]
.LBB305_324:                            ;   in Loop: Header=BB305_201 Depth=1
	s_or_b64 exec, exec, s[16:17]
.LBB305_325:                            ;   in Loop: Header=BB305_201 Depth=1
	s_or_b64 exec, exec, s[14:15]
	v_mov_b32_e32 v9, v18
	v_cmp_ne_u16_sdwa s[2:3], v18, v10 src0_sel:BYTE_0 src1_sel:DWORD
	v_mov_b32_e32 v54, 0
	v_mov_b32_e32 v53, 0
	s_and_saveexec_b64 s[14:15], s[2:3]
	s_cbranch_execz .LBB305_331
; %bb.326:                              ;   in Loop: Header=BB305_201 Depth=1
	v_cmp_ne_u16_sdwa s[2:3], v18, s26 src0_sel:BYTE_0 src1_sel:DWORD
	v_bfrev_b32_e32 v53, 1
	s_and_saveexec_b64 s[16:17], s[2:3]
	s_cbranch_execz .LBB305_330
; %bb.327:                              ;   in Loop: Header=BB305_201 Depth=1
	v_and_b32_e32 v19, 0x7f, v18
	v_cmp_ne_u32_e64 s[2:3], s27, v19
	v_mov_b32_e32 v53, 0x7f800001
	s_and_saveexec_b64 s[18:19], s[2:3]
	s_cbranch_execz .LBB305_329
; %bb.328:                              ;   in Loop: Header=BB305_201 Depth=1
	v_and_b32_e32 v53, 7, v18
	v_ffbh_u32_e32 v53, v53
	v_min_u32_e32 v53, 32, v53
	v_lshrrev_b32_e32 v55, 3, v19
	v_subrev_u32_e32 v56, 28, v53
	v_sub_u32_e32 v53, 29, v53
	v_cmp_gt_u32_e64 s[2:3], 8, v19
	v_cndmask_b32_e64 v19, v55, v53, s[2:3]
	v_cndmask_b32_e64 v53, 0, v56, s[2:3]
	v_lshlrev_b64 v[55:56], v53, v[9:10]
	v_lshl_add_u32 v19, v19, 23, v34
	v_lshlrev_b32_e32 v53, 20, v55
	v_lshlrev_b32_e32 v55, 24, v9
	v_and_b32_e32 v53, 0x700000, v53
	v_and_b32_e32 v55, 0x80000000, v55
	v_or3_b32 v53, v55, v19, v53
.LBB305_329:                            ;   in Loop: Header=BB305_201 Depth=1
	s_or_b64 exec, exec, s[18:19]
.LBB305_330:                            ;   in Loop: Header=BB305_201 Depth=1
	s_or_b64 exec, exec, s[16:17]
.LBB305_331:                            ;   in Loop: Header=BB305_201 Depth=1
	s_or_b64 exec, exec, s[14:15]
	v_lshrrev_b16_e32 v19, 8, v9
	v_cmp_ne_u16_e64 s[2:3], 0, v19
	s_and_saveexec_b64 s[14:15], s[2:3]
	s_cbranch_execz .LBB305_337
; %bb.332:                              ;   in Loop: Header=BB305_201 Depth=1
	v_cmp_ne_u16_e64 s[2:3], s26, v19
	v_bfrev_b32_e32 v54, 1
	s_and_saveexec_b64 s[16:17], s[2:3]
	s_cbranch_execz .LBB305_336
; %bb.333:                              ;   in Loop: Header=BB305_201 Depth=1
	v_and_b32_e32 v55, 0x7f, v19
	v_cmp_ne_u32_e64 s[2:3], s27, v55
	v_mov_b32_e32 v54, 0x7f800001
	s_and_saveexec_b64 s[18:19], s[2:3]
	s_cbranch_execz .LBB305_335
; %bb.334:                              ;   in Loop: Header=BB305_201 Depth=1
	v_and_b32_e32 v54, 7, v19
	v_ffbh_u32_e32 v56, v54
	v_min_u32_e32 v59, 32, v56
	v_subrev_u32_e32 v56, 28, v59
	v_lshlrev_b64 v[56:57], v56, v[19:20]
	v_lshrrev_b32_e32 v58, 3, v55
	v_sub_u32_e32 v19, 29, v59
	v_and_b32_e32 v56, 7, v56
	v_cmp_gt_u32_e64 s[2:3], 8, v55
	v_cndmask_b32_e64 v19, v58, v19, s[2:3]
	v_cndmask_b32_e64 v54, v54, v56, s[2:3]
	v_lshlrev_b32_e32 v9, 16, v9
	v_lshlrev_b32_e32 v54, 20, v54
	v_and_b32_e32 v9, 0x80000000, v9
	v_lshl_add_u32 v19, v19, 23, v34
	v_or3_b32 v54, v9, v19, v54
.LBB305_335:                            ;   in Loop: Header=BB305_201 Depth=1
	s_or_b64 exec, exec, s[18:19]
.LBB305_336:                            ;   in Loop: Header=BB305_201 Depth=1
	s_or_b64 exec, exec, s[16:17]
.LBB305_337:                            ;   in Loop: Header=BB305_201 Depth=1
	s_or_b64 exec, exec, s[14:15]
	v_lshrrev_b32_e32 v9, 16, v18
	v_cmp_ne_u16_sdwa s[2:3], v9, v10 src0_sel:BYTE_0 src1_sel:DWORD
	v_mov_b32_e32 v55, 0
	v_mov_b32_e32 v56, 0
	s_and_saveexec_b64 s[14:15], s[2:3]
	s_cbranch_execz .LBB305_343
; %bb.338:                              ;   in Loop: Header=BB305_201 Depth=1
	v_cmp_ne_u16_sdwa s[2:3], v9, s26 src0_sel:BYTE_0 src1_sel:DWORD
	v_bfrev_b32_e32 v56, 1
	s_and_saveexec_b64 s[16:17], s[2:3]
	s_cbranch_execz .LBB305_342
; %bb.339:                              ;   in Loop: Header=BB305_201 Depth=1
	v_bfe_u32 v19, v18, 16, 7
	v_cmp_ne_u32_e64 s[2:3], s27, v19
	v_mov_b32_e32 v56, 0x7f800001
	s_and_saveexec_b64 s[18:19], s[2:3]
	s_cbranch_execz .LBB305_341
; %bb.340:                              ;   in Loop: Header=BB305_201 Depth=1
	v_and_b32_e32 v58, 7, v9
	v_ffbh_u32_e32 v56, v58
	v_min_u32_e32 v60, 32, v56
	v_subrev_u32_e32 v56, 28, v60
	v_lshlrev_b64 v[56:57], v56, v[9:10]
	v_lshrrev_b32_e32 v59, 3, v19
	v_sub_u32_e32 v57, 29, v60
	v_and_b32_e32 v56, 7, v56
	v_cmp_gt_u32_e64 s[2:3], 8, v19
	v_cndmask_b32_e64 v19, v59, v57, s[2:3]
	v_cndmask_b32_e64 v56, v58, v56, s[2:3]
	v_lshlrev_b32_e32 v9, 24, v9
	v_lshlrev_b32_e32 v56, 20, v56
	v_and_b32_e32 v9, 0x80000000, v9
	v_lshl_add_u32 v19, v19, 23, v34
	v_or3_b32 v56, v9, v19, v56
.LBB305_341:                            ;   in Loop: Header=BB305_201 Depth=1
	s_or_b64 exec, exec, s[18:19]
.LBB305_342:                            ;   in Loop: Header=BB305_201 Depth=1
	s_or_b64 exec, exec, s[16:17]
.LBB305_343:                            ;   in Loop: Header=BB305_201 Depth=1
	s_or_b64 exec, exec, s[14:15]
	v_cmp_lt_u64_e64 s[2:3], s[6:7], v[17:18]
	s_and_saveexec_b64 s[14:15], s[2:3]
	s_cbranch_execz .LBB305_349
; %bb.344:                              ;   in Loop: Header=BB305_201 Depth=1
	v_lshrrev_b32_e32 v9, 24, v18
	v_cmp_ne_u32_e64 s[2:3], s26, v9
	v_bfrev_b32_e32 v55, 1
	s_and_saveexec_b64 s[16:17], s[2:3]
	s_cbranch_execz .LBB305_348
; %bb.345:                              ;   in Loop: Header=BB305_201 Depth=1
	v_bfe_u32 v17, v18, 24, 7
	v_cmp_ne_u32_e64 s[2:3], s27, v17
	v_mov_b32_e32 v55, 0x7f800001
	s_and_saveexec_b64 s[18:19], s[2:3]
	s_cbranch_execz .LBB305_347
; %bb.346:                              ;   in Loop: Header=BB305_201 Depth=1
	v_and_b32_e32 v55, 7, v9
	v_ffbh_u32_e32 v18, v55
	v_min_u32_e32 v58, 32, v18
	v_subrev_u32_e32 v18, 28, v58
	v_lshlrev_b64 v[18:19], v18, v[9:10]
	v_lshrrev_b32_e32 v57, 3, v17
	v_sub_u32_e32 v19, 29, v58
	v_and_b32_e32 v18, 7, v18
	v_cmp_gt_u32_e64 s[2:3], 8, v17
	v_cndmask_b32_e64 v17, v57, v19, s[2:3]
	v_cndmask_b32_e64 v18, v55, v18, s[2:3]
	v_lshlrev_b32_e32 v9, 24, v9
	v_lshlrev_b32_e32 v18, 20, v18
	v_and_b32_e32 v9, 0x80000000, v9
	v_lshl_add_u32 v17, v17, 23, v34
	v_or3_b32 v55, v9, v17, v18
.LBB305_347:                            ;   in Loop: Header=BB305_201 Depth=1
	s_or_b64 exec, exec, s[18:19]
.LBB305_348:                            ;   in Loop: Header=BB305_201 Depth=1
	s_or_b64 exec, exec, s[16:17]
.LBB305_349:                            ;   in Loop: Header=BB305_201 Depth=1
	s_or_b64 exec, exec, s[14:15]
	v_mul_f32_e32 v9, s29, v54
	v_bfe_u32 v17, v9, 16, 1
	v_add3_u32 v17, v17, v9, s33
	v_or_b32_e32 v18, 0x400000, v9
	v_cmp_u_f32_e64 s[2:3], v9, v9
	v_cndmask_b32_e64 v9, v17, v18, s[2:3]
	v_lshrrev_b32_e32 v17, 16, v9
	v_mul_f32_e32 v9, s29, v53
	v_bfe_u32 v18, v9, 16, 1
	v_add3_u32 v18, v18, v9, s33
	v_or_b32_e32 v19, 0x400000, v9
	v_cmp_u_f32_e64 s[2:3], v9, v9
	v_cndmask_b32_e64 v9, v18, v19, s[2:3]
	v_lshrrev_b32_e32 v18, 16, v9
	;; [unrolled: 7-line block ×4, first 2 shown]
	v_mul_f32_e32 v9, s29, v51
	v_bfe_u32 v51, v9, 16, 1
	v_add3_u32 v51, v51, v9, s33
	v_or_b32_e32 v52, 0x400000, v9
	v_cmp_u_f32_e64 s[2:3], v9, v9
	v_cndmask_b32_e64 v9, v51, v52, s[2:3]
	v_mul_f32_e32 v0, s29, v0
	v_lshrrev_b32_e32 v52, 16, v9
	v_bfe_u32 v9, v0, 16, 1
	v_add3_u32 v9, v9, v0, s33
	v_or_b32_e32 v51, 0x400000, v0
	v_cmp_u_f32_e64 s[2:3], v0, v0
	v_cndmask_b32_e64 v0, v9, v51, s[2:3]
	v_lshrrev_b32_e32 v53, 16, v0
	v_mul_f32_e32 v0, s29, v56
	v_bfe_u32 v9, v0, 16, 1
	v_add3_u32 v9, v9, v0, s33
	v_or_b32_e32 v51, 0x400000, v0
	v_cmp_u_f32_e64 s[2:3], v0, v0
	v_cndmask_b32_e64 v0, v9, v51, s[2:3]
	v_mul_f32_e32 v9, s29, v55
	v_bfe_u32 v51, v9, 16, 1
	v_add3_u32 v51, v51, v9, s33
	v_or_b32_e32 v54, 0x400000, v9
	v_cmp_u_f32_e64 s[2:3], v9, v9
	v_cndmask_b32_e64 v9, v51, v54, s[2:3]
	v_lshrrev_b32_e32 v0, 16, v0
	v_lshrrev_b32_e32 v51, 16, v9
	s_and_saveexec_b64 s[14:15], s[0:1]
	s_cbranch_execz .LBB305_351
; %bb.350:                              ;   in Loop: Header=BB305_201 Depth=1
	v_cmp_gt_i32_e64 s[2:3], s30, v43
	v_add_u32_e32 v9, -6, v32
	v_cndmask_b32_e64 v53, 0, v53, s[2:3]
	v_cmp_gt_i32_e64 s[2:3], s30, v9
	v_add_u32_e32 v9, -5, v32
	v_cndmask_b32_e64 v52, 0, v52, s[2:3]
	;; [unrolled: 3-line block ×6, first 2 shown]
	v_cmp_gt_i32_e64 s[2:3], s30, v9
	v_cndmask_b32_e64 v0, 0, v0, s[2:3]
	v_cmp_gt_i32_e64 s[2:3], s30, v32
	v_cndmask_b32_e64 v51, 0, v51, s[2:3]
.LBB305_351:                            ;   in Loop: Header=BB305_201 Depth=1
	s_or_b64 exec, exec, s[14:15]
	v_bfe_u32 v9, v5, 16, 1
	v_add3_u32 v9, v9, v5, s33
	v_or_b32_e32 v54, 0x400000, v5
	v_cmp_u_f32_e64 s[2:3], v5, v5
	v_cndmask_b32_e64 v5, v9, v54, s[2:3]
	v_bfe_u32 v9, v6, 16, 1
	v_add3_u32 v9, v9, v6, s33
	v_or_b32_e32 v54, 0x400000, v6
	v_cmp_u_f32_e64 s[2:3], v6, v6
	v_cndmask_b32_e64 v6, v9, v54, s[2:3]
	v_bfe_u32 v9, v7, 16, 1
	v_add3_u32 v9, v9, v7, s33
	v_or_b32_e32 v54, 0x400000, v7
	v_cmp_u_f32_e64 s[2:3], v7, v7
	v_bfe_u32 v7, v8, 16, 1
	v_cndmask_b32_e64 v9, v9, v54, s[2:3]
	v_add3_u32 v7, v7, v8, s33
	v_or_b32_e32 v54, 0x400000, v8
	v_cmp_u_f32_e64 s[2:3], v8, v8
	v_cndmask_b32_e64 v8, v7, v54, s[2:3]
	v_bfe_u32 v7, v1, 16, 1
	v_add3_u32 v7, v7, v1, s33
	v_or_b32_e32 v54, 0x400000, v1
	v_cmp_u_f32_e64 s[2:3], v1, v1
	v_cndmask_b32_e64 v1, v7, v54, s[2:3]
	v_bfe_u32 v7, v2, 16, 1
	;; [unrolled: 5-line block ×4, first 2 shown]
	v_add3_u32 v7, v7, v4, s33
	v_or_b32_e32 v54, 0x400000, v4
	v_cmp_u_f32_e64 s[2:3], v4, v4
	v_cndmask_b32_e64 v4, v7, v54, s[2:3]
	v_perm_b32 v7, v6, v5, s34
	v_perm_b32 v6, v8, v9, s34
	;; [unrolled: 1-line block ×4, first 2 shown]
	s_and_saveexec_b64 s[14:15], vcc
	s_cbranch_execz .LBB305_200
; %bb.352:                              ;   in Loop: Header=BB305_201 Depth=1
	v_add_co_u32_e64 v1, s[2:3], v15, v31
	v_addc_co_u32_e64 v2, s[2:3], 0, v16, s[2:3]
	global_load_dwordx2 v[1:2], v[1:2], off
	v_mov_b32_e32 v15, 0
	v_mov_b32_e32 v8, 0
	s_waitcnt vmcnt(0)
	v_cmp_ne_u16_sdwa s[2:3], v1, v10 src0_sel:BYTE_0 src1_sel:DWORD
	s_and_saveexec_b64 s[16:17], s[2:3]
	s_cbranch_execz .LBB305_358
; %bb.353:                              ;   in Loop: Header=BB305_201 Depth=1
	v_cmp_ne_u16_sdwa s[2:3], v1, s26 src0_sel:BYTE_0 src1_sel:DWORD
	v_bfrev_b32_e32 v8, 1
	s_and_saveexec_b64 s[18:19], s[2:3]
	s_cbranch_execz .LBB305_357
; %bb.354:                              ;   in Loop: Header=BB305_201 Depth=1
	v_and_b32_e32 v3, 0x7f, v1
	v_cmp_ne_u32_e64 s[2:3], s27, v3
	v_mov_b32_e32 v8, 0x7f800001
	s_and_saveexec_b64 s[24:25], s[2:3]
	s_cbranch_execz .LBB305_356
; %bb.355:                              ;   in Loop: Header=BB305_201 Depth=1
	v_and_b32_e32 v8, 7, v1
	v_ffbh_u32_e32 v8, v8
	v_min_u32_e32 v8, 32, v8
	v_lshrrev_b32_e32 v9, 3, v3
	v_subrev_u32_e32 v16, 28, v8
	v_sub_u32_e32 v8, 29, v8
	v_cmp_gt_u32_e64 s[2:3], 8, v3
	v_cndmask_b32_e64 v3, v9, v8, s[2:3]
	v_cndmask_b32_e64 v8, 0, v16, s[2:3]
	v_lshlrev_b64 v[8:9], v8, v[1:2]
	v_lshlrev_b32_e32 v9, 24, v1
	v_lshlrev_b32_e32 v8, 20, v8
	v_and_b32_e32 v8, 0x700000, v8
	v_and_b32_e32 v9, 0x80000000, v9
	v_lshl_add_u32 v3, v3, 23, v34
	v_or3_b32 v8, v9, v3, v8
.LBB305_356:                            ;   in Loop: Header=BB305_201 Depth=1
	s_or_b64 exec, exec, s[24:25]
.LBB305_357:                            ;   in Loop: Header=BB305_201 Depth=1
	s_or_b64 exec, exec, s[18:19]
.LBB305_358:                            ;   in Loop: Header=BB305_201 Depth=1
	s_or_b64 exec, exec, s[16:17]
	v_lshrrev_b16_e32 v3, 8, v1
	v_cmp_ne_u16_e64 s[2:3], 0, v3
	s_and_saveexec_b64 s[16:17], s[2:3]
	s_cbranch_execz .LBB305_364
; %bb.359:                              ;   in Loop: Header=BB305_201 Depth=1
	v_cmp_ne_u16_e64 s[2:3], s26, v3
	v_bfrev_b32_e32 v15, 1
	s_and_saveexec_b64 s[18:19], s[2:3]
	s_cbranch_execz .LBB305_363
; %bb.360:                              ;   in Loop: Header=BB305_201 Depth=1
	v_and_b32_e32 v9, 0x7f, v3
	v_cmp_ne_u32_e64 s[2:3], s27, v9
	v_mov_b32_e32 v15, 0x7f800001
	s_and_saveexec_b64 s[24:25], s[2:3]
	s_cbranch_execz .LBB305_362
; %bb.361:                              ;   in Loop: Header=BB305_201 Depth=1
	v_and_b32_e32 v54, 7, v3
	v_ffbh_u32_e32 v15, v54
	v_min_u32_e32 v56, 32, v15
	v_subrev_u32_e32 v15, 28, v56
	v_lshlrev_b64 v[15:16], v15, v[3:4]
	v_lshrrev_b32_e32 v55, 3, v9
	v_sub_u32_e32 v3, 29, v56
	v_and_b32_e32 v15, 7, v15
	v_cmp_gt_u32_e64 s[2:3], 8, v9
	v_cndmask_b32_e64 v3, v55, v3, s[2:3]
	v_cndmask_b32_e64 v9, v54, v15, s[2:3]
	v_lshlrev_b32_e32 v15, 16, v1
	v_lshlrev_b32_e32 v9, 20, v9
	v_and_b32_e32 v15, 0x80000000, v15
	v_lshl_add_u32 v3, v3, 23, v34
	v_or3_b32 v15, v15, v3, v9
.LBB305_362:                            ;   in Loop: Header=BB305_201 Depth=1
	s_or_b64 exec, exec, s[24:25]
.LBB305_363:                            ;   in Loop: Header=BB305_201 Depth=1
	s_or_b64 exec, exec, s[18:19]
.LBB305_364:                            ;   in Loop: Header=BB305_201 Depth=1
	s_or_b64 exec, exec, s[16:17]
	v_lshrrev_b32_e32 v3, 16, v1
	v_cmp_ne_u16_sdwa s[2:3], v3, v10 src0_sel:BYTE_0 src1_sel:DWORD
	v_mov_b32_e32 v54, 0
	v_mov_b32_e32 v16, 0
	s_and_saveexec_b64 s[16:17], s[2:3]
	s_cbranch_execz .LBB305_370
; %bb.365:                              ;   in Loop: Header=BB305_201 Depth=1
	v_cmp_ne_u16_sdwa s[2:3], v3, s26 src0_sel:BYTE_0 src1_sel:DWORD
	v_bfrev_b32_e32 v16, 1
	s_and_saveexec_b64 s[18:19], s[2:3]
	s_cbranch_execz .LBB305_369
; %bb.366:                              ;   in Loop: Header=BB305_201 Depth=1
	v_bfe_u32 v9, v1, 16, 7
	v_cmp_ne_u32_e64 s[2:3], s27, v9
	v_mov_b32_e32 v16, 0x7f800001
	s_and_saveexec_b64 s[24:25], s[2:3]
	s_cbranch_execz .LBB305_368
; %bb.367:                              ;   in Loop: Header=BB305_201 Depth=1
	v_and_b32_e32 v16, 7, v3
	v_ffbh_u32_e32 v55, v16
	v_min_u32_e32 v58, 32, v55
	v_subrev_u32_e32 v55, 28, v58
	v_lshlrev_b64 v[55:56], v55, v[3:4]
	v_lshrrev_b32_e32 v57, 3, v9
	v_sub_u32_e32 v56, 29, v58
	v_and_b32_e32 v55, 7, v55
	v_cmp_gt_u32_e64 s[2:3], 8, v9
	v_cndmask_b32_e64 v9, v57, v56, s[2:3]
	v_cndmask_b32_e64 v16, v16, v55, s[2:3]
	v_lshlrev_b32_e32 v3, 24, v3
	v_lshlrev_b32_e32 v16, 20, v16
	v_and_b32_e32 v3, 0x80000000, v3
	v_lshl_add_u32 v9, v9, 23, v34
	v_or3_b32 v16, v3, v9, v16
.LBB305_368:                            ;   in Loop: Header=BB305_201 Depth=1
	s_or_b64 exec, exec, s[24:25]
.LBB305_369:                            ;   in Loop: Header=BB305_201 Depth=1
	s_or_b64 exec, exec, s[18:19]
.LBB305_370:                            ;   in Loop: Header=BB305_201 Depth=1
	s_or_b64 exec, exec, s[16:17]
	v_cmp_lt_u32_e64 s[2:3], s7, v1
	s_and_saveexec_b64 s[16:17], s[2:3]
	s_cbranch_execz .LBB305_376
; %bb.371:                              ;   in Loop: Header=BB305_201 Depth=1
	v_lshrrev_b32_e32 v3, 24, v1
	v_cmp_ne_u32_e64 s[2:3], s26, v3
	v_bfrev_b32_e32 v54, 1
	s_and_saveexec_b64 s[18:19], s[2:3]
	s_cbranch_execz .LBB305_375
; %bb.372:                              ;   in Loop: Header=BB305_201 Depth=1
	v_bfe_u32 v9, v1, 24, 7
	v_cmp_ne_u32_e64 s[2:3], s27, v9
	v_mov_b32_e32 v54, 0x7f800001
	s_and_saveexec_b64 s[24:25], s[2:3]
	s_cbranch_execz .LBB305_374
; %bb.373:                              ;   in Loop: Header=BB305_201 Depth=1
	v_and_b32_e32 v56, 7, v3
	v_ffbh_u32_e32 v54, v56
	v_min_u32_e32 v58, 32, v54
	v_subrev_u32_e32 v54, 28, v58
	v_lshlrev_b64 v[54:55], v54, v[3:4]
	v_lshrrev_b32_e32 v57, 3, v9
	v_sub_u32_e32 v55, 29, v58
	v_and_b32_e32 v54, 7, v54
	v_cmp_gt_u32_e64 s[2:3], 8, v9
	v_cndmask_b32_e64 v9, v57, v55, s[2:3]
	v_cndmask_b32_e64 v54, v56, v54, s[2:3]
	v_lshlrev_b32_e32 v3, 24, v3
	v_lshlrev_b32_e32 v54, 20, v54
	v_and_b32_e32 v3, 0x80000000, v3
	v_lshl_add_u32 v9, v9, 23, v34
	v_or3_b32 v54, v3, v9, v54
.LBB305_374:                            ;   in Loop: Header=BB305_201 Depth=1
	s_or_b64 exec, exec, s[24:25]
.LBB305_375:                            ;   in Loop: Header=BB305_201 Depth=1
	s_or_b64 exec, exec, s[18:19]
.LBB305_376:                            ;   in Loop: Header=BB305_201 Depth=1
	s_or_b64 exec, exec, s[16:17]
	v_mov_b32_e32 v9, v2
	v_cmp_ne_u16_sdwa s[2:3], v2, v10 src0_sel:BYTE_0 src1_sel:DWORD
	v_mov_b32_e32 v56, 0
	v_mov_b32_e32 v55, 0
	s_and_saveexec_b64 s[16:17], s[2:3]
	s_cbranch_execz .LBB305_382
; %bb.377:                              ;   in Loop: Header=BB305_201 Depth=1
	v_cmp_ne_u16_sdwa s[2:3], v2, s26 src0_sel:BYTE_0 src1_sel:DWORD
	v_bfrev_b32_e32 v55, 1
	s_and_saveexec_b64 s[18:19], s[2:3]
	s_cbranch_execz .LBB305_381
; %bb.378:                              ;   in Loop: Header=BB305_201 Depth=1
	v_and_b32_e32 v3, 0x7f, v2
	v_cmp_ne_u32_e64 s[2:3], s27, v3
	v_mov_b32_e32 v55, 0x7f800001
	s_and_saveexec_b64 s[24:25], s[2:3]
	s_cbranch_execz .LBB305_380
; %bb.379:                              ;   in Loop: Header=BB305_201 Depth=1
	v_and_b32_e32 v55, 7, v2
	v_ffbh_u32_e32 v55, v55
	v_min_u32_e32 v55, 32, v55
	v_lshrrev_b32_e32 v57, 3, v3
	v_subrev_u32_e32 v58, 28, v55
	v_sub_u32_e32 v55, 29, v55
	v_cmp_gt_u32_e64 s[2:3], 8, v3
	v_cndmask_b32_e64 v3, v57, v55, s[2:3]
	v_cndmask_b32_e64 v55, 0, v58, s[2:3]
	v_lshlrev_b64 v[57:58], v55, v[9:10]
	v_lshl_add_u32 v3, v3, 23, v34
	v_lshlrev_b32_e32 v55, 20, v57
	v_lshlrev_b32_e32 v57, 24, v9
	v_and_b32_e32 v55, 0x700000, v55
	v_and_b32_e32 v57, 0x80000000, v57
	v_or3_b32 v55, v57, v3, v55
.LBB305_380:                            ;   in Loop: Header=BB305_201 Depth=1
	s_or_b64 exec, exec, s[24:25]
.LBB305_381:                            ;   in Loop: Header=BB305_201 Depth=1
	s_or_b64 exec, exec, s[18:19]
.LBB305_382:                            ;   in Loop: Header=BB305_201 Depth=1
	s_or_b64 exec, exec, s[16:17]
	v_lshrrev_b16_e32 v3, 8, v9
	v_cmp_ne_u16_e64 s[2:3], 0, v3
	s_and_saveexec_b64 s[16:17], s[2:3]
	s_cbranch_execz .LBB305_388
; %bb.383:                              ;   in Loop: Header=BB305_201 Depth=1
	v_cmp_ne_u16_e64 s[2:3], s26, v3
	v_bfrev_b32_e32 v56, 1
	s_and_saveexec_b64 s[18:19], s[2:3]
	s_cbranch_execz .LBB305_387
; %bb.384:                              ;   in Loop: Header=BB305_201 Depth=1
	v_and_b32_e32 v57, 0x7f, v3
	v_cmp_ne_u32_e64 s[2:3], s27, v57
	v_mov_b32_e32 v56, 0x7f800001
	s_and_saveexec_b64 s[24:25], s[2:3]
	s_cbranch_execz .LBB305_386
; %bb.385:                              ;   in Loop: Header=BB305_201 Depth=1
	v_and_b32_e32 v56, 7, v3
	v_ffbh_u32_e32 v58, v56
	v_min_u32_e32 v61, 32, v58
	v_subrev_u32_e32 v58, 28, v61
	v_lshlrev_b64 v[58:59], v58, v[3:4]
	v_lshrrev_b32_e32 v60, 3, v57
	v_sub_u32_e32 v3, 29, v61
	v_and_b32_e32 v58, 7, v58
	v_cmp_gt_u32_e64 s[2:3], 8, v57
	v_cndmask_b32_e64 v3, v60, v3, s[2:3]
	v_cndmask_b32_e64 v56, v56, v58, s[2:3]
	v_lshlrev_b32_e32 v9, 16, v9
	v_lshlrev_b32_e32 v56, 20, v56
	v_and_b32_e32 v9, 0x80000000, v9
	v_lshl_add_u32 v3, v3, 23, v34
	v_or3_b32 v56, v9, v3, v56
.LBB305_386:                            ;   in Loop: Header=BB305_201 Depth=1
	s_or_b64 exec, exec, s[24:25]
.LBB305_387:                            ;   in Loop: Header=BB305_201 Depth=1
	s_or_b64 exec, exec, s[18:19]
.LBB305_388:                            ;   in Loop: Header=BB305_201 Depth=1
	s_or_b64 exec, exec, s[16:17]
	v_lshrrev_b32_e32 v3, 16, v2
	v_cmp_ne_u16_sdwa s[2:3], v3, v10 src0_sel:BYTE_0 src1_sel:DWORD
	v_mov_b32_e32 v9, 0
	v_mov_b32_e32 v57, 0
	s_and_saveexec_b64 s[16:17], s[2:3]
	s_cbranch_execz .LBB305_394
; %bb.389:                              ;   in Loop: Header=BB305_201 Depth=1
	v_cmp_ne_u16_sdwa s[2:3], v3, s26 src0_sel:BYTE_0 src1_sel:DWORD
	v_bfrev_b32_e32 v57, 1
	s_and_saveexec_b64 s[18:19], s[2:3]
	s_cbranch_execz .LBB305_393
; %bb.390:                              ;   in Loop: Header=BB305_201 Depth=1
	v_bfe_u32 v58, v2, 16, 7
	v_cmp_ne_u32_e64 s[2:3], s27, v58
	v_mov_b32_e32 v57, 0x7f800001
	s_and_saveexec_b64 s[24:25], s[2:3]
	s_cbranch_execz .LBB305_392
; %bb.391:                              ;   in Loop: Header=BB305_201 Depth=1
	v_and_b32_e32 v59, 7, v3
	v_ffbh_u32_e32 v57, v59
	v_min_u32_e32 v61, 32, v57
	v_subrev_u32_e32 v57, 28, v61
	v_lshrrev_b32_e32 v60, 3, v58
	v_cmp_gt_u32_e64 s[2:3], 8, v58
	v_lshlrev_b64 v[57:58], v57, v[3:4]
	v_sub_u32_e32 v58, 29, v61
	v_and_b32_e32 v57, 7, v57
	v_cndmask_b32_e64 v58, v60, v58, s[2:3]
	v_cndmask_b32_e64 v57, v59, v57, s[2:3]
	v_lshlrev_b32_e32 v3, 24, v3
	v_lshlrev_b32_e32 v57, 20, v57
	v_and_b32_e32 v3, 0x80000000, v3
	v_lshl_add_u32 v58, v58, 23, v34
	v_or3_b32 v57, v3, v58, v57
.LBB305_392:                            ;   in Loop: Header=BB305_201 Depth=1
	s_or_b64 exec, exec, s[24:25]
.LBB305_393:                            ;   in Loop: Header=BB305_201 Depth=1
	s_or_b64 exec, exec, s[18:19]
.LBB305_394:                            ;   in Loop: Header=BB305_201 Depth=1
	s_or_b64 exec, exec, s[16:17]
	v_cmp_lt_u64_e64 s[2:3], s[6:7], v[1:2]
	s_and_saveexec_b64 s[16:17], s[2:3]
	s_cbranch_execz .LBB305_400
; %bb.395:                              ;   in Loop: Header=BB305_201 Depth=1
	v_lshrrev_b32_e32 v1, 24, v2
	v_cmp_ne_u32_e64 s[2:3], s26, v1
	v_bfrev_b32_e32 v9, 1
	s_and_saveexec_b64 s[18:19], s[2:3]
	s_cbranch_execz .LBB305_399
; %bb.396:                              ;   in Loop: Header=BB305_201 Depth=1
	v_bfe_u32 v2, v2, 24, 7
	v_cmp_ne_u32_e64 s[2:3], s27, v2
	v_mov_b32_e32 v9, 0x7f800001
	s_and_saveexec_b64 s[24:25], s[2:3]
	s_cbranch_execz .LBB305_398
; %bb.397:                              ;   in Loop: Header=BB305_201 Depth=1
	v_and_b32_e32 v3, 7, v1
	v_ffbh_u32_e32 v58, v3
	v_min_u32_e32 v60, 32, v58
	v_subrev_u32_e32 v58, 28, v60
	v_lshlrev_b64 v[58:59], v58, v[1:2]
	v_lshrrev_b32_e32 v9, 3, v2
	v_sub_u32_e32 v59, 29, v60
	v_and_b32_e32 v58, 7, v58
	v_cmp_gt_u32_e64 s[2:3], 8, v2
	v_cndmask_b32_e64 v2, v9, v59, s[2:3]
	v_cndmask_b32_e64 v3, v3, v58, s[2:3]
	v_lshlrev_b32_e32 v1, 24, v1
	v_lshlrev_b32_e32 v3, 20, v3
	v_and_b32_e32 v1, 0x80000000, v1
	v_lshl_add_u32 v2, v2, 23, v34
	v_or3_b32 v9, v1, v2, v3
.LBB305_398:                            ;   in Loop: Header=BB305_201 Depth=1
	s_or_b64 exec, exec, s[24:25]
.LBB305_399:                            ;   in Loop: Header=BB305_201 Depth=1
	s_or_b64 exec, exec, s[18:19]
.LBB305_400:                            ;   in Loop: Header=BB305_201 Depth=1
	s_or_b64 exec, exec, s[16:17]
	v_mul_f32_e32 v1, s29, v56
	v_bfe_u32 v2, v1, 16, 1
	v_add3_u32 v2, v2, v1, s33
	v_or_b32_e32 v3, 0x400000, v1
	v_cmp_u_f32_e64 s[2:3], v1, v1
	v_cndmask_b32_e64 v1, v2, v3, s[2:3]
	v_mul_f32_e32 v2, s29, v55
	v_bfe_u32 v3, v2, 16, 1
	v_add3_u32 v3, v3, v2, s33
	v_or_b32_e32 v55, 0x400000, v2
	v_cmp_u_f32_e64 s[2:3], v2, v2
	v_cndmask_b32_e64 v2, v3, v55, s[2:3]
	v_mul_f32_e32 v3, s29, v54
	v_bfe_u32 v54, v3, 16, 1
	v_add3_u32 v54, v54, v3, s33
	v_or_b32_e32 v55, 0x400000, v3
	v_cmp_u_f32_e64 s[2:3], v3, v3
	v_mul_f32_e32 v16, s29, v16
	v_cndmask_b32_e64 v3, v54, v55, s[2:3]
	v_bfe_u32 v54, v16, 16, 1
	v_add3_u32 v54, v54, v16, s33
	v_or_b32_e32 v55, 0x400000, v16
	v_cmp_u_f32_e64 s[2:3], v16, v16
	v_mul_f32_e32 v15, s29, v15
	v_cndmask_b32_e64 v16, v54, v55, s[2:3]
	v_bfe_u32 v54, v15, 16, 1
	v_add3_u32 v54, v54, v15, s33
	v_or_b32_e32 v55, 0x400000, v15
	v_cmp_u_f32_e64 s[2:3], v15, v15
	v_cndmask_b32_e64 v15, v54, v55, s[2:3]
	v_mul_f32_e32 v8, s29, v8
	v_lshrrev_b32_e32 v54, 16, v15
	v_bfe_u32 v15, v8, 16, 1
	v_add3_u32 v15, v15, v8, s33
	v_or_b32_e32 v55, 0x400000, v8
	v_cmp_u_f32_e64 s[2:3], v8, v8
	v_cndmask_b32_e64 v8, v15, v55, s[2:3]
	v_lshrrev_b32_e32 v55, 16, v8
	v_mul_f32_e32 v8, s29, v57
	v_bfe_u32 v15, v8, 16, 1
	v_add3_u32 v15, v15, v8, s33
	v_or_b32_e32 v56, 0x400000, v8
	v_cmp_u_f32_e64 s[2:3], v8, v8
	v_cndmask_b32_e64 v8, v15, v56, s[2:3]
	v_lshrrev_b32_e32 v15, 16, v8
	v_mul_f32_e32 v8, s29, v9
	v_bfe_u32 v9, v8, 16, 1
	v_add3_u32 v9, v9, v8, s33
	v_or_b32_e32 v56, 0x400000, v8
	v_cmp_u_f32_e64 s[2:3], v8, v8
	v_cndmask_b32_e64 v8, v9, v56, s[2:3]
	v_lshrrev_b32_e32 v1, 16, v1
	v_lshrrev_b32_e32 v2, 16, v2
	;; [unrolled: 1-line block ×5, first 2 shown]
	s_and_saveexec_b64 s[2:3], s[0:1]
	s_cbranch_execz .LBB305_199
; %bb.401:                              ;   in Loop: Header=BB305_201 Depth=1
	v_cmp_gt_i32_e64 s[0:1], s30, v43
	v_add_u32_e32 v9, -6, v32
	v_cndmask_b32_e64 v55, 0, v55, s[0:1]
	v_cmp_gt_i32_e64 s[0:1], s30, v9
	v_add_u32_e32 v9, -5, v32
	v_cndmask_b32_e64 v54, 0, v54, s[0:1]
	;; [unrolled: 3-line block ×6, first 2 shown]
	v_cmp_gt_i32_e64 s[0:1], s30, v9
	v_cndmask_b32_e64 v15, 0, v15, s[0:1]
	v_cmp_gt_i32_e64 s[0:1], s30, v32
	v_cndmask_b32_e64 v8, 0, v8, s[0:1]
	s_branch .LBB305_199
.LBB305_402:
	s_or_b64 exec, exec, s[12:13]
	v_mov_b32_e32 v12, v62
.LBB305_403:
	s_or_b64 exec, exec, s[4:5]
	ds_bpermute_b32 v1, v23, v29
	ds_bpermute_b32 v4, v23, v28
	;; [unrolled: 1-line block ×4, first 2 shown]
	v_cmp_eq_u32_e32 vcc, 0, v25
	s_waitcnt lgkmcnt(3)
	v_add_f32_e32 v2, v29, v1
	s_waitcnt lgkmcnt(2)
	v_add_f32_e32 v1, v28, v4
	v_and_b32_e32 v4, 0x3c0, v12
	s_waitcnt lgkmcnt(1)
	v_add_f32_e32 v3, v27, v0
	s_waitcnt lgkmcnt(0)
	v_add_f32_e32 v0, v30, v5
	v_cmp_eq_u32_e64 s[0:1], 64, v4
	s_barrier
	s_and_saveexec_b64 s[2:3], s[0:1]
	s_cbranch_execz .LBB305_408
; %bb.404:
	s_and_saveexec_b64 s[0:1], vcc
	s_cbranch_execz .LBB305_406
; %bb.405:
	v_mov_b32_e32 v4, 0xf0
	v_lshl_add_u32 v4, v24, 2, v4
	ds_write2_b32 v4, v3, v2 offset1:32
	ds_write_b32 v4, v1 offset:256
.LBB305_406:
	s_or_b64 exec, exec, s[0:1]
	v_or_b32_e32 v4, 0x60, v24
	s_movk_i32 s0, 0x70
	v_cmp_gt_u32_e64 s[0:1], s0, v4
	s_and_b64 s[0:1], vcc, s[0:1]
	s_and_b64 exec, exec, s[0:1]
; %bb.407:
	v_mov_b32_e32 v4, 0xf0
	v_lshl_add_u32 v4, v24, 2, v4
	ds_write_b32 v4, v0 offset:384
.LBB305_408:
	s_or_b64 exec, exec, s[2:3]
	v_cmp_gt_u32_e64 s[0:1], 64, v12
	v_lshrrev_b32_e32 v4, 1, v12
	s_waitcnt lgkmcnt(0)
	s_barrier
	s_and_saveexec_b64 s[4:5], s[0:1]
	s_cbranch_execz .LBB305_418
; %bb.409:
	s_and_saveexec_b64 s[2:3], vcc
	s_cbranch_execz .LBB305_411
; %bb.410:
	v_mov_b32_e32 v5, 0xf0
	v_lshl_add_u32 v5, v4, 2, v5
	ds_read_b32 v5, v5
	s_waitcnt lgkmcnt(0)
	v_add_f32_e32 v3, v3, v5
.LBB305_411:
	s_or_b64 exec, exec, s[2:3]
	v_or_b32_e32 v5, 32, v4
	s_movk_i32 s6, 0x70
	v_cmp_gt_u32_e64 s[2:3], s6, v5
	s_and_b64 s[12:13], vcc, s[2:3]
	s_and_saveexec_b64 s[2:3], s[12:13]
	s_cbranch_execz .LBB305_413
; %bb.412:
	v_mov_b32_e32 v5, 0xf0
	v_lshl_add_u32 v5, v4, 2, v5
	ds_read_b32 v5, v5 offset:128
	s_waitcnt lgkmcnt(0)
	v_add_f32_e32 v2, v2, v5
.LBB305_413:
	s_or_b64 exec, exec, s[2:3]
	v_or_b32_e32 v5, 64, v4
	v_cmp_gt_u32_e64 s[2:3], s6, v5
	s_and_b64 s[6:7], vcc, s[2:3]
	s_and_saveexec_b64 s[2:3], s[6:7]
	s_cbranch_execz .LBB305_415
; %bb.414:
	v_mov_b32_e32 v5, 0xf0
	v_lshl_add_u32 v5, v4, 2, v5
	ds_read_b32 v5, v5 offset:256
	s_waitcnt lgkmcnt(0)
	v_add_f32_e32 v1, v1, v5
.LBB305_415:
	s_or_b64 exec, exec, s[2:3]
	v_or_b32_e32 v5, 0x60, v4
	s_movk_i32 s2, 0x70
	v_cmp_gt_u32_e64 s[2:3], s2, v5
	s_and_b64 s[6:7], vcc, s[2:3]
	s_and_saveexec_b64 s[2:3], s[6:7]
	s_cbranch_execz .LBB305_417
; %bb.416:
	v_mov_b32_e32 v5, 0xf0
	v_lshl_add_u32 v5, v4, 2, v5
	ds_read_b32 v5, v5 offset:384
	s_waitcnt lgkmcnt(0)
	v_add_f32_e32 v0, v0, v5
.LBB305_417:
	s_or_b64 exec, exec, s[2:3]
.LBB305_418:
	s_or_b64 exec, exec, s[4:5]
	s_barrier
	s_and_saveexec_b64 s[2:3], s[0:1]
	s_cbranch_execz .LBB305_427
; %bb.419:
	s_mul_i32 s0, s10, s11
	s_mul_i32 s0, s0, s9
	s_mulk_i32 s0, 0x70
	s_ashr_i32 s1, s0, 31
	s_lshl_b64 s[0:1], s[0:1], 1
	s_add_u32 s2, s22, s0
	s_mul_i32 s0, s11, s20
	s_addc_u32 s3, s23, s1
	s_ashr_i32 s1, s0, 31
	s_lshl_b64 s[0:1], s[0:1], 1
	s_add_u32 s2, s2, s0
	s_mul_i32 s0, s8, 0x70
	s_addc_u32 s3, s3, s1
	s_ashr_i32 s1, s0, 31
	s_lshl_b64 s[0:1], s[0:1], 1
	s_add_u32 s2, s2, s0
	s_movk_i32 s6, 0x70
	s_addc_u32 s3, s3, s1
	v_lshlrev_b32_e32 v5, 1, v4
	s_and_saveexec_b64 s[4:5], vcc
	s_cbranch_execz .LBB305_421
; %bb.420:
	v_bfe_u32 v6, v3, 16, 1
	s_movk_i32 s0, 0x7fff
	v_add3_u32 v6, v6, v3, s0
	v_or_b32_e32 v7, 0x400000, v3
	v_cmp_u_f32_e64 s[0:1], v3, v3
	v_cndmask_b32_e64 v3, v6, v7, s[0:1]
	global_store_short_d16_hi v5, v3, s[2:3]
.LBB305_421:
	s_or_b64 exec, exec, s[4:5]
	v_or_b32_e32 v3, 32, v4
	v_cmp_gt_u32_e64 s[0:1], s6, v3
	s_and_b64 s[0:1], vcc, s[0:1]
	s_and_saveexec_b64 s[4:5], s[0:1]
	s_cbranch_execz .LBB305_423
; %bb.422:
	v_bfe_u32 v3, v2, 16, 1
	s_movk_i32 s0, 0x7fff
	v_add3_u32 v3, v3, v2, s0
	v_or_b32_e32 v6, 0x400000, v2
	v_cmp_u_f32_e64 s[0:1], v2, v2
	v_cndmask_b32_e64 v2, v3, v6, s[0:1]
	global_store_short_d16_hi v5, v2, s[2:3] offset:64
.LBB305_423:
	s_or_b64 exec, exec, s[4:5]
	v_or_b32_e32 v2, 64, v4
	v_cmp_gt_u32_e64 s[0:1], s6, v2
	s_and_b64 s[0:1], vcc, s[0:1]
	s_and_saveexec_b64 s[4:5], s[0:1]
	s_cbranch_execz .LBB305_425
; %bb.424:
	v_bfe_u32 v2, v1, 16, 1
	s_movk_i32 s0, 0x7fff
	v_add3_u32 v2, v2, v1, s0
	v_or_b32_e32 v3, 0x400000, v1
	v_cmp_u_f32_e64 s[0:1], v1, v1
	v_cndmask_b32_e64 v1, v2, v3, s[0:1]
	global_store_short_d16_hi v5, v1, s[2:3] offset:128
.LBB305_425:
	s_or_b64 exec, exec, s[4:5]
	v_or_b32_e32 v1, 0x60, v4
	v_cmp_gt_u32_e64 s[0:1], s6, v1
	s_and_b64 s[0:1], vcc, s[0:1]
	s_and_b64 exec, exec, s[0:1]
	s_cbranch_execz .LBB305_427
; %bb.426:
	v_bfe_u32 v1, v0, 16, 1
	s_movk_i32 s0, 0x7fff
	v_add3_u32 v1, v1, v0, s0
	v_or_b32_e32 v2, 0x400000, v0
	v_cmp_u_f32_e32 vcc, v0, v0
	v_cndmask_b32_e32 v0, v1, v2, vcc
	global_store_short_d16_hi v5, v0, s[2:3] offset:192
.LBB305_427:
	s_endpgm
	.section	.rodata,"a",@progbits
	.p2align	6, 0x0
	.amdhsa_kernel _ZN4vllm25paged_attention_v1_kernelI14__hip_bfloat16hLi112ELi16ELi128ELNS_18Fp8KVCacheDataTypeE1ELb0EEEvPT_PKS3_PKT0_S9_ifPKiSB_iPKfiiiSD_SD_iiiii
		.amdhsa_group_segment_fixed_size 240
		.amdhsa_private_segment_fixed_size 68
		.amdhsa_kernarg_size 384
		.amdhsa_user_sgpr_count 6
		.amdhsa_user_sgpr_private_segment_buffer 1
		.amdhsa_user_sgpr_dispatch_ptr 0
		.amdhsa_user_sgpr_queue_ptr 0
		.amdhsa_user_sgpr_kernarg_segment_ptr 1
		.amdhsa_user_sgpr_dispatch_id 0
		.amdhsa_user_sgpr_flat_scratch_init 0
		.amdhsa_user_sgpr_private_segment_size 0
		.amdhsa_uses_dynamic_stack 0
		.amdhsa_system_sgpr_private_segment_wavefront_offset 1
		.amdhsa_system_sgpr_workgroup_id_x 1
		.amdhsa_system_sgpr_workgroup_id_y 1
		.amdhsa_system_sgpr_workgroup_id_z 1
		.amdhsa_system_sgpr_workgroup_info 0
		.amdhsa_system_vgpr_workitem_id 0
		.amdhsa_next_free_vgpr 64
		.amdhsa_next_free_sgpr 48
		.amdhsa_reserve_vcc 1
		.amdhsa_reserve_flat_scratch 0
		.amdhsa_float_round_mode_32 0
		.amdhsa_float_round_mode_16_64 0
		.amdhsa_float_denorm_mode_32 3
		.amdhsa_float_denorm_mode_16_64 3
		.amdhsa_dx10_clamp 1
		.amdhsa_ieee_mode 1
		.amdhsa_fp16_overflow 0
		.amdhsa_exception_fp_ieee_invalid_op 0
		.amdhsa_exception_fp_denorm_src 0
		.amdhsa_exception_fp_ieee_div_zero 0
		.amdhsa_exception_fp_ieee_overflow 0
		.amdhsa_exception_fp_ieee_underflow 0
		.amdhsa_exception_fp_ieee_inexact 0
		.amdhsa_exception_int_div_zero 0
	.end_amdhsa_kernel
	.section	.text._ZN4vllm25paged_attention_v1_kernelI14__hip_bfloat16hLi112ELi16ELi128ELNS_18Fp8KVCacheDataTypeE1ELb0EEEvPT_PKS3_PKT0_S9_ifPKiSB_iPKfiiiSD_SD_iiiii,"axG",@progbits,_ZN4vllm25paged_attention_v1_kernelI14__hip_bfloat16hLi112ELi16ELi128ELNS_18Fp8KVCacheDataTypeE1ELb0EEEvPT_PKS3_PKT0_S9_ifPKiSB_iPKfiiiSD_SD_iiiii,comdat
.Lfunc_end305:
	.size	_ZN4vllm25paged_attention_v1_kernelI14__hip_bfloat16hLi112ELi16ELi128ELNS_18Fp8KVCacheDataTypeE1ELb0EEEvPT_PKS3_PKT0_S9_ifPKiSB_iPKfiiiSD_SD_iiiii, .Lfunc_end305-_ZN4vllm25paged_attention_v1_kernelI14__hip_bfloat16hLi112ELi16ELi128ELNS_18Fp8KVCacheDataTypeE1ELb0EEEvPT_PKS3_PKT0_S9_ifPKiSB_iPKfiiiSD_SD_iiiii
                                        ; -- End function
	.set _ZN4vllm25paged_attention_v1_kernelI14__hip_bfloat16hLi112ELi16ELi128ELNS_18Fp8KVCacheDataTypeE1ELb0EEEvPT_PKS3_PKT0_S9_ifPKiSB_iPKfiiiSD_SD_iiiii.num_vgpr, 64
	.set _ZN4vllm25paged_attention_v1_kernelI14__hip_bfloat16hLi112ELi16ELi128ELNS_18Fp8KVCacheDataTypeE1ELb0EEEvPT_PKS3_PKT0_S9_ifPKiSB_iPKfiiiSD_SD_iiiii.num_agpr, 0
	.set _ZN4vllm25paged_attention_v1_kernelI14__hip_bfloat16hLi112ELi16ELi128ELNS_18Fp8KVCacheDataTypeE1ELb0EEEvPT_PKS3_PKT0_S9_ifPKiSB_iPKfiiiSD_SD_iiiii.numbered_sgpr, 48
	.set _ZN4vllm25paged_attention_v1_kernelI14__hip_bfloat16hLi112ELi16ELi128ELNS_18Fp8KVCacheDataTypeE1ELb0EEEvPT_PKS3_PKT0_S9_ifPKiSB_iPKfiiiSD_SD_iiiii.num_named_barrier, 0
	.set _ZN4vllm25paged_attention_v1_kernelI14__hip_bfloat16hLi112ELi16ELi128ELNS_18Fp8KVCacheDataTypeE1ELb0EEEvPT_PKS3_PKT0_S9_ifPKiSB_iPKfiiiSD_SD_iiiii.private_seg_size, 68
	.set _ZN4vllm25paged_attention_v1_kernelI14__hip_bfloat16hLi112ELi16ELi128ELNS_18Fp8KVCacheDataTypeE1ELb0EEEvPT_PKS3_PKT0_S9_ifPKiSB_iPKfiiiSD_SD_iiiii.uses_vcc, 1
	.set _ZN4vllm25paged_attention_v1_kernelI14__hip_bfloat16hLi112ELi16ELi128ELNS_18Fp8KVCacheDataTypeE1ELb0EEEvPT_PKS3_PKT0_S9_ifPKiSB_iPKfiiiSD_SD_iiiii.uses_flat_scratch, 0
	.set _ZN4vllm25paged_attention_v1_kernelI14__hip_bfloat16hLi112ELi16ELi128ELNS_18Fp8KVCacheDataTypeE1ELb0EEEvPT_PKS3_PKT0_S9_ifPKiSB_iPKfiiiSD_SD_iiiii.has_dyn_sized_stack, 0
	.set _ZN4vllm25paged_attention_v1_kernelI14__hip_bfloat16hLi112ELi16ELi128ELNS_18Fp8KVCacheDataTypeE1ELb0EEEvPT_PKS3_PKT0_S9_ifPKiSB_iPKfiiiSD_SD_iiiii.has_recursion, 0
	.set _ZN4vllm25paged_attention_v1_kernelI14__hip_bfloat16hLi112ELi16ELi128ELNS_18Fp8KVCacheDataTypeE1ELb0EEEvPT_PKS3_PKT0_S9_ifPKiSB_iPKfiiiSD_SD_iiiii.has_indirect_call, 0
	.section	.AMDGPU.csdata,"",@progbits
; Kernel info:
; codeLenInByte = 20928
; TotalNumSgprs: 52
; NumVgprs: 64
; ScratchSize: 68
; MemoryBound: 0
; FloatMode: 240
; IeeeMode: 1
; LDSByteSize: 240 bytes/workgroup (compile time only)
; SGPRBlocks: 6
; VGPRBlocks: 15
; NumSGPRsForWavesPerEU: 52
; NumVGPRsForWavesPerEU: 64
; Occupancy: 4
; WaveLimiterHint : 1
; COMPUTE_PGM_RSRC2:SCRATCH_EN: 1
; COMPUTE_PGM_RSRC2:USER_SGPR: 6
; COMPUTE_PGM_RSRC2:TRAP_HANDLER: 0
; COMPUTE_PGM_RSRC2:TGID_X_EN: 1
; COMPUTE_PGM_RSRC2:TGID_Y_EN: 1
; COMPUTE_PGM_RSRC2:TGID_Z_EN: 1
; COMPUTE_PGM_RSRC2:TIDIG_COMP_CNT: 0
	.section	.text._ZN4vllm25paged_attention_v1_kernelI14__hip_bfloat16hLi120ELi16ELi128ELNS_18Fp8KVCacheDataTypeE1ELb0EEEvPT_PKS3_PKT0_S9_ifPKiSB_iPKfiiiSD_SD_iiiii,"axG",@progbits,_ZN4vllm25paged_attention_v1_kernelI14__hip_bfloat16hLi120ELi16ELi128ELNS_18Fp8KVCacheDataTypeE1ELb0EEEvPT_PKS3_PKT0_S9_ifPKiSB_iPKfiiiSD_SD_iiiii,comdat
	.protected	_ZN4vllm25paged_attention_v1_kernelI14__hip_bfloat16hLi120ELi16ELi128ELNS_18Fp8KVCacheDataTypeE1ELb0EEEvPT_PKS3_PKT0_S9_ifPKiSB_iPKfiiiSD_SD_iiiii ; -- Begin function _ZN4vllm25paged_attention_v1_kernelI14__hip_bfloat16hLi120ELi16ELi128ELNS_18Fp8KVCacheDataTypeE1ELb0EEEvPT_PKS3_PKT0_S9_ifPKiSB_iPKfiiiSD_SD_iiiii
	.globl	_ZN4vllm25paged_attention_v1_kernelI14__hip_bfloat16hLi120ELi16ELi128ELNS_18Fp8KVCacheDataTypeE1ELb0EEEvPT_PKS3_PKT0_S9_ifPKiSB_iPKfiiiSD_SD_iiiii
	.p2align	8
	.type	_ZN4vllm25paged_attention_v1_kernelI14__hip_bfloat16hLi120ELi16ELi128ELNS_18Fp8KVCacheDataTypeE1ELb0EEEvPT_PKS3_PKT0_S9_ifPKiSB_iPKfiiiSD_SD_iiiii,@function
_ZN4vllm25paged_attention_v1_kernelI14__hip_bfloat16hLi120ELi16ELi128ELNS_18Fp8KVCacheDataTypeE1ELb0EEEvPT_PKS3_PKT0_S9_ifPKiSB_iPKfiiiSD_SD_iiiii: ; @_ZN4vllm25paged_attention_v1_kernelI14__hip_bfloat16hLi120ELi16ELi128ELNS_18Fp8KVCacheDataTypeE1ELb0EEEvPT_PKS3_PKT0_S9_ifPKiSB_iPKfiiiSD_SD_iiiii
; %bb.0:
	s_mov_b64 s[46:47], s[2:3]
	s_mov_b64 s[44:45], s[0:1]
	s_add_u32 s44, s44, s9
	s_load_dword s9, s[4:5], 0x80
	s_load_dwordx2 s[0:1], s[4:5], 0x30
	s_load_dwordx2 s[30:31], s[4:5], 0x20
	s_addc_u32 s45, s45, 0
	s_mov_b32 s10, s7
	s_ashr_i32 s11, s7, 31
	s_lshl_b64 s[2:3], s[10:11], 2
	s_waitcnt lgkmcnt(0)
	s_add_u32 s0, s0, s2
	s_addc_u32 s1, s1, s3
	s_abs_i32 s2, s30
	v_mov_b32_e32 v12, v0
	v_cvt_f32_u32_e32 v0, s2
	s_sub_i32 s11, 0, s2
	s_abs_i32 s7, s9
	s_xor_b32 s3, s9, s30
	v_rcp_iflag_f32_e32 v0, v0
	s_ashr_i32 s3, s3, 31
	s_mov_b32 s33, 0
	v_mul_f32_e32 v0, 0x4f7ffffe, v0
	v_cvt_u32_f32_e32 v0, v0
	v_readfirstlane_b32 s12, v0
	s_mul_i32 s11, s11, s12
	s_mul_hi_u32 s11, s12, s11
	s_add_i32 s12, s12, s11
	s_mul_hi_u32 s11, s7, s12
	s_mul_i32 s12, s11, s2
	s_sub_i32 s7, s7, s12
	s_add_i32 s12, s11, 1
	s_sub_i32 s13, s7, s2
	s_cmp_ge_u32 s7, s2
	s_cselect_b32 s11, s12, s11
	s_cselect_b32 s7, s13, s7
	s_add_i32 s12, s11, 1
	s_cmp_ge_u32 s7, s2
	s_cselect_b32 s2, s12, s11
	s_xor_b32 s2, s2, s3
	s_sub_i32 s18, s2, s3
	s_abs_i32 s11, s18
	v_cvt_f32_u32_e32 v0, s11
	s_load_dwordx2 s[2:3], s[4:5], 0x40
	s_sub_i32 s7, 0, s11
	s_abs_i32 s16, s6
	v_rcp_iflag_f32_e32 v0, v0
	v_mul_f32_e32 v0, 0x4f7ffffe, v0
	v_cvt_u32_f32_e32 v0, v0
	v_readfirstlane_b32 s12, v0
	s_mul_i32 s7, s7, s12
	s_mul_hi_u32 s7, s12, s7
	s_add_i32 s12, s12, s7
	s_waitcnt lgkmcnt(0)
	s_cmp_eq_u64 s[2:3], 0
	s_mul_hi_u32 s17, s16, s12
	s_cbranch_scc1 .LBB306_2
; %bb.1:
	s_ashr_i32 s7, s6, 31
	s_lshl_b64 s[12:13], s[6:7], 2
	s_add_u32 s2, s2, s12
	s_addc_u32 s3, s3, s13
	s_load_dword s33, s[2:3], 0x0
.LBB306_2:
	s_load_dword s30, s[0:1], 0x0
	s_load_dwordx4 s[12:15], s[4:5], 0x48
	s_ashr_i32 s2, s6, 31
	s_ashr_i32 s3, s18, 31
	v_and_b32_e32 v0, 3, v12
	s_mul_i32 s20, s6, 0x78
	v_cmp_gt_u32_e32 vcc, 60, v12
	s_and_saveexec_b64 s[0:1], vcc
	s_cbranch_execz .LBB306_4
; %bb.3:
	s_load_dwordx2 s[6:7], s[4:5], 0x8
	s_waitcnt lgkmcnt(0)
	s_mul_i32 s18, s12, s10
	s_ashr_i32 s19, s18, 31
	s_lshl_b64 s[18:19], s[18:19], 1
	v_lshlrev_b32_e32 v1, 2, v12
	s_add_u32 s12, s6, s18
	s_addc_u32 s15, s7, s19
	s_ashr_i32 s21, s20, 31
	s_lshl_b64 s[6:7], s[20:21], 1
	s_add_u32 s6, s12, s6
	s_addc_u32 s7, s15, s7
	global_load_dword v1, v1, s[6:7]
	v_and_b32_e32 v2, 0x3fc, v12
	v_mad_u32_u24 v2, v0, 60, v2
	s_waitcnt vmcnt(0)
	ds_write_b32 v2, v1
.LBB306_4:
	s_or_b64 exec, exec, s[0:1]
	s_waitcnt lgkmcnt(0)
	s_add_i32 s1, s30, 15
	s_ashr_i32 s6, s1, 31
	s_lshr_b32 s6, s6, 28
	s_add_i32 s1, s1, s6
	s_ashr_i32 s21, s1, 4
	s_xor_b32 s1, s2, s3
	s_mul_i32 s2, s17, s11
	s_sub_i32 s2, s16, s2
	s_add_i32 s3, s17, 1
	s_sub_i32 s6, s2, s11
	s_load_dwordx2 s[24:25], s[4:5], 0x28
	s_load_dword s0, s[4:5], 0x38
	s_cmp_ge_u32 s2, s11
	s_cselect_b32 s3, s3, s17
	s_cselect_b32 s2, s6, s2
	s_add_i32 s6, s3, 1
	s_cmp_ge_u32 s2, s11
	s_cselect_b32 s2, s6, s3
	v_lshrrev_b32_e32 v22, 6, v12
	s_xor_b32 s2, s2, s1
	s_waitcnt lgkmcnt(0)
	s_mul_i32 s26, s0, s10
	s_sub_i32 s12, s2, s1
	s_ashr_i32 s27, s26, 31
	v_cmp_le_i32_e64 s[0:1], s21, v22
	v_mbcnt_lo_u32_b32 v5, -1, 0
	s_barrier
                                        ; implicit-def: $vgpr14
                                        ; implicit-def: $vgpr9
                                        ; implicit-def: $vgpr15
	s_and_saveexec_b64 s[2:3], s[0:1]
	s_xor_b64 s[2:3], exec, s[2:3]
; %bb.5:
	v_mbcnt_hi_u32_b32 v14, -1, v5
	v_and_b32_e32 v9, 64, v14
	v_add_u32_e32 v15, 64, v9
                                        ; implicit-def: $vgpr0
                                        ; implicit-def: $vgpr5
; %bb.6:
	s_or_saveexec_b64 s[6:7], s[2:3]
	s_load_dwordx2 s[22:23], s[4:5], 0x0
	s_load_dwordx2 s[28:29], s[4:5], 0x18
	s_load_dword s11, s[4:5], 0x88
	s_load_dwordx4 s[16:19], s[4:5], 0x58
	v_mov_b32_e32 v42, 0xff7fffff
	s_mul_i32 s12, s12, s14
	v_lshrrev_b32_e32 v13, 4, v12
	s_xor_b64 exec, exec, s[6:7]
	s_cbranch_execz .LBB306_192
; %bb.7:
	v_mul_u32_u24_e32 v10, 60, v0
	ds_read2_b32 v[1:2], v10 offset1:1
	ds_read2_b32 v[3:4], v10 offset0:2 offset1:3
	ds_read2_b32 v[6:7], v10 offset0:4 offset1:5
	;; [unrolled: 1-line block ×3, first 2 shown]
	s_load_dwordx2 s[2:3], s[4:5], 0x10
	s_waitcnt lgkmcnt(0)
	v_lshlrev_b32_e32 v11, 16, v1
	v_and_b32_e32 v1, 0xffff0000, v1
	buffer_store_dword v1, off, s[44:47], 0 offset:4 ; 4-byte Folded Spill
	v_lshlrev_b32_e32 v1, 16, v2
	buffer_store_dword v1, off, s[44:47], 0 offset:8 ; 4-byte Folded Spill
	v_and_b32_e32 v1, 0xffff0000, v2
	buffer_store_dword v1, off, s[44:47], 0 offset:12 ; 4-byte Folded Spill
	v_lshlrev_b32_e32 v1, 16, v3
	buffer_store_dword v1, off, s[44:47], 0 offset:16 ; 4-byte Folded Spill
	;; [unrolled: 4-line block ×6, first 2 shown]
	v_and_b32_e32 v1, 0xffff0000, v8
	buffer_store_dword v1, off, s[44:47], 0 offset:52 ; 4-byte Folded Spill
	v_lshlrev_b32_e32 v1, 16, v9
	v_and_b32_e32 v3, 0xffff0000, v9
	buffer_store_dword v11, off, s[44:47], 0 ; 4-byte Folded Spill
	buffer_store_dword v1, off, s[44:47], 0 offset:56 ; 4-byte Folded Spill
	buffer_store_dword v3, off, s[44:47], 0 offset:60 ; 4-byte Folded Spill
	ds_read2_b32 v[1:2], v10 offset0:8 offset1:9
	ds_read_b32 v8, v10 offset:56
	ds_read2_b32 v[3:4], v10 offset0:10 offset1:11
	ds_read2_b32 v[6:7], v10 offset0:12 offset1:13
	s_ashr_i32 s4, s12, 31
	s_add_u32 s2, s2, s12
	s_addc_u32 s3, s3, s4
	s_waitcnt lgkmcnt(3)
	v_lshlrev_b32_e32 v30, 16, v1
	s_waitcnt lgkmcnt(0)
	v_lshlrev_b32_e32 v38, 16, v6
	v_and_b32_e32 v39, 0xffff0000, v6
	v_bfe_u32 v6, v12, 2, 4
	v_and_b32_e32 v31, 0xffff0000, v1
	v_lshlrev_b32_e32 v1, 4, v6
	v_lshlrev_b32_e32 v32, 16, v2
	v_and_b32_e32 v33, 0xffff0000, v2
	v_mov_b32_e32 v2, s3
	v_add_co_u32_e32 v1, vcc, s2, v1
	v_addc_co_u32_e32 v2, vcc, 0, v2, vcc
	v_cmp_eq_u32_e32 vcc, 0, v0
	v_lshlrev_b32_e32 v0, 1, v0
	v_add_co_u32_e64 v1, s[2:3], v1, v0
	v_addc_co_u32_e64 v2, s[2:3], 0, v2, s[2:3]
	s_sub_i32 s38, 1, s30
	s_lshl_b64 s[2:3], s[26:27], 2
	s_add_u32 s2, s24, s2
	s_addc_u32 s3, s25, s3
	v_and_b32_e32 v0, 60, v13
	v_mbcnt_hi_u32_b32 v5, -1, v5
	v_lshlrev_b32_e32 v34, 16, v3
	v_and_b32_e32 v35, 0xffff0000, v3
	v_lshlrev_b32_e32 v36, 16, v4
	v_and_b32_e32 v37, 0xffff0000, v4
	v_mov_b32_e32 v4, s3
	v_add_co_u32_e64 v3, s[2:3], s2, v0
	v_and_b32_e32 v0, 64, v5
	v_lshlrev_b32_e32 v40, 16, v7
	v_and_b32_e32 v41, 0xffff0000, v7
	v_addc_co_u32_e64 v4, s[2:3], 0, v4, s[2:3]
	buffer_store_dword v0, off, s[44:47], 0 offset:76 ; 4-byte Folded Spill
	v_add_u32_e32 v7, 64, v0
	v_xor_b32_e32 v0, 2, v5
	v_cmp_lt_i32_e64 s[2:3], v0, v7
	v_cndmask_b32_e64 v0, v5, v0, s[2:3]
	v_lshlrev_b32_e32 v45, 2, v0
	v_xor_b32_e32 v0, 1, v5
	v_cmp_lt_i32_e64 s[2:3], v0, v7
	s_load_dword s40, s[16:17], 0x0
	v_cndmask_b32_e64 v0, v5, v0, s[2:3]
	v_lshlrev_b32_e32 v46, 2, v0
	v_lshlrev_b32_e32 v0, 2, v6
	v_lshl_or_b32 v0, v22, 6, v0
	s_mov_b32 s39, s13
	v_lshlrev_b32_e32 v43, 16, v8
	v_and_b32_e32 v44, 0xffff0000, v8
	v_cmp_neq_f32_e64 s[2:3], s33, 0
	v_lshl_or_b32 v47, v22, 4, v6
	v_add_u32_e32 v48, 0x100, v0
	s_mov_b64 s[14:15], 0
	s_movk_i32 s41, 0x80
	s_movk_i32 s42, 0x7f
	;; [unrolled: 1-line block ×3, first 2 shown]
	v_mov_b32_e32 v49, 0
	v_mov_b32_e32 v42, 0xff7fffff
	v_bfrev_b32_e32 v50, 60
	v_mov_b32_e32 v51, v22
	buffer_store_dword v12, off, s[44:47], 0 offset:64 ; 4-byte Folded Spill
	buffer_store_dword v13, off, s[44:47], 0 offset:68 ; 4-byte Folded Spill
	;; [unrolled: 1-line block ×3, first 2 shown]
	s_branch .LBB306_9
.LBB306_8:                              ;   in Loop: Header=BB306_9 Depth=1
	s_or_b64 exec, exec, s[16:17]
	v_add_u32_e32 v51, 2, v51
	v_cmp_le_i32_e64 s[4:5], s21, v51
	s_or_b64 s[14:15], s[4:5], s[14:15]
	v_add_co_u32_e64 v3, s[4:5], 8, v3
	v_add_u32_e32 v47, 32, v47
	v_add_u32_e32 v48, 0x80, v48
	v_addc_co_u32_e64 v4, s[4:5], 0, v4, s[4:5]
	s_andn2_b64 exec, exec, s[14:15]
	s_cbranch_execz .LBB306_191
.LBB306_9:                              ; =>This Inner Loop Header: Depth=1
	global_load_dword v0, v[3:4], off
	v_mov_b32_e32 v52, 0
	s_waitcnt vmcnt(0) lgkmcnt(0)
	v_mad_i64_i32 v[5:6], s[4:5], v0, s39, v[1:2]
	global_load_ushort v0, v[5:6], off
	s_waitcnt vmcnt(0)
	v_and_b32_e32 v7, 0xffff, v0
	v_cmp_ne_u16_sdwa s[4:5], v0, v49 src0_sel:BYTE_0 src1_sel:DWORD
	s_and_saveexec_b64 s[16:17], s[4:5]
	s_cbranch_execz .LBB306_15
; %bb.10:                               ;   in Loop: Header=BB306_9 Depth=1
	v_cmp_ne_u16_sdwa s[4:5], v7, s41 src0_sel:BYTE_0 src1_sel:DWORD
	v_bfrev_b32_e32 v52, 1
	s_and_saveexec_b64 s[34:35], s[4:5]
	s_cbranch_execz .LBB306_14
; %bb.11:                               ;   in Loop: Header=BB306_9 Depth=1
	v_and_b32_e32 v0, 0x7f, v7
	v_cmp_ne_u32_e64 s[4:5], s42, v0
	v_mov_b32_e32 v52, 0x7f800001
	s_and_saveexec_b64 s[36:37], s[4:5]
	s_cbranch_execz .LBB306_13
; %bb.12:                               ;   in Loop: Header=BB306_9 Depth=1
	v_and_b32_e32 v10, 7, v7
	v_ffbh_u32_e32 v8, v10
	v_min_u32_e32 v12, 32, v8
	v_subrev_u32_e32 v8, 28, v12
	v_lshlrev_b64 v[8:9], v8, v[7:8]
	v_lshrrev_b32_e32 v11, 3, v0
	v_sub_u32_e32 v9, 29, v12
	v_and_b32_e32 v8, 7, v8
	v_cmp_gt_u32_e64 s[4:5], 8, v0
	v_cndmask_b32_e64 v0, v11, v9, s[4:5]
	v_cndmask_b32_e64 v8, v10, v8, s[4:5]
	v_lshlrev_b32_e32 v9, 24, v7
	v_lshlrev_b32_e32 v8, 20, v8
	v_and_b32_e32 v9, 0x80000000, v9
	v_lshl_add_u32 v0, v0, 23, v50
	v_or3_b32 v52, v9, v0, v8
.LBB306_13:                             ;   in Loop: Header=BB306_9 Depth=1
	s_or_b64 exec, exec, s[36:37]
.LBB306_14:                             ;   in Loop: Header=BB306_9 Depth=1
	s_or_b64 exec, exec, s[34:35]
.LBB306_15:                             ;   in Loop: Header=BB306_9 Depth=1
	s_or_b64 exec, exec, s[16:17]
	v_lshrrev_b16_e32 v8, 8, v7
	v_cmp_ne_u16_e64 s[4:5], 0, v8
	v_mov_b32_e32 v54, 0
	v_mov_b32_e32 v53, 0
	s_and_saveexec_b64 s[16:17], s[4:5]
	s_cbranch_execz .LBB306_21
; %bb.16:                               ;   in Loop: Header=BB306_9 Depth=1
	v_cmp_ne_u16_e64 s[4:5], s41, v8
	v_bfrev_b32_e32 v53, 1
	s_and_saveexec_b64 s[34:35], s[4:5]
	s_cbranch_execz .LBB306_20
; %bb.17:                               ;   in Loop: Header=BB306_9 Depth=1
	v_and_b32_e32 v0, 0x7f, v8
	v_cmp_ne_u32_e64 s[4:5], s42, v0
	v_mov_b32_e32 v53, 0x7f800001
	s_and_saveexec_b64 s[36:37], s[4:5]
	s_cbranch_execz .LBB306_19
; %bb.18:                               ;   in Loop: Header=BB306_9 Depth=1
	v_and_b32_e32 v10, 7, v8
	v_ffbh_u32_e32 v9, v10
	v_min_u32_e32 v12, 32, v9
	v_subrev_u32_e32 v9, 28, v12
	v_lshlrev_b64 v[8:9], v9, v[8:9]
	v_lshrrev_b32_e32 v11, 3, v0
	v_sub_u32_e32 v9, 29, v12
	v_and_b32_e32 v8, 7, v8
	v_cmp_gt_u32_e64 s[4:5], 8, v0
	v_cndmask_b32_e64 v0, v11, v9, s[4:5]
	v_cndmask_b32_e64 v8, v10, v8, s[4:5]
	v_lshlrev_b32_e32 v7, 16, v7
	v_lshlrev_b32_e32 v8, 20, v8
	v_and_b32_e32 v7, 0x80000000, v7
	v_lshl_add_u32 v0, v0, 23, v50
	v_or3_b32 v53, v7, v0, v8
.LBB306_19:                             ;   in Loop: Header=BB306_9 Depth=1
	s_or_b64 exec, exec, s[36:37]
.LBB306_20:                             ;   in Loop: Header=BB306_9 Depth=1
	s_or_b64 exec, exec, s[34:35]
.LBB306_21:                             ;   in Loop: Header=BB306_9 Depth=1
	s_or_b64 exec, exec, s[16:17]
	global_load_ushort v0, v[5:6], off offset:8
	s_waitcnt vmcnt(0)
	v_and_b32_e32 v7, 0xffff, v0
	v_cmp_ne_u16_sdwa s[4:5], v0, v49 src0_sel:BYTE_0 src1_sel:DWORD
	s_and_saveexec_b64 s[16:17], s[4:5]
	s_cbranch_execz .LBB306_27
; %bb.22:                               ;   in Loop: Header=BB306_9 Depth=1
	v_cmp_ne_u16_sdwa s[4:5], v7, s41 src0_sel:BYTE_0 src1_sel:DWORD
	v_bfrev_b32_e32 v54, 1
	s_and_saveexec_b64 s[34:35], s[4:5]
	s_cbranch_execz .LBB306_26
; %bb.23:                               ;   in Loop: Header=BB306_9 Depth=1
	v_and_b32_e32 v0, 0x7f, v7
	v_cmp_ne_u32_e64 s[4:5], s42, v0
	v_mov_b32_e32 v54, 0x7f800001
	s_and_saveexec_b64 s[36:37], s[4:5]
	s_cbranch_execz .LBB306_25
; %bb.24:                               ;   in Loop: Header=BB306_9 Depth=1
	v_and_b32_e32 v10, 7, v7
	v_ffbh_u32_e32 v8, v10
	v_min_u32_e32 v12, 32, v8
	v_subrev_u32_e32 v8, 28, v12
	v_lshlrev_b64 v[8:9], v8, v[7:8]
	v_lshrrev_b32_e32 v11, 3, v0
	v_sub_u32_e32 v9, 29, v12
	v_and_b32_e32 v8, 7, v8
	v_cmp_gt_u32_e64 s[4:5], 8, v0
	v_cndmask_b32_e64 v0, v11, v9, s[4:5]
	v_cndmask_b32_e64 v8, v10, v8, s[4:5]
	v_lshlrev_b32_e32 v9, 24, v7
	v_lshlrev_b32_e32 v8, 20, v8
	v_and_b32_e32 v9, 0x80000000, v9
	v_lshl_add_u32 v0, v0, 23, v50
	v_or3_b32 v54, v9, v0, v8
.LBB306_25:                             ;   in Loop: Header=BB306_9 Depth=1
	s_or_b64 exec, exec, s[36:37]
.LBB306_26:                             ;   in Loop: Header=BB306_9 Depth=1
	s_or_b64 exec, exec, s[34:35]
.LBB306_27:                             ;   in Loop: Header=BB306_9 Depth=1
	s_or_b64 exec, exec, s[16:17]
	v_lshrrev_b16_e32 v8, 8, v7
	v_cmp_ne_u16_e64 s[4:5], 0, v8
	v_mov_b32_e32 v56, 0
	v_mov_b32_e32 v55, 0
	s_and_saveexec_b64 s[16:17], s[4:5]
	s_cbranch_execz .LBB306_33
; %bb.28:                               ;   in Loop: Header=BB306_9 Depth=1
	v_cmp_ne_u16_e64 s[4:5], s41, v8
	v_bfrev_b32_e32 v55, 1
	s_and_saveexec_b64 s[34:35], s[4:5]
	s_cbranch_execz .LBB306_32
; %bb.29:                               ;   in Loop: Header=BB306_9 Depth=1
	v_and_b32_e32 v0, 0x7f, v8
	v_cmp_ne_u32_e64 s[4:5], s42, v0
	v_mov_b32_e32 v55, 0x7f800001
	s_and_saveexec_b64 s[36:37], s[4:5]
	s_cbranch_execz .LBB306_31
; %bb.30:                               ;   in Loop: Header=BB306_9 Depth=1
	v_and_b32_e32 v10, 7, v8
	v_ffbh_u32_e32 v9, v10
	v_min_u32_e32 v12, 32, v9
	v_subrev_u32_e32 v9, 28, v12
	v_lshlrev_b64 v[8:9], v9, v[8:9]
	v_lshrrev_b32_e32 v11, 3, v0
	v_sub_u32_e32 v9, 29, v12
	v_and_b32_e32 v8, 7, v8
	v_cmp_gt_u32_e64 s[4:5], 8, v0
	v_cndmask_b32_e64 v0, v11, v9, s[4:5]
	v_cndmask_b32_e64 v8, v10, v8, s[4:5]
	v_lshlrev_b32_e32 v7, 16, v7
	v_lshlrev_b32_e32 v8, 20, v8
	v_and_b32_e32 v7, 0x80000000, v7
	v_lshl_add_u32 v0, v0, 23, v50
	v_or3_b32 v55, v7, v0, v8
.LBB306_31:                             ;   in Loop: Header=BB306_9 Depth=1
	s_or_b64 exec, exec, s[36:37]
.LBB306_32:                             ;   in Loop: Header=BB306_9 Depth=1
	s_or_b64 exec, exec, s[34:35]
.LBB306_33:                             ;   in Loop: Header=BB306_9 Depth=1
	s_or_b64 exec, exec, s[16:17]
	global_load_ushort v0, v[5:6], off offset:256
	s_waitcnt vmcnt(0)
	v_and_b32_e32 v7, 0xffff, v0
	v_cmp_ne_u16_sdwa s[4:5], v0, v49 src0_sel:BYTE_0 src1_sel:DWORD
	s_and_saveexec_b64 s[16:17], s[4:5]
	s_cbranch_execz .LBB306_39
; %bb.34:                               ;   in Loop: Header=BB306_9 Depth=1
	v_cmp_ne_u16_sdwa s[4:5], v7, s41 src0_sel:BYTE_0 src1_sel:DWORD
	v_bfrev_b32_e32 v56, 1
	s_and_saveexec_b64 s[34:35], s[4:5]
	s_cbranch_execz .LBB306_38
; %bb.35:                               ;   in Loop: Header=BB306_9 Depth=1
	v_and_b32_e32 v0, 0x7f, v7
	v_cmp_ne_u32_e64 s[4:5], s42, v0
	v_mov_b32_e32 v56, 0x7f800001
	s_and_saveexec_b64 s[36:37], s[4:5]
	s_cbranch_execz .LBB306_37
; %bb.36:                               ;   in Loop: Header=BB306_9 Depth=1
	v_and_b32_e32 v10, 7, v7
	v_ffbh_u32_e32 v8, v10
	v_min_u32_e32 v12, 32, v8
	v_subrev_u32_e32 v8, 28, v12
	v_lshlrev_b64 v[8:9], v8, v[7:8]
	v_lshrrev_b32_e32 v11, 3, v0
	v_sub_u32_e32 v9, 29, v12
	v_and_b32_e32 v8, 7, v8
	v_cmp_gt_u32_e64 s[4:5], 8, v0
	v_cndmask_b32_e64 v0, v11, v9, s[4:5]
	v_cndmask_b32_e64 v8, v10, v8, s[4:5]
	v_lshlrev_b32_e32 v9, 24, v7
	v_lshlrev_b32_e32 v8, 20, v8
	v_and_b32_e32 v9, 0x80000000, v9
	v_lshl_add_u32 v0, v0, 23, v50
	v_or3_b32 v56, v9, v0, v8
.LBB306_37:                             ;   in Loop: Header=BB306_9 Depth=1
	s_or_b64 exec, exec, s[36:37]
.LBB306_38:                             ;   in Loop: Header=BB306_9 Depth=1
	s_or_b64 exec, exec, s[34:35]
.LBB306_39:                             ;   in Loop: Header=BB306_9 Depth=1
	s_or_b64 exec, exec, s[16:17]
	v_lshrrev_b16_e32 v8, 8, v7
	v_cmp_ne_u16_e64 s[4:5], 0, v8
	v_mov_b32_e32 v58, 0
	v_mov_b32_e32 v57, 0
	s_and_saveexec_b64 s[16:17], s[4:5]
	s_cbranch_execz .LBB306_45
; %bb.40:                               ;   in Loop: Header=BB306_9 Depth=1
	v_cmp_ne_u16_e64 s[4:5], s41, v8
	v_bfrev_b32_e32 v57, 1
	s_and_saveexec_b64 s[34:35], s[4:5]
	s_cbranch_execz .LBB306_44
; %bb.41:                               ;   in Loop: Header=BB306_9 Depth=1
	v_and_b32_e32 v0, 0x7f, v8
	v_cmp_ne_u32_e64 s[4:5], s42, v0
	v_mov_b32_e32 v57, 0x7f800001
	s_and_saveexec_b64 s[36:37], s[4:5]
	s_cbranch_execz .LBB306_43
; %bb.42:                               ;   in Loop: Header=BB306_9 Depth=1
	v_and_b32_e32 v10, 7, v8
	v_lshrrev_b32_e32 v11, 3, v0
	v_cmp_gt_u32_e64 s[4:5], 8, v0
	v_ffbh_u32_e32 v0, v10
	v_min_u32_e32 v0, 32, v0
	v_subrev_u32_e32 v9, 28, v0
	v_lshlrev_b64 v[8:9], v9, v[8:9]
	v_sub_u32_e32 v0, 29, v0
	v_and_b32_e32 v8, 7, v8
	v_cndmask_b32_e64 v0, v11, v0, s[4:5]
	v_cndmask_b32_e64 v8, v10, v8, s[4:5]
	v_lshlrev_b32_e32 v7, 16, v7
	v_lshlrev_b32_e32 v8, 20, v8
	v_and_b32_e32 v7, 0x80000000, v7
	v_lshl_add_u32 v0, v0, 23, v50
	v_or3_b32 v57, v7, v0, v8
.LBB306_43:                             ;   in Loop: Header=BB306_9 Depth=1
	s_or_b64 exec, exec, s[36:37]
.LBB306_44:                             ;   in Loop: Header=BB306_9 Depth=1
	s_or_b64 exec, exec, s[34:35]
.LBB306_45:                             ;   in Loop: Header=BB306_9 Depth=1
	s_or_b64 exec, exec, s[16:17]
	global_load_ushort v0, v[5:6], off offset:264
	s_waitcnt vmcnt(0)
	v_and_b32_e32 v7, 0xffff, v0
	v_cmp_ne_u16_sdwa s[4:5], v0, v49 src0_sel:BYTE_0 src1_sel:DWORD
	s_and_saveexec_b64 s[16:17], s[4:5]
	s_cbranch_execz .LBB306_51
; %bb.46:                               ;   in Loop: Header=BB306_9 Depth=1
	v_cmp_ne_u16_sdwa s[4:5], v7, s41 src0_sel:BYTE_0 src1_sel:DWORD
	v_bfrev_b32_e32 v58, 1
	s_and_saveexec_b64 s[34:35], s[4:5]
	s_cbranch_execz .LBB306_50
; %bb.47:                               ;   in Loop: Header=BB306_9 Depth=1
	v_and_b32_e32 v0, 0x7f, v7
	v_cmp_ne_u32_e64 s[4:5], s42, v0
	v_mov_b32_e32 v58, 0x7f800001
	s_and_saveexec_b64 s[36:37], s[4:5]
	s_cbranch_execz .LBB306_49
; %bb.48:                               ;   in Loop: Header=BB306_9 Depth=1
	v_and_b32_e32 v10, 7, v7
	v_ffbh_u32_e32 v8, v10
	v_min_u32_e32 v12, 32, v8
	v_subrev_u32_e32 v8, 28, v12
	v_lshlrev_b64 v[8:9], v8, v[7:8]
	v_lshrrev_b32_e32 v11, 3, v0
	v_sub_u32_e32 v9, 29, v12
	v_and_b32_e32 v8, 7, v8
	v_cmp_gt_u32_e64 s[4:5], 8, v0
	v_cndmask_b32_e64 v0, v11, v9, s[4:5]
	v_cndmask_b32_e64 v8, v10, v8, s[4:5]
	v_lshlrev_b32_e32 v9, 24, v7
	v_lshlrev_b32_e32 v8, 20, v8
	v_and_b32_e32 v9, 0x80000000, v9
	v_lshl_add_u32 v0, v0, 23, v50
	v_or3_b32 v58, v9, v0, v8
.LBB306_49:                             ;   in Loop: Header=BB306_9 Depth=1
	s_or_b64 exec, exec, s[36:37]
.LBB306_50:                             ;   in Loop: Header=BB306_9 Depth=1
	s_or_b64 exec, exec, s[34:35]
.LBB306_51:                             ;   in Loop: Header=BB306_9 Depth=1
	s_or_b64 exec, exec, s[16:17]
	v_lshrrev_b16_e32 v8, 8, v7
	v_cmp_ne_u16_e64 s[4:5], 0, v8
	v_mov_b32_e32 v60, 0
	v_mov_b32_e32 v59, 0
	s_and_saveexec_b64 s[16:17], s[4:5]
	s_cbranch_execz .LBB306_57
; %bb.52:                               ;   in Loop: Header=BB306_9 Depth=1
	v_cmp_ne_u16_e64 s[4:5], s41, v8
	v_bfrev_b32_e32 v59, 1
	s_and_saveexec_b64 s[34:35], s[4:5]
	s_cbranch_execz .LBB306_56
; %bb.53:                               ;   in Loop: Header=BB306_9 Depth=1
	v_and_b32_e32 v0, 0x7f, v8
	v_cmp_ne_u32_e64 s[4:5], s42, v0
	v_mov_b32_e32 v59, 0x7f800001
	s_and_saveexec_b64 s[36:37], s[4:5]
	s_cbranch_execz .LBB306_55
; %bb.54:                               ;   in Loop: Header=BB306_9 Depth=1
	v_and_b32_e32 v10, 7, v8
	v_lshrrev_b32_e32 v11, 3, v0
	v_cmp_gt_u32_e64 s[4:5], 8, v0
	v_ffbh_u32_e32 v0, v10
	v_min_u32_e32 v0, 32, v0
	v_subrev_u32_e32 v9, 28, v0
	v_lshlrev_b64 v[8:9], v9, v[8:9]
	v_sub_u32_e32 v0, 29, v0
	v_and_b32_e32 v8, 7, v8
	v_cndmask_b32_e64 v0, v11, v0, s[4:5]
	v_cndmask_b32_e64 v8, v10, v8, s[4:5]
	v_lshlrev_b32_e32 v7, 16, v7
	v_lshlrev_b32_e32 v8, 20, v8
	v_and_b32_e32 v7, 0x80000000, v7
	v_lshl_add_u32 v0, v0, 23, v50
	v_or3_b32 v59, v7, v0, v8
.LBB306_55:                             ;   in Loop: Header=BB306_9 Depth=1
	s_or_b64 exec, exec, s[36:37]
.LBB306_56:                             ;   in Loop: Header=BB306_9 Depth=1
	s_or_b64 exec, exec, s[34:35]
.LBB306_57:                             ;   in Loop: Header=BB306_9 Depth=1
	s_or_b64 exec, exec, s[16:17]
	global_load_ushort v0, v[5:6], off offset:512
	s_waitcnt vmcnt(0)
	v_and_b32_e32 v7, 0xffff, v0
	v_cmp_ne_u16_sdwa s[4:5], v0, v49 src0_sel:BYTE_0 src1_sel:DWORD
	s_and_saveexec_b64 s[16:17], s[4:5]
	s_cbranch_execz .LBB306_63
; %bb.58:                               ;   in Loop: Header=BB306_9 Depth=1
	v_cmp_ne_u16_sdwa s[4:5], v7, s41 src0_sel:BYTE_0 src1_sel:DWORD
	v_bfrev_b32_e32 v60, 1
	s_and_saveexec_b64 s[34:35], s[4:5]
	s_cbranch_execz .LBB306_62
; %bb.59:                               ;   in Loop: Header=BB306_9 Depth=1
	v_and_b32_e32 v0, 0x7f, v7
	v_cmp_ne_u32_e64 s[4:5], s42, v0
	v_mov_b32_e32 v60, 0x7f800001
	s_and_saveexec_b64 s[36:37], s[4:5]
	s_cbranch_execz .LBB306_61
; %bb.60:                               ;   in Loop: Header=BB306_9 Depth=1
	v_and_b32_e32 v10, 7, v7
	v_lshrrev_b32_e32 v11, 3, v0
	v_cmp_gt_u32_e64 s[4:5], 8, v0
	v_ffbh_u32_e32 v0, v10
	v_min_u32_e32 v0, 32, v0
	v_subrev_u32_e32 v8, 28, v0
	v_lshlrev_b64 v[8:9], v8, v[7:8]
	v_sub_u32_e32 v0, 29, v0
	v_and_b32_e32 v8, 7, v8
	v_cndmask_b32_e64 v0, v11, v0, s[4:5]
	v_cndmask_b32_e64 v8, v10, v8, s[4:5]
	v_lshlrev_b32_e32 v9, 24, v7
	v_lshlrev_b32_e32 v8, 20, v8
	v_and_b32_e32 v9, 0x80000000, v9
	v_lshl_add_u32 v0, v0, 23, v50
	v_or3_b32 v60, v9, v0, v8
.LBB306_61:                             ;   in Loop: Header=BB306_9 Depth=1
	s_or_b64 exec, exec, s[36:37]
.LBB306_62:                             ;   in Loop: Header=BB306_9 Depth=1
	s_or_b64 exec, exec, s[34:35]
.LBB306_63:                             ;   in Loop: Header=BB306_9 Depth=1
	s_or_b64 exec, exec, s[16:17]
	v_lshrrev_b16_e32 v8, 8, v7
	v_cmp_ne_u16_e64 s[4:5], 0, v8
	v_mov_b32_e32 v62, 0
	v_mov_b32_e32 v61, 0
	s_and_saveexec_b64 s[16:17], s[4:5]
	s_cbranch_execz .LBB306_69
; %bb.64:                               ;   in Loop: Header=BB306_9 Depth=1
	v_cmp_ne_u16_e64 s[4:5], s41, v8
	v_bfrev_b32_e32 v61, 1
	s_and_saveexec_b64 s[34:35], s[4:5]
	s_cbranch_execz .LBB306_68
; %bb.65:                               ;   in Loop: Header=BB306_9 Depth=1
	v_and_b32_e32 v0, 0x7f, v8
	v_cmp_ne_u32_e64 s[4:5], s42, v0
	v_mov_b32_e32 v61, 0x7f800001
	s_and_saveexec_b64 s[36:37], s[4:5]
	s_cbranch_execz .LBB306_67
; %bb.66:                               ;   in Loop: Header=BB306_9 Depth=1
	v_and_b32_e32 v10, 7, v8
	v_lshrrev_b32_e32 v11, 3, v0
	v_cmp_gt_u32_e64 s[4:5], 8, v0
	v_ffbh_u32_e32 v0, v10
	v_min_u32_e32 v0, 32, v0
	v_subrev_u32_e32 v9, 28, v0
	v_lshlrev_b64 v[8:9], v9, v[8:9]
	v_sub_u32_e32 v0, 29, v0
	v_and_b32_e32 v8, 7, v8
	v_cndmask_b32_e64 v0, v11, v0, s[4:5]
	v_cndmask_b32_e64 v8, v10, v8, s[4:5]
	v_lshlrev_b32_e32 v7, 16, v7
	v_lshlrev_b32_e32 v8, 20, v8
	v_and_b32_e32 v7, 0x80000000, v7
	v_lshl_add_u32 v0, v0, 23, v50
	v_or3_b32 v61, v7, v0, v8
.LBB306_67:                             ;   in Loop: Header=BB306_9 Depth=1
	s_or_b64 exec, exec, s[36:37]
.LBB306_68:                             ;   in Loop: Header=BB306_9 Depth=1
	s_or_b64 exec, exec, s[34:35]
.LBB306_69:                             ;   in Loop: Header=BB306_9 Depth=1
	s_or_b64 exec, exec, s[16:17]
	global_load_ushort v0, v[5:6], off offset:520
	s_waitcnt vmcnt(0)
	v_and_b32_e32 v7, 0xffff, v0
	v_cmp_ne_u16_sdwa s[4:5], v0, v49 src0_sel:BYTE_0 src1_sel:DWORD
	s_and_saveexec_b64 s[16:17], s[4:5]
	s_cbranch_execz .LBB306_75
; %bb.70:                               ;   in Loop: Header=BB306_9 Depth=1
	v_cmp_ne_u16_sdwa s[4:5], v7, s41 src0_sel:BYTE_0 src1_sel:DWORD
	v_bfrev_b32_e32 v62, 1
	s_and_saveexec_b64 s[34:35], s[4:5]
	s_cbranch_execz .LBB306_74
; %bb.71:                               ;   in Loop: Header=BB306_9 Depth=1
	v_and_b32_e32 v0, 0x7f, v7
	v_cmp_ne_u32_e64 s[4:5], s42, v0
	v_mov_b32_e32 v62, 0x7f800001
	s_and_saveexec_b64 s[36:37], s[4:5]
	s_cbranch_execz .LBB306_73
; %bb.72:                               ;   in Loop: Header=BB306_9 Depth=1
	v_and_b32_e32 v10, 7, v7
	v_lshrrev_b32_e32 v11, 3, v0
	v_cmp_gt_u32_e64 s[4:5], 8, v0
	v_ffbh_u32_e32 v0, v10
	v_min_u32_e32 v0, 32, v0
	v_subrev_u32_e32 v8, 28, v0
	v_lshlrev_b64 v[8:9], v8, v[7:8]
	v_sub_u32_e32 v0, 29, v0
	v_and_b32_e32 v8, 7, v8
	v_cndmask_b32_e64 v0, v11, v0, s[4:5]
	v_cndmask_b32_e64 v8, v10, v8, s[4:5]
	v_lshlrev_b32_e32 v9, 24, v7
	v_lshlrev_b32_e32 v8, 20, v8
	v_and_b32_e32 v9, 0x80000000, v9
	v_lshl_add_u32 v0, v0, 23, v50
	v_or3_b32 v62, v9, v0, v8
.LBB306_73:                             ;   in Loop: Header=BB306_9 Depth=1
	s_or_b64 exec, exec, s[36:37]
.LBB306_74:                             ;   in Loop: Header=BB306_9 Depth=1
	s_or_b64 exec, exec, s[34:35]
.LBB306_75:                             ;   in Loop: Header=BB306_9 Depth=1
	s_or_b64 exec, exec, s[16:17]
	v_lshrrev_b16_e32 v8, 8, v7
	v_cmp_ne_u16_e64 s[4:5], 0, v8
	v_mov_b32_e32 v9, 0
	v_mov_b32_e32 v63, 0
	s_and_saveexec_b64 s[16:17], s[4:5]
	s_cbranch_execz .LBB306_81
; %bb.76:                               ;   in Loop: Header=BB306_9 Depth=1
	v_cmp_ne_u16_e64 s[4:5], s41, v8
	v_bfrev_b32_e32 v63, 1
	s_and_saveexec_b64 s[34:35], s[4:5]
	s_cbranch_execz .LBB306_80
; %bb.77:                               ;   in Loop: Header=BB306_9 Depth=1
	v_and_b32_e32 v0, 0x7f, v8
	v_cmp_ne_u32_e64 s[4:5], s42, v0
	v_mov_b32_e32 v63, 0x7f800001
	s_and_saveexec_b64 s[36:37], s[4:5]
	s_cbranch_execz .LBB306_79
; %bb.78:                               ;   in Loop: Header=BB306_9 Depth=1
	v_and_b32_e32 v12, 7, v8
	v_lshrrev_b32_e32 v13, 3, v0
	v_cmp_gt_u32_e64 s[4:5], 8, v0
	v_ffbh_u32_e32 v0, v12
	v_min_u32_e32 v0, 32, v0
	v_subrev_u32_e32 v10, 28, v0
	v_lshlrev_b64 v[10:11], v10, v[8:9]
	v_sub_u32_e32 v0, 29, v0
	v_and_b32_e32 v8, 7, v10
	v_cndmask_b32_e64 v0, v13, v0, s[4:5]
	v_cndmask_b32_e64 v8, v12, v8, s[4:5]
	v_lshlrev_b32_e32 v7, 16, v7
	v_lshlrev_b32_e32 v8, 20, v8
	v_and_b32_e32 v7, 0x80000000, v7
	v_lshl_add_u32 v0, v0, 23, v50
	v_or3_b32 v63, v7, v0, v8
.LBB306_79:                             ;   in Loop: Header=BB306_9 Depth=1
	s_or_b64 exec, exec, s[36:37]
.LBB306_80:                             ;   in Loop: Header=BB306_9 Depth=1
	s_or_b64 exec, exec, s[34:35]
.LBB306_81:                             ;   in Loop: Header=BB306_9 Depth=1
	s_or_b64 exec, exec, s[16:17]
	global_load_ushort v0, v[5:6], off offset:768
	s_waitcnt vmcnt(0)
	v_and_b32_e32 v7, 0xffff, v0
	v_cmp_ne_u16_sdwa s[4:5], v0, v49 src0_sel:BYTE_0 src1_sel:DWORD
	s_and_saveexec_b64 s[16:17], s[4:5]
	s_cbranch_execz .LBB306_87
; %bb.82:                               ;   in Loop: Header=BB306_9 Depth=1
	v_cmp_ne_u16_sdwa s[4:5], v7, s41 src0_sel:BYTE_0 src1_sel:DWORD
	v_bfrev_b32_e32 v9, 1
	s_and_saveexec_b64 s[34:35], s[4:5]
	s_cbranch_execz .LBB306_86
; %bb.83:                               ;   in Loop: Header=BB306_9 Depth=1
	v_and_b32_e32 v0, 0x7f, v7
	v_cmp_ne_u32_e64 s[4:5], s42, v0
	v_mov_b32_e32 v9, 0x7f800001
	s_and_saveexec_b64 s[36:37], s[4:5]
	s_cbranch_execz .LBB306_85
; %bb.84:                               ;   in Loop: Header=BB306_9 Depth=1
	v_and_b32_e32 v10, 7, v7
	v_lshrrev_b32_e32 v11, 3, v0
	v_cmp_gt_u32_e64 s[4:5], 8, v0
	v_ffbh_u32_e32 v0, v10
	v_min_u32_e32 v0, 32, v0
	v_subrev_u32_e32 v8, 28, v0
	v_lshlrev_b64 v[8:9], v8, v[7:8]
	v_sub_u32_e32 v0, 29, v0
	v_and_b32_e32 v8, 7, v8
	v_cndmask_b32_e64 v0, v11, v0, s[4:5]
	v_cndmask_b32_e64 v8, v10, v8, s[4:5]
	v_lshlrev_b32_e32 v9, 24, v7
	v_lshlrev_b32_e32 v8, 20, v8
	v_and_b32_e32 v9, 0x80000000, v9
	v_lshl_add_u32 v0, v0, 23, v50
	v_or3_b32 v9, v9, v0, v8
.LBB306_85:                             ;   in Loop: Header=BB306_9 Depth=1
	s_or_b64 exec, exec, s[36:37]
.LBB306_86:                             ;   in Loop: Header=BB306_9 Depth=1
	s_or_b64 exec, exec, s[34:35]
.LBB306_87:                             ;   in Loop: Header=BB306_9 Depth=1
	s_or_b64 exec, exec, s[16:17]
	v_lshrrev_b16_e32 v8, 8, v7
	v_cmp_ne_u16_e64 s[4:5], 0, v8
	v_mov_b32_e32 v11, 0
	v_mov_b32_e32 v12, 0
	s_and_saveexec_b64 s[16:17], s[4:5]
	s_cbranch_execz .LBB306_93
; %bb.88:                               ;   in Loop: Header=BB306_9 Depth=1
	v_cmp_ne_u16_e64 s[4:5], s41, v8
	v_bfrev_b32_e32 v12, 1
	s_and_saveexec_b64 s[34:35], s[4:5]
	s_cbranch_execz .LBB306_92
; %bb.89:                               ;   in Loop: Header=BB306_9 Depth=1
	v_and_b32_e32 v0, 0x7f, v8
	v_cmp_ne_u32_e64 s[4:5], s42, v0
	v_mov_b32_e32 v12, 0x7f800001
	s_and_saveexec_b64 s[36:37], s[4:5]
	s_cbranch_execz .LBB306_91
; %bb.90:                               ;   in Loop: Header=BB306_9 Depth=1
	v_and_b32_e32 v10, 7, v8
	v_lshrrev_b32_e32 v14, 3, v0
	v_cmp_gt_u32_e64 s[4:5], 8, v0
	v_ffbh_u32_e32 v0, v10
	v_min_u32_e32 v0, 32, v0
	v_subrev_u32_e32 v12, 28, v0
	v_lshlrev_b64 v[12:13], v12, v[8:9]
	v_sub_u32_e32 v0, 29, v0
	v_and_b32_e32 v8, 7, v12
	v_cndmask_b32_e64 v0, v14, v0, s[4:5]
	v_cndmask_b32_e64 v8, v10, v8, s[4:5]
	v_lshlrev_b32_e32 v7, 16, v7
	v_lshlrev_b32_e32 v8, 20, v8
	v_and_b32_e32 v7, 0x80000000, v7
	v_lshl_add_u32 v0, v0, 23, v50
	v_or3_b32 v12, v7, v0, v8
.LBB306_91:                             ;   in Loop: Header=BB306_9 Depth=1
	s_or_b64 exec, exec, s[36:37]
.LBB306_92:                             ;   in Loop: Header=BB306_9 Depth=1
	s_or_b64 exec, exec, s[34:35]
.LBB306_93:                             ;   in Loop: Header=BB306_9 Depth=1
	s_or_b64 exec, exec, s[16:17]
	global_load_ushort v0, v[5:6], off offset:776
	s_waitcnt vmcnt(0)
	v_and_b32_e32 v7, 0xffff, v0
	v_cmp_ne_u16_sdwa s[4:5], v0, v49 src0_sel:BYTE_0 src1_sel:DWORD
	s_and_saveexec_b64 s[16:17], s[4:5]
	s_cbranch_execz .LBB306_99
; %bb.94:                               ;   in Loop: Header=BB306_9 Depth=1
	v_cmp_ne_u16_sdwa s[4:5], v7, s41 src0_sel:BYTE_0 src1_sel:DWORD
	v_bfrev_b32_e32 v11, 1
	s_and_saveexec_b64 s[34:35], s[4:5]
	s_cbranch_execz .LBB306_98
; %bb.95:                               ;   in Loop: Header=BB306_9 Depth=1
	v_and_b32_e32 v0, 0x7f, v7
	v_cmp_ne_u32_e64 s[4:5], s42, v0
	v_mov_b32_e32 v11, 0x7f800001
	s_and_saveexec_b64 s[36:37], s[4:5]
	s_cbranch_execz .LBB306_97
; %bb.96:                               ;   in Loop: Header=BB306_9 Depth=1
	v_and_b32_e32 v8, 7, v7
	v_lshrrev_b32_e32 v13, 3, v0
	v_cmp_gt_u32_e64 s[4:5], 8, v0
	v_ffbh_u32_e32 v0, v8
	v_min_u32_e32 v0, 32, v0
	v_subrev_u32_e32 v10, 28, v0
	v_lshlrev_b64 v[10:11], v10, v[7:8]
	v_sub_u32_e32 v0, 29, v0
	v_and_b32_e32 v10, 7, v10
	v_cndmask_b32_e64 v0, v13, v0, s[4:5]
	v_cndmask_b32_e64 v8, v8, v10, s[4:5]
	v_lshlrev_b32_e32 v10, 24, v7
	v_lshlrev_b32_e32 v8, 20, v8
	v_and_b32_e32 v10, 0x80000000, v10
	v_lshl_add_u32 v0, v0, 23, v50
	v_or3_b32 v11, v10, v0, v8
.LBB306_97:                             ;   in Loop: Header=BB306_9 Depth=1
	s_or_b64 exec, exec, s[36:37]
.LBB306_98:                             ;   in Loop: Header=BB306_9 Depth=1
	s_or_b64 exec, exec, s[34:35]
.LBB306_99:                             ;   in Loop: Header=BB306_9 Depth=1
	s_or_b64 exec, exec, s[16:17]
	v_lshrrev_b16_e32 v8, 8, v7
	v_cmp_ne_u16_e64 s[4:5], 0, v8
	v_mov_b32_e32 v10, 0
	v_mov_b32_e32 v0, 0
	s_and_saveexec_b64 s[16:17], s[4:5]
	s_cbranch_execz .LBB306_105
; %bb.100:                              ;   in Loop: Header=BB306_9 Depth=1
	v_cmp_ne_u16_e64 s[4:5], s41, v8
	v_bfrev_b32_e32 v0, 1
	s_and_saveexec_b64 s[34:35], s[4:5]
	s_cbranch_execz .LBB306_104
; %bb.101:                              ;   in Loop: Header=BB306_9 Depth=1
	v_and_b32_e32 v13, 0x7f, v8
	v_cmp_ne_u32_e64 s[4:5], s42, v13
	v_mov_b32_e32 v0, 0x7f800001
	s_and_saveexec_b64 s[36:37], s[4:5]
	s_cbranch_execz .LBB306_103
; %bb.102:                              ;   in Loop: Header=BB306_9 Depth=1
	v_and_b32_e32 v0, 7, v8
	v_lshrrev_b32_e32 v15, 3, v13
	v_cmp_gt_u32_e64 s[4:5], 8, v13
	v_ffbh_u32_e32 v13, v0
	v_min_u32_e32 v16, 32, v13
	v_subrev_u32_e32 v13, 28, v16
	v_lshlrev_b64 v[13:14], v13, v[8:9]
	v_sub_u32_e32 v8, 29, v16
	v_and_b32_e32 v13, 7, v13
	v_cndmask_b32_e64 v8, v15, v8, s[4:5]
	v_cndmask_b32_e64 v0, v0, v13, s[4:5]
	v_lshlrev_b32_e32 v7, 16, v7
	v_lshlrev_b32_e32 v0, 20, v0
	v_and_b32_e32 v7, 0x80000000, v7
	v_lshl_add_u32 v8, v8, 23, v50
	v_or3_b32 v0, v7, v8, v0
.LBB306_103:                            ;   in Loop: Header=BB306_9 Depth=1
	s_or_b64 exec, exec, s[36:37]
.LBB306_104:                            ;   in Loop: Header=BB306_9 Depth=1
	s_or_b64 exec, exec, s[34:35]
.LBB306_105:                            ;   in Loop: Header=BB306_9 Depth=1
	s_or_b64 exec, exec, s[16:17]
	global_load_ushort v8, v[5:6], off offset:1024
	s_waitcnt vmcnt(0)
	v_and_b32_e32 v7, 0xffff, v8
	v_cmp_ne_u16_sdwa s[4:5], v8, v49 src0_sel:BYTE_0 src1_sel:DWORD
	s_and_saveexec_b64 s[16:17], s[4:5]
	s_cbranch_execz .LBB306_111
; %bb.106:                              ;   in Loop: Header=BB306_9 Depth=1
	v_cmp_ne_u16_sdwa s[4:5], v7, s41 src0_sel:BYTE_0 src1_sel:DWORD
	v_bfrev_b32_e32 v10, 1
	s_and_saveexec_b64 s[34:35], s[4:5]
	s_cbranch_execz .LBB306_110
; %bb.107:                              ;   in Loop: Header=BB306_9 Depth=1
	v_and_b32_e32 v8, 0x7f, v7
	v_cmp_ne_u32_e64 s[4:5], s42, v8
	v_mov_b32_e32 v10, 0x7f800001
	s_and_saveexec_b64 s[36:37], s[4:5]
	s_cbranch_execz .LBB306_109
; %bb.108:                              ;   in Loop: Header=BB306_9 Depth=1
	v_and_b32_e32 v10, 7, v7
	v_lshrrev_b32_e32 v15, 3, v8
	v_cmp_gt_u32_e64 s[4:5], 8, v8
	v_ffbh_u32_e32 v8, v10
	v_min_u32_e32 v8, 32, v8
	v_subrev_u32_e32 v13, 28, v8
	v_lshlrev_b64 v[13:14], v13, v[7:8]
	v_sub_u32_e32 v8, 29, v8
	v_and_b32_e32 v13, 7, v13
	v_cndmask_b32_e64 v8, v15, v8, s[4:5]
	v_cndmask_b32_e64 v10, v10, v13, s[4:5]
	v_lshlrev_b32_e32 v13, 24, v7
	v_lshlrev_b32_e32 v10, 20, v10
	v_and_b32_e32 v13, 0x80000000, v13
	v_lshl_add_u32 v8, v8, 23, v50
	v_or3_b32 v10, v13, v8, v10
.LBB306_109:                            ;   in Loop: Header=BB306_9 Depth=1
	s_or_b64 exec, exec, s[36:37]
.LBB306_110:                            ;   in Loop: Header=BB306_9 Depth=1
	s_or_b64 exec, exec, s[34:35]
.LBB306_111:                            ;   in Loop: Header=BB306_9 Depth=1
	s_or_b64 exec, exec, s[16:17]
	v_lshrrev_b16_e32 v8, 8, v7
	v_cmp_ne_u16_e64 s[4:5], 0, v8
	v_mov_b32_e32 v14, 0
	v_mov_b32_e32 v13, 0
	s_and_saveexec_b64 s[16:17], s[4:5]
	s_cbranch_execz .LBB306_117
; %bb.112:                              ;   in Loop: Header=BB306_9 Depth=1
	v_cmp_ne_u16_e64 s[4:5], s41, v8
	v_bfrev_b32_e32 v13, 1
	s_and_saveexec_b64 s[34:35], s[4:5]
	s_cbranch_execz .LBB306_116
; %bb.113:                              ;   in Loop: Header=BB306_9 Depth=1
	v_and_b32_e32 v15, 0x7f, v8
	v_cmp_ne_u32_e64 s[4:5], s42, v15
	v_mov_b32_e32 v13, 0x7f800001
	s_and_saveexec_b64 s[36:37], s[4:5]
	s_cbranch_execz .LBB306_115
; %bb.114:                              ;   in Loop: Header=BB306_9 Depth=1
	v_and_b32_e32 v13, 7, v8
	v_lshrrev_b32_e32 v17, 3, v15
	v_cmp_gt_u32_e64 s[4:5], 8, v15
	v_ffbh_u32_e32 v15, v13
	v_min_u32_e32 v18, 32, v15
	v_subrev_u32_e32 v15, 28, v18
	v_lshlrev_b64 v[15:16], v15, v[8:9]
	v_sub_u32_e32 v8, 29, v18
	v_and_b32_e32 v15, 7, v15
	v_cndmask_b32_e64 v8, v17, v8, s[4:5]
	v_cndmask_b32_e64 v13, v13, v15, s[4:5]
	v_lshlrev_b32_e32 v7, 16, v7
	v_lshlrev_b32_e32 v13, 20, v13
	v_and_b32_e32 v7, 0x80000000, v7
	v_lshl_add_u32 v8, v8, 23, v50
	v_or3_b32 v13, v7, v8, v13
.LBB306_115:                            ;   in Loop: Header=BB306_9 Depth=1
	s_or_b64 exec, exec, s[36:37]
.LBB306_116:                            ;   in Loop: Header=BB306_9 Depth=1
	s_or_b64 exec, exec, s[34:35]
.LBB306_117:                            ;   in Loop: Header=BB306_9 Depth=1
	s_or_b64 exec, exec, s[16:17]
	global_load_ushort v8, v[5:6], off offset:1032
	s_waitcnt vmcnt(0)
	v_and_b32_e32 v7, 0xffff, v8
	v_cmp_ne_u16_sdwa s[4:5], v8, v49 src0_sel:BYTE_0 src1_sel:DWORD
	s_and_saveexec_b64 s[16:17], s[4:5]
	s_cbranch_execz .LBB306_123
; %bb.118:                              ;   in Loop: Header=BB306_9 Depth=1
	v_cmp_ne_u16_sdwa s[4:5], v7, s41 src0_sel:BYTE_0 src1_sel:DWORD
	v_bfrev_b32_e32 v14, 1
	s_and_saveexec_b64 s[34:35], s[4:5]
	s_cbranch_execz .LBB306_122
; %bb.119:                              ;   in Loop: Header=BB306_9 Depth=1
	v_and_b32_e32 v8, 0x7f, v7
	v_cmp_ne_u32_e64 s[4:5], s42, v8
	v_mov_b32_e32 v14, 0x7f800001
	s_and_saveexec_b64 s[36:37], s[4:5]
	s_cbranch_execz .LBB306_121
; %bb.120:                              ;   in Loop: Header=BB306_9 Depth=1
	v_and_b32_e32 v16, 7, v7
	v_lshrrev_b32_e32 v17, 3, v8
	v_cmp_gt_u32_e64 s[4:5], 8, v8
	v_ffbh_u32_e32 v8, v16
	v_min_u32_e32 v8, 32, v8
	v_subrev_u32_e32 v14, 28, v8
	v_lshlrev_b64 v[14:15], v14, v[7:8]
	v_sub_u32_e32 v8, 29, v8
	v_and_b32_e32 v14, 7, v14
	v_cndmask_b32_e64 v8, v17, v8, s[4:5]
	v_cndmask_b32_e64 v14, v16, v14, s[4:5]
	v_lshlrev_b32_e32 v15, 24, v7
	v_lshlrev_b32_e32 v14, 20, v14
	v_and_b32_e32 v15, 0x80000000, v15
	v_lshl_add_u32 v8, v8, 23, v50
	v_or3_b32 v14, v15, v8, v14
.LBB306_121:                            ;   in Loop: Header=BB306_9 Depth=1
	s_or_b64 exec, exec, s[36:37]
.LBB306_122:                            ;   in Loop: Header=BB306_9 Depth=1
	s_or_b64 exec, exec, s[34:35]
.LBB306_123:                            ;   in Loop: Header=BB306_9 Depth=1
	s_or_b64 exec, exec, s[16:17]
	v_lshrrev_b16_e32 v8, 8, v7
	v_cmp_ne_u16_e64 s[4:5], 0, v8
	v_mov_b32_e32 v16, 0
	v_mov_b32_e32 v15, 0
	s_and_saveexec_b64 s[16:17], s[4:5]
	s_cbranch_execz .LBB306_129
; %bb.124:                              ;   in Loop: Header=BB306_9 Depth=1
	v_cmp_ne_u16_e64 s[4:5], s41, v8
	v_bfrev_b32_e32 v15, 1
	s_and_saveexec_b64 s[34:35], s[4:5]
	s_cbranch_execz .LBB306_128
; %bb.125:                              ;   in Loop: Header=BB306_9 Depth=1
	v_and_b32_e32 v17, 0x7f, v8
	v_cmp_ne_u32_e64 s[4:5], s42, v17
	v_mov_b32_e32 v15, 0x7f800001
	s_and_saveexec_b64 s[36:37], s[4:5]
	s_cbranch_execz .LBB306_127
; %bb.126:                              ;   in Loop: Header=BB306_9 Depth=1
	v_and_b32_e32 v15, 7, v8
	v_lshrrev_b32_e32 v19, 3, v17
	v_cmp_gt_u32_e64 s[4:5], 8, v17
	v_ffbh_u32_e32 v17, v15
	v_min_u32_e32 v20, 32, v17
	v_subrev_u32_e32 v17, 28, v20
	v_lshlrev_b64 v[17:18], v17, v[8:9]
	v_sub_u32_e32 v8, 29, v20
	v_and_b32_e32 v17, 7, v17
	v_cndmask_b32_e64 v8, v19, v8, s[4:5]
	v_cndmask_b32_e64 v15, v15, v17, s[4:5]
	v_lshlrev_b32_e32 v7, 16, v7
	v_lshlrev_b32_e32 v15, 20, v15
	v_and_b32_e32 v7, 0x80000000, v7
	v_lshl_add_u32 v8, v8, 23, v50
	v_or3_b32 v15, v7, v8, v15
.LBB306_127:                            ;   in Loop: Header=BB306_9 Depth=1
	s_or_b64 exec, exec, s[36:37]
.LBB306_128:                            ;   in Loop: Header=BB306_9 Depth=1
	s_or_b64 exec, exec, s[34:35]
.LBB306_129:                            ;   in Loop: Header=BB306_9 Depth=1
	s_or_b64 exec, exec, s[16:17]
	global_load_ushort v8, v[5:6], off offset:1280
	s_waitcnt vmcnt(0)
	v_and_b32_e32 v7, 0xffff, v8
	v_cmp_ne_u16_sdwa s[4:5], v8, v49 src0_sel:BYTE_0 src1_sel:DWORD
	s_and_saveexec_b64 s[16:17], s[4:5]
	s_cbranch_execz .LBB306_135
; %bb.130:                              ;   in Loop: Header=BB306_9 Depth=1
	v_cmp_ne_u16_sdwa s[4:5], v7, s41 src0_sel:BYTE_0 src1_sel:DWORD
	v_bfrev_b32_e32 v16, 1
	s_and_saveexec_b64 s[34:35], s[4:5]
	s_cbranch_execz .LBB306_134
; %bb.131:                              ;   in Loop: Header=BB306_9 Depth=1
	v_and_b32_e32 v8, 0x7f, v7
	v_cmp_ne_u32_e64 s[4:5], s42, v8
	v_mov_b32_e32 v16, 0x7f800001
	s_and_saveexec_b64 s[36:37], s[4:5]
	s_cbranch_execz .LBB306_133
; %bb.132:                              ;   in Loop: Header=BB306_9 Depth=1
	v_and_b32_e32 v18, 7, v7
	v_lshrrev_b32_e32 v19, 3, v8
	v_cmp_gt_u32_e64 s[4:5], 8, v8
	v_ffbh_u32_e32 v8, v18
	v_min_u32_e32 v8, 32, v8
	v_subrev_u32_e32 v16, 28, v8
	v_lshlrev_b64 v[16:17], v16, v[7:8]
	v_sub_u32_e32 v8, 29, v8
	v_and_b32_e32 v16, 7, v16
	v_cndmask_b32_e64 v8, v19, v8, s[4:5]
	v_cndmask_b32_e64 v16, v18, v16, s[4:5]
	v_lshlrev_b32_e32 v17, 24, v7
	v_lshlrev_b32_e32 v16, 20, v16
	v_and_b32_e32 v17, 0x80000000, v17
	v_lshl_add_u32 v8, v8, 23, v50
	v_or3_b32 v16, v17, v8, v16
.LBB306_133:                            ;   in Loop: Header=BB306_9 Depth=1
	s_or_b64 exec, exec, s[36:37]
.LBB306_134:                            ;   in Loop: Header=BB306_9 Depth=1
	s_or_b64 exec, exec, s[34:35]
.LBB306_135:                            ;   in Loop: Header=BB306_9 Depth=1
	s_or_b64 exec, exec, s[16:17]
	v_lshrrev_b16_e32 v8, 8, v7
	v_cmp_ne_u16_e64 s[4:5], 0, v8
	v_mov_b32_e32 v18, 0
	v_mov_b32_e32 v17, 0
	s_and_saveexec_b64 s[16:17], s[4:5]
	s_cbranch_execz .LBB306_141
; %bb.136:                              ;   in Loop: Header=BB306_9 Depth=1
	v_cmp_ne_u16_e64 s[4:5], s41, v8
	v_bfrev_b32_e32 v17, 1
	s_and_saveexec_b64 s[34:35], s[4:5]
	s_cbranch_execz .LBB306_140
; %bb.137:                              ;   in Loop: Header=BB306_9 Depth=1
	v_and_b32_e32 v19, 0x7f, v8
	v_cmp_ne_u32_e64 s[4:5], s42, v19
	v_mov_b32_e32 v17, 0x7f800001
	s_and_saveexec_b64 s[36:37], s[4:5]
	s_cbranch_execz .LBB306_139
; %bb.138:                              ;   in Loop: Header=BB306_9 Depth=1
	v_and_b32_e32 v17, 7, v8
	v_lshrrev_b32_e32 v21, 3, v19
	v_cmp_gt_u32_e64 s[4:5], 8, v19
	v_ffbh_u32_e32 v19, v17
	v_min_u32_e32 v23, 32, v19
	v_subrev_u32_e32 v19, 28, v23
	v_lshlrev_b64 v[19:20], v19, v[8:9]
	v_sub_u32_e32 v8, 29, v23
	v_and_b32_e32 v19, 7, v19
	v_cndmask_b32_e64 v8, v21, v8, s[4:5]
	v_cndmask_b32_e64 v17, v17, v19, s[4:5]
	v_lshlrev_b32_e32 v7, 16, v7
	v_lshlrev_b32_e32 v17, 20, v17
	v_and_b32_e32 v7, 0x80000000, v7
	v_lshl_add_u32 v8, v8, 23, v50
	v_or3_b32 v17, v7, v8, v17
.LBB306_139:                            ;   in Loop: Header=BB306_9 Depth=1
	s_or_b64 exec, exec, s[36:37]
.LBB306_140:                            ;   in Loop: Header=BB306_9 Depth=1
	s_or_b64 exec, exec, s[34:35]
.LBB306_141:                            ;   in Loop: Header=BB306_9 Depth=1
	s_or_b64 exec, exec, s[16:17]
	global_load_ushort v8, v[5:6], off offset:1288
	s_waitcnt vmcnt(0)
	v_and_b32_e32 v7, 0xffff, v8
	v_cmp_ne_u16_sdwa s[4:5], v8, v49 src0_sel:BYTE_0 src1_sel:DWORD
	s_and_saveexec_b64 s[16:17], s[4:5]
	s_cbranch_execz .LBB306_147
; %bb.142:                              ;   in Loop: Header=BB306_9 Depth=1
	v_cmp_ne_u16_sdwa s[4:5], v7, s41 src0_sel:BYTE_0 src1_sel:DWORD
	v_bfrev_b32_e32 v18, 1
	s_and_saveexec_b64 s[34:35], s[4:5]
	s_cbranch_execz .LBB306_146
; %bb.143:                              ;   in Loop: Header=BB306_9 Depth=1
	v_and_b32_e32 v8, 0x7f, v7
	v_cmp_ne_u32_e64 s[4:5], s42, v8
	v_mov_b32_e32 v18, 0x7f800001
	s_and_saveexec_b64 s[36:37], s[4:5]
	s_cbranch_execz .LBB306_145
; %bb.144:                              ;   in Loop: Header=BB306_9 Depth=1
	v_and_b32_e32 v20, 7, v7
	v_lshrrev_b32_e32 v21, 3, v8
	v_cmp_gt_u32_e64 s[4:5], 8, v8
	v_ffbh_u32_e32 v8, v20
	v_min_u32_e32 v8, 32, v8
	v_subrev_u32_e32 v18, 28, v8
	v_lshlrev_b64 v[18:19], v18, v[7:8]
	v_sub_u32_e32 v8, 29, v8
	v_and_b32_e32 v18, 7, v18
	v_cndmask_b32_e64 v8, v21, v8, s[4:5]
	v_cndmask_b32_e64 v18, v20, v18, s[4:5]
	v_lshlrev_b32_e32 v19, 24, v7
	v_lshlrev_b32_e32 v18, 20, v18
	v_and_b32_e32 v19, 0x80000000, v19
	v_lshl_add_u32 v8, v8, 23, v50
	v_or3_b32 v18, v19, v8, v18
.LBB306_145:                            ;   in Loop: Header=BB306_9 Depth=1
	s_or_b64 exec, exec, s[36:37]
.LBB306_146:                            ;   in Loop: Header=BB306_9 Depth=1
	s_or_b64 exec, exec, s[34:35]
.LBB306_147:                            ;   in Loop: Header=BB306_9 Depth=1
	s_or_b64 exec, exec, s[16:17]
	v_lshrrev_b16_e32 v8, 8, v7
	v_cmp_ne_u16_e64 s[4:5], 0, v8
	v_mov_b32_e32 v20, 0
	v_mov_b32_e32 v19, 0
	s_and_saveexec_b64 s[16:17], s[4:5]
	s_cbranch_execz .LBB306_153
; %bb.148:                              ;   in Loop: Header=BB306_9 Depth=1
	v_cmp_ne_u16_e64 s[4:5], s41, v8
	v_bfrev_b32_e32 v19, 1
	s_and_saveexec_b64 s[34:35], s[4:5]
	s_cbranch_execz .LBB306_152
; %bb.149:                              ;   in Loop: Header=BB306_9 Depth=1
	v_and_b32_e32 v21, 0x7f, v8
	v_cmp_ne_u32_e64 s[4:5], s42, v21
	v_mov_b32_e32 v19, 0x7f800001
	s_and_saveexec_b64 s[36:37], s[4:5]
	s_cbranch_execz .LBB306_151
; %bb.150:                              ;   in Loop: Header=BB306_9 Depth=1
	v_and_b32_e32 v19, 7, v8
	v_lshrrev_b32_e32 v25, 3, v21
	v_cmp_gt_u32_e64 s[4:5], 8, v21
	v_ffbh_u32_e32 v21, v19
	v_min_u32_e32 v21, 32, v21
	v_subrev_u32_e32 v23, 28, v21
	v_lshlrev_b64 v[23:24], v23, v[8:9]
	v_sub_u32_e32 v8, 29, v21
	v_and_b32_e32 v21, 7, v23
	v_cndmask_b32_e64 v8, v25, v8, s[4:5]
	v_cndmask_b32_e64 v19, v19, v21, s[4:5]
	v_lshlrev_b32_e32 v7, 16, v7
	v_lshlrev_b32_e32 v19, 20, v19
	v_and_b32_e32 v7, 0x80000000, v7
	v_lshl_add_u32 v8, v8, 23, v50
	v_or3_b32 v19, v7, v8, v19
.LBB306_151:                            ;   in Loop: Header=BB306_9 Depth=1
	s_or_b64 exec, exec, s[36:37]
.LBB306_152:                            ;   in Loop: Header=BB306_9 Depth=1
	s_or_b64 exec, exec, s[34:35]
.LBB306_153:                            ;   in Loop: Header=BB306_9 Depth=1
	s_or_b64 exec, exec, s[16:17]
	global_load_ushort v8, v[5:6], off offset:1536
	s_waitcnt vmcnt(0)
	v_and_b32_e32 v7, 0xffff, v8
	v_cmp_ne_u16_sdwa s[4:5], v8, v49 src0_sel:BYTE_0 src1_sel:DWORD
	s_and_saveexec_b64 s[16:17], s[4:5]
	s_cbranch_execz .LBB306_159
; %bb.154:                              ;   in Loop: Header=BB306_9 Depth=1
	v_cmp_ne_u16_sdwa s[4:5], v7, s41 src0_sel:BYTE_0 src1_sel:DWORD
	v_bfrev_b32_e32 v20, 1
	s_and_saveexec_b64 s[34:35], s[4:5]
	s_cbranch_execz .LBB306_158
; %bb.155:                              ;   in Loop: Header=BB306_9 Depth=1
	v_and_b32_e32 v8, 0x7f, v7
	v_cmp_ne_u32_e64 s[4:5], s42, v8
	v_mov_b32_e32 v20, 0x7f800001
	s_and_saveexec_b64 s[36:37], s[4:5]
	s_cbranch_execz .LBB306_157
; %bb.156:                              ;   in Loop: Header=BB306_9 Depth=1
	v_and_b32_e32 v23, 7, v7
	v_lshrrev_b32_e32 v24, 3, v8
	v_cmp_gt_u32_e64 s[4:5], 8, v8
	v_ffbh_u32_e32 v8, v23
	v_min_u32_e32 v8, 32, v8
	v_subrev_u32_e32 v20, 28, v8
	v_lshlrev_b64 v[20:21], v20, v[7:8]
	v_sub_u32_e32 v8, 29, v8
	v_and_b32_e32 v20, 7, v20
	v_cndmask_b32_e64 v8, v24, v8, s[4:5]
	v_cndmask_b32_e64 v20, v23, v20, s[4:5]
	v_lshlrev_b32_e32 v21, 24, v7
	v_lshlrev_b32_e32 v20, 20, v20
	v_and_b32_e32 v21, 0x80000000, v21
	v_lshl_add_u32 v8, v8, 23, v50
	v_or3_b32 v20, v21, v8, v20
.LBB306_157:                            ;   in Loop: Header=BB306_9 Depth=1
	s_or_b64 exec, exec, s[36:37]
.LBB306_158:                            ;   in Loop: Header=BB306_9 Depth=1
	s_or_b64 exec, exec, s[34:35]
.LBB306_159:                            ;   in Loop: Header=BB306_9 Depth=1
	s_or_b64 exec, exec, s[16:17]
	v_lshrrev_b16_e32 v8, 8, v7
	v_cmp_ne_u16_e64 s[4:5], 0, v8
	v_mov_b32_e32 v23, 0
	v_mov_b32_e32 v21, 0
	s_and_saveexec_b64 s[16:17], s[4:5]
	s_cbranch_execz .LBB306_165
; %bb.160:                              ;   in Loop: Header=BB306_9 Depth=1
	v_cmp_ne_u16_e64 s[4:5], s41, v8
	v_bfrev_b32_e32 v21, 1
	s_and_saveexec_b64 s[34:35], s[4:5]
	s_cbranch_execz .LBB306_164
; %bb.161:                              ;   in Loop: Header=BB306_9 Depth=1
	v_and_b32_e32 v24, 0x7f, v8
	v_cmp_ne_u32_e64 s[4:5], s42, v24
	v_mov_b32_e32 v21, 0x7f800001
	s_and_saveexec_b64 s[36:37], s[4:5]
	s_cbranch_execz .LBB306_163
; %bb.162:                              ;   in Loop: Header=BB306_9 Depth=1
	v_and_b32_e32 v21, 7, v8
	v_lshrrev_b32_e32 v26, 3, v24
	v_cmp_gt_u32_e64 s[4:5], 8, v24
	v_ffbh_u32_e32 v24, v21
	v_min_u32_e32 v27, 32, v24
	v_subrev_u32_e32 v24, 28, v27
	v_lshlrev_b64 v[24:25], v24, v[8:9]
	v_sub_u32_e32 v8, 29, v27
	v_and_b32_e32 v24, 7, v24
	v_cndmask_b32_e64 v8, v26, v8, s[4:5]
	v_cndmask_b32_e64 v21, v21, v24, s[4:5]
	v_lshlrev_b32_e32 v7, 16, v7
	v_lshlrev_b32_e32 v21, 20, v21
	v_and_b32_e32 v7, 0x80000000, v7
	v_lshl_add_u32 v8, v8, 23, v50
	v_or3_b32 v21, v7, v8, v21
.LBB306_163:                            ;   in Loop: Header=BB306_9 Depth=1
	s_or_b64 exec, exec, s[36:37]
.LBB306_164:                            ;   in Loop: Header=BB306_9 Depth=1
	s_or_b64 exec, exec, s[34:35]
.LBB306_165:                            ;   in Loop: Header=BB306_9 Depth=1
	s_or_b64 exec, exec, s[16:17]
	global_load_ushort v8, v[5:6], off offset:1544
	s_waitcnt vmcnt(0)
	v_and_b32_e32 v7, 0xffff, v8
	v_cmp_ne_u16_sdwa s[4:5], v8, v49 src0_sel:BYTE_0 src1_sel:DWORD
	s_and_saveexec_b64 s[16:17], s[4:5]
	s_cbranch_execz .LBB306_171
; %bb.166:                              ;   in Loop: Header=BB306_9 Depth=1
	v_cmp_ne_u16_sdwa s[4:5], v7, s41 src0_sel:BYTE_0 src1_sel:DWORD
	v_bfrev_b32_e32 v23, 1
	s_and_saveexec_b64 s[34:35], s[4:5]
	s_cbranch_execz .LBB306_170
; %bb.167:                              ;   in Loop: Header=BB306_9 Depth=1
	v_and_b32_e32 v8, 0x7f, v7
	v_cmp_ne_u32_e64 s[4:5], s42, v8
	v_mov_b32_e32 v23, 0x7f800001
	s_and_saveexec_b64 s[36:37], s[4:5]
	s_cbranch_execz .LBB306_169
; %bb.168:                              ;   in Loop: Header=BB306_9 Depth=1
	v_and_b32_e32 v25, 7, v7
	v_lshrrev_b32_e32 v26, 3, v8
	v_cmp_gt_u32_e64 s[4:5], 8, v8
	v_ffbh_u32_e32 v8, v25
	v_min_u32_e32 v8, 32, v8
	v_subrev_u32_e32 v23, 28, v8
	v_lshlrev_b64 v[23:24], v23, v[7:8]
	v_sub_u32_e32 v8, 29, v8
	v_and_b32_e32 v23, 7, v23
	v_cndmask_b32_e64 v8, v26, v8, s[4:5]
	v_cndmask_b32_e64 v23, v25, v23, s[4:5]
	v_lshlrev_b32_e32 v24, 24, v7
	v_lshlrev_b32_e32 v23, 20, v23
	v_and_b32_e32 v24, 0x80000000, v24
	v_lshl_add_u32 v8, v8, 23, v50
	v_or3_b32 v23, v24, v8, v23
.LBB306_169:                            ;   in Loop: Header=BB306_9 Depth=1
	s_or_b64 exec, exec, s[36:37]
.LBB306_170:                            ;   in Loop: Header=BB306_9 Depth=1
	s_or_b64 exec, exec, s[34:35]
.LBB306_171:                            ;   in Loop: Header=BB306_9 Depth=1
	s_or_b64 exec, exec, s[16:17]
	v_lshrrev_b16_e32 v8, 8, v7
	v_cmp_ne_u16_e64 s[4:5], 0, v8
	v_mov_b32_e32 v26, 0
	v_mov_b32_e32 v25, 0
	s_and_saveexec_b64 s[16:17], s[4:5]
	s_cbranch_execz .LBB306_177
; %bb.172:                              ;   in Loop: Header=BB306_9 Depth=1
	v_cmp_ne_u16_e64 s[4:5], s41, v8
	v_bfrev_b32_e32 v25, 1
	s_and_saveexec_b64 s[34:35], s[4:5]
	s_cbranch_execz .LBB306_176
; %bb.173:                              ;   in Loop: Header=BB306_9 Depth=1
	v_and_b32_e32 v24, 0x7f, v8
	v_cmp_ne_u32_e64 s[4:5], s42, v24
	v_mov_b32_e32 v25, 0x7f800001
	s_and_saveexec_b64 s[36:37], s[4:5]
	s_cbranch_execz .LBB306_175
; %bb.174:                              ;   in Loop: Header=BB306_9 Depth=1
	v_and_b32_e32 v27, 7, v8
	v_lshrrev_b32_e32 v28, 3, v24
	v_cmp_gt_u32_e64 s[4:5], 8, v24
	v_ffbh_u32_e32 v24, v27
	v_min_u32_e32 v29, 32, v24
	v_subrev_u32_e32 v24, 28, v29
	v_lshlrev_b64 v[24:25], v24, v[8:9]
	v_sub_u32_e32 v8, 29, v29
	v_and_b32_e32 v24, 7, v24
	v_cndmask_b32_e64 v8, v28, v8, s[4:5]
	v_cndmask_b32_e64 v24, v27, v24, s[4:5]
	v_lshlrev_b32_e32 v7, 16, v7
	v_lshlrev_b32_e32 v24, 20, v24
	v_and_b32_e32 v7, 0x80000000, v7
	v_lshl_add_u32 v8, v8, 23, v50
	v_or3_b32 v25, v7, v8, v24
.LBB306_175:                            ;   in Loop: Header=BB306_9 Depth=1
	s_or_b64 exec, exec, s[36:37]
.LBB306_176:                            ;   in Loop: Header=BB306_9 Depth=1
	s_or_b64 exec, exec, s[34:35]
.LBB306_177:                            ;   in Loop: Header=BB306_9 Depth=1
	s_or_b64 exec, exec, s[16:17]
	global_load_ushort v6, v[5:6], off offset:1792
	s_waitcnt vmcnt(0)
	v_and_b32_e32 v5, 0xffff, v6
	v_cmp_ne_u16_sdwa s[4:5], v6, v49 src0_sel:BYTE_0 src1_sel:DWORD
	s_and_saveexec_b64 s[16:17], s[4:5]
	s_cbranch_execz .LBB306_183
; %bb.178:                              ;   in Loop: Header=BB306_9 Depth=1
	v_cmp_ne_u16_sdwa s[4:5], v5, s41 src0_sel:BYTE_0 src1_sel:DWORD
	v_bfrev_b32_e32 v26, 1
	s_and_saveexec_b64 s[34:35], s[4:5]
	s_cbranch_execz .LBB306_182
; %bb.179:                              ;   in Loop: Header=BB306_9 Depth=1
	v_and_b32_e32 v6, 0x7f, v5
	v_cmp_ne_u32_e64 s[4:5], s42, v6
	v_mov_b32_e32 v26, 0x7f800001
	s_and_saveexec_b64 s[36:37], s[4:5]
	s_cbranch_execz .LBB306_181
; %bb.180:                              ;   in Loop: Header=BB306_9 Depth=1
	v_and_b32_e32 v8, 7, v5
	v_lshrrev_b32_e32 v24, 3, v6
	v_cmp_gt_u32_e64 s[4:5], 8, v6
	v_ffbh_u32_e32 v6, v8
	v_min_u32_e32 v26, 32, v6
	v_subrev_u32_e32 v6, 28, v26
	v_lshlrev_b64 v[6:7], v6, v[5:6]
	v_sub_u32_e32 v7, 29, v26
	v_and_b32_e32 v6, 7, v6
	v_cndmask_b32_e64 v7, v24, v7, s[4:5]
	v_cndmask_b32_e64 v6, v8, v6, s[4:5]
	v_lshlrev_b32_e32 v8, 24, v5
	v_lshlrev_b32_e32 v6, 20, v6
	v_and_b32_e32 v8, 0x80000000, v8
	v_lshl_add_u32 v7, v7, 23, v50
	v_or3_b32 v26, v8, v7, v6
.LBB306_181:                            ;   in Loop: Header=BB306_9 Depth=1
	s_or_b64 exec, exec, s[36:37]
.LBB306_182:                            ;   in Loop: Header=BB306_9 Depth=1
	s_or_b64 exec, exec, s[34:35]
.LBB306_183:                            ;   in Loop: Header=BB306_9 Depth=1
	s_or_b64 exec, exec, s[16:17]
	v_lshrrev_b16_e32 v6, 8, v5
	v_cmp_ne_u16_e64 s[4:5], 0, v6
	v_mov_b32_e32 v24, 0
	s_and_saveexec_b64 s[16:17], s[4:5]
	s_cbranch_execz .LBB306_189
; %bb.184:                              ;   in Loop: Header=BB306_9 Depth=1
	v_cmp_ne_u16_e64 s[4:5], s41, v6
	v_bfrev_b32_e32 v24, 1
	s_and_saveexec_b64 s[34:35], s[4:5]
	s_cbranch_execz .LBB306_188
; %bb.185:                              ;   in Loop: Header=BB306_9 Depth=1
	v_and_b32_e32 v7, 0x7f, v6
	v_cmp_ne_u32_e64 s[4:5], s42, v7
	v_mov_b32_e32 v24, 0x7f800001
	s_and_saveexec_b64 s[36:37], s[4:5]
	s_cbranch_execz .LBB306_187
; %bb.186:                              ;   in Loop: Header=BB306_9 Depth=1
	v_and_b32_e32 v8, 7, v6
	v_lshrrev_b32_e32 v24, 3, v7
	v_cmp_gt_u32_e64 s[4:5], 8, v7
	v_ffbh_u32_e32 v7, v8
	v_min_u32_e32 v27, 32, v7
	v_subrev_u32_e32 v7, 28, v27
	v_lshlrev_b64 v[6:7], v7, v[6:7]
	v_sub_u32_e32 v7, 29, v27
	v_and_b32_e32 v6, 7, v6
	v_cndmask_b32_e64 v7, v24, v7, s[4:5]
	v_cndmask_b32_e64 v6, v8, v6, s[4:5]
	v_lshlrev_b32_e32 v5, 16, v5
	v_lshlrev_b32_e32 v6, 20, v6
	v_and_b32_e32 v5, 0x80000000, v5
	v_lshl_add_u32 v7, v7, 23, v50
	v_or3_b32 v24, v5, v7, v6
.LBB306_187:                            ;   in Loop: Header=BB306_9 Depth=1
	s_or_b64 exec, exec, s[36:37]
.LBB306_188:                            ;   in Loop: Header=BB306_9 Depth=1
	s_or_b64 exec, exec, s[34:35]
.LBB306_189:                            ;   in Loop: Header=BB306_9 Depth=1
	s_or_b64 exec, exec, s[16:17]
	s_waitcnt lgkmcnt(0)
	v_mul_f32_e32 v5, s40, v26
	v_bfe_u32 v6, v5, 16, 1
	v_add3_u32 v6, v6, v5, s43
	v_or_b32_e32 v7, 0x400000, v5
	v_cmp_u_f32_e64 s[4:5], v5, v5
	v_cndmask_b32_e64 v5, v6, v7, s[4:5]
	v_mul_f32_e32 v6, s40, v25
	v_bfe_u32 v7, v6, 16, 1
	v_add3_u32 v7, v7, v6, s43
	v_or_b32_e32 v8, 0x400000, v6
	v_cmp_u_f32_e64 s[4:5], v6, v6
	v_cndmask_b32_e64 v6, v7, v8, s[4:5]
	;; [unrolled: 6-line block ×3, first 2 shown]
	v_mul_f32_e32 v8, s40, v21
	v_bfe_u32 v21, v8, 16, 1
	v_add3_u32 v21, v21, v8, s43
	v_or_b32_e32 v23, 0x400000, v8
	v_cmp_u_f32_e64 s[4:5], v8, v8
	v_mul_f32_e32 v20, s40, v20
	v_cndmask_b32_e64 v8, v21, v23, s[4:5]
	v_bfe_u32 v21, v20, 16, 1
	v_add3_u32 v21, v21, v20, s43
	v_or_b32_e32 v23, 0x400000, v20
	v_cmp_u_f32_e64 s[4:5], v20, v20
	v_mul_f32_e32 v19, s40, v19
	v_cndmask_b32_e64 v20, v21, v23, s[4:5]
	;; [unrolled: 6-line block ×13, first 2 shown]
	v_bfe_u32 v21, v9, 16, 1
	v_add3_u32 v21, v21, v9, s43
	v_or_b32_e32 v23, 0x400000, v9
	v_cmp_u_f32_e64 s[4:5], v9, v9
	v_cndmask_b32_e64 v9, v21, v23, s[4:5]
	v_mul_f32_e32 v21, s40, v63
	v_bfe_u32 v23, v21, 16, 1
	v_add3_u32 v23, v23, v21, s43
	v_or_b32_e32 v25, 0x400000, v21
	v_cmp_u_f32_e64 s[4:5], v21, v21
	v_cndmask_b32_e64 v21, v23, v25, s[4:5]
	v_mul_f32_e32 v23, s40, v62
	;; [unrolled: 6-line block ×7, first 2 shown]
	v_bfe_u32 v57, v29, 16, 1
	v_add3_u32 v57, v57, v29, s43
	v_or_b32_e32 v58, 0x400000, v29
	v_cmp_u_f32_e64 s[4:5], v29, v29
	v_mul_f32_e32 v56, s40, v56
	v_cndmask_b32_e64 v29, v57, v58, s[4:5]
	v_bfe_u32 v57, v56, 16, 1
	v_add3_u32 v57, v57, v56, s43
	v_or_b32_e32 v58, 0x400000, v56
	v_cmp_u_f32_e64 s[4:5], v56, v56
	v_mul_f32_e32 v55, s40, v55
	v_cndmask_b32_e64 v56, v57, v58, s[4:5]
	;; [unrolled: 6-line block ×6, first 2 shown]
	v_bfe_u32 v57, v24, 16, 1
	v_add3_u32 v57, v57, v24, s43
	v_or_b32_e32 v58, 0x400000, v24
	v_cmp_u_f32_e64 s[4:5], v24, v24
	v_cndmask_b32_e64 v24, v57, v58, s[4:5]
	buffer_load_dword v57, off, s[44:47], 0 offset:8 ; 4-byte Folded Reload
	v_and_b32_e32 v54, 0xffff0000, v54
	v_and_b32_e32 v52, 0xffff0000, v52
	;; [unrolled: 1-line block ×14, first 2 shown]
	s_waitcnt vmcnt(0)
	v_mul_f32_e32 v54, v57, v54
	buffer_load_dword v57, off, s[44:47], 0 ; 4-byte Folded Reload
	s_waitcnt vmcnt(0)
	v_fmac_f32_e32 v54, v57, v52
	v_and_b32_e32 v52, 0xffff0000, v53
	v_and_b32_e32 v53, 0xffff0000, v55
	buffer_load_dword v55, off, s[44:47], 0 offset:12 ; 4-byte Folded Reload
	s_waitcnt vmcnt(0)
	v_mul_f32_e32 v53, v55, v53
	buffer_load_dword v55, off, s[44:47], 0 offset:4 ; 4-byte Folded Reload
	s_waitcnt vmcnt(0)
	v_fmac_f32_e32 v53, v55, v52
	buffer_load_dword v55, off, s[44:47], 0 offset:16 ; 4-byte Folded Reload
	v_and_b32_e32 v52, 0xffff0000, v56
	s_waitcnt vmcnt(0)
	v_fmac_f32_e32 v54, v55, v52
	buffer_load_dword v52, off, s[44:47], 0 offset:20 ; 4-byte Folded Reload
	s_waitcnt vmcnt(0)
	v_fmac_f32_e32 v53, v52, v29
	buffer_load_dword v29, off, s[44:47], 0 offset:24 ; 4-byte Folded Reload
	;; [unrolled: 3-line block ×9, first 2 shown]
	s_waitcnt vmcnt(0)
	v_fmac_f32_e32 v53, v9, v12
	v_and_b32_e32 v9, 0xffff0000, v11
	buffer_load_dword v11, off, s[44:47], 0 offset:56 ; 4-byte Folded Reload
	s_waitcnt vmcnt(0)
	v_fmac_f32_e32 v54, v11, v9
	buffer_load_dword v9, off, s[44:47], 0 offset:60 ; 4-byte Folded Reload
	s_waitcnt vmcnt(0)
	v_fmac_f32_e32 v53, v9, v0
	v_and_b32_e32 v0, 0xffff0000, v10
	v_and_b32_e32 v9, 0xffff0000, v13
	v_fmac_f32_e32 v54, v30, v0
	v_fmac_f32_e32 v53, v31, v9
	v_and_b32_e32 v0, 0xffff0000, v14
	v_and_b32_e32 v9, 0xffff0000, v15
	v_fmac_f32_e32 v54, v32, v0
	;; [unrolled: 4-line block ×4, first 2 shown]
	v_fmac_f32_e32 v53, v37, v9
	v_and_b32_e32 v0, 0xffff0000, v20
	v_fmac_f32_e32 v54, v38, v0
	v_fmac_f32_e32 v53, v39, v8
	v_and_b32_e32 v0, 0xffff0000, v7
	v_fmac_f32_e32 v54, v40, v0
	v_fmac_f32_e32 v53, v41, v6
	v_and_b32_e32 v0, 0xffff0000, v5
	v_and_b32_e32 v5, 0xffff0000, v24
	v_fmac_f32_e32 v54, v43, v0
	v_fmac_f32_e32 v53, v44, v5
	v_add_f32_e32 v0, v54, v53
	ds_bpermute_b32 v5, v45, v0
	s_waitcnt lgkmcnt(0)
	v_add_f32_e32 v0, v0, v5
	ds_bpermute_b32 v5, v46, v0
	s_and_saveexec_b64 s[16:17], vcc
	s_cbranch_execz .LBB306_8
; %bb.190:                              ;   in Loop: Header=BB306_9 Depth=1
	v_add_u32_e32 v6, s38, v47
	v_cvt_f32_i32_e32 v6, v6
	s_waitcnt lgkmcnt(0)
	v_add_f32_e32 v0, v0, v5
	v_cmp_gt_i32_e64 s[4:5], s30, v47
	v_max_f32_e32 v5, v42, v42
	v_mul_f32_e32 v6, s33, v6
	v_cndmask_b32_e64 v6, 0, v6, s[2:3]
	v_fmac_f32_e32 v6, s31, v0
	v_cndmask_b32_e64 v0, 0, v6, s[4:5]
	ds_write_b32 v48, v0
	v_max_f32_e32 v0, v5, v6
	v_cndmask_b32_e64 v42, v42, v0, s[4:5]
	s_branch .LBB306_8
.LBB306_191:
	s_or_b64 exec, exec, s[14:15]
	buffer_load_dword v12, off, s[44:47], 0 offset:64 ; 4-byte Folded Reload
	buffer_load_dword v13, off, s[44:47], 0 offset:68 ; 4-byte Folded Reload
	;; [unrolled: 1-line block ×4, first 2 shown]
	s_waitcnt vmcnt(0)
	v_add_u32_e32 v15, 64, v9
.LBB306_192:
	s_or_b64 exec, exec, s[6:7]
	v_xor_b32_e32 v0, 32, v14
	v_cmp_lt_i32_e32 vcc, v0, v15
	v_cndmask_b32_e32 v0, v14, v0, vcc
	v_lshlrev_b32_e32 v1, 2, v0
	ds_bpermute_b32 v0, v1, v42
	v_xor_b32_e32 v3, 16, v14
	v_max_f32_e32 v2, v42, v42
	v_cmp_lt_i32_e32 vcc, v3, v15
	v_xor_b32_e32 v4, 8, v14
	s_waitcnt lgkmcnt(0)
	v_max_f32_e32 v0, v0, v0
	v_max_f32_e32 v0, v2, v0
	v_cndmask_b32_e32 v2, v14, v3, vcc
	v_lshlrev_b32_e32 v2, 2, v2
	ds_bpermute_b32 v3, v2, v0
	v_cmp_lt_i32_e32 vcc, v4, v15
	v_xor_b32_e32 v6, 4, v14
	s_waitcnt lgkmcnt(0)
	v_max_f32_e32 v3, v3, v3
	v_max_f32_e32 v0, v0, v3
	v_cndmask_b32_e32 v3, v14, v4, vcc
	v_lshlrev_b32_e32 v5, 2, v3
	ds_bpermute_b32 v3, v5, v0
	v_cmp_lt_i32_e32 vcc, v6, v15
	s_waitcnt lgkmcnt(0)
	v_max_f32_e32 v3, v3, v3
	v_max_f32_e32 v4, v0, v3
	v_cndmask_b32_e32 v0, v14, v6, vcc
	v_lshlrev_b32_e32 v6, 2, v0
	ds_bpermute_b32 v7, v6, v4
	v_and_b32_e32 v0, 63, v12
	v_cmp_eq_u32_e32 vcc, 0, v0
	v_lshlrev_b32_e32 v3, 2, v22
	s_and_saveexec_b64 s[2:3], vcc
	s_cbranch_execz .LBB306_194
; %bb.193:
	s_waitcnt lgkmcnt(0)
	v_max_f32_e32 v7, v7, v7
	v_max_f32_e32 v4, v4, v4
	;; [unrolled: 1-line block ×3, first 2 shown]
	ds_write_b32 v3, v4 offset:240
.LBB306_194:
	s_or_b64 exec, exec, s[2:3]
	v_cmp_gt_u32_e64 s[2:3], 2, v0
	s_waitcnt lgkmcnt(0)
	v_mov_b32_e32 v7, 0xff7fffff
	v_lshlrev_b32_e32 v4, 2, v0
	s_barrier
	s_and_saveexec_b64 s[4:5], s[2:3]
; %bb.195:
	ds_read_b32 v7, v4 offset:240
; %bb.196:
	s_or_b64 exec, exec, s[4:5]
	v_xor_b32_e32 v8, 1, v14
	v_cmp_lt_i32_e64 s[4:5], v8, v15
	v_cndmask_b32_e64 v8, v14, v8, s[4:5]
	v_lshlrev_b32_e32 v23, 2, v8
	s_waitcnt lgkmcnt(0)
	ds_bpermute_b32 v8, v23, v7
	v_max_f32_e32 v7, v7, v7
	s_lshl_b32 s4, s21, 4
	s_min_i32 s31, s4, s30
	v_cmp_gt_i32_e64 s[4:5], s31, v12
	s_waitcnt lgkmcnt(0)
	v_max_f32_e32 v8, v8, v8
	v_max_f32_e32 v7, v7, v8
	v_lshlrev_b32_e32 v8, 2, v9
	ds_bpermute_b32 v8, v8, v7
	v_mov_b32_e32 v7, 0
	s_and_saveexec_b64 s[14:15], s[4:5]
	s_cbranch_execz .LBB306_200
; %bb.197:
	v_mov_b32_e32 v7, 0x100
	v_lshl_add_u32 v9, v12, 2, v7
	v_mov_b32_e32 v7, 0
	s_mov_b64 s[16:17], 0
	v_mov_b32_e32 v10, v12
.LBB306_198:                            ; =>This Inner Loop Header: Depth=1
	ds_read_b32 v11, v9
	v_add_u32_e32 v10, 0x80, v10
	v_cmp_le_i32_e64 s[6:7], s31, v10
	s_or_b64 s[16:17], s[6:7], s[16:17]
	s_waitcnt lgkmcnt(0)
	v_sub_f32_e32 v11, v11, v8
	v_mul_f32_e32 v11, 0x3fb8aa3b, v11
	v_exp_f32_e32 v11, v11
	ds_write_b32 v9, v11
	v_add_f32_e32 v7, v7, v11
	v_add_u32_e32 v9, 0x200, v9
	s_andn2_b64 exec, exec, s[16:17]
	s_cbranch_execnz .LBB306_198
; %bb.199:
	s_or_b64 exec, exec, s[16:17]
.LBB306_200:
	s_or_b64 exec, exec, s[14:15]
	ds_bpermute_b32 v1, v1, v7
	s_waitcnt lgkmcnt(0)
	v_add_f32_e32 v1, v7, v1
	ds_bpermute_b32 v2, v2, v1
	s_waitcnt lgkmcnt(0)
	v_add_f32_e32 v1, v1, v2
	ds_bpermute_b32 v2, v5, v1
	v_xor_b32_e32 v5, 2, v14
	v_cmp_lt_i32_e64 s[6:7], v5, v15
	v_cndmask_b32_e64 v5, v14, v5, s[6:7]
	s_waitcnt lgkmcnt(0)
	v_add_f32_e32 v1, v1, v2
	ds_bpermute_b32 v2, v6, v1
	s_waitcnt lgkmcnt(0)
	v_add_f32_e32 v1, v1, v2
	v_lshlrev_b32_e32 v2, 2, v5
	ds_bpermute_b32 v2, v2, v1
	s_waitcnt lgkmcnt(0)
	v_add_f32_e32 v1, v1, v2
	ds_bpermute_b32 v2, v23, v1
	s_waitcnt lgkmcnt(0)
	v_add_f32_e32 v1, v1, v2
	s_and_saveexec_b64 s[6:7], vcc
; %bb.201:
	ds_write_b32 v3, v1 offset:248
; %bb.202:
	s_or_b64 exec, exec, s[6:7]
	s_waitcnt lgkmcnt(0)
	s_barrier
	s_and_saveexec_b64 s[6:7], s[2:3]
; %bb.203:
	ds_read_b32 v1, v4 offset:248
; %bb.204:
	s_or_b64 exec, exec, s[6:7]
	s_waitcnt lgkmcnt(0)
	ds_bpermute_b32 v2, v23, v1
	v_lshlrev_b32_e32 v3, 2, v14
	s_waitcnt lgkmcnt(0)
	v_add_f32_e32 v1, v1, v2
	v_and_b32_e32 v2, 0xffffff00, v3
	ds_bpermute_b32 v1, v2, v1
	s_and_saveexec_b64 s[2:3], s[4:5]
	s_cbranch_execz .LBB306_207
; %bb.205:
	s_waitcnt lgkmcnt(0)
	v_add_f32_e32 v2, 0x358637bd, v1
	v_div_scale_f32 v1, s[4:5], v2, v2, 1.0
	v_div_scale_f32 v3, vcc, 1.0, v2, 1.0
	s_mov_b64 s[4:5], 0
	v_rcp_f32_e32 v4, v1
	v_fma_f32 v5, -v1, v4, 1.0
	v_fmac_f32_e32 v4, v5, v4
	v_mul_f32_e32 v5, v3, v4
	v_fma_f32 v6, -v1, v5, v3
	v_fmac_f32_e32 v5, v6, v4
	v_fma_f32 v1, -v1, v5, v3
	v_div_fmas_f32 v3, v1, v4, v5
	v_mov_b32_e32 v1, 0x100
	v_lshl_add_u32 v1, v12, 2, v1
	v_div_fixup_f32 v2, v3, v2, 1.0
	v_mov_b32_e32 v3, v12
.LBB306_206:                            ; =>This Inner Loop Header: Depth=1
	ds_read_b32 v4, v1
	v_add_u32_e32 v3, 0x80, v3
	v_cmp_le_i32_e32 vcc, s31, v3
	s_or_b64 s[4:5], vcc, s[4:5]
	s_waitcnt lgkmcnt(0)
	v_mul_f32_e32 v4, v2, v4
	ds_write_b32 v1, v4
	v_add_u32_e32 v1, 0x200, v1
	s_andn2_b64 exec, exec, s[4:5]
	s_cbranch_execnz .LBB306_206
.LBB306_207:
	s_or_b64 exec, exec, s[2:3]
	v_lshrrev_b32_e32 v24, 1, v0
	s_waitcnt lgkmcnt(0)
	s_barrier
	s_and_saveexec_b64 s[2:3], s[0:1]
	s_xor_b64 s[0:1], exec, s[2:3]
; %bb.208:
	v_lshrrev_b32_e32 v24, 1, v0
                                        ; implicit-def: $vgpr22
                                        ; implicit-def: $vgpr13
; %bb.209:
	s_or_saveexec_b64 s[4:5], s[0:1]
	v_mov_b32_e32 v27, 0
	v_and_b32_e32 v25, 1, v12
	v_mov_b32_e32 v29, 0
	v_mov_b32_e32 v28, 0
	;; [unrolled: 1-line block ×3, first 2 shown]
	s_xor_b64 exec, exec, s[4:5]
	s_cbranch_execz .LBB306_415
; %bb.210:
	s_ashr_i32 s0, s12, 31
	v_lshlrev_b32_e32 v0, 3, v12
	s_add_u32 s2, s28, s12
	v_and_b32_e32 v0, 8, v0
	s_addc_u32 s3, s29, s0
	v_or_b32_e32 v1, 0x60, v24
	s_movk_i32 s0, 0x78
	v_cmp_gt_u32_e32 vcc, s0, v1
	v_lshl_or_b32 v31, v1, 4, v0
	v_lshlrev_b32_e32 v1, 4, v22
	s_add_i32 s28, s21, -1
	v_lshl_or_b32 v26, v24, 4, v0
	s_load_dword s29, s[18:19], 0x0
	v_or3_b32 v32, v1, v0, 7
	v_lshlrev_b32_e32 v0, 5, v25
	s_lshl_b64 s[0:1], s[26:27], 2
	v_lshl_or_b32 v0, v22, 6, v0
	s_add_u32 s0, s24, s0
	v_add_u32_e32 v33, 0x100, v0
	v_and_b32_e32 v0, 60, v13
	s_addc_u32 s1, s25, s1
	s_mov_b32 s6, -1
	v_mov_b32_e32 v1, s1
	v_add_co_u32_e64 v11, s[0:1], s0, v0
	v_mov_b32_e32 v14, s3
	v_mov_b32_e32 v62, v12
	s_mov_b32 s31, s13
	s_mov_b32 s7, 0xffffff
	v_mov_b32_e32 v10, 0
	v_addc_co_u32_e64 v12, s[0:1], 0, v1, s[0:1]
	s_mov_b64 s[12:13], 0
	v_mov_b32_e32 v13, s2
	s_movk_i32 s26, 0x80
	s_movk_i32 s27, 0x7f
	;; [unrolled: 1-line block ×3, first 2 shown]
	s_mov_b32 s34, 0x7060302
	v_bfrev_b32_e32 v34, 60
	v_mov_b32_e32 v30, 0
	v_mov_b32_e32 v28, 0
	;; [unrolled: 1-line block ×4, first 2 shown]
	s_branch .LBB306_213
.LBB306_211:                            ;   in Loop: Header=BB306_213 Depth=1
	s_or_b64 exec, exec, s[2:3]
	v_lshlrev_b32_e32 v9, 16, v7
	v_lshlrev_b32_e32 v43, 16, v55
	v_mul_f32_e32 v9, v9, v43
	v_bfe_u32 v43, v9, 16, 1
	v_add3_u32 v43, v43, v9, s33
	v_or_b32_e32 v55, 0x400000, v9
	v_cmp_u_f32_e64 s[0:1], v9, v9
	v_cndmask_b32_e64 v9, v43, v55, s[0:1]
	v_and_b32_e32 v43, 0xffff0000, v7
	v_lshlrev_b32_e32 v54, 16, v54
	v_mul_f32_e32 v43, v43, v54
	v_bfe_u32 v54, v43, 16, 1
	v_add3_u32 v54, v54, v43, s33
	v_or_b32_e32 v55, 0x400000, v43
	v_cmp_u_f32_e64 s[0:1], v43, v43
	v_cndmask_b32_e64 v43, v54, v55, s[0:1]
	v_lshlrev_b32_e32 v54, 16, v6
	v_lshlrev_b32_e32 v16, 16, v16
	v_mul_f32_e32 v16, v54, v16
	v_bfe_u32 v54, v16, 16, 1
	v_add3_u32 v54, v54, v16, s33
	v_or_b32_e32 v55, 0x400000, v16
	v_cmp_u_f32_e64 s[0:1], v16, v16
	v_cndmask_b32_e64 v16, v54, v55, s[0:1]
	v_and_b32_e32 v54, 0xffff0000, v6
	v_lshlrev_b32_e32 v3, 16, v3
	v_mul_f32_e32 v3, v54, v3
	v_bfe_u32 v54, v3, 16, 1
	v_add3_u32 v54, v54, v3, s33
	v_or_b32_e32 v55, 0x400000, v3
	v_cmp_u_f32_e64 s[0:1], v3, v3
	v_cndmask_b32_e64 v3, v54, v55, s[0:1]
	;; [unrolled: 16-line block ×3, first 2 shown]
	v_lshlrev_b32_e32 v54, 16, v4
	v_lshlrev_b32_e32 v15, 16, v15
	v_mul_f32_e32 v15, v54, v15
	v_bfe_u32 v54, v15, 16, 1
	v_add3_u32 v54, v54, v15, s33
	v_or_b32_e32 v55, 0x400000, v15
	v_cmp_u_f32_e64 s[0:1], v15, v15
	v_cndmask_b32_e64 v15, v54, v55, s[0:1]
	v_and_b32_e32 v54, 0xffff0000, v4
	v_lshlrev_b32_e32 v8, 16, v8
	v_mul_f32_e32 v8, v54, v8
	v_bfe_u32 v54, v8, 16, 1
	v_and_b32_e32 v43, 0xffff0000, v43
	v_and_b32_e32 v9, 0xffff0000, v9
	;; [unrolled: 1-line block ×4, first 2 shown]
	v_add3_u32 v54, v54, v8, s33
	v_or_b32_e32 v55, 0x400000, v8
	v_cmp_u_f32_e64 s[0:1], v8, v8
	v_add_f32_e32 v9, v9, v43
	v_add_f32_e32 v3, v16, v3
	v_and_b32_e32 v1, 0xffff0000, v1
	v_and_b32_e32 v2, 0xffff0000, v2
	v_cndmask_b32_e64 v8, v54, v55, s[0:1]
	v_add_f32_e32 v3, v3, v9
	v_add_f32_e32 v1, v2, v1
	;; [unrolled: 1-line block ×3, first 2 shown]
	v_and_b32_e32 v2, 0xffff0000, v8
	v_and_b32_e32 v3, 0xffff0000, v15
	v_add_f32_e32 v2, v3, v2
	v_add_f32_e32 v1, v2, v1
	;; [unrolled: 1-line block ×3, first 2 shown]
.LBB306_212:                            ;   in Loop: Header=BB306_213 Depth=1
	s_or_b64 exec, exec, s[14:15]
	v_and_b32_e32 v1, 0xffff0000, v7
	v_lshlrev_b32_e32 v2, 16, v52
	v_mul_f32_e32 v2, v1, v2
	v_bfe_u32 v3, v2, 16, 1
	v_add3_u32 v3, v3, v2, s33
	v_or_b32_e32 v8, 0x400000, v2
	v_cmp_u_f32_e64 s[0:1], v2, v2
	v_cndmask_b32_e64 v8, v3, v8, s[0:1]
	v_lshlrev_b32_e32 v2, 16, v7
	v_lshlrev_b32_e32 v3, 16, v53
	v_mul_f32_e32 v3, v2, v3
	v_bfe_u32 v7, v3, 16, 1
	v_add3_u32 v7, v7, v3, s33
	v_or_b32_e32 v9, 0x400000, v3
	v_cmp_u_f32_e64 s[0:1], v3, v3
	v_cndmask_b32_e64 v9, v7, v9, s[0:1]
	v_and_b32_e32 v3, 0xffff0000, v6
	v_lshlrev_b32_e32 v7, 16, v19
	v_mul_f32_e32 v7, v3, v7
	v_bfe_u32 v15, v7, 16, 1
	v_add3_u32 v15, v15, v7, s33
	v_or_b32_e32 v16, 0x400000, v7
	v_cmp_u_f32_e64 s[0:1], v7, v7
	v_lshlrev_b32_e32 v6, 16, v6
	v_lshlrev_b32_e32 v7, 16, v50
	v_mul_f32_e32 v7, v6, v7
	v_cndmask_b32_e64 v15, v15, v16, s[0:1]
	v_bfe_u32 v16, v7, 16, 1
	v_add3_u32 v16, v16, v7, s33
	v_or_b32_e32 v19, 0x400000, v7
	v_cmp_u_f32_e64 s[0:1], v7, v7
	v_and_b32_e32 v7, 0xffff0000, v5
	v_lshlrev_b32_e32 v0, 16, v0
	v_mul_f32_e32 v0, v7, v0
	v_cndmask_b32_e64 v16, v16, v19, s[0:1]
	v_bfe_u32 v19, v0, 16, 1
	v_add3_u32 v19, v19, v0, s33
	v_or_b32_e32 v43, 0x400000, v0
	v_cmp_u_f32_e64 s[0:1], v0, v0
	v_lshlrev_b32_e32 v0, 16, v5
	v_lshlrev_b32_e32 v5, 16, v17
	v_mul_f32_e32 v5, v0, v5
	v_bfe_u32 v17, v5, 16, 1
	v_cndmask_b32_e64 v19, v19, v43, s[0:1]
	v_add3_u32 v17, v17, v5, s33
	v_or_b32_e32 v43, 0x400000, v5
	v_cmp_u_f32_e64 s[0:1], v5, v5
	v_cndmask_b32_e64 v17, v17, v43, s[0:1]
	v_and_b32_e32 v5, 0xffff0000, v4
	v_lshlrev_b32_e32 v43, 16, v51
	v_mul_f32_e32 v43, v5, v43
	v_bfe_u32 v50, v43, 16, 1
	v_lshlrev_b32_e32 v4, 16, v4
	v_lshlrev_b32_e32 v18, 16, v18
	v_and_b32_e32 v9, 0xffff0000, v9
	v_and_b32_e32 v8, 0xffff0000, v8
	v_add3_u32 v50, v50, v43, s33
	v_or_b32_e32 v51, 0x400000, v43
	v_cmp_u_f32_e64 s[0:1], v43, v43
	v_mul_f32_e32 v18, v4, v18
	v_add_f32_e32 v8, v9, v8
	v_and_b32_e32 v9, 0xffff0000, v16
	v_and_b32_e32 v15, 0xffff0000, v15
	v_cndmask_b32_e64 v43, v50, v51, s[0:1]
	v_bfe_u32 v50, v18, 16, 1
	v_add_f32_e32 v9, v9, v15
	v_add3_u32 v50, v50, v18, s33
	v_or_b32_e32 v51, 0x400000, v18
	v_cmp_u_f32_e64 s[0:1], v18, v18
	v_add_f32_e32 v8, v9, v8
	v_and_b32_e32 v9, 0xffff0000, v17
	v_and_b32_e32 v15, 0xffff0000, v19
	v_cndmask_b32_e64 v18, v50, v51, s[0:1]
	v_add_f32_e32 v9, v9, v15
	v_add_f32_e32 v8, v9, v8
	v_and_b32_e32 v9, 0xffff0000, v18
	v_and_b32_e32 v15, 0xffff0000, v43
	v_add_f32_e32 v9, v9, v15
	v_add_f32_e32 v8, v9, v8
	;; [unrolled: 1-line block ×3, first 2 shown]
	v_lshlrev_b32_e32 v8, 16, v48
	v_mul_f32_e32 v8, v1, v8
	v_bfe_u32 v9, v8, 16, 1
	v_add3_u32 v9, v9, v8, s33
	v_or_b32_e32 v15, 0x400000, v8
	v_cmp_u_f32_e64 s[0:1], v8, v8
	v_cndmask_b32_e64 v8, v9, v15, s[0:1]
	v_lshlrev_b32_e32 v9, 16, v49
	v_mul_f32_e32 v9, v2, v9
	v_bfe_u32 v15, v9, 16, 1
	v_add3_u32 v15, v15, v9, s33
	v_or_b32_e32 v16, 0x400000, v9
	v_cmp_u_f32_e64 s[0:1], v9, v9
	v_cndmask_b32_e64 v9, v15, v16, s[0:1]
	;; [unrolled: 7-line block ×7, first 2 shown]
	v_lshlrev_b32_e32 v20, 16, v44
	v_and_b32_e32 v9, 0xffff0000, v9
	v_and_b32_e32 v8, 0xffff0000, v8
	v_mul_f32_e32 v20, v4, v20
	v_add_f32_e32 v8, v9, v8
	v_and_b32_e32 v9, 0xffff0000, v16
	v_and_b32_e32 v15, 0xffff0000, v15
	v_bfe_u32 v21, v20, 16, 1
	v_add_f32_e32 v9, v9, v15
	v_add3_u32 v21, v21, v20, s33
	v_or_b32_e32 v43, 0x400000, v20
	v_cmp_u_f32_e64 s[0:1], v20, v20
	v_add_f32_e32 v8, v9, v8
	v_and_b32_e32 v9, 0xffff0000, v18
	v_and_b32_e32 v15, 0xffff0000, v17
	v_cndmask_b32_e64 v20, v21, v43, s[0:1]
	v_add_f32_e32 v9, v9, v15
	v_add_f32_e32 v8, v9, v8
	v_and_b32_e32 v9, 0xffff0000, v20
	v_and_b32_e32 v15, 0xffff0000, v19
	v_add_f32_e32 v9, v9, v15
	v_add_f32_e32 v8, v9, v8
	;; [unrolled: 1-line block ×3, first 2 shown]
	v_lshlrev_b32_e32 v8, 16, v41
	v_mul_f32_e32 v1, v1, v8
	v_bfe_u32 v8, v1, 16, 1
	v_add3_u32 v8, v8, v1, s33
	v_or_b32_e32 v9, 0x400000, v1
	v_cmp_u_f32_e64 s[0:1], v1, v1
	v_cndmask_b32_e64 v1, v8, v9, s[0:1]
	v_lshlrev_b32_e32 v8, 16, v42
	v_mul_f32_e32 v2, v2, v8
	v_bfe_u32 v8, v2, 16, 1
	v_add3_u32 v8, v8, v2, s33
	v_or_b32_e32 v9, 0x400000, v2
	v_cmp_u_f32_e64 s[0:1], v2, v2
	v_cndmask_b32_e64 v2, v8, v9, s[0:1]
	;; [unrolled: 7-line block ×7, first 2 shown]
	v_lshlrev_b32_e32 v8, 16, v37
	v_and_b32_e32 v2, 0xffff0000, v2
	v_and_b32_e32 v1, 0xffff0000, v1
	v_mul_f32_e32 v4, v4, v8
	v_add_f32_e32 v1, v2, v1
	v_and_b32_e32 v2, 0xffff0000, v6
	v_and_b32_e32 v3, 0xffff0000, v3
	v_bfe_u32 v8, v4, 16, 1
	v_add_f32_e32 v2, v2, v3
	v_add3_u32 v8, v8, v4, s33
	v_or_b32_e32 v9, 0x400000, v4
	v_cmp_u_f32_e64 s[0:1], v4, v4
	v_add_f32_e32 v1, v2, v1
	v_and_b32_e32 v0, 0xffff0000, v0
	v_and_b32_e32 v2, 0xffff0000, v7
	v_cndmask_b32_e64 v4, v8, v9, s[0:1]
	v_add_f32_e32 v0, v0, v2
	v_add_f32_e32 v0, v0, v1
	v_and_b32_e32 v1, 0xffff0000, v4
	v_and_b32_e32 v2, 0xffff0000, v5
	v_add_u32_e32 v22, 2, v22
	v_add_f32_e32 v1, v1, v2
	v_cmp_le_i32_e64 s[0:1], s21, v22
	v_add_f32_e32 v0, v1, v0
	s_or_b64 s[12:13], s[0:1], s[12:13]
	v_add_co_u32_e64 v11, s[0:1], 8, v11
	v_add_f32_e32 v27, v27, v0
	v_add_u32_e32 v32, 32, v32
	v_add_u32_e32 v33, 0x80, v33
	v_addc_co_u32_e64 v12, s[0:1], 0, v12, s[0:1]
	s_andn2_b64 exec, exec, s[12:13]
	s_cbranch_execz .LBB306_414
.LBB306_213:                            ; =>This Inner Loop Header: Depth=1
	global_load_dword v0, v[11:12], off
	s_waitcnt vmcnt(0)
	v_mad_i64_i32 v[15:16], s[0:1], v0, s31, v[13:14]
	v_mov_b32_e32 v0, 0
	v_add_co_u32_e64 v17, s[0:1], v15, v26
	v_addc_co_u32_e64 v18, s[0:1], 0, v16, s[0:1]
	global_load_dwordx2 v[19:20], v[17:18], off
	ds_read2_b64 v[5:8], v33 offset1:1
	ds_read2_b64 v[1:4], v33 offset0:2 offset1:3
	s_waitcnt vmcnt(0)
	v_cmp_ne_u16_sdwa s[0:1], v19, v10 src0_sel:BYTE_0 src1_sel:DWORD
	s_and_saveexec_b64 s[2:3], s[0:1]
	s_cbranch_execz .LBB306_219
; %bb.214:                              ;   in Loop: Header=BB306_213 Depth=1
	v_cmp_ne_u16_sdwa s[0:1], v19, s26 src0_sel:BYTE_0 src1_sel:DWORD
	v_bfrev_b32_e32 v0, 1
	s_and_saveexec_b64 s[14:15], s[0:1]
	s_cbranch_execz .LBB306_218
; %bb.215:                              ;   in Loop: Header=BB306_213 Depth=1
	v_and_b32_e32 v9, 0x7f, v19
	v_cmp_ne_u32_e64 s[0:1], s27, v9
	v_mov_b32_e32 v0, 0x7f800001
	s_and_saveexec_b64 s[16:17], s[0:1]
	s_cbranch_execz .LBB306_217
; %bb.216:                              ;   in Loop: Header=BB306_213 Depth=1
	v_and_b32_e32 v0, 7, v19
	v_ffbh_u32_e32 v0, v0
	v_min_u32_e32 v0, 32, v0
	v_subrev_u32_e32 v35, 28, v0
	v_cmp_gt_u32_e64 s[0:1], 8, v9
	v_lshrrev_b32_e32 v21, 3, v9
	v_cndmask_b32_e64 v9, 0, v35, s[0:1]
	v_lshlrev_b64 v[35:36], v9, v[19:20]
	v_sub_u32_e32 v0, 29, v0
	v_cndmask_b32_e64 v0, v21, v0, s[0:1]
	v_lshlrev_b32_e32 v9, 20, v35
	v_lshlrev_b32_e32 v21, 24, v19
	v_and_b32_e32 v9, 0x700000, v9
	v_and_b32_e32 v21, 0x80000000, v21
	v_lshl_add_u32 v0, v0, 23, v34
	v_or3_b32 v0, v21, v0, v9
.LBB306_217:                            ;   in Loop: Header=BB306_213 Depth=1
	s_or_b64 exec, exec, s[16:17]
.LBB306_218:                            ;   in Loop: Header=BB306_213 Depth=1
	s_or_b64 exec, exec, s[14:15]
.LBB306_219:                            ;   in Loop: Header=BB306_213 Depth=1
	s_or_b64 exec, exec, s[2:3]
	v_lshrrev_b16_e32 v9, 8, v19
	v_cmp_ne_u16_e64 s[0:1], 0, v9
	v_mov_b32_e32 v39, 0
	v_mov_b32_e32 v37, 0
	s_and_saveexec_b64 s[2:3], s[0:1]
	s_cbranch_execz .LBB306_225
; %bb.220:                              ;   in Loop: Header=BB306_213 Depth=1
	v_cmp_ne_u16_e64 s[0:1], s26, v9
	v_bfrev_b32_e32 v37, 1
	s_and_saveexec_b64 s[14:15], s[0:1]
	s_cbranch_execz .LBB306_224
; %bb.221:                              ;   in Loop: Header=BB306_213 Depth=1
	v_and_b32_e32 v21, 0x7f, v9
	v_cmp_ne_u32_e64 s[0:1], s27, v21
	v_mov_b32_e32 v37, 0x7f800001
	s_and_saveexec_b64 s[16:17], s[0:1]
	s_cbranch_execz .LBB306_223
; %bb.222:                              ;   in Loop: Header=BB306_213 Depth=1
	v_and_b32_e32 v37, 7, v9
	v_ffbh_u32_e32 v35, v37
	v_min_u32_e32 v40, 32, v35
	v_subrev_u32_e32 v35, 28, v40
	v_lshlrev_b64 v[35:36], v35, v[9:10]
	v_lshrrev_b32_e32 v38, 3, v21
	v_sub_u32_e32 v9, 29, v40
	v_and_b32_e32 v35, 7, v35
	v_cmp_gt_u32_e64 s[0:1], 8, v21
	v_cndmask_b32_e64 v9, v38, v9, s[0:1]
	v_cndmask_b32_e64 v21, v37, v35, s[0:1]
	v_lshlrev_b32_e32 v35, 16, v19
	v_lshlrev_b32_e32 v21, 20, v21
	v_and_b32_e32 v35, 0x80000000, v35
	v_lshl_add_u32 v9, v9, 23, v34
	v_or3_b32 v37, v35, v9, v21
.LBB306_223:                            ;   in Loop: Header=BB306_213 Depth=1
	s_or_b64 exec, exec, s[16:17]
.LBB306_224:                            ;   in Loop: Header=BB306_213 Depth=1
	s_or_b64 exec, exec, s[14:15]
.LBB306_225:                            ;   in Loop: Header=BB306_213 Depth=1
	s_or_b64 exec, exec, s[2:3]
	v_lshrrev_b32_e32 v9, 16, v19
	v_cmp_ne_u16_sdwa s[0:1], v9, v10 src0_sel:BYTE_0 src1_sel:DWORD
	s_and_saveexec_b64 s[2:3], s[0:1]
	s_cbranch_execz .LBB306_231
; %bb.226:                              ;   in Loop: Header=BB306_213 Depth=1
	v_cmp_ne_u16_sdwa s[0:1], v9, s26 src0_sel:BYTE_0 src1_sel:DWORD
	v_bfrev_b32_e32 v39, 1
	s_and_saveexec_b64 s[14:15], s[0:1]
	s_cbranch_execz .LBB306_230
; %bb.227:                              ;   in Loop: Header=BB306_213 Depth=1
	v_bfe_u32 v21, v19, 16, 7
	v_cmp_ne_u32_e64 s[0:1], s27, v21
	v_mov_b32_e32 v39, 0x7f800001
	s_and_saveexec_b64 s[16:17], s[0:1]
	s_cbranch_execz .LBB306_229
; %bb.228:                              ;   in Loop: Header=BB306_213 Depth=1
	v_and_b32_e32 v38, 7, v9
	v_ffbh_u32_e32 v35, v38
	v_min_u32_e32 v40, 32, v35
	v_subrev_u32_e32 v35, 28, v40
	v_lshlrev_b64 v[35:36], v35, v[9:10]
	v_lshrrev_b32_e32 v39, 3, v21
	v_sub_u32_e32 v36, 29, v40
	v_and_b32_e32 v35, 7, v35
	v_cmp_gt_u32_e64 s[0:1], 8, v21
	v_cndmask_b32_e64 v21, v39, v36, s[0:1]
	v_cndmask_b32_e64 v35, v38, v35, s[0:1]
	v_lshlrev_b32_e32 v9, 24, v9
	v_lshlrev_b32_e32 v35, 20, v35
	v_and_b32_e32 v9, 0x80000000, v9
	v_lshl_add_u32 v21, v21, 23, v34
	v_or3_b32 v39, v9, v21, v35
.LBB306_229:                            ;   in Loop: Header=BB306_213 Depth=1
	s_or_b64 exec, exec, s[16:17]
.LBB306_230:                            ;   in Loop: Header=BB306_213 Depth=1
	s_or_b64 exec, exec, s[14:15]
.LBB306_231:                            ;   in Loop: Header=BB306_213 Depth=1
	s_or_b64 exec, exec, s[2:3]
	v_cmp_lt_u32_e64 s[0:1], s7, v19
	v_mov_b32_e32 v36, 0
	v_mov_b32_e32 v38, 0
	s_and_saveexec_b64 s[2:3], s[0:1]
	s_cbranch_execz .LBB306_237
; %bb.232:                              ;   in Loop: Header=BB306_213 Depth=1
	v_lshrrev_b32_e32 v9, 24, v19
	v_cmp_ne_u32_e64 s[0:1], s26, v9
	v_bfrev_b32_e32 v38, 1
	s_and_saveexec_b64 s[14:15], s[0:1]
	s_cbranch_execz .LBB306_236
; %bb.233:                              ;   in Loop: Header=BB306_213 Depth=1
	v_bfe_u32 v21, v19, 24, 7
	v_cmp_ne_u32_e64 s[0:1], s27, v21
	v_mov_b32_e32 v38, 0x7f800001
	s_and_saveexec_b64 s[16:17], s[0:1]
	s_cbranch_execz .LBB306_235
; %bb.234:                              ;   in Loop: Header=BB306_213 Depth=1
	v_and_b32_e32 v35, 7, v9
	v_ffbh_u32_e32 v40, v35
	v_min_u32_e32 v42, 32, v40
	v_subrev_u32_e32 v40, 28, v42
	v_lshlrev_b64 v[40:41], v40, v[9:10]
	v_lshrrev_b32_e32 v38, 3, v21
	v_sub_u32_e32 v41, 29, v42
	v_and_b32_e32 v40, 7, v40
	v_cmp_gt_u32_e64 s[0:1], 8, v21
	v_cndmask_b32_e64 v21, v38, v41, s[0:1]
	v_cndmask_b32_e64 v35, v35, v40, s[0:1]
	v_lshlrev_b32_e32 v9, 24, v9
	v_lshlrev_b32_e32 v35, 20, v35
	v_and_b32_e32 v9, 0x80000000, v9
	v_lshl_add_u32 v21, v21, 23, v34
	v_or3_b32 v38, v9, v21, v35
.LBB306_235:                            ;   in Loop: Header=BB306_213 Depth=1
	s_or_b64 exec, exec, s[16:17]
.LBB306_236:                            ;   in Loop: Header=BB306_213 Depth=1
	s_or_b64 exec, exec, s[14:15]
.LBB306_237:                            ;   in Loop: Header=BB306_213 Depth=1
	s_or_b64 exec, exec, s[2:3]
	v_mov_b32_e32 v9, v20
	v_cmp_ne_u16_sdwa s[0:1], v20, v10 src0_sel:BYTE_0 src1_sel:DWORD
	s_and_saveexec_b64 s[2:3], s[0:1]
	s_cbranch_execz .LBB306_243
; %bb.238:                              ;   in Loop: Header=BB306_213 Depth=1
	v_cmp_ne_u16_sdwa s[0:1], v20, s26 src0_sel:BYTE_0 src1_sel:DWORD
	v_bfrev_b32_e32 v36, 1
	s_and_saveexec_b64 s[14:15], s[0:1]
	s_cbranch_execz .LBB306_242
; %bb.239:                              ;   in Loop: Header=BB306_213 Depth=1
	v_and_b32_e32 v21, 0x7f, v20
	v_cmp_ne_u32_e64 s[0:1], s27, v21
	v_mov_b32_e32 v36, 0x7f800001
	s_and_saveexec_b64 s[16:17], s[0:1]
	s_cbranch_execz .LBB306_241
; %bb.240:                              ;   in Loop: Header=BB306_213 Depth=1
	v_and_b32_e32 v35, 7, v20
	v_ffbh_u32_e32 v35, v35
	v_min_u32_e32 v35, 32, v35
	v_lshrrev_b32_e32 v36, 3, v21
	v_subrev_u32_e32 v40, 28, v35
	v_sub_u32_e32 v35, 29, v35
	v_cmp_gt_u32_e64 s[0:1], 8, v21
	v_cndmask_b32_e64 v21, v36, v35, s[0:1]
	v_cndmask_b32_e64 v35, 0, v40, s[0:1]
	v_lshlrev_b64 v[35:36], v35, v[9:10]
	v_lshlrev_b32_e32 v36, 24, v9
	v_lshlrev_b32_e32 v35, 20, v35
	v_and_b32_e32 v35, 0x700000, v35
	v_and_b32_e32 v36, 0x80000000, v36
	v_lshl_add_u32 v21, v21, 23, v34
	v_or3_b32 v36, v36, v21, v35
.LBB306_241:                            ;   in Loop: Header=BB306_213 Depth=1
	s_or_b64 exec, exec, s[16:17]
.LBB306_242:                            ;   in Loop: Header=BB306_213 Depth=1
	s_or_b64 exec, exec, s[14:15]
.LBB306_243:                            ;   in Loop: Header=BB306_213 Depth=1
	s_or_b64 exec, exec, s[2:3]
	v_lshrrev_b16_e32 v21, 8, v9
	v_cmp_ne_u16_e64 s[0:1], 0, v21
	v_mov_b32_e32 v40, 0
	v_mov_b32_e32 v35, 0
	s_and_saveexec_b64 s[2:3], s[0:1]
	s_cbranch_execz .LBB306_249
; %bb.244:                              ;   in Loop: Header=BB306_213 Depth=1
	v_cmp_ne_u16_e64 s[0:1], s26, v21
	v_bfrev_b32_e32 v35, 1
	s_and_saveexec_b64 s[14:15], s[0:1]
	s_cbranch_execz .LBB306_248
; %bb.245:                              ;   in Loop: Header=BB306_213 Depth=1
	v_and_b32_e32 v41, 0x7f, v21
	v_cmp_ne_u32_e64 s[0:1], s27, v41
	v_mov_b32_e32 v35, 0x7f800001
	s_and_saveexec_b64 s[16:17], s[0:1]
	s_cbranch_execz .LBB306_247
; %bb.246:                              ;   in Loop: Header=BB306_213 Depth=1
	v_and_b32_e32 v35, 7, v21
	v_ffbh_u32_e32 v42, v35
	v_min_u32_e32 v45, 32, v42
	v_subrev_u32_e32 v42, 28, v45
	v_lshlrev_b64 v[42:43], v42, v[21:22]
	v_lshrrev_b32_e32 v44, 3, v41
	v_sub_u32_e32 v21, 29, v45
	v_and_b32_e32 v42, 7, v42
	v_cmp_gt_u32_e64 s[0:1], 8, v41
	v_cndmask_b32_e64 v21, v44, v21, s[0:1]
	v_cndmask_b32_e64 v35, v35, v42, s[0:1]
	v_lshlrev_b32_e32 v9, 16, v9
	v_lshlrev_b32_e32 v35, 20, v35
	v_and_b32_e32 v9, 0x80000000, v9
	v_lshl_add_u32 v21, v21, 23, v34
	v_or3_b32 v35, v9, v21, v35
.LBB306_247:                            ;   in Loop: Header=BB306_213 Depth=1
	s_or_b64 exec, exec, s[16:17]
.LBB306_248:                            ;   in Loop: Header=BB306_213 Depth=1
	s_or_b64 exec, exec, s[14:15]
.LBB306_249:                            ;   in Loop: Header=BB306_213 Depth=1
	s_or_b64 exec, exec, s[2:3]
	v_lshrrev_b32_e32 v9, 16, v20
	v_cmp_ne_u16_sdwa s[0:1], v9, v10 src0_sel:BYTE_0 src1_sel:DWORD
	s_and_saveexec_b64 s[2:3], s[0:1]
	s_cbranch_execz .LBB306_255
; %bb.250:                              ;   in Loop: Header=BB306_213 Depth=1
	v_cmp_ne_u16_sdwa s[0:1], v9, s26 src0_sel:BYTE_0 src1_sel:DWORD
	v_bfrev_b32_e32 v40, 1
	s_and_saveexec_b64 s[14:15], s[0:1]
	s_cbranch_execz .LBB306_254
; %bb.251:                              ;   in Loop: Header=BB306_213 Depth=1
	v_bfe_u32 v21, v20, 16, 7
	v_cmp_ne_u32_e64 s[0:1], s27, v21
	v_mov_b32_e32 v40, 0x7f800001
	s_and_saveexec_b64 s[16:17], s[0:1]
	s_cbranch_execz .LBB306_253
; %bb.252:                              ;   in Loop: Header=BB306_213 Depth=1
	v_and_b32_e32 v42, 7, v9
	v_ffbh_u32_e32 v40, v42
	v_min_u32_e32 v44, 32, v40
	v_subrev_u32_e32 v40, 28, v44
	v_lshlrev_b64 v[40:41], v40, v[9:10]
	v_lshrrev_b32_e32 v43, 3, v21
	v_sub_u32_e32 v41, 29, v44
	v_and_b32_e32 v40, 7, v40
	v_cmp_gt_u32_e64 s[0:1], 8, v21
	v_cndmask_b32_e64 v21, v43, v41, s[0:1]
	v_cndmask_b32_e64 v40, v42, v40, s[0:1]
	v_lshlrev_b32_e32 v9, 24, v9
	v_lshlrev_b32_e32 v40, 20, v40
	v_and_b32_e32 v9, 0x80000000, v9
	v_lshl_add_u32 v21, v21, 23, v34
	v_or3_b32 v40, v9, v21, v40
.LBB306_253:                            ;   in Loop: Header=BB306_213 Depth=1
	s_or_b64 exec, exec, s[16:17]
.LBB306_254:                            ;   in Loop: Header=BB306_213 Depth=1
	s_or_b64 exec, exec, s[14:15]
.LBB306_255:                            ;   in Loop: Header=BB306_213 Depth=1
	s_or_b64 exec, exec, s[2:3]
	v_cmp_lt_u64_e64 s[0:1], s[6:7], v[19:20]
	v_mov_b32_e32 v19, 0
	s_and_saveexec_b64 s[2:3], s[0:1]
	s_cbranch_execz .LBB306_261
; %bb.256:                              ;   in Loop: Header=BB306_213 Depth=1
	v_lshrrev_b32_e32 v9, 24, v20
	v_cmp_ne_u32_e64 s[0:1], s26, v9
	v_bfrev_b32_e32 v19, 1
	s_and_saveexec_b64 s[14:15], s[0:1]
	s_cbranch_execz .LBB306_260
; %bb.257:                              ;   in Loop: Header=BB306_213 Depth=1
	v_bfe_u32 v20, v20, 24, 7
	v_cmp_ne_u32_e64 s[0:1], s27, v20
	v_mov_b32_e32 v19, 0x7f800001
	s_and_saveexec_b64 s[16:17], s[0:1]
	s_cbranch_execz .LBB306_259
; %bb.258:                              ;   in Loop: Header=BB306_213 Depth=1
	v_and_b32_e32 v19, 7, v9
	v_ffbh_u32_e32 v41, v19
	v_min_u32_e32 v43, 32, v41
	v_subrev_u32_e32 v41, 28, v43
	v_lshlrev_b64 v[41:42], v41, v[9:10]
	v_lshrrev_b32_e32 v21, 3, v20
	v_sub_u32_e32 v42, 29, v43
	v_and_b32_e32 v41, 7, v41
	v_cmp_gt_u32_e64 s[0:1], 8, v20
	v_cndmask_b32_e64 v20, v21, v42, s[0:1]
	v_cndmask_b32_e64 v19, v19, v41, s[0:1]
	v_lshlrev_b32_e32 v9, 24, v9
	v_lshlrev_b32_e32 v19, 20, v19
	v_and_b32_e32 v9, 0x80000000, v9
	v_lshl_add_u32 v20, v20, 23, v34
	v_or3_b32 v19, v9, v20, v19
.LBB306_259:                            ;   in Loop: Header=BB306_213 Depth=1
	s_or_b64 exec, exec, s[16:17]
.LBB306_260:                            ;   in Loop: Header=BB306_213 Depth=1
	s_or_b64 exec, exec, s[14:15]
.LBB306_261:                            ;   in Loop: Header=BB306_213 Depth=1
	s_or_b64 exec, exec, s[2:3]
	s_waitcnt lgkmcnt(0)
	v_mul_f32_e32 v9, s29, v35
	v_bfe_u32 v20, v9, 16, 1
	v_add3_u32 v20, v20, v9, s33
	v_or_b32_e32 v21, 0x400000, v9
	v_cmp_u_f32_e64 s[2:3], v9, v9
	v_cndmask_b32_e64 v9, v20, v21, s[2:3]
	v_lshrrev_b32_e32 v35, 16, v9
	v_mul_f32_e32 v9, s29, v36
	v_bfe_u32 v20, v9, 16, 1
	v_add3_u32 v20, v20, v9, s33
	v_or_b32_e32 v21, 0x400000, v9
	v_cmp_u_f32_e64 s[2:3], v9, v9
	v_cndmask_b32_e64 v9, v20, v21, s[2:3]
	v_lshrrev_b32_e32 v36, 16, v9
	;; [unrolled: 7-line block ×4, first 2 shown]
	v_mul_f32_e32 v9, s29, v37
	v_bfe_u32 v20, v9, 16, 1
	v_add3_u32 v20, v20, v9, s33
	v_or_b32_e32 v21, 0x400000, v9
	v_cmp_u_f32_e64 s[2:3], v9, v9
	v_cndmask_b32_e64 v9, v20, v21, s[2:3]
	v_mul_f32_e32 v0, s29, v0
	v_lshrrev_b32_e32 v41, 16, v9
	v_bfe_u32 v9, v0, 16, 1
	v_add3_u32 v9, v9, v0, s33
	v_or_b32_e32 v20, 0x400000, v0
	v_cmp_u_f32_e64 s[2:3], v0, v0
	v_cndmask_b32_e64 v0, v9, v20, s[2:3]
	v_lshrrev_b32_e32 v42, 16, v0
	v_mul_f32_e32 v0, s29, v40
	v_bfe_u32 v9, v0, 16, 1
	v_add3_u32 v9, v9, v0, s33
	v_or_b32_e32 v20, 0x400000, v0
	v_cmp_u_f32_e64 s[2:3], v0, v0
	v_cndmask_b32_e64 v0, v9, v20, s[2:3]
	v_lshrrev_b32_e32 v37, 16, v0
	v_mul_f32_e32 v0, s29, v19
	v_bfe_u32 v9, v0, 16, 1
	v_add3_u32 v9, v9, v0, s33
	v_or_b32_e32 v19, 0x400000, v0
	v_cmp_u_f32_e64 s[2:3], v0, v0
	v_cndmask_b32_e64 v0, v9, v19, s[2:3]
	v_add_u32_e32 v43, -7, v32
	v_cmp_eq_u32_e64 s[0:1], s28, v22
	v_lshrrev_b32_e32 v40, 16, v0
	s_and_saveexec_b64 s[14:15], s[0:1]
	s_cbranch_execz .LBB306_263
; %bb.262:                              ;   in Loop: Header=BB306_213 Depth=1
	v_cmp_gt_i32_e64 s[2:3], s30, v43
	v_add_u32_e32 v0, -6, v32
	v_cndmask_b32_e64 v42, 0, v42, s[2:3]
	v_cmp_gt_i32_e64 s[2:3], s30, v0
	v_add_u32_e32 v0, -5, v32
	v_cndmask_b32_e64 v41, 0, v41, s[2:3]
	;; [unrolled: 3-line block ×6, first 2 shown]
	v_cmp_gt_i32_e64 s[2:3], s30, v0
	v_cndmask_b32_e64 v37, 0, v37, s[2:3]
	v_cmp_gt_i32_e64 s[2:3], s30, v32
	v_cndmask_b32_e64 v40, 0, v40, s[2:3]
.LBB306_263:                            ;   in Loop: Header=BB306_213 Depth=1
	s_or_b64 exec, exec, s[14:15]
	global_load_dwordx2 v[19:20], v[17:18], off offset:512
	v_mov_b32_e32 v44, 0
	v_mov_b32_e32 v0, 0
	s_waitcnt vmcnt(0)
	v_cmp_ne_u16_sdwa s[2:3], v19, v10 src0_sel:BYTE_0 src1_sel:DWORD
	s_and_saveexec_b64 s[14:15], s[2:3]
	s_cbranch_execz .LBB306_269
; %bb.264:                              ;   in Loop: Header=BB306_213 Depth=1
	v_cmp_ne_u16_sdwa s[2:3], v19, s26 src0_sel:BYTE_0 src1_sel:DWORD
	v_bfrev_b32_e32 v0, 1
	s_and_saveexec_b64 s[16:17], s[2:3]
	s_cbranch_execz .LBB306_268
; %bb.265:                              ;   in Loop: Header=BB306_213 Depth=1
	v_and_b32_e32 v9, 0x7f, v19
	v_cmp_ne_u32_e64 s[2:3], s27, v9
	v_mov_b32_e32 v0, 0x7f800001
	s_and_saveexec_b64 s[18:19], s[2:3]
	s_cbranch_execz .LBB306_267
; %bb.266:                              ;   in Loop: Header=BB306_213 Depth=1
	v_and_b32_e32 v0, 7, v19
	v_ffbh_u32_e32 v0, v0
	v_min_u32_e32 v0, 32, v0
	v_subrev_u32_e32 v45, 28, v0
	v_cmp_gt_u32_e64 s[2:3], 8, v9
	v_lshrrev_b32_e32 v21, 3, v9
	v_cndmask_b32_e64 v9, 0, v45, s[2:3]
	v_lshlrev_b64 v[45:46], v9, v[19:20]
	v_sub_u32_e32 v0, 29, v0
	v_cndmask_b32_e64 v0, v21, v0, s[2:3]
	v_lshlrev_b32_e32 v9, 20, v45
	v_lshlrev_b32_e32 v21, 24, v19
	v_and_b32_e32 v9, 0x700000, v9
	v_and_b32_e32 v21, 0x80000000, v21
	v_lshl_add_u32 v0, v0, 23, v34
	v_or3_b32 v0, v21, v0, v9
.LBB306_267:                            ;   in Loop: Header=BB306_213 Depth=1
	s_or_b64 exec, exec, s[18:19]
.LBB306_268:                            ;   in Loop: Header=BB306_213 Depth=1
	s_or_b64 exec, exec, s[16:17]
.LBB306_269:                            ;   in Loop: Header=BB306_213 Depth=1
	s_or_b64 exec, exec, s[14:15]
	v_lshrrev_b16_e32 v9, 8, v19
	v_cmp_ne_u16_e64 s[2:3], 0, v9
	s_and_saveexec_b64 s[14:15], s[2:3]
	s_cbranch_execz .LBB306_275
; %bb.270:                              ;   in Loop: Header=BB306_213 Depth=1
	v_cmp_ne_u16_e64 s[2:3], s26, v9
	v_bfrev_b32_e32 v44, 1
	s_and_saveexec_b64 s[16:17], s[2:3]
	s_cbranch_execz .LBB306_274
; %bb.271:                              ;   in Loop: Header=BB306_213 Depth=1
	v_and_b32_e32 v21, 0x7f, v9
	v_cmp_ne_u32_e64 s[2:3], s27, v21
	v_mov_b32_e32 v44, 0x7f800001
	s_and_saveexec_b64 s[18:19], s[2:3]
	s_cbranch_execz .LBB306_273
; %bb.272:                              ;   in Loop: Header=BB306_213 Depth=1
	v_and_b32_e32 v46, 7, v9
	v_ffbh_u32_e32 v44, v46
	v_min_u32_e32 v48, 32, v44
	v_subrev_u32_e32 v44, 28, v48
	v_lshlrev_b64 v[44:45], v44, v[9:10]
	v_lshrrev_b32_e32 v47, 3, v21
	v_sub_u32_e32 v9, 29, v48
	v_and_b32_e32 v44, 7, v44
	v_cmp_gt_u32_e64 s[2:3], 8, v21
	v_cndmask_b32_e64 v9, v47, v9, s[2:3]
	v_cndmask_b32_e64 v21, v46, v44, s[2:3]
	v_lshlrev_b32_e32 v44, 16, v19
	v_lshlrev_b32_e32 v21, 20, v21
	v_and_b32_e32 v44, 0x80000000, v44
	v_lshl_add_u32 v9, v9, 23, v34
	v_or3_b32 v44, v44, v9, v21
.LBB306_273:                            ;   in Loop: Header=BB306_213 Depth=1
	s_or_b64 exec, exec, s[18:19]
.LBB306_274:                            ;   in Loop: Header=BB306_213 Depth=1
	s_or_b64 exec, exec, s[16:17]
.LBB306_275:                            ;   in Loop: Header=BB306_213 Depth=1
	s_or_b64 exec, exec, s[14:15]
	v_lshrrev_b32_e32 v9, 16, v19
	v_cmp_ne_u16_sdwa s[2:3], v9, v10 src0_sel:BYTE_0 src1_sel:DWORD
	v_mov_b32_e32 v45, 0
	v_mov_b32_e32 v46, 0
	s_and_saveexec_b64 s[14:15], s[2:3]
	s_cbranch_execz .LBB306_281
; %bb.276:                              ;   in Loop: Header=BB306_213 Depth=1
	v_cmp_ne_u16_sdwa s[2:3], v9, s26 src0_sel:BYTE_0 src1_sel:DWORD
	v_bfrev_b32_e32 v46, 1
	s_and_saveexec_b64 s[16:17], s[2:3]
	s_cbranch_execz .LBB306_280
; %bb.277:                              ;   in Loop: Header=BB306_213 Depth=1
	v_bfe_u32 v21, v19, 16, 7
	v_cmp_ne_u32_e64 s[2:3], s27, v21
	v_mov_b32_e32 v46, 0x7f800001
	s_and_saveexec_b64 s[18:19], s[2:3]
	s_cbranch_execz .LBB306_279
; %bb.278:                              ;   in Loop: Header=BB306_213 Depth=1
	v_and_b32_e32 v48, 7, v9
	v_ffbh_u32_e32 v46, v48
	v_min_u32_e32 v50, 32, v46
	v_subrev_u32_e32 v46, 28, v50
	v_lshlrev_b64 v[46:47], v46, v[9:10]
	v_lshrrev_b32_e32 v49, 3, v21
	v_sub_u32_e32 v47, 29, v50
	v_and_b32_e32 v46, 7, v46
	v_cmp_gt_u32_e64 s[2:3], 8, v21
	v_cndmask_b32_e64 v21, v49, v47, s[2:3]
	v_cndmask_b32_e64 v46, v48, v46, s[2:3]
	v_lshlrev_b32_e32 v9, 24, v9
	v_lshlrev_b32_e32 v46, 20, v46
	v_and_b32_e32 v9, 0x80000000, v9
	v_lshl_add_u32 v21, v21, 23, v34
	v_or3_b32 v46, v9, v21, v46
.LBB306_279:                            ;   in Loop: Header=BB306_213 Depth=1
	s_or_b64 exec, exec, s[18:19]
.LBB306_280:                            ;   in Loop: Header=BB306_213 Depth=1
	s_or_b64 exec, exec, s[16:17]
.LBB306_281:                            ;   in Loop: Header=BB306_213 Depth=1
	s_or_b64 exec, exec, s[14:15]
	v_cmp_lt_u32_e64 s[2:3], s7, v19
	s_and_saveexec_b64 s[14:15], s[2:3]
	s_cbranch_execz .LBB306_287
; %bb.282:                              ;   in Loop: Header=BB306_213 Depth=1
	v_lshrrev_b32_e32 v9, 24, v19
	v_cmp_ne_u32_e64 s[2:3], s26, v9
	v_bfrev_b32_e32 v45, 1
	s_and_saveexec_b64 s[16:17], s[2:3]
	s_cbranch_execz .LBB306_286
; %bb.283:                              ;   in Loop: Header=BB306_213 Depth=1
	v_bfe_u32 v21, v19, 24, 7
	v_cmp_ne_u32_e64 s[2:3], s27, v21
	v_mov_b32_e32 v45, 0x7f800001
	s_and_saveexec_b64 s[18:19], s[2:3]
	s_cbranch_execz .LBB306_285
; %bb.284:                              ;   in Loop: Header=BB306_213 Depth=1
	v_and_b32_e32 v45, 7, v9
	v_ffbh_u32_e32 v47, v45
	v_min_u32_e32 v50, 32, v47
	v_subrev_u32_e32 v47, 28, v50
	v_lshlrev_b64 v[47:48], v47, v[9:10]
	v_lshrrev_b32_e32 v49, 3, v21
	v_sub_u32_e32 v48, 29, v50
	v_and_b32_e32 v47, 7, v47
	v_cmp_gt_u32_e64 s[2:3], 8, v21
	v_cndmask_b32_e64 v21, v49, v48, s[2:3]
	v_cndmask_b32_e64 v45, v45, v47, s[2:3]
	v_lshlrev_b32_e32 v9, 24, v9
	v_lshlrev_b32_e32 v45, 20, v45
	v_and_b32_e32 v9, 0x80000000, v9
	v_lshl_add_u32 v21, v21, 23, v34
	v_or3_b32 v45, v9, v21, v45
.LBB306_285:                            ;   in Loop: Header=BB306_213 Depth=1
	s_or_b64 exec, exec, s[18:19]
.LBB306_286:                            ;   in Loop: Header=BB306_213 Depth=1
	s_or_b64 exec, exec, s[16:17]
.LBB306_287:                            ;   in Loop: Header=BB306_213 Depth=1
	s_or_b64 exec, exec, s[14:15]
	v_mov_b32_e32 v9, v20
	v_cmp_ne_u16_sdwa s[2:3], v20, v10 src0_sel:BYTE_0 src1_sel:DWORD
	v_mov_b32_e32 v48, 0
	v_mov_b32_e32 v47, 0
	s_and_saveexec_b64 s[14:15], s[2:3]
	s_cbranch_execz .LBB306_293
; %bb.288:                              ;   in Loop: Header=BB306_213 Depth=1
	v_cmp_ne_u16_sdwa s[2:3], v20, s26 src0_sel:BYTE_0 src1_sel:DWORD
	v_bfrev_b32_e32 v47, 1
	s_and_saveexec_b64 s[16:17], s[2:3]
	s_cbranch_execz .LBB306_292
; %bb.289:                              ;   in Loop: Header=BB306_213 Depth=1
	v_and_b32_e32 v21, 0x7f, v20
	v_cmp_ne_u32_e64 s[2:3], s27, v21
	v_mov_b32_e32 v47, 0x7f800001
	s_and_saveexec_b64 s[18:19], s[2:3]
	s_cbranch_execz .LBB306_291
; %bb.290:                              ;   in Loop: Header=BB306_213 Depth=1
	v_and_b32_e32 v47, 7, v20
	v_ffbh_u32_e32 v47, v47
	v_min_u32_e32 v47, 32, v47
	v_lshrrev_b32_e32 v49, 3, v21
	v_subrev_u32_e32 v50, 28, v47
	v_sub_u32_e32 v47, 29, v47
	v_cmp_gt_u32_e64 s[2:3], 8, v21
	v_cndmask_b32_e64 v21, v49, v47, s[2:3]
	v_cndmask_b32_e64 v47, 0, v50, s[2:3]
	v_lshlrev_b64 v[49:50], v47, v[9:10]
	v_lshl_add_u32 v21, v21, 23, v34
	v_lshlrev_b32_e32 v47, 20, v49
	v_lshlrev_b32_e32 v49, 24, v9
	v_and_b32_e32 v47, 0x700000, v47
	v_and_b32_e32 v49, 0x80000000, v49
	v_or3_b32 v47, v49, v21, v47
.LBB306_291:                            ;   in Loop: Header=BB306_213 Depth=1
	s_or_b64 exec, exec, s[18:19]
.LBB306_292:                            ;   in Loop: Header=BB306_213 Depth=1
	s_or_b64 exec, exec, s[16:17]
.LBB306_293:                            ;   in Loop: Header=BB306_213 Depth=1
	s_or_b64 exec, exec, s[14:15]
	v_lshrrev_b16_e32 v21, 8, v9
	v_cmp_ne_u16_e64 s[2:3], 0, v21
	s_and_saveexec_b64 s[14:15], s[2:3]
	s_cbranch_execz .LBB306_299
; %bb.294:                              ;   in Loop: Header=BB306_213 Depth=1
	v_cmp_ne_u16_e64 s[2:3], s26, v21
	v_bfrev_b32_e32 v48, 1
	s_and_saveexec_b64 s[16:17], s[2:3]
	s_cbranch_execz .LBB306_298
; %bb.295:                              ;   in Loop: Header=BB306_213 Depth=1
	v_and_b32_e32 v49, 0x7f, v21
	v_cmp_ne_u32_e64 s[2:3], s27, v49
	v_mov_b32_e32 v48, 0x7f800001
	s_and_saveexec_b64 s[18:19], s[2:3]
	s_cbranch_execz .LBB306_297
; %bb.296:                              ;   in Loop: Header=BB306_213 Depth=1
	v_and_b32_e32 v48, 7, v21
	v_ffbh_u32_e32 v50, v48
	v_min_u32_e32 v53, 32, v50
	v_subrev_u32_e32 v50, 28, v53
	v_lshlrev_b64 v[50:51], v50, v[21:22]
	v_lshrrev_b32_e32 v52, 3, v49
	v_sub_u32_e32 v21, 29, v53
	v_and_b32_e32 v50, 7, v50
	v_cmp_gt_u32_e64 s[2:3], 8, v49
	v_cndmask_b32_e64 v21, v52, v21, s[2:3]
	v_cndmask_b32_e64 v48, v48, v50, s[2:3]
	v_lshlrev_b32_e32 v9, 16, v9
	v_lshlrev_b32_e32 v48, 20, v48
	v_and_b32_e32 v9, 0x80000000, v9
	v_lshl_add_u32 v21, v21, 23, v34
	v_or3_b32 v48, v9, v21, v48
.LBB306_297:                            ;   in Loop: Header=BB306_213 Depth=1
	s_or_b64 exec, exec, s[18:19]
.LBB306_298:                            ;   in Loop: Header=BB306_213 Depth=1
	s_or_b64 exec, exec, s[16:17]
.LBB306_299:                            ;   in Loop: Header=BB306_213 Depth=1
	s_or_b64 exec, exec, s[14:15]
	v_lshrrev_b32_e32 v9, 16, v20
	v_cmp_ne_u16_sdwa s[2:3], v9, v10 src0_sel:BYTE_0 src1_sel:DWORD
	v_mov_b32_e32 v50, 0
	v_mov_b32_e32 v51, 0
	s_and_saveexec_b64 s[14:15], s[2:3]
	s_cbranch_execz .LBB306_305
; %bb.300:                              ;   in Loop: Header=BB306_213 Depth=1
	v_cmp_ne_u16_sdwa s[2:3], v9, s26 src0_sel:BYTE_0 src1_sel:DWORD
	v_bfrev_b32_e32 v51, 1
	s_and_saveexec_b64 s[16:17], s[2:3]
	s_cbranch_execz .LBB306_304
; %bb.301:                              ;   in Loop: Header=BB306_213 Depth=1
	v_bfe_u32 v21, v20, 16, 7
	v_cmp_ne_u32_e64 s[2:3], s27, v21
	v_mov_b32_e32 v51, 0x7f800001
	s_and_saveexec_b64 s[18:19], s[2:3]
	s_cbranch_execz .LBB306_303
; %bb.302:                              ;   in Loop: Header=BB306_213 Depth=1
	v_and_b32_e32 v49, 7, v9
	v_ffbh_u32_e32 v51, v49
	v_min_u32_e32 v54, 32, v51
	v_subrev_u32_e32 v51, 28, v54
	v_lshlrev_b64 v[51:52], v51, v[9:10]
	v_lshrrev_b32_e32 v53, 3, v21
	v_sub_u32_e32 v52, 29, v54
	v_and_b32_e32 v51, 7, v51
	v_cmp_gt_u32_e64 s[2:3], 8, v21
	v_cndmask_b32_e64 v21, v53, v52, s[2:3]
	v_cndmask_b32_e64 v49, v49, v51, s[2:3]
	v_lshlrev_b32_e32 v9, 24, v9
	v_lshlrev_b32_e32 v49, 20, v49
	v_and_b32_e32 v9, 0x80000000, v9
	v_lshl_add_u32 v21, v21, 23, v34
	v_or3_b32 v51, v9, v21, v49
.LBB306_303:                            ;   in Loop: Header=BB306_213 Depth=1
	s_or_b64 exec, exec, s[18:19]
.LBB306_304:                            ;   in Loop: Header=BB306_213 Depth=1
	s_or_b64 exec, exec, s[16:17]
.LBB306_305:                            ;   in Loop: Header=BB306_213 Depth=1
	s_or_b64 exec, exec, s[14:15]
	v_cmp_lt_u64_e64 s[2:3], s[6:7], v[19:20]
	s_and_saveexec_b64 s[14:15], s[2:3]
	s_cbranch_execz .LBB306_311
; %bb.306:                              ;   in Loop: Header=BB306_213 Depth=1
	v_lshrrev_b32_e32 v9, 24, v20
	v_cmp_ne_u32_e64 s[2:3], s26, v9
	v_bfrev_b32_e32 v50, 1
	s_and_saveexec_b64 s[16:17], s[2:3]
	s_cbranch_execz .LBB306_310
; %bb.307:                              ;   in Loop: Header=BB306_213 Depth=1
	v_bfe_u32 v19, v20, 24, 7
	v_cmp_ne_u32_e64 s[2:3], s27, v19
	v_mov_b32_e32 v50, 0x7f800001
	s_and_saveexec_b64 s[18:19], s[2:3]
	s_cbranch_execz .LBB306_309
; %bb.308:                              ;   in Loop: Header=BB306_213 Depth=1
	v_and_b32_e32 v49, 7, v9
	v_ffbh_u32_e32 v20, v49
	v_min_u32_e32 v52, 32, v20
	v_subrev_u32_e32 v20, 28, v52
	v_lshlrev_b64 v[20:21], v20, v[9:10]
	v_lshrrev_b32_e32 v50, 3, v19
	v_sub_u32_e32 v21, 29, v52
	v_and_b32_e32 v20, 7, v20
	v_cmp_gt_u32_e64 s[2:3], 8, v19
	v_cndmask_b32_e64 v19, v50, v21, s[2:3]
	v_cndmask_b32_e64 v20, v49, v20, s[2:3]
	v_lshlrev_b32_e32 v9, 24, v9
	v_lshlrev_b32_e32 v20, 20, v20
	v_and_b32_e32 v9, 0x80000000, v9
	v_lshl_add_u32 v19, v19, 23, v34
	v_or3_b32 v50, v9, v19, v20
.LBB306_309:                            ;   in Loop: Header=BB306_213 Depth=1
	s_or_b64 exec, exec, s[18:19]
.LBB306_310:                            ;   in Loop: Header=BB306_213 Depth=1
	s_or_b64 exec, exec, s[16:17]
.LBB306_311:                            ;   in Loop: Header=BB306_213 Depth=1
	s_or_b64 exec, exec, s[14:15]
	v_mul_f32_e32 v9, s29, v48
	v_bfe_u32 v19, v9, 16, 1
	v_add3_u32 v19, v19, v9, s33
	v_or_b32_e32 v20, 0x400000, v9
	v_cmp_u_f32_e64 s[2:3], v9, v9
	v_cndmask_b32_e64 v9, v19, v20, s[2:3]
	v_lshrrev_b32_e32 v20, 16, v9
	v_mul_f32_e32 v9, s29, v47
	v_bfe_u32 v19, v9, 16, 1
	v_add3_u32 v19, v19, v9, s33
	v_or_b32_e32 v21, 0x400000, v9
	v_cmp_u_f32_e64 s[2:3], v9, v9
	v_cndmask_b32_e64 v9, v19, v21, s[2:3]
	v_lshrrev_b32_e32 v21, 16, v9
	;; [unrolled: 7-line block ×4, first 2 shown]
	v_mul_f32_e32 v9, s29, v44
	v_bfe_u32 v19, v9, 16, 1
	v_add3_u32 v19, v19, v9, s33
	v_or_b32_e32 v44, 0x400000, v9
	v_cmp_u_f32_e64 s[2:3], v9, v9
	v_cndmask_b32_e64 v9, v19, v44, s[2:3]
	v_mul_f32_e32 v0, s29, v0
	v_lshrrev_b32_e32 v48, 16, v9
	v_bfe_u32 v9, v0, 16, 1
	v_add3_u32 v9, v9, v0, s33
	v_or_b32_e32 v19, 0x400000, v0
	v_cmp_u_f32_e64 s[2:3], v0, v0
	v_cndmask_b32_e64 v0, v9, v19, s[2:3]
	v_lshrrev_b32_e32 v49, 16, v0
	v_mul_f32_e32 v0, s29, v51
	v_bfe_u32 v9, v0, 16, 1
	v_add3_u32 v9, v9, v0, s33
	v_or_b32_e32 v19, 0x400000, v0
	v_cmp_u_f32_e64 s[2:3], v0, v0
	v_cndmask_b32_e64 v0, v9, v19, s[2:3]
	v_lshrrev_b32_e32 v44, 16, v0
	v_mul_f32_e32 v0, s29, v50
	v_bfe_u32 v9, v0, 16, 1
	v_add3_u32 v9, v9, v0, s33
	v_or_b32_e32 v19, 0x400000, v0
	v_cmp_u_f32_e64 s[2:3], v0, v0
	v_cndmask_b32_e64 v0, v9, v19, s[2:3]
	v_lshrrev_b32_e32 v47, 16, v0
	s_and_saveexec_b64 s[14:15], s[0:1]
	s_cbranch_execz .LBB306_313
; %bb.312:                              ;   in Loop: Header=BB306_213 Depth=1
	v_cmp_gt_i32_e64 s[2:3], s30, v43
	v_add_u32_e32 v0, -6, v32
	v_cndmask_b32_e64 v49, 0, v49, s[2:3]
	v_cmp_gt_i32_e64 s[2:3], s30, v0
	v_add_u32_e32 v0, -5, v32
	v_cndmask_b32_e64 v48, 0, v48, s[2:3]
	;; [unrolled: 3-line block ×6, first 2 shown]
	v_cmp_gt_i32_e64 s[2:3], s30, v0
	v_cndmask_b32_e64 v44, 0, v44, s[2:3]
	v_cmp_gt_i32_e64 s[2:3], s30, v32
	v_cndmask_b32_e64 v47, 0, v47, s[2:3]
.LBB306_313:                            ;   in Loop: Header=BB306_213 Depth=1
	s_or_b64 exec, exec, s[14:15]
	global_load_dwordx2 v[17:18], v[17:18], off offset:1024
	v_mov_b32_e32 v52, 0
	v_mov_b32_e32 v51, 0
	s_waitcnt vmcnt(0)
	v_cmp_ne_u16_sdwa s[2:3], v17, v10 src0_sel:BYTE_0 src1_sel:DWORD
	s_and_saveexec_b64 s[14:15], s[2:3]
	s_cbranch_execz .LBB306_319
; %bb.314:                              ;   in Loop: Header=BB306_213 Depth=1
	v_cmp_ne_u16_sdwa s[2:3], v17, s26 src0_sel:BYTE_0 src1_sel:DWORD
	v_bfrev_b32_e32 v51, 1
	s_and_saveexec_b64 s[16:17], s[2:3]
	s_cbranch_execz .LBB306_318
; %bb.315:                              ;   in Loop: Header=BB306_213 Depth=1
	v_and_b32_e32 v0, 0x7f, v17
	v_cmp_ne_u32_e64 s[2:3], s27, v0
	v_mov_b32_e32 v51, 0x7f800001
	s_and_saveexec_b64 s[18:19], s[2:3]
	s_cbranch_execz .LBB306_317
; %bb.316:                              ;   in Loop: Header=BB306_213 Depth=1
	v_and_b32_e32 v9, 7, v17
	v_ffbh_u32_e32 v9, v9
	v_min_u32_e32 v9, 32, v9
	v_lshrrev_b32_e32 v19, 3, v0
	v_subrev_u32_e32 v50, 28, v9
	v_sub_u32_e32 v9, 29, v9
	v_cmp_gt_u32_e64 s[2:3], 8, v0
	v_cndmask_b32_e64 v0, v19, v9, s[2:3]
	v_cndmask_b32_e64 v9, 0, v50, s[2:3]
	v_lshlrev_b64 v[50:51], v9, v[17:18]
	v_lshlrev_b32_e32 v19, 24, v17
	v_lshlrev_b32_e32 v9, 20, v50
	v_and_b32_e32 v9, 0x700000, v9
	v_and_b32_e32 v19, 0x80000000, v19
	v_lshl_add_u32 v0, v0, 23, v34
	v_or3_b32 v51, v19, v0, v9
.LBB306_317:                            ;   in Loop: Header=BB306_213 Depth=1
	s_or_b64 exec, exec, s[18:19]
.LBB306_318:                            ;   in Loop: Header=BB306_213 Depth=1
	s_or_b64 exec, exec, s[16:17]
.LBB306_319:                            ;   in Loop: Header=BB306_213 Depth=1
	s_or_b64 exec, exec, s[14:15]
	v_lshrrev_b16_e32 v9, 8, v17
	v_cmp_ne_u16_e64 s[2:3], 0, v9
	s_and_saveexec_b64 s[14:15], s[2:3]
	s_cbranch_execz .LBB306_325
; %bb.320:                              ;   in Loop: Header=BB306_213 Depth=1
	v_cmp_ne_u16_e64 s[2:3], s26, v9
	v_bfrev_b32_e32 v52, 1
	s_and_saveexec_b64 s[16:17], s[2:3]
	s_cbranch_execz .LBB306_324
; %bb.321:                              ;   in Loop: Header=BB306_213 Depth=1
	v_and_b32_e32 v0, 0x7f, v9
	v_cmp_ne_u32_e64 s[2:3], s27, v0
	v_mov_b32_e32 v52, 0x7f800001
	s_and_saveexec_b64 s[18:19], s[2:3]
	s_cbranch_execz .LBB306_323
; %bb.322:                              ;   in Loop: Header=BB306_213 Depth=1
	v_and_b32_e32 v19, 7, v9
	v_ffbh_u32_e32 v52, v19
	v_min_u32_e32 v54, 32, v52
	v_subrev_u32_e32 v52, 28, v54
	v_lshlrev_b64 v[52:53], v52, v[9:10]
	v_lshrrev_b32_e32 v50, 3, v0
	v_sub_u32_e32 v9, 29, v54
	v_and_b32_e32 v52, 7, v52
	v_cmp_gt_u32_e64 s[2:3], 8, v0
	v_cndmask_b32_e64 v0, v50, v9, s[2:3]
	v_cndmask_b32_e64 v9, v19, v52, s[2:3]
	v_lshlrev_b32_e32 v19, 16, v17
	v_lshlrev_b32_e32 v9, 20, v9
	v_and_b32_e32 v19, 0x80000000, v19
	v_lshl_add_u32 v0, v0, 23, v34
	v_or3_b32 v52, v19, v0, v9
.LBB306_323:                            ;   in Loop: Header=BB306_213 Depth=1
	s_or_b64 exec, exec, s[18:19]
.LBB306_324:                            ;   in Loop: Header=BB306_213 Depth=1
	s_or_b64 exec, exec, s[16:17]
.LBB306_325:                            ;   in Loop: Header=BB306_213 Depth=1
	s_or_b64 exec, exec, s[14:15]
	v_lshrrev_b32_e32 v9, 16, v17
	v_cmp_ne_u16_sdwa s[2:3], v9, v10 src0_sel:BYTE_0 src1_sel:DWORD
	v_mov_b32_e32 v53, 0
	v_mov_b32_e32 v50, 0
	s_and_saveexec_b64 s[14:15], s[2:3]
	s_cbranch_execz .LBB306_331
; %bb.326:                              ;   in Loop: Header=BB306_213 Depth=1
	v_cmp_ne_u16_sdwa s[2:3], v9, s26 src0_sel:BYTE_0 src1_sel:DWORD
	v_bfrev_b32_e32 v50, 1
	s_and_saveexec_b64 s[16:17], s[2:3]
	s_cbranch_execz .LBB306_330
; %bb.327:                              ;   in Loop: Header=BB306_213 Depth=1
	v_bfe_u32 v0, v17, 16, 7
	v_cmp_ne_u32_e64 s[2:3], s27, v0
	v_mov_b32_e32 v50, 0x7f800001
	s_and_saveexec_b64 s[18:19], s[2:3]
	s_cbranch_execz .LBB306_329
; %bb.328:                              ;   in Loop: Header=BB306_213 Depth=1
	v_and_b32_e32 v19, 7, v9
	v_ffbh_u32_e32 v54, v19
	v_min_u32_e32 v56, 32, v54
	v_subrev_u32_e32 v54, 28, v56
	v_lshlrev_b64 v[54:55], v54, v[9:10]
	v_lshrrev_b32_e32 v50, 3, v0
	v_sub_u32_e32 v55, 29, v56
	v_and_b32_e32 v54, 7, v54
	v_cmp_gt_u32_e64 s[2:3], 8, v0
	v_cndmask_b32_e64 v0, v50, v55, s[2:3]
	v_cndmask_b32_e64 v19, v19, v54, s[2:3]
	v_lshlrev_b32_e32 v9, 24, v9
	v_lshlrev_b32_e32 v19, 20, v19
	v_and_b32_e32 v9, 0x80000000, v9
	v_lshl_add_u32 v0, v0, 23, v34
	v_or3_b32 v50, v9, v0, v19
.LBB306_329:                            ;   in Loop: Header=BB306_213 Depth=1
	s_or_b64 exec, exec, s[18:19]
.LBB306_330:                            ;   in Loop: Header=BB306_213 Depth=1
	s_or_b64 exec, exec, s[16:17]
.LBB306_331:                            ;   in Loop: Header=BB306_213 Depth=1
	s_or_b64 exec, exec, s[14:15]
	v_cmp_lt_u32_e64 s[2:3], s7, v17
	s_and_saveexec_b64 s[14:15], s[2:3]
	s_cbranch_execz .LBB306_337
; %bb.332:                              ;   in Loop: Header=BB306_213 Depth=1
	v_lshrrev_b32_e32 v9, 24, v17
	v_cmp_ne_u32_e64 s[2:3], s26, v9
	v_bfrev_b32_e32 v53, 1
	s_and_saveexec_b64 s[16:17], s[2:3]
	s_cbranch_execz .LBB306_336
; %bb.333:                              ;   in Loop: Header=BB306_213 Depth=1
	v_bfe_u32 v0, v17, 24, 7
	v_cmp_ne_u32_e64 s[2:3], s27, v0
	v_mov_b32_e32 v53, 0x7f800001
	s_and_saveexec_b64 s[18:19], s[2:3]
	s_cbranch_execz .LBB306_335
; %bb.334:                              ;   in Loop: Header=BB306_213 Depth=1
	v_and_b32_e32 v19, 7, v9
	v_ffbh_u32_e32 v53, v19
	v_min_u32_e32 v56, 32, v53
	v_subrev_u32_e32 v53, 28, v56
	v_lshlrev_b64 v[53:54], v53, v[9:10]
	v_lshrrev_b32_e32 v55, 3, v0
	v_sub_u32_e32 v54, 29, v56
	v_and_b32_e32 v53, 7, v53
	v_cmp_gt_u32_e64 s[2:3], 8, v0
	v_cndmask_b32_e64 v0, v55, v54, s[2:3]
	v_cndmask_b32_e64 v19, v19, v53, s[2:3]
	v_lshlrev_b32_e32 v9, 24, v9
	v_lshlrev_b32_e32 v19, 20, v19
	v_and_b32_e32 v9, 0x80000000, v9
	v_lshl_add_u32 v0, v0, 23, v34
	v_or3_b32 v53, v9, v0, v19
.LBB306_335:                            ;   in Loop: Header=BB306_213 Depth=1
	s_or_b64 exec, exec, s[18:19]
.LBB306_336:                            ;   in Loop: Header=BB306_213 Depth=1
	s_or_b64 exec, exec, s[16:17]
.LBB306_337:                            ;   in Loop: Header=BB306_213 Depth=1
	s_or_b64 exec, exec, s[14:15]
	v_mov_b32_e32 v9, v18
	v_cmp_ne_u16_sdwa s[2:3], v18, v10 src0_sel:BYTE_0 src1_sel:DWORD
	v_mov_b32_e32 v0, 0
	v_mov_b32_e32 v54, 0
	s_and_saveexec_b64 s[14:15], s[2:3]
	s_cbranch_execz .LBB306_343
; %bb.338:                              ;   in Loop: Header=BB306_213 Depth=1
	v_cmp_ne_u16_sdwa s[2:3], v18, s26 src0_sel:BYTE_0 src1_sel:DWORD
	v_bfrev_b32_e32 v54, 1
	s_and_saveexec_b64 s[16:17], s[2:3]
	s_cbranch_execz .LBB306_342
; %bb.339:                              ;   in Loop: Header=BB306_213 Depth=1
	v_and_b32_e32 v19, 0x7f, v18
	v_cmp_ne_u32_e64 s[2:3], s27, v19
	v_mov_b32_e32 v54, 0x7f800001
	s_and_saveexec_b64 s[18:19], s[2:3]
	s_cbranch_execz .LBB306_341
; %bb.340:                              ;   in Loop: Header=BB306_213 Depth=1
	v_and_b32_e32 v54, 7, v18
	v_ffbh_u32_e32 v54, v54
	v_min_u32_e32 v54, 32, v54
	v_lshrrev_b32_e32 v55, 3, v19
	v_subrev_u32_e32 v56, 28, v54
	v_sub_u32_e32 v54, 29, v54
	v_cmp_gt_u32_e64 s[2:3], 8, v19
	v_cndmask_b32_e64 v19, v55, v54, s[2:3]
	v_cndmask_b32_e64 v54, 0, v56, s[2:3]
	v_lshlrev_b64 v[54:55], v54, v[9:10]
	v_lshlrev_b32_e32 v55, 24, v9
	v_lshlrev_b32_e32 v54, 20, v54
	v_and_b32_e32 v54, 0x700000, v54
	v_and_b32_e32 v55, 0x80000000, v55
	v_lshl_add_u32 v19, v19, 23, v34
	v_or3_b32 v54, v55, v19, v54
.LBB306_341:                            ;   in Loop: Header=BB306_213 Depth=1
	s_or_b64 exec, exec, s[18:19]
.LBB306_342:                            ;   in Loop: Header=BB306_213 Depth=1
	s_or_b64 exec, exec, s[16:17]
.LBB306_343:                            ;   in Loop: Header=BB306_213 Depth=1
	s_or_b64 exec, exec, s[14:15]
	v_lshrrev_b16_e32 v19, 8, v9
	v_cmp_ne_u16_e64 s[2:3], 0, v19
	s_and_saveexec_b64 s[14:15], s[2:3]
	s_cbranch_execz .LBB306_349
; %bb.344:                              ;   in Loop: Header=BB306_213 Depth=1
	v_cmp_ne_u16_e64 s[2:3], s26, v19
	v_bfrev_b32_e32 v0, 1
	s_and_saveexec_b64 s[16:17], s[2:3]
	s_cbranch_execz .LBB306_348
; %bb.345:                              ;   in Loop: Header=BB306_213 Depth=1
	v_and_b32_e32 v55, 0x7f, v19
	v_cmp_ne_u32_e64 s[2:3], s27, v55
	v_mov_b32_e32 v0, 0x7f800001
	s_and_saveexec_b64 s[18:19], s[2:3]
	s_cbranch_execz .LBB306_347
; %bb.346:                              ;   in Loop: Header=BB306_213 Depth=1
	v_and_b32_e32 v0, 7, v19
	v_ffbh_u32_e32 v56, v0
	v_min_u32_e32 v59, 32, v56
	v_subrev_u32_e32 v56, 28, v59
	v_lshlrev_b64 v[56:57], v56, v[19:20]
	v_lshrrev_b32_e32 v58, 3, v55
	v_sub_u32_e32 v19, 29, v59
	v_and_b32_e32 v56, 7, v56
	v_cmp_gt_u32_e64 s[2:3], 8, v55
	v_cndmask_b32_e64 v19, v58, v19, s[2:3]
	v_cndmask_b32_e64 v0, v0, v56, s[2:3]
	v_lshlrev_b32_e32 v9, 16, v9
	v_lshlrev_b32_e32 v0, 20, v0
	v_and_b32_e32 v9, 0x80000000, v9
	v_lshl_add_u32 v19, v19, 23, v34
	v_or3_b32 v0, v9, v19, v0
.LBB306_347:                            ;   in Loop: Header=BB306_213 Depth=1
	s_or_b64 exec, exec, s[18:19]
.LBB306_348:                            ;   in Loop: Header=BB306_213 Depth=1
	s_or_b64 exec, exec, s[16:17]
.LBB306_349:                            ;   in Loop: Header=BB306_213 Depth=1
	s_or_b64 exec, exec, s[14:15]
	v_lshrrev_b32_e32 v9, 16, v18
	v_cmp_ne_u16_sdwa s[2:3], v9, v10 src0_sel:BYTE_0 src1_sel:DWORD
	v_mov_b32_e32 v55, 0
	v_mov_b32_e32 v56, 0
	s_and_saveexec_b64 s[14:15], s[2:3]
	s_cbranch_execz .LBB306_355
; %bb.350:                              ;   in Loop: Header=BB306_213 Depth=1
	v_cmp_ne_u16_sdwa s[2:3], v9, s26 src0_sel:BYTE_0 src1_sel:DWORD
	v_bfrev_b32_e32 v56, 1
	s_and_saveexec_b64 s[16:17], s[2:3]
	s_cbranch_execz .LBB306_354
; %bb.351:                              ;   in Loop: Header=BB306_213 Depth=1
	v_bfe_u32 v19, v18, 16, 7
	v_cmp_ne_u32_e64 s[2:3], s27, v19
	v_mov_b32_e32 v56, 0x7f800001
	s_and_saveexec_b64 s[18:19], s[2:3]
	s_cbranch_execz .LBB306_353
; %bb.352:                              ;   in Loop: Header=BB306_213 Depth=1
	v_and_b32_e32 v58, 7, v9
	v_ffbh_u32_e32 v56, v58
	v_min_u32_e32 v60, 32, v56
	v_subrev_u32_e32 v56, 28, v60
	v_lshlrev_b64 v[56:57], v56, v[9:10]
	v_lshrrev_b32_e32 v59, 3, v19
	v_sub_u32_e32 v57, 29, v60
	v_and_b32_e32 v56, 7, v56
	v_cmp_gt_u32_e64 s[2:3], 8, v19
	v_cndmask_b32_e64 v19, v59, v57, s[2:3]
	v_cndmask_b32_e64 v56, v58, v56, s[2:3]
	v_lshlrev_b32_e32 v9, 24, v9
	v_lshlrev_b32_e32 v56, 20, v56
	v_and_b32_e32 v9, 0x80000000, v9
	v_lshl_add_u32 v19, v19, 23, v34
	v_or3_b32 v56, v9, v19, v56
.LBB306_353:                            ;   in Loop: Header=BB306_213 Depth=1
	s_or_b64 exec, exec, s[18:19]
.LBB306_354:                            ;   in Loop: Header=BB306_213 Depth=1
	s_or_b64 exec, exec, s[16:17]
.LBB306_355:                            ;   in Loop: Header=BB306_213 Depth=1
	s_or_b64 exec, exec, s[14:15]
	v_cmp_lt_u64_e64 s[2:3], s[6:7], v[17:18]
	s_and_saveexec_b64 s[14:15], s[2:3]
	s_cbranch_execz .LBB306_361
; %bb.356:                              ;   in Loop: Header=BB306_213 Depth=1
	v_lshrrev_b32_e32 v9, 24, v18
	v_cmp_ne_u32_e64 s[2:3], s26, v9
	v_bfrev_b32_e32 v55, 1
	s_and_saveexec_b64 s[16:17], s[2:3]
	s_cbranch_execz .LBB306_360
; %bb.357:                              ;   in Loop: Header=BB306_213 Depth=1
	v_bfe_u32 v17, v18, 24, 7
	v_cmp_ne_u32_e64 s[2:3], s27, v17
	v_mov_b32_e32 v55, 0x7f800001
	s_and_saveexec_b64 s[18:19], s[2:3]
	s_cbranch_execz .LBB306_359
; %bb.358:                              ;   in Loop: Header=BB306_213 Depth=1
	v_and_b32_e32 v55, 7, v9
	v_ffbh_u32_e32 v18, v55
	v_min_u32_e32 v58, 32, v18
	v_subrev_u32_e32 v18, 28, v58
	v_lshlrev_b64 v[18:19], v18, v[9:10]
	v_lshrrev_b32_e32 v57, 3, v17
	v_sub_u32_e32 v19, 29, v58
	v_and_b32_e32 v18, 7, v18
	v_cmp_gt_u32_e64 s[2:3], 8, v17
	v_cndmask_b32_e64 v17, v57, v19, s[2:3]
	v_cndmask_b32_e64 v18, v55, v18, s[2:3]
	v_lshlrev_b32_e32 v9, 24, v9
	v_lshlrev_b32_e32 v18, 20, v18
	v_and_b32_e32 v9, 0x80000000, v9
	v_lshl_add_u32 v17, v17, 23, v34
	v_or3_b32 v55, v9, v17, v18
.LBB306_359:                            ;   in Loop: Header=BB306_213 Depth=1
	s_or_b64 exec, exec, s[18:19]
.LBB306_360:                            ;   in Loop: Header=BB306_213 Depth=1
	s_or_b64 exec, exec, s[16:17]
.LBB306_361:                            ;   in Loop: Header=BB306_213 Depth=1
	s_or_b64 exec, exec, s[14:15]
	v_mul_f32_e32 v0, s29, v0
	v_bfe_u32 v9, v0, 16, 1
	v_add3_u32 v9, v9, v0, s33
	v_or_b32_e32 v17, 0x400000, v0
	v_cmp_u_f32_e64 s[2:3], v0, v0
	v_cndmask_b32_e64 v0, v9, v17, s[2:3]
	v_mul_f32_e32 v9, s29, v54
	v_bfe_u32 v17, v9, 16, 1
	v_add3_u32 v17, v17, v9, s33
	v_or_b32_e32 v18, 0x400000, v9
	v_cmp_u_f32_e64 s[2:3], v9, v9
	v_cndmask_b32_e64 v9, v17, v18, s[2:3]
	v_lshrrev_b32_e32 v17, 16, v9
	v_mul_f32_e32 v9, s29, v53
	v_bfe_u32 v18, v9, 16, 1
	v_add3_u32 v18, v18, v9, s33
	v_or_b32_e32 v19, 0x400000, v9
	v_cmp_u_f32_e64 s[2:3], v9, v9
	v_cndmask_b32_e64 v9, v18, v19, s[2:3]
	v_lshrrev_b32_e32 v19, 16, v9
	;; [unrolled: 7-line block ×7, first 2 shown]
	v_lshrrev_b32_e32 v51, 16, v9
	s_and_saveexec_b64 s[14:15], s[0:1]
	s_cbranch_execz .LBB306_363
; %bb.362:                              ;   in Loop: Header=BB306_213 Depth=1
	v_cmp_gt_i32_e64 s[2:3], s30, v43
	v_add_u32_e32 v9, -6, v32
	v_cndmask_b32_e64 v53, 0, v53, s[2:3]
	v_cmp_gt_i32_e64 s[2:3], s30, v9
	v_add_u32_e32 v9, -5, v32
	v_cndmask_b32_e64 v52, 0, v52, s[2:3]
	;; [unrolled: 3-line block ×6, first 2 shown]
	v_cmp_gt_i32_e64 s[2:3], s30, v9
	v_cndmask_b32_e64 v18, 0, v18, s[2:3]
	v_cmp_gt_i32_e64 s[2:3], s30, v32
	v_cndmask_b32_e64 v51, 0, v51, s[2:3]
.LBB306_363:                            ;   in Loop: Header=BB306_213 Depth=1
	s_or_b64 exec, exec, s[14:15]
	v_bfe_u32 v9, v5, 16, 1
	v_add3_u32 v9, v9, v5, s33
	v_or_b32_e32 v54, 0x400000, v5
	v_cmp_u_f32_e64 s[2:3], v5, v5
	v_cndmask_b32_e64 v5, v9, v54, s[2:3]
	v_bfe_u32 v9, v6, 16, 1
	v_add3_u32 v9, v9, v6, s33
	v_or_b32_e32 v54, 0x400000, v6
	v_cmp_u_f32_e64 s[2:3], v6, v6
	v_cndmask_b32_e64 v6, v9, v54, s[2:3]
	v_bfe_u32 v9, v7, 16, 1
	v_add3_u32 v9, v9, v7, s33
	v_or_b32_e32 v54, 0x400000, v7
	v_cmp_u_f32_e64 s[2:3], v7, v7
	v_bfe_u32 v7, v8, 16, 1
	v_cndmask_b32_e64 v9, v9, v54, s[2:3]
	v_add3_u32 v7, v7, v8, s33
	v_or_b32_e32 v54, 0x400000, v8
	v_cmp_u_f32_e64 s[2:3], v8, v8
	v_cndmask_b32_e64 v8, v7, v54, s[2:3]
	v_bfe_u32 v7, v1, 16, 1
	v_add3_u32 v7, v7, v1, s33
	v_or_b32_e32 v54, 0x400000, v1
	v_cmp_u_f32_e64 s[2:3], v1, v1
	v_cndmask_b32_e64 v1, v7, v54, s[2:3]
	v_bfe_u32 v7, v2, 16, 1
	;; [unrolled: 5-line block ×4, first 2 shown]
	v_add3_u32 v7, v7, v4, s33
	v_or_b32_e32 v54, 0x400000, v4
	v_cmp_u_f32_e64 s[2:3], v4, v4
	v_cndmask_b32_e64 v4, v7, v54, s[2:3]
	v_perm_b32 v7, v6, v5, s34
	v_perm_b32 v6, v8, v9, s34
	;; [unrolled: 1-line block ×4, first 2 shown]
	s_and_saveexec_b64 s[14:15], vcc
	s_cbranch_execz .LBB306_212
; %bb.364:                              ;   in Loop: Header=BB306_213 Depth=1
	v_add_co_u32_e64 v1, s[2:3], v15, v31
	v_addc_co_u32_e64 v2, s[2:3], 0, v16, s[2:3]
	global_load_dwordx2 v[1:2], v[1:2], off
	v_mov_b32_e32 v15, 0
	v_mov_b32_e32 v8, 0
	s_waitcnt vmcnt(0)
	v_cmp_ne_u16_sdwa s[2:3], v1, v10 src0_sel:BYTE_0 src1_sel:DWORD
	s_and_saveexec_b64 s[16:17], s[2:3]
	s_cbranch_execz .LBB306_370
; %bb.365:                              ;   in Loop: Header=BB306_213 Depth=1
	v_cmp_ne_u16_sdwa s[2:3], v1, s26 src0_sel:BYTE_0 src1_sel:DWORD
	v_bfrev_b32_e32 v8, 1
	s_and_saveexec_b64 s[18:19], s[2:3]
	s_cbranch_execz .LBB306_369
; %bb.366:                              ;   in Loop: Header=BB306_213 Depth=1
	v_and_b32_e32 v3, 0x7f, v1
	v_cmp_ne_u32_e64 s[2:3], s27, v3
	v_mov_b32_e32 v8, 0x7f800001
	s_and_saveexec_b64 s[24:25], s[2:3]
	s_cbranch_execz .LBB306_368
; %bb.367:                              ;   in Loop: Header=BB306_213 Depth=1
	v_and_b32_e32 v8, 7, v1
	v_ffbh_u32_e32 v8, v8
	v_min_u32_e32 v8, 32, v8
	v_lshrrev_b32_e32 v9, 3, v3
	v_subrev_u32_e32 v16, 28, v8
	v_sub_u32_e32 v8, 29, v8
	v_cmp_gt_u32_e64 s[2:3], 8, v3
	v_cndmask_b32_e64 v3, v9, v8, s[2:3]
	v_cndmask_b32_e64 v8, 0, v16, s[2:3]
	v_lshlrev_b64 v[8:9], v8, v[1:2]
	v_lshlrev_b32_e32 v9, 24, v1
	v_lshlrev_b32_e32 v8, 20, v8
	v_and_b32_e32 v8, 0x700000, v8
	v_and_b32_e32 v9, 0x80000000, v9
	v_lshl_add_u32 v3, v3, 23, v34
	v_or3_b32 v8, v9, v3, v8
.LBB306_368:                            ;   in Loop: Header=BB306_213 Depth=1
	s_or_b64 exec, exec, s[24:25]
.LBB306_369:                            ;   in Loop: Header=BB306_213 Depth=1
	s_or_b64 exec, exec, s[18:19]
.LBB306_370:                            ;   in Loop: Header=BB306_213 Depth=1
	s_or_b64 exec, exec, s[16:17]
	v_lshrrev_b16_e32 v3, 8, v1
	v_cmp_ne_u16_e64 s[2:3], 0, v3
	s_and_saveexec_b64 s[16:17], s[2:3]
	s_cbranch_execz .LBB306_376
; %bb.371:                              ;   in Loop: Header=BB306_213 Depth=1
	v_cmp_ne_u16_e64 s[2:3], s26, v3
	v_bfrev_b32_e32 v15, 1
	s_and_saveexec_b64 s[18:19], s[2:3]
	s_cbranch_execz .LBB306_375
; %bb.372:                              ;   in Loop: Header=BB306_213 Depth=1
	v_and_b32_e32 v9, 0x7f, v3
	v_cmp_ne_u32_e64 s[2:3], s27, v9
	v_mov_b32_e32 v15, 0x7f800001
	s_and_saveexec_b64 s[24:25], s[2:3]
	s_cbranch_execz .LBB306_374
; %bb.373:                              ;   in Loop: Header=BB306_213 Depth=1
	v_and_b32_e32 v54, 7, v3
	v_ffbh_u32_e32 v15, v54
	v_min_u32_e32 v56, 32, v15
	v_subrev_u32_e32 v15, 28, v56
	v_lshlrev_b64 v[15:16], v15, v[3:4]
	v_lshrrev_b32_e32 v55, 3, v9
	v_sub_u32_e32 v3, 29, v56
	v_and_b32_e32 v15, 7, v15
	v_cmp_gt_u32_e64 s[2:3], 8, v9
	v_cndmask_b32_e64 v3, v55, v3, s[2:3]
	v_cndmask_b32_e64 v9, v54, v15, s[2:3]
	v_lshlrev_b32_e32 v15, 16, v1
	v_lshlrev_b32_e32 v9, 20, v9
	v_and_b32_e32 v15, 0x80000000, v15
	v_lshl_add_u32 v3, v3, 23, v34
	v_or3_b32 v15, v15, v3, v9
.LBB306_374:                            ;   in Loop: Header=BB306_213 Depth=1
	s_or_b64 exec, exec, s[24:25]
.LBB306_375:                            ;   in Loop: Header=BB306_213 Depth=1
	s_or_b64 exec, exec, s[18:19]
.LBB306_376:                            ;   in Loop: Header=BB306_213 Depth=1
	s_or_b64 exec, exec, s[16:17]
	v_lshrrev_b32_e32 v3, 16, v1
	v_cmp_ne_u16_sdwa s[2:3], v3, v10 src0_sel:BYTE_0 src1_sel:DWORD
	v_mov_b32_e32 v54, 0
	v_mov_b32_e32 v16, 0
	s_and_saveexec_b64 s[16:17], s[2:3]
	s_cbranch_execz .LBB306_382
; %bb.377:                              ;   in Loop: Header=BB306_213 Depth=1
	v_cmp_ne_u16_sdwa s[2:3], v3, s26 src0_sel:BYTE_0 src1_sel:DWORD
	v_bfrev_b32_e32 v16, 1
	s_and_saveexec_b64 s[18:19], s[2:3]
	s_cbranch_execz .LBB306_381
; %bb.378:                              ;   in Loop: Header=BB306_213 Depth=1
	v_bfe_u32 v9, v1, 16, 7
	v_cmp_ne_u32_e64 s[2:3], s27, v9
	v_mov_b32_e32 v16, 0x7f800001
	s_and_saveexec_b64 s[24:25], s[2:3]
	s_cbranch_execz .LBB306_380
; %bb.379:                              ;   in Loop: Header=BB306_213 Depth=1
	v_and_b32_e32 v16, 7, v3
	v_ffbh_u32_e32 v55, v16
	v_min_u32_e32 v58, 32, v55
	v_subrev_u32_e32 v55, 28, v58
	v_lshlrev_b64 v[55:56], v55, v[3:4]
	v_lshrrev_b32_e32 v57, 3, v9
	v_sub_u32_e32 v56, 29, v58
	v_and_b32_e32 v55, 7, v55
	v_cmp_gt_u32_e64 s[2:3], 8, v9
	v_cndmask_b32_e64 v9, v57, v56, s[2:3]
	v_cndmask_b32_e64 v16, v16, v55, s[2:3]
	v_lshlrev_b32_e32 v3, 24, v3
	v_lshlrev_b32_e32 v16, 20, v16
	v_and_b32_e32 v3, 0x80000000, v3
	v_lshl_add_u32 v9, v9, 23, v34
	v_or3_b32 v16, v3, v9, v16
.LBB306_380:                            ;   in Loop: Header=BB306_213 Depth=1
	s_or_b64 exec, exec, s[24:25]
.LBB306_381:                            ;   in Loop: Header=BB306_213 Depth=1
	s_or_b64 exec, exec, s[18:19]
.LBB306_382:                            ;   in Loop: Header=BB306_213 Depth=1
	s_or_b64 exec, exec, s[16:17]
	v_cmp_lt_u32_e64 s[2:3], s7, v1
	s_and_saveexec_b64 s[16:17], s[2:3]
	s_cbranch_execz .LBB306_388
; %bb.383:                              ;   in Loop: Header=BB306_213 Depth=1
	v_lshrrev_b32_e32 v3, 24, v1
	v_cmp_ne_u32_e64 s[2:3], s26, v3
	v_bfrev_b32_e32 v54, 1
	s_and_saveexec_b64 s[18:19], s[2:3]
	s_cbranch_execz .LBB306_387
; %bb.384:                              ;   in Loop: Header=BB306_213 Depth=1
	v_bfe_u32 v9, v1, 24, 7
	v_cmp_ne_u32_e64 s[2:3], s27, v9
	v_mov_b32_e32 v54, 0x7f800001
	s_and_saveexec_b64 s[24:25], s[2:3]
	s_cbranch_execz .LBB306_386
; %bb.385:                              ;   in Loop: Header=BB306_213 Depth=1
	v_and_b32_e32 v56, 7, v3
	v_ffbh_u32_e32 v54, v56
	v_min_u32_e32 v58, 32, v54
	v_subrev_u32_e32 v54, 28, v58
	v_lshlrev_b64 v[54:55], v54, v[3:4]
	v_lshrrev_b32_e32 v57, 3, v9
	v_sub_u32_e32 v55, 29, v58
	v_and_b32_e32 v54, 7, v54
	v_cmp_gt_u32_e64 s[2:3], 8, v9
	v_cndmask_b32_e64 v9, v57, v55, s[2:3]
	v_cndmask_b32_e64 v54, v56, v54, s[2:3]
	v_lshlrev_b32_e32 v3, 24, v3
	v_lshlrev_b32_e32 v54, 20, v54
	v_and_b32_e32 v3, 0x80000000, v3
	v_lshl_add_u32 v9, v9, 23, v34
	v_or3_b32 v54, v3, v9, v54
.LBB306_386:                            ;   in Loop: Header=BB306_213 Depth=1
	s_or_b64 exec, exec, s[24:25]
.LBB306_387:                            ;   in Loop: Header=BB306_213 Depth=1
	s_or_b64 exec, exec, s[18:19]
.LBB306_388:                            ;   in Loop: Header=BB306_213 Depth=1
	s_or_b64 exec, exec, s[16:17]
	v_mov_b32_e32 v9, v2
	v_cmp_ne_u16_sdwa s[2:3], v2, v10 src0_sel:BYTE_0 src1_sel:DWORD
	v_mov_b32_e32 v56, 0
	v_mov_b32_e32 v55, 0
	s_and_saveexec_b64 s[16:17], s[2:3]
	s_cbranch_execz .LBB306_394
; %bb.389:                              ;   in Loop: Header=BB306_213 Depth=1
	v_cmp_ne_u16_sdwa s[2:3], v2, s26 src0_sel:BYTE_0 src1_sel:DWORD
	v_bfrev_b32_e32 v55, 1
	s_and_saveexec_b64 s[18:19], s[2:3]
	s_cbranch_execz .LBB306_393
; %bb.390:                              ;   in Loop: Header=BB306_213 Depth=1
	v_and_b32_e32 v3, 0x7f, v2
	v_cmp_ne_u32_e64 s[2:3], s27, v3
	v_mov_b32_e32 v55, 0x7f800001
	s_and_saveexec_b64 s[24:25], s[2:3]
	s_cbranch_execz .LBB306_392
; %bb.391:                              ;   in Loop: Header=BB306_213 Depth=1
	v_and_b32_e32 v55, 7, v2
	v_ffbh_u32_e32 v55, v55
	v_min_u32_e32 v55, 32, v55
	v_lshrrev_b32_e32 v57, 3, v3
	v_subrev_u32_e32 v58, 28, v55
	v_sub_u32_e32 v55, 29, v55
	v_cmp_gt_u32_e64 s[2:3], 8, v3
	v_cndmask_b32_e64 v3, v57, v55, s[2:3]
	v_cndmask_b32_e64 v55, 0, v58, s[2:3]
	v_lshlrev_b64 v[57:58], v55, v[9:10]
	v_lshl_add_u32 v3, v3, 23, v34
	v_lshlrev_b32_e32 v55, 20, v57
	v_lshlrev_b32_e32 v57, 24, v9
	v_and_b32_e32 v55, 0x700000, v55
	v_and_b32_e32 v57, 0x80000000, v57
	v_or3_b32 v55, v57, v3, v55
.LBB306_392:                            ;   in Loop: Header=BB306_213 Depth=1
	s_or_b64 exec, exec, s[24:25]
.LBB306_393:                            ;   in Loop: Header=BB306_213 Depth=1
	s_or_b64 exec, exec, s[18:19]
.LBB306_394:                            ;   in Loop: Header=BB306_213 Depth=1
	s_or_b64 exec, exec, s[16:17]
	v_lshrrev_b16_e32 v3, 8, v9
	v_cmp_ne_u16_e64 s[2:3], 0, v3
	s_and_saveexec_b64 s[16:17], s[2:3]
	s_cbranch_execz .LBB306_400
; %bb.395:                              ;   in Loop: Header=BB306_213 Depth=1
	v_cmp_ne_u16_e64 s[2:3], s26, v3
	v_bfrev_b32_e32 v56, 1
	s_and_saveexec_b64 s[18:19], s[2:3]
	s_cbranch_execz .LBB306_399
; %bb.396:                              ;   in Loop: Header=BB306_213 Depth=1
	v_and_b32_e32 v57, 0x7f, v3
	v_cmp_ne_u32_e64 s[2:3], s27, v57
	v_mov_b32_e32 v56, 0x7f800001
	s_and_saveexec_b64 s[24:25], s[2:3]
	s_cbranch_execz .LBB306_398
; %bb.397:                              ;   in Loop: Header=BB306_213 Depth=1
	v_and_b32_e32 v56, 7, v3
	v_ffbh_u32_e32 v58, v56
	v_min_u32_e32 v61, 32, v58
	v_subrev_u32_e32 v58, 28, v61
	v_lshlrev_b64 v[58:59], v58, v[3:4]
	v_lshrrev_b32_e32 v60, 3, v57
	v_sub_u32_e32 v3, 29, v61
	v_and_b32_e32 v58, 7, v58
	v_cmp_gt_u32_e64 s[2:3], 8, v57
	v_cndmask_b32_e64 v3, v60, v3, s[2:3]
	v_cndmask_b32_e64 v56, v56, v58, s[2:3]
	v_lshlrev_b32_e32 v9, 16, v9
	v_lshlrev_b32_e32 v56, 20, v56
	v_and_b32_e32 v9, 0x80000000, v9
	v_lshl_add_u32 v3, v3, 23, v34
	v_or3_b32 v56, v9, v3, v56
.LBB306_398:                            ;   in Loop: Header=BB306_213 Depth=1
	s_or_b64 exec, exec, s[24:25]
.LBB306_399:                            ;   in Loop: Header=BB306_213 Depth=1
	s_or_b64 exec, exec, s[18:19]
.LBB306_400:                            ;   in Loop: Header=BB306_213 Depth=1
	s_or_b64 exec, exec, s[16:17]
	v_lshrrev_b32_e32 v3, 16, v2
	v_cmp_ne_u16_sdwa s[2:3], v3, v10 src0_sel:BYTE_0 src1_sel:DWORD
	v_mov_b32_e32 v9, 0
	v_mov_b32_e32 v57, 0
	s_and_saveexec_b64 s[16:17], s[2:3]
	s_cbranch_execz .LBB306_406
; %bb.401:                              ;   in Loop: Header=BB306_213 Depth=1
	v_cmp_ne_u16_sdwa s[2:3], v3, s26 src0_sel:BYTE_0 src1_sel:DWORD
	v_bfrev_b32_e32 v57, 1
	s_and_saveexec_b64 s[18:19], s[2:3]
	s_cbranch_execz .LBB306_405
; %bb.402:                              ;   in Loop: Header=BB306_213 Depth=1
	v_bfe_u32 v58, v2, 16, 7
	v_cmp_ne_u32_e64 s[2:3], s27, v58
	v_mov_b32_e32 v57, 0x7f800001
	s_and_saveexec_b64 s[24:25], s[2:3]
	s_cbranch_execz .LBB306_404
; %bb.403:                              ;   in Loop: Header=BB306_213 Depth=1
	v_and_b32_e32 v59, 7, v3
	v_ffbh_u32_e32 v57, v59
	v_min_u32_e32 v61, 32, v57
	v_subrev_u32_e32 v57, 28, v61
	v_lshrrev_b32_e32 v60, 3, v58
	v_cmp_gt_u32_e64 s[2:3], 8, v58
	v_lshlrev_b64 v[57:58], v57, v[3:4]
	v_sub_u32_e32 v58, 29, v61
	v_and_b32_e32 v57, 7, v57
	v_cndmask_b32_e64 v58, v60, v58, s[2:3]
	v_cndmask_b32_e64 v57, v59, v57, s[2:3]
	v_lshlrev_b32_e32 v3, 24, v3
	v_lshlrev_b32_e32 v57, 20, v57
	v_and_b32_e32 v3, 0x80000000, v3
	v_lshl_add_u32 v58, v58, 23, v34
	v_or3_b32 v57, v3, v58, v57
.LBB306_404:                            ;   in Loop: Header=BB306_213 Depth=1
	s_or_b64 exec, exec, s[24:25]
.LBB306_405:                            ;   in Loop: Header=BB306_213 Depth=1
	s_or_b64 exec, exec, s[18:19]
.LBB306_406:                            ;   in Loop: Header=BB306_213 Depth=1
	s_or_b64 exec, exec, s[16:17]
	v_cmp_lt_u64_e64 s[2:3], s[6:7], v[1:2]
	s_and_saveexec_b64 s[16:17], s[2:3]
	s_cbranch_execz .LBB306_412
; %bb.407:                              ;   in Loop: Header=BB306_213 Depth=1
	v_lshrrev_b32_e32 v1, 24, v2
	v_cmp_ne_u32_e64 s[2:3], s26, v1
	v_bfrev_b32_e32 v9, 1
	s_and_saveexec_b64 s[18:19], s[2:3]
	s_cbranch_execz .LBB306_411
; %bb.408:                              ;   in Loop: Header=BB306_213 Depth=1
	v_bfe_u32 v2, v2, 24, 7
	v_cmp_ne_u32_e64 s[2:3], s27, v2
	v_mov_b32_e32 v9, 0x7f800001
	s_and_saveexec_b64 s[24:25], s[2:3]
	s_cbranch_execz .LBB306_410
; %bb.409:                              ;   in Loop: Header=BB306_213 Depth=1
	v_and_b32_e32 v3, 7, v1
	v_ffbh_u32_e32 v58, v3
	v_min_u32_e32 v60, 32, v58
	v_subrev_u32_e32 v58, 28, v60
	v_lshlrev_b64 v[58:59], v58, v[1:2]
	v_lshrrev_b32_e32 v9, 3, v2
	v_sub_u32_e32 v59, 29, v60
	v_and_b32_e32 v58, 7, v58
	v_cmp_gt_u32_e64 s[2:3], 8, v2
	v_cndmask_b32_e64 v2, v9, v59, s[2:3]
	v_cndmask_b32_e64 v3, v3, v58, s[2:3]
	v_lshlrev_b32_e32 v1, 24, v1
	v_lshlrev_b32_e32 v3, 20, v3
	v_and_b32_e32 v1, 0x80000000, v1
	v_lshl_add_u32 v2, v2, 23, v34
	v_or3_b32 v9, v1, v2, v3
.LBB306_410:                            ;   in Loop: Header=BB306_213 Depth=1
	s_or_b64 exec, exec, s[24:25]
.LBB306_411:                            ;   in Loop: Header=BB306_213 Depth=1
	s_or_b64 exec, exec, s[18:19]
.LBB306_412:                            ;   in Loop: Header=BB306_213 Depth=1
	s_or_b64 exec, exec, s[16:17]
	v_mul_f32_e32 v1, s29, v56
	v_bfe_u32 v2, v1, 16, 1
	v_add3_u32 v2, v2, v1, s33
	v_or_b32_e32 v3, 0x400000, v1
	v_cmp_u_f32_e64 s[2:3], v1, v1
	v_cndmask_b32_e64 v1, v2, v3, s[2:3]
	v_mul_f32_e32 v2, s29, v55
	v_bfe_u32 v3, v2, 16, 1
	v_add3_u32 v3, v3, v2, s33
	v_or_b32_e32 v55, 0x400000, v2
	v_cmp_u_f32_e64 s[2:3], v2, v2
	v_cndmask_b32_e64 v2, v3, v55, s[2:3]
	v_mul_f32_e32 v3, s29, v54
	v_bfe_u32 v54, v3, 16, 1
	v_add3_u32 v54, v54, v3, s33
	v_or_b32_e32 v55, 0x400000, v3
	v_cmp_u_f32_e64 s[2:3], v3, v3
	v_mul_f32_e32 v16, s29, v16
	v_cndmask_b32_e64 v3, v54, v55, s[2:3]
	v_bfe_u32 v54, v16, 16, 1
	v_add3_u32 v54, v54, v16, s33
	v_or_b32_e32 v55, 0x400000, v16
	v_cmp_u_f32_e64 s[2:3], v16, v16
	v_mul_f32_e32 v15, s29, v15
	v_cndmask_b32_e64 v16, v54, v55, s[2:3]
	v_bfe_u32 v54, v15, 16, 1
	v_add3_u32 v54, v54, v15, s33
	v_or_b32_e32 v55, 0x400000, v15
	v_cmp_u_f32_e64 s[2:3], v15, v15
	v_cndmask_b32_e64 v15, v54, v55, s[2:3]
	v_mul_f32_e32 v8, s29, v8
	v_lshrrev_b32_e32 v54, 16, v15
	v_bfe_u32 v15, v8, 16, 1
	v_add3_u32 v15, v15, v8, s33
	v_or_b32_e32 v55, 0x400000, v8
	v_cmp_u_f32_e64 s[2:3], v8, v8
	v_cndmask_b32_e64 v8, v15, v55, s[2:3]
	v_lshrrev_b32_e32 v55, 16, v8
	v_mul_f32_e32 v8, s29, v57
	v_bfe_u32 v15, v8, 16, 1
	v_add3_u32 v15, v15, v8, s33
	v_or_b32_e32 v56, 0x400000, v8
	v_cmp_u_f32_e64 s[2:3], v8, v8
	v_cndmask_b32_e64 v8, v15, v56, s[2:3]
	v_lshrrev_b32_e32 v15, 16, v8
	v_mul_f32_e32 v8, s29, v9
	v_bfe_u32 v9, v8, 16, 1
	v_add3_u32 v9, v9, v8, s33
	v_or_b32_e32 v56, 0x400000, v8
	v_cmp_u_f32_e64 s[2:3], v8, v8
	v_cndmask_b32_e64 v8, v9, v56, s[2:3]
	v_lshrrev_b32_e32 v1, 16, v1
	v_lshrrev_b32_e32 v2, 16, v2
	;; [unrolled: 1-line block ×5, first 2 shown]
	s_and_saveexec_b64 s[2:3], s[0:1]
	s_cbranch_execz .LBB306_211
; %bb.413:                              ;   in Loop: Header=BB306_213 Depth=1
	v_cmp_gt_i32_e64 s[0:1], s30, v43
	v_add_u32_e32 v9, -6, v32
	v_cndmask_b32_e64 v55, 0, v55, s[0:1]
	v_cmp_gt_i32_e64 s[0:1], s30, v9
	v_add_u32_e32 v9, -5, v32
	v_cndmask_b32_e64 v54, 0, v54, s[0:1]
	;; [unrolled: 3-line block ×6, first 2 shown]
	v_cmp_gt_i32_e64 s[0:1], s30, v9
	v_cndmask_b32_e64 v15, 0, v15, s[0:1]
	v_cmp_gt_i32_e64 s[0:1], s30, v32
	v_cndmask_b32_e64 v8, 0, v8, s[0:1]
	s_branch .LBB306_211
.LBB306_414:
	s_or_b64 exec, exec, s[12:13]
	v_mov_b32_e32 v12, v62
.LBB306_415:
	s_or_b64 exec, exec, s[4:5]
	ds_bpermute_b32 v1, v23, v29
	ds_bpermute_b32 v4, v23, v28
	;; [unrolled: 1-line block ×4, first 2 shown]
	v_cmp_eq_u32_e32 vcc, 0, v25
	s_waitcnt lgkmcnt(3)
	v_add_f32_e32 v2, v29, v1
	s_waitcnt lgkmcnt(2)
	v_add_f32_e32 v1, v28, v4
	v_and_b32_e32 v4, 0x3c0, v12
	s_waitcnt lgkmcnt(1)
	v_add_f32_e32 v3, v27, v0
	s_waitcnt lgkmcnt(0)
	v_add_f32_e32 v0, v30, v5
	v_cmp_eq_u32_e64 s[0:1], 64, v4
	s_barrier
	s_and_saveexec_b64 s[2:3], s[0:1]
	s_cbranch_execz .LBB306_420
; %bb.416:
	s_and_saveexec_b64 s[0:1], vcc
	s_cbranch_execz .LBB306_418
; %bb.417:
	v_mov_b32_e32 v4, 0x100
	v_lshl_add_u32 v4, v24, 2, v4
	ds_write2_b32 v4, v3, v2 offset1:32
	ds_write_b32 v4, v1 offset:256
.LBB306_418:
	s_or_b64 exec, exec, s[0:1]
	v_or_b32_e32 v4, 0x60, v24
	s_movk_i32 s0, 0x78
	v_cmp_gt_u32_e64 s[0:1], s0, v4
	s_and_b64 s[0:1], vcc, s[0:1]
	s_and_b64 exec, exec, s[0:1]
; %bb.419:
	v_mov_b32_e32 v4, 0x100
	v_lshl_add_u32 v4, v24, 2, v4
	ds_write_b32 v4, v0 offset:384
.LBB306_420:
	s_or_b64 exec, exec, s[2:3]
	v_cmp_gt_u32_e64 s[0:1], 64, v12
	v_lshrrev_b32_e32 v4, 1, v12
	s_waitcnt lgkmcnt(0)
	s_barrier
	s_and_saveexec_b64 s[4:5], s[0:1]
	s_cbranch_execz .LBB306_430
; %bb.421:
	s_and_saveexec_b64 s[2:3], vcc
	s_cbranch_execz .LBB306_423
; %bb.422:
	v_mov_b32_e32 v5, 0x100
	v_lshl_add_u32 v5, v4, 2, v5
	ds_read_b32 v5, v5
	s_waitcnt lgkmcnt(0)
	v_add_f32_e32 v3, v3, v5
.LBB306_423:
	s_or_b64 exec, exec, s[2:3]
	v_or_b32_e32 v5, 32, v4
	s_movk_i32 s6, 0x78
	v_cmp_gt_u32_e64 s[2:3], s6, v5
	s_and_b64 s[12:13], vcc, s[2:3]
	s_and_saveexec_b64 s[2:3], s[12:13]
	s_cbranch_execz .LBB306_425
; %bb.424:
	v_mov_b32_e32 v5, 0x100
	v_lshl_add_u32 v5, v4, 2, v5
	ds_read_b32 v5, v5 offset:128
	s_waitcnt lgkmcnt(0)
	v_add_f32_e32 v2, v2, v5
.LBB306_425:
	s_or_b64 exec, exec, s[2:3]
	v_or_b32_e32 v5, 64, v4
	v_cmp_gt_u32_e64 s[2:3], s6, v5
	s_and_b64 s[6:7], vcc, s[2:3]
	s_and_saveexec_b64 s[2:3], s[6:7]
	s_cbranch_execz .LBB306_427
; %bb.426:
	v_mov_b32_e32 v5, 0x100
	v_lshl_add_u32 v5, v4, 2, v5
	ds_read_b32 v5, v5 offset:256
	s_waitcnt lgkmcnt(0)
	v_add_f32_e32 v1, v1, v5
.LBB306_427:
	s_or_b64 exec, exec, s[2:3]
	v_or_b32_e32 v5, 0x60, v4
	s_movk_i32 s2, 0x78
	v_cmp_gt_u32_e64 s[2:3], s2, v5
	s_and_b64 s[6:7], vcc, s[2:3]
	s_and_saveexec_b64 s[2:3], s[6:7]
	s_cbranch_execz .LBB306_429
; %bb.428:
	v_mov_b32_e32 v5, 0x100
	v_lshl_add_u32 v5, v4, 2, v5
	ds_read_b32 v5, v5 offset:384
	s_waitcnt lgkmcnt(0)
	v_add_f32_e32 v0, v0, v5
.LBB306_429:
	s_or_b64 exec, exec, s[2:3]
.LBB306_430:
	s_or_b64 exec, exec, s[4:5]
	s_barrier
	s_and_saveexec_b64 s[2:3], s[0:1]
	s_cbranch_execz .LBB306_439
; %bb.431:
	s_mul_i32 s0, s10, s11
	s_mul_i32 s0, s0, s9
	s_mulk_i32 s0, 0x78
	s_ashr_i32 s1, s0, 31
	s_lshl_b64 s[0:1], s[0:1], 1
	s_add_u32 s2, s22, s0
	s_mul_i32 s0, s11, s20
	s_addc_u32 s3, s23, s1
	s_ashr_i32 s1, s0, 31
	s_lshl_b64 s[0:1], s[0:1], 1
	s_add_u32 s2, s2, s0
	s_mul_i32 s0, s8, 0x78
	s_addc_u32 s3, s3, s1
	s_ashr_i32 s1, s0, 31
	s_lshl_b64 s[0:1], s[0:1], 1
	s_add_u32 s2, s2, s0
	s_movk_i32 s6, 0x78
	s_addc_u32 s3, s3, s1
	v_lshlrev_b32_e32 v5, 1, v4
	s_and_saveexec_b64 s[4:5], vcc
	s_cbranch_execz .LBB306_433
; %bb.432:
	v_bfe_u32 v6, v3, 16, 1
	s_movk_i32 s0, 0x7fff
	v_add3_u32 v6, v6, v3, s0
	v_or_b32_e32 v7, 0x400000, v3
	v_cmp_u_f32_e64 s[0:1], v3, v3
	v_cndmask_b32_e64 v3, v6, v7, s[0:1]
	global_store_short_d16_hi v5, v3, s[2:3]
.LBB306_433:
	s_or_b64 exec, exec, s[4:5]
	v_or_b32_e32 v3, 32, v4
	v_cmp_gt_u32_e64 s[0:1], s6, v3
	s_and_b64 s[0:1], vcc, s[0:1]
	s_and_saveexec_b64 s[4:5], s[0:1]
	s_cbranch_execz .LBB306_435
; %bb.434:
	v_bfe_u32 v3, v2, 16, 1
	s_movk_i32 s0, 0x7fff
	v_add3_u32 v3, v3, v2, s0
	v_or_b32_e32 v6, 0x400000, v2
	v_cmp_u_f32_e64 s[0:1], v2, v2
	v_cndmask_b32_e64 v2, v3, v6, s[0:1]
	global_store_short_d16_hi v5, v2, s[2:3] offset:64
.LBB306_435:
	s_or_b64 exec, exec, s[4:5]
	v_or_b32_e32 v2, 64, v4
	v_cmp_gt_u32_e64 s[0:1], s6, v2
	s_and_b64 s[0:1], vcc, s[0:1]
	s_and_saveexec_b64 s[4:5], s[0:1]
	s_cbranch_execz .LBB306_437
; %bb.436:
	v_bfe_u32 v2, v1, 16, 1
	s_movk_i32 s0, 0x7fff
	v_add3_u32 v2, v2, v1, s0
	v_or_b32_e32 v3, 0x400000, v1
	v_cmp_u_f32_e64 s[0:1], v1, v1
	v_cndmask_b32_e64 v1, v2, v3, s[0:1]
	global_store_short_d16_hi v5, v1, s[2:3] offset:128
.LBB306_437:
	s_or_b64 exec, exec, s[4:5]
	v_or_b32_e32 v1, 0x60, v4
	v_cmp_gt_u32_e64 s[0:1], s6, v1
	s_and_b64 s[0:1], vcc, s[0:1]
	s_and_b64 exec, exec, s[0:1]
	s_cbranch_execz .LBB306_439
; %bb.438:
	v_bfe_u32 v1, v0, 16, 1
	s_movk_i32 s0, 0x7fff
	v_add3_u32 v1, v1, v0, s0
	v_or_b32_e32 v2, 0x400000, v0
	v_cmp_u_f32_e32 vcc, v0, v0
	v_cndmask_b32_e32 v0, v1, v2, vcc
	global_store_short_d16_hi v5, v0, s[2:3] offset:192
.LBB306_439:
	s_endpgm
	.section	.rodata,"a",@progbits
	.p2align	6, 0x0
	.amdhsa_kernel _ZN4vllm25paged_attention_v1_kernelI14__hip_bfloat16hLi120ELi16ELi128ELNS_18Fp8KVCacheDataTypeE1ELb0EEEvPT_PKS3_PKT0_S9_ifPKiSB_iPKfiiiSD_SD_iiiii
		.amdhsa_group_segment_fixed_size 256
		.amdhsa_private_segment_fixed_size 84
		.amdhsa_kernarg_size 384
		.amdhsa_user_sgpr_count 6
		.amdhsa_user_sgpr_private_segment_buffer 1
		.amdhsa_user_sgpr_dispatch_ptr 0
		.amdhsa_user_sgpr_queue_ptr 0
		.amdhsa_user_sgpr_kernarg_segment_ptr 1
		.amdhsa_user_sgpr_dispatch_id 0
		.amdhsa_user_sgpr_flat_scratch_init 0
		.amdhsa_user_sgpr_private_segment_size 0
		.amdhsa_uses_dynamic_stack 0
		.amdhsa_system_sgpr_private_segment_wavefront_offset 1
		.amdhsa_system_sgpr_workgroup_id_x 1
		.amdhsa_system_sgpr_workgroup_id_y 1
		.amdhsa_system_sgpr_workgroup_id_z 1
		.amdhsa_system_sgpr_workgroup_info 0
		.amdhsa_system_vgpr_workitem_id 0
		.amdhsa_next_free_vgpr 64
		.amdhsa_next_free_sgpr 48
		.amdhsa_reserve_vcc 1
		.amdhsa_reserve_flat_scratch 0
		.amdhsa_float_round_mode_32 0
		.amdhsa_float_round_mode_16_64 0
		.amdhsa_float_denorm_mode_32 3
		.amdhsa_float_denorm_mode_16_64 3
		.amdhsa_dx10_clamp 1
		.amdhsa_ieee_mode 1
		.amdhsa_fp16_overflow 0
		.amdhsa_exception_fp_ieee_invalid_op 0
		.amdhsa_exception_fp_denorm_src 0
		.amdhsa_exception_fp_ieee_div_zero 0
		.amdhsa_exception_fp_ieee_overflow 0
		.amdhsa_exception_fp_ieee_underflow 0
		.amdhsa_exception_fp_ieee_inexact 0
		.amdhsa_exception_int_div_zero 0
	.end_amdhsa_kernel
	.section	.text._ZN4vllm25paged_attention_v1_kernelI14__hip_bfloat16hLi120ELi16ELi128ELNS_18Fp8KVCacheDataTypeE1ELb0EEEvPT_PKS3_PKT0_S9_ifPKiSB_iPKfiiiSD_SD_iiiii,"axG",@progbits,_ZN4vllm25paged_attention_v1_kernelI14__hip_bfloat16hLi120ELi16ELi128ELNS_18Fp8KVCacheDataTypeE1ELb0EEEvPT_PKS3_PKT0_S9_ifPKiSB_iPKfiiiSD_SD_iiiii,comdat
.Lfunc_end306:
	.size	_ZN4vllm25paged_attention_v1_kernelI14__hip_bfloat16hLi120ELi16ELi128ELNS_18Fp8KVCacheDataTypeE1ELb0EEEvPT_PKS3_PKT0_S9_ifPKiSB_iPKfiiiSD_SD_iiiii, .Lfunc_end306-_ZN4vllm25paged_attention_v1_kernelI14__hip_bfloat16hLi120ELi16ELi128ELNS_18Fp8KVCacheDataTypeE1ELb0EEEvPT_PKS3_PKT0_S9_ifPKiSB_iPKfiiiSD_SD_iiiii
                                        ; -- End function
	.set _ZN4vllm25paged_attention_v1_kernelI14__hip_bfloat16hLi120ELi16ELi128ELNS_18Fp8KVCacheDataTypeE1ELb0EEEvPT_PKS3_PKT0_S9_ifPKiSB_iPKfiiiSD_SD_iiiii.num_vgpr, 64
	.set _ZN4vllm25paged_attention_v1_kernelI14__hip_bfloat16hLi120ELi16ELi128ELNS_18Fp8KVCacheDataTypeE1ELb0EEEvPT_PKS3_PKT0_S9_ifPKiSB_iPKfiiiSD_SD_iiiii.num_agpr, 0
	.set _ZN4vllm25paged_attention_v1_kernelI14__hip_bfloat16hLi120ELi16ELi128ELNS_18Fp8KVCacheDataTypeE1ELb0EEEvPT_PKS3_PKT0_S9_ifPKiSB_iPKfiiiSD_SD_iiiii.numbered_sgpr, 48
	.set _ZN4vllm25paged_attention_v1_kernelI14__hip_bfloat16hLi120ELi16ELi128ELNS_18Fp8KVCacheDataTypeE1ELb0EEEvPT_PKS3_PKT0_S9_ifPKiSB_iPKfiiiSD_SD_iiiii.num_named_barrier, 0
	.set _ZN4vllm25paged_attention_v1_kernelI14__hip_bfloat16hLi120ELi16ELi128ELNS_18Fp8KVCacheDataTypeE1ELb0EEEvPT_PKS3_PKT0_S9_ifPKiSB_iPKfiiiSD_SD_iiiii.private_seg_size, 84
	.set _ZN4vllm25paged_attention_v1_kernelI14__hip_bfloat16hLi120ELi16ELi128ELNS_18Fp8KVCacheDataTypeE1ELb0EEEvPT_PKS3_PKT0_S9_ifPKiSB_iPKfiiiSD_SD_iiiii.uses_vcc, 1
	.set _ZN4vllm25paged_attention_v1_kernelI14__hip_bfloat16hLi120ELi16ELi128ELNS_18Fp8KVCacheDataTypeE1ELb0EEEvPT_PKS3_PKT0_S9_ifPKiSB_iPKfiiiSD_SD_iiiii.uses_flat_scratch, 0
	.set _ZN4vllm25paged_attention_v1_kernelI14__hip_bfloat16hLi120ELi16ELi128ELNS_18Fp8KVCacheDataTypeE1ELb0EEEvPT_PKS3_PKT0_S9_ifPKiSB_iPKfiiiSD_SD_iiiii.has_dyn_sized_stack, 0
	.set _ZN4vllm25paged_attention_v1_kernelI14__hip_bfloat16hLi120ELi16ELi128ELNS_18Fp8KVCacheDataTypeE1ELb0EEEvPT_PKS3_PKT0_S9_ifPKiSB_iPKfiiiSD_SD_iiiii.has_recursion, 0
	.set _ZN4vllm25paged_attention_v1_kernelI14__hip_bfloat16hLi120ELi16ELi128ELNS_18Fp8KVCacheDataTypeE1ELb0EEEvPT_PKS3_PKT0_S9_ifPKiSB_iPKfiiiSD_SD_iiiii.has_indirect_call, 0
	.section	.AMDGPU.csdata,"",@progbits
; Kernel info:
; codeLenInByte = 21540
; TotalNumSgprs: 52
; NumVgprs: 64
; ScratchSize: 84
; MemoryBound: 0
; FloatMode: 240
; IeeeMode: 1
; LDSByteSize: 256 bytes/workgroup (compile time only)
; SGPRBlocks: 6
; VGPRBlocks: 15
; NumSGPRsForWavesPerEU: 52
; NumVGPRsForWavesPerEU: 64
; Occupancy: 4
; WaveLimiterHint : 1
; COMPUTE_PGM_RSRC2:SCRATCH_EN: 1
; COMPUTE_PGM_RSRC2:USER_SGPR: 6
; COMPUTE_PGM_RSRC2:TRAP_HANDLER: 0
; COMPUTE_PGM_RSRC2:TGID_X_EN: 1
; COMPUTE_PGM_RSRC2:TGID_Y_EN: 1
; COMPUTE_PGM_RSRC2:TGID_Z_EN: 1
; COMPUTE_PGM_RSRC2:TIDIG_COMP_CNT: 0
	.section	.text._ZN4vllm25paged_attention_v1_kernelI14__hip_bfloat16hLi128ELi16ELi128ELNS_18Fp8KVCacheDataTypeE1ELb0EEEvPT_PKS3_PKT0_S9_ifPKiSB_iPKfiiiSD_SD_iiiii,"axG",@progbits,_ZN4vllm25paged_attention_v1_kernelI14__hip_bfloat16hLi128ELi16ELi128ELNS_18Fp8KVCacheDataTypeE1ELb0EEEvPT_PKS3_PKT0_S9_ifPKiSB_iPKfiiiSD_SD_iiiii,comdat
	.protected	_ZN4vllm25paged_attention_v1_kernelI14__hip_bfloat16hLi128ELi16ELi128ELNS_18Fp8KVCacheDataTypeE1ELb0EEEvPT_PKS3_PKT0_S9_ifPKiSB_iPKfiiiSD_SD_iiiii ; -- Begin function _ZN4vllm25paged_attention_v1_kernelI14__hip_bfloat16hLi128ELi16ELi128ELNS_18Fp8KVCacheDataTypeE1ELb0EEEvPT_PKS3_PKT0_S9_ifPKiSB_iPKfiiiSD_SD_iiiii
	.globl	_ZN4vllm25paged_attention_v1_kernelI14__hip_bfloat16hLi128ELi16ELi128ELNS_18Fp8KVCacheDataTypeE1ELb0EEEvPT_PKS3_PKT0_S9_ifPKiSB_iPKfiiiSD_SD_iiiii
	.p2align	8
	.type	_ZN4vllm25paged_attention_v1_kernelI14__hip_bfloat16hLi128ELi16ELi128ELNS_18Fp8KVCacheDataTypeE1ELb0EEEvPT_PKS3_PKT0_S9_ifPKiSB_iPKfiiiSD_SD_iiiii,@function
_ZN4vllm25paged_attention_v1_kernelI14__hip_bfloat16hLi128ELi16ELi128ELNS_18Fp8KVCacheDataTypeE1ELb0EEEvPT_PKS3_PKT0_S9_ifPKiSB_iPKfiiiSD_SD_iiiii: ; @_ZN4vllm25paged_attention_v1_kernelI14__hip_bfloat16hLi128ELi16ELi128ELNS_18Fp8KVCacheDataTypeE1ELb0EEEvPT_PKS3_PKT0_S9_ifPKiSB_iPKfiiiSD_SD_iiiii
; %bb.0:
	s_mov_b64 s[50:51], s[2:3]
	s_mov_b64 s[48:49], s[0:1]
	s_add_u32 s48, s48, s9
	s_load_dword s9, s[4:5], 0x80
	s_load_dwordx2 s[0:1], s[4:5], 0x30
	s_load_dwordx2 s[10:11], s[4:5], 0x20
	s_addc_u32 s49, s49, 0
	s_mov_b32 s20, s7
	s_ashr_i32 s21, s7, 31
	s_lshl_b64 s[2:3], s[20:21], 2
	s_waitcnt lgkmcnt(0)
	s_add_u32 s0, s0, s2
	s_addc_u32 s1, s1, s3
	s_abs_i32 s2, s10
	v_cvt_f32_u32_e32 v1, s2
	s_xor_b32 s3, s9, s10
	s_sub_i32 s10, 0, s2
	s_abs_i32 s7, s9
	v_rcp_iflag_f32_e32 v1, v1
	s_ashr_i32 s3, s3, 31
	v_mul_f32_e32 v1, 0x4f7ffffe, v1
	v_cvt_u32_f32_e32 v1, v1
	v_readfirstlane_b32 s12, v1
	s_mul_i32 s10, s10, s12
	s_mul_hi_u32 s10, s12, s10
	s_add_i32 s12, s12, s10
	s_mul_hi_u32 s10, s7, s12
	s_mul_i32 s12, s10, s2
	s_sub_i32 s7, s7, s12
	s_add_i32 s12, s10, 1
	s_sub_i32 s13, s7, s2
	s_cmp_ge_u32 s7, s2
	s_cselect_b32 s10, s12, s10
	s_cselect_b32 s7, s13, s7
	s_add_i32 s12, s10, 1
	s_cmp_ge_u32 s7, s2
	s_cselect_b32 s2, s12, s10
	s_xor_b32 s2, s2, s3
	s_sub_i32 s19, s2, s3
	s_abs_i32 s16, s19
	v_cvt_f32_u32_e32 v1, s16
	s_load_dwordx2 s[2:3], s[4:5], 0x40
	s_sub_i32 s7, 0, s16
	s_abs_i32 s17, s6
	v_rcp_iflag_f32_e32 v1, v1
	s_mov_b32 s10, 0
	v_mul_f32_e32 v1, 0x4f7ffffe, v1
	v_cvt_u32_f32_e32 v1, v1
	v_readfirstlane_b32 s12, v1
	s_mul_i32 s7, s7, s12
	s_mul_hi_u32 s7, s12, s7
	s_add_i32 s12, s12, s7
	s_waitcnt lgkmcnt(0)
	s_cmp_eq_u64 s[2:3], 0
	s_mul_hi_u32 s18, s17, s12
	s_cbranch_scc1 .LBB307_2
; %bb.1:
	s_ashr_i32 s7, s6, 31
	s_lshl_b64 s[12:13], s[6:7], 2
	s_add_u32 s2, s2, s12
	s_addc_u32 s3, s3, s13
	s_load_dword s10, s[2:3], 0x0
.LBB307_2:
	s_load_dword s33, s[0:1], 0x0
	s_load_dwordx4 s[12:15], s[4:5], 0x48
	s_ashr_i32 s7, s6, 31
	s_waitcnt lgkmcnt(0)
	s_ashr_i32 s15, s19, 31
	v_and_b32_e32 v11, 3, v0
	s_lshl_b32 s22, s6, 7
	v_cmp_gt_u32_e64 s[0:1], 64, v0
	s_and_saveexec_b64 s[2:3], s[0:1]
	s_cbranch_execz .LBB307_4
; %bb.3:
	s_load_dwordx2 s[24:25], s[4:5], 0x8
	s_mul_i32 s26, s12, s20
	s_ashr_i32 s27, s26, 31
	s_lshl_b64 s[26:27], s[26:27], 1
	v_lshlrev_b32_e32 v1, 2, v0
	s_waitcnt lgkmcnt(0)
	s_add_u32 s6, s24, s26
	s_addc_u32 s12, s25, s27
	s_ashr_i32 s23, s22, 31
	s_lshl_b64 s[24:25], s[22:23], 1
	s_add_u32 s24, s6, s24
	s_addc_u32 s25, s12, s25
	global_load_dword v1, v1, s[24:25]
	v_and_b32_e32 v2, 0x3fc, v0
	v_lshl_add_u32 v2, v11, 6, v2
	s_waitcnt vmcnt(0)
	ds_write_b32 v2, v1
.LBB307_4:
	s_or_b64 exec, exec, s[2:3]
	s_add_i32 s3, s33, 15
	s_ashr_i32 s6, s3, 31
	s_lshr_b32 s6, s6, 28
	s_add_i32 s3, s3, s6
	s_mul_i32 s6, s18, s16
	s_sub_i32 s6, s17, s6
	s_ashr_i32 s23, s3, 4
	s_xor_b32 s3, s7, s15
	s_add_i32 s7, s18, 1
	s_sub_i32 s12, s6, s16
	s_load_dwordx2 s[26:27], s[4:5], 0x28
	s_load_dword s2, s[4:5], 0x38
	s_cmp_ge_u32 s6, s16
	s_cselect_b32 s7, s7, s18
	s_cselect_b32 s6, s12, s6
	s_add_i32 s12, s7, 1
	s_cmp_ge_u32 s6, s16
	s_cselect_b32 s6, s12, s7
	v_lshrrev_b32_e32 v20, 6, v0
	s_xor_b32 s6, s6, s3
	s_waitcnt lgkmcnt(0)
	s_mul_i32 s28, s2, s20
	s_sub_i32 s12, s6, s3
	s_ashr_i32 s29, s28, 31
	v_cmp_gt_i32_e64 s[2:3], s23, v20
	v_cmp_le_i32_e32 vcc, s23, v20
	v_mbcnt_lo_u32_b32 v5, -1, 0
	buffer_store_dword v0, off, s[48:51], 0 offset:84 ; 4-byte Folded Spill
	s_waitcnt vmcnt(0)
	s_barrier
                                        ; implicit-def: $vgpr14
                                        ; implicit-def: $vgpr8
                                        ; implicit-def: $vgpr15
	s_and_saveexec_b64 s[6:7], vcc
	s_xor_b64 s[6:7], exec, s[6:7]
; %bb.5:
	v_mbcnt_hi_u32_b32 v14, -1, v5
	v_and_b32_e32 v8, 64, v14
	v_add_u32_e32 v15, 64, v8
                                        ; implicit-def: $vgpr11
                                        ; implicit-def: $vgpr5
; %bb.6:
	s_or_saveexec_b64 s[34:35], s[6:7]
	s_load_dwordx2 s[24:25], s[4:5], 0x0
	s_load_dwordx2 s[30:31], s[4:5], 0x18
	s_load_dword s21, s[4:5], 0x88
	s_load_dwordx4 s[16:19], s[4:5], 0x58
	buffer_load_dword v0, off, s[48:51], 0 offset:84 ; 4-byte Folded Reload
	v_mov_b32_e32 v46, 0xff7fffff
	s_mul_i32 s12, s12, s14
	s_waitcnt vmcnt(0)
	v_lshrrev_b32_e32 v13, 4, v0
	s_xor_b64 exec, exec, s[34:35]
	s_cbranch_execz .LBB307_204
; %bb.7:
	v_lshlrev_b32_e32 v10, 6, v11
	ds_read_b128 v[1:4], v10
	ds_read_b128 v[6:9], v10 offset:16
	s_load_dwordx2 s[4:5], s[4:5], 0x10
	s_ashr_i32 s6, s12, 31
	v_mbcnt_hi_u32_b32 v5, -1, v5
	s_waitcnt lgkmcnt(0)
	v_lshlrev_b32_e32 v0, 16, v1
	buffer_store_dword v0, off, s[48:51], 0 ; 4-byte Folded Spill
	v_and_b32_e32 v0, 0xffff0000, v1
	buffer_store_dword v0, off, s[48:51], 0 offset:8 ; 4-byte Folded Spill
	v_lshlrev_b32_e32 v0, 16, v2
	buffer_store_dword v0, off, s[48:51], 0 offset:12 ; 4-byte Folded Spill
	v_and_b32_e32 v0, 0xffff0000, v2
	buffer_store_dword v0, off, s[48:51], 0 offset:16 ; 4-byte Folded Spill
	v_lshlrev_b32_e32 v0, 16, v3
	buffer_store_dword v0, off, s[48:51], 0 offset:20 ; 4-byte Folded Spill
	;; [unrolled: 4-line block ×5, first 2 shown]
	v_and_b32_e32 v0, 0xffff0000, v7
	ds_read_b128 v[1:4], v10 offset:32
	buffer_store_dword v0, off, s[48:51], 0 offset:48 ; 4-byte Folded Spill
	v_lshlrev_b32_e32 v0, 16, v8
	buffer_store_dword v0, off, s[48:51], 0 offset:52 ; 4-byte Folded Spill
	v_and_b32_e32 v0, 0xffff0000, v8
	buffer_store_dword v0, off, s[48:51], 0 offset:56 ; 4-byte Folded Spill
	v_lshlrev_b32_e32 v0, 16, v9
	buffer_store_dword v0, off, s[48:51], 0 offset:60 ; 4-byte Folded Spill
	v_and_b32_e32 v0, 0xffff0000, v9
	buffer_store_dword v0, off, s[48:51], 0 offset:64 ; 4-byte Folded Spill
	ds_read_b128 v[6:9], v10 offset:48
	s_waitcnt lgkmcnt(1)
	v_lshlrev_b32_e32 v0, 16, v1
	buffer_store_dword v0, off, s[48:51], 0 offset:68 ; 4-byte Folded Spill
	v_and_b32_e32 v0, 0xffff0000, v1
	buffer_store_dword v0, off, s[48:51], 0 offset:72 ; 4-byte Folded Spill
	v_lshlrev_b32_e32 v0, 16, v2
	buffer_store_dword v0, off, s[48:51], 0 offset:76 ; 4-byte Folded Spill
	v_and_b32_e32 v0, 0xffff0000, v2
	buffer_store_dword v0, off, s[48:51], 0 offset:80 ; 4-byte Folded Spill
	buffer_load_dword v0, off, s[48:51], 0 offset:84 ; 4-byte Folded Reload
	s_waitcnt lgkmcnt(0)
	v_lshlrev_b32_e32 v38, 16, v6
	v_and_b32_e32 v39, 0xffff0000, v6
	s_add_u32 s4, s4, s12
	s_addc_u32 s5, s5, s6
	v_mov_b32_e32 v2, s5
	s_sub_i32 s40, 1, s33
	v_lshlrev_b32_e32 v34, 16, v3
	v_and_b32_e32 v35, 0xffff0000, v3
	v_lshlrev_b32_e32 v36, 16, v4
	v_and_b32_e32 v37, 0xffff0000, v4
	;; [unrolled: 2-line block ×3, first 2 shown]
	s_load_dword s42, s[16:17], 0x0
	v_lshlrev_b32_e32 v42, 16, v8
	v_and_b32_e32 v43, 0xffff0000, v8
	v_lshlrev_b32_e32 v44, 16, v9
	v_and_b32_e32 v45, 0xffff0000, v9
	s_mov_b32 s41, s13
	s_mov_b64 s[14:15], 0
	s_movk_i32 s43, 0x80
	s_movk_i32 s44, 0x7f
	;; [unrolled: 1-line block ×3, first 2 shown]
	v_mov_b32_e32 v51, 0
	v_mov_b32_e32 v46, 0xff7fffff
	v_bfrev_b32_e32 v52, 60
	v_mov_b32_e32 v53, v20
	buffer_store_dword v13, off, s[48:51], 0 offset:88 ; 4-byte Folded Spill
	buffer_store_dword v5, off, s[48:51], 0 offset:92 ; 4-byte Folded Spill
	s_waitcnt vmcnt(2)
	v_bfe_u32 v6, v0, 2, 4
	v_lshlrev_b32_e32 v1, 4, v6
	v_add_co_u32_e32 v1, vcc, s4, v1
	v_lshlrev_b32_e32 v0, 1, v11
	v_addc_co_u32_e32 v2, vcc, 0, v2, vcc
	v_add_co_u32_e64 v1, s[4:5], v1, v0
	v_addc_co_u32_e64 v2, s[4:5], 0, v2, s[4:5]
	s_lshl_b64 s[4:5], s[28:29], 2
	s_add_u32 s4, s26, s4
	s_addc_u32 s5, s27, s5
	v_and_b32_e32 v0, 60, v13
	v_mov_b32_e32 v4, s5
	v_add_co_u32_e64 v3, s[4:5], s4, v0
	v_and_b32_e32 v0, 64, v5
	v_addc_co_u32_e64 v4, s[4:5], 0, v4, s[4:5]
	buffer_store_dword v0, off, s[48:51], 0 offset:96 ; 4-byte Folded Spill
	v_add_u32_e32 v7, 64, v0
	v_xor_b32_e32 v0, 2, v5
	v_cmp_lt_i32_e64 s[4:5], v0, v7
	v_cndmask_b32_e64 v0, v5, v0, s[4:5]
	v_lshlrev_b32_e32 v47, 2, v0
	v_xor_b32_e32 v0, 1, v5
	v_cmp_lt_i32_e64 s[4:5], v0, v7
	v_cndmask_b32_e64 v0, v5, v0, s[4:5]
	v_lshlrev_b32_e32 v48, 2, v0
	v_lshlrev_b32_e32 v0, 2, v6
	v_lshl_or_b32 v0, v20, 6, v0
	v_cmp_eq_u32_e32 vcc, 0, v11
	v_cmp_neq_f32_e64 s[4:5], s10, 0
	v_lshl_or_b32 v49, v20, 4, v6
	v_add_u32_e32 v50, 0x110, v0
	s_branch .LBB307_9
.LBB307_8:                              ;   in Loop: Header=BB307_9 Depth=1
	s_or_b64 exec, exec, s[16:17]
	v_add_u32_e32 v53, 2, v53
	v_cmp_le_i32_e64 s[6:7], s23, v53
	s_or_b64 s[14:15], s[6:7], s[14:15]
	v_add_co_u32_e64 v3, s[6:7], 8, v3
	v_add_u32_e32 v49, 32, v49
	v_add_u32_e32 v50, 0x80, v50
	v_addc_co_u32_e64 v4, s[6:7], 0, v4, s[6:7]
	s_andn2_b64 exec, exec, s[14:15]
	s_cbranch_execz .LBB307_203
.LBB307_9:                              ; =>This Inner Loop Header: Depth=1
	global_load_dword v0, v[3:4], off
	v_mov_b32_e32 v54, 0
	s_waitcnt vmcnt(0) lgkmcnt(0)
	v_mad_i64_i32 v[5:6], s[6:7], v0, s41, v[1:2]
	global_load_ushort v0, v[5:6], off
	s_waitcnt vmcnt(0)
	v_and_b32_e32 v7, 0xffff, v0
	v_cmp_ne_u16_sdwa s[6:7], v0, v51 src0_sel:BYTE_0 src1_sel:DWORD
	s_and_saveexec_b64 s[16:17], s[6:7]
	s_cbranch_execz .LBB307_15
; %bb.10:                               ;   in Loop: Header=BB307_9 Depth=1
	v_cmp_ne_u16_sdwa s[6:7], v7, s43 src0_sel:BYTE_0 src1_sel:DWORD
	v_bfrev_b32_e32 v54, 1
	s_and_saveexec_b64 s[36:37], s[6:7]
	s_cbranch_execz .LBB307_14
; %bb.11:                               ;   in Loop: Header=BB307_9 Depth=1
	v_and_b32_e32 v0, 0x7f, v7
	v_cmp_ne_u32_e64 s[6:7], s44, v0
	v_mov_b32_e32 v54, 0x7f800001
	s_and_saveexec_b64 s[38:39], s[6:7]
	s_cbranch_execz .LBB307_13
; %bb.12:                               ;   in Loop: Header=BB307_9 Depth=1
	v_and_b32_e32 v10, 7, v7
	v_ffbh_u32_e32 v8, v10
	v_min_u32_e32 v12, 32, v8
	v_subrev_u32_e32 v8, 28, v12
	v_lshlrev_b64 v[8:9], v8, v[7:8]
	v_lshrrev_b32_e32 v11, 3, v0
	v_sub_u32_e32 v9, 29, v12
	v_and_b32_e32 v8, 7, v8
	v_cmp_gt_u32_e64 s[6:7], 8, v0
	v_cndmask_b32_e64 v0, v11, v9, s[6:7]
	v_cndmask_b32_e64 v8, v10, v8, s[6:7]
	v_lshlrev_b32_e32 v9, 24, v7
	v_lshlrev_b32_e32 v8, 20, v8
	v_and_b32_e32 v9, 0x80000000, v9
	v_lshl_add_u32 v0, v0, 23, v52
	v_or3_b32 v54, v9, v0, v8
.LBB307_13:                             ;   in Loop: Header=BB307_9 Depth=1
	s_or_b64 exec, exec, s[38:39]
.LBB307_14:                             ;   in Loop: Header=BB307_9 Depth=1
	s_or_b64 exec, exec, s[36:37]
.LBB307_15:                             ;   in Loop: Header=BB307_9 Depth=1
	s_or_b64 exec, exec, s[16:17]
	v_lshrrev_b16_e32 v8, 8, v7
	v_cmp_ne_u16_e64 s[6:7], 0, v8
	v_mov_b32_e32 v56, 0
	v_mov_b32_e32 v55, 0
	s_and_saveexec_b64 s[16:17], s[6:7]
	s_cbranch_execz .LBB307_21
; %bb.16:                               ;   in Loop: Header=BB307_9 Depth=1
	v_cmp_ne_u16_e64 s[6:7], s43, v8
	v_bfrev_b32_e32 v55, 1
	s_and_saveexec_b64 s[36:37], s[6:7]
	s_cbranch_execz .LBB307_20
; %bb.17:                               ;   in Loop: Header=BB307_9 Depth=1
	v_and_b32_e32 v0, 0x7f, v8
	v_cmp_ne_u32_e64 s[6:7], s44, v0
	v_mov_b32_e32 v55, 0x7f800001
	s_and_saveexec_b64 s[38:39], s[6:7]
	s_cbranch_execz .LBB307_19
; %bb.18:                               ;   in Loop: Header=BB307_9 Depth=1
	v_and_b32_e32 v10, 7, v8
	v_ffbh_u32_e32 v9, v10
	v_min_u32_e32 v12, 32, v9
	v_subrev_u32_e32 v9, 28, v12
	v_lshlrev_b64 v[8:9], v9, v[8:9]
	v_lshrrev_b32_e32 v11, 3, v0
	v_sub_u32_e32 v9, 29, v12
	v_and_b32_e32 v8, 7, v8
	v_cmp_gt_u32_e64 s[6:7], 8, v0
	v_cndmask_b32_e64 v0, v11, v9, s[6:7]
	v_cndmask_b32_e64 v8, v10, v8, s[6:7]
	v_lshlrev_b32_e32 v7, 16, v7
	v_lshlrev_b32_e32 v8, 20, v8
	v_and_b32_e32 v7, 0x80000000, v7
	v_lshl_add_u32 v0, v0, 23, v52
	v_or3_b32 v55, v7, v0, v8
.LBB307_19:                             ;   in Loop: Header=BB307_9 Depth=1
	s_or_b64 exec, exec, s[38:39]
.LBB307_20:                             ;   in Loop: Header=BB307_9 Depth=1
	s_or_b64 exec, exec, s[36:37]
.LBB307_21:                             ;   in Loop: Header=BB307_9 Depth=1
	s_or_b64 exec, exec, s[16:17]
	global_load_ushort v0, v[5:6], off offset:8
	s_waitcnt vmcnt(0)
	v_and_b32_e32 v7, 0xffff, v0
	v_cmp_ne_u16_sdwa s[6:7], v0, v51 src0_sel:BYTE_0 src1_sel:DWORD
	s_and_saveexec_b64 s[16:17], s[6:7]
	s_cbranch_execz .LBB307_27
; %bb.22:                               ;   in Loop: Header=BB307_9 Depth=1
	v_cmp_ne_u16_sdwa s[6:7], v7, s43 src0_sel:BYTE_0 src1_sel:DWORD
	v_bfrev_b32_e32 v56, 1
	s_and_saveexec_b64 s[36:37], s[6:7]
	s_cbranch_execz .LBB307_26
; %bb.23:                               ;   in Loop: Header=BB307_9 Depth=1
	v_and_b32_e32 v0, 0x7f, v7
	v_cmp_ne_u32_e64 s[6:7], s44, v0
	v_mov_b32_e32 v56, 0x7f800001
	s_and_saveexec_b64 s[38:39], s[6:7]
	s_cbranch_execz .LBB307_25
; %bb.24:                               ;   in Loop: Header=BB307_9 Depth=1
	v_and_b32_e32 v10, 7, v7
	v_ffbh_u32_e32 v8, v10
	v_min_u32_e32 v12, 32, v8
	v_subrev_u32_e32 v8, 28, v12
	v_lshlrev_b64 v[8:9], v8, v[7:8]
	v_lshrrev_b32_e32 v11, 3, v0
	v_sub_u32_e32 v9, 29, v12
	v_and_b32_e32 v8, 7, v8
	v_cmp_gt_u32_e64 s[6:7], 8, v0
	v_cndmask_b32_e64 v0, v11, v9, s[6:7]
	v_cndmask_b32_e64 v8, v10, v8, s[6:7]
	v_lshlrev_b32_e32 v9, 24, v7
	v_lshlrev_b32_e32 v8, 20, v8
	v_and_b32_e32 v9, 0x80000000, v9
	v_lshl_add_u32 v0, v0, 23, v52
	v_or3_b32 v56, v9, v0, v8
.LBB307_25:                             ;   in Loop: Header=BB307_9 Depth=1
	s_or_b64 exec, exec, s[38:39]
.LBB307_26:                             ;   in Loop: Header=BB307_9 Depth=1
	s_or_b64 exec, exec, s[36:37]
.LBB307_27:                             ;   in Loop: Header=BB307_9 Depth=1
	s_or_b64 exec, exec, s[16:17]
	v_lshrrev_b16_e32 v8, 8, v7
	v_cmp_ne_u16_e64 s[6:7], 0, v8
	v_mov_b32_e32 v58, 0
	v_mov_b32_e32 v57, 0
	s_and_saveexec_b64 s[16:17], s[6:7]
	s_cbranch_execz .LBB307_33
; %bb.28:                               ;   in Loop: Header=BB307_9 Depth=1
	v_cmp_ne_u16_e64 s[6:7], s43, v8
	v_bfrev_b32_e32 v57, 1
	s_and_saveexec_b64 s[36:37], s[6:7]
	s_cbranch_execz .LBB307_32
; %bb.29:                               ;   in Loop: Header=BB307_9 Depth=1
	v_and_b32_e32 v0, 0x7f, v8
	v_cmp_ne_u32_e64 s[6:7], s44, v0
	v_mov_b32_e32 v57, 0x7f800001
	s_and_saveexec_b64 s[38:39], s[6:7]
	s_cbranch_execz .LBB307_31
; %bb.30:                               ;   in Loop: Header=BB307_9 Depth=1
	v_and_b32_e32 v10, 7, v8
	v_lshrrev_b32_e32 v11, 3, v0
	v_cmp_gt_u32_e64 s[6:7], 8, v0
	v_ffbh_u32_e32 v0, v10
	v_min_u32_e32 v0, 32, v0
	v_subrev_u32_e32 v9, 28, v0
	v_lshlrev_b64 v[8:9], v9, v[8:9]
	v_sub_u32_e32 v0, 29, v0
	v_and_b32_e32 v8, 7, v8
	v_cndmask_b32_e64 v0, v11, v0, s[6:7]
	v_cndmask_b32_e64 v8, v10, v8, s[6:7]
	v_lshlrev_b32_e32 v7, 16, v7
	v_lshlrev_b32_e32 v8, 20, v8
	v_and_b32_e32 v7, 0x80000000, v7
	v_lshl_add_u32 v0, v0, 23, v52
	v_or3_b32 v57, v7, v0, v8
.LBB307_31:                             ;   in Loop: Header=BB307_9 Depth=1
	s_or_b64 exec, exec, s[38:39]
.LBB307_32:                             ;   in Loop: Header=BB307_9 Depth=1
	s_or_b64 exec, exec, s[36:37]
.LBB307_33:                             ;   in Loop: Header=BB307_9 Depth=1
	s_or_b64 exec, exec, s[16:17]
	global_load_ushort v0, v[5:6], off offset:256
	s_waitcnt vmcnt(0)
	v_and_b32_e32 v7, 0xffff, v0
	v_cmp_ne_u16_sdwa s[6:7], v0, v51 src0_sel:BYTE_0 src1_sel:DWORD
	s_and_saveexec_b64 s[16:17], s[6:7]
	s_cbranch_execz .LBB307_39
; %bb.34:                               ;   in Loop: Header=BB307_9 Depth=1
	v_cmp_ne_u16_sdwa s[6:7], v7, s43 src0_sel:BYTE_0 src1_sel:DWORD
	v_bfrev_b32_e32 v58, 1
	s_and_saveexec_b64 s[36:37], s[6:7]
	s_cbranch_execz .LBB307_38
; %bb.35:                               ;   in Loop: Header=BB307_9 Depth=1
	v_and_b32_e32 v0, 0x7f, v7
	v_cmp_ne_u32_e64 s[6:7], s44, v0
	v_mov_b32_e32 v58, 0x7f800001
	s_and_saveexec_b64 s[38:39], s[6:7]
	s_cbranch_execz .LBB307_37
; %bb.36:                               ;   in Loop: Header=BB307_9 Depth=1
	v_and_b32_e32 v10, 7, v7
	v_ffbh_u32_e32 v8, v10
	v_min_u32_e32 v12, 32, v8
	v_subrev_u32_e32 v8, 28, v12
	v_lshlrev_b64 v[8:9], v8, v[7:8]
	v_lshrrev_b32_e32 v11, 3, v0
	v_sub_u32_e32 v9, 29, v12
	v_and_b32_e32 v8, 7, v8
	v_cmp_gt_u32_e64 s[6:7], 8, v0
	v_cndmask_b32_e64 v0, v11, v9, s[6:7]
	v_cndmask_b32_e64 v8, v10, v8, s[6:7]
	v_lshlrev_b32_e32 v9, 24, v7
	v_lshlrev_b32_e32 v8, 20, v8
	v_and_b32_e32 v9, 0x80000000, v9
	v_lshl_add_u32 v0, v0, 23, v52
	v_or3_b32 v58, v9, v0, v8
.LBB307_37:                             ;   in Loop: Header=BB307_9 Depth=1
	s_or_b64 exec, exec, s[38:39]
.LBB307_38:                             ;   in Loop: Header=BB307_9 Depth=1
	s_or_b64 exec, exec, s[36:37]
.LBB307_39:                             ;   in Loop: Header=BB307_9 Depth=1
	s_or_b64 exec, exec, s[16:17]
	v_lshrrev_b16_e32 v8, 8, v7
	v_cmp_ne_u16_e64 s[6:7], 0, v8
	v_mov_b32_e32 v60, 0
	v_mov_b32_e32 v59, 0
	s_and_saveexec_b64 s[16:17], s[6:7]
	s_cbranch_execz .LBB307_45
; %bb.40:                               ;   in Loop: Header=BB307_9 Depth=1
	v_cmp_ne_u16_e64 s[6:7], s43, v8
	v_bfrev_b32_e32 v59, 1
	s_and_saveexec_b64 s[36:37], s[6:7]
	s_cbranch_execz .LBB307_44
; %bb.41:                               ;   in Loop: Header=BB307_9 Depth=1
	v_and_b32_e32 v0, 0x7f, v8
	v_cmp_ne_u32_e64 s[6:7], s44, v0
	v_mov_b32_e32 v59, 0x7f800001
	s_and_saveexec_b64 s[38:39], s[6:7]
	s_cbranch_execz .LBB307_43
; %bb.42:                               ;   in Loop: Header=BB307_9 Depth=1
	v_and_b32_e32 v10, 7, v8
	v_lshrrev_b32_e32 v11, 3, v0
	v_cmp_gt_u32_e64 s[6:7], 8, v0
	v_ffbh_u32_e32 v0, v10
	v_min_u32_e32 v0, 32, v0
	v_subrev_u32_e32 v9, 28, v0
	v_lshlrev_b64 v[8:9], v9, v[8:9]
	v_sub_u32_e32 v0, 29, v0
	v_and_b32_e32 v8, 7, v8
	v_cndmask_b32_e64 v0, v11, v0, s[6:7]
	v_cndmask_b32_e64 v8, v10, v8, s[6:7]
	v_lshlrev_b32_e32 v7, 16, v7
	v_lshlrev_b32_e32 v8, 20, v8
	v_and_b32_e32 v7, 0x80000000, v7
	v_lshl_add_u32 v0, v0, 23, v52
	v_or3_b32 v59, v7, v0, v8
.LBB307_43:                             ;   in Loop: Header=BB307_9 Depth=1
	s_or_b64 exec, exec, s[38:39]
.LBB307_44:                             ;   in Loop: Header=BB307_9 Depth=1
	s_or_b64 exec, exec, s[36:37]
.LBB307_45:                             ;   in Loop: Header=BB307_9 Depth=1
	s_or_b64 exec, exec, s[16:17]
	global_load_ushort v0, v[5:6], off offset:264
	s_waitcnt vmcnt(0)
	v_and_b32_e32 v7, 0xffff, v0
	v_cmp_ne_u16_sdwa s[6:7], v0, v51 src0_sel:BYTE_0 src1_sel:DWORD
	s_and_saveexec_b64 s[16:17], s[6:7]
	s_cbranch_execz .LBB307_51
; %bb.46:                               ;   in Loop: Header=BB307_9 Depth=1
	v_cmp_ne_u16_sdwa s[6:7], v7, s43 src0_sel:BYTE_0 src1_sel:DWORD
	v_bfrev_b32_e32 v60, 1
	s_and_saveexec_b64 s[36:37], s[6:7]
	s_cbranch_execz .LBB307_50
; %bb.47:                               ;   in Loop: Header=BB307_9 Depth=1
	v_and_b32_e32 v0, 0x7f, v7
	v_cmp_ne_u32_e64 s[6:7], s44, v0
	v_mov_b32_e32 v60, 0x7f800001
	s_and_saveexec_b64 s[38:39], s[6:7]
	s_cbranch_execz .LBB307_49
; %bb.48:                               ;   in Loop: Header=BB307_9 Depth=1
	v_and_b32_e32 v10, 7, v7
	v_lshrrev_b32_e32 v11, 3, v0
	v_cmp_gt_u32_e64 s[6:7], 8, v0
	v_ffbh_u32_e32 v0, v10
	v_min_u32_e32 v0, 32, v0
	v_subrev_u32_e32 v8, 28, v0
	v_lshlrev_b64 v[8:9], v8, v[7:8]
	v_sub_u32_e32 v0, 29, v0
	v_and_b32_e32 v8, 7, v8
	v_cndmask_b32_e64 v0, v11, v0, s[6:7]
	v_cndmask_b32_e64 v8, v10, v8, s[6:7]
	v_lshlrev_b32_e32 v9, 24, v7
	v_lshlrev_b32_e32 v8, 20, v8
	v_and_b32_e32 v9, 0x80000000, v9
	v_lshl_add_u32 v0, v0, 23, v52
	v_or3_b32 v60, v9, v0, v8
.LBB307_49:                             ;   in Loop: Header=BB307_9 Depth=1
	s_or_b64 exec, exec, s[38:39]
.LBB307_50:                             ;   in Loop: Header=BB307_9 Depth=1
	s_or_b64 exec, exec, s[36:37]
.LBB307_51:                             ;   in Loop: Header=BB307_9 Depth=1
	s_or_b64 exec, exec, s[16:17]
	v_lshrrev_b16_e32 v8, 8, v7
	v_cmp_ne_u16_e64 s[6:7], 0, v8
	v_mov_b32_e32 v62, 0
	v_mov_b32_e32 v61, 0
	s_and_saveexec_b64 s[16:17], s[6:7]
	s_cbranch_execz .LBB307_57
; %bb.52:                               ;   in Loop: Header=BB307_9 Depth=1
	v_cmp_ne_u16_e64 s[6:7], s43, v8
	v_bfrev_b32_e32 v61, 1
	s_and_saveexec_b64 s[36:37], s[6:7]
	s_cbranch_execz .LBB307_56
; %bb.53:                               ;   in Loop: Header=BB307_9 Depth=1
	v_and_b32_e32 v0, 0x7f, v8
	v_cmp_ne_u32_e64 s[6:7], s44, v0
	v_mov_b32_e32 v61, 0x7f800001
	s_and_saveexec_b64 s[38:39], s[6:7]
	s_cbranch_execz .LBB307_55
; %bb.54:                               ;   in Loop: Header=BB307_9 Depth=1
	v_and_b32_e32 v10, 7, v8
	v_lshrrev_b32_e32 v11, 3, v0
	v_cmp_gt_u32_e64 s[6:7], 8, v0
	v_ffbh_u32_e32 v0, v10
	v_min_u32_e32 v0, 32, v0
	v_subrev_u32_e32 v9, 28, v0
	v_lshlrev_b64 v[8:9], v9, v[8:9]
	v_sub_u32_e32 v0, 29, v0
	v_and_b32_e32 v8, 7, v8
	v_cndmask_b32_e64 v0, v11, v0, s[6:7]
	v_cndmask_b32_e64 v8, v10, v8, s[6:7]
	v_lshlrev_b32_e32 v7, 16, v7
	v_lshlrev_b32_e32 v8, 20, v8
	v_and_b32_e32 v7, 0x80000000, v7
	v_lshl_add_u32 v0, v0, 23, v52
	v_or3_b32 v61, v7, v0, v8
.LBB307_55:                             ;   in Loop: Header=BB307_9 Depth=1
	s_or_b64 exec, exec, s[38:39]
.LBB307_56:                             ;   in Loop: Header=BB307_9 Depth=1
	s_or_b64 exec, exec, s[36:37]
.LBB307_57:                             ;   in Loop: Header=BB307_9 Depth=1
	s_or_b64 exec, exec, s[16:17]
	global_load_ushort v0, v[5:6], off offset:512
	s_waitcnt vmcnt(0)
	v_and_b32_e32 v7, 0xffff, v0
	v_cmp_ne_u16_sdwa s[6:7], v0, v51 src0_sel:BYTE_0 src1_sel:DWORD
	s_and_saveexec_b64 s[16:17], s[6:7]
	s_cbranch_execz .LBB307_63
; %bb.58:                               ;   in Loop: Header=BB307_9 Depth=1
	v_cmp_ne_u16_sdwa s[6:7], v7, s43 src0_sel:BYTE_0 src1_sel:DWORD
	v_bfrev_b32_e32 v62, 1
	s_and_saveexec_b64 s[36:37], s[6:7]
	s_cbranch_execz .LBB307_62
; %bb.59:                               ;   in Loop: Header=BB307_9 Depth=1
	v_and_b32_e32 v0, 0x7f, v7
	v_cmp_ne_u32_e64 s[6:7], s44, v0
	v_mov_b32_e32 v62, 0x7f800001
	s_and_saveexec_b64 s[38:39], s[6:7]
	s_cbranch_execz .LBB307_61
; %bb.60:                               ;   in Loop: Header=BB307_9 Depth=1
	v_and_b32_e32 v10, 7, v7
	v_lshrrev_b32_e32 v11, 3, v0
	v_cmp_gt_u32_e64 s[6:7], 8, v0
	v_ffbh_u32_e32 v0, v10
	v_min_u32_e32 v0, 32, v0
	v_subrev_u32_e32 v8, 28, v0
	v_lshlrev_b64 v[8:9], v8, v[7:8]
	v_sub_u32_e32 v0, 29, v0
	v_and_b32_e32 v8, 7, v8
	v_cndmask_b32_e64 v0, v11, v0, s[6:7]
	v_cndmask_b32_e64 v8, v10, v8, s[6:7]
	v_lshlrev_b32_e32 v9, 24, v7
	v_lshlrev_b32_e32 v8, 20, v8
	v_and_b32_e32 v9, 0x80000000, v9
	v_lshl_add_u32 v0, v0, 23, v52
	v_or3_b32 v62, v9, v0, v8
.LBB307_61:                             ;   in Loop: Header=BB307_9 Depth=1
	s_or_b64 exec, exec, s[38:39]
.LBB307_62:                             ;   in Loop: Header=BB307_9 Depth=1
	s_or_b64 exec, exec, s[36:37]
.LBB307_63:                             ;   in Loop: Header=BB307_9 Depth=1
	s_or_b64 exec, exec, s[16:17]
	v_lshrrev_b16_e32 v8, 8, v7
	v_cmp_ne_u16_e64 s[6:7], 0, v8
	v_mov_b32_e32 v9, 0
	v_mov_b32_e32 v63, 0
	s_and_saveexec_b64 s[16:17], s[6:7]
	s_cbranch_execz .LBB307_69
; %bb.64:                               ;   in Loop: Header=BB307_9 Depth=1
	v_cmp_ne_u16_e64 s[6:7], s43, v8
	v_bfrev_b32_e32 v63, 1
	s_and_saveexec_b64 s[36:37], s[6:7]
	s_cbranch_execz .LBB307_68
; %bb.65:                               ;   in Loop: Header=BB307_9 Depth=1
	v_and_b32_e32 v0, 0x7f, v8
	v_cmp_ne_u32_e64 s[6:7], s44, v0
	v_mov_b32_e32 v63, 0x7f800001
	s_and_saveexec_b64 s[38:39], s[6:7]
	s_cbranch_execz .LBB307_67
; %bb.66:                               ;   in Loop: Header=BB307_9 Depth=1
	v_and_b32_e32 v12, 7, v8
	v_lshrrev_b32_e32 v13, 3, v0
	v_cmp_gt_u32_e64 s[6:7], 8, v0
	v_ffbh_u32_e32 v0, v12
	v_min_u32_e32 v0, 32, v0
	v_subrev_u32_e32 v10, 28, v0
	v_lshlrev_b64 v[10:11], v10, v[8:9]
	v_sub_u32_e32 v0, 29, v0
	v_and_b32_e32 v8, 7, v10
	v_cndmask_b32_e64 v0, v13, v0, s[6:7]
	v_cndmask_b32_e64 v8, v12, v8, s[6:7]
	v_lshlrev_b32_e32 v7, 16, v7
	v_lshlrev_b32_e32 v8, 20, v8
	v_and_b32_e32 v7, 0x80000000, v7
	v_lshl_add_u32 v0, v0, 23, v52
	v_or3_b32 v63, v7, v0, v8
.LBB307_67:                             ;   in Loop: Header=BB307_9 Depth=1
	s_or_b64 exec, exec, s[38:39]
.LBB307_68:                             ;   in Loop: Header=BB307_9 Depth=1
	s_or_b64 exec, exec, s[36:37]
.LBB307_69:                             ;   in Loop: Header=BB307_9 Depth=1
	s_or_b64 exec, exec, s[16:17]
	global_load_ushort v0, v[5:6], off offset:520
	s_waitcnt vmcnt(0)
	v_and_b32_e32 v7, 0xffff, v0
	v_cmp_ne_u16_sdwa s[6:7], v0, v51 src0_sel:BYTE_0 src1_sel:DWORD
	s_and_saveexec_b64 s[16:17], s[6:7]
	s_cbranch_execz .LBB307_75
; %bb.70:                               ;   in Loop: Header=BB307_9 Depth=1
	v_cmp_ne_u16_sdwa s[6:7], v7, s43 src0_sel:BYTE_0 src1_sel:DWORD
	v_bfrev_b32_e32 v9, 1
	s_and_saveexec_b64 s[36:37], s[6:7]
	s_cbranch_execz .LBB307_74
; %bb.71:                               ;   in Loop: Header=BB307_9 Depth=1
	v_and_b32_e32 v0, 0x7f, v7
	v_cmp_ne_u32_e64 s[6:7], s44, v0
	v_mov_b32_e32 v9, 0x7f800001
	s_and_saveexec_b64 s[38:39], s[6:7]
	s_cbranch_execz .LBB307_73
; %bb.72:                               ;   in Loop: Header=BB307_9 Depth=1
	v_and_b32_e32 v10, 7, v7
	v_lshrrev_b32_e32 v11, 3, v0
	v_cmp_gt_u32_e64 s[6:7], 8, v0
	v_ffbh_u32_e32 v0, v10
	v_min_u32_e32 v0, 32, v0
	v_subrev_u32_e32 v8, 28, v0
	v_lshlrev_b64 v[8:9], v8, v[7:8]
	v_sub_u32_e32 v0, 29, v0
	v_and_b32_e32 v8, 7, v8
	v_cndmask_b32_e64 v0, v11, v0, s[6:7]
	v_cndmask_b32_e64 v8, v10, v8, s[6:7]
	v_lshlrev_b32_e32 v9, 24, v7
	v_lshlrev_b32_e32 v8, 20, v8
	v_and_b32_e32 v9, 0x80000000, v9
	v_lshl_add_u32 v0, v0, 23, v52
	v_or3_b32 v9, v9, v0, v8
.LBB307_73:                             ;   in Loop: Header=BB307_9 Depth=1
	s_or_b64 exec, exec, s[38:39]
.LBB307_74:                             ;   in Loop: Header=BB307_9 Depth=1
	s_or_b64 exec, exec, s[36:37]
.LBB307_75:                             ;   in Loop: Header=BB307_9 Depth=1
	s_or_b64 exec, exec, s[16:17]
	v_lshrrev_b16_e32 v8, 8, v7
	v_cmp_ne_u16_e64 s[6:7], 0, v8
	v_mov_b32_e32 v11, 0
	v_mov_b32_e32 v12, 0
	s_and_saveexec_b64 s[16:17], s[6:7]
	s_cbranch_execz .LBB307_81
; %bb.76:                               ;   in Loop: Header=BB307_9 Depth=1
	v_cmp_ne_u16_e64 s[6:7], s43, v8
	v_bfrev_b32_e32 v12, 1
	s_and_saveexec_b64 s[36:37], s[6:7]
	s_cbranch_execz .LBB307_80
; %bb.77:                               ;   in Loop: Header=BB307_9 Depth=1
	v_and_b32_e32 v0, 0x7f, v8
	v_cmp_ne_u32_e64 s[6:7], s44, v0
	v_mov_b32_e32 v12, 0x7f800001
	s_and_saveexec_b64 s[38:39], s[6:7]
	s_cbranch_execz .LBB307_79
; %bb.78:                               ;   in Loop: Header=BB307_9 Depth=1
	v_and_b32_e32 v10, 7, v8
	v_lshrrev_b32_e32 v14, 3, v0
	v_cmp_gt_u32_e64 s[6:7], 8, v0
	v_ffbh_u32_e32 v0, v10
	v_min_u32_e32 v0, 32, v0
	v_subrev_u32_e32 v12, 28, v0
	v_lshlrev_b64 v[12:13], v12, v[8:9]
	v_sub_u32_e32 v0, 29, v0
	v_and_b32_e32 v8, 7, v12
	v_cndmask_b32_e64 v0, v14, v0, s[6:7]
	v_cndmask_b32_e64 v8, v10, v8, s[6:7]
	v_lshlrev_b32_e32 v7, 16, v7
	v_lshlrev_b32_e32 v8, 20, v8
	v_and_b32_e32 v7, 0x80000000, v7
	v_lshl_add_u32 v0, v0, 23, v52
	v_or3_b32 v12, v7, v0, v8
.LBB307_79:                             ;   in Loop: Header=BB307_9 Depth=1
	s_or_b64 exec, exec, s[38:39]
.LBB307_80:                             ;   in Loop: Header=BB307_9 Depth=1
	s_or_b64 exec, exec, s[36:37]
.LBB307_81:                             ;   in Loop: Header=BB307_9 Depth=1
	s_or_b64 exec, exec, s[16:17]
	global_load_ushort v0, v[5:6], off offset:768
	s_waitcnt vmcnt(0)
	v_and_b32_e32 v7, 0xffff, v0
	v_cmp_ne_u16_sdwa s[6:7], v0, v51 src0_sel:BYTE_0 src1_sel:DWORD
	s_and_saveexec_b64 s[16:17], s[6:7]
	s_cbranch_execz .LBB307_87
; %bb.82:                               ;   in Loop: Header=BB307_9 Depth=1
	v_cmp_ne_u16_sdwa s[6:7], v7, s43 src0_sel:BYTE_0 src1_sel:DWORD
	v_bfrev_b32_e32 v11, 1
	s_and_saveexec_b64 s[36:37], s[6:7]
	s_cbranch_execz .LBB307_86
; %bb.83:                               ;   in Loop: Header=BB307_9 Depth=1
	v_and_b32_e32 v0, 0x7f, v7
	v_cmp_ne_u32_e64 s[6:7], s44, v0
	v_mov_b32_e32 v11, 0x7f800001
	s_and_saveexec_b64 s[38:39], s[6:7]
	s_cbranch_execz .LBB307_85
; %bb.84:                               ;   in Loop: Header=BB307_9 Depth=1
	v_and_b32_e32 v8, 7, v7
	v_lshrrev_b32_e32 v13, 3, v0
	v_cmp_gt_u32_e64 s[6:7], 8, v0
	v_ffbh_u32_e32 v0, v8
	v_min_u32_e32 v0, 32, v0
	v_subrev_u32_e32 v10, 28, v0
	v_lshlrev_b64 v[10:11], v10, v[7:8]
	v_sub_u32_e32 v0, 29, v0
	v_and_b32_e32 v10, 7, v10
	v_cndmask_b32_e64 v0, v13, v0, s[6:7]
	v_cndmask_b32_e64 v8, v8, v10, s[6:7]
	v_lshlrev_b32_e32 v10, 24, v7
	v_lshlrev_b32_e32 v8, 20, v8
	v_and_b32_e32 v10, 0x80000000, v10
	v_lshl_add_u32 v0, v0, 23, v52
	v_or3_b32 v11, v10, v0, v8
.LBB307_85:                             ;   in Loop: Header=BB307_9 Depth=1
	s_or_b64 exec, exec, s[38:39]
.LBB307_86:                             ;   in Loop: Header=BB307_9 Depth=1
	s_or_b64 exec, exec, s[36:37]
.LBB307_87:                             ;   in Loop: Header=BB307_9 Depth=1
	s_or_b64 exec, exec, s[16:17]
	v_lshrrev_b16_e32 v8, 8, v7
	v_cmp_ne_u16_e64 s[6:7], 0, v8
	v_mov_b32_e32 v10, 0
	v_mov_b32_e32 v0, 0
	s_and_saveexec_b64 s[16:17], s[6:7]
	s_cbranch_execz .LBB307_93
; %bb.88:                               ;   in Loop: Header=BB307_9 Depth=1
	v_cmp_ne_u16_e64 s[6:7], s43, v8
	v_bfrev_b32_e32 v0, 1
	s_and_saveexec_b64 s[36:37], s[6:7]
	s_cbranch_execz .LBB307_92
; %bb.89:                               ;   in Loop: Header=BB307_9 Depth=1
	v_and_b32_e32 v13, 0x7f, v8
	v_cmp_ne_u32_e64 s[6:7], s44, v13
	v_mov_b32_e32 v0, 0x7f800001
	s_and_saveexec_b64 s[38:39], s[6:7]
	s_cbranch_execz .LBB307_91
; %bb.90:                               ;   in Loop: Header=BB307_9 Depth=1
	v_and_b32_e32 v0, 7, v8
	v_lshrrev_b32_e32 v15, 3, v13
	v_cmp_gt_u32_e64 s[6:7], 8, v13
	v_ffbh_u32_e32 v13, v0
	v_min_u32_e32 v16, 32, v13
	v_subrev_u32_e32 v13, 28, v16
	v_lshlrev_b64 v[13:14], v13, v[8:9]
	v_sub_u32_e32 v8, 29, v16
	v_and_b32_e32 v13, 7, v13
	v_cndmask_b32_e64 v8, v15, v8, s[6:7]
	v_cndmask_b32_e64 v0, v0, v13, s[6:7]
	v_lshlrev_b32_e32 v7, 16, v7
	v_lshlrev_b32_e32 v0, 20, v0
	v_and_b32_e32 v7, 0x80000000, v7
	v_lshl_add_u32 v8, v8, 23, v52
	v_or3_b32 v0, v7, v8, v0
.LBB307_91:                             ;   in Loop: Header=BB307_9 Depth=1
	s_or_b64 exec, exec, s[38:39]
.LBB307_92:                             ;   in Loop: Header=BB307_9 Depth=1
	s_or_b64 exec, exec, s[36:37]
.LBB307_93:                             ;   in Loop: Header=BB307_9 Depth=1
	s_or_b64 exec, exec, s[16:17]
	global_load_ushort v8, v[5:6], off offset:776
	s_waitcnt vmcnt(0)
	v_and_b32_e32 v7, 0xffff, v8
	v_cmp_ne_u16_sdwa s[6:7], v8, v51 src0_sel:BYTE_0 src1_sel:DWORD
	s_and_saveexec_b64 s[16:17], s[6:7]
	s_cbranch_execz .LBB307_99
; %bb.94:                               ;   in Loop: Header=BB307_9 Depth=1
	v_cmp_ne_u16_sdwa s[6:7], v7, s43 src0_sel:BYTE_0 src1_sel:DWORD
	v_bfrev_b32_e32 v10, 1
	s_and_saveexec_b64 s[36:37], s[6:7]
	s_cbranch_execz .LBB307_98
; %bb.95:                               ;   in Loop: Header=BB307_9 Depth=1
	v_and_b32_e32 v8, 0x7f, v7
	v_cmp_ne_u32_e64 s[6:7], s44, v8
	v_mov_b32_e32 v10, 0x7f800001
	s_and_saveexec_b64 s[38:39], s[6:7]
	s_cbranch_execz .LBB307_97
; %bb.96:                               ;   in Loop: Header=BB307_9 Depth=1
	v_and_b32_e32 v10, 7, v7
	v_lshrrev_b32_e32 v15, 3, v8
	v_cmp_gt_u32_e64 s[6:7], 8, v8
	v_ffbh_u32_e32 v8, v10
	v_min_u32_e32 v8, 32, v8
	v_subrev_u32_e32 v13, 28, v8
	v_lshlrev_b64 v[13:14], v13, v[7:8]
	v_sub_u32_e32 v8, 29, v8
	v_and_b32_e32 v13, 7, v13
	v_cndmask_b32_e64 v8, v15, v8, s[6:7]
	v_cndmask_b32_e64 v10, v10, v13, s[6:7]
	v_lshlrev_b32_e32 v13, 24, v7
	v_lshlrev_b32_e32 v10, 20, v10
	v_and_b32_e32 v13, 0x80000000, v13
	v_lshl_add_u32 v8, v8, 23, v52
	v_or3_b32 v10, v13, v8, v10
.LBB307_97:                             ;   in Loop: Header=BB307_9 Depth=1
	s_or_b64 exec, exec, s[38:39]
.LBB307_98:                             ;   in Loop: Header=BB307_9 Depth=1
	s_or_b64 exec, exec, s[36:37]
.LBB307_99:                             ;   in Loop: Header=BB307_9 Depth=1
	s_or_b64 exec, exec, s[16:17]
	v_lshrrev_b16_e32 v8, 8, v7
	v_cmp_ne_u16_e64 s[6:7], 0, v8
	v_mov_b32_e32 v14, 0
	v_mov_b32_e32 v13, 0
	s_and_saveexec_b64 s[16:17], s[6:7]
	s_cbranch_execz .LBB307_105
; %bb.100:                              ;   in Loop: Header=BB307_9 Depth=1
	v_cmp_ne_u16_e64 s[6:7], s43, v8
	v_bfrev_b32_e32 v13, 1
	s_and_saveexec_b64 s[36:37], s[6:7]
	s_cbranch_execz .LBB307_104
; %bb.101:                              ;   in Loop: Header=BB307_9 Depth=1
	v_and_b32_e32 v15, 0x7f, v8
	v_cmp_ne_u32_e64 s[6:7], s44, v15
	v_mov_b32_e32 v13, 0x7f800001
	s_and_saveexec_b64 s[38:39], s[6:7]
	s_cbranch_execz .LBB307_103
; %bb.102:                              ;   in Loop: Header=BB307_9 Depth=1
	v_and_b32_e32 v13, 7, v8
	v_lshrrev_b32_e32 v17, 3, v15
	v_cmp_gt_u32_e64 s[6:7], 8, v15
	v_ffbh_u32_e32 v15, v13
	v_min_u32_e32 v18, 32, v15
	v_subrev_u32_e32 v15, 28, v18
	v_lshlrev_b64 v[15:16], v15, v[8:9]
	v_sub_u32_e32 v8, 29, v18
	v_and_b32_e32 v15, 7, v15
	v_cndmask_b32_e64 v8, v17, v8, s[6:7]
	v_cndmask_b32_e64 v13, v13, v15, s[6:7]
	v_lshlrev_b32_e32 v7, 16, v7
	v_lshlrev_b32_e32 v13, 20, v13
	v_and_b32_e32 v7, 0x80000000, v7
	v_lshl_add_u32 v8, v8, 23, v52
	v_or3_b32 v13, v7, v8, v13
.LBB307_103:                            ;   in Loop: Header=BB307_9 Depth=1
	s_or_b64 exec, exec, s[38:39]
.LBB307_104:                            ;   in Loop: Header=BB307_9 Depth=1
	s_or_b64 exec, exec, s[36:37]
.LBB307_105:                            ;   in Loop: Header=BB307_9 Depth=1
	s_or_b64 exec, exec, s[16:17]
	global_load_ushort v8, v[5:6], off offset:1024
	s_waitcnt vmcnt(0)
	v_and_b32_e32 v7, 0xffff, v8
	v_cmp_ne_u16_sdwa s[6:7], v8, v51 src0_sel:BYTE_0 src1_sel:DWORD
	s_and_saveexec_b64 s[16:17], s[6:7]
	s_cbranch_execz .LBB307_111
; %bb.106:                              ;   in Loop: Header=BB307_9 Depth=1
	v_cmp_ne_u16_sdwa s[6:7], v7, s43 src0_sel:BYTE_0 src1_sel:DWORD
	v_bfrev_b32_e32 v14, 1
	s_and_saveexec_b64 s[36:37], s[6:7]
	s_cbranch_execz .LBB307_110
; %bb.107:                              ;   in Loop: Header=BB307_9 Depth=1
	v_and_b32_e32 v8, 0x7f, v7
	v_cmp_ne_u32_e64 s[6:7], s44, v8
	v_mov_b32_e32 v14, 0x7f800001
	s_and_saveexec_b64 s[38:39], s[6:7]
	s_cbranch_execz .LBB307_109
; %bb.108:                              ;   in Loop: Header=BB307_9 Depth=1
	v_and_b32_e32 v16, 7, v7
	v_lshrrev_b32_e32 v17, 3, v8
	v_cmp_gt_u32_e64 s[6:7], 8, v8
	v_ffbh_u32_e32 v8, v16
	v_min_u32_e32 v8, 32, v8
	v_subrev_u32_e32 v14, 28, v8
	v_lshlrev_b64 v[14:15], v14, v[7:8]
	v_sub_u32_e32 v8, 29, v8
	v_and_b32_e32 v14, 7, v14
	v_cndmask_b32_e64 v8, v17, v8, s[6:7]
	v_cndmask_b32_e64 v14, v16, v14, s[6:7]
	v_lshlrev_b32_e32 v15, 24, v7
	v_lshlrev_b32_e32 v14, 20, v14
	v_and_b32_e32 v15, 0x80000000, v15
	v_lshl_add_u32 v8, v8, 23, v52
	v_or3_b32 v14, v15, v8, v14
.LBB307_109:                            ;   in Loop: Header=BB307_9 Depth=1
	s_or_b64 exec, exec, s[38:39]
.LBB307_110:                            ;   in Loop: Header=BB307_9 Depth=1
	s_or_b64 exec, exec, s[36:37]
.LBB307_111:                            ;   in Loop: Header=BB307_9 Depth=1
	s_or_b64 exec, exec, s[16:17]
	v_lshrrev_b16_e32 v8, 8, v7
	v_cmp_ne_u16_e64 s[6:7], 0, v8
	v_mov_b32_e32 v16, 0
	v_mov_b32_e32 v15, 0
	s_and_saveexec_b64 s[16:17], s[6:7]
	s_cbranch_execz .LBB307_117
; %bb.112:                              ;   in Loop: Header=BB307_9 Depth=1
	v_cmp_ne_u16_e64 s[6:7], s43, v8
	v_bfrev_b32_e32 v15, 1
	s_and_saveexec_b64 s[36:37], s[6:7]
	s_cbranch_execz .LBB307_116
; %bb.113:                              ;   in Loop: Header=BB307_9 Depth=1
	v_and_b32_e32 v17, 0x7f, v8
	v_cmp_ne_u32_e64 s[6:7], s44, v17
	v_mov_b32_e32 v15, 0x7f800001
	s_and_saveexec_b64 s[38:39], s[6:7]
	s_cbranch_execz .LBB307_115
; %bb.114:                              ;   in Loop: Header=BB307_9 Depth=1
	v_and_b32_e32 v15, 7, v8
	v_lshrrev_b32_e32 v19, 3, v17
	v_cmp_gt_u32_e64 s[6:7], 8, v17
	v_ffbh_u32_e32 v17, v15
	v_min_u32_e32 v21, 32, v17
	v_subrev_u32_e32 v17, 28, v21
	v_lshlrev_b64 v[17:18], v17, v[8:9]
	v_sub_u32_e32 v8, 29, v21
	v_and_b32_e32 v17, 7, v17
	v_cndmask_b32_e64 v8, v19, v8, s[6:7]
	v_cndmask_b32_e64 v15, v15, v17, s[6:7]
	v_lshlrev_b32_e32 v7, 16, v7
	v_lshlrev_b32_e32 v15, 20, v15
	v_and_b32_e32 v7, 0x80000000, v7
	v_lshl_add_u32 v8, v8, 23, v52
	v_or3_b32 v15, v7, v8, v15
.LBB307_115:                            ;   in Loop: Header=BB307_9 Depth=1
	s_or_b64 exec, exec, s[38:39]
.LBB307_116:                            ;   in Loop: Header=BB307_9 Depth=1
	s_or_b64 exec, exec, s[36:37]
.LBB307_117:                            ;   in Loop: Header=BB307_9 Depth=1
	s_or_b64 exec, exec, s[16:17]
	global_load_ushort v8, v[5:6], off offset:1032
	s_waitcnt vmcnt(0)
	v_and_b32_e32 v7, 0xffff, v8
	v_cmp_ne_u16_sdwa s[6:7], v8, v51 src0_sel:BYTE_0 src1_sel:DWORD
	s_and_saveexec_b64 s[16:17], s[6:7]
	s_cbranch_execz .LBB307_123
; %bb.118:                              ;   in Loop: Header=BB307_9 Depth=1
	v_cmp_ne_u16_sdwa s[6:7], v7, s43 src0_sel:BYTE_0 src1_sel:DWORD
	v_bfrev_b32_e32 v16, 1
	s_and_saveexec_b64 s[36:37], s[6:7]
	s_cbranch_execz .LBB307_122
; %bb.119:                              ;   in Loop: Header=BB307_9 Depth=1
	v_and_b32_e32 v8, 0x7f, v7
	v_cmp_ne_u32_e64 s[6:7], s44, v8
	v_mov_b32_e32 v16, 0x7f800001
	s_and_saveexec_b64 s[38:39], s[6:7]
	s_cbranch_execz .LBB307_121
; %bb.120:                              ;   in Loop: Header=BB307_9 Depth=1
	v_and_b32_e32 v18, 7, v7
	v_lshrrev_b32_e32 v19, 3, v8
	v_cmp_gt_u32_e64 s[6:7], 8, v8
	v_ffbh_u32_e32 v8, v18
	v_min_u32_e32 v8, 32, v8
	v_subrev_u32_e32 v16, 28, v8
	v_lshlrev_b64 v[16:17], v16, v[7:8]
	v_sub_u32_e32 v8, 29, v8
	v_and_b32_e32 v16, 7, v16
	v_cndmask_b32_e64 v8, v19, v8, s[6:7]
	v_cndmask_b32_e64 v16, v18, v16, s[6:7]
	v_lshlrev_b32_e32 v17, 24, v7
	v_lshlrev_b32_e32 v16, 20, v16
	v_and_b32_e32 v17, 0x80000000, v17
	v_lshl_add_u32 v8, v8, 23, v52
	v_or3_b32 v16, v17, v8, v16
.LBB307_121:                            ;   in Loop: Header=BB307_9 Depth=1
	s_or_b64 exec, exec, s[38:39]
.LBB307_122:                            ;   in Loop: Header=BB307_9 Depth=1
	s_or_b64 exec, exec, s[36:37]
.LBB307_123:                            ;   in Loop: Header=BB307_9 Depth=1
	s_or_b64 exec, exec, s[16:17]
	v_lshrrev_b16_e32 v8, 8, v7
	v_cmp_ne_u16_e64 s[6:7], 0, v8
	v_mov_b32_e32 v18, 0
	v_mov_b32_e32 v17, 0
	s_and_saveexec_b64 s[16:17], s[6:7]
	s_cbranch_execz .LBB307_129
; %bb.124:                              ;   in Loop: Header=BB307_9 Depth=1
	v_cmp_ne_u16_e64 s[6:7], s43, v8
	v_bfrev_b32_e32 v17, 1
	s_and_saveexec_b64 s[36:37], s[6:7]
	s_cbranch_execz .LBB307_128
; %bb.125:                              ;   in Loop: Header=BB307_9 Depth=1
	v_and_b32_e32 v19, 0x7f, v8
	v_cmp_ne_u32_e64 s[6:7], s44, v19
	v_mov_b32_e32 v17, 0x7f800001
	s_and_saveexec_b64 s[38:39], s[6:7]
	s_cbranch_execz .LBB307_127
; %bb.126:                              ;   in Loop: Header=BB307_9 Depth=1
	v_and_b32_e32 v17, 7, v8
	v_lshrrev_b32_e32 v23, 3, v19
	v_cmp_gt_u32_e64 s[6:7], 8, v19
	v_ffbh_u32_e32 v19, v17
	v_min_u32_e32 v19, 32, v19
	v_subrev_u32_e32 v21, 28, v19
	v_lshlrev_b64 v[21:22], v21, v[8:9]
	v_sub_u32_e32 v8, 29, v19
	v_and_b32_e32 v19, 7, v21
	v_cndmask_b32_e64 v8, v23, v8, s[6:7]
	v_cndmask_b32_e64 v17, v17, v19, s[6:7]
	v_lshlrev_b32_e32 v7, 16, v7
	v_lshlrev_b32_e32 v17, 20, v17
	v_and_b32_e32 v7, 0x80000000, v7
	v_lshl_add_u32 v8, v8, 23, v52
	v_or3_b32 v17, v7, v8, v17
.LBB307_127:                            ;   in Loop: Header=BB307_9 Depth=1
	s_or_b64 exec, exec, s[38:39]
.LBB307_128:                            ;   in Loop: Header=BB307_9 Depth=1
	s_or_b64 exec, exec, s[36:37]
.LBB307_129:                            ;   in Loop: Header=BB307_9 Depth=1
	s_or_b64 exec, exec, s[16:17]
	global_load_ushort v8, v[5:6], off offset:1280
	s_waitcnt vmcnt(0)
	v_and_b32_e32 v7, 0xffff, v8
	v_cmp_ne_u16_sdwa s[6:7], v8, v51 src0_sel:BYTE_0 src1_sel:DWORD
	s_and_saveexec_b64 s[16:17], s[6:7]
	s_cbranch_execz .LBB307_135
; %bb.130:                              ;   in Loop: Header=BB307_9 Depth=1
	v_cmp_ne_u16_sdwa s[6:7], v7, s43 src0_sel:BYTE_0 src1_sel:DWORD
	v_bfrev_b32_e32 v18, 1
	s_and_saveexec_b64 s[36:37], s[6:7]
	s_cbranch_execz .LBB307_134
; %bb.131:                              ;   in Loop: Header=BB307_9 Depth=1
	v_and_b32_e32 v8, 0x7f, v7
	v_cmp_ne_u32_e64 s[6:7], s44, v8
	v_mov_b32_e32 v18, 0x7f800001
	s_and_saveexec_b64 s[38:39], s[6:7]
	s_cbranch_execz .LBB307_133
; %bb.132:                              ;   in Loop: Header=BB307_9 Depth=1
	v_and_b32_e32 v21, 7, v7
	v_lshrrev_b32_e32 v22, 3, v8
	v_cmp_gt_u32_e64 s[6:7], 8, v8
	v_ffbh_u32_e32 v8, v21
	v_min_u32_e32 v8, 32, v8
	v_subrev_u32_e32 v18, 28, v8
	v_lshlrev_b64 v[18:19], v18, v[7:8]
	v_sub_u32_e32 v8, 29, v8
	v_and_b32_e32 v18, 7, v18
	v_cndmask_b32_e64 v8, v22, v8, s[6:7]
	v_cndmask_b32_e64 v18, v21, v18, s[6:7]
	v_lshlrev_b32_e32 v19, 24, v7
	v_lshlrev_b32_e32 v18, 20, v18
	v_and_b32_e32 v19, 0x80000000, v19
	v_lshl_add_u32 v8, v8, 23, v52
	v_or3_b32 v18, v19, v8, v18
.LBB307_133:                            ;   in Loop: Header=BB307_9 Depth=1
	s_or_b64 exec, exec, s[38:39]
.LBB307_134:                            ;   in Loop: Header=BB307_9 Depth=1
	s_or_b64 exec, exec, s[36:37]
.LBB307_135:                            ;   in Loop: Header=BB307_9 Depth=1
	s_or_b64 exec, exec, s[16:17]
	v_lshrrev_b16_e32 v8, 8, v7
	v_cmp_ne_u16_e64 s[6:7], 0, v8
	v_mov_b32_e32 v21, 0
	v_mov_b32_e32 v19, 0
	s_and_saveexec_b64 s[16:17], s[6:7]
	s_cbranch_execz .LBB307_141
; %bb.136:                              ;   in Loop: Header=BB307_9 Depth=1
	v_cmp_ne_u16_e64 s[6:7], s43, v8
	v_bfrev_b32_e32 v19, 1
	s_and_saveexec_b64 s[36:37], s[6:7]
	s_cbranch_execz .LBB307_140
; %bb.137:                              ;   in Loop: Header=BB307_9 Depth=1
	v_and_b32_e32 v22, 0x7f, v8
	v_cmp_ne_u32_e64 s[6:7], s44, v22
	v_mov_b32_e32 v19, 0x7f800001
	s_and_saveexec_b64 s[38:39], s[6:7]
	s_cbranch_execz .LBB307_139
; %bb.138:                              ;   in Loop: Header=BB307_9 Depth=1
	v_and_b32_e32 v19, 7, v8
	v_lshrrev_b32_e32 v24, 3, v22
	v_cmp_gt_u32_e64 s[6:7], 8, v22
	v_ffbh_u32_e32 v22, v19
	v_min_u32_e32 v25, 32, v22
	v_subrev_u32_e32 v22, 28, v25
	v_lshlrev_b64 v[22:23], v22, v[8:9]
	v_sub_u32_e32 v8, 29, v25
	v_and_b32_e32 v22, 7, v22
	v_cndmask_b32_e64 v8, v24, v8, s[6:7]
	v_cndmask_b32_e64 v19, v19, v22, s[6:7]
	v_lshlrev_b32_e32 v7, 16, v7
	v_lshlrev_b32_e32 v19, 20, v19
	v_and_b32_e32 v7, 0x80000000, v7
	v_lshl_add_u32 v8, v8, 23, v52
	v_or3_b32 v19, v7, v8, v19
.LBB307_139:                            ;   in Loop: Header=BB307_9 Depth=1
	s_or_b64 exec, exec, s[38:39]
.LBB307_140:                            ;   in Loop: Header=BB307_9 Depth=1
	s_or_b64 exec, exec, s[36:37]
.LBB307_141:                            ;   in Loop: Header=BB307_9 Depth=1
	s_or_b64 exec, exec, s[16:17]
	global_load_ushort v8, v[5:6], off offset:1288
	s_waitcnt vmcnt(0)
	v_and_b32_e32 v7, 0xffff, v8
	v_cmp_ne_u16_sdwa s[6:7], v8, v51 src0_sel:BYTE_0 src1_sel:DWORD
	s_and_saveexec_b64 s[16:17], s[6:7]
	s_cbranch_execz .LBB307_147
; %bb.142:                              ;   in Loop: Header=BB307_9 Depth=1
	v_cmp_ne_u16_sdwa s[6:7], v7, s43 src0_sel:BYTE_0 src1_sel:DWORD
	v_bfrev_b32_e32 v21, 1
	s_and_saveexec_b64 s[36:37], s[6:7]
	s_cbranch_execz .LBB307_146
; %bb.143:                              ;   in Loop: Header=BB307_9 Depth=1
	v_and_b32_e32 v8, 0x7f, v7
	v_cmp_ne_u32_e64 s[6:7], s44, v8
	v_mov_b32_e32 v21, 0x7f800001
	s_and_saveexec_b64 s[38:39], s[6:7]
	s_cbranch_execz .LBB307_145
; %bb.144:                              ;   in Loop: Header=BB307_9 Depth=1
	v_and_b32_e32 v23, 7, v7
	v_lshrrev_b32_e32 v24, 3, v8
	v_cmp_gt_u32_e64 s[6:7], 8, v8
	v_ffbh_u32_e32 v8, v23
	v_min_u32_e32 v8, 32, v8
	v_subrev_u32_e32 v21, 28, v8
	v_lshlrev_b64 v[21:22], v21, v[7:8]
	v_sub_u32_e32 v8, 29, v8
	v_and_b32_e32 v21, 7, v21
	v_cndmask_b32_e64 v8, v24, v8, s[6:7]
	v_cndmask_b32_e64 v21, v23, v21, s[6:7]
	v_lshlrev_b32_e32 v22, 24, v7
	v_lshlrev_b32_e32 v21, 20, v21
	v_and_b32_e32 v22, 0x80000000, v22
	v_lshl_add_u32 v8, v8, 23, v52
	v_or3_b32 v21, v22, v8, v21
.LBB307_145:                            ;   in Loop: Header=BB307_9 Depth=1
	s_or_b64 exec, exec, s[38:39]
.LBB307_146:                            ;   in Loop: Header=BB307_9 Depth=1
	s_or_b64 exec, exec, s[36:37]
.LBB307_147:                            ;   in Loop: Header=BB307_9 Depth=1
	s_or_b64 exec, exec, s[16:17]
	v_lshrrev_b16_e32 v8, 8, v7
	v_cmp_ne_u16_e64 s[6:7], 0, v8
	v_mov_b32_e32 v23, 0
	v_mov_b32_e32 v22, 0
	s_and_saveexec_b64 s[16:17], s[6:7]
	s_cbranch_execz .LBB307_153
; %bb.148:                              ;   in Loop: Header=BB307_9 Depth=1
	v_cmp_ne_u16_e64 s[6:7], s43, v8
	v_bfrev_b32_e32 v22, 1
	s_and_saveexec_b64 s[36:37], s[6:7]
	s_cbranch_execz .LBB307_152
; %bb.149:                              ;   in Loop: Header=BB307_9 Depth=1
	v_and_b32_e32 v24, 0x7f, v8
	v_cmp_ne_u32_e64 s[6:7], s44, v24
	v_mov_b32_e32 v22, 0x7f800001
	s_and_saveexec_b64 s[38:39], s[6:7]
	s_cbranch_execz .LBB307_151
; %bb.150:                              ;   in Loop: Header=BB307_9 Depth=1
	v_and_b32_e32 v22, 7, v8
	v_lshrrev_b32_e32 v26, 3, v24
	v_cmp_gt_u32_e64 s[6:7], 8, v24
	v_ffbh_u32_e32 v24, v22
	v_min_u32_e32 v27, 32, v24
	v_subrev_u32_e32 v24, 28, v27
	v_lshlrev_b64 v[24:25], v24, v[8:9]
	v_sub_u32_e32 v8, 29, v27
	v_and_b32_e32 v24, 7, v24
	v_cndmask_b32_e64 v8, v26, v8, s[6:7]
	v_cndmask_b32_e64 v22, v22, v24, s[6:7]
	v_lshlrev_b32_e32 v7, 16, v7
	v_lshlrev_b32_e32 v22, 20, v22
	v_and_b32_e32 v7, 0x80000000, v7
	v_lshl_add_u32 v8, v8, 23, v52
	v_or3_b32 v22, v7, v8, v22
.LBB307_151:                            ;   in Loop: Header=BB307_9 Depth=1
	s_or_b64 exec, exec, s[38:39]
.LBB307_152:                            ;   in Loop: Header=BB307_9 Depth=1
	s_or_b64 exec, exec, s[36:37]
.LBB307_153:                            ;   in Loop: Header=BB307_9 Depth=1
	s_or_b64 exec, exec, s[16:17]
	global_load_ushort v8, v[5:6], off offset:1536
	s_waitcnt vmcnt(0)
	v_and_b32_e32 v7, 0xffff, v8
	v_cmp_ne_u16_sdwa s[6:7], v8, v51 src0_sel:BYTE_0 src1_sel:DWORD
	s_and_saveexec_b64 s[16:17], s[6:7]
	s_cbranch_execz .LBB307_159
; %bb.154:                              ;   in Loop: Header=BB307_9 Depth=1
	v_cmp_ne_u16_sdwa s[6:7], v7, s43 src0_sel:BYTE_0 src1_sel:DWORD
	v_bfrev_b32_e32 v23, 1
	s_and_saveexec_b64 s[36:37], s[6:7]
	s_cbranch_execz .LBB307_158
; %bb.155:                              ;   in Loop: Header=BB307_9 Depth=1
	v_and_b32_e32 v8, 0x7f, v7
	v_cmp_ne_u32_e64 s[6:7], s44, v8
	v_mov_b32_e32 v23, 0x7f800001
	s_and_saveexec_b64 s[38:39], s[6:7]
	s_cbranch_execz .LBB307_157
; %bb.156:                              ;   in Loop: Header=BB307_9 Depth=1
	v_and_b32_e32 v25, 7, v7
	v_lshrrev_b32_e32 v26, 3, v8
	v_cmp_gt_u32_e64 s[6:7], 8, v8
	v_ffbh_u32_e32 v8, v25
	v_min_u32_e32 v8, 32, v8
	v_subrev_u32_e32 v23, 28, v8
	v_lshlrev_b64 v[23:24], v23, v[7:8]
	v_sub_u32_e32 v8, 29, v8
	v_and_b32_e32 v23, 7, v23
	v_cndmask_b32_e64 v8, v26, v8, s[6:7]
	v_cndmask_b32_e64 v23, v25, v23, s[6:7]
	v_lshlrev_b32_e32 v24, 24, v7
	v_lshlrev_b32_e32 v23, 20, v23
	v_and_b32_e32 v24, 0x80000000, v24
	v_lshl_add_u32 v8, v8, 23, v52
	v_or3_b32 v23, v24, v8, v23
.LBB307_157:                            ;   in Loop: Header=BB307_9 Depth=1
	s_or_b64 exec, exec, s[38:39]
.LBB307_158:                            ;   in Loop: Header=BB307_9 Depth=1
	s_or_b64 exec, exec, s[36:37]
.LBB307_159:                            ;   in Loop: Header=BB307_9 Depth=1
	s_or_b64 exec, exec, s[16:17]
	v_lshrrev_b16_e32 v8, 8, v7
	v_cmp_ne_u16_e64 s[6:7], 0, v8
	v_mov_b32_e32 v25, 0
	v_mov_b32_e32 v24, 0
	s_and_saveexec_b64 s[16:17], s[6:7]
	s_cbranch_execz .LBB307_165
; %bb.160:                              ;   in Loop: Header=BB307_9 Depth=1
	v_cmp_ne_u16_e64 s[6:7], s43, v8
	v_bfrev_b32_e32 v24, 1
	s_and_saveexec_b64 s[36:37], s[6:7]
	s_cbranch_execz .LBB307_164
; %bb.161:                              ;   in Loop: Header=BB307_9 Depth=1
	v_and_b32_e32 v26, 0x7f, v8
	v_cmp_ne_u32_e64 s[6:7], s44, v26
	v_mov_b32_e32 v24, 0x7f800001
	s_and_saveexec_b64 s[38:39], s[6:7]
	s_cbranch_execz .LBB307_163
; %bb.162:                              ;   in Loop: Header=BB307_9 Depth=1
	v_and_b32_e32 v24, 7, v8
	v_lshrrev_b32_e32 v28, 3, v26
	v_cmp_gt_u32_e64 s[6:7], 8, v26
	v_ffbh_u32_e32 v26, v24
	v_min_u32_e32 v29, 32, v26
	v_subrev_u32_e32 v26, 28, v29
	v_lshlrev_b64 v[26:27], v26, v[8:9]
	v_sub_u32_e32 v8, 29, v29
	v_and_b32_e32 v26, 7, v26
	v_cndmask_b32_e64 v8, v28, v8, s[6:7]
	v_cndmask_b32_e64 v24, v24, v26, s[6:7]
	v_lshlrev_b32_e32 v7, 16, v7
	v_lshlrev_b32_e32 v24, 20, v24
	v_and_b32_e32 v7, 0x80000000, v7
	v_lshl_add_u32 v8, v8, 23, v52
	v_or3_b32 v24, v7, v8, v24
.LBB307_163:                            ;   in Loop: Header=BB307_9 Depth=1
	s_or_b64 exec, exec, s[38:39]
.LBB307_164:                            ;   in Loop: Header=BB307_9 Depth=1
	s_or_b64 exec, exec, s[36:37]
.LBB307_165:                            ;   in Loop: Header=BB307_9 Depth=1
	s_or_b64 exec, exec, s[16:17]
	global_load_ushort v8, v[5:6], off offset:1544
	s_waitcnt vmcnt(0)
	v_and_b32_e32 v7, 0xffff, v8
	v_cmp_ne_u16_sdwa s[6:7], v8, v51 src0_sel:BYTE_0 src1_sel:DWORD
	s_and_saveexec_b64 s[16:17], s[6:7]
	s_cbranch_execz .LBB307_171
; %bb.166:                              ;   in Loop: Header=BB307_9 Depth=1
	v_cmp_ne_u16_sdwa s[6:7], v7, s43 src0_sel:BYTE_0 src1_sel:DWORD
	v_bfrev_b32_e32 v25, 1
	s_and_saveexec_b64 s[36:37], s[6:7]
	s_cbranch_execz .LBB307_170
; %bb.167:                              ;   in Loop: Header=BB307_9 Depth=1
	v_and_b32_e32 v8, 0x7f, v7
	v_cmp_ne_u32_e64 s[6:7], s44, v8
	v_mov_b32_e32 v25, 0x7f800001
	s_and_saveexec_b64 s[38:39], s[6:7]
	s_cbranch_execz .LBB307_169
; %bb.168:                              ;   in Loop: Header=BB307_9 Depth=1
	v_and_b32_e32 v27, 7, v7
	v_lshrrev_b32_e32 v28, 3, v8
	v_cmp_gt_u32_e64 s[6:7], 8, v8
	v_ffbh_u32_e32 v8, v27
	v_min_u32_e32 v8, 32, v8
	v_subrev_u32_e32 v25, 28, v8
	v_lshlrev_b64 v[25:26], v25, v[7:8]
	v_sub_u32_e32 v8, 29, v8
	v_and_b32_e32 v25, 7, v25
	v_cndmask_b32_e64 v8, v28, v8, s[6:7]
	v_cndmask_b32_e64 v25, v27, v25, s[6:7]
	v_lshlrev_b32_e32 v26, 24, v7
	v_lshlrev_b32_e32 v25, 20, v25
	v_and_b32_e32 v26, 0x80000000, v26
	v_lshl_add_u32 v8, v8, 23, v52
	v_or3_b32 v25, v26, v8, v25
.LBB307_169:                            ;   in Loop: Header=BB307_9 Depth=1
	s_or_b64 exec, exec, s[38:39]
.LBB307_170:                            ;   in Loop: Header=BB307_9 Depth=1
	s_or_b64 exec, exec, s[36:37]
.LBB307_171:                            ;   in Loop: Header=BB307_9 Depth=1
	s_or_b64 exec, exec, s[16:17]
	v_lshrrev_b16_e32 v8, 8, v7
	v_cmp_ne_u16_e64 s[6:7], 0, v8
	v_mov_b32_e32 v27, 0
	v_mov_b32_e32 v26, 0
	s_and_saveexec_b64 s[16:17], s[6:7]
	s_cbranch_execz .LBB307_177
; %bb.172:                              ;   in Loop: Header=BB307_9 Depth=1
	v_cmp_ne_u16_e64 s[6:7], s43, v8
	v_bfrev_b32_e32 v26, 1
	s_and_saveexec_b64 s[36:37], s[6:7]
	s_cbranch_execz .LBB307_176
; %bb.173:                              ;   in Loop: Header=BB307_9 Depth=1
	v_and_b32_e32 v28, 0x7f, v8
	v_cmp_ne_u32_e64 s[6:7], s44, v28
	v_mov_b32_e32 v26, 0x7f800001
	s_and_saveexec_b64 s[38:39], s[6:7]
	s_cbranch_execz .LBB307_175
; %bb.174:                              ;   in Loop: Header=BB307_9 Depth=1
	v_and_b32_e32 v26, 7, v8
	v_lshrrev_b32_e32 v30, 3, v28
	v_cmp_gt_u32_e64 s[6:7], 8, v28
	v_ffbh_u32_e32 v28, v26
	v_min_u32_e32 v31, 32, v28
	v_subrev_u32_e32 v28, 28, v31
	v_lshlrev_b64 v[28:29], v28, v[8:9]
	v_sub_u32_e32 v8, 29, v31
	v_and_b32_e32 v28, 7, v28
	v_cndmask_b32_e64 v8, v30, v8, s[6:7]
	v_cndmask_b32_e64 v26, v26, v28, s[6:7]
	v_lshlrev_b32_e32 v7, 16, v7
	v_lshlrev_b32_e32 v26, 20, v26
	v_and_b32_e32 v7, 0x80000000, v7
	v_lshl_add_u32 v8, v8, 23, v52
	v_or3_b32 v26, v7, v8, v26
.LBB307_175:                            ;   in Loop: Header=BB307_9 Depth=1
	s_or_b64 exec, exec, s[38:39]
.LBB307_176:                            ;   in Loop: Header=BB307_9 Depth=1
	s_or_b64 exec, exec, s[36:37]
.LBB307_177:                            ;   in Loop: Header=BB307_9 Depth=1
	s_or_b64 exec, exec, s[16:17]
	global_load_ushort v8, v[5:6], off offset:1792
	s_waitcnt vmcnt(0)
	v_and_b32_e32 v7, 0xffff, v8
	v_cmp_ne_u16_sdwa s[6:7], v8, v51 src0_sel:BYTE_0 src1_sel:DWORD
	s_and_saveexec_b64 s[16:17], s[6:7]
	s_cbranch_execz .LBB307_183
; %bb.178:                              ;   in Loop: Header=BB307_9 Depth=1
	v_cmp_ne_u16_sdwa s[6:7], v7, s43 src0_sel:BYTE_0 src1_sel:DWORD
	v_bfrev_b32_e32 v27, 1
	s_and_saveexec_b64 s[36:37], s[6:7]
	s_cbranch_execz .LBB307_182
; %bb.179:                              ;   in Loop: Header=BB307_9 Depth=1
	v_and_b32_e32 v8, 0x7f, v7
	v_cmp_ne_u32_e64 s[6:7], s44, v8
	v_mov_b32_e32 v27, 0x7f800001
	s_and_saveexec_b64 s[38:39], s[6:7]
	s_cbranch_execz .LBB307_181
; %bb.180:                              ;   in Loop: Header=BB307_9 Depth=1
	v_and_b32_e32 v29, 7, v7
	v_lshrrev_b32_e32 v30, 3, v8
	v_cmp_gt_u32_e64 s[6:7], 8, v8
	v_ffbh_u32_e32 v8, v29
	v_min_u32_e32 v8, 32, v8
	v_subrev_u32_e32 v27, 28, v8
	v_lshlrev_b64 v[27:28], v27, v[7:8]
	v_sub_u32_e32 v8, 29, v8
	v_and_b32_e32 v27, 7, v27
	v_cndmask_b32_e64 v8, v30, v8, s[6:7]
	v_cndmask_b32_e64 v27, v29, v27, s[6:7]
	v_lshlrev_b32_e32 v28, 24, v7
	v_lshlrev_b32_e32 v27, 20, v27
	v_and_b32_e32 v28, 0x80000000, v28
	v_lshl_add_u32 v8, v8, 23, v52
	v_or3_b32 v27, v28, v8, v27
.LBB307_181:                            ;   in Loop: Header=BB307_9 Depth=1
	s_or_b64 exec, exec, s[38:39]
.LBB307_182:                            ;   in Loop: Header=BB307_9 Depth=1
	s_or_b64 exec, exec, s[36:37]
.LBB307_183:                            ;   in Loop: Header=BB307_9 Depth=1
	s_or_b64 exec, exec, s[16:17]
	v_lshrrev_b16_e32 v8, 8, v7
	v_cmp_ne_u16_e64 s[6:7], 0, v8
	v_mov_b32_e32 v30, 0
	v_mov_b32_e32 v29, 0
	s_and_saveexec_b64 s[16:17], s[6:7]
	s_cbranch_execz .LBB307_189
; %bb.184:                              ;   in Loop: Header=BB307_9 Depth=1
	v_cmp_ne_u16_e64 s[6:7], s43, v8
	v_bfrev_b32_e32 v29, 1
	s_and_saveexec_b64 s[36:37], s[6:7]
	s_cbranch_execz .LBB307_188
; %bb.185:                              ;   in Loop: Header=BB307_9 Depth=1
	v_and_b32_e32 v28, 0x7f, v8
	v_cmp_ne_u32_e64 s[6:7], s44, v28
	v_mov_b32_e32 v29, 0x7f800001
	s_and_saveexec_b64 s[38:39], s[6:7]
	s_cbranch_execz .LBB307_187
; %bb.186:                              ;   in Loop: Header=BB307_9 Depth=1
	v_and_b32_e32 v31, 7, v8
	v_lshrrev_b32_e32 v32, 3, v28
	v_cmp_gt_u32_e64 s[6:7], 8, v28
	v_ffbh_u32_e32 v28, v31
	v_min_u32_e32 v33, 32, v28
	v_subrev_u32_e32 v28, 28, v33
	v_lshlrev_b64 v[28:29], v28, v[8:9]
	v_sub_u32_e32 v8, 29, v33
	v_and_b32_e32 v28, 7, v28
	v_cndmask_b32_e64 v8, v32, v8, s[6:7]
	v_cndmask_b32_e64 v28, v31, v28, s[6:7]
	v_lshlrev_b32_e32 v7, 16, v7
	v_lshlrev_b32_e32 v28, 20, v28
	v_and_b32_e32 v7, 0x80000000, v7
	v_lshl_add_u32 v8, v8, 23, v52
	v_or3_b32 v29, v7, v8, v28
.LBB307_187:                            ;   in Loop: Header=BB307_9 Depth=1
	s_or_b64 exec, exec, s[38:39]
.LBB307_188:                            ;   in Loop: Header=BB307_9 Depth=1
	s_or_b64 exec, exec, s[36:37]
.LBB307_189:                            ;   in Loop: Header=BB307_9 Depth=1
	s_or_b64 exec, exec, s[16:17]
	global_load_ushort v6, v[5:6], off offset:1800
	s_waitcnt vmcnt(0)
	v_and_b32_e32 v5, 0xffff, v6
	v_cmp_ne_u16_sdwa s[6:7], v6, v51 src0_sel:BYTE_0 src1_sel:DWORD
	s_and_saveexec_b64 s[16:17], s[6:7]
	s_cbranch_execz .LBB307_195
; %bb.190:                              ;   in Loop: Header=BB307_9 Depth=1
	v_cmp_ne_u16_sdwa s[6:7], v5, s43 src0_sel:BYTE_0 src1_sel:DWORD
	v_bfrev_b32_e32 v30, 1
	s_and_saveexec_b64 s[36:37], s[6:7]
	s_cbranch_execz .LBB307_194
; %bb.191:                              ;   in Loop: Header=BB307_9 Depth=1
	v_and_b32_e32 v6, 0x7f, v5
	v_cmp_ne_u32_e64 s[6:7], s44, v6
	v_mov_b32_e32 v30, 0x7f800001
	s_and_saveexec_b64 s[38:39], s[6:7]
	s_cbranch_execz .LBB307_193
; %bb.192:                              ;   in Loop: Header=BB307_9 Depth=1
	v_and_b32_e32 v8, 7, v5
	v_lshrrev_b32_e32 v28, 3, v6
	v_cmp_gt_u32_e64 s[6:7], 8, v6
	v_ffbh_u32_e32 v6, v8
	v_min_u32_e32 v30, 32, v6
	v_subrev_u32_e32 v6, 28, v30
	v_lshlrev_b64 v[6:7], v6, v[5:6]
	v_sub_u32_e32 v7, 29, v30
	v_and_b32_e32 v6, 7, v6
	v_cndmask_b32_e64 v7, v28, v7, s[6:7]
	v_cndmask_b32_e64 v6, v8, v6, s[6:7]
	v_lshlrev_b32_e32 v8, 24, v5
	v_lshlrev_b32_e32 v6, 20, v6
	v_and_b32_e32 v8, 0x80000000, v8
	v_lshl_add_u32 v7, v7, 23, v52
	v_or3_b32 v30, v8, v7, v6
.LBB307_193:                            ;   in Loop: Header=BB307_9 Depth=1
	s_or_b64 exec, exec, s[38:39]
.LBB307_194:                            ;   in Loop: Header=BB307_9 Depth=1
	s_or_b64 exec, exec, s[36:37]
.LBB307_195:                            ;   in Loop: Header=BB307_9 Depth=1
	s_or_b64 exec, exec, s[16:17]
	v_lshrrev_b16_e32 v6, 8, v5
	v_cmp_ne_u16_e64 s[6:7], 0, v6
	v_mov_b32_e32 v28, 0
	s_and_saveexec_b64 s[16:17], s[6:7]
	s_cbranch_execz .LBB307_201
; %bb.196:                              ;   in Loop: Header=BB307_9 Depth=1
	v_cmp_ne_u16_e64 s[6:7], s43, v6
	v_bfrev_b32_e32 v28, 1
	s_and_saveexec_b64 s[36:37], s[6:7]
	s_cbranch_execz .LBB307_200
; %bb.197:                              ;   in Loop: Header=BB307_9 Depth=1
	v_and_b32_e32 v7, 0x7f, v6
	v_cmp_ne_u32_e64 s[6:7], s44, v7
	v_mov_b32_e32 v28, 0x7f800001
	s_and_saveexec_b64 s[38:39], s[6:7]
	s_cbranch_execz .LBB307_199
; %bb.198:                              ;   in Loop: Header=BB307_9 Depth=1
	v_and_b32_e32 v8, 7, v6
	v_lshrrev_b32_e32 v28, 3, v7
	v_cmp_gt_u32_e64 s[6:7], 8, v7
	v_ffbh_u32_e32 v7, v8
	v_min_u32_e32 v31, 32, v7
	v_subrev_u32_e32 v7, 28, v31
	v_lshlrev_b64 v[6:7], v7, v[6:7]
	v_sub_u32_e32 v7, 29, v31
	v_and_b32_e32 v6, 7, v6
	v_cndmask_b32_e64 v7, v28, v7, s[6:7]
	v_cndmask_b32_e64 v6, v8, v6, s[6:7]
	v_lshlrev_b32_e32 v5, 16, v5
	v_lshlrev_b32_e32 v6, 20, v6
	v_and_b32_e32 v5, 0x80000000, v5
	v_lshl_add_u32 v7, v7, 23, v52
	v_or3_b32 v28, v5, v7, v6
.LBB307_199:                            ;   in Loop: Header=BB307_9 Depth=1
	s_or_b64 exec, exec, s[38:39]
.LBB307_200:                            ;   in Loop: Header=BB307_9 Depth=1
	s_or_b64 exec, exec, s[36:37]
.LBB307_201:                            ;   in Loop: Header=BB307_9 Depth=1
	s_or_b64 exec, exec, s[16:17]
	s_waitcnt lgkmcnt(0)
	v_mul_f32_e32 v5, s42, v30
	v_bfe_u32 v6, v5, 16, 1
	v_add3_u32 v6, v6, v5, s45
	v_or_b32_e32 v7, 0x400000, v5
	v_cmp_u_f32_e64 s[6:7], v5, v5
	v_cndmask_b32_e64 v5, v6, v7, s[6:7]
	v_mul_f32_e32 v6, s42, v29
	v_bfe_u32 v7, v6, 16, 1
	v_add3_u32 v7, v7, v6, s45
	v_or_b32_e32 v8, 0x400000, v6
	v_cmp_u_f32_e64 s[6:7], v6, v6
	v_cndmask_b32_e64 v6, v7, v8, s[6:7]
	;; [unrolled: 6-line block ×3, first 2 shown]
	v_mul_f32_e32 v8, s42, v26
	v_bfe_u32 v26, v8, 16, 1
	v_add3_u32 v26, v26, v8, s45
	v_or_b32_e32 v27, 0x400000, v8
	v_cmp_u_f32_e64 s[6:7], v8, v8
	v_mul_f32_e32 v25, s42, v25
	v_cndmask_b32_e64 v8, v26, v27, s[6:7]
	v_bfe_u32 v26, v25, 16, 1
	v_add3_u32 v26, v26, v25, s45
	v_or_b32_e32 v27, 0x400000, v25
	v_cmp_u_f32_e64 s[6:7], v25, v25
	v_mul_f32_e32 v24, s42, v24
	v_cndmask_b32_e64 v25, v26, v27, s[6:7]
	v_bfe_u32 v26, v24, 16, 1
	v_add3_u32 v26, v26, v24, s45
	v_or_b32_e32 v27, 0x400000, v24
	v_cmp_u_f32_e64 s[6:7], v24, v24
	v_mul_f32_e32 v23, s42, v23
	v_cndmask_b32_e64 v24, v26, v27, s[6:7]
	v_bfe_u32 v26, v23, 16, 1
	v_add3_u32 v26, v26, v23, s45
	v_or_b32_e32 v27, 0x400000, v23
	v_cmp_u_f32_e64 s[6:7], v23, v23
	v_mul_f32_e32 v22, s42, v22
	v_cndmask_b32_e64 v23, v26, v27, s[6:7]
	v_bfe_u32 v26, v22, 16, 1
	v_add3_u32 v26, v26, v22, s45
	v_or_b32_e32 v27, 0x400000, v22
	v_cmp_u_f32_e64 s[6:7], v22, v22
	v_mul_f32_e32 v21, s42, v21
	v_cndmask_b32_e64 v22, v26, v27, s[6:7]
	v_bfe_u32 v26, v21, 16, 1
	v_add3_u32 v26, v26, v21, s45
	v_or_b32_e32 v27, 0x400000, v21
	v_cmp_u_f32_e64 s[6:7], v21, v21
	v_mul_f32_e32 v19, s42, v19
	v_cndmask_b32_e64 v21, v26, v27, s[6:7]
	v_bfe_u32 v26, v19, 16, 1
	v_add3_u32 v26, v26, v19, s45
	v_or_b32_e32 v27, 0x400000, v19
	v_cmp_u_f32_e64 s[6:7], v19, v19
	v_mul_f32_e32 v18, s42, v18
	v_cndmask_b32_e64 v19, v26, v27, s[6:7]
	v_bfe_u32 v26, v18, 16, 1
	v_add3_u32 v26, v26, v18, s45
	v_or_b32_e32 v27, 0x400000, v18
	v_cmp_u_f32_e64 s[6:7], v18, v18
	v_mul_f32_e32 v17, s42, v17
	v_cndmask_b32_e64 v18, v26, v27, s[6:7]
	v_bfe_u32 v26, v17, 16, 1
	v_add3_u32 v26, v26, v17, s45
	v_or_b32_e32 v27, 0x400000, v17
	v_cmp_u_f32_e64 s[6:7], v17, v17
	v_mul_f32_e32 v16, s42, v16
	v_cndmask_b32_e64 v17, v26, v27, s[6:7]
	v_bfe_u32 v26, v16, 16, 1
	v_add3_u32 v26, v26, v16, s45
	v_or_b32_e32 v27, 0x400000, v16
	v_cmp_u_f32_e64 s[6:7], v16, v16
	v_mul_f32_e32 v15, s42, v15
	v_cndmask_b32_e64 v16, v26, v27, s[6:7]
	v_bfe_u32 v26, v15, 16, 1
	v_add3_u32 v26, v26, v15, s45
	v_or_b32_e32 v27, 0x400000, v15
	v_cmp_u_f32_e64 s[6:7], v15, v15
	v_mul_f32_e32 v14, s42, v14
	v_cndmask_b32_e64 v15, v26, v27, s[6:7]
	v_bfe_u32 v26, v14, 16, 1
	v_add3_u32 v26, v26, v14, s45
	v_or_b32_e32 v27, 0x400000, v14
	v_cmp_u_f32_e64 s[6:7], v14, v14
	v_mul_f32_e32 v13, s42, v13
	v_cndmask_b32_e64 v14, v26, v27, s[6:7]
	v_bfe_u32 v26, v13, 16, 1
	v_add3_u32 v26, v26, v13, s45
	v_or_b32_e32 v27, 0x400000, v13
	v_cmp_u_f32_e64 s[6:7], v13, v13
	v_mul_f32_e32 v10, s42, v10
	v_cndmask_b32_e64 v13, v26, v27, s[6:7]
	v_bfe_u32 v26, v10, 16, 1
	v_add3_u32 v26, v26, v10, s45
	v_or_b32_e32 v27, 0x400000, v10
	v_cmp_u_f32_e64 s[6:7], v10, v10
	v_mul_f32_e32 v0, s42, v0
	v_cndmask_b32_e64 v10, v26, v27, s[6:7]
	v_bfe_u32 v26, v0, 16, 1
	v_add3_u32 v26, v26, v0, s45
	v_or_b32_e32 v27, 0x400000, v0
	v_cmp_u_f32_e64 s[6:7], v0, v0
	v_mul_f32_e32 v11, s42, v11
	v_cndmask_b32_e64 v0, v26, v27, s[6:7]
	v_bfe_u32 v26, v11, 16, 1
	v_add3_u32 v26, v26, v11, s45
	v_or_b32_e32 v27, 0x400000, v11
	v_cmp_u_f32_e64 s[6:7], v11, v11
	v_mul_f32_e32 v12, s42, v12
	v_cndmask_b32_e64 v11, v26, v27, s[6:7]
	v_bfe_u32 v26, v12, 16, 1
	v_add3_u32 v26, v26, v12, s45
	v_or_b32_e32 v27, 0x400000, v12
	v_cmp_u_f32_e64 s[6:7], v12, v12
	v_mul_f32_e32 v9, s42, v9
	v_cndmask_b32_e64 v12, v26, v27, s[6:7]
	v_bfe_u32 v26, v9, 16, 1
	v_add3_u32 v26, v26, v9, s45
	v_or_b32_e32 v27, 0x400000, v9
	v_cmp_u_f32_e64 s[6:7], v9, v9
	v_cndmask_b32_e64 v9, v26, v27, s[6:7]
	v_mul_f32_e32 v26, s42, v63
	v_bfe_u32 v27, v26, 16, 1
	v_add3_u32 v27, v27, v26, s45
	v_or_b32_e32 v29, 0x400000, v26
	v_cmp_u_f32_e64 s[6:7], v26, v26
	v_cndmask_b32_e64 v26, v27, v29, s[6:7]
	v_mul_f32_e32 v27, s42, v62
	;; [unrolled: 6-line block ×7, first 2 shown]
	v_bfe_u32 v57, v33, 16, 1
	v_add3_u32 v57, v57, v33, s45
	v_or_b32_e32 v58, 0x400000, v33
	v_cmp_u_f32_e64 s[6:7], v33, v33
	v_mul_f32_e32 v56, s42, v56
	v_cndmask_b32_e64 v33, v57, v58, s[6:7]
	v_bfe_u32 v57, v56, 16, 1
	v_add3_u32 v57, v57, v56, s45
	v_or_b32_e32 v58, 0x400000, v56
	v_cmp_u_f32_e64 s[6:7], v56, v56
	v_mul_f32_e32 v55, s42, v55
	v_cndmask_b32_e64 v56, v57, v58, s[6:7]
	;; [unrolled: 6-line block ×4, first 2 shown]
	v_bfe_u32 v57, v28, 16, 1
	v_add3_u32 v57, v57, v28, s45
	v_or_b32_e32 v58, 0x400000, v28
	v_cmp_u_f32_e64 s[6:7], v28, v28
	v_cndmask_b32_e64 v28, v57, v58, s[6:7]
	buffer_load_dword v57, off, s[48:51], 0 offset:12 ; 4-byte Folded Reload
	v_and_b32_e32 v56, 0xffff0000, v56
	v_and_b32_e32 v54, 0xffff0000, v54
	;; [unrolled: 1-line block ×14, first 2 shown]
	s_waitcnt vmcnt(0)
	v_mul_f32_e32 v56, v57, v56
	buffer_load_dword v57, off, s[48:51], 0 ; 4-byte Folded Reload
	s_waitcnt vmcnt(0)
	v_fmac_f32_e32 v56, v57, v54
	v_and_b32_e32 v54, 0xffff0000, v55
	buffer_load_dword v55, off, s[48:51], 0 offset:16 ; 4-byte Folded Reload
	s_waitcnt vmcnt(0)
	v_mul_f32_e32 v33, v55, v33
	buffer_load_dword v55, off, s[48:51], 0 offset:8 ; 4-byte Folded Reload
	s_waitcnt vmcnt(0)
	v_fmac_f32_e32 v33, v55, v54
	buffer_load_dword v54, off, s[48:51], 0 offset:20 ; 4-byte Folded Reload
	s_waitcnt vmcnt(0)
	v_fmac_f32_e32 v56, v54, v32
	;; [unrolled: 3-line block ×9, first 2 shown]
	v_and_b32_e32 v9, 0xffff0000, v11
	buffer_load_dword v11, off, s[48:51], 0 offset:52 ; 4-byte Folded Reload
	s_waitcnt vmcnt(0)
	v_fmac_f32_e32 v56, v11, v9
	buffer_load_dword v9, off, s[48:51], 0 offset:56 ; 4-byte Folded Reload
	s_waitcnt vmcnt(0)
	v_fmac_f32_e32 v33, v9, v0
	v_and_b32_e32 v0, 0xffff0000, v10
	buffer_load_dword v10, off, s[48:51], 0 offset:60 ; 4-byte Folded Reload
	v_and_b32_e32 v9, 0xffff0000, v13
	s_waitcnt vmcnt(0)
	v_fmac_f32_e32 v56, v10, v0
	buffer_load_dword v0, off, s[48:51], 0 offset:64 ; 4-byte Folded Reload
	buffer_load_dword v10, off, s[48:51], 0 offset:68 ; 4-byte Folded Reload
	s_waitcnt vmcnt(1)
	v_fmac_f32_e32 v33, v0, v9
	v_and_b32_e32 v0, 0xffff0000, v14
	s_waitcnt vmcnt(0)
	v_fmac_f32_e32 v56, v10, v0
	buffer_load_dword v0, off, s[48:51], 0 offset:72 ; 4-byte Folded Reload
	buffer_load_dword v10, off, s[48:51], 0 offset:76 ; 4-byte Folded Reload
	v_and_b32_e32 v9, 0xffff0000, v15
	s_waitcnt vmcnt(1)
	v_fmac_f32_e32 v33, v0, v9
	v_and_b32_e32 v0, 0xffff0000, v16
	s_waitcnt vmcnt(0)
	v_fmac_f32_e32 v56, v10, v0
	buffer_load_dword v0, off, s[48:51], 0 offset:80 ; 4-byte Folded Reload
	v_and_b32_e32 v9, 0xffff0000, v17
	s_waitcnt vmcnt(0)
	v_fmac_f32_e32 v33, v0, v9
	v_and_b32_e32 v0, 0xffff0000, v18
	v_and_b32_e32 v9, 0xffff0000, v19
	v_fmac_f32_e32 v56, v34, v0
	v_fmac_f32_e32 v33, v35, v9
	v_and_b32_e32 v0, 0xffff0000, v21
	v_and_b32_e32 v9, 0xffff0000, v22
	v_fmac_f32_e32 v56, v36, v0
	;; [unrolled: 4-line block ×3, first 2 shown]
	v_fmac_f32_e32 v33, v39, v9
	v_and_b32_e32 v0, 0xffff0000, v25
	v_fmac_f32_e32 v56, v40, v0
	v_fmac_f32_e32 v33, v41, v8
	v_and_b32_e32 v0, 0xffff0000, v7
	v_fmac_f32_e32 v56, v42, v0
	v_fmac_f32_e32 v33, v43, v6
	v_and_b32_e32 v0, 0xffff0000, v5
	v_and_b32_e32 v5, 0xffff0000, v28
	v_fmac_f32_e32 v56, v44, v0
	v_fmac_f32_e32 v33, v45, v5
	v_add_f32_e32 v0, v56, v33
	ds_bpermute_b32 v5, v47, v0
	s_waitcnt lgkmcnt(0)
	v_add_f32_e32 v0, v0, v5
	ds_bpermute_b32 v5, v48, v0
	s_and_saveexec_b64 s[16:17], vcc
	s_cbranch_execz .LBB307_8
; %bb.202:                              ;   in Loop: Header=BB307_9 Depth=1
	v_add_u32_e32 v6, s40, v49
	v_cvt_f32_i32_e32 v6, v6
	s_waitcnt lgkmcnt(0)
	v_add_f32_e32 v0, v0, v5
	v_cmp_gt_i32_e64 s[6:7], s33, v49
	v_max_f32_e32 v5, v46, v46
	v_mul_f32_e32 v6, s10, v6
	v_cndmask_b32_e64 v6, 0, v6, s[4:5]
	v_fmac_f32_e32 v6, s11, v0
	v_cndmask_b32_e64 v0, 0, v6, s[6:7]
	ds_write_b32 v50, v0
	v_max_f32_e32 v0, v5, v6
	v_cndmask_b32_e64 v46, v46, v0, s[6:7]
	s_branch .LBB307_8
.LBB307_203:
	s_or_b64 exec, exec, s[14:15]
	buffer_load_dword v13, off, s[48:51], 0 offset:88 ; 4-byte Folded Reload
	buffer_load_dword v14, off, s[48:51], 0 offset:92 ; 4-byte Folded Reload
	;; [unrolled: 1-line block ×3, first 2 shown]
	s_waitcnt vmcnt(0)
	v_add_u32_e32 v15, 64, v8
.LBB307_204:
	s_or_b64 exec, exec, s[34:35]
	v_xor_b32_e32 v0, 32, v14
	v_cmp_lt_i32_e32 vcc, v0, v15
	v_cndmask_b32_e32 v0, v14, v0, vcc
	v_lshlrev_b32_e32 v0, 2, v0
	ds_bpermute_b32 v1, v0, v46
	v_xor_b32_e32 v3, 16, v14
	v_max_f32_e32 v2, v46, v46
	v_cmp_lt_i32_e32 vcc, v3, v15
	v_xor_b32_e32 v4, 8, v14
	s_waitcnt lgkmcnt(0)
	v_max_f32_e32 v1, v1, v1
	v_max_f32_e32 v2, v2, v1
	v_cndmask_b32_e32 v1, v14, v3, vcc
	v_lshlrev_b32_e32 v1, 2, v1
	ds_bpermute_b32 v3, v1, v2
	v_cmp_lt_i32_e32 vcc, v4, v15
	v_xor_b32_e32 v5, 4, v14
	s_waitcnt lgkmcnt(0)
	v_max_f32_e32 v3, v3, v3
	v_max_f32_e32 v2, v2, v3
	v_cndmask_b32_e32 v3, v14, v4, vcc
	v_lshlrev_b32_e32 v4, 2, v3
	ds_bpermute_b32 v3, v4, v2
	v_cmp_lt_i32_e32 vcc, v5, v15
	s_waitcnt lgkmcnt(0)
	v_max_f32_e32 v3, v3, v3
	v_max_f32_e32 v3, v2, v3
	v_cndmask_b32_e32 v2, v14, v5, vcc
	v_lshlrev_b32_e32 v5, 2, v2
	buffer_load_dword v2, off, s[48:51], 0 offset:84 ; 4-byte Folded Reload
	ds_bpermute_b32 v6, v5, v3
	s_waitcnt vmcnt(0)
	v_and_b32_e32 v11, 63, v2
	v_cmp_eq_u32_e32 vcc, 0, v11
	v_lshlrev_b32_e32 v2, 2, v20
	s_and_saveexec_b64 s[4:5], vcc
	s_cbranch_execz .LBB307_206
; %bb.205:
	s_waitcnt lgkmcnt(0)
	v_max_f32_e32 v6, v6, v6
	v_max_f32_e32 v3, v3, v3
	;; [unrolled: 1-line block ×3, first 2 shown]
	ds_write_b32 v2, v3 offset:256
.LBB307_206:
	s_or_b64 exec, exec, s[4:5]
	v_cmp_gt_u32_e64 s[4:5], 2, v11
	s_waitcnt lgkmcnt(0)
	v_mov_b32_e32 v6, 0xff7fffff
	v_lshlrev_b32_e32 v3, 2, v11
	s_barrier
	s_and_saveexec_b64 s[6:7], s[4:5]
; %bb.207:
	ds_read_b32 v6, v3 offset:256
; %bb.208:
	s_or_b64 exec, exec, s[6:7]
	v_xor_b32_e32 v7, 1, v14
	v_cmp_lt_i32_e64 s[6:7], v7, v15
	v_cndmask_b32_e64 v7, v14, v7, s[6:7]
	v_lshlrev_b32_e32 v12, 2, v7
	s_waitcnt lgkmcnt(0)
	ds_bpermute_b32 v7, v12, v6
	v_max_f32_e32 v6, v6, v6
	s_lshl_b32 s6, s23, 4
	s_min_i32 s34, s6, s33
	s_waitcnt lgkmcnt(0)
	v_max_f32_e32 v7, v7, v7
	v_max_f32_e32 v6, v6, v7
	v_lshlrev_b32_e32 v7, 2, v8
	ds_bpermute_b32 v7, v7, v6
	buffer_load_dword v6, off, s[48:51], 0 offset:84 ; 4-byte Folded Reload
	s_waitcnt vmcnt(0)
	v_cmp_gt_i32_e64 s[6:7], s34, v6
	v_mov_b32_e32 v6, 0
	s_and_saveexec_b64 s[14:15], s[6:7]
	s_cbranch_execz .LBB307_212
; %bb.209:
	buffer_load_dword v9, off, s[48:51], 0 offset:84 ; 4-byte Folded Reload
	v_mov_b32_e32 v6, 0x110
	s_mov_b64 s[16:17], 0
	s_waitcnt vmcnt(0)
	v_lshl_add_u32 v8, v9, 2, v6
	v_mov_b32_e32 v6, 0
.LBB307_210:                            ; =>This Inner Loop Header: Depth=1
	ds_read_b32 v10, v8
	v_add_u32_e32 v9, 0x80, v9
	v_cmp_le_i32_e64 s[10:11], s34, v9
	s_or_b64 s[16:17], s[10:11], s[16:17]
	s_waitcnt lgkmcnt(0)
	v_sub_f32_e32 v10, v10, v7
	v_mul_f32_e32 v10, 0x3fb8aa3b, v10
	v_exp_f32_e32 v10, v10
	ds_write_b32 v8, v10
	v_add_f32_e32 v6, v6, v10
	v_add_u32_e32 v8, 0x200, v8
	s_andn2_b64 exec, exec, s[16:17]
	s_cbranch_execnz .LBB307_210
; %bb.211:
	s_or_b64 exec, exec, s[16:17]
.LBB307_212:
	s_or_b64 exec, exec, s[14:15]
	ds_bpermute_b32 v0, v0, v6
	s_waitcnt lgkmcnt(0)
	v_add_f32_e32 v0, v6, v0
	ds_bpermute_b32 v1, v1, v0
	s_waitcnt lgkmcnt(0)
	v_add_f32_e32 v0, v0, v1
	ds_bpermute_b32 v1, v4, v0
	v_xor_b32_e32 v4, 2, v14
	v_cmp_lt_i32_e64 s[10:11], v4, v15
	v_cndmask_b32_e64 v4, v14, v4, s[10:11]
	s_waitcnt lgkmcnt(0)
	v_add_f32_e32 v0, v0, v1
	ds_bpermute_b32 v1, v5, v0
	s_waitcnt lgkmcnt(0)
	v_add_f32_e32 v0, v0, v1
	v_lshlrev_b32_e32 v1, 2, v4
	ds_bpermute_b32 v1, v1, v0
	s_waitcnt lgkmcnt(0)
	v_add_f32_e32 v0, v0, v1
	ds_bpermute_b32 v1, v12, v0
	s_waitcnt lgkmcnt(0)
	v_add_f32_e32 v0, v0, v1
	s_and_saveexec_b64 s[10:11], vcc
; %bb.213:
	ds_write_b32 v2, v0 offset:264
; %bb.214:
	s_or_b64 exec, exec, s[10:11]
	s_waitcnt lgkmcnt(0)
	s_barrier
	s_and_saveexec_b64 s[10:11], s[4:5]
; %bb.215:
	ds_read_b32 v0, v3 offset:264
; %bb.216:
	s_or_b64 exec, exec, s[10:11]
	s_waitcnt lgkmcnt(0)
	ds_bpermute_b32 v1, v12, v0
	v_lshlrev_b32_e32 v2, 2, v14
	s_waitcnt lgkmcnt(0)
	v_add_f32_e32 v0, v0, v1
	v_and_b32_e32 v1, 0xffffff00, v2
	ds_bpermute_b32 v0, v1, v0
	s_and_saveexec_b64 s[4:5], s[6:7]
	s_cbranch_execz .LBB307_219
; %bb.217:
	s_waitcnt lgkmcnt(0)
	v_add_f32_e32 v1, 0x358637bd, v0
	v_div_scale_f32 v0, s[6:7], v1, v1, 1.0
	v_div_scale_f32 v2, vcc, 1.0, v1, 1.0
	s_mov_b64 s[6:7], 0
	v_rcp_f32_e32 v3, v0
	v_fma_f32 v4, -v0, v3, 1.0
	v_fmac_f32_e32 v3, v4, v3
	v_mul_f32_e32 v4, v2, v3
	v_fma_f32 v5, -v0, v4, v2
	v_fmac_f32_e32 v4, v5, v3
	v_fma_f32 v0, -v0, v4, v2
	v_div_fmas_f32 v2, v0, v3, v4
	buffer_load_dword v3, off, s[48:51], 0 offset:84 ; 4-byte Folded Reload
	v_mov_b32_e32 v0, 0x110
	v_div_fixup_f32 v1, v2, v1, 1.0
	s_waitcnt vmcnt(0)
	v_lshl_add_u32 v0, v3, 2, v0
	v_mov_b32_e32 v2, v3
.LBB307_218:                            ; =>This Inner Loop Header: Depth=1
	ds_read_b32 v3, v0
	v_add_u32_e32 v2, 0x80, v2
	v_cmp_le_i32_e32 vcc, s34, v2
	s_or_b64 s[6:7], vcc, s[6:7]
	s_waitcnt lgkmcnt(0)
	v_mul_f32_e32 v3, v1, v3
	ds_write_b32 v0, v3
	v_add_u32_e32 v0, 0x200, v0
	s_andn2_b64 exec, exec, s[6:7]
	s_cbranch_execnz .LBB307_218
.LBB307_219:
	s_or_b64 exec, exec, s[4:5]
	s_waitcnt lgkmcnt(0)
	s_barrier
	buffer_load_dword v0, off, s[48:51], 0 offset:84 ; 4-byte Folded Reload
	v_mov_b32_e32 v25, 0
	v_mov_b32_e32 v27, 0
	;; [unrolled: 1-line block ×4, first 2 shown]
	s_waitcnt vmcnt(0)
	v_and_b32_e32 v7, 1, v0
	s_and_saveexec_b64 s[4:5], s[2:3]
	s_cbranch_execz .LBB307_423
; %bb.220:
	buffer_store_dword v12, off, s[48:51], 0 offset:12 ; 4-byte Folded Spill
	buffer_store_dword v11, off, s[48:51], 0 offset:8 ; 4-byte Folded Spill
	buffer_load_dword v0, off, s[48:51], 0 offset:84 ; 4-byte Folded Reload
	s_ashr_i32 s2, s12, 31
	s_add_u32 s3, s30, s12
	s_addc_u32 s2, s31, s2
	s_load_dword s18, s[18:19], 0x0
	s_add_i32 s19, s23, -1
	v_mov_b32_e32 v2, s2
	s_mov_b32 s6, -1
	s_mov_b32 s34, s13
	s_mov_b32 s7, 0xffffff
	v_mov_b32_e32 v10, 0
	s_mov_b64 s[10:11], 0
	v_mov_b32_e32 v24, 0
	v_mov_b32_e32 v26, 0
	v_mov_b32_e32 v27, 0
	v_mov_b32_e32 v25, 0
	s_waitcnt vmcnt(0)
	v_lshlrev_b32_e32 v0, 3, v0
	v_and_b32_e32 v1, 8, v0
	v_and_b32_e32 v0, 0x1f8, v0
	v_add_co_u32_e32 v3, vcc, s3, v0
	v_lshlrev_b32_e32 v0, 4, v20
	v_or3_b32 v28, v0, v1, 7
	v_lshlrev_b32_e32 v0, 5, v7
	s_lshl_b64 s[2:3], s[28:29], 2
	v_lshl_or_b32 v0, v20, 6, v0
	s_add_u32 s2, s26, s2
	v_addc_co_u32_e32 v4, vcc, 0, v2, vcc
	v_add_u32_e32 v29, 0x110, v0
	v_and_b32_e32 v0, 60, v13
	s_addc_u32 s3, s27, s3
	v_mov_b32_e32 v1, s3
	v_add_co_u32_e32 v13, vcc, s2, v0
	v_addc_co_u32_e32 v14, vcc, 0, v1, vcc
	s_movk_i32 s26, 0x80
	s_movk_i32 s27, 0x7f
	;; [unrolled: 1-line block ×3, first 2 shown]
	buffer_store_dword v3, off, s[48:51], 0 ; 4-byte Folded Spill
	s_nop 0
	buffer_store_dword v4, off, s[48:51], 0 offset:4 ; 4-byte Folded Spill
	buffer_store_dword v7, off, s[48:51], 0 offset:16 ; 4-byte Folded Spill
	s_branch .LBB307_222
.LBB307_221:                            ;   in Loop: Header=BB307_222 Depth=1
	s_or_b64 exec, exec, s[2:3]
	v_bfe_u32 v11, v5, 16, 1
	v_add3_u32 v11, v11, v5, s28
	v_or_b32_e32 v12, 0x400000, v5
	v_cmp_u_f32_e32 vcc, v5, v5
	v_cndmask_b32_e32 v5, v11, v12, vcc
	v_bfe_u32 v11, v6, 16, 1
	v_add3_u32 v11, v11, v6, s28
	v_or_b32_e32 v12, 0x400000, v6
	v_cmp_u_f32_e32 vcc, v6, v6
	v_cndmask_b32_e32 v6, v11, v12, vcc
	;; [unrolled: 5-line block ×4, first 2 shown]
	v_bfe_u32 v11, v1, 16, 1
	v_add3_u32 v11, v11, v1, s28
	v_or_b32_e32 v12, 0x400000, v1
	v_cmp_u_f32_e32 vcc, v1, v1
	v_bfe_u32 v1, v2, 16, 1
	v_cndmask_b32_e32 v11, v11, v12, vcc
	v_add3_u32 v1, v1, v2, s28
	v_or_b32_e32 v12, 0x400000, v2
	v_cmp_u_f32_e32 vcc, v2, v2
	v_cndmask_b32_e32 v12, v1, v12, vcc
	v_bfe_u32 v1, v3, 16, 1
	v_add3_u32 v1, v1, v3, s28
	v_or_b32_e32 v2, 0x400000, v3
	v_cmp_u_f32_e32 vcc, v3, v3
	v_cndmask_b32_e32 v21, v1, v2, vcc
	v_bfe_u32 v1, v4, 16, 1
	v_add3_u32 v1, v1, v4, s28
	v_or_b32_e32 v2, 0x400000, v4
	v_cmp_u_f32_e32 vcc, v4, v4
	v_cndmask_b32_e32 v4, v1, v2, vcc
	v_and_b32_e32 v1, 0xffff0000, v6
	v_lshlrev_b32_e32 v2, 16, v57
	v_mul_f32_e32 v2, v1, v2
	v_bfe_u32 v3, v2, 16, 1
	v_add3_u32 v3, v3, v2, s28
	v_or_b32_e32 v6, 0x400000, v2
	v_cmp_u_f32_e32 vcc, v2, v2
	v_and_b32_e32 v5, 0xffff0000, v5
	v_lshlrev_b32_e32 v2, 16, v58
	v_mul_f32_e32 v2, v5, v2
	v_cndmask_b32_e32 v22, v3, v6, vcc
	v_bfe_u32 v3, v2, 16, 1
	v_add3_u32 v3, v3, v2, s28
	v_or_b32_e32 v6, 0x400000, v2
	v_cmp_u_f32_e32 vcc, v2, v2
	v_cndmask_b32_e32 v23, v3, v6, vcc
	v_and_b32_e32 v2, 0xffff0000, v8
	v_lshlrev_b32_e32 v3, 16, v54
	v_mul_f32_e32 v3, v2, v3
	v_bfe_u32 v6, v3, 16, 1
	v_add3_u32 v6, v6, v3, s28
	v_or_b32_e32 v8, 0x400000, v3
	v_cmp_u_f32_e32 vcc, v3, v3
	v_cndmask_b32_e32 v30, v6, v8, vcc
	v_and_b32_e32 v6, 0xffff0000, v7
	v_lshlrev_b32_e32 v3, 16, v55
	v_mul_f32_e32 v3, v6, v3
	;; [unrolled: 8-line block ×4, first 2 shown]
	v_bfe_u32 v11, v8, 16, 1
	v_add3_u32 v11, v11, v8, s28
	v_or_b32_e32 v18, 0x400000, v8
	v_cmp_u_f32_e32 vcc, v8, v8
	v_and_b32_e32 v4, 0xffff0000, v4
	v_lshlrev_b32_e32 v8, 16, v56
	v_mul_f32_e32 v8, v4, v8
	v_cndmask_b32_e32 v11, v11, v18, vcc
	v_bfe_u32 v18, v8, 16, 1
	v_add3_u32 v18, v18, v8, s28
	v_or_b32_e32 v19, 0x400000, v8
	v_cmp_u_f32_e32 vcc, v8, v8
	v_cndmask_b32_e32 v18, v18, v19, vcc
	v_and_b32_e32 v8, 0xffff0000, v21
	v_lshlrev_b32_e32 v19, 16, v53
	v_mul_f32_e32 v19, v8, v19
	v_bfe_u32 v21, v19, 16, 1
	v_add3_u32 v21, v21, v19, s28
	v_or_b32_e32 v40, 0x400000, v19
	v_cmp_u_f32_e32 vcc, v19, v19
	v_cndmask_b32_e32 v19, v21, v40, vcc
	v_and_b32_e32 v21, 0xffff0000, v23
	v_and_b32_e32 v22, 0xffff0000, v22
	v_add_f32_e32 v21, v21, v22
	v_and_b32_e32 v22, 0xffff0000, v39
	v_and_b32_e32 v23, 0xffff0000, v30
	v_add_f32_e32 v22, v22, v23
	;; [unrolled: 3-line block ×3, first 2 shown]
	v_add_f32_e32 v11, v11, v12
	v_and_b32_e32 v12, 0xffff0000, v19
	v_and_b32_e32 v18, 0xffff0000, v18
	v_add_f32_e32 v11, v11, v21
	v_add_f32_e32 v12, v12, v18
	;; [unrolled: 1-line block ×4, first 2 shown]
	v_lshlrev_b32_e32 v11, 16, v51
	v_mul_f32_e32 v11, v1, v11
	v_bfe_u32 v12, v11, 16, 1
	v_add3_u32 v12, v12, v11, s28
	v_or_b32_e32 v18, 0x400000, v11
	v_cmp_u_f32_e32 vcc, v11, v11
	v_cndmask_b32_e32 v11, v12, v18, vcc
	v_lshlrev_b32_e32 v12, 16, v52
	v_mul_f32_e32 v12, v5, v12
	v_bfe_u32 v18, v12, 16, 1
	v_add3_u32 v18, v18, v12, s28
	v_or_b32_e32 v19, 0x400000, v12
	v_cmp_u_f32_e32 vcc, v12, v12
	v_cndmask_b32_e32 v12, v18, v19, vcc
	;; [unrolled: 7-line block ×5, first 2 shown]
	v_lshlrev_b32_e32 v22, 16, v47
	v_mul_f32_e32 v22, v7, v22
	v_bfe_u32 v23, v22, 16, 1
	v_lshlrev_b32_e32 v0, 16, v0
	v_add3_u32 v23, v23, v22, s28
	v_or_b32_e32 v30, 0x400000, v22
	v_cmp_u_f32_e32 vcc, v22, v22
	v_mul_f32_e32 v0, v4, v0
	v_cndmask_b32_e32 v22, v23, v30, vcc
	v_bfe_u32 v23, v0, 16, 1
	v_add3_u32 v23, v23, v0, s28
	v_or_b32_e32 v30, 0x400000, v0
	v_cmp_u_f32_e32 vcc, v0, v0
	v_cndmask_b32_e32 v0, v23, v30, vcc
	v_lshlrev_b32_e32 v23, 16, v48
	v_and_b32_e32 v12, 0xffff0000, v12
	v_and_b32_e32 v11, 0xffff0000, v11
	v_mul_f32_e32 v23, v8, v23
	v_add_f32_e32 v11, v12, v11
	v_and_b32_e32 v12, 0xffff0000, v19
	v_and_b32_e32 v18, 0xffff0000, v18
	v_bfe_u32 v30, v23, 16, 1
	v_add_f32_e32 v12, v12, v18
	v_add3_u32 v30, v30, v23, s28
	v_or_b32_e32 v39, 0x400000, v23
	v_cmp_u_f32_e32 vcc, v23, v23
	v_add_f32_e32 v11, v12, v11
	v_and_b32_e32 v12, 0xffff0000, v22
	v_and_b32_e32 v18, 0xffff0000, v21
	v_cndmask_b32_e32 v23, v30, v39, vcc
	v_add_f32_e32 v12, v12, v18
	v_add_f32_e32 v11, v12, v11
	v_and_b32_e32 v12, 0xffff0000, v23
	v_and_b32_e32 v0, 0xffff0000, v0
	v_add_f32_e32 v0, v12, v0
	v_add_f32_e32 v0, v0, v11
	;; [unrolled: 1-line block ×3, first 2 shown]
	v_lshlrev_b32_e32 v0, 16, v37
	v_mul_f32_e32 v0, v1, v0
	v_bfe_u32 v11, v0, 16, 1
	v_add3_u32 v11, v11, v0, s28
	v_or_b32_e32 v12, 0x400000, v0
	v_cmp_u_f32_e32 vcc, v0, v0
	v_cndmask_b32_e32 v0, v11, v12, vcc
	v_lshlrev_b32_e32 v11, 16, v38
	v_mul_f32_e32 v11, v5, v11
	v_bfe_u32 v12, v11, 16, 1
	v_add3_u32 v12, v12, v11, s28
	v_or_b32_e32 v18, 0x400000, v11
	v_cmp_u_f32_e32 vcc, v11, v11
	v_cndmask_b32_e32 v11, v12, v18, vcc
	v_lshlrev_b32_e32 v12, 16, v34
	v_mul_f32_e32 v12, v2, v12
	v_bfe_u32 v18, v12, 16, 1
	v_add3_u32 v18, v18, v12, s28
	v_or_b32_e32 v19, 0x400000, v12
	v_cmp_u_f32_e32 vcc, v12, v12
	v_cndmask_b32_e32 v12, v18, v19, vcc
	v_lshlrev_b32_e32 v18, 16, v35
	v_mul_f32_e32 v18, v6, v18
	v_bfe_u32 v19, v18, 16, 1
	v_add3_u32 v19, v19, v18, s28
	v_or_b32_e32 v21, 0x400000, v18
	v_cmp_u_f32_e32 vcc, v18, v18
	v_cndmask_b32_e32 v18, v19, v21, vcc
	v_lshlrev_b32_e32 v19, 16, v31
	v_mul_f32_e32 v19, v3, v19
	v_bfe_u32 v21, v19, 16, 1
	v_add3_u32 v21, v21, v19, s28
	v_or_b32_e32 v22, 0x400000, v19
	v_cmp_u_f32_e32 vcc, v19, v19
	v_cndmask_b32_e32 v19, v21, v22, vcc
	v_lshlrev_b32_e32 v21, 16, v32
	v_mul_f32_e32 v21, v7, v21
	v_bfe_u32 v22, v21, 16, 1
	v_add3_u32 v22, v22, v21, s28
	v_or_b32_e32 v23, 0x400000, v21
	v_cmp_u_f32_e32 vcc, v21, v21
	v_cndmask_b32_e32 v21, v22, v23, vcc
	v_lshlrev_b32_e32 v22, 16, v36
	v_mul_f32_e32 v22, v4, v22
	v_bfe_u32 v23, v22, 16, 1
	v_add3_u32 v23, v23, v22, s28
	v_or_b32_e32 v30, 0x400000, v22
	v_cmp_u_f32_e32 vcc, v22, v22
	v_cndmask_b32_e32 v22, v23, v30, vcc
	v_lshlrev_b32_e32 v23, 16, v33
	v_and_b32_e32 v11, 0xffff0000, v11
	v_and_b32_e32 v0, 0xffff0000, v0
	v_mul_f32_e32 v23, v8, v23
	v_add_f32_e32 v0, v11, v0
	v_and_b32_e32 v11, 0xffff0000, v18
	v_and_b32_e32 v12, 0xffff0000, v12
	v_bfe_u32 v30, v23, 16, 1
	v_add_f32_e32 v11, v11, v12
	v_add3_u32 v30, v30, v23, s28
	v_or_b32_e32 v31, 0x400000, v23
	v_cmp_u_f32_e32 vcc, v23, v23
	v_add_f32_e32 v0, v11, v0
	v_and_b32_e32 v11, 0xffff0000, v21
	v_and_b32_e32 v12, 0xffff0000, v19
	v_cndmask_b32_e32 v23, v30, v31, vcc
	v_add_f32_e32 v11, v11, v12
	v_add_f32_e32 v0, v11, v0
	v_and_b32_e32 v11, 0xffff0000, v23
	v_and_b32_e32 v12, 0xffff0000, v22
	v_add_f32_e32 v11, v11, v12
	v_add_f32_e32 v0, v11, v0
	;; [unrolled: 1-line block ×3, first 2 shown]
	v_lshlrev_b32_e32 v0, 16, v62
	v_mul_f32_e32 v0, v5, v0
	v_bfe_u32 v5, v0, 16, 1
	v_add3_u32 v5, v5, v0, s28
	v_or_b32_e32 v11, 0x400000, v0
	v_cmp_u_f32_e32 vcc, v0, v0
	v_cndmask_b32_e32 v0, v5, v11, vcc
	v_lshlrev_b32_e32 v5, 16, v60
	v_mul_f32_e32 v1, v1, v5
	v_bfe_u32 v5, v1, 16, 1
	v_add3_u32 v5, v5, v1, s28
	v_or_b32_e32 v11, 0x400000, v1
	v_cmp_u_f32_e32 vcc, v1, v1
	v_cndmask_b32_e32 v1, v5, v11, vcc
	;; [unrolled: 7-line block ×7, first 2 shown]
	v_lshlrev_b32_e32 v8, 16, v59
	v_and_b32_e32 v1, 0xffff0000, v1
	v_and_b32_e32 v0, 0xffff0000, v0
	v_mul_f32_e32 v4, v4, v8
	v_add_f32_e32 v0, v0, v1
	v_and_b32_e32 v1, 0xffff0000, v2
	v_and_b32_e32 v2, 0xffff0000, v5
	v_bfe_u32 v8, v4, 16, 1
	v_add_f32_e32 v1, v2, v1
	v_add3_u32 v8, v8, v4, s28
	v_or_b32_e32 v9, 0x400000, v4
	v_cmp_u_f32_e32 vcc, v4, v4
	v_add_f32_e32 v0, v1, v0
	v_and_b32_e32 v1, 0xffff0000, v3
	v_and_b32_e32 v2, 0xffff0000, v6
	v_cndmask_b32_e32 v4, v8, v9, vcc
	v_add_f32_e32 v1, v2, v1
	v_add_f32_e32 v0, v1, v0
	v_and_b32_e32 v1, 0xffff0000, v4
	v_and_b32_e32 v2, 0xffff0000, v7
	v_add_u32_e32 v20, 2, v20
	v_add_f32_e32 v1, v2, v1
	v_cmp_le_i32_e32 vcc, s23, v20
	v_add_f32_e32 v0, v1, v0
	s_or_b64 s[10:11], vcc, s[10:11]
	v_add_co_u32_e32 v13, vcc, 8, v13
	v_add_f32_e32 v24, v24, v0
	v_add_u32_e32 v28, 32, v28
	v_add_u32_e32 v29, 0x80, v29
	v_addc_co_u32_e32 v14, vcc, 0, v14, vcc
	s_andn2_b64 exec, exec, s[10:11]
	s_cbranch_execz .LBB307_422
.LBB307_222:                            ; =>This Inner Loop Header: Depth=1
	global_load_dword v0, v[13:14], off
	buffer_load_dword v1, off, s[48:51], 0  ; 4-byte Folded Reload
	buffer_load_dword v2, off, s[48:51], 0 offset:4 ; 4-byte Folded Reload
	s_waitcnt vmcnt(0)
	v_mad_i64_i32 v[15:16], s[2:3], v0, s34, v[1:2]
	v_mov_b32_e32 v0, 0
	global_load_dwordx2 v[17:18], v[15:16], off
	ds_read2_b64 v[5:8], v29 offset1:1
	ds_read2_b64 v[1:4], v29 offset0:2 offset1:3
	s_waitcnt vmcnt(0)
	v_cmp_ne_u16_sdwa s[12:13], v17, v10 src0_sel:BYTE_0 src1_sel:DWORD
	s_and_saveexec_b64 s[2:3], s[12:13]
	s_cbranch_execz .LBB307_228
; %bb.223:                              ;   in Loop: Header=BB307_222 Depth=1
	v_cmp_ne_u16_sdwa s[14:15], v17, s26 src0_sel:BYTE_0 src1_sel:DWORD
	v_bfrev_b32_e32 v0, 1
	s_and_saveexec_b64 s[12:13], s[14:15]
	s_cbranch_execz .LBB307_227
; %bb.224:                              ;   in Loop: Header=BB307_222 Depth=1
	v_and_b32_e32 v9, 0x7f, v17
	v_cmp_ne_u32_e32 vcc, s27, v9
	v_mov_b32_e32 v0, 0x7f800001
	s_and_saveexec_b64 s[14:15], vcc
	s_cbranch_execz .LBB307_226
; %bb.225:                              ;   in Loop: Header=BB307_222 Depth=1
	v_and_b32_e32 v0, 7, v17
	v_ffbh_u32_e32 v0, v0
	v_min_u32_e32 v0, 32, v0
	v_subrev_u32_e32 v12, 28, v0
	v_cmp_gt_u32_e32 vcc, 8, v9
	v_lshrrev_b32_e32 v11, 3, v9
	v_cndmask_b32_e32 v9, 0, v12, vcc
	v_lshlrev_b64 v[21:22], v9, v[17:18]
	v_sub_u32_e32 v0, 29, v0
	v_cndmask_b32_e32 v0, v11, v0, vcc
	v_lshlrev_b32_e32 v9, 20, v21
	v_lshlrev_b32_e32 v11, 24, v17
	v_bfrev_b32_e32 v12, 60
	v_and_b32_e32 v9, 0x700000, v9
	v_and_b32_e32 v11, 0x80000000, v11
	v_lshl_add_u32 v0, v0, 23, v12
	v_or3_b32 v0, v11, v0, v9
.LBB307_226:                            ;   in Loop: Header=BB307_222 Depth=1
	s_or_b64 exec, exec, s[14:15]
.LBB307_227:                            ;   in Loop: Header=BB307_222 Depth=1
	s_or_b64 exec, exec, s[12:13]
.LBB307_228:                            ;   in Loop: Header=BB307_222 Depth=1
	s_or_b64 exec, exec, s[2:3]
	v_lshrrev_b16_e32 v9, 8, v17
	v_cmp_ne_u16_e32 vcc, 0, v9
	v_mov_b32_e32 v35, 0
	v_mov_b32_e32 v33, 0
	s_and_saveexec_b64 s[2:3], vcc
	s_cbranch_execz .LBB307_234
; %bb.229:                              ;   in Loop: Header=BB307_222 Depth=1
	v_cmp_ne_u16_e32 vcc, s26, v9
	v_bfrev_b32_e32 v33, 1
	s_and_saveexec_b64 s[12:13], vcc
	s_cbranch_execz .LBB307_233
; %bb.230:                              ;   in Loop: Header=BB307_222 Depth=1
	v_and_b32_e32 v19, 0x7f, v9
	v_cmp_ne_u32_e32 vcc, s27, v19
	v_mov_b32_e32 v33, 0x7f800001
	s_and_saveexec_b64 s[14:15], vcc
	s_cbranch_execz .LBB307_232
; %bb.231:                              ;   in Loop: Header=BB307_222 Depth=1
	v_and_b32_e32 v11, 7, v9
	v_ffbh_u32_e32 v21, v11
	v_min_u32_e32 v23, 32, v21
	v_subrev_u32_e32 v21, 28, v23
	v_lshlrev_b64 v[21:22], v21, v[9:10]
	v_lshrrev_b32_e32 v12, 3, v19
	v_sub_u32_e32 v9, 29, v23
	v_and_b32_e32 v21, 7, v21
	v_cmp_gt_u32_e32 vcc, 8, v19
	v_cndmask_b32_e32 v9, v12, v9, vcc
	v_cndmask_b32_e32 v11, v11, v21, vcc
	v_lshlrev_b32_e32 v12, 16, v17
	v_bfrev_b32_e32 v19, 60
	v_lshlrev_b32_e32 v11, 20, v11
	v_and_b32_e32 v12, 0x80000000, v12
	v_lshl_add_u32 v9, v9, 23, v19
	v_or3_b32 v33, v12, v9, v11
.LBB307_232:                            ;   in Loop: Header=BB307_222 Depth=1
	s_or_b64 exec, exec, s[14:15]
.LBB307_233:                            ;   in Loop: Header=BB307_222 Depth=1
	s_or_b64 exec, exec, s[12:13]
.LBB307_234:                            ;   in Loop: Header=BB307_222 Depth=1
	s_or_b64 exec, exec, s[2:3]
	v_lshrrev_b32_e32 v9, 16, v17
	v_cmp_ne_u16_sdwa s[12:13], v9, v10 src0_sel:BYTE_0 src1_sel:DWORD
	s_and_saveexec_b64 s[2:3], s[12:13]
	s_cbranch_execz .LBB307_240
; %bb.235:                              ;   in Loop: Header=BB307_222 Depth=1
	v_cmp_ne_u16_sdwa s[14:15], v9, s26 src0_sel:BYTE_0 src1_sel:DWORD
	v_bfrev_b32_e32 v35, 1
	s_and_saveexec_b64 s[12:13], s[14:15]
	s_cbranch_execz .LBB307_239
; %bb.236:                              ;   in Loop: Header=BB307_222 Depth=1
	v_bfe_u32 v19, v17, 16, 7
	v_cmp_ne_u32_e32 vcc, s27, v19
	v_mov_b32_e32 v35, 0x7f800001
	s_and_saveexec_b64 s[14:15], vcc
	s_cbranch_execz .LBB307_238
; %bb.237:                              ;   in Loop: Header=BB307_222 Depth=1
	v_and_b32_e32 v11, 7, v9
	v_ffbh_u32_e32 v21, v11
	v_min_u32_e32 v23, 32, v21
	v_subrev_u32_e32 v21, 28, v23
	v_lshlrev_b64 v[21:22], v21, v[9:10]
	v_lshrrev_b32_e32 v12, 3, v19
	v_sub_u32_e32 v22, 29, v23
	v_and_b32_e32 v21, 7, v21
	v_cmp_gt_u32_e32 vcc, 8, v19
	v_cndmask_b32_e32 v12, v12, v22, vcc
	v_cndmask_b32_e32 v11, v11, v21, vcc
	v_lshlrev_b32_e32 v9, 24, v9
	v_bfrev_b32_e32 v19, 60
	v_lshlrev_b32_e32 v11, 20, v11
	v_and_b32_e32 v9, 0x80000000, v9
	v_lshl_add_u32 v12, v12, 23, v19
	v_or3_b32 v35, v9, v12, v11
.LBB307_238:                            ;   in Loop: Header=BB307_222 Depth=1
	s_or_b64 exec, exec, s[14:15]
.LBB307_239:                            ;   in Loop: Header=BB307_222 Depth=1
	s_or_b64 exec, exec, s[12:13]
.LBB307_240:                            ;   in Loop: Header=BB307_222 Depth=1
	s_or_b64 exec, exec, s[2:3]
	v_cmp_lt_u32_e32 vcc, s7, v17
	v_mov_b32_e32 v32, 0
	v_mov_b32_e32 v34, 0
	s_and_saveexec_b64 s[2:3], vcc
	s_cbranch_execz .LBB307_246
; %bb.241:                              ;   in Loop: Header=BB307_222 Depth=1
	v_lshrrev_b32_e32 v9, 24, v17
	v_cmp_ne_u32_e32 vcc, s26, v9
	v_bfrev_b32_e32 v34, 1
	s_and_saveexec_b64 s[12:13], vcc
	s_cbranch_execz .LBB307_245
; %bb.242:                              ;   in Loop: Header=BB307_222 Depth=1
	v_bfe_u32 v19, v17, 24, 7
	v_cmp_ne_u32_e32 vcc, s27, v19
	v_mov_b32_e32 v34, 0x7f800001
	s_and_saveexec_b64 s[14:15], vcc
	s_cbranch_execz .LBB307_244
; %bb.243:                              ;   in Loop: Header=BB307_222 Depth=1
	v_and_b32_e32 v11, 7, v9
	v_ffbh_u32_e32 v21, v11
	v_min_u32_e32 v23, 32, v21
	v_subrev_u32_e32 v21, 28, v23
	v_lshlrev_b64 v[21:22], v21, v[9:10]
	v_lshrrev_b32_e32 v12, 3, v19
	v_sub_u32_e32 v22, 29, v23
	v_and_b32_e32 v21, 7, v21
	v_cmp_gt_u32_e32 vcc, 8, v19
	v_cndmask_b32_e32 v12, v12, v22, vcc
	v_cndmask_b32_e32 v11, v11, v21, vcc
	v_lshlrev_b32_e32 v9, 24, v9
	v_bfrev_b32_e32 v19, 60
	v_lshlrev_b32_e32 v11, 20, v11
	v_and_b32_e32 v9, 0x80000000, v9
	v_lshl_add_u32 v12, v12, 23, v19
	v_or3_b32 v34, v9, v12, v11
.LBB307_244:                            ;   in Loop: Header=BB307_222 Depth=1
	s_or_b64 exec, exec, s[14:15]
.LBB307_245:                            ;   in Loop: Header=BB307_222 Depth=1
	s_or_b64 exec, exec, s[12:13]
.LBB307_246:                            ;   in Loop: Header=BB307_222 Depth=1
	s_or_b64 exec, exec, s[2:3]
	v_mov_b32_e32 v9, v18
	v_cmp_ne_u16_sdwa s[12:13], v18, v10 src0_sel:BYTE_0 src1_sel:DWORD
	s_and_saveexec_b64 s[2:3], s[12:13]
	s_cbranch_execz .LBB307_252
; %bb.247:                              ;   in Loop: Header=BB307_222 Depth=1
	v_cmp_ne_u16_sdwa s[14:15], v18, s26 src0_sel:BYTE_0 src1_sel:DWORD
	v_bfrev_b32_e32 v32, 1
	s_and_saveexec_b64 s[12:13], s[14:15]
	s_cbranch_execz .LBB307_251
; %bb.248:                              ;   in Loop: Header=BB307_222 Depth=1
	v_and_b32_e32 v19, 0x7f, v18
	v_cmp_ne_u32_e32 vcc, s27, v19
	v_mov_b32_e32 v32, 0x7f800001
	s_and_saveexec_b64 s[14:15], vcc
	s_cbranch_execz .LBB307_250
; %bb.249:                              ;   in Loop: Header=BB307_222 Depth=1
	v_and_b32_e32 v11, 7, v18
	v_ffbh_u32_e32 v11, v11
	v_min_u32_e32 v11, 32, v11
	v_lshrrev_b32_e32 v12, 3, v19
	v_subrev_u32_e32 v21, 28, v11
	v_sub_u32_e32 v11, 29, v11
	v_cmp_gt_u32_e32 vcc, 8, v19
	v_cndmask_b32_e32 v11, v12, v11, vcc
	v_cndmask_b32_e32 v12, 0, v21, vcc
	v_lshlrev_b64 v[21:22], v12, v[9:10]
	v_lshlrev_b32_e32 v19, 24, v9
	v_lshlrev_b32_e32 v12, 20, v21
	v_bfrev_b32_e32 v21, 60
	v_and_b32_e32 v12, 0x700000, v12
	v_and_b32_e32 v19, 0x80000000, v19
	v_lshl_add_u32 v11, v11, 23, v21
	v_or3_b32 v32, v19, v11, v12
.LBB307_250:                            ;   in Loop: Header=BB307_222 Depth=1
	s_or_b64 exec, exec, s[14:15]
.LBB307_251:                            ;   in Loop: Header=BB307_222 Depth=1
	s_or_b64 exec, exec, s[12:13]
.LBB307_252:                            ;   in Loop: Header=BB307_222 Depth=1
	s_or_b64 exec, exec, s[2:3]
	v_lshrrev_b16_e32 v19, 8, v9
	v_cmp_ne_u16_e32 vcc, 0, v19
	v_mov_b32_e32 v23, 0
	v_mov_b32_e32 v31, 0
	s_and_saveexec_b64 s[2:3], vcc
	s_cbranch_execz .LBB307_258
; %bb.253:                              ;   in Loop: Header=BB307_222 Depth=1
	v_cmp_ne_u16_e32 vcc, s26, v19
	v_bfrev_b32_e32 v31, 1
	s_and_saveexec_b64 s[12:13], vcc
	s_cbranch_execz .LBB307_257
; %bb.254:                              ;   in Loop: Header=BB307_222 Depth=1
	v_and_b32_e32 v21, 0x7f, v19
	v_cmp_ne_u32_e32 vcc, s27, v21
	v_mov_b32_e32 v31, 0x7f800001
	s_and_saveexec_b64 s[14:15], vcc
	s_cbranch_execz .LBB307_256
; %bb.255:                              ;   in Loop: Header=BB307_222 Depth=1
	v_and_b32_e32 v11, 7, v19
	v_ffbh_u32_e32 v22, v11
	v_min_u32_e32 v22, 32, v22
	v_subrev_u32_e32 v31, 28, v22
	v_lshlrev_b64 v[36:37], v31, v[19:20]
	v_lshrrev_b32_e32 v12, 3, v21
	v_sub_u32_e32 v19, 29, v22
	v_and_b32_e32 v22, 7, v36
	v_cmp_gt_u32_e32 vcc, 8, v21
	v_cndmask_b32_e32 v12, v12, v19, vcc
	v_cndmask_b32_e32 v11, v11, v22, vcc
	v_lshlrev_b32_e32 v9, 16, v9
	v_bfrev_b32_e32 v19, 60
	v_lshlrev_b32_e32 v11, 20, v11
	v_and_b32_e32 v9, 0x80000000, v9
	v_lshl_add_u32 v12, v12, 23, v19
	v_or3_b32 v31, v9, v12, v11
.LBB307_256:                            ;   in Loop: Header=BB307_222 Depth=1
	s_or_b64 exec, exec, s[14:15]
.LBB307_257:                            ;   in Loop: Header=BB307_222 Depth=1
	s_or_b64 exec, exec, s[12:13]
.LBB307_258:                            ;   in Loop: Header=BB307_222 Depth=1
	s_or_b64 exec, exec, s[2:3]
	v_lshrrev_b32_e32 v9, 16, v18
	v_cmp_ne_u16_sdwa s[12:13], v9, v10 src0_sel:BYTE_0 src1_sel:DWORD
	s_and_saveexec_b64 s[2:3], s[12:13]
	s_cbranch_execz .LBB307_264
; %bb.259:                              ;   in Loop: Header=BB307_222 Depth=1
	v_cmp_ne_u16_sdwa s[14:15], v9, s26 src0_sel:BYTE_0 src1_sel:DWORD
	v_bfrev_b32_e32 v23, 1
	s_and_saveexec_b64 s[12:13], s[14:15]
	s_cbranch_execz .LBB307_263
; %bb.260:                              ;   in Loop: Header=BB307_222 Depth=1
	v_bfe_u32 v19, v18, 16, 7
	v_cmp_ne_u32_e32 vcc, s27, v19
	v_mov_b32_e32 v23, 0x7f800001
	s_and_saveexec_b64 s[14:15], vcc
	s_cbranch_execz .LBB307_262
; %bb.261:                              ;   in Loop: Header=BB307_222 Depth=1
	v_and_b32_e32 v11, 7, v9
	v_ffbh_u32_e32 v21, v11
	v_min_u32_e32 v23, 32, v21
	v_subrev_u32_e32 v21, 28, v23
	v_lshlrev_b64 v[21:22], v21, v[9:10]
	v_lshrrev_b32_e32 v12, 3, v19
	v_sub_u32_e32 v22, 29, v23
	v_and_b32_e32 v21, 7, v21
	v_cmp_gt_u32_e32 vcc, 8, v19
	v_cndmask_b32_e32 v12, v12, v22, vcc
	v_cndmask_b32_e32 v11, v11, v21, vcc
	v_lshlrev_b32_e32 v9, 24, v9
	v_bfrev_b32_e32 v19, 60
	v_lshlrev_b32_e32 v11, 20, v11
	v_and_b32_e32 v9, 0x80000000, v9
	v_lshl_add_u32 v12, v12, 23, v19
	v_or3_b32 v23, v9, v12, v11
.LBB307_262:                            ;   in Loop: Header=BB307_222 Depth=1
	s_or_b64 exec, exec, s[14:15]
.LBB307_263:                            ;   in Loop: Header=BB307_222 Depth=1
	s_or_b64 exec, exec, s[12:13]
.LBB307_264:                            ;   in Loop: Header=BB307_222 Depth=1
	s_or_b64 exec, exec, s[2:3]
	v_cmp_lt_u64_e32 vcc, s[6:7], v[17:18]
	v_mov_b32_e32 v17, 0
	s_and_saveexec_b64 s[2:3], vcc
	s_cbranch_execz .LBB307_270
; %bb.265:                              ;   in Loop: Header=BB307_222 Depth=1
	v_lshrrev_b32_e32 v9, 24, v18
	v_cmp_ne_u32_e32 vcc, s26, v9
	v_bfrev_b32_e32 v17, 1
	s_and_saveexec_b64 s[12:13], vcc
	s_cbranch_execz .LBB307_269
; %bb.266:                              ;   in Loop: Header=BB307_222 Depth=1
	v_bfe_u32 v18, v18, 24, 7
	v_cmp_ne_u32_e32 vcc, s27, v18
	v_mov_b32_e32 v17, 0x7f800001
	s_and_saveexec_b64 s[14:15], vcc
	s_cbranch_execz .LBB307_268
; %bb.267:                              ;   in Loop: Header=BB307_222 Depth=1
	v_and_b32_e32 v11, 7, v9
	v_ffbh_u32_e32 v17, v11
	v_min_u32_e32 v17, 32, v17
	v_subrev_u32_e32 v19, 28, v17
	v_lshlrev_b64 v[21:22], v19, v[9:10]
	v_lshrrev_b32_e32 v12, 3, v18
	v_sub_u32_e32 v17, 29, v17
	v_and_b32_e32 v19, 7, v21
	v_cmp_gt_u32_e32 vcc, 8, v18
	v_cndmask_b32_e32 v12, v12, v17, vcc
	v_cndmask_b32_e32 v11, v11, v19, vcc
	v_lshlrev_b32_e32 v9, 24, v9
	v_bfrev_b32_e32 v17, 60
	v_lshlrev_b32_e32 v11, 20, v11
	v_and_b32_e32 v9, 0x80000000, v9
	v_lshl_add_u32 v12, v12, 23, v17
	v_or3_b32 v17, v9, v12, v11
.LBB307_268:                            ;   in Loop: Header=BB307_222 Depth=1
	s_or_b64 exec, exec, s[14:15]
.LBB307_269:                            ;   in Loop: Header=BB307_222 Depth=1
	s_or_b64 exec, exec, s[12:13]
.LBB307_270:                            ;   in Loop: Header=BB307_222 Depth=1
	s_or_b64 exec, exec, s[2:3]
	s_waitcnt lgkmcnt(0)
	v_mul_f32_e32 v9, s18, v31
	v_bfe_u32 v11, v9, 16, 1
	v_add3_u32 v11, v11, v9, s28
	v_or_b32_e32 v12, 0x400000, v9
	v_cmp_u_f32_e64 s[2:3], v9, v9
	v_cndmask_b32_e64 v9, v11, v12, s[2:3]
	v_lshrrev_b32_e32 v31, 16, v9
	v_mul_f32_e32 v9, s18, v32
	v_bfe_u32 v11, v9, 16, 1
	v_add3_u32 v11, v11, v9, s28
	v_or_b32_e32 v12, 0x400000, v9
	v_cmp_u_f32_e64 s[2:3], v9, v9
	v_cndmask_b32_e64 v9, v11, v12, s[2:3]
	v_lshrrev_b32_e32 v32, 16, v9
	;; [unrolled: 7-line block ×4, first 2 shown]
	v_mul_f32_e32 v9, s18, v33
	v_bfe_u32 v11, v9, 16, 1
	v_add3_u32 v11, v11, v9, s28
	v_or_b32_e32 v12, 0x400000, v9
	v_cmp_u_f32_e64 s[2:3], v9, v9
	v_cndmask_b32_e64 v9, v11, v12, s[2:3]
	v_mul_f32_e32 v0, s18, v0
	v_lshrrev_b32_e32 v37, 16, v9
	v_bfe_u32 v9, v0, 16, 1
	v_add3_u32 v9, v9, v0, s28
	v_or_b32_e32 v11, 0x400000, v0
	v_cmp_u_f32_e64 s[2:3], v0, v0
	v_cndmask_b32_e64 v0, v9, v11, s[2:3]
	v_lshrrev_b32_e32 v38, 16, v0
	v_mul_f32_e32 v0, s18, v23
	v_bfe_u32 v9, v0, 16, 1
	v_add3_u32 v9, v9, v0, s28
	v_or_b32_e32 v11, 0x400000, v0
	v_cmp_u_f32_e64 s[2:3], v0, v0
	v_cndmask_b32_e64 v0, v9, v11, s[2:3]
	v_lshrrev_b32_e32 v33, 16, v0
	v_mul_f32_e32 v0, s18, v17
	v_bfe_u32 v9, v0, 16, 1
	v_add3_u32 v9, v9, v0, s28
	v_or_b32_e32 v11, 0x400000, v0
	v_cmp_u_f32_e64 s[2:3], v0, v0
	v_cndmask_b32_e64 v0, v9, v11, s[2:3]
	v_add_u32_e32 v39, -7, v28
	v_cmp_eq_u32_e32 vcc, s19, v20
	v_lshrrev_b32_e32 v36, 16, v0
	v_add_u32_e32 v45, -6, v28
	v_add_u32_e32 v44, -5, v28
	;; [unrolled: 1-line block ×6, first 2 shown]
	s_and_saveexec_b64 s[12:13], vcc
	s_cbranch_execz .LBB307_272
; %bb.271:                              ;   in Loop: Header=BB307_222 Depth=1
	v_cmp_gt_i32_e64 s[2:3], s33, v39
	v_cndmask_b32_e64 v38, 0, v38, s[2:3]
	v_cmp_gt_i32_e64 s[2:3], s33, v45
	v_cndmask_b32_e64 v37, 0, v37, s[2:3]
	;; [unrolled: 2-line block ×8, first 2 shown]
.LBB307_272:                            ;   in Loop: Header=BB307_222 Depth=1
	s_or_b64 exec, exec, s[12:13]
	global_load_dwordx2 v[17:18], v[15:16], off offset:512
	v_mov_b32_e32 v48, 0
	v_mov_b32_e32 v0, 0
	s_waitcnt vmcnt(0)
	v_cmp_ne_u16_sdwa s[2:3], v17, v10 src0_sel:BYTE_0 src1_sel:DWORD
	s_and_saveexec_b64 s[12:13], s[2:3]
	s_cbranch_execz .LBB307_278
; %bb.273:                              ;   in Loop: Header=BB307_222 Depth=1
	v_cmp_ne_u16_sdwa s[2:3], v17, s26 src0_sel:BYTE_0 src1_sel:DWORD
	v_bfrev_b32_e32 v0, 1
	s_and_saveexec_b64 s[14:15], s[2:3]
	s_cbranch_execz .LBB307_277
; %bb.274:                              ;   in Loop: Header=BB307_222 Depth=1
	v_and_b32_e32 v9, 0x7f, v17
	v_cmp_ne_u32_e64 s[2:3], s27, v9
	v_mov_b32_e32 v0, 0x7f800001
	s_and_saveexec_b64 s[16:17], s[2:3]
	s_cbranch_execz .LBB307_276
; %bb.275:                              ;   in Loop: Header=BB307_222 Depth=1
	v_and_b32_e32 v0, 7, v17
	v_ffbh_u32_e32 v0, v0
	v_min_u32_e32 v0, 32, v0
	v_subrev_u32_e32 v12, 28, v0
	v_cmp_gt_u32_e64 s[2:3], 8, v9
	v_lshrrev_b32_e32 v11, 3, v9
	v_cndmask_b32_e64 v9, 0, v12, s[2:3]
	v_lshlrev_b64 v[21:22], v9, v[17:18]
	v_sub_u32_e32 v0, 29, v0
	v_cndmask_b32_e64 v0, v11, v0, s[2:3]
	v_lshlrev_b32_e32 v9, 20, v21
	v_lshlrev_b32_e32 v11, 24, v17
	v_bfrev_b32_e32 v12, 60
	v_and_b32_e32 v9, 0x700000, v9
	v_and_b32_e32 v11, 0x80000000, v11
	v_lshl_add_u32 v0, v0, 23, v12
	v_or3_b32 v0, v11, v0, v9
.LBB307_276:                            ;   in Loop: Header=BB307_222 Depth=1
	s_or_b64 exec, exec, s[16:17]
.LBB307_277:                            ;   in Loop: Header=BB307_222 Depth=1
	s_or_b64 exec, exec, s[14:15]
.LBB307_278:                            ;   in Loop: Header=BB307_222 Depth=1
	s_or_b64 exec, exec, s[12:13]
	v_lshrrev_b16_e32 v9, 8, v17
	v_cmp_ne_u16_e64 s[2:3], 0, v9
	s_and_saveexec_b64 s[12:13], s[2:3]
	s_cbranch_execz .LBB307_284
; %bb.279:                              ;   in Loop: Header=BB307_222 Depth=1
	v_cmp_ne_u16_e64 s[2:3], s26, v9
	v_bfrev_b32_e32 v48, 1
	s_and_saveexec_b64 s[14:15], s[2:3]
	s_cbranch_execz .LBB307_283
; %bb.280:                              ;   in Loop: Header=BB307_222 Depth=1
	v_and_b32_e32 v19, 0x7f, v9
	v_cmp_ne_u32_e64 s[2:3], s27, v19
	v_mov_b32_e32 v48, 0x7f800001
	s_and_saveexec_b64 s[16:17], s[2:3]
	s_cbranch_execz .LBB307_282
; %bb.281:                              ;   in Loop: Header=BB307_222 Depth=1
	v_and_b32_e32 v11, 7, v9
	v_ffbh_u32_e32 v21, v11
	v_min_u32_e32 v23, 32, v21
	v_subrev_u32_e32 v21, 28, v23
	v_lshlrev_b64 v[21:22], v21, v[9:10]
	v_lshrrev_b32_e32 v12, 3, v19
	v_sub_u32_e32 v9, 29, v23
	v_and_b32_e32 v21, 7, v21
	v_cmp_gt_u32_e64 s[2:3], 8, v19
	v_cndmask_b32_e64 v9, v12, v9, s[2:3]
	v_cndmask_b32_e64 v11, v11, v21, s[2:3]
	v_lshlrev_b32_e32 v12, 16, v17
	v_bfrev_b32_e32 v19, 60
	v_lshlrev_b32_e32 v11, 20, v11
	v_and_b32_e32 v12, 0x80000000, v12
	v_lshl_add_u32 v9, v9, 23, v19
	v_or3_b32 v48, v12, v9, v11
.LBB307_282:                            ;   in Loop: Header=BB307_222 Depth=1
	s_or_b64 exec, exec, s[16:17]
.LBB307_283:                            ;   in Loop: Header=BB307_222 Depth=1
	s_or_b64 exec, exec, s[14:15]
.LBB307_284:                            ;   in Loop: Header=BB307_222 Depth=1
	s_or_b64 exec, exec, s[12:13]
	v_lshrrev_b32_e32 v9, 16, v17
	v_cmp_ne_u16_sdwa s[2:3], v9, v10 src0_sel:BYTE_0 src1_sel:DWORD
	v_mov_b32_e32 v49, 0
	v_mov_b32_e32 v50, 0
	s_and_saveexec_b64 s[12:13], s[2:3]
	s_cbranch_execz .LBB307_290
; %bb.285:                              ;   in Loop: Header=BB307_222 Depth=1
	v_cmp_ne_u16_sdwa s[2:3], v9, s26 src0_sel:BYTE_0 src1_sel:DWORD
	v_bfrev_b32_e32 v50, 1
	s_and_saveexec_b64 s[14:15], s[2:3]
	s_cbranch_execz .LBB307_289
; %bb.286:                              ;   in Loop: Header=BB307_222 Depth=1
	v_bfe_u32 v19, v17, 16, 7
	v_cmp_ne_u32_e64 s[2:3], s27, v19
	v_mov_b32_e32 v50, 0x7f800001
	s_and_saveexec_b64 s[16:17], s[2:3]
	s_cbranch_execz .LBB307_288
; %bb.287:                              ;   in Loop: Header=BB307_222 Depth=1
	v_and_b32_e32 v11, 7, v9
	v_ffbh_u32_e32 v21, v11
	v_min_u32_e32 v23, 32, v21
	v_subrev_u32_e32 v21, 28, v23
	v_lshlrev_b64 v[21:22], v21, v[9:10]
	v_lshrrev_b32_e32 v12, 3, v19
	v_sub_u32_e32 v22, 29, v23
	v_and_b32_e32 v21, 7, v21
	v_cmp_gt_u32_e64 s[2:3], 8, v19
	v_cndmask_b32_e64 v12, v12, v22, s[2:3]
	v_cndmask_b32_e64 v11, v11, v21, s[2:3]
	v_lshlrev_b32_e32 v9, 24, v9
	v_bfrev_b32_e32 v19, 60
	v_lshlrev_b32_e32 v11, 20, v11
	v_and_b32_e32 v9, 0x80000000, v9
	v_lshl_add_u32 v12, v12, 23, v19
	v_or3_b32 v50, v9, v12, v11
.LBB307_288:                            ;   in Loop: Header=BB307_222 Depth=1
	s_or_b64 exec, exec, s[16:17]
.LBB307_289:                            ;   in Loop: Header=BB307_222 Depth=1
	s_or_b64 exec, exec, s[14:15]
.LBB307_290:                            ;   in Loop: Header=BB307_222 Depth=1
	s_or_b64 exec, exec, s[12:13]
	v_cmp_lt_u32_e64 s[2:3], s7, v17
	s_and_saveexec_b64 s[12:13], s[2:3]
	s_cbranch_execz .LBB307_296
; %bb.291:                              ;   in Loop: Header=BB307_222 Depth=1
	v_lshrrev_b32_e32 v9, 24, v17
	v_cmp_ne_u32_e64 s[2:3], s26, v9
	v_bfrev_b32_e32 v49, 1
	s_and_saveexec_b64 s[14:15], s[2:3]
	s_cbranch_execz .LBB307_295
; %bb.292:                              ;   in Loop: Header=BB307_222 Depth=1
	v_bfe_u32 v19, v17, 24, 7
	v_cmp_ne_u32_e64 s[2:3], s27, v19
	v_mov_b32_e32 v49, 0x7f800001
	s_and_saveexec_b64 s[16:17], s[2:3]
	s_cbranch_execz .LBB307_294
; %bb.293:                              ;   in Loop: Header=BB307_222 Depth=1
	v_and_b32_e32 v11, 7, v9
	v_ffbh_u32_e32 v21, v11
	v_min_u32_e32 v23, 32, v21
	v_subrev_u32_e32 v21, 28, v23
	v_lshlrev_b64 v[21:22], v21, v[9:10]
	v_lshrrev_b32_e32 v12, 3, v19
	v_sub_u32_e32 v22, 29, v23
	v_and_b32_e32 v21, 7, v21
	v_cmp_gt_u32_e64 s[2:3], 8, v19
	v_cndmask_b32_e64 v12, v12, v22, s[2:3]
	v_cndmask_b32_e64 v11, v11, v21, s[2:3]
	v_lshlrev_b32_e32 v9, 24, v9
	v_bfrev_b32_e32 v19, 60
	v_lshlrev_b32_e32 v11, 20, v11
	v_and_b32_e32 v9, 0x80000000, v9
	v_lshl_add_u32 v12, v12, 23, v19
	v_or3_b32 v49, v9, v12, v11
.LBB307_294:                            ;   in Loop: Header=BB307_222 Depth=1
	s_or_b64 exec, exec, s[16:17]
.LBB307_295:                            ;   in Loop: Header=BB307_222 Depth=1
	s_or_b64 exec, exec, s[14:15]
.LBB307_296:                            ;   in Loop: Header=BB307_222 Depth=1
	s_or_b64 exec, exec, s[12:13]
	v_mov_b32_e32 v9, v18
	v_cmp_ne_u16_sdwa s[2:3], v18, v10 src0_sel:BYTE_0 src1_sel:DWORD
	v_mov_b32_e32 v46, 0
	v_mov_b32_e32 v23, 0
	s_and_saveexec_b64 s[12:13], s[2:3]
	s_cbranch_execz .LBB307_302
; %bb.297:                              ;   in Loop: Header=BB307_222 Depth=1
	v_cmp_ne_u16_sdwa s[2:3], v18, s26 src0_sel:BYTE_0 src1_sel:DWORD
	v_bfrev_b32_e32 v23, 1
	s_and_saveexec_b64 s[14:15], s[2:3]
	s_cbranch_execz .LBB307_301
; %bb.298:                              ;   in Loop: Header=BB307_222 Depth=1
	v_and_b32_e32 v19, 0x7f, v18
	v_cmp_ne_u32_e64 s[2:3], s27, v19
	v_mov_b32_e32 v23, 0x7f800001
	s_and_saveexec_b64 s[16:17], s[2:3]
	s_cbranch_execz .LBB307_300
; %bb.299:                              ;   in Loop: Header=BB307_222 Depth=1
	v_and_b32_e32 v11, 7, v18
	v_ffbh_u32_e32 v11, v11
	v_min_u32_e32 v11, 32, v11
	v_lshrrev_b32_e32 v12, 3, v19
	v_subrev_u32_e32 v21, 28, v11
	v_sub_u32_e32 v11, 29, v11
	v_cmp_gt_u32_e64 s[2:3], 8, v19
	v_cndmask_b32_e64 v11, v12, v11, s[2:3]
	v_cndmask_b32_e64 v12, 0, v21, s[2:3]
	v_lshlrev_b64 v[21:22], v12, v[9:10]
	v_lshlrev_b32_e32 v19, 24, v9
	v_lshlrev_b32_e32 v12, 20, v21
	v_bfrev_b32_e32 v21, 60
	v_and_b32_e32 v12, 0x700000, v12
	v_and_b32_e32 v19, 0x80000000, v19
	v_lshl_add_u32 v11, v11, 23, v21
	v_or3_b32 v23, v19, v11, v12
.LBB307_300:                            ;   in Loop: Header=BB307_222 Depth=1
	s_or_b64 exec, exec, s[16:17]
.LBB307_301:                            ;   in Loop: Header=BB307_222 Depth=1
	s_or_b64 exec, exec, s[14:15]
.LBB307_302:                            ;   in Loop: Header=BB307_222 Depth=1
	s_or_b64 exec, exec, s[12:13]
	v_lshrrev_b16_e32 v19, 8, v9
	v_cmp_ne_u16_e64 s[2:3], 0, v19
	s_and_saveexec_b64 s[12:13], s[2:3]
	s_cbranch_execz .LBB307_308
; %bb.303:                              ;   in Loop: Header=BB307_222 Depth=1
	v_cmp_ne_u16_e64 s[2:3], s26, v19
	v_bfrev_b32_e32 v46, 1
	s_and_saveexec_b64 s[14:15], s[2:3]
	s_cbranch_execz .LBB307_307
; %bb.304:                              ;   in Loop: Header=BB307_222 Depth=1
	v_and_b32_e32 v21, 0x7f, v19
	v_cmp_ne_u32_e64 s[2:3], s27, v21
	v_mov_b32_e32 v46, 0x7f800001
	s_and_saveexec_b64 s[16:17], s[2:3]
	s_cbranch_execz .LBB307_306
; %bb.305:                              ;   in Loop: Header=BB307_222 Depth=1
	v_and_b32_e32 v11, 7, v19
	v_ffbh_u32_e32 v22, v11
	v_min_u32_e32 v22, 32, v22
	v_subrev_u32_e32 v46, 28, v22
	v_lshlrev_b64 v[46:47], v46, v[19:20]
	v_lshrrev_b32_e32 v12, 3, v21
	v_sub_u32_e32 v19, 29, v22
	v_and_b32_e32 v22, 7, v46
	v_cmp_gt_u32_e64 s[2:3], 8, v21
	v_cndmask_b32_e64 v12, v12, v19, s[2:3]
	v_cndmask_b32_e64 v11, v11, v22, s[2:3]
	v_lshlrev_b32_e32 v9, 16, v9
	v_bfrev_b32_e32 v19, 60
	v_lshlrev_b32_e32 v11, 20, v11
	v_and_b32_e32 v9, 0x80000000, v9
	v_lshl_add_u32 v12, v12, 23, v19
	v_or3_b32 v46, v9, v12, v11
.LBB307_306:                            ;   in Loop: Header=BB307_222 Depth=1
	s_or_b64 exec, exec, s[16:17]
.LBB307_307:                            ;   in Loop: Header=BB307_222 Depth=1
	s_or_b64 exec, exec, s[14:15]
.LBB307_308:                            ;   in Loop: Header=BB307_222 Depth=1
	s_or_b64 exec, exec, s[12:13]
	v_lshrrev_b32_e32 v9, 16, v18
	v_cmp_ne_u16_sdwa s[2:3], v9, v10 src0_sel:BYTE_0 src1_sel:DWORD
	v_mov_b32_e32 v19, 0
	v_mov_b32_e32 v21, 0
	s_and_saveexec_b64 s[12:13], s[2:3]
	s_cbranch_execz .LBB307_314
; %bb.309:                              ;   in Loop: Header=BB307_222 Depth=1
	v_cmp_ne_u16_sdwa s[2:3], v9, s26 src0_sel:BYTE_0 src1_sel:DWORD
	v_bfrev_b32_e32 v21, 1
	s_and_saveexec_b64 s[14:15], s[2:3]
	s_cbranch_execz .LBB307_313
; %bb.310:                              ;   in Loop: Header=BB307_222 Depth=1
	v_bfe_u32 v47, v18, 16, 7
	v_cmp_ne_u32_e64 s[2:3], s27, v47
	v_mov_b32_e32 v21, 0x7f800001
	s_and_saveexec_b64 s[16:17], s[2:3]
	s_cbranch_execz .LBB307_312
; %bb.311:                              ;   in Loop: Header=BB307_222 Depth=1
	v_and_b32_e32 v11, 7, v9
	v_ffbh_u32_e32 v21, v11
	v_min_u32_e32 v51, 32, v21
	v_subrev_u32_e32 v21, 28, v51
	v_lshlrev_b64 v[21:22], v21, v[9:10]
	v_lshrrev_b32_e32 v12, 3, v47
	v_sub_u32_e32 v22, 29, v51
	v_and_b32_e32 v21, 7, v21
	v_cmp_gt_u32_e64 s[2:3], 8, v47
	v_cndmask_b32_e64 v12, v12, v22, s[2:3]
	v_cndmask_b32_e64 v11, v11, v21, s[2:3]
	v_lshlrev_b32_e32 v9, 24, v9
	v_bfrev_b32_e32 v21, 60
	v_lshlrev_b32_e32 v11, 20, v11
	v_and_b32_e32 v9, 0x80000000, v9
	v_lshl_add_u32 v12, v12, 23, v21
	v_or3_b32 v21, v9, v12, v11
.LBB307_312:                            ;   in Loop: Header=BB307_222 Depth=1
	s_or_b64 exec, exec, s[16:17]
.LBB307_313:                            ;   in Loop: Header=BB307_222 Depth=1
	s_or_b64 exec, exec, s[14:15]
.LBB307_314:                            ;   in Loop: Header=BB307_222 Depth=1
	s_or_b64 exec, exec, s[12:13]
	v_cmp_lt_u64_e64 s[2:3], s[6:7], v[17:18]
	s_and_saveexec_b64 s[12:13], s[2:3]
	s_cbranch_execz .LBB307_320
; %bb.315:                              ;   in Loop: Header=BB307_222 Depth=1
	v_lshrrev_b32_e32 v9, 24, v18
	v_cmp_ne_u32_e64 s[2:3], s26, v9
	v_bfrev_b32_e32 v19, 1
	s_and_saveexec_b64 s[14:15], s[2:3]
	s_cbranch_execz .LBB307_319
; %bb.316:                              ;   in Loop: Header=BB307_222 Depth=1
	v_bfe_u32 v17, v18, 24, 7
	v_cmp_ne_u32_e64 s[2:3], s27, v17
	v_mov_b32_e32 v19, 0x7f800001
	s_and_saveexec_b64 s[16:17], s[2:3]
	s_cbranch_execz .LBB307_318
; %bb.317:                              ;   in Loop: Header=BB307_222 Depth=1
	v_and_b32_e32 v11, 7, v9
	v_ffbh_u32_e32 v18, v11
	v_min_u32_e32 v22, 32, v18
	v_subrev_u32_e32 v18, 28, v22
	v_lshlrev_b64 v[18:19], v18, v[9:10]
	v_lshrrev_b32_e32 v12, 3, v17
	v_sub_u32_e32 v19, 29, v22
	v_and_b32_e32 v18, 7, v18
	v_cmp_gt_u32_e64 s[2:3], 8, v17
	v_cndmask_b32_e64 v12, v12, v19, s[2:3]
	v_cndmask_b32_e64 v11, v11, v18, s[2:3]
	v_lshlrev_b32_e32 v9, 24, v9
	v_bfrev_b32_e32 v17, 60
	v_lshlrev_b32_e32 v11, 20, v11
	v_and_b32_e32 v9, 0x80000000, v9
	v_lshl_add_u32 v12, v12, 23, v17
	v_or3_b32 v19, v9, v12, v11
.LBB307_318:                            ;   in Loop: Header=BB307_222 Depth=1
	s_or_b64 exec, exec, s[16:17]
.LBB307_319:                            ;   in Loop: Header=BB307_222 Depth=1
	s_or_b64 exec, exec, s[14:15]
.LBB307_320:                            ;   in Loop: Header=BB307_222 Depth=1
	s_or_b64 exec, exec, s[12:13]
	v_mul_f32_e32 v9, s18, v46
	v_bfe_u32 v11, v9, 16, 1
	v_add3_u32 v11, v11, v9, s28
	v_or_b32_e32 v12, 0x400000, v9
	v_cmp_u_f32_e64 s[2:3], v9, v9
	v_cndmask_b32_e64 v9, v11, v12, s[2:3]
	v_lshrrev_b32_e32 v46, 16, v9
	v_mul_f32_e32 v9, s18, v23
	v_bfe_u32 v11, v9, 16, 1
	v_add3_u32 v11, v11, v9, s28
	v_or_b32_e32 v12, 0x400000, v9
	v_cmp_u_f32_e64 s[2:3], v9, v9
	v_cndmask_b32_e64 v9, v11, v12, s[2:3]
	v_lshrrev_b32_e32 v47, 16, v9
	v_mul_f32_e32 v9, s18, v49
	v_bfe_u32 v11, v9, 16, 1
	v_add3_u32 v11, v11, v9, s28
	v_or_b32_e32 v12, 0x400000, v9
	v_cmp_u_f32_e64 s[2:3], v9, v9
	v_cndmask_b32_e64 v9, v11, v12, s[2:3]
	v_lshrrev_b32_e32 v49, 16, v9
	v_mul_f32_e32 v9, s18, v50
	v_bfe_u32 v11, v9, 16, 1
	v_add3_u32 v11, v11, v9, s28
	v_or_b32_e32 v12, 0x400000, v9
	v_cmp_u_f32_e64 s[2:3], v9, v9
	v_cndmask_b32_e64 v9, v11, v12, s[2:3]
	v_lshrrev_b32_e32 v50, 16, v9
	v_mul_f32_e32 v9, s18, v48
	v_bfe_u32 v11, v9, 16, 1
	v_add3_u32 v11, v11, v9, s28
	v_or_b32_e32 v12, 0x400000, v9
	v_cmp_u_f32_e64 s[2:3], v9, v9
	v_cndmask_b32_e64 v9, v11, v12, s[2:3]
	v_mul_f32_e32 v0, s18, v0
	v_lshrrev_b32_e32 v51, 16, v9
	v_bfe_u32 v9, v0, 16, 1
	v_add3_u32 v9, v9, v0, s28
	v_or_b32_e32 v11, 0x400000, v0
	v_cmp_u_f32_e64 s[2:3], v0, v0
	v_cndmask_b32_e64 v0, v9, v11, s[2:3]
	v_lshrrev_b32_e32 v52, 16, v0
	v_mul_f32_e32 v0, s18, v21
	v_bfe_u32 v9, v0, 16, 1
	v_add3_u32 v9, v9, v0, s28
	v_or_b32_e32 v11, 0x400000, v0
	v_cmp_u_f32_e64 s[2:3], v0, v0
	v_cndmask_b32_e64 v0, v9, v11, s[2:3]
	v_lshrrev_b32_e32 v48, 16, v0
	v_mul_f32_e32 v0, s18, v19
	v_bfe_u32 v9, v0, 16, 1
	v_add3_u32 v9, v9, v0, s28
	v_or_b32_e32 v11, 0x400000, v0
	v_cmp_u_f32_e64 s[2:3], v0, v0
	v_cndmask_b32_e64 v0, v9, v11, s[2:3]
	v_lshrrev_b32_e32 v0, 16, v0
	s_and_saveexec_b64 s[12:13], vcc
	s_cbranch_execz .LBB307_322
; %bb.321:                              ;   in Loop: Header=BB307_222 Depth=1
	v_cmp_gt_i32_e64 s[2:3], s33, v39
	v_cndmask_b32_e64 v52, 0, v52, s[2:3]
	v_cmp_gt_i32_e64 s[2:3], s33, v45
	v_cndmask_b32_e64 v51, 0, v51, s[2:3]
	;; [unrolled: 2-line block ×8, first 2 shown]
.LBB307_322:                            ;   in Loop: Header=BB307_222 Depth=1
	s_or_b64 exec, exec, s[12:13]
	global_load_dwordx2 v[17:18], v[15:16], off offset:1024
	v_mov_b32_e32 v56, 0
	v_mov_b32_e32 v53, 0
	s_waitcnt vmcnt(0)
	v_cmp_ne_u16_sdwa s[2:3], v17, v10 src0_sel:BYTE_0 src1_sel:DWORD
	s_and_saveexec_b64 s[12:13], s[2:3]
	s_cbranch_execz .LBB307_328
; %bb.323:                              ;   in Loop: Header=BB307_222 Depth=1
	v_cmp_ne_u16_sdwa s[2:3], v17, s26 src0_sel:BYTE_0 src1_sel:DWORD
	v_bfrev_b32_e32 v53, 1
	s_and_saveexec_b64 s[14:15], s[2:3]
	s_cbranch_execz .LBB307_327
; %bb.324:                              ;   in Loop: Header=BB307_222 Depth=1
	v_and_b32_e32 v9, 0x7f, v17
	v_cmp_ne_u32_e64 s[2:3], s27, v9
	v_mov_b32_e32 v53, 0x7f800001
	s_and_saveexec_b64 s[16:17], s[2:3]
	s_cbranch_execz .LBB307_326
; %bb.325:                              ;   in Loop: Header=BB307_222 Depth=1
	v_and_b32_e32 v11, 7, v17
	v_ffbh_u32_e32 v11, v11
	v_min_u32_e32 v11, 32, v11
	v_lshrrev_b32_e32 v12, 3, v9
	v_subrev_u32_e32 v19, 28, v11
	v_sub_u32_e32 v11, 29, v11
	v_cmp_gt_u32_e64 s[2:3], 8, v9
	v_cndmask_b32_e64 v9, v12, v11, s[2:3]
	v_cndmask_b32_e64 v11, 0, v19, s[2:3]
	v_lshlrev_b64 v[21:22], v11, v[17:18]
	v_lshlrev_b32_e32 v12, 24, v17
	v_lshlrev_b32_e32 v11, 20, v21
	v_bfrev_b32_e32 v19, 60
	v_and_b32_e32 v11, 0x700000, v11
	v_and_b32_e32 v12, 0x80000000, v12
	v_lshl_add_u32 v9, v9, 23, v19
	v_or3_b32 v53, v12, v9, v11
.LBB307_326:                            ;   in Loop: Header=BB307_222 Depth=1
	s_or_b64 exec, exec, s[16:17]
.LBB307_327:                            ;   in Loop: Header=BB307_222 Depth=1
	s_or_b64 exec, exec, s[14:15]
.LBB307_328:                            ;   in Loop: Header=BB307_222 Depth=1
	s_or_b64 exec, exec, s[12:13]
	v_lshrrev_b16_e32 v9, 8, v17
	v_cmp_ne_u16_e64 s[2:3], 0, v9
	s_and_saveexec_b64 s[12:13], s[2:3]
	s_cbranch_execz .LBB307_334
; %bb.329:                              ;   in Loop: Header=BB307_222 Depth=1
	v_cmp_ne_u16_e64 s[2:3], s26, v9
	v_bfrev_b32_e32 v56, 1
	s_and_saveexec_b64 s[14:15], s[2:3]
	s_cbranch_execz .LBB307_333
; %bb.330:                              ;   in Loop: Header=BB307_222 Depth=1
	v_and_b32_e32 v19, 0x7f, v9
	v_cmp_ne_u32_e64 s[2:3], s27, v19
	v_mov_b32_e32 v56, 0x7f800001
	s_and_saveexec_b64 s[16:17], s[2:3]
	s_cbranch_execz .LBB307_332
; %bb.331:                              ;   in Loop: Header=BB307_222 Depth=1
	v_and_b32_e32 v11, 7, v9
	v_ffbh_u32_e32 v21, v11
	v_min_u32_e32 v23, 32, v21
	v_subrev_u32_e32 v21, 28, v23
	v_lshlrev_b64 v[21:22], v21, v[9:10]
	v_lshrrev_b32_e32 v12, 3, v19
	v_sub_u32_e32 v9, 29, v23
	v_and_b32_e32 v21, 7, v21
	v_cmp_gt_u32_e64 s[2:3], 8, v19
	v_cndmask_b32_e64 v9, v12, v9, s[2:3]
	v_cndmask_b32_e64 v11, v11, v21, s[2:3]
	v_lshlrev_b32_e32 v12, 16, v17
	v_bfrev_b32_e32 v19, 60
	v_lshlrev_b32_e32 v11, 20, v11
	v_and_b32_e32 v12, 0x80000000, v12
	v_lshl_add_u32 v9, v9, 23, v19
	v_or3_b32 v56, v12, v9, v11
.LBB307_332:                            ;   in Loop: Header=BB307_222 Depth=1
	s_or_b64 exec, exec, s[16:17]
.LBB307_333:                            ;   in Loop: Header=BB307_222 Depth=1
	s_or_b64 exec, exec, s[14:15]
.LBB307_334:                            ;   in Loop: Header=BB307_222 Depth=1
	s_or_b64 exec, exec, s[12:13]
	v_lshrrev_b32_e32 v9, 16, v17
	v_cmp_ne_u16_sdwa s[2:3], v9, v10 src0_sel:BYTE_0 src1_sel:DWORD
	v_mov_b32_e32 v54, 0
	v_mov_b32_e32 v55, 0
	s_and_saveexec_b64 s[12:13], s[2:3]
	s_cbranch_execz .LBB307_340
; %bb.335:                              ;   in Loop: Header=BB307_222 Depth=1
	v_cmp_ne_u16_sdwa s[2:3], v9, s26 src0_sel:BYTE_0 src1_sel:DWORD
	v_bfrev_b32_e32 v55, 1
	s_and_saveexec_b64 s[14:15], s[2:3]
	s_cbranch_execz .LBB307_339
; %bb.336:                              ;   in Loop: Header=BB307_222 Depth=1
	v_bfe_u32 v19, v17, 16, 7
	v_cmp_ne_u32_e64 s[2:3], s27, v19
	v_mov_b32_e32 v55, 0x7f800001
	s_and_saveexec_b64 s[16:17], s[2:3]
	s_cbranch_execz .LBB307_338
; %bb.337:                              ;   in Loop: Header=BB307_222 Depth=1
	v_and_b32_e32 v11, 7, v9
	v_ffbh_u32_e32 v21, v11
	v_min_u32_e32 v23, 32, v21
	v_subrev_u32_e32 v21, 28, v23
	v_lshlrev_b64 v[21:22], v21, v[9:10]
	v_lshrrev_b32_e32 v12, 3, v19
	v_sub_u32_e32 v22, 29, v23
	v_and_b32_e32 v21, 7, v21
	v_cmp_gt_u32_e64 s[2:3], 8, v19
	v_cndmask_b32_e64 v12, v12, v22, s[2:3]
	v_cndmask_b32_e64 v11, v11, v21, s[2:3]
	v_lshlrev_b32_e32 v9, 24, v9
	v_bfrev_b32_e32 v19, 60
	v_lshlrev_b32_e32 v11, 20, v11
	v_and_b32_e32 v9, 0x80000000, v9
	v_lshl_add_u32 v12, v12, 23, v19
	v_or3_b32 v55, v9, v12, v11
.LBB307_338:                            ;   in Loop: Header=BB307_222 Depth=1
	s_or_b64 exec, exec, s[16:17]
.LBB307_339:                            ;   in Loop: Header=BB307_222 Depth=1
	s_or_b64 exec, exec, s[14:15]
.LBB307_340:                            ;   in Loop: Header=BB307_222 Depth=1
	s_or_b64 exec, exec, s[12:13]
	v_cmp_lt_u32_e64 s[2:3], s7, v17
	s_and_saveexec_b64 s[12:13], s[2:3]
	s_cbranch_execz .LBB307_346
; %bb.341:                              ;   in Loop: Header=BB307_222 Depth=1
	v_lshrrev_b32_e32 v9, 24, v17
	v_cmp_ne_u32_e64 s[2:3], s26, v9
	v_bfrev_b32_e32 v54, 1
	s_and_saveexec_b64 s[14:15], s[2:3]
	s_cbranch_execz .LBB307_345
; %bb.342:                              ;   in Loop: Header=BB307_222 Depth=1
	v_bfe_u32 v19, v17, 24, 7
	v_cmp_ne_u32_e64 s[2:3], s27, v19
	v_mov_b32_e32 v54, 0x7f800001
	s_and_saveexec_b64 s[16:17], s[2:3]
	s_cbranch_execz .LBB307_344
; %bb.343:                              ;   in Loop: Header=BB307_222 Depth=1
	v_and_b32_e32 v11, 7, v9
	v_ffbh_u32_e32 v21, v11
	v_min_u32_e32 v23, 32, v21
	v_subrev_u32_e32 v21, 28, v23
	v_lshlrev_b64 v[21:22], v21, v[9:10]
	v_lshrrev_b32_e32 v12, 3, v19
	v_sub_u32_e32 v22, 29, v23
	v_and_b32_e32 v21, 7, v21
	v_cmp_gt_u32_e64 s[2:3], 8, v19
	v_cndmask_b32_e64 v12, v12, v22, s[2:3]
	v_cndmask_b32_e64 v11, v11, v21, s[2:3]
	v_lshlrev_b32_e32 v9, 24, v9
	v_bfrev_b32_e32 v19, 60
	v_lshlrev_b32_e32 v11, 20, v11
	v_and_b32_e32 v9, 0x80000000, v9
	v_lshl_add_u32 v12, v12, 23, v19
	v_or3_b32 v54, v9, v12, v11
.LBB307_344:                            ;   in Loop: Header=BB307_222 Depth=1
	s_or_b64 exec, exec, s[16:17]
.LBB307_345:                            ;   in Loop: Header=BB307_222 Depth=1
	s_or_b64 exec, exec, s[14:15]
.LBB307_346:                            ;   in Loop: Header=BB307_222 Depth=1
	s_or_b64 exec, exec, s[12:13]
	v_mov_b32_e32 v9, v18
	v_cmp_ne_u16_sdwa s[2:3], v18, v10 src0_sel:BYTE_0 src1_sel:DWORD
	v_mov_b32_e32 v23, 0
	v_mov_b32_e32 v57, 0
	s_and_saveexec_b64 s[12:13], s[2:3]
	s_cbranch_execz .LBB307_352
; %bb.347:                              ;   in Loop: Header=BB307_222 Depth=1
	v_cmp_ne_u16_sdwa s[2:3], v18, s26 src0_sel:BYTE_0 src1_sel:DWORD
	v_bfrev_b32_e32 v57, 1
	s_and_saveexec_b64 s[14:15], s[2:3]
	s_cbranch_execz .LBB307_351
; %bb.348:                              ;   in Loop: Header=BB307_222 Depth=1
	v_and_b32_e32 v19, 0x7f, v18
	v_cmp_ne_u32_e64 s[2:3], s27, v19
	v_mov_b32_e32 v57, 0x7f800001
	s_and_saveexec_b64 s[16:17], s[2:3]
	s_cbranch_execz .LBB307_350
; %bb.349:                              ;   in Loop: Header=BB307_222 Depth=1
	v_and_b32_e32 v11, 7, v18
	v_ffbh_u32_e32 v11, v11
	v_min_u32_e32 v11, 32, v11
	v_lshrrev_b32_e32 v12, 3, v19
	v_subrev_u32_e32 v21, 28, v11
	v_sub_u32_e32 v11, 29, v11
	v_cmp_gt_u32_e64 s[2:3], 8, v19
	v_cndmask_b32_e64 v11, v12, v11, s[2:3]
	v_cndmask_b32_e64 v12, 0, v21, s[2:3]
	v_lshlrev_b64 v[21:22], v12, v[9:10]
	v_lshlrev_b32_e32 v19, 24, v9
	v_lshlrev_b32_e32 v12, 20, v21
	v_bfrev_b32_e32 v21, 60
	v_and_b32_e32 v12, 0x700000, v12
	v_and_b32_e32 v19, 0x80000000, v19
	v_lshl_add_u32 v11, v11, 23, v21
	v_or3_b32 v57, v19, v11, v12
.LBB307_350:                            ;   in Loop: Header=BB307_222 Depth=1
	s_or_b64 exec, exec, s[16:17]
.LBB307_351:                            ;   in Loop: Header=BB307_222 Depth=1
	s_or_b64 exec, exec, s[14:15]
.LBB307_352:                            ;   in Loop: Header=BB307_222 Depth=1
	s_or_b64 exec, exec, s[12:13]
	v_lshrrev_b16_e32 v19, 8, v9
	v_cmp_ne_u16_e64 s[2:3], 0, v19
	s_and_saveexec_b64 s[12:13], s[2:3]
	s_cbranch_execz .LBB307_358
; %bb.353:                              ;   in Loop: Header=BB307_222 Depth=1
	v_cmp_ne_u16_e64 s[2:3], s26, v19
	v_bfrev_b32_e32 v23, 1
	s_and_saveexec_b64 s[14:15], s[2:3]
	s_cbranch_execz .LBB307_357
; %bb.354:                              ;   in Loop: Header=BB307_222 Depth=1
	v_and_b32_e32 v21, 0x7f, v19
	v_cmp_ne_u32_e64 s[2:3], s27, v21
	v_mov_b32_e32 v23, 0x7f800001
	s_and_saveexec_b64 s[16:17], s[2:3]
	s_cbranch_execz .LBB307_356
; %bb.355:                              ;   in Loop: Header=BB307_222 Depth=1
	v_and_b32_e32 v11, 7, v19
	v_lshrrev_b32_e32 v12, 3, v21
	v_cmp_gt_u32_e64 s[2:3], 8, v21
	v_ffbh_u32_e32 v21, v11
	v_min_u32_e32 v23, 32, v21
	v_subrev_u32_e32 v21, 28, v23
	v_lshlrev_b64 v[21:22], v21, v[19:20]
	v_sub_u32_e32 v19, 29, v23
	v_and_b32_e32 v21, 7, v21
	v_cndmask_b32_e64 v12, v12, v19, s[2:3]
	v_cndmask_b32_e64 v11, v11, v21, s[2:3]
	v_lshlrev_b32_e32 v9, 16, v9
	v_bfrev_b32_e32 v19, 60
	v_lshlrev_b32_e32 v11, 20, v11
	v_and_b32_e32 v9, 0x80000000, v9
	v_lshl_add_u32 v12, v12, 23, v19
	v_or3_b32 v23, v9, v12, v11
.LBB307_356:                            ;   in Loop: Header=BB307_222 Depth=1
	s_or_b64 exec, exec, s[16:17]
.LBB307_357:                            ;   in Loop: Header=BB307_222 Depth=1
	s_or_b64 exec, exec, s[14:15]
.LBB307_358:                            ;   in Loop: Header=BB307_222 Depth=1
	s_or_b64 exec, exec, s[12:13]
	v_lshrrev_b32_e32 v9, 16, v18
	v_cmp_ne_u16_sdwa s[2:3], v9, v10 src0_sel:BYTE_0 src1_sel:DWORD
	v_mov_b32_e32 v59, 0
	v_mov_b32_e32 v21, 0
	s_and_saveexec_b64 s[12:13], s[2:3]
	s_cbranch_execz .LBB307_364
; %bb.359:                              ;   in Loop: Header=BB307_222 Depth=1
	v_cmp_ne_u16_sdwa s[2:3], v9, s26 src0_sel:BYTE_0 src1_sel:DWORD
	v_bfrev_b32_e32 v21, 1
	s_and_saveexec_b64 s[14:15], s[2:3]
	s_cbranch_execz .LBB307_363
; %bb.360:                              ;   in Loop: Header=BB307_222 Depth=1
	v_bfe_u32 v19, v18, 16, 7
	v_cmp_ne_u32_e64 s[2:3], s27, v19
	v_mov_b32_e32 v21, 0x7f800001
	s_and_saveexec_b64 s[16:17], s[2:3]
	s_cbranch_execz .LBB307_362
; %bb.361:                              ;   in Loop: Header=BB307_222 Depth=1
	v_and_b32_e32 v11, 7, v9
	v_lshrrev_b32_e32 v12, 3, v19
	v_cmp_gt_u32_e64 s[2:3], 8, v19
	v_ffbh_u32_e32 v19, v11
	v_min_u32_e32 v19, 32, v19
	v_subrev_u32_e32 v21, 28, v19
	v_lshlrev_b64 v[21:22], v21, v[9:10]
	v_sub_u32_e32 v19, 29, v19
	v_and_b32_e32 v21, 7, v21
	v_cndmask_b32_e64 v12, v12, v19, s[2:3]
	v_cndmask_b32_e64 v11, v11, v21, s[2:3]
	v_lshlrev_b32_e32 v9, 24, v9
	v_bfrev_b32_e32 v19, 60
	v_lshlrev_b32_e32 v11, 20, v11
	v_and_b32_e32 v9, 0x80000000, v9
	v_lshl_add_u32 v12, v12, 23, v19
	v_or3_b32 v21, v9, v12, v11
.LBB307_362:                            ;   in Loop: Header=BB307_222 Depth=1
	s_or_b64 exec, exec, s[16:17]
.LBB307_363:                            ;   in Loop: Header=BB307_222 Depth=1
	s_or_b64 exec, exec, s[14:15]
.LBB307_364:                            ;   in Loop: Header=BB307_222 Depth=1
	s_or_b64 exec, exec, s[12:13]
	v_cmp_lt_u64_e64 s[2:3], s[6:7], v[17:18]
	s_and_saveexec_b64 s[12:13], s[2:3]
	s_cbranch_execz .LBB307_370
; %bb.365:                              ;   in Loop: Header=BB307_222 Depth=1
	v_lshrrev_b32_e32 v9, 24, v18
	v_cmp_ne_u32_e64 s[2:3], s26, v9
	v_bfrev_b32_e32 v59, 1
	s_and_saveexec_b64 s[14:15], s[2:3]
	s_cbranch_execz .LBB307_369
; %bb.366:                              ;   in Loop: Header=BB307_222 Depth=1
	v_bfe_u32 v17, v18, 24, 7
	v_cmp_ne_u32_e64 s[2:3], s27, v17
	v_mov_b32_e32 v59, 0x7f800001
	s_and_saveexec_b64 s[16:17], s[2:3]
	s_cbranch_execz .LBB307_368
; %bb.367:                              ;   in Loop: Header=BB307_222 Depth=1
	v_and_b32_e32 v11, 7, v9
	v_lshrrev_b32_e32 v12, 3, v17
	v_cmp_gt_u32_e64 s[2:3], 8, v17
	v_ffbh_u32_e32 v17, v11
	v_min_u32_e32 v19, 32, v17
	v_subrev_u32_e32 v17, 28, v19
	v_lshlrev_b64 v[17:18], v17, v[9:10]
	v_sub_u32_e32 v18, 29, v19
	v_and_b32_e32 v17, 7, v17
	v_cndmask_b32_e64 v12, v12, v18, s[2:3]
	v_cndmask_b32_e64 v11, v11, v17, s[2:3]
	v_lshlrev_b32_e32 v9, 24, v9
	v_bfrev_b32_e32 v17, 60
	v_lshlrev_b32_e32 v11, 20, v11
	v_and_b32_e32 v9, 0x80000000, v9
	v_lshl_add_u32 v12, v12, 23, v17
	v_or3_b32 v59, v9, v12, v11
.LBB307_368:                            ;   in Loop: Header=BB307_222 Depth=1
	s_or_b64 exec, exec, s[16:17]
.LBB307_369:                            ;   in Loop: Header=BB307_222 Depth=1
	s_or_b64 exec, exec, s[14:15]
.LBB307_370:                            ;   in Loop: Header=BB307_222 Depth=1
	s_or_b64 exec, exec, s[12:13]
	v_mul_f32_e32 v9, s18, v23
	v_bfe_u32 v11, v9, 16, 1
	v_add3_u32 v11, v11, v9, s28
	v_or_b32_e32 v12, 0x400000, v9
	v_cmp_u_f32_e64 s[2:3], v9, v9
	v_cndmask_b32_e64 v9, v11, v12, s[2:3]
	v_lshrrev_b32_e32 v18, 16, v9
	v_mul_f32_e32 v9, s18, v57
	v_bfe_u32 v11, v9, 16, 1
	v_add3_u32 v11, v11, v9, s28
	v_or_b32_e32 v12, 0x400000, v9
	v_cmp_u_f32_e64 s[2:3], v9, v9
	v_cndmask_b32_e64 v9, v11, v12, s[2:3]
	v_lshrrev_b32_e32 v19, 16, v9
	;; [unrolled: 7-line block ×8, first 2 shown]
	s_and_saveexec_b64 s[12:13], vcc
	s_cbranch_execz .LBB307_372
; %bb.371:                              ;   in Loop: Header=BB307_222 Depth=1
	v_cmp_gt_i32_e64 s[2:3], s33, v39
	v_cndmask_b32_e64 v58, 0, v58, s[2:3]
	v_cmp_gt_i32_e64 s[2:3], s33, v45
	v_cndmask_b32_e64 v57, 0, v57, s[2:3]
	;; [unrolled: 2-line block ×8, first 2 shown]
.LBB307_372:                            ;   in Loop: Header=BB307_222 Depth=1
	s_or_b64 exec, exec, s[12:13]
	global_load_dwordx2 v[15:16], v[15:16], off offset:1536
	v_mov_b32_e32 v60, 0
	v_mov_b32_e32 v59, 0
	s_waitcnt vmcnt(0)
	v_cmp_ne_u16_sdwa s[2:3], v15, v10 src0_sel:BYTE_0 src1_sel:DWORD
	s_and_saveexec_b64 s[12:13], s[2:3]
	s_cbranch_execz .LBB307_378
; %bb.373:                              ;   in Loop: Header=BB307_222 Depth=1
	v_cmp_ne_u16_sdwa s[2:3], v15, s26 src0_sel:BYTE_0 src1_sel:DWORD
	v_bfrev_b32_e32 v59, 1
	s_and_saveexec_b64 s[14:15], s[2:3]
	s_cbranch_execz .LBB307_377
; %bb.374:                              ;   in Loop: Header=BB307_222 Depth=1
	v_and_b32_e32 v9, 0x7f, v15
	v_cmp_ne_u32_e64 s[2:3], s27, v9
	v_mov_b32_e32 v59, 0x7f800001
	s_and_saveexec_b64 s[16:17], s[2:3]
	s_cbranch_execz .LBB307_376
; %bb.375:                              ;   in Loop: Header=BB307_222 Depth=1
	v_and_b32_e32 v11, 7, v15
	v_ffbh_u32_e32 v11, v11
	v_min_u32_e32 v11, 32, v11
	v_lshrrev_b32_e32 v12, 3, v9
	v_subrev_u32_e32 v17, 28, v11
	v_sub_u32_e32 v11, 29, v11
	v_cmp_gt_u32_e64 s[2:3], 8, v9
	v_cndmask_b32_e64 v9, v12, v11, s[2:3]
	v_cndmask_b32_e64 v11, 0, v17, s[2:3]
	v_lshlrev_b64 v[21:22], v11, v[15:16]
	v_lshlrev_b32_e32 v12, 24, v15
	v_lshlrev_b32_e32 v11, 20, v21
	v_bfrev_b32_e32 v17, 60
	v_and_b32_e32 v11, 0x700000, v11
	v_and_b32_e32 v12, 0x80000000, v12
	v_lshl_add_u32 v9, v9, 23, v17
	v_or3_b32 v59, v12, v9, v11
.LBB307_376:                            ;   in Loop: Header=BB307_222 Depth=1
	s_or_b64 exec, exec, s[16:17]
.LBB307_377:                            ;   in Loop: Header=BB307_222 Depth=1
	s_or_b64 exec, exec, s[14:15]
.LBB307_378:                            ;   in Loop: Header=BB307_222 Depth=1
	s_or_b64 exec, exec, s[12:13]
	v_lshrrev_b16_e32 v9, 8, v15
	v_cmp_ne_u16_e64 s[2:3], 0, v9
	s_and_saveexec_b64 s[12:13], s[2:3]
	s_cbranch_execz .LBB307_384
; %bb.379:                              ;   in Loop: Header=BB307_222 Depth=1
	v_cmp_ne_u16_e64 s[2:3], s26, v9
	v_bfrev_b32_e32 v60, 1
	s_and_saveexec_b64 s[14:15], s[2:3]
	s_cbranch_execz .LBB307_383
; %bb.380:                              ;   in Loop: Header=BB307_222 Depth=1
	v_and_b32_e32 v17, 0x7f, v9
	v_cmp_ne_u32_e64 s[2:3], s27, v17
	v_mov_b32_e32 v60, 0x7f800001
	s_and_saveexec_b64 s[16:17], s[2:3]
	s_cbranch_execz .LBB307_382
; %bb.381:                              ;   in Loop: Header=BB307_222 Depth=1
	v_and_b32_e32 v11, 7, v9
	v_lshrrev_b32_e32 v12, 3, v17
	v_cmp_gt_u32_e64 s[2:3], 8, v17
	v_ffbh_u32_e32 v17, v11
	v_min_u32_e32 v17, 32, v17
	v_subrev_u32_e32 v21, 28, v17
	v_lshlrev_b64 v[21:22], v21, v[9:10]
	v_sub_u32_e32 v9, 29, v17
	v_and_b32_e32 v17, 7, v21
	v_cndmask_b32_e64 v9, v12, v9, s[2:3]
	v_cndmask_b32_e64 v11, v11, v17, s[2:3]
	v_lshlrev_b32_e32 v12, 16, v15
	v_bfrev_b32_e32 v17, 60
	v_lshlrev_b32_e32 v11, 20, v11
	v_and_b32_e32 v12, 0x80000000, v12
	v_lshl_add_u32 v9, v9, 23, v17
	v_or3_b32 v60, v12, v9, v11
.LBB307_382:                            ;   in Loop: Header=BB307_222 Depth=1
	s_or_b64 exec, exec, s[16:17]
.LBB307_383:                            ;   in Loop: Header=BB307_222 Depth=1
	s_or_b64 exec, exec, s[14:15]
.LBB307_384:                            ;   in Loop: Header=BB307_222 Depth=1
	s_or_b64 exec, exec, s[12:13]
	v_lshrrev_b32_e32 v9, 16, v15
	v_cmp_ne_u16_sdwa s[2:3], v9, v10 src0_sel:BYTE_0 src1_sel:DWORD
	v_mov_b32_e32 v62, 0
	v_mov_b32_e32 v61, 0
	s_and_saveexec_b64 s[12:13], s[2:3]
	s_cbranch_execz .LBB307_390
; %bb.385:                              ;   in Loop: Header=BB307_222 Depth=1
	v_cmp_ne_u16_sdwa s[2:3], v9, s26 src0_sel:BYTE_0 src1_sel:DWORD
	v_bfrev_b32_e32 v61, 1
	s_and_saveexec_b64 s[14:15], s[2:3]
	s_cbranch_execz .LBB307_389
; %bb.386:                              ;   in Loop: Header=BB307_222 Depth=1
	v_bfe_u32 v17, v15, 16, 7
	v_cmp_ne_u32_e64 s[2:3], s27, v17
	v_mov_b32_e32 v61, 0x7f800001
	s_and_saveexec_b64 s[16:17], s[2:3]
	s_cbranch_execz .LBB307_388
; %bb.387:                              ;   in Loop: Header=BB307_222 Depth=1
	v_and_b32_e32 v11, 7, v9
	v_lshrrev_b32_e32 v12, 3, v17
	v_cmp_gt_u32_e64 s[2:3], 8, v17
	v_ffbh_u32_e32 v17, v11
	v_min_u32_e32 v17, 32, v17
	v_subrev_u32_e32 v21, 28, v17
	v_lshlrev_b64 v[21:22], v21, v[9:10]
	v_sub_u32_e32 v17, 29, v17
	v_and_b32_e32 v21, 7, v21
	v_cndmask_b32_e64 v12, v12, v17, s[2:3]
	v_cndmask_b32_e64 v11, v11, v21, s[2:3]
	v_lshlrev_b32_e32 v9, 24, v9
	v_bfrev_b32_e32 v17, 60
	v_lshlrev_b32_e32 v11, 20, v11
	v_and_b32_e32 v9, 0x80000000, v9
	v_lshl_add_u32 v12, v12, 23, v17
	v_or3_b32 v61, v9, v12, v11
.LBB307_388:                            ;   in Loop: Header=BB307_222 Depth=1
	s_or_b64 exec, exec, s[16:17]
.LBB307_389:                            ;   in Loop: Header=BB307_222 Depth=1
	s_or_b64 exec, exec, s[14:15]
.LBB307_390:                            ;   in Loop: Header=BB307_222 Depth=1
	s_or_b64 exec, exec, s[12:13]
	v_cmp_lt_u32_e64 s[2:3], s7, v15
	s_and_saveexec_b64 s[12:13], s[2:3]
	s_cbranch_execz .LBB307_396
; %bb.391:                              ;   in Loop: Header=BB307_222 Depth=1
	v_lshrrev_b32_e32 v9, 24, v15
	v_cmp_ne_u32_e64 s[2:3], s26, v9
	v_bfrev_b32_e32 v62, 1
	s_and_saveexec_b64 s[14:15], s[2:3]
	s_cbranch_execz .LBB307_395
; %bb.392:                              ;   in Loop: Header=BB307_222 Depth=1
	v_bfe_u32 v17, v15, 24, 7
	v_cmp_ne_u32_e64 s[2:3], s27, v17
	v_mov_b32_e32 v62, 0x7f800001
	s_and_saveexec_b64 s[16:17], s[2:3]
	s_cbranch_execz .LBB307_394
; %bb.393:                              ;   in Loop: Header=BB307_222 Depth=1
	v_and_b32_e32 v11, 7, v9
	v_lshrrev_b32_e32 v12, 3, v17
	v_cmp_gt_u32_e64 s[2:3], 8, v17
	v_ffbh_u32_e32 v17, v11
	v_min_u32_e32 v17, 32, v17
	v_subrev_u32_e32 v21, 28, v17
	v_lshlrev_b64 v[21:22], v21, v[9:10]
	v_sub_u32_e32 v17, 29, v17
	v_and_b32_e32 v21, 7, v21
	v_cndmask_b32_e64 v12, v12, v17, s[2:3]
	v_cndmask_b32_e64 v11, v11, v21, s[2:3]
	v_lshlrev_b32_e32 v9, 24, v9
	v_bfrev_b32_e32 v17, 60
	v_lshlrev_b32_e32 v11, 20, v11
	v_and_b32_e32 v9, 0x80000000, v9
	v_lshl_add_u32 v12, v12, 23, v17
	v_or3_b32 v62, v9, v12, v11
.LBB307_394:                            ;   in Loop: Header=BB307_222 Depth=1
	s_or_b64 exec, exec, s[16:17]
.LBB307_395:                            ;   in Loop: Header=BB307_222 Depth=1
	s_or_b64 exec, exec, s[14:15]
.LBB307_396:                            ;   in Loop: Header=BB307_222 Depth=1
	s_or_b64 exec, exec, s[12:13]
	v_mov_b32_e32 v9, v16
	v_cmp_ne_u16_sdwa s[2:3], v16, v10 src0_sel:BYTE_0 src1_sel:DWORD
	v_mov_b32_e32 v23, 0
	v_mov_b32_e32 v63, 0
	s_and_saveexec_b64 s[12:13], s[2:3]
	s_cbranch_execz .LBB307_402
; %bb.397:                              ;   in Loop: Header=BB307_222 Depth=1
	v_cmp_ne_u16_sdwa s[2:3], v16, s26 src0_sel:BYTE_0 src1_sel:DWORD
	v_bfrev_b32_e32 v63, 1
	s_and_saveexec_b64 s[14:15], s[2:3]
	s_cbranch_execz .LBB307_401
; %bb.398:                              ;   in Loop: Header=BB307_222 Depth=1
	v_and_b32_e32 v17, 0x7f, v16
	v_cmp_ne_u32_e64 s[2:3], s27, v17
	v_mov_b32_e32 v63, 0x7f800001
	s_and_saveexec_b64 s[16:17], s[2:3]
	s_cbranch_execz .LBB307_400
; %bb.399:                              ;   in Loop: Header=BB307_222 Depth=1
	v_and_b32_e32 v11, 7, v16
	v_ffbh_u32_e32 v11, v11
	v_min_u32_e32 v11, 32, v11
	v_lshrrev_b32_e32 v12, 3, v17
	v_cmp_gt_u32_e64 s[2:3], 8, v17
	v_subrev_u32_e32 v17, 28, v11
	v_sub_u32_e32 v11, 29, v11
	v_cndmask_b32_e64 v11, v12, v11, s[2:3]
	v_cndmask_b32_e64 v12, 0, v17, s[2:3]
	v_lshlrev_b64 v[21:22], v12, v[9:10]
	v_lshlrev_b32_e32 v17, 24, v9
	v_lshlrev_b32_e32 v12, 20, v21
	v_bfrev_b32_e32 v21, 60
	v_and_b32_e32 v12, 0x700000, v12
	v_and_b32_e32 v17, 0x80000000, v17
	v_lshl_add_u32 v11, v11, 23, v21
	v_or3_b32 v63, v17, v11, v12
.LBB307_400:                            ;   in Loop: Header=BB307_222 Depth=1
	s_or_b64 exec, exec, s[16:17]
.LBB307_401:                            ;   in Loop: Header=BB307_222 Depth=1
	s_or_b64 exec, exec, s[14:15]
.LBB307_402:                            ;   in Loop: Header=BB307_222 Depth=1
	s_or_b64 exec, exec, s[12:13]
	v_lshrrev_b16_e32 v17, 8, v9
	v_cmp_ne_u16_e64 s[2:3], 0, v17
	s_and_saveexec_b64 s[12:13], s[2:3]
	s_cbranch_execz .LBB307_408
; %bb.403:                              ;   in Loop: Header=BB307_222 Depth=1
	v_cmp_ne_u16_e64 s[2:3], s26, v17
	v_bfrev_b32_e32 v23, 1
	s_and_saveexec_b64 s[14:15], s[2:3]
	s_cbranch_execz .LBB307_407
; %bb.404:                              ;   in Loop: Header=BB307_222 Depth=1
	v_and_b32_e32 v21, 0x7f, v17
	v_cmp_ne_u32_e64 s[2:3], s27, v21
	v_mov_b32_e32 v23, 0x7f800001
	s_and_saveexec_b64 s[16:17], s[2:3]
	s_cbranch_execz .LBB307_406
; %bb.405:                              ;   in Loop: Header=BB307_222 Depth=1
	v_and_b32_e32 v11, 7, v17
	v_lshrrev_b32_e32 v12, 3, v21
	v_cmp_gt_u32_e64 s[2:3], 8, v21
	v_ffbh_u32_e32 v21, v11
	v_min_u32_e32 v23, 32, v21
	v_subrev_u32_e32 v21, 28, v23
	v_lshlrev_b64 v[21:22], v21, v[17:18]
	v_sub_u32_e32 v17, 29, v23
	v_and_b32_e32 v21, 7, v21
	v_cndmask_b32_e64 v12, v12, v17, s[2:3]
	v_cndmask_b32_e64 v11, v11, v21, s[2:3]
	v_lshlrev_b32_e32 v9, 16, v9
	v_bfrev_b32_e32 v17, 60
	v_lshlrev_b32_e32 v11, 20, v11
	v_and_b32_e32 v9, 0x80000000, v9
	v_lshl_add_u32 v12, v12, 23, v17
	v_or3_b32 v23, v9, v12, v11
.LBB307_406:                            ;   in Loop: Header=BB307_222 Depth=1
	s_or_b64 exec, exec, s[16:17]
.LBB307_407:                            ;   in Loop: Header=BB307_222 Depth=1
	s_or_b64 exec, exec, s[14:15]
.LBB307_408:                            ;   in Loop: Header=BB307_222 Depth=1
	s_or_b64 exec, exec, s[12:13]
	v_lshrrev_b32_e32 v9, 16, v16
	v_cmp_ne_u16_sdwa s[2:3], v9, v10 src0_sel:BYTE_0 src1_sel:DWORD
	v_mov_b32_e32 v21, 0
	v_mov_b32_e32 v17, 0
	s_and_saveexec_b64 s[12:13], s[2:3]
	s_cbranch_execz .LBB307_414
; %bb.409:                              ;   in Loop: Header=BB307_222 Depth=1
	v_cmp_ne_u16_sdwa s[2:3], v9, s26 src0_sel:BYTE_0 src1_sel:DWORD
	v_bfrev_b32_e32 v17, 1
	s_and_saveexec_b64 s[14:15], s[2:3]
	s_cbranch_execz .LBB307_413
; %bb.410:                              ;   in Loop: Header=BB307_222 Depth=1
	v_bfe_u32 v22, v16, 16, 7
	v_cmp_ne_u32_e64 s[2:3], s27, v22
	v_mov_b32_e32 v17, 0x7f800001
	s_and_saveexec_b64 s[16:17], s[2:3]
	s_cbranch_execz .LBB307_412
; %bb.411:                              ;   in Loop: Header=BB307_222 Depth=1
	v_and_b32_e32 v17, 7, v9
	v_ffbh_u32_e32 v11, v17
	v_lshrrev_b32_e32 v30, 3, v22
	v_cmp_gt_u32_e64 s[2:3], 8, v22
	v_min_u32_e32 v22, 32, v11
	v_subrev_u32_e32 v11, 28, v22
	v_lshlrev_b64 v[11:12], v11, v[9:10]
	v_sub_u32_e32 v12, 29, v22
	v_and_b32_e32 v11, 7, v11
	v_cndmask_b32_e64 v12, v30, v12, s[2:3]
	v_cndmask_b32_e64 v11, v17, v11, s[2:3]
	v_lshlrev_b32_e32 v9, 24, v9
	v_bfrev_b32_e32 v17, 60
	v_lshlrev_b32_e32 v11, 20, v11
	v_and_b32_e32 v9, 0x80000000, v9
	v_lshl_add_u32 v12, v12, 23, v17
	v_or3_b32 v17, v9, v12, v11
.LBB307_412:                            ;   in Loop: Header=BB307_222 Depth=1
	s_or_b64 exec, exec, s[16:17]
.LBB307_413:                            ;   in Loop: Header=BB307_222 Depth=1
	s_or_b64 exec, exec, s[14:15]
.LBB307_414:                            ;   in Loop: Header=BB307_222 Depth=1
	s_or_b64 exec, exec, s[12:13]
	v_cmp_lt_u64_e64 s[2:3], s[6:7], v[15:16]
	s_and_saveexec_b64 s[12:13], s[2:3]
	s_cbranch_execz .LBB307_420
; %bb.415:                              ;   in Loop: Header=BB307_222 Depth=1
	v_lshrrev_b32_e32 v9, 24, v16
	v_cmp_ne_u32_e64 s[2:3], s26, v9
	v_bfrev_b32_e32 v21, 1
	s_and_saveexec_b64 s[14:15], s[2:3]
	s_cbranch_execz .LBB307_419
; %bb.416:                              ;   in Loop: Header=BB307_222 Depth=1
	v_bfe_u32 v15, v16, 24, 7
	v_cmp_ne_u32_e64 s[2:3], s27, v15
	v_mov_b32_e32 v21, 0x7f800001
	s_and_saveexec_b64 s[16:17], s[2:3]
	s_cbranch_execz .LBB307_418
; %bb.417:                              ;   in Loop: Header=BB307_222 Depth=1
	v_and_b32_e32 v16, 7, v9
	v_ffbh_u32_e32 v11, v16
	v_lshrrev_b32_e32 v21, 3, v15
	v_cmp_gt_u32_e64 s[2:3], 8, v15
	v_min_u32_e32 v15, 32, v11
	v_subrev_u32_e32 v11, 28, v15
	v_lshlrev_b64 v[11:12], v11, v[9:10]
	v_sub_u32_e32 v12, 29, v15
	v_and_b32_e32 v11, 7, v11
	v_cndmask_b32_e64 v12, v21, v12, s[2:3]
	v_cndmask_b32_e64 v11, v16, v11, s[2:3]
	v_lshlrev_b32_e32 v9, 24, v9
	v_bfrev_b32_e32 v15, 60
	v_lshlrev_b32_e32 v11, 20, v11
	v_and_b32_e32 v9, 0x80000000, v9
	v_lshl_add_u32 v12, v12, 23, v15
	v_or3_b32 v21, v9, v12, v11
.LBB307_418:                            ;   in Loop: Header=BB307_222 Depth=1
	s_or_b64 exec, exec, s[16:17]
.LBB307_419:                            ;   in Loop: Header=BB307_222 Depth=1
	s_or_b64 exec, exec, s[14:15]
.LBB307_420:                            ;   in Loop: Header=BB307_222 Depth=1
	s_or_b64 exec, exec, s[12:13]
	v_mul_f32_e32 v9, s18, v23
	v_bfe_u32 v11, v9, 16, 1
	v_add3_u32 v11, v11, v9, s28
	v_or_b32_e32 v12, 0x400000, v9
	v_cmp_u_f32_e64 s[2:3], v9, v9
	v_cndmask_b32_e64 v9, v11, v12, s[2:3]
	v_mul_f32_e32 v11, s18, v63
	v_bfe_u32 v12, v11, 16, 1
	v_add3_u32 v12, v12, v11, s28
	v_or_b32_e32 v15, 0x400000, v11
	v_cmp_u_f32_e64 s[2:3], v11, v11
	v_cndmask_b32_e64 v11, v12, v15, s[2:3]
	v_lshrrev_b32_e32 v15, 16, v11
	v_mul_f32_e32 v11, s18, v62
	v_bfe_u32 v12, v11, 16, 1
	v_add3_u32 v12, v12, v11, s28
	v_or_b32_e32 v16, 0x400000, v11
	v_cmp_u_f32_e64 s[2:3], v11, v11
	v_cndmask_b32_e64 v11, v12, v16, s[2:3]
	v_lshrrev_b32_e32 v16, 16, v11
	v_mul_f32_e32 v11, s18, v61
	v_bfe_u32 v12, v11, 16, 1
	v_add3_u32 v12, v12, v11, s28
	v_or_b32_e32 v22, 0x400000, v11
	v_cmp_u_f32_e64 s[2:3], v11, v11
	v_cndmask_b32_e64 v11, v12, v22, s[2:3]
	v_lshrrev_b32_e32 v61, 16, v11
	v_mul_f32_e32 v11, s18, v60
	v_bfe_u32 v12, v11, 16, 1
	v_add3_u32 v12, v12, v11, s28
	v_or_b32_e32 v22, 0x400000, v11
	v_cmp_u_f32_e64 s[2:3], v11, v11
	v_cndmask_b32_e64 v11, v12, v22, s[2:3]
	v_lshrrev_b32_e32 v60, 16, v11
	v_mul_f32_e32 v11, s18, v59
	v_bfe_u32 v12, v11, 16, 1
	v_add3_u32 v12, v12, v11, s28
	v_or_b32_e32 v22, 0x400000, v11
	v_cmp_u_f32_e64 s[2:3], v11, v11
	v_cndmask_b32_e64 v11, v12, v22, s[2:3]
	v_lshrrev_b32_e32 v62, 16, v11
	v_mul_f32_e32 v11, s18, v17
	v_bfe_u32 v12, v11, 16, 1
	v_add3_u32 v12, v12, v11, s28
	v_or_b32_e32 v17, 0x400000, v11
	v_cmp_u_f32_e64 s[2:3], v11, v11
	v_cndmask_b32_e64 v11, v12, v17, s[2:3]
	v_lshrrev_b32_e32 v17, 16, v11
	v_mul_f32_e32 v11, s18, v21
	v_bfe_u32 v12, v11, 16, 1
	v_add3_u32 v12, v12, v11, s28
	v_or_b32_e32 v21, 0x400000, v11
	v_cmp_u_f32_e64 s[2:3], v11, v11
	v_cndmask_b32_e64 v11, v12, v21, s[2:3]
	v_lshrrev_b32_e32 v9, 16, v9
	v_lshrrev_b32_e32 v59, 16, v11
	s_and_saveexec_b64 s[2:3], vcc
	s_cbranch_execz .LBB307_221
; %bb.421:                              ;   in Loop: Header=BB307_222 Depth=1
	v_cmp_gt_i32_e32 vcc, s33, v39
	v_cndmask_b32_e32 v62, 0, v62, vcc
	v_cmp_gt_i32_e32 vcc, s33, v45
	v_cndmask_b32_e32 v60, 0, v60, vcc
	;; [unrolled: 2-line block ×8, first 2 shown]
	s_branch .LBB307_221
.LBB307_422:
	s_or_b64 exec, exec, s[10:11]
	buffer_load_dword v11, off, s[48:51], 0 offset:8 ; 4-byte Folded Reload
	buffer_load_dword v12, off, s[48:51], 0 offset:12 ; 4-byte Folded Reload
	;; [unrolled: 1-line block ×3, first 2 shown]
.LBB307_423:
	s_or_b64 exec, exec, s[4:5]
	s_waitcnt vmcnt(0)
	s_barrier
	buffer_load_dword v6, off, s[48:51], 0 offset:84 ; 4-byte Folded Reload
	ds_bpermute_b32 v0, v12, v25
	ds_bpermute_b32 v5, v12, v24
	;; [unrolled: 1-line block ×4, first 2 shown]
	s_waitcnt lgkmcnt(3)
	v_add_f32_e32 v3, v25, v0
	s_waitcnt lgkmcnt(2)
	v_add_f32_e32 v0, v24, v5
	;; [unrolled: 2-line block ×4, first 2 shown]
	s_waitcnt vmcnt(0)
	v_and_b32_e32 v5, 0x3c1, v6
	v_cmp_eq_u32_e32 vcc, 64, v5
	s_and_saveexec_b64 s[2:3], vcc
	s_cbranch_execz .LBB307_425
; %bb.424:
	v_mov_b32_e32 v4, 0x110
	v_lshl_add_u32 v4, v11, 1, v4
	ds_write2_b32 v4, v3, v2 offset1:32
	ds_write2_b32 v4, v1, v0 offset0:64 offset1:96
.LBB307_425:
	s_or_b64 exec, exec, s[2:3]
	v_lshrrev_b32_e32 v4, 1, v6
	s_waitcnt lgkmcnt(0)
	s_barrier
	s_and_saveexec_b64 s[2:3], s[0:1]
	s_cbranch_execz .LBB307_432
; %bb.426:
	v_mov_b32_e32 v6, 0x110
	v_cmp_eq_u32_e32 vcc, 0, v7
	v_lshl_add_u32 v6, v4, 2, v6
	s_and_saveexec_b64 s[0:1], vcc
	s_cbranch_execnz .LBB307_435
; %bb.427:
	s_or_b64 exec, exec, s[0:1]
	s_and_saveexec_b64 s[0:1], vcc
	s_cbranch_execnz .LBB307_436
.LBB307_428:
	s_or_b64 exec, exec, s[0:1]
	s_and_saveexec_b64 s[0:1], vcc
	s_cbranch_execnz .LBB307_437
.LBB307_429:
	s_or_b64 exec, exec, s[0:1]
	s_and_saveexec_b64 s[0:1], vcc
	s_cbranch_execz .LBB307_431
.LBB307_430:
	ds_read_b32 v6, v6 offset:384
	s_waitcnt lgkmcnt(0)
	v_add_f32_e32 v0, v0, v6
.LBB307_431:
	s_or_b64 exec, exec, s[0:1]
.LBB307_432:
	s_or_b64 exec, exec, s[2:3]
	v_cmp_eq_u32_e32 vcc, 0, v5
	s_barrier
	s_and_saveexec_b64 s[0:1], vcc
	s_cbranch_execz .LBB307_434
; %bb.433:
	s_mul_i32 s0, s20, s21
	s_mul_i32 s0, s0, s9
	s_lshl_b32 s0, s0, 7
	s_ashr_i32 s1, s0, 31
	s_lshl_b64 s[0:1], s[0:1], 1
	s_add_u32 s2, s24, s0
	s_mul_i32 s0, s21, s22
	s_addc_u32 s3, s25, s1
	s_ashr_i32 s1, s0, 31
	s_lshl_b64 s[0:1], s[0:1], 1
	s_add_u32 s2, s2, s0
	s_addc_u32 s3, s3, s1
	s_lshl_b32 s0, s8, 7
	s_ashr_i32 s1, s0, 31
	s_lshl_b64 s[0:1], s[0:1], 1
	s_add_u32 s0, s2, s0
	v_bfe_u32 v5, v3, 16, 1
	s_movk_i32 s2, 0x7fff
	v_add3_u32 v5, v5, v3, s2
	v_or_b32_e32 v6, 0x400000, v3
	v_cmp_u_f32_e32 vcc, v3, v3
	s_addc_u32 s1, s3, s1
	v_lshlrev_b32_e32 v4, 1, v4
	v_cndmask_b32_e32 v3, v5, v6, vcc
	global_store_short_d16_hi v4, v3, s[0:1]
	v_bfe_u32 v3, v2, 16, 1
	v_add3_u32 v3, v3, v2, s2
	v_or_b32_e32 v5, 0x400000, v2
	v_cmp_u_f32_e32 vcc, v2, v2
	v_cndmask_b32_e32 v2, v3, v5, vcc
	global_store_short_d16_hi v4, v2, s[0:1] offset:64
	v_bfe_u32 v2, v1, 16, 1
	v_add3_u32 v2, v2, v1, s2
	v_or_b32_e32 v3, 0x400000, v1
	v_cmp_u_f32_e32 vcc, v1, v1
	v_cndmask_b32_e32 v1, v2, v3, vcc
	global_store_short_d16_hi v4, v1, s[0:1] offset:128
	;; [unrolled: 6-line block ×3, first 2 shown]
.LBB307_434:
	s_endpgm
.LBB307_435:
	ds_read_b32 v7, v6
	s_waitcnt lgkmcnt(0)
	v_add_f32_e32 v3, v3, v7
	s_or_b64 exec, exec, s[0:1]
	s_and_saveexec_b64 s[0:1], vcc
	s_cbranch_execz .LBB307_428
.LBB307_436:
	ds_read_b32 v7, v6 offset:128
	s_waitcnt lgkmcnt(0)
	v_add_f32_e32 v2, v2, v7
	s_or_b64 exec, exec, s[0:1]
	s_and_saveexec_b64 s[0:1], vcc
	s_cbranch_execz .LBB307_429
.LBB307_437:
	ds_read_b32 v7, v6 offset:256
	s_waitcnt lgkmcnt(0)
	v_add_f32_e32 v1, v1, v7
	s_or_b64 exec, exec, s[0:1]
	s_and_saveexec_b64 s[0:1], vcc
	s_cbranch_execnz .LBB307_430
	s_branch .LBB307_431
	.section	.rodata,"a",@progbits
	.p2align	6, 0x0
	.amdhsa_kernel _ZN4vllm25paged_attention_v1_kernelI14__hip_bfloat16hLi128ELi16ELi128ELNS_18Fp8KVCacheDataTypeE1ELb0EEEvPT_PKS3_PKT0_S9_ifPKiSB_iPKfiiiSD_SD_iiiii
		.amdhsa_group_segment_fixed_size 272
		.amdhsa_private_segment_fixed_size 104
		.amdhsa_kernarg_size 384
		.amdhsa_user_sgpr_count 6
		.amdhsa_user_sgpr_private_segment_buffer 1
		.amdhsa_user_sgpr_dispatch_ptr 0
		.amdhsa_user_sgpr_queue_ptr 0
		.amdhsa_user_sgpr_kernarg_segment_ptr 1
		.amdhsa_user_sgpr_dispatch_id 0
		.amdhsa_user_sgpr_flat_scratch_init 0
		.amdhsa_user_sgpr_private_segment_size 0
		.amdhsa_uses_dynamic_stack 0
		.amdhsa_system_sgpr_private_segment_wavefront_offset 1
		.amdhsa_system_sgpr_workgroup_id_x 1
		.amdhsa_system_sgpr_workgroup_id_y 1
		.amdhsa_system_sgpr_workgroup_id_z 1
		.amdhsa_system_sgpr_workgroup_info 0
		.amdhsa_system_vgpr_workitem_id 0
		.amdhsa_next_free_vgpr 64
		.amdhsa_next_free_sgpr 52
		.amdhsa_reserve_vcc 1
		.amdhsa_reserve_flat_scratch 0
		.amdhsa_float_round_mode_32 0
		.amdhsa_float_round_mode_16_64 0
		.amdhsa_float_denorm_mode_32 3
		.amdhsa_float_denorm_mode_16_64 3
		.amdhsa_dx10_clamp 1
		.amdhsa_ieee_mode 1
		.amdhsa_fp16_overflow 0
		.amdhsa_exception_fp_ieee_invalid_op 0
		.amdhsa_exception_fp_denorm_src 0
		.amdhsa_exception_fp_ieee_div_zero 0
		.amdhsa_exception_fp_ieee_overflow 0
		.amdhsa_exception_fp_ieee_underflow 0
		.amdhsa_exception_fp_ieee_inexact 0
		.amdhsa_exception_int_div_zero 0
	.end_amdhsa_kernel
	.section	.text._ZN4vllm25paged_attention_v1_kernelI14__hip_bfloat16hLi128ELi16ELi128ELNS_18Fp8KVCacheDataTypeE1ELb0EEEvPT_PKS3_PKT0_S9_ifPKiSB_iPKfiiiSD_SD_iiiii,"axG",@progbits,_ZN4vllm25paged_attention_v1_kernelI14__hip_bfloat16hLi128ELi16ELi128ELNS_18Fp8KVCacheDataTypeE1ELb0EEEvPT_PKS3_PKT0_S9_ifPKiSB_iPKfiiiSD_SD_iiiii,comdat
.Lfunc_end307:
	.size	_ZN4vllm25paged_attention_v1_kernelI14__hip_bfloat16hLi128ELi16ELi128ELNS_18Fp8KVCacheDataTypeE1ELb0EEEvPT_PKS3_PKT0_S9_ifPKiSB_iPKfiiiSD_SD_iiiii, .Lfunc_end307-_ZN4vllm25paged_attention_v1_kernelI14__hip_bfloat16hLi128ELi16ELi128ELNS_18Fp8KVCacheDataTypeE1ELb0EEEvPT_PKS3_PKT0_S9_ifPKiSB_iPKfiiiSD_SD_iiiii
                                        ; -- End function
	.set _ZN4vllm25paged_attention_v1_kernelI14__hip_bfloat16hLi128ELi16ELi128ELNS_18Fp8KVCacheDataTypeE1ELb0EEEvPT_PKS3_PKT0_S9_ifPKiSB_iPKfiiiSD_SD_iiiii.num_vgpr, 64
	.set _ZN4vllm25paged_attention_v1_kernelI14__hip_bfloat16hLi128ELi16ELi128ELNS_18Fp8KVCacheDataTypeE1ELb0EEEvPT_PKS3_PKT0_S9_ifPKiSB_iPKfiiiSD_SD_iiiii.num_agpr, 0
	.set _ZN4vllm25paged_attention_v1_kernelI14__hip_bfloat16hLi128ELi16ELi128ELNS_18Fp8KVCacheDataTypeE1ELb0EEEvPT_PKS3_PKT0_S9_ifPKiSB_iPKfiiiSD_SD_iiiii.numbered_sgpr, 52
	.set _ZN4vllm25paged_attention_v1_kernelI14__hip_bfloat16hLi128ELi16ELi128ELNS_18Fp8KVCacheDataTypeE1ELb0EEEvPT_PKS3_PKT0_S9_ifPKiSB_iPKfiiiSD_SD_iiiii.num_named_barrier, 0
	.set _ZN4vllm25paged_attention_v1_kernelI14__hip_bfloat16hLi128ELi16ELi128ELNS_18Fp8KVCacheDataTypeE1ELb0EEEvPT_PKS3_PKT0_S9_ifPKiSB_iPKfiiiSD_SD_iiiii.private_seg_size, 104
	.set _ZN4vllm25paged_attention_v1_kernelI14__hip_bfloat16hLi128ELi16ELi128ELNS_18Fp8KVCacheDataTypeE1ELb0EEEvPT_PKS3_PKT0_S9_ifPKiSB_iPKfiiiSD_SD_iiiii.uses_vcc, 1
	.set _ZN4vllm25paged_attention_v1_kernelI14__hip_bfloat16hLi128ELi16ELi128ELNS_18Fp8KVCacheDataTypeE1ELb0EEEvPT_PKS3_PKT0_S9_ifPKiSB_iPKfiiiSD_SD_iiiii.uses_flat_scratch, 0
	.set _ZN4vllm25paged_attention_v1_kernelI14__hip_bfloat16hLi128ELi16ELi128ELNS_18Fp8KVCacheDataTypeE1ELb0EEEvPT_PKS3_PKT0_S9_ifPKiSB_iPKfiiiSD_SD_iiiii.has_dyn_sized_stack, 0
	.set _ZN4vllm25paged_attention_v1_kernelI14__hip_bfloat16hLi128ELi16ELi128ELNS_18Fp8KVCacheDataTypeE1ELb0EEEvPT_PKS3_PKT0_S9_ifPKiSB_iPKfiiiSD_SD_iiiii.has_recursion, 0
	.set _ZN4vllm25paged_attention_v1_kernelI14__hip_bfloat16hLi128ELi16ELi128ELNS_18Fp8KVCacheDataTypeE1ELb0EEEvPT_PKS3_PKT0_S9_ifPKiSB_iPKfiiiSD_SD_iiiii.has_indirect_call, 0
	.section	.AMDGPU.csdata,"",@progbits
; Kernel info:
; codeLenInByte = 21316
; TotalNumSgprs: 56
; NumVgprs: 64
; ScratchSize: 104
; MemoryBound: 0
; FloatMode: 240
; IeeeMode: 1
; LDSByteSize: 272 bytes/workgroup (compile time only)
; SGPRBlocks: 6
; VGPRBlocks: 15
; NumSGPRsForWavesPerEU: 56
; NumVGPRsForWavesPerEU: 64
; Occupancy: 4
; WaveLimiterHint : 1
; COMPUTE_PGM_RSRC2:SCRATCH_EN: 1
; COMPUTE_PGM_RSRC2:USER_SGPR: 6
; COMPUTE_PGM_RSRC2:TRAP_HANDLER: 0
; COMPUTE_PGM_RSRC2:TGID_X_EN: 1
; COMPUTE_PGM_RSRC2:TGID_Y_EN: 1
; COMPUTE_PGM_RSRC2:TGID_Z_EN: 1
; COMPUTE_PGM_RSRC2:TIDIG_COMP_CNT: 0
	.section	.text._ZN4vllm25paged_attention_v1_kernelI14__hip_bfloat16hLi192ELi16ELi128ELNS_18Fp8KVCacheDataTypeE1ELb0EEEvPT_PKS3_PKT0_S9_ifPKiSB_iPKfiiiSD_SD_iiiii,"axG",@progbits,_ZN4vllm25paged_attention_v1_kernelI14__hip_bfloat16hLi192ELi16ELi128ELNS_18Fp8KVCacheDataTypeE1ELb0EEEvPT_PKS3_PKT0_S9_ifPKiSB_iPKfiiiSD_SD_iiiii,comdat
	.protected	_ZN4vllm25paged_attention_v1_kernelI14__hip_bfloat16hLi192ELi16ELi128ELNS_18Fp8KVCacheDataTypeE1ELb0EEEvPT_PKS3_PKT0_S9_ifPKiSB_iPKfiiiSD_SD_iiiii ; -- Begin function _ZN4vllm25paged_attention_v1_kernelI14__hip_bfloat16hLi192ELi16ELi128ELNS_18Fp8KVCacheDataTypeE1ELb0EEEvPT_PKS3_PKT0_S9_ifPKiSB_iPKfiiiSD_SD_iiiii
	.globl	_ZN4vllm25paged_attention_v1_kernelI14__hip_bfloat16hLi192ELi16ELi128ELNS_18Fp8KVCacheDataTypeE1ELb0EEEvPT_PKS3_PKT0_S9_ifPKiSB_iPKfiiiSD_SD_iiiii
	.p2align	8
	.type	_ZN4vllm25paged_attention_v1_kernelI14__hip_bfloat16hLi192ELi16ELi128ELNS_18Fp8KVCacheDataTypeE1ELb0EEEvPT_PKS3_PKT0_S9_ifPKiSB_iPKfiiiSD_SD_iiiii,@function
_ZN4vllm25paged_attention_v1_kernelI14__hip_bfloat16hLi192ELi16ELi128ELNS_18Fp8KVCacheDataTypeE1ELb0EEEvPT_PKS3_PKT0_S9_ifPKiSB_iPKfiiiSD_SD_iiiii: ; @_ZN4vllm25paged_attention_v1_kernelI14__hip_bfloat16hLi192ELi16ELi128ELNS_18Fp8KVCacheDataTypeE1ELb0EEEvPT_PKS3_PKT0_S9_ifPKiSB_iPKfiiiSD_SD_iiiii
; %bb.0:
	s_mov_b64 s[46:47], s[2:3]
	s_mov_b64 s[44:45], s[0:1]
	s_add_u32 s44, s44, s9
	s_load_dword s9, s[4:5], 0x80
	s_load_dwordx2 s[0:1], s[4:5], 0x30
	s_load_dwordx2 s[30:31], s[4:5], 0x20
	s_addc_u32 s45, s45, 0
	s_mov_b32 s10, s7
	s_ashr_i32 s11, s7, 31
	s_lshl_b64 s[2:3], s[10:11], 2
	s_waitcnt lgkmcnt(0)
	s_add_u32 s0, s0, s2
	s_addc_u32 s1, s1, s3
	s_abs_i32 s2, s30
	v_mov_b32_e32 v11, v0
	v_cvt_f32_u32_e32 v0, s2
	s_sub_i32 s11, 0, s2
	s_abs_i32 s7, s9
	s_xor_b32 s3, s9, s30
	v_rcp_iflag_f32_e32 v0, v0
	s_ashr_i32 s3, s3, 31
	s_mov_b32 s33, 0
	v_mul_f32_e32 v0, 0x4f7ffffe, v0
	v_cvt_u32_f32_e32 v0, v0
	v_readfirstlane_b32 s12, v0
	s_mul_i32 s11, s11, s12
	s_mul_hi_u32 s11, s12, s11
	s_add_i32 s12, s12, s11
	s_mul_hi_u32 s11, s7, s12
	s_mul_i32 s12, s11, s2
	s_sub_i32 s7, s7, s12
	s_add_i32 s12, s11, 1
	s_sub_i32 s13, s7, s2
	s_cmp_ge_u32 s7, s2
	s_cselect_b32 s11, s12, s11
	s_cselect_b32 s7, s13, s7
	s_add_i32 s12, s11, 1
	s_cmp_ge_u32 s7, s2
	s_cselect_b32 s2, s12, s11
	s_xor_b32 s2, s2, s3
	s_sub_i32 s12, s2, s3
	s_abs_i32 s11, s12
	v_cvt_f32_u32_e32 v0, s11
	s_load_dwordx2 s[2:3], s[4:5], 0x40
	s_sub_i32 s7, 0, s11
	s_abs_i32 s16, s6
	v_rcp_iflag_f32_e32 v0, v0
	v_mul_f32_e32 v0, 0x4f7ffffe, v0
	v_cvt_u32_f32_e32 v0, v0
	v_readfirstlane_b32 s13, v0
	s_mul_i32 s7, s7, s13
	s_mul_hi_u32 s7, s13, s7
	s_add_i32 s13, s13, s7
	s_waitcnt lgkmcnt(0)
	s_cmp_eq_u64 s[2:3], 0
	s_mul_hi_u32 s17, s16, s13
	s_cbranch_scc1 .LBB308_2
; %bb.1:
	s_ashr_i32 s7, s6, 31
	s_lshl_b64 s[14:15], s[6:7], 2
	s_add_u32 s2, s2, s14
	s_addc_u32 s3, s3, s15
	s_load_dword s33, s[2:3], 0x0
.LBB308_2:
	s_load_dword s30, s[0:1], 0x0
	s_ashr_i32 s3, s12, 31
	s_load_dwordx4 s[12:15], s[4:5], 0x48
	s_ashr_i32 s2, s6, 31
	s_mul_i32 s20, s6, 0xc0
	s_movk_i32 s6, 0x60
	v_and_b32_e32 v0, 3, v11
	v_cmp_gt_u32_e32 vcc, s6, v11
	s_and_saveexec_b64 s[0:1], vcc
	s_cbranch_execz .LBB308_4
; %bb.3:
	s_load_dwordx2 s[18:19], s[4:5], 0x8
	s_waitcnt lgkmcnt(0)
	s_mul_i32 s22, s12, s10
	s_ashr_i32 s23, s22, 31
	s_lshl_b64 s[22:23], s[22:23], 1
	v_lshlrev_b32_e32 v1, 2, v11
	s_add_u32 s7, s18, s22
	s_addc_u32 s12, s19, s23
	s_ashr_i32 s21, s20, 31
	s_lshl_b64 s[18:19], s[20:21], 1
	s_add_u32 s18, s7, s18
	s_addc_u32 s19, s12, s19
	global_load_dword v1, v1, s[18:19]
	v_and_b32_e32 v2, 0x3fc, v11
	v_mad_u32_u24 v2, v0, s6, v2
	s_waitcnt vmcnt(0)
	ds_write_b32 v2, v1
.LBB308_4:
	s_or_b64 exec, exec, s[0:1]
	s_waitcnt lgkmcnt(0)
	s_add_i32 s1, s30, 15
	s_ashr_i32 s6, s1, 31
	s_lshr_b32 s6, s6, 28
	s_add_i32 s1, s1, s6
	s_ashr_i32 s21, s1, 4
	s_xor_b32 s1, s2, s3
	s_mul_i32 s2, s17, s11
	s_sub_i32 s2, s16, s2
	s_add_i32 s3, s17, 1
	s_sub_i32 s6, s2, s11
	s_load_dwordx2 s[24:25], s[4:5], 0x28
	s_load_dword s0, s[4:5], 0x38
	s_cmp_ge_u32 s2, s11
	s_cselect_b32 s3, s3, s17
	s_cselect_b32 s2, s6, s2
	s_add_i32 s6, s3, 1
	s_cmp_ge_u32 s2, s11
	s_cselect_b32 s2, s6, s3
	v_lshrrev_b32_e32 v1, 6, v11
	s_xor_b32 s2, s2, s1
	s_waitcnt lgkmcnt(0)
	s_mul_i32 s26, s0, s10
	s_sub_i32 s12, s2, s1
	s_ashr_i32 s27, s26, 31
	v_cmp_gt_i32_e64 s[0:1], s21, v1
	v_cmp_le_i32_e32 vcc, s21, v1
	v_mbcnt_lo_u32_b32 v5, -1, 0
	s_barrier
	buffer_store_dword v1, off, s[44:47], 0 ; 4-byte Folded Spill
                                        ; implicit-def: $vgpr21
                                        ; implicit-def: $vgpr8
                                        ; implicit-def: $vgpr15
	s_and_saveexec_b64 s[2:3], vcc
	s_xor_b64 s[2:3], exec, s[2:3]
; %bb.5:
	v_mbcnt_hi_u32_b32 v21, -1, v5
	v_and_b32_e32 v8, 64, v21
	v_add_u32_e32 v15, 64, v8
                                        ; implicit-def: $vgpr0
                                        ; implicit-def: $vgpr5
; %bb.6:
	s_or_saveexec_b64 s[6:7], s[2:3]
	s_load_dwordx2 s[22:23], s[4:5], 0x0
	s_load_dwordx2 s[28:29], s[4:5], 0x18
	s_load_dword s11, s[4:5], 0x88
	s_load_dwordx4 s[16:19], s[4:5], 0x58
	v_mov_b32_e32 v62, 0xff7fffff
	s_mul_i32 s12, s12, s14
	v_lshrrev_b32_e32 v14, 4, v11
	buffer_store_dword v11, off, s[44:47], 0 offset:216 ; 4-byte Folded Spill
	s_xor_b64 exec, exec, s[6:7]
	s_cbranch_execz .LBB308_300
; %bb.7:
	v_mul_u32_u24_e32 v10, 0x60, v0
	ds_read_b128 v[1:4], v10
	ds_read_b128 v[6:9], v10 offset:16
	s_load_dwordx2 s[2:3], s[4:5], 0x10
	s_ashr_i32 s4, s12, 31
	s_mov_b32 s39, s13
	s_waitcnt lgkmcnt(0)
	v_lshlrev_b32_e32 v12, 16, v1
	v_and_b32_e32 v1, 0xffff0000, v1
	buffer_store_dword v1, off, s[44:47], 0 offset:8 ; 4-byte Folded Spill
	v_lshlrev_b32_e32 v1, 16, v2
	buffer_store_dword v1, off, s[44:47], 0 offset:12 ; 4-byte Folded Spill
	v_and_b32_e32 v1, 0xffff0000, v2
	buffer_store_dword v1, off, s[44:47], 0 offset:16 ; 4-byte Folded Spill
	v_lshlrev_b32_e32 v1, 16, v3
	buffer_store_dword v1, off, s[44:47], 0 offset:20 ; 4-byte Folded Spill
	;; [unrolled: 4-line block ×6, first 2 shown]
	ds_read_b128 v[1:4], v10 offset:32
	v_and_b32_e32 v6, 0xffff0000, v8
	buffer_store_dword v6, off, s[44:47], 0 offset:60 ; 4-byte Folded Spill
	v_lshlrev_b32_e32 v6, 16, v9
	buffer_store_dword v6, off, s[44:47], 0 offset:64 ; 4-byte Folded Spill
	v_and_b32_e32 v6, 0xffff0000, v9
	buffer_store_dword v12, off, s[44:47], 0 offset:4 ; 4-byte Folded Spill
	buffer_store_dword v6, off, s[44:47], 0 offset:68 ; 4-byte Folded Spill
	ds_read_b128 v[6:9], v10 offset:48
	s_waitcnt lgkmcnt(1)
	v_lshlrev_b32_e32 v12, 16, v1
	v_and_b32_e32 v1, 0xffff0000, v1
	buffer_store_dword v1, off, s[44:47], 0 offset:76 ; 4-byte Folded Spill
	v_lshlrev_b32_e32 v1, 16, v2
	buffer_store_dword v1, off, s[44:47], 0 offset:80 ; 4-byte Folded Spill
	v_and_b32_e32 v1, 0xffff0000, v2
	buffer_store_dword v1, off, s[44:47], 0 offset:84 ; 4-byte Folded Spill
	v_lshlrev_b32_e32 v1, 16, v3
	buffer_store_dword v1, off, s[44:47], 0 offset:88 ; 4-byte Folded Spill
	;; [unrolled: 4-line block ×3, first 2 shown]
	v_and_b32_e32 v1, 0xffff0000, v4
	buffer_store_dword v1, off, s[44:47], 0 offset:100 ; 4-byte Folded Spill
	s_waitcnt lgkmcnt(0)
	v_lshlrev_b32_e32 v1, 16, v6
	buffer_store_dword v1, off, s[44:47], 0 offset:104 ; 4-byte Folded Spill
	v_and_b32_e32 v1, 0xffff0000, v6
	buffer_store_dword v1, off, s[44:47], 0 offset:108 ; 4-byte Folded Spill
	v_lshlrev_b32_e32 v1, 16, v7
	buffer_store_dword v1, off, s[44:47], 0 offset:112 ; 4-byte Folded Spill
	v_and_b32_e32 v1, 0xffff0000, v7
	buffer_store_dword v1, off, s[44:47], 0 offset:116 ; 4-byte Folded Spill
	v_lshlrev_b32_e32 v1, 16, v8
	buffer_store_dword v1, off, s[44:47], 0 offset:120 ; 4-byte Folded Spill
	ds_read_b128 v[1:4], v10 offset:64
	v_and_b32_e32 v6, 0xffff0000, v8
	buffer_store_dword v6, off, s[44:47], 0 offset:124 ; 4-byte Folded Spill
	v_lshlrev_b32_e32 v6, 16, v9
	buffer_store_dword v6, off, s[44:47], 0 offset:128 ; 4-byte Folded Spill
	v_and_b32_e32 v6, 0xffff0000, v9
	buffer_store_dword v6, off, s[44:47], 0 offset:132 ; 4-byte Folded Spill
	ds_read_b128 v[6:9], v10 offset:80
	s_waitcnt lgkmcnt(1)
	v_lshlrev_b32_e32 v10, 16, v1
	v_and_b32_e32 v1, 0xffff0000, v1
	buffer_store_dword v1, off, s[44:47], 0 offset:140 ; 4-byte Folded Spill
	v_lshlrev_b32_e32 v1, 16, v2
	buffer_store_dword v1, off, s[44:47], 0 offset:144 ; 4-byte Folded Spill
	v_and_b32_e32 v1, 0xffff0000, v2
	buffer_store_dword v1, off, s[44:47], 0 offset:148 ; 4-byte Folded Spill
	v_lshlrev_b32_e32 v1, 16, v3
	buffer_store_dword v1, off, s[44:47], 0 offset:152 ; 4-byte Folded Spill
	;; [unrolled: 4-line block ×3, first 2 shown]
	v_and_b32_e32 v1, 0xffff0000, v4
	buffer_store_dword v1, off, s[44:47], 0 offset:164 ; 4-byte Folded Spill
	s_waitcnt lgkmcnt(0)
	v_lshlrev_b32_e32 v1, 16, v6
	buffer_store_dword v1, off, s[44:47], 0 offset:168 ; 4-byte Folded Spill
	v_and_b32_e32 v1, 0xffff0000, v6
	buffer_store_dword v1, off, s[44:47], 0 offset:172 ; 4-byte Folded Spill
	v_lshlrev_b32_e32 v1, 16, v7
	buffer_store_dword v1, off, s[44:47], 0 offset:176 ; 4-byte Folded Spill
	v_and_b32_e32 v1, 0xffff0000, v7
	buffer_store_dword v1, off, s[44:47], 0 offset:180 ; 4-byte Folded Spill
	;; [unrolled: 4-line block ×3, first 2 shown]
	v_lshlrev_b32_e32 v1, 16, v9
	buffer_store_dword v1, off, s[44:47], 0 offset:192 ; 4-byte Folded Spill
	v_and_b32_e32 v1, 0xffff0000, v9
	s_add_u32 s2, s2, s12
	v_bfe_u32 v6, v11, 2, 4
	buffer_store_dword v1, off, s[44:47], 0 offset:196 ; 4-byte Folded Spill
	s_addc_u32 s3, s3, s4
	v_lshlrev_b32_e32 v1, 4, v6
	v_mov_b32_e32 v2, s3
	v_add_co_u32_e32 v1, vcc, s2, v1
	v_addc_co_u32_e32 v2, vcc, 0, v2, vcc
	v_cmp_eq_u32_e32 vcc, 0, v0
	v_lshlrev_b32_e32 v0, 1, v0
	v_add_co_u32_e64 v0, s[2:3], v1, v0
	v_addc_co_u32_e64 v1, s[2:3], 0, v2, s[2:3]
	buffer_store_dword v12, off, s[44:47], 0 offset:72 ; 4-byte Folded Spill
	buffer_store_dword v10, off, s[44:47], 0 offset:136 ; 4-byte Folded Spill
	buffer_store_dword v0, off, s[44:47], 0 offset:200 ; 4-byte Folded Spill
	s_nop 0
	buffer_store_dword v1, off, s[44:47], 0 offset:204 ; 4-byte Folded Spill
	buffer_load_dword v20, off, s[44:47], 0 ; 4-byte Folded Reload
	s_sub_i32 s38, 1, s30
	s_lshl_b64 s[2:3], s[26:27], 2
	s_add_u32 s2, s24, s2
	s_addc_u32 s3, s25, s3
	v_and_b32_e32 v0, 60, v14
	v_mbcnt_hi_u32_b32 v1, -1, v5
	v_mov_b32_e32 v4, s3
	v_add_co_u32_e64 v3, s[2:3], s2, v0
	v_and_b32_e32 v0, 64, v1
	v_addc_co_u32_e64 v4, s[2:3], 0, v4, s[2:3]
	buffer_store_dword v0, off, s[44:47], 0 offset:224 ; 4-byte Folded Spill
	v_add_u32_e32 v2, 64, v0
	v_xor_b32_e32 v0, 2, v1
	v_cmp_lt_i32_e64 s[2:3], v0, v2
	v_cndmask_b32_e64 v0, v1, v0, s[2:3]
	v_lshlrev_b32_e32 v0, 2, v0
	buffer_store_dword v0, off, s[44:47], 0 offset:208 ; 4-byte Folded Spill
	v_xor_b32_e32 v0, 1, v1
	v_cmp_lt_i32_e64 s[2:3], v0, v2
	v_cndmask_b32_e64 v0, v1, v0, s[2:3]
	s_load_dword s40, s[16:17], 0x0
	v_lshlrev_b32_e32 v0, 2, v0
	buffer_store_dword v0, off, s[44:47], 0 offset:212 ; 4-byte Folded Spill
	v_lshlrev_b32_e32 v0, 2, v6
	v_mov_b32_e32 v21, v1
	v_cmp_neq_f32_e64 s[2:3], s33, 0
	s_mov_b64 s[14:15], 0
	s_movk_i32 s41, 0x80
	s_movk_i32 s42, 0x7f
	;; [unrolled: 1-line block ×3, first 2 shown]
	v_mov_b32_e32 v62, 0xff7fffff
	v_bfrev_b32_e32 v13, 60
	buffer_store_dword v14, off, s[44:47], 0 offset:220 ; 4-byte Folded Spill
	s_waitcnt vmcnt(4)
	v_lshl_or_b32 v0, v20, 6, v0
	v_lshl_or_b32 v12, v20, 4, v6
	v_add_u32_e32 v11, 0x190, v0
	v_mov_b32_e32 v0, 0
	s_branch .LBB308_9
.LBB308_8:                              ;   in Loop: Header=BB308_9 Depth=1
	s_or_b64 exec, exec, s[16:17]
	v_add_u32_e32 v20, 2, v20
	v_cmp_le_i32_e64 s[4:5], s21, v20
	s_or_b64 s[14:15], s[4:5], s[14:15]
	v_add_co_u32_e64 v3, s[4:5], 8, v3
	v_add_u32_e32 v12, 32, v12
	v_add_u32_e32 v11, 0x80, v11
	v_addc_co_u32_e64 v4, s[4:5], 0, v4, s[4:5]
	s_andn2_b64 exec, exec, s[14:15]
	s_cbranch_execz .LBB308_299
.LBB308_9:                              ; =>This Inner Loop Header: Depth=1
	global_load_dword v5, v[3:4], off
	buffer_load_dword v1, off, s[44:47], 0 offset:200 ; 4-byte Folded Reload
	buffer_load_dword v2, off, s[44:47], 0 offset:204 ; 4-byte Folded Reload
	v_mov_b32_e32 v10, 0
	s_waitcnt vmcnt(0) lgkmcnt(0)
	v_mad_i64_i32 v[5:6], s[4:5], v5, s39, v[1:2]
	global_load_ushort v8, v[5:6], off
	s_waitcnt vmcnt(0)
	v_and_b32_e32 v7, 0xffff, v8
	v_cmp_ne_u16_sdwa s[4:5], v8, v0 src0_sel:BYTE_0 src1_sel:DWORD
	s_and_saveexec_b64 s[16:17], s[4:5]
	s_cbranch_execz .LBB308_15
; %bb.10:                               ;   in Loop: Header=BB308_9 Depth=1
	v_cmp_ne_u16_sdwa s[4:5], v7, s41 src0_sel:BYTE_0 src1_sel:DWORD
	v_bfrev_b32_e32 v10, 1
	s_and_saveexec_b64 s[34:35], s[4:5]
	s_cbranch_execz .LBB308_14
; %bb.11:                               ;   in Loop: Header=BB308_9 Depth=1
	v_and_b32_e32 v8, 0x7f, v7
	v_cmp_ne_u32_e64 s[4:5], s42, v8
	v_mov_b32_e32 v10, 0x7f800001
	s_and_saveexec_b64 s[36:37], s[4:5]
	s_cbranch_execz .LBB308_13
; %bb.12:                               ;   in Loop: Header=BB308_9 Depth=1
	v_and_b32_e32 v9, 7, v7
	v_lshrrev_b32_e32 v10, 3, v8
	v_cmp_gt_u32_e64 s[4:5], 8, v8
	v_ffbh_u32_e32 v8, v9
	v_min_u32_e32 v8, 32, v8
	v_subrev_u32_e32 v14, 28, v8
	v_lshlrev_b64 v[14:15], v14, v[7:8]
	v_sub_u32_e32 v8, 29, v8
	v_and_b32_e32 v14, 7, v14
	v_cndmask_b32_e64 v8, v10, v8, s[4:5]
	v_cndmask_b32_e64 v9, v9, v14, s[4:5]
	v_lshlrev_b32_e32 v10, 24, v7
	v_lshlrev_b32_e32 v9, 20, v9
	v_and_b32_e32 v10, 0x80000000, v10
	v_lshl_add_u32 v8, v8, 23, v13
	v_or3_b32 v10, v10, v8, v9
.LBB308_13:                             ;   in Loop: Header=BB308_9 Depth=1
	s_or_b64 exec, exec, s[36:37]
.LBB308_14:                             ;   in Loop: Header=BB308_9 Depth=1
	s_or_b64 exec, exec, s[34:35]
.LBB308_15:                             ;   in Loop: Header=BB308_9 Depth=1
	s_or_b64 exec, exec, s[16:17]
	v_lshrrev_b16_e32 v8, 8, v7
	v_cmp_ne_u16_e64 s[4:5], 0, v8
	v_mov_b32_e32 v16, 0
	v_mov_b32_e32 v15, 0
	s_and_saveexec_b64 s[16:17], s[4:5]
	s_cbranch_execz .LBB308_21
; %bb.16:                               ;   in Loop: Header=BB308_9 Depth=1
	v_cmp_ne_u16_e64 s[4:5], s41, v8
	v_bfrev_b32_e32 v15, 1
	s_and_saveexec_b64 s[34:35], s[4:5]
	s_cbranch_execz .LBB308_20
; %bb.17:                               ;   in Loop: Header=BB308_9 Depth=1
	v_and_b32_e32 v14, 0x7f, v8
	v_cmp_ne_u32_e64 s[4:5], s42, v14
	v_mov_b32_e32 v15, 0x7f800001
	s_and_saveexec_b64 s[36:37], s[4:5]
	s_cbranch_execz .LBB308_19
; %bb.18:                               ;   in Loop: Header=BB308_9 Depth=1
	v_and_b32_e32 v9, 7, v8
	v_lshrrev_b32_e32 v17, 3, v14
	v_cmp_gt_u32_e64 s[4:5], 8, v14
	v_ffbh_u32_e32 v14, v9
	v_min_u32_e32 v18, 32, v14
	v_subrev_u32_e32 v14, 28, v18
	v_lshlrev_b64 v[14:15], v14, v[8:9]
	v_sub_u32_e32 v8, 29, v18
	v_and_b32_e32 v14, 7, v14
	v_cndmask_b32_e64 v8, v17, v8, s[4:5]
	v_cndmask_b32_e64 v9, v9, v14, s[4:5]
	v_lshlrev_b32_e32 v7, 16, v7
	v_lshlrev_b32_e32 v9, 20, v9
	v_and_b32_e32 v7, 0x80000000, v7
	v_lshl_add_u32 v8, v8, 23, v13
	v_or3_b32 v15, v7, v8, v9
.LBB308_19:                             ;   in Loop: Header=BB308_9 Depth=1
	s_or_b64 exec, exec, s[36:37]
.LBB308_20:                             ;   in Loop: Header=BB308_9 Depth=1
	s_or_b64 exec, exec, s[34:35]
.LBB308_21:                             ;   in Loop: Header=BB308_9 Depth=1
	s_or_b64 exec, exec, s[16:17]
	global_load_ushort v8, v[5:6], off offset:8
	s_waitcnt vmcnt(0)
	v_and_b32_e32 v7, 0xffff, v8
	v_cmp_ne_u16_sdwa s[4:5], v8, v0 src0_sel:BYTE_0 src1_sel:DWORD
	s_and_saveexec_b64 s[16:17], s[4:5]
	s_cbranch_execz .LBB308_27
; %bb.22:                               ;   in Loop: Header=BB308_9 Depth=1
	v_cmp_ne_u16_sdwa s[4:5], v7, s41 src0_sel:BYTE_0 src1_sel:DWORD
	v_bfrev_b32_e32 v16, 1
	s_and_saveexec_b64 s[34:35], s[4:5]
	s_cbranch_execz .LBB308_26
; %bb.23:                               ;   in Loop: Header=BB308_9 Depth=1
	v_and_b32_e32 v8, 0x7f, v7
	v_cmp_ne_u32_e64 s[4:5], s42, v8
	v_mov_b32_e32 v16, 0x7f800001
	s_and_saveexec_b64 s[36:37], s[4:5]
	s_cbranch_execz .LBB308_25
; %bb.24:                               ;   in Loop: Header=BB308_9 Depth=1
	v_and_b32_e32 v9, 7, v7
	v_lshrrev_b32_e32 v14, 3, v8
	v_cmp_gt_u32_e64 s[4:5], 8, v8
	v_ffbh_u32_e32 v8, v9
	v_min_u32_e32 v8, 32, v8
	v_subrev_u32_e32 v16, 28, v8
	v_lshlrev_b64 v[16:17], v16, v[7:8]
	v_sub_u32_e32 v8, 29, v8
	v_and_b32_e32 v16, 7, v16
	v_cndmask_b32_e64 v8, v14, v8, s[4:5]
	v_cndmask_b32_e64 v9, v9, v16, s[4:5]
	v_lshlrev_b32_e32 v14, 24, v7
	v_lshlrev_b32_e32 v9, 20, v9
	v_and_b32_e32 v14, 0x80000000, v14
	v_lshl_add_u32 v8, v8, 23, v13
	v_or3_b32 v16, v14, v8, v9
.LBB308_25:                             ;   in Loop: Header=BB308_9 Depth=1
	s_or_b64 exec, exec, s[36:37]
.LBB308_26:                             ;   in Loop: Header=BB308_9 Depth=1
	s_or_b64 exec, exec, s[34:35]
.LBB308_27:                             ;   in Loop: Header=BB308_9 Depth=1
	s_or_b64 exec, exec, s[16:17]
	v_lshrrev_b16_e32 v8, 8, v7
	v_cmp_ne_u16_e64 s[4:5], 0, v8
	v_mov_b32_e32 v18, 0
	v_mov_b32_e32 v17, 0
	s_and_saveexec_b64 s[16:17], s[4:5]
	s_cbranch_execz .LBB308_33
; %bb.28:                               ;   in Loop: Header=BB308_9 Depth=1
	v_cmp_ne_u16_e64 s[4:5], s41, v8
	v_bfrev_b32_e32 v17, 1
	s_and_saveexec_b64 s[34:35], s[4:5]
	s_cbranch_execz .LBB308_32
; %bb.29:                               ;   in Loop: Header=BB308_9 Depth=1
	v_and_b32_e32 v14, 0x7f, v8
	v_cmp_ne_u32_e64 s[4:5], s42, v14
	v_mov_b32_e32 v17, 0x7f800001
	s_and_saveexec_b64 s[36:37], s[4:5]
	s_cbranch_execz .LBB308_31
; %bb.30:                               ;   in Loop: Header=BB308_9 Depth=1
	v_and_b32_e32 v9, 7, v8
	v_lshrrev_b32_e32 v17, 3, v14
	v_cmp_gt_u32_e64 s[4:5], 8, v14
	v_ffbh_u32_e32 v14, v9
	v_min_u32_e32 v14, 32, v14
	v_subrev_u32_e32 v19, 28, v14
	v_lshlrev_b64 v[22:23], v19, v[8:9]
	v_sub_u32_e32 v8, 29, v14
	v_and_b32_e32 v14, 7, v22
	v_cndmask_b32_e64 v8, v17, v8, s[4:5]
	v_cndmask_b32_e64 v9, v9, v14, s[4:5]
	v_lshlrev_b32_e32 v7, 16, v7
	v_lshlrev_b32_e32 v9, 20, v9
	v_and_b32_e32 v7, 0x80000000, v7
	v_lshl_add_u32 v8, v8, 23, v13
	v_or3_b32 v17, v7, v8, v9
.LBB308_31:                             ;   in Loop: Header=BB308_9 Depth=1
	s_or_b64 exec, exec, s[36:37]
.LBB308_32:                             ;   in Loop: Header=BB308_9 Depth=1
	s_or_b64 exec, exec, s[34:35]
.LBB308_33:                             ;   in Loop: Header=BB308_9 Depth=1
	s_or_b64 exec, exec, s[16:17]
	global_load_ushort v8, v[5:6], off offset:256
	s_waitcnt vmcnt(0)
	v_and_b32_e32 v7, 0xffff, v8
	v_cmp_ne_u16_sdwa s[4:5], v8, v0 src0_sel:BYTE_0 src1_sel:DWORD
	s_and_saveexec_b64 s[16:17], s[4:5]
	s_cbranch_execz .LBB308_39
; %bb.34:                               ;   in Loop: Header=BB308_9 Depth=1
	v_cmp_ne_u16_sdwa s[4:5], v7, s41 src0_sel:BYTE_0 src1_sel:DWORD
	v_bfrev_b32_e32 v18, 1
	s_and_saveexec_b64 s[34:35], s[4:5]
	s_cbranch_execz .LBB308_38
; %bb.35:                               ;   in Loop: Header=BB308_9 Depth=1
	v_and_b32_e32 v8, 0x7f, v7
	v_cmp_ne_u32_e64 s[4:5], s42, v8
	v_mov_b32_e32 v18, 0x7f800001
	s_and_saveexec_b64 s[36:37], s[4:5]
	s_cbranch_execz .LBB308_37
; %bb.36:                               ;   in Loop: Header=BB308_9 Depth=1
	v_and_b32_e32 v9, 7, v7
	v_lshrrev_b32_e32 v14, 3, v8
	v_cmp_gt_u32_e64 s[4:5], 8, v8
	v_ffbh_u32_e32 v8, v9
	v_min_u32_e32 v8, 32, v8
	v_subrev_u32_e32 v18, 28, v8
	v_lshlrev_b64 v[18:19], v18, v[7:8]
	v_sub_u32_e32 v8, 29, v8
	v_and_b32_e32 v18, 7, v18
	v_cndmask_b32_e64 v8, v14, v8, s[4:5]
	v_cndmask_b32_e64 v9, v9, v18, s[4:5]
	v_lshlrev_b32_e32 v14, 24, v7
	v_lshlrev_b32_e32 v9, 20, v9
	v_and_b32_e32 v14, 0x80000000, v14
	v_lshl_add_u32 v8, v8, 23, v13
	v_or3_b32 v18, v14, v8, v9
.LBB308_37:                             ;   in Loop: Header=BB308_9 Depth=1
	s_or_b64 exec, exec, s[36:37]
.LBB308_38:                             ;   in Loop: Header=BB308_9 Depth=1
	s_or_b64 exec, exec, s[34:35]
.LBB308_39:                             ;   in Loop: Header=BB308_9 Depth=1
	s_or_b64 exec, exec, s[16:17]
	v_lshrrev_b16_e32 v8, 8, v7
	v_cmp_ne_u16_e64 s[4:5], 0, v8
	v_mov_b32_e32 v14, 0
	v_mov_b32_e32 v19, 0
	s_and_saveexec_b64 s[16:17], s[4:5]
	s_cbranch_execz .LBB308_45
; %bb.40:                               ;   in Loop: Header=BB308_9 Depth=1
	v_cmp_ne_u16_e64 s[4:5], s41, v8
	v_bfrev_b32_e32 v19, 1
	s_and_saveexec_b64 s[34:35], s[4:5]
	s_cbranch_execz .LBB308_44
; %bb.41:                               ;   in Loop: Header=BB308_9 Depth=1
	v_and_b32_e32 v22, 0x7f, v8
	v_cmp_ne_u32_e64 s[4:5], s42, v22
	v_mov_b32_e32 v19, 0x7f800001
	s_and_saveexec_b64 s[36:37], s[4:5]
	s_cbranch_execz .LBB308_43
; %bb.42:                               ;   in Loop: Header=BB308_9 Depth=1
	v_and_b32_e32 v9, 7, v8
	v_lshrrev_b32_e32 v19, 3, v22
	v_cmp_gt_u32_e64 s[4:5], 8, v22
	v_ffbh_u32_e32 v22, v9
	v_min_u32_e32 v24, 32, v22
	v_subrev_u32_e32 v22, 28, v24
	v_lshlrev_b64 v[22:23], v22, v[8:9]
	v_sub_u32_e32 v8, 29, v24
	v_and_b32_e32 v22, 7, v22
	v_cndmask_b32_e64 v8, v19, v8, s[4:5]
	v_cndmask_b32_e64 v9, v9, v22, s[4:5]
	v_lshlrev_b32_e32 v7, 16, v7
	v_lshlrev_b32_e32 v9, 20, v9
	v_and_b32_e32 v7, 0x80000000, v7
	v_lshl_add_u32 v8, v8, 23, v13
	v_or3_b32 v19, v7, v8, v9
.LBB308_43:                             ;   in Loop: Header=BB308_9 Depth=1
	s_or_b64 exec, exec, s[36:37]
.LBB308_44:                             ;   in Loop: Header=BB308_9 Depth=1
	s_or_b64 exec, exec, s[34:35]
.LBB308_45:                             ;   in Loop: Header=BB308_9 Depth=1
	s_or_b64 exec, exec, s[16:17]
	global_load_ushort v8, v[5:6], off offset:264
	s_waitcnt vmcnt(0)
	v_and_b32_e32 v7, 0xffff, v8
	v_cmp_ne_u16_sdwa s[4:5], v8, v0 src0_sel:BYTE_0 src1_sel:DWORD
	s_and_saveexec_b64 s[16:17], s[4:5]
	s_cbranch_execz .LBB308_51
; %bb.46:                               ;   in Loop: Header=BB308_9 Depth=1
	v_cmp_ne_u16_sdwa s[4:5], v7, s41 src0_sel:BYTE_0 src1_sel:DWORD
	v_bfrev_b32_e32 v14, 1
	s_and_saveexec_b64 s[34:35], s[4:5]
	s_cbranch_execz .LBB308_50
; %bb.47:                               ;   in Loop: Header=BB308_9 Depth=1
	v_and_b32_e32 v8, 0x7f, v7
	v_cmp_ne_u32_e64 s[4:5], s42, v8
	v_mov_b32_e32 v14, 0x7f800001
	s_and_saveexec_b64 s[36:37], s[4:5]
	s_cbranch_execz .LBB308_49
; %bb.48:                               ;   in Loop: Header=BB308_9 Depth=1
	v_and_b32_e32 v9, 7, v7
	v_lshrrev_b32_e32 v14, 3, v8
	v_cmp_gt_u32_e64 s[4:5], 8, v8
	v_ffbh_u32_e32 v8, v9
	v_min_u32_e32 v8, 32, v8
	v_subrev_u32_e32 v22, 28, v8
	v_lshlrev_b64 v[22:23], v22, v[7:8]
	v_sub_u32_e32 v8, 29, v8
	v_and_b32_e32 v22, 7, v22
	v_cndmask_b32_e64 v8, v14, v8, s[4:5]
	v_cndmask_b32_e64 v9, v9, v22, s[4:5]
	v_lshlrev_b32_e32 v14, 24, v7
	v_lshlrev_b32_e32 v9, 20, v9
	v_and_b32_e32 v14, 0x80000000, v14
	v_lshl_add_u32 v8, v8, 23, v13
	v_or3_b32 v14, v14, v8, v9
.LBB308_49:                             ;   in Loop: Header=BB308_9 Depth=1
	s_or_b64 exec, exec, s[36:37]
.LBB308_50:                             ;   in Loop: Header=BB308_9 Depth=1
	s_or_b64 exec, exec, s[34:35]
.LBB308_51:                             ;   in Loop: Header=BB308_9 Depth=1
	s_or_b64 exec, exec, s[16:17]
	v_lshrrev_b16_e32 v8, 8, v7
	v_cmp_ne_u16_e64 s[4:5], 0, v8
	v_mov_b32_e32 v23, 0
	v_mov_b32_e32 v22, 0
	s_and_saveexec_b64 s[16:17], s[4:5]
	s_cbranch_execz .LBB308_57
; %bb.52:                               ;   in Loop: Header=BB308_9 Depth=1
	v_cmp_ne_u16_e64 s[4:5], s41, v8
	v_bfrev_b32_e32 v22, 1
	s_and_saveexec_b64 s[34:35], s[4:5]
	s_cbranch_execz .LBB308_56
; %bb.53:                               ;   in Loop: Header=BB308_9 Depth=1
	v_and_b32_e32 v24, 0x7f, v8
	v_cmp_ne_u32_e64 s[4:5], s42, v24
	v_mov_b32_e32 v22, 0x7f800001
	s_and_saveexec_b64 s[36:37], s[4:5]
	s_cbranch_execz .LBB308_55
; %bb.54:                               ;   in Loop: Header=BB308_9 Depth=1
	v_and_b32_e32 v9, 7, v8
	v_lshrrev_b32_e32 v22, 3, v24
	v_cmp_gt_u32_e64 s[4:5], 8, v24
	v_ffbh_u32_e32 v24, v9
	v_min_u32_e32 v26, 32, v24
	v_subrev_u32_e32 v24, 28, v26
	v_lshlrev_b64 v[24:25], v24, v[8:9]
	v_sub_u32_e32 v8, 29, v26
	v_and_b32_e32 v24, 7, v24
	v_cndmask_b32_e64 v8, v22, v8, s[4:5]
	v_cndmask_b32_e64 v9, v9, v24, s[4:5]
	v_lshlrev_b32_e32 v7, 16, v7
	v_lshlrev_b32_e32 v9, 20, v9
	v_and_b32_e32 v7, 0x80000000, v7
	v_lshl_add_u32 v8, v8, 23, v13
	v_or3_b32 v22, v7, v8, v9
.LBB308_55:                             ;   in Loop: Header=BB308_9 Depth=1
	s_or_b64 exec, exec, s[36:37]
.LBB308_56:                             ;   in Loop: Header=BB308_9 Depth=1
	s_or_b64 exec, exec, s[34:35]
.LBB308_57:                             ;   in Loop: Header=BB308_9 Depth=1
	s_or_b64 exec, exec, s[16:17]
	global_load_ushort v8, v[5:6], off offset:512
	s_waitcnt vmcnt(0)
	v_and_b32_e32 v7, 0xffff, v8
	v_cmp_ne_u16_sdwa s[4:5], v8, v0 src0_sel:BYTE_0 src1_sel:DWORD
	s_and_saveexec_b64 s[16:17], s[4:5]
	s_cbranch_execz .LBB308_63
; %bb.58:                               ;   in Loop: Header=BB308_9 Depth=1
	v_cmp_ne_u16_sdwa s[4:5], v7, s41 src0_sel:BYTE_0 src1_sel:DWORD
	v_bfrev_b32_e32 v23, 1
	s_and_saveexec_b64 s[34:35], s[4:5]
	s_cbranch_execz .LBB308_62
; %bb.59:                               ;   in Loop: Header=BB308_9 Depth=1
	v_and_b32_e32 v8, 0x7f, v7
	v_cmp_ne_u32_e64 s[4:5], s42, v8
	v_mov_b32_e32 v23, 0x7f800001
	s_and_saveexec_b64 s[36:37], s[4:5]
	s_cbranch_execz .LBB308_61
; %bb.60:                               ;   in Loop: Header=BB308_9 Depth=1
	v_and_b32_e32 v9, 7, v7
	v_lshrrev_b32_e32 v25, 3, v8
	v_cmp_gt_u32_e64 s[4:5], 8, v8
	v_ffbh_u32_e32 v8, v9
	v_min_u32_e32 v8, 32, v8
	v_subrev_u32_e32 v23, 28, v8
	v_lshlrev_b64 v[23:24], v23, v[7:8]
	v_sub_u32_e32 v8, 29, v8
	v_and_b32_e32 v23, 7, v23
	v_cndmask_b32_e64 v8, v25, v8, s[4:5]
	v_cndmask_b32_e64 v9, v9, v23, s[4:5]
	v_lshlrev_b32_e32 v23, 24, v7
	v_lshlrev_b32_e32 v9, 20, v9
	v_and_b32_e32 v23, 0x80000000, v23
	v_lshl_add_u32 v8, v8, 23, v13
	v_or3_b32 v23, v23, v8, v9
.LBB308_61:                             ;   in Loop: Header=BB308_9 Depth=1
	s_or_b64 exec, exec, s[36:37]
.LBB308_62:                             ;   in Loop: Header=BB308_9 Depth=1
	s_or_b64 exec, exec, s[34:35]
.LBB308_63:                             ;   in Loop: Header=BB308_9 Depth=1
	s_or_b64 exec, exec, s[16:17]
	v_lshrrev_b16_e32 v8, 8, v7
	v_cmp_ne_u16_e64 s[4:5], 0, v8
	v_mov_b32_e32 v25, 0
	v_mov_b32_e32 v24, 0
	s_and_saveexec_b64 s[16:17], s[4:5]
	s_cbranch_execz .LBB308_69
; %bb.64:                               ;   in Loop: Header=BB308_9 Depth=1
	v_cmp_ne_u16_e64 s[4:5], s41, v8
	v_bfrev_b32_e32 v24, 1
	s_and_saveexec_b64 s[34:35], s[4:5]
	s_cbranch_execz .LBB308_68
; %bb.65:                               ;   in Loop: Header=BB308_9 Depth=1
	v_and_b32_e32 v26, 0x7f, v8
	v_cmp_ne_u32_e64 s[4:5], s42, v26
	v_mov_b32_e32 v24, 0x7f800001
	s_and_saveexec_b64 s[36:37], s[4:5]
	s_cbranch_execz .LBB308_67
; %bb.66:                               ;   in Loop: Header=BB308_9 Depth=1
	v_and_b32_e32 v9, 7, v8
	v_lshrrev_b32_e32 v24, 3, v26
	v_cmp_gt_u32_e64 s[4:5], 8, v26
	v_ffbh_u32_e32 v26, v9
	v_min_u32_e32 v28, 32, v26
	v_subrev_u32_e32 v26, 28, v28
	v_lshlrev_b64 v[26:27], v26, v[8:9]
	v_sub_u32_e32 v8, 29, v28
	v_and_b32_e32 v26, 7, v26
	v_cndmask_b32_e64 v8, v24, v8, s[4:5]
	v_cndmask_b32_e64 v9, v9, v26, s[4:5]
	v_lshlrev_b32_e32 v7, 16, v7
	v_lshlrev_b32_e32 v9, 20, v9
	v_and_b32_e32 v7, 0x80000000, v7
	v_lshl_add_u32 v8, v8, 23, v13
	v_or3_b32 v24, v7, v8, v9
.LBB308_67:                             ;   in Loop: Header=BB308_9 Depth=1
	s_or_b64 exec, exec, s[36:37]
.LBB308_68:                             ;   in Loop: Header=BB308_9 Depth=1
	s_or_b64 exec, exec, s[34:35]
.LBB308_69:                             ;   in Loop: Header=BB308_9 Depth=1
	s_or_b64 exec, exec, s[16:17]
	global_load_ushort v8, v[5:6], off offset:520
	s_waitcnt vmcnt(0)
	v_and_b32_e32 v7, 0xffff, v8
	v_cmp_ne_u16_sdwa s[4:5], v8, v0 src0_sel:BYTE_0 src1_sel:DWORD
	s_and_saveexec_b64 s[16:17], s[4:5]
	s_cbranch_execz .LBB308_75
; %bb.70:                               ;   in Loop: Header=BB308_9 Depth=1
	v_cmp_ne_u16_sdwa s[4:5], v7, s41 src0_sel:BYTE_0 src1_sel:DWORD
	v_bfrev_b32_e32 v25, 1
	s_and_saveexec_b64 s[34:35], s[4:5]
	s_cbranch_execz .LBB308_74
; %bb.71:                               ;   in Loop: Header=BB308_9 Depth=1
	v_and_b32_e32 v8, 0x7f, v7
	v_cmp_ne_u32_e64 s[4:5], s42, v8
	v_mov_b32_e32 v25, 0x7f800001
	s_and_saveexec_b64 s[36:37], s[4:5]
	s_cbranch_execz .LBB308_73
; %bb.72:                               ;   in Loop: Header=BB308_9 Depth=1
	v_and_b32_e32 v9, 7, v7
	v_lshrrev_b32_e32 v27, 3, v8
	v_cmp_gt_u32_e64 s[4:5], 8, v8
	v_ffbh_u32_e32 v8, v9
	v_min_u32_e32 v8, 32, v8
	v_subrev_u32_e32 v25, 28, v8
	v_lshlrev_b64 v[25:26], v25, v[7:8]
	v_sub_u32_e32 v8, 29, v8
	v_and_b32_e32 v25, 7, v25
	v_cndmask_b32_e64 v8, v27, v8, s[4:5]
	v_cndmask_b32_e64 v9, v9, v25, s[4:5]
	v_lshlrev_b32_e32 v25, 24, v7
	v_lshlrev_b32_e32 v9, 20, v9
	v_and_b32_e32 v25, 0x80000000, v25
	v_lshl_add_u32 v8, v8, 23, v13
	v_or3_b32 v25, v25, v8, v9
.LBB308_73:                             ;   in Loop: Header=BB308_9 Depth=1
	s_or_b64 exec, exec, s[36:37]
.LBB308_74:                             ;   in Loop: Header=BB308_9 Depth=1
	s_or_b64 exec, exec, s[34:35]
.LBB308_75:                             ;   in Loop: Header=BB308_9 Depth=1
	s_or_b64 exec, exec, s[16:17]
	v_lshrrev_b16_e32 v8, 8, v7
	v_cmp_ne_u16_e64 s[4:5], 0, v8
	v_mov_b32_e32 v27, 0
	v_mov_b32_e32 v26, 0
	s_and_saveexec_b64 s[16:17], s[4:5]
	s_cbranch_execz .LBB308_81
; %bb.76:                               ;   in Loop: Header=BB308_9 Depth=1
	v_cmp_ne_u16_e64 s[4:5], s41, v8
	v_bfrev_b32_e32 v26, 1
	s_and_saveexec_b64 s[34:35], s[4:5]
	s_cbranch_execz .LBB308_80
; %bb.77:                               ;   in Loop: Header=BB308_9 Depth=1
	v_and_b32_e32 v28, 0x7f, v8
	v_cmp_ne_u32_e64 s[4:5], s42, v28
	v_mov_b32_e32 v26, 0x7f800001
	s_and_saveexec_b64 s[36:37], s[4:5]
	s_cbranch_execz .LBB308_79
; %bb.78:                               ;   in Loop: Header=BB308_9 Depth=1
	v_and_b32_e32 v9, 7, v8
	v_lshrrev_b32_e32 v26, 3, v28
	v_cmp_gt_u32_e64 s[4:5], 8, v28
	v_ffbh_u32_e32 v28, v9
	v_min_u32_e32 v30, 32, v28
	v_subrev_u32_e32 v28, 28, v30
	v_lshlrev_b64 v[28:29], v28, v[8:9]
	v_sub_u32_e32 v8, 29, v30
	v_and_b32_e32 v28, 7, v28
	v_cndmask_b32_e64 v8, v26, v8, s[4:5]
	v_cndmask_b32_e64 v9, v9, v28, s[4:5]
	v_lshlrev_b32_e32 v7, 16, v7
	v_lshlrev_b32_e32 v9, 20, v9
	v_and_b32_e32 v7, 0x80000000, v7
	v_lshl_add_u32 v8, v8, 23, v13
	v_or3_b32 v26, v7, v8, v9
.LBB308_79:                             ;   in Loop: Header=BB308_9 Depth=1
	s_or_b64 exec, exec, s[36:37]
.LBB308_80:                             ;   in Loop: Header=BB308_9 Depth=1
	s_or_b64 exec, exec, s[34:35]
.LBB308_81:                             ;   in Loop: Header=BB308_9 Depth=1
	s_or_b64 exec, exec, s[16:17]
	global_load_ushort v8, v[5:6], off offset:768
	s_waitcnt vmcnt(0)
	v_and_b32_e32 v7, 0xffff, v8
	v_cmp_ne_u16_sdwa s[4:5], v8, v0 src0_sel:BYTE_0 src1_sel:DWORD
	s_and_saveexec_b64 s[16:17], s[4:5]
	s_cbranch_execz .LBB308_87
; %bb.82:                               ;   in Loop: Header=BB308_9 Depth=1
	v_cmp_ne_u16_sdwa s[4:5], v7, s41 src0_sel:BYTE_0 src1_sel:DWORD
	v_bfrev_b32_e32 v27, 1
	s_and_saveexec_b64 s[34:35], s[4:5]
	s_cbranch_execz .LBB308_86
; %bb.83:                               ;   in Loop: Header=BB308_9 Depth=1
	v_and_b32_e32 v8, 0x7f, v7
	v_cmp_ne_u32_e64 s[4:5], s42, v8
	v_mov_b32_e32 v27, 0x7f800001
	s_and_saveexec_b64 s[36:37], s[4:5]
	s_cbranch_execz .LBB308_85
; %bb.84:                               ;   in Loop: Header=BB308_9 Depth=1
	v_and_b32_e32 v9, 7, v7
	v_lshrrev_b32_e32 v29, 3, v8
	v_cmp_gt_u32_e64 s[4:5], 8, v8
	v_ffbh_u32_e32 v8, v9
	v_min_u32_e32 v8, 32, v8
	v_subrev_u32_e32 v27, 28, v8
	v_lshlrev_b64 v[27:28], v27, v[7:8]
	v_sub_u32_e32 v8, 29, v8
	v_and_b32_e32 v27, 7, v27
	v_cndmask_b32_e64 v8, v29, v8, s[4:5]
	v_cndmask_b32_e64 v9, v9, v27, s[4:5]
	v_lshlrev_b32_e32 v27, 24, v7
	v_lshlrev_b32_e32 v9, 20, v9
	v_and_b32_e32 v27, 0x80000000, v27
	v_lshl_add_u32 v8, v8, 23, v13
	v_or3_b32 v27, v27, v8, v9
.LBB308_85:                             ;   in Loop: Header=BB308_9 Depth=1
	s_or_b64 exec, exec, s[36:37]
.LBB308_86:                             ;   in Loop: Header=BB308_9 Depth=1
	s_or_b64 exec, exec, s[34:35]
.LBB308_87:                             ;   in Loop: Header=BB308_9 Depth=1
	s_or_b64 exec, exec, s[16:17]
	v_lshrrev_b16_e32 v8, 8, v7
	v_cmp_ne_u16_e64 s[4:5], 0, v8
	v_mov_b32_e32 v29, 0
	v_mov_b32_e32 v28, 0
	s_and_saveexec_b64 s[16:17], s[4:5]
	s_cbranch_execz .LBB308_93
; %bb.88:                               ;   in Loop: Header=BB308_9 Depth=1
	v_cmp_ne_u16_e64 s[4:5], s41, v8
	v_bfrev_b32_e32 v28, 1
	s_and_saveexec_b64 s[34:35], s[4:5]
	s_cbranch_execz .LBB308_92
; %bb.89:                               ;   in Loop: Header=BB308_9 Depth=1
	v_and_b32_e32 v30, 0x7f, v8
	v_cmp_ne_u32_e64 s[4:5], s42, v30
	v_mov_b32_e32 v28, 0x7f800001
	s_and_saveexec_b64 s[36:37], s[4:5]
	s_cbranch_execz .LBB308_91
; %bb.90:                               ;   in Loop: Header=BB308_9 Depth=1
	v_and_b32_e32 v9, 7, v8
	v_lshrrev_b32_e32 v28, 3, v30
	v_cmp_gt_u32_e64 s[4:5], 8, v30
	v_ffbh_u32_e32 v30, v9
	v_min_u32_e32 v32, 32, v30
	v_subrev_u32_e32 v30, 28, v32
	v_lshlrev_b64 v[30:31], v30, v[8:9]
	v_sub_u32_e32 v8, 29, v32
	v_and_b32_e32 v30, 7, v30
	v_cndmask_b32_e64 v8, v28, v8, s[4:5]
	v_cndmask_b32_e64 v9, v9, v30, s[4:5]
	v_lshlrev_b32_e32 v7, 16, v7
	v_lshlrev_b32_e32 v9, 20, v9
	v_and_b32_e32 v7, 0x80000000, v7
	v_lshl_add_u32 v8, v8, 23, v13
	v_or3_b32 v28, v7, v8, v9
.LBB308_91:                             ;   in Loop: Header=BB308_9 Depth=1
	s_or_b64 exec, exec, s[36:37]
.LBB308_92:                             ;   in Loop: Header=BB308_9 Depth=1
	s_or_b64 exec, exec, s[34:35]
.LBB308_93:                             ;   in Loop: Header=BB308_9 Depth=1
	s_or_b64 exec, exec, s[16:17]
	global_load_ushort v8, v[5:6], off offset:776
	s_waitcnt vmcnt(0)
	v_and_b32_e32 v7, 0xffff, v8
	v_cmp_ne_u16_sdwa s[4:5], v8, v0 src0_sel:BYTE_0 src1_sel:DWORD
	s_and_saveexec_b64 s[16:17], s[4:5]
	s_cbranch_execz .LBB308_99
; %bb.94:                               ;   in Loop: Header=BB308_9 Depth=1
	v_cmp_ne_u16_sdwa s[4:5], v7, s41 src0_sel:BYTE_0 src1_sel:DWORD
	v_bfrev_b32_e32 v29, 1
	s_and_saveexec_b64 s[34:35], s[4:5]
	s_cbranch_execz .LBB308_98
; %bb.95:                               ;   in Loop: Header=BB308_9 Depth=1
	v_and_b32_e32 v8, 0x7f, v7
	v_cmp_ne_u32_e64 s[4:5], s42, v8
	v_mov_b32_e32 v29, 0x7f800001
	s_and_saveexec_b64 s[36:37], s[4:5]
	s_cbranch_execz .LBB308_97
; %bb.96:                               ;   in Loop: Header=BB308_9 Depth=1
	v_and_b32_e32 v9, 7, v7
	v_lshrrev_b32_e32 v31, 3, v8
	v_cmp_gt_u32_e64 s[4:5], 8, v8
	v_ffbh_u32_e32 v8, v9
	v_min_u32_e32 v8, 32, v8
	v_subrev_u32_e32 v29, 28, v8
	v_lshlrev_b64 v[29:30], v29, v[7:8]
	v_sub_u32_e32 v8, 29, v8
	v_and_b32_e32 v29, 7, v29
	v_cndmask_b32_e64 v8, v31, v8, s[4:5]
	v_cndmask_b32_e64 v9, v9, v29, s[4:5]
	v_lshlrev_b32_e32 v29, 24, v7
	v_lshlrev_b32_e32 v9, 20, v9
	v_and_b32_e32 v29, 0x80000000, v29
	v_lshl_add_u32 v8, v8, 23, v13
	v_or3_b32 v29, v29, v8, v9
.LBB308_97:                             ;   in Loop: Header=BB308_9 Depth=1
	s_or_b64 exec, exec, s[36:37]
.LBB308_98:                             ;   in Loop: Header=BB308_9 Depth=1
	s_or_b64 exec, exec, s[34:35]
.LBB308_99:                             ;   in Loop: Header=BB308_9 Depth=1
	s_or_b64 exec, exec, s[16:17]
	v_lshrrev_b16_e32 v8, 8, v7
	v_cmp_ne_u16_e64 s[4:5], 0, v8
	v_mov_b32_e32 v31, 0
	v_mov_b32_e32 v30, 0
	s_and_saveexec_b64 s[16:17], s[4:5]
	s_cbranch_execz .LBB308_105
; %bb.100:                              ;   in Loop: Header=BB308_9 Depth=1
	v_cmp_ne_u16_e64 s[4:5], s41, v8
	v_bfrev_b32_e32 v30, 1
	s_and_saveexec_b64 s[34:35], s[4:5]
	s_cbranch_execz .LBB308_104
; %bb.101:                              ;   in Loop: Header=BB308_9 Depth=1
	v_and_b32_e32 v32, 0x7f, v8
	v_cmp_ne_u32_e64 s[4:5], s42, v32
	v_mov_b32_e32 v30, 0x7f800001
	s_and_saveexec_b64 s[36:37], s[4:5]
	s_cbranch_execz .LBB308_103
; %bb.102:                              ;   in Loop: Header=BB308_9 Depth=1
	v_and_b32_e32 v9, 7, v8
	v_lshrrev_b32_e32 v30, 3, v32
	v_cmp_gt_u32_e64 s[4:5], 8, v32
	v_ffbh_u32_e32 v32, v9
	v_min_u32_e32 v34, 32, v32
	v_subrev_u32_e32 v32, 28, v34
	v_lshlrev_b64 v[32:33], v32, v[8:9]
	v_sub_u32_e32 v8, 29, v34
	v_and_b32_e32 v32, 7, v32
	v_cndmask_b32_e64 v8, v30, v8, s[4:5]
	v_cndmask_b32_e64 v9, v9, v32, s[4:5]
	v_lshlrev_b32_e32 v7, 16, v7
	v_lshlrev_b32_e32 v9, 20, v9
	v_and_b32_e32 v7, 0x80000000, v7
	v_lshl_add_u32 v8, v8, 23, v13
	v_or3_b32 v30, v7, v8, v9
.LBB308_103:                            ;   in Loop: Header=BB308_9 Depth=1
	s_or_b64 exec, exec, s[36:37]
.LBB308_104:                            ;   in Loop: Header=BB308_9 Depth=1
	s_or_b64 exec, exec, s[34:35]
.LBB308_105:                            ;   in Loop: Header=BB308_9 Depth=1
	s_or_b64 exec, exec, s[16:17]
	global_load_ushort v8, v[5:6], off offset:1024
	s_waitcnt vmcnt(0)
	v_and_b32_e32 v7, 0xffff, v8
	v_cmp_ne_u16_sdwa s[4:5], v8, v0 src0_sel:BYTE_0 src1_sel:DWORD
	s_and_saveexec_b64 s[16:17], s[4:5]
	s_cbranch_execz .LBB308_111
; %bb.106:                              ;   in Loop: Header=BB308_9 Depth=1
	v_cmp_ne_u16_sdwa s[4:5], v7, s41 src0_sel:BYTE_0 src1_sel:DWORD
	v_bfrev_b32_e32 v31, 1
	s_and_saveexec_b64 s[34:35], s[4:5]
	s_cbranch_execz .LBB308_110
; %bb.107:                              ;   in Loop: Header=BB308_9 Depth=1
	v_and_b32_e32 v8, 0x7f, v7
	v_cmp_ne_u32_e64 s[4:5], s42, v8
	v_mov_b32_e32 v31, 0x7f800001
	s_and_saveexec_b64 s[36:37], s[4:5]
	s_cbranch_execz .LBB308_109
; %bb.108:                              ;   in Loop: Header=BB308_9 Depth=1
	v_and_b32_e32 v9, 7, v7
	v_lshrrev_b32_e32 v33, 3, v8
	v_cmp_gt_u32_e64 s[4:5], 8, v8
	v_ffbh_u32_e32 v8, v9
	v_min_u32_e32 v8, 32, v8
	v_subrev_u32_e32 v31, 28, v8
	v_lshlrev_b64 v[31:32], v31, v[7:8]
	v_sub_u32_e32 v8, 29, v8
	v_and_b32_e32 v31, 7, v31
	v_cndmask_b32_e64 v8, v33, v8, s[4:5]
	v_cndmask_b32_e64 v9, v9, v31, s[4:5]
	v_lshlrev_b32_e32 v31, 24, v7
	v_lshlrev_b32_e32 v9, 20, v9
	v_and_b32_e32 v31, 0x80000000, v31
	v_lshl_add_u32 v8, v8, 23, v13
	v_or3_b32 v31, v31, v8, v9
.LBB308_109:                            ;   in Loop: Header=BB308_9 Depth=1
	s_or_b64 exec, exec, s[36:37]
.LBB308_110:                            ;   in Loop: Header=BB308_9 Depth=1
	s_or_b64 exec, exec, s[34:35]
.LBB308_111:                            ;   in Loop: Header=BB308_9 Depth=1
	s_or_b64 exec, exec, s[16:17]
	v_lshrrev_b16_e32 v8, 8, v7
	v_cmp_ne_u16_e64 s[4:5], 0, v8
	v_mov_b32_e32 v33, 0
	v_mov_b32_e32 v32, 0
	s_and_saveexec_b64 s[16:17], s[4:5]
	s_cbranch_execz .LBB308_117
; %bb.112:                              ;   in Loop: Header=BB308_9 Depth=1
	v_cmp_ne_u16_e64 s[4:5], s41, v8
	v_bfrev_b32_e32 v32, 1
	s_and_saveexec_b64 s[34:35], s[4:5]
	s_cbranch_execz .LBB308_116
; %bb.113:                              ;   in Loop: Header=BB308_9 Depth=1
	v_and_b32_e32 v34, 0x7f, v8
	v_cmp_ne_u32_e64 s[4:5], s42, v34
	v_mov_b32_e32 v32, 0x7f800001
	s_and_saveexec_b64 s[36:37], s[4:5]
	s_cbranch_execz .LBB308_115
; %bb.114:                              ;   in Loop: Header=BB308_9 Depth=1
	v_and_b32_e32 v9, 7, v8
	v_lshrrev_b32_e32 v32, 3, v34
	v_cmp_gt_u32_e64 s[4:5], 8, v34
	v_ffbh_u32_e32 v34, v9
	v_min_u32_e32 v36, 32, v34
	v_subrev_u32_e32 v34, 28, v36
	v_lshlrev_b64 v[34:35], v34, v[8:9]
	v_sub_u32_e32 v8, 29, v36
	v_and_b32_e32 v34, 7, v34
	v_cndmask_b32_e64 v8, v32, v8, s[4:5]
	v_cndmask_b32_e64 v9, v9, v34, s[4:5]
	v_lshlrev_b32_e32 v7, 16, v7
	v_lshlrev_b32_e32 v9, 20, v9
	v_and_b32_e32 v7, 0x80000000, v7
	v_lshl_add_u32 v8, v8, 23, v13
	v_or3_b32 v32, v7, v8, v9
.LBB308_115:                            ;   in Loop: Header=BB308_9 Depth=1
	s_or_b64 exec, exec, s[36:37]
.LBB308_116:                            ;   in Loop: Header=BB308_9 Depth=1
	s_or_b64 exec, exec, s[34:35]
.LBB308_117:                            ;   in Loop: Header=BB308_9 Depth=1
	s_or_b64 exec, exec, s[16:17]
	global_load_ushort v8, v[5:6], off offset:1032
	s_waitcnt vmcnt(0)
	v_and_b32_e32 v7, 0xffff, v8
	v_cmp_ne_u16_sdwa s[4:5], v8, v0 src0_sel:BYTE_0 src1_sel:DWORD
	s_and_saveexec_b64 s[16:17], s[4:5]
	s_cbranch_execz .LBB308_123
; %bb.118:                              ;   in Loop: Header=BB308_9 Depth=1
	v_cmp_ne_u16_sdwa s[4:5], v7, s41 src0_sel:BYTE_0 src1_sel:DWORD
	v_bfrev_b32_e32 v33, 1
	s_and_saveexec_b64 s[34:35], s[4:5]
	s_cbranch_execz .LBB308_122
; %bb.119:                              ;   in Loop: Header=BB308_9 Depth=1
	v_and_b32_e32 v8, 0x7f, v7
	v_cmp_ne_u32_e64 s[4:5], s42, v8
	v_mov_b32_e32 v33, 0x7f800001
	s_and_saveexec_b64 s[36:37], s[4:5]
	s_cbranch_execz .LBB308_121
; %bb.120:                              ;   in Loop: Header=BB308_9 Depth=1
	v_and_b32_e32 v9, 7, v7
	v_lshrrev_b32_e32 v35, 3, v8
	v_cmp_gt_u32_e64 s[4:5], 8, v8
	v_ffbh_u32_e32 v8, v9
	v_min_u32_e32 v8, 32, v8
	v_subrev_u32_e32 v33, 28, v8
	v_lshlrev_b64 v[33:34], v33, v[7:8]
	v_sub_u32_e32 v8, 29, v8
	v_and_b32_e32 v33, 7, v33
	v_cndmask_b32_e64 v8, v35, v8, s[4:5]
	v_cndmask_b32_e64 v9, v9, v33, s[4:5]
	v_lshlrev_b32_e32 v33, 24, v7
	v_lshlrev_b32_e32 v9, 20, v9
	v_and_b32_e32 v33, 0x80000000, v33
	v_lshl_add_u32 v8, v8, 23, v13
	v_or3_b32 v33, v33, v8, v9
.LBB308_121:                            ;   in Loop: Header=BB308_9 Depth=1
	s_or_b64 exec, exec, s[36:37]
.LBB308_122:                            ;   in Loop: Header=BB308_9 Depth=1
	s_or_b64 exec, exec, s[34:35]
.LBB308_123:                            ;   in Loop: Header=BB308_9 Depth=1
	s_or_b64 exec, exec, s[16:17]
	v_lshrrev_b16_e32 v8, 8, v7
	v_cmp_ne_u16_e64 s[4:5], 0, v8
	v_mov_b32_e32 v35, 0
	v_mov_b32_e32 v34, 0
	s_and_saveexec_b64 s[16:17], s[4:5]
	s_cbranch_execz .LBB308_129
; %bb.124:                              ;   in Loop: Header=BB308_9 Depth=1
	v_cmp_ne_u16_e64 s[4:5], s41, v8
	v_bfrev_b32_e32 v34, 1
	s_and_saveexec_b64 s[34:35], s[4:5]
	s_cbranch_execz .LBB308_128
; %bb.125:                              ;   in Loop: Header=BB308_9 Depth=1
	v_and_b32_e32 v36, 0x7f, v8
	v_cmp_ne_u32_e64 s[4:5], s42, v36
	v_mov_b32_e32 v34, 0x7f800001
	s_and_saveexec_b64 s[36:37], s[4:5]
	s_cbranch_execz .LBB308_127
; %bb.126:                              ;   in Loop: Header=BB308_9 Depth=1
	v_and_b32_e32 v9, 7, v8
	v_lshrrev_b32_e32 v34, 3, v36
	v_cmp_gt_u32_e64 s[4:5], 8, v36
	v_ffbh_u32_e32 v36, v9
	v_min_u32_e32 v38, 32, v36
	v_subrev_u32_e32 v36, 28, v38
	v_lshlrev_b64 v[36:37], v36, v[8:9]
	v_sub_u32_e32 v8, 29, v38
	v_and_b32_e32 v36, 7, v36
	v_cndmask_b32_e64 v8, v34, v8, s[4:5]
	v_cndmask_b32_e64 v9, v9, v36, s[4:5]
	v_lshlrev_b32_e32 v7, 16, v7
	v_lshlrev_b32_e32 v9, 20, v9
	v_and_b32_e32 v7, 0x80000000, v7
	v_lshl_add_u32 v8, v8, 23, v13
	v_or3_b32 v34, v7, v8, v9
.LBB308_127:                            ;   in Loop: Header=BB308_9 Depth=1
	s_or_b64 exec, exec, s[36:37]
.LBB308_128:                            ;   in Loop: Header=BB308_9 Depth=1
	s_or_b64 exec, exec, s[34:35]
.LBB308_129:                            ;   in Loop: Header=BB308_9 Depth=1
	s_or_b64 exec, exec, s[16:17]
	global_load_ushort v8, v[5:6], off offset:1280
	s_waitcnt vmcnt(0)
	v_and_b32_e32 v7, 0xffff, v8
	v_cmp_ne_u16_sdwa s[4:5], v8, v0 src0_sel:BYTE_0 src1_sel:DWORD
	s_and_saveexec_b64 s[16:17], s[4:5]
	s_cbranch_execz .LBB308_135
; %bb.130:                              ;   in Loop: Header=BB308_9 Depth=1
	v_cmp_ne_u16_sdwa s[4:5], v7, s41 src0_sel:BYTE_0 src1_sel:DWORD
	v_bfrev_b32_e32 v35, 1
	s_and_saveexec_b64 s[34:35], s[4:5]
	s_cbranch_execz .LBB308_134
; %bb.131:                              ;   in Loop: Header=BB308_9 Depth=1
	v_and_b32_e32 v8, 0x7f, v7
	v_cmp_ne_u32_e64 s[4:5], s42, v8
	v_mov_b32_e32 v35, 0x7f800001
	s_and_saveexec_b64 s[36:37], s[4:5]
	s_cbranch_execz .LBB308_133
; %bb.132:                              ;   in Loop: Header=BB308_9 Depth=1
	v_and_b32_e32 v9, 7, v7
	v_lshrrev_b32_e32 v37, 3, v8
	v_cmp_gt_u32_e64 s[4:5], 8, v8
	v_ffbh_u32_e32 v8, v9
	v_min_u32_e32 v8, 32, v8
	v_subrev_u32_e32 v35, 28, v8
	v_lshlrev_b64 v[35:36], v35, v[7:8]
	v_sub_u32_e32 v8, 29, v8
	v_and_b32_e32 v35, 7, v35
	v_cndmask_b32_e64 v8, v37, v8, s[4:5]
	v_cndmask_b32_e64 v9, v9, v35, s[4:5]
	v_lshlrev_b32_e32 v35, 24, v7
	v_lshlrev_b32_e32 v9, 20, v9
	v_and_b32_e32 v35, 0x80000000, v35
	v_lshl_add_u32 v8, v8, 23, v13
	v_or3_b32 v35, v35, v8, v9
.LBB308_133:                            ;   in Loop: Header=BB308_9 Depth=1
	s_or_b64 exec, exec, s[36:37]
.LBB308_134:                            ;   in Loop: Header=BB308_9 Depth=1
	s_or_b64 exec, exec, s[34:35]
.LBB308_135:                            ;   in Loop: Header=BB308_9 Depth=1
	s_or_b64 exec, exec, s[16:17]
	v_lshrrev_b16_e32 v8, 8, v7
	v_cmp_ne_u16_e64 s[4:5], 0, v8
	v_mov_b32_e32 v37, 0
	v_mov_b32_e32 v36, 0
	s_and_saveexec_b64 s[16:17], s[4:5]
	s_cbranch_execz .LBB308_141
; %bb.136:                              ;   in Loop: Header=BB308_9 Depth=1
	v_cmp_ne_u16_e64 s[4:5], s41, v8
	v_bfrev_b32_e32 v36, 1
	s_and_saveexec_b64 s[34:35], s[4:5]
	s_cbranch_execz .LBB308_140
; %bb.137:                              ;   in Loop: Header=BB308_9 Depth=1
	v_and_b32_e32 v38, 0x7f, v8
	v_cmp_ne_u32_e64 s[4:5], s42, v38
	v_mov_b32_e32 v36, 0x7f800001
	s_and_saveexec_b64 s[36:37], s[4:5]
	s_cbranch_execz .LBB308_139
; %bb.138:                              ;   in Loop: Header=BB308_9 Depth=1
	v_and_b32_e32 v9, 7, v8
	v_lshrrev_b32_e32 v36, 3, v38
	v_cmp_gt_u32_e64 s[4:5], 8, v38
	v_ffbh_u32_e32 v38, v9
	v_min_u32_e32 v40, 32, v38
	v_subrev_u32_e32 v38, 28, v40
	v_lshlrev_b64 v[38:39], v38, v[8:9]
	v_sub_u32_e32 v8, 29, v40
	v_and_b32_e32 v38, 7, v38
	v_cndmask_b32_e64 v8, v36, v8, s[4:5]
	v_cndmask_b32_e64 v9, v9, v38, s[4:5]
	v_lshlrev_b32_e32 v7, 16, v7
	v_lshlrev_b32_e32 v9, 20, v9
	v_and_b32_e32 v7, 0x80000000, v7
	v_lshl_add_u32 v8, v8, 23, v13
	v_or3_b32 v36, v7, v8, v9
.LBB308_139:                            ;   in Loop: Header=BB308_9 Depth=1
	s_or_b64 exec, exec, s[36:37]
.LBB308_140:                            ;   in Loop: Header=BB308_9 Depth=1
	s_or_b64 exec, exec, s[34:35]
.LBB308_141:                            ;   in Loop: Header=BB308_9 Depth=1
	s_or_b64 exec, exec, s[16:17]
	global_load_ushort v8, v[5:6], off offset:1288
	s_waitcnt vmcnt(0)
	v_and_b32_e32 v7, 0xffff, v8
	v_cmp_ne_u16_sdwa s[4:5], v8, v0 src0_sel:BYTE_0 src1_sel:DWORD
	s_and_saveexec_b64 s[16:17], s[4:5]
	s_cbranch_execz .LBB308_147
; %bb.142:                              ;   in Loop: Header=BB308_9 Depth=1
	v_cmp_ne_u16_sdwa s[4:5], v7, s41 src0_sel:BYTE_0 src1_sel:DWORD
	v_bfrev_b32_e32 v37, 1
	s_and_saveexec_b64 s[34:35], s[4:5]
	s_cbranch_execz .LBB308_146
; %bb.143:                              ;   in Loop: Header=BB308_9 Depth=1
	v_and_b32_e32 v8, 0x7f, v7
	v_cmp_ne_u32_e64 s[4:5], s42, v8
	v_mov_b32_e32 v37, 0x7f800001
	s_and_saveexec_b64 s[36:37], s[4:5]
	s_cbranch_execz .LBB308_145
; %bb.144:                              ;   in Loop: Header=BB308_9 Depth=1
	v_and_b32_e32 v9, 7, v7
	v_lshrrev_b32_e32 v39, 3, v8
	v_cmp_gt_u32_e64 s[4:5], 8, v8
	v_ffbh_u32_e32 v8, v9
	v_min_u32_e32 v8, 32, v8
	v_subrev_u32_e32 v37, 28, v8
	v_lshlrev_b64 v[37:38], v37, v[7:8]
	v_sub_u32_e32 v8, 29, v8
	v_and_b32_e32 v37, 7, v37
	v_cndmask_b32_e64 v8, v39, v8, s[4:5]
	v_cndmask_b32_e64 v9, v9, v37, s[4:5]
	v_lshlrev_b32_e32 v37, 24, v7
	v_lshlrev_b32_e32 v9, 20, v9
	v_and_b32_e32 v37, 0x80000000, v37
	v_lshl_add_u32 v8, v8, 23, v13
	v_or3_b32 v37, v37, v8, v9
.LBB308_145:                            ;   in Loop: Header=BB308_9 Depth=1
	s_or_b64 exec, exec, s[36:37]
.LBB308_146:                            ;   in Loop: Header=BB308_9 Depth=1
	s_or_b64 exec, exec, s[34:35]
.LBB308_147:                            ;   in Loop: Header=BB308_9 Depth=1
	s_or_b64 exec, exec, s[16:17]
	v_lshrrev_b16_e32 v8, 8, v7
	v_cmp_ne_u16_e64 s[4:5], 0, v8
	v_mov_b32_e32 v39, 0
	v_mov_b32_e32 v38, 0
	s_and_saveexec_b64 s[16:17], s[4:5]
	s_cbranch_execz .LBB308_153
; %bb.148:                              ;   in Loop: Header=BB308_9 Depth=1
	v_cmp_ne_u16_e64 s[4:5], s41, v8
	v_bfrev_b32_e32 v38, 1
	s_and_saveexec_b64 s[34:35], s[4:5]
	s_cbranch_execz .LBB308_152
; %bb.149:                              ;   in Loop: Header=BB308_9 Depth=1
	v_and_b32_e32 v40, 0x7f, v8
	v_cmp_ne_u32_e64 s[4:5], s42, v40
	v_mov_b32_e32 v38, 0x7f800001
	s_and_saveexec_b64 s[36:37], s[4:5]
	s_cbranch_execz .LBB308_151
; %bb.150:                              ;   in Loop: Header=BB308_9 Depth=1
	v_and_b32_e32 v9, 7, v8
	v_lshrrev_b32_e32 v38, 3, v40
	v_cmp_gt_u32_e64 s[4:5], 8, v40
	v_ffbh_u32_e32 v40, v9
	v_min_u32_e32 v42, 32, v40
	v_subrev_u32_e32 v40, 28, v42
	v_lshlrev_b64 v[40:41], v40, v[8:9]
	v_sub_u32_e32 v8, 29, v42
	v_and_b32_e32 v40, 7, v40
	v_cndmask_b32_e64 v8, v38, v8, s[4:5]
	v_cndmask_b32_e64 v9, v9, v40, s[4:5]
	v_lshlrev_b32_e32 v7, 16, v7
	v_lshlrev_b32_e32 v9, 20, v9
	v_and_b32_e32 v7, 0x80000000, v7
	v_lshl_add_u32 v8, v8, 23, v13
	v_or3_b32 v38, v7, v8, v9
.LBB308_151:                            ;   in Loop: Header=BB308_9 Depth=1
	s_or_b64 exec, exec, s[36:37]
.LBB308_152:                            ;   in Loop: Header=BB308_9 Depth=1
	s_or_b64 exec, exec, s[34:35]
.LBB308_153:                            ;   in Loop: Header=BB308_9 Depth=1
	s_or_b64 exec, exec, s[16:17]
	global_load_ushort v8, v[5:6], off offset:1536
	s_waitcnt vmcnt(0)
	v_and_b32_e32 v7, 0xffff, v8
	v_cmp_ne_u16_sdwa s[4:5], v8, v0 src0_sel:BYTE_0 src1_sel:DWORD
	s_and_saveexec_b64 s[16:17], s[4:5]
	s_cbranch_execz .LBB308_159
; %bb.154:                              ;   in Loop: Header=BB308_9 Depth=1
	v_cmp_ne_u16_sdwa s[4:5], v7, s41 src0_sel:BYTE_0 src1_sel:DWORD
	v_bfrev_b32_e32 v39, 1
	s_and_saveexec_b64 s[34:35], s[4:5]
	s_cbranch_execz .LBB308_158
; %bb.155:                              ;   in Loop: Header=BB308_9 Depth=1
	v_and_b32_e32 v8, 0x7f, v7
	v_cmp_ne_u32_e64 s[4:5], s42, v8
	v_mov_b32_e32 v39, 0x7f800001
	s_and_saveexec_b64 s[36:37], s[4:5]
	s_cbranch_execz .LBB308_157
; %bb.156:                              ;   in Loop: Header=BB308_9 Depth=1
	v_and_b32_e32 v9, 7, v7
	v_lshrrev_b32_e32 v41, 3, v8
	v_cmp_gt_u32_e64 s[4:5], 8, v8
	v_ffbh_u32_e32 v8, v9
	v_min_u32_e32 v8, 32, v8
	v_subrev_u32_e32 v39, 28, v8
	v_lshlrev_b64 v[39:40], v39, v[7:8]
	v_sub_u32_e32 v8, 29, v8
	v_and_b32_e32 v39, 7, v39
	v_cndmask_b32_e64 v8, v41, v8, s[4:5]
	v_cndmask_b32_e64 v9, v9, v39, s[4:5]
	v_lshlrev_b32_e32 v39, 24, v7
	v_lshlrev_b32_e32 v9, 20, v9
	v_and_b32_e32 v39, 0x80000000, v39
	v_lshl_add_u32 v8, v8, 23, v13
	v_or3_b32 v39, v39, v8, v9
.LBB308_157:                            ;   in Loop: Header=BB308_9 Depth=1
	s_or_b64 exec, exec, s[36:37]
.LBB308_158:                            ;   in Loop: Header=BB308_9 Depth=1
	s_or_b64 exec, exec, s[34:35]
.LBB308_159:                            ;   in Loop: Header=BB308_9 Depth=1
	s_or_b64 exec, exec, s[16:17]
	v_lshrrev_b16_e32 v8, 8, v7
	v_cmp_ne_u16_e64 s[4:5], 0, v8
	v_mov_b32_e32 v41, 0
	v_mov_b32_e32 v40, 0
	s_and_saveexec_b64 s[16:17], s[4:5]
	s_cbranch_execz .LBB308_165
; %bb.160:                              ;   in Loop: Header=BB308_9 Depth=1
	v_cmp_ne_u16_e64 s[4:5], s41, v8
	v_bfrev_b32_e32 v40, 1
	s_and_saveexec_b64 s[34:35], s[4:5]
	s_cbranch_execz .LBB308_164
; %bb.161:                              ;   in Loop: Header=BB308_9 Depth=1
	v_and_b32_e32 v42, 0x7f, v8
	v_cmp_ne_u32_e64 s[4:5], s42, v42
	v_mov_b32_e32 v40, 0x7f800001
	s_and_saveexec_b64 s[36:37], s[4:5]
	s_cbranch_execz .LBB308_163
; %bb.162:                              ;   in Loop: Header=BB308_9 Depth=1
	v_and_b32_e32 v9, 7, v8
	v_lshrrev_b32_e32 v40, 3, v42
	v_cmp_gt_u32_e64 s[4:5], 8, v42
	v_ffbh_u32_e32 v42, v9
	v_min_u32_e32 v44, 32, v42
	v_subrev_u32_e32 v42, 28, v44
	v_lshlrev_b64 v[42:43], v42, v[8:9]
	v_sub_u32_e32 v8, 29, v44
	v_and_b32_e32 v42, 7, v42
	v_cndmask_b32_e64 v8, v40, v8, s[4:5]
	v_cndmask_b32_e64 v9, v9, v42, s[4:5]
	v_lshlrev_b32_e32 v7, 16, v7
	v_lshlrev_b32_e32 v9, 20, v9
	v_and_b32_e32 v7, 0x80000000, v7
	v_lshl_add_u32 v8, v8, 23, v13
	v_or3_b32 v40, v7, v8, v9
.LBB308_163:                            ;   in Loop: Header=BB308_9 Depth=1
	s_or_b64 exec, exec, s[36:37]
.LBB308_164:                            ;   in Loop: Header=BB308_9 Depth=1
	s_or_b64 exec, exec, s[34:35]
.LBB308_165:                            ;   in Loop: Header=BB308_9 Depth=1
	s_or_b64 exec, exec, s[16:17]
	global_load_ushort v8, v[5:6], off offset:1544
	s_waitcnt vmcnt(0)
	v_and_b32_e32 v7, 0xffff, v8
	v_cmp_ne_u16_sdwa s[4:5], v8, v0 src0_sel:BYTE_0 src1_sel:DWORD
	s_and_saveexec_b64 s[16:17], s[4:5]
	s_cbranch_execz .LBB308_171
; %bb.166:                              ;   in Loop: Header=BB308_9 Depth=1
	v_cmp_ne_u16_sdwa s[4:5], v7, s41 src0_sel:BYTE_0 src1_sel:DWORD
	v_bfrev_b32_e32 v41, 1
	s_and_saveexec_b64 s[34:35], s[4:5]
	s_cbranch_execz .LBB308_170
; %bb.167:                              ;   in Loop: Header=BB308_9 Depth=1
	v_and_b32_e32 v8, 0x7f, v7
	v_cmp_ne_u32_e64 s[4:5], s42, v8
	v_mov_b32_e32 v41, 0x7f800001
	s_and_saveexec_b64 s[36:37], s[4:5]
	s_cbranch_execz .LBB308_169
; %bb.168:                              ;   in Loop: Header=BB308_9 Depth=1
	v_and_b32_e32 v9, 7, v7
	v_lshrrev_b32_e32 v43, 3, v8
	v_cmp_gt_u32_e64 s[4:5], 8, v8
	v_ffbh_u32_e32 v8, v9
	v_min_u32_e32 v8, 32, v8
	v_subrev_u32_e32 v41, 28, v8
	v_lshlrev_b64 v[41:42], v41, v[7:8]
	v_sub_u32_e32 v8, 29, v8
	v_and_b32_e32 v41, 7, v41
	v_cndmask_b32_e64 v8, v43, v8, s[4:5]
	v_cndmask_b32_e64 v9, v9, v41, s[4:5]
	v_lshlrev_b32_e32 v41, 24, v7
	v_lshlrev_b32_e32 v9, 20, v9
	v_and_b32_e32 v41, 0x80000000, v41
	v_lshl_add_u32 v8, v8, 23, v13
	v_or3_b32 v41, v41, v8, v9
.LBB308_169:                            ;   in Loop: Header=BB308_9 Depth=1
	s_or_b64 exec, exec, s[36:37]
.LBB308_170:                            ;   in Loop: Header=BB308_9 Depth=1
	s_or_b64 exec, exec, s[34:35]
.LBB308_171:                            ;   in Loop: Header=BB308_9 Depth=1
	s_or_b64 exec, exec, s[16:17]
	v_lshrrev_b16_e32 v8, 8, v7
	v_cmp_ne_u16_e64 s[4:5], 0, v8
	v_mov_b32_e32 v43, 0
	v_mov_b32_e32 v42, 0
	s_and_saveexec_b64 s[16:17], s[4:5]
	s_cbranch_execz .LBB308_177
; %bb.172:                              ;   in Loop: Header=BB308_9 Depth=1
	v_cmp_ne_u16_e64 s[4:5], s41, v8
	v_bfrev_b32_e32 v42, 1
	s_and_saveexec_b64 s[34:35], s[4:5]
	s_cbranch_execz .LBB308_176
; %bb.173:                              ;   in Loop: Header=BB308_9 Depth=1
	v_and_b32_e32 v44, 0x7f, v8
	v_cmp_ne_u32_e64 s[4:5], s42, v44
	v_mov_b32_e32 v42, 0x7f800001
	s_and_saveexec_b64 s[36:37], s[4:5]
	s_cbranch_execz .LBB308_175
; %bb.174:                              ;   in Loop: Header=BB308_9 Depth=1
	v_and_b32_e32 v9, 7, v8
	v_lshrrev_b32_e32 v42, 3, v44
	v_cmp_gt_u32_e64 s[4:5], 8, v44
	v_ffbh_u32_e32 v44, v9
	v_min_u32_e32 v46, 32, v44
	v_subrev_u32_e32 v44, 28, v46
	v_lshlrev_b64 v[44:45], v44, v[8:9]
	v_sub_u32_e32 v8, 29, v46
	v_and_b32_e32 v44, 7, v44
	v_cndmask_b32_e64 v8, v42, v8, s[4:5]
	v_cndmask_b32_e64 v9, v9, v44, s[4:5]
	v_lshlrev_b32_e32 v7, 16, v7
	v_lshlrev_b32_e32 v9, 20, v9
	v_and_b32_e32 v7, 0x80000000, v7
	v_lshl_add_u32 v8, v8, 23, v13
	v_or3_b32 v42, v7, v8, v9
.LBB308_175:                            ;   in Loop: Header=BB308_9 Depth=1
	s_or_b64 exec, exec, s[36:37]
.LBB308_176:                            ;   in Loop: Header=BB308_9 Depth=1
	s_or_b64 exec, exec, s[34:35]
.LBB308_177:                            ;   in Loop: Header=BB308_9 Depth=1
	s_or_b64 exec, exec, s[16:17]
	global_load_ushort v8, v[5:6], off offset:1792
	s_waitcnt vmcnt(0)
	v_and_b32_e32 v7, 0xffff, v8
	v_cmp_ne_u16_sdwa s[4:5], v8, v0 src0_sel:BYTE_0 src1_sel:DWORD
	s_and_saveexec_b64 s[16:17], s[4:5]
	s_cbranch_execz .LBB308_183
; %bb.178:                              ;   in Loop: Header=BB308_9 Depth=1
	v_cmp_ne_u16_sdwa s[4:5], v7, s41 src0_sel:BYTE_0 src1_sel:DWORD
	v_bfrev_b32_e32 v43, 1
	s_and_saveexec_b64 s[34:35], s[4:5]
	s_cbranch_execz .LBB308_182
; %bb.179:                              ;   in Loop: Header=BB308_9 Depth=1
	v_and_b32_e32 v8, 0x7f, v7
	v_cmp_ne_u32_e64 s[4:5], s42, v8
	v_mov_b32_e32 v43, 0x7f800001
	s_and_saveexec_b64 s[36:37], s[4:5]
	s_cbranch_execz .LBB308_181
; %bb.180:                              ;   in Loop: Header=BB308_9 Depth=1
	v_and_b32_e32 v9, 7, v7
	v_lshrrev_b32_e32 v45, 3, v8
	v_cmp_gt_u32_e64 s[4:5], 8, v8
	v_ffbh_u32_e32 v8, v9
	v_min_u32_e32 v8, 32, v8
	v_subrev_u32_e32 v43, 28, v8
	v_lshlrev_b64 v[43:44], v43, v[7:8]
	v_sub_u32_e32 v8, 29, v8
	v_and_b32_e32 v43, 7, v43
	v_cndmask_b32_e64 v8, v45, v8, s[4:5]
	v_cndmask_b32_e64 v9, v9, v43, s[4:5]
	v_lshlrev_b32_e32 v43, 24, v7
	v_lshlrev_b32_e32 v9, 20, v9
	v_and_b32_e32 v43, 0x80000000, v43
	v_lshl_add_u32 v8, v8, 23, v13
	v_or3_b32 v43, v43, v8, v9
.LBB308_181:                            ;   in Loop: Header=BB308_9 Depth=1
	s_or_b64 exec, exec, s[36:37]
.LBB308_182:                            ;   in Loop: Header=BB308_9 Depth=1
	s_or_b64 exec, exec, s[34:35]
.LBB308_183:                            ;   in Loop: Header=BB308_9 Depth=1
	s_or_b64 exec, exec, s[16:17]
	v_lshrrev_b16_e32 v8, 8, v7
	v_cmp_ne_u16_e64 s[4:5], 0, v8
	v_mov_b32_e32 v45, 0
	v_mov_b32_e32 v44, 0
	s_and_saveexec_b64 s[16:17], s[4:5]
	s_cbranch_execz .LBB308_189
; %bb.184:                              ;   in Loop: Header=BB308_9 Depth=1
	v_cmp_ne_u16_e64 s[4:5], s41, v8
	v_bfrev_b32_e32 v44, 1
	s_and_saveexec_b64 s[34:35], s[4:5]
	s_cbranch_execz .LBB308_188
; %bb.185:                              ;   in Loop: Header=BB308_9 Depth=1
	v_and_b32_e32 v46, 0x7f, v8
	v_cmp_ne_u32_e64 s[4:5], s42, v46
	v_mov_b32_e32 v44, 0x7f800001
	s_and_saveexec_b64 s[36:37], s[4:5]
	s_cbranch_execz .LBB308_187
; %bb.186:                              ;   in Loop: Header=BB308_9 Depth=1
	v_and_b32_e32 v9, 7, v8
	v_lshrrev_b32_e32 v44, 3, v46
	v_cmp_gt_u32_e64 s[4:5], 8, v46
	v_ffbh_u32_e32 v46, v9
	v_min_u32_e32 v48, 32, v46
	v_subrev_u32_e32 v46, 28, v48
	v_lshlrev_b64 v[46:47], v46, v[8:9]
	v_sub_u32_e32 v8, 29, v48
	v_and_b32_e32 v46, 7, v46
	v_cndmask_b32_e64 v8, v44, v8, s[4:5]
	v_cndmask_b32_e64 v9, v9, v46, s[4:5]
	v_lshlrev_b32_e32 v7, 16, v7
	v_lshlrev_b32_e32 v9, 20, v9
	v_and_b32_e32 v7, 0x80000000, v7
	v_lshl_add_u32 v8, v8, 23, v13
	v_or3_b32 v44, v7, v8, v9
.LBB308_187:                            ;   in Loop: Header=BB308_9 Depth=1
	s_or_b64 exec, exec, s[36:37]
.LBB308_188:                            ;   in Loop: Header=BB308_9 Depth=1
	s_or_b64 exec, exec, s[34:35]
.LBB308_189:                            ;   in Loop: Header=BB308_9 Depth=1
	s_or_b64 exec, exec, s[16:17]
	global_load_ushort v8, v[5:6], off offset:1800
	s_waitcnt vmcnt(0)
	v_and_b32_e32 v7, 0xffff, v8
	v_cmp_ne_u16_sdwa s[4:5], v8, v0 src0_sel:BYTE_0 src1_sel:DWORD
	s_and_saveexec_b64 s[16:17], s[4:5]
	s_cbranch_execz .LBB308_195
; %bb.190:                              ;   in Loop: Header=BB308_9 Depth=1
	v_cmp_ne_u16_sdwa s[4:5], v7, s41 src0_sel:BYTE_0 src1_sel:DWORD
	v_bfrev_b32_e32 v45, 1
	s_and_saveexec_b64 s[34:35], s[4:5]
	s_cbranch_execz .LBB308_194
; %bb.191:                              ;   in Loop: Header=BB308_9 Depth=1
	v_and_b32_e32 v8, 0x7f, v7
	v_cmp_ne_u32_e64 s[4:5], s42, v8
	v_mov_b32_e32 v45, 0x7f800001
	s_and_saveexec_b64 s[36:37], s[4:5]
	s_cbranch_execz .LBB308_193
; %bb.192:                              ;   in Loop: Header=BB308_9 Depth=1
	v_and_b32_e32 v9, 7, v7
	v_lshrrev_b32_e32 v47, 3, v8
	v_cmp_gt_u32_e64 s[4:5], 8, v8
	v_ffbh_u32_e32 v8, v9
	v_min_u32_e32 v8, 32, v8
	v_subrev_u32_e32 v45, 28, v8
	v_lshlrev_b64 v[45:46], v45, v[7:8]
	v_sub_u32_e32 v8, 29, v8
	v_and_b32_e32 v45, 7, v45
	v_cndmask_b32_e64 v8, v47, v8, s[4:5]
	v_cndmask_b32_e64 v9, v9, v45, s[4:5]
	v_lshlrev_b32_e32 v45, 24, v7
	v_lshlrev_b32_e32 v9, 20, v9
	v_and_b32_e32 v45, 0x80000000, v45
	v_lshl_add_u32 v8, v8, 23, v13
	v_or3_b32 v45, v45, v8, v9
.LBB308_193:                            ;   in Loop: Header=BB308_9 Depth=1
	s_or_b64 exec, exec, s[36:37]
.LBB308_194:                            ;   in Loop: Header=BB308_9 Depth=1
	s_or_b64 exec, exec, s[34:35]
.LBB308_195:                            ;   in Loop: Header=BB308_9 Depth=1
	s_or_b64 exec, exec, s[16:17]
	v_lshrrev_b16_e32 v8, 8, v7
	v_cmp_ne_u16_e64 s[4:5], 0, v8
	v_mov_b32_e32 v47, 0
	v_mov_b32_e32 v46, 0
	s_and_saveexec_b64 s[16:17], s[4:5]
	s_cbranch_execz .LBB308_201
; %bb.196:                              ;   in Loop: Header=BB308_9 Depth=1
	v_cmp_ne_u16_e64 s[4:5], s41, v8
	v_bfrev_b32_e32 v46, 1
	s_and_saveexec_b64 s[34:35], s[4:5]
	s_cbranch_execz .LBB308_200
; %bb.197:                              ;   in Loop: Header=BB308_9 Depth=1
	v_and_b32_e32 v48, 0x7f, v8
	v_cmp_ne_u32_e64 s[4:5], s42, v48
	v_mov_b32_e32 v46, 0x7f800001
	s_and_saveexec_b64 s[36:37], s[4:5]
	s_cbranch_execz .LBB308_199
; %bb.198:                              ;   in Loop: Header=BB308_9 Depth=1
	v_and_b32_e32 v9, 7, v8
	v_lshrrev_b32_e32 v46, 3, v48
	v_cmp_gt_u32_e64 s[4:5], 8, v48
	v_ffbh_u32_e32 v48, v9
	v_min_u32_e32 v50, 32, v48
	v_subrev_u32_e32 v48, 28, v50
	v_lshlrev_b64 v[48:49], v48, v[8:9]
	v_sub_u32_e32 v8, 29, v50
	v_and_b32_e32 v48, 7, v48
	v_cndmask_b32_e64 v8, v46, v8, s[4:5]
	v_cndmask_b32_e64 v9, v9, v48, s[4:5]
	v_lshlrev_b32_e32 v7, 16, v7
	v_lshlrev_b32_e32 v9, 20, v9
	v_and_b32_e32 v7, 0x80000000, v7
	v_lshl_add_u32 v8, v8, 23, v13
	v_or3_b32 v46, v7, v8, v9
.LBB308_199:                            ;   in Loop: Header=BB308_9 Depth=1
	s_or_b64 exec, exec, s[36:37]
.LBB308_200:                            ;   in Loop: Header=BB308_9 Depth=1
	s_or_b64 exec, exec, s[34:35]
.LBB308_201:                            ;   in Loop: Header=BB308_9 Depth=1
	s_or_b64 exec, exec, s[16:17]
	global_load_ushort v8, v[5:6], off offset:2048
	s_waitcnt vmcnt(0)
	v_and_b32_e32 v7, 0xffff, v8
	v_cmp_ne_u16_sdwa s[4:5], v8, v0 src0_sel:BYTE_0 src1_sel:DWORD
	s_and_saveexec_b64 s[16:17], s[4:5]
	s_cbranch_execz .LBB308_207
; %bb.202:                              ;   in Loop: Header=BB308_9 Depth=1
	v_cmp_ne_u16_sdwa s[4:5], v7, s41 src0_sel:BYTE_0 src1_sel:DWORD
	v_bfrev_b32_e32 v47, 1
	s_and_saveexec_b64 s[34:35], s[4:5]
	s_cbranch_execz .LBB308_206
; %bb.203:                              ;   in Loop: Header=BB308_9 Depth=1
	v_and_b32_e32 v8, 0x7f, v7
	v_cmp_ne_u32_e64 s[4:5], s42, v8
	v_mov_b32_e32 v47, 0x7f800001
	s_and_saveexec_b64 s[36:37], s[4:5]
	s_cbranch_execz .LBB308_205
; %bb.204:                              ;   in Loop: Header=BB308_9 Depth=1
	v_and_b32_e32 v9, 7, v7
	v_lshrrev_b32_e32 v49, 3, v8
	v_cmp_gt_u32_e64 s[4:5], 8, v8
	v_ffbh_u32_e32 v8, v9
	v_min_u32_e32 v8, 32, v8
	v_subrev_u32_e32 v47, 28, v8
	v_lshlrev_b64 v[47:48], v47, v[7:8]
	v_sub_u32_e32 v8, 29, v8
	v_and_b32_e32 v47, 7, v47
	v_cndmask_b32_e64 v8, v49, v8, s[4:5]
	v_cndmask_b32_e64 v9, v9, v47, s[4:5]
	v_lshlrev_b32_e32 v47, 24, v7
	v_lshlrev_b32_e32 v9, 20, v9
	v_and_b32_e32 v47, 0x80000000, v47
	v_lshl_add_u32 v8, v8, 23, v13
	v_or3_b32 v47, v47, v8, v9
.LBB308_205:                            ;   in Loop: Header=BB308_9 Depth=1
	s_or_b64 exec, exec, s[36:37]
.LBB308_206:                            ;   in Loop: Header=BB308_9 Depth=1
	s_or_b64 exec, exec, s[34:35]
.LBB308_207:                            ;   in Loop: Header=BB308_9 Depth=1
	s_or_b64 exec, exec, s[16:17]
	v_lshrrev_b16_e32 v8, 8, v7
	v_cmp_ne_u16_e64 s[4:5], 0, v8
	v_mov_b32_e32 v49, 0
	v_mov_b32_e32 v48, 0
	s_and_saveexec_b64 s[16:17], s[4:5]
	s_cbranch_execz .LBB308_213
; %bb.208:                              ;   in Loop: Header=BB308_9 Depth=1
	v_cmp_ne_u16_e64 s[4:5], s41, v8
	v_bfrev_b32_e32 v48, 1
	s_and_saveexec_b64 s[34:35], s[4:5]
	s_cbranch_execz .LBB308_212
; %bb.209:                              ;   in Loop: Header=BB308_9 Depth=1
	v_and_b32_e32 v50, 0x7f, v8
	v_cmp_ne_u32_e64 s[4:5], s42, v50
	v_mov_b32_e32 v48, 0x7f800001
	s_and_saveexec_b64 s[36:37], s[4:5]
	s_cbranch_execz .LBB308_211
; %bb.210:                              ;   in Loop: Header=BB308_9 Depth=1
	v_and_b32_e32 v9, 7, v8
	v_lshrrev_b32_e32 v48, 3, v50
	v_cmp_gt_u32_e64 s[4:5], 8, v50
	v_ffbh_u32_e32 v50, v9
	v_min_u32_e32 v52, 32, v50
	v_subrev_u32_e32 v50, 28, v52
	v_lshlrev_b64 v[50:51], v50, v[8:9]
	v_sub_u32_e32 v8, 29, v52
	v_and_b32_e32 v50, 7, v50
	v_cndmask_b32_e64 v8, v48, v8, s[4:5]
	v_cndmask_b32_e64 v9, v9, v50, s[4:5]
	v_lshlrev_b32_e32 v7, 16, v7
	v_lshlrev_b32_e32 v9, 20, v9
	v_and_b32_e32 v7, 0x80000000, v7
	v_lshl_add_u32 v8, v8, 23, v13
	v_or3_b32 v48, v7, v8, v9
.LBB308_211:                            ;   in Loop: Header=BB308_9 Depth=1
	s_or_b64 exec, exec, s[36:37]
.LBB308_212:                            ;   in Loop: Header=BB308_9 Depth=1
	s_or_b64 exec, exec, s[34:35]
.LBB308_213:                            ;   in Loop: Header=BB308_9 Depth=1
	s_or_b64 exec, exec, s[16:17]
	global_load_ushort v8, v[5:6], off offset:2056
	s_waitcnt vmcnt(0)
	v_and_b32_e32 v7, 0xffff, v8
	v_cmp_ne_u16_sdwa s[4:5], v8, v0 src0_sel:BYTE_0 src1_sel:DWORD
	s_and_saveexec_b64 s[16:17], s[4:5]
	s_cbranch_execz .LBB308_219
; %bb.214:                              ;   in Loop: Header=BB308_9 Depth=1
	v_cmp_ne_u16_sdwa s[4:5], v7, s41 src0_sel:BYTE_0 src1_sel:DWORD
	v_bfrev_b32_e32 v49, 1
	s_and_saveexec_b64 s[34:35], s[4:5]
	s_cbranch_execz .LBB308_218
; %bb.215:                              ;   in Loop: Header=BB308_9 Depth=1
	v_and_b32_e32 v8, 0x7f, v7
	v_cmp_ne_u32_e64 s[4:5], s42, v8
	v_mov_b32_e32 v49, 0x7f800001
	s_and_saveexec_b64 s[36:37], s[4:5]
	s_cbranch_execz .LBB308_217
; %bb.216:                              ;   in Loop: Header=BB308_9 Depth=1
	v_and_b32_e32 v9, 7, v7
	v_lshrrev_b32_e32 v51, 3, v8
	v_cmp_gt_u32_e64 s[4:5], 8, v8
	v_ffbh_u32_e32 v8, v9
	v_min_u32_e32 v8, 32, v8
	v_subrev_u32_e32 v49, 28, v8
	v_lshlrev_b64 v[49:50], v49, v[7:8]
	v_sub_u32_e32 v8, 29, v8
	v_and_b32_e32 v49, 7, v49
	v_cndmask_b32_e64 v8, v51, v8, s[4:5]
	v_cndmask_b32_e64 v9, v9, v49, s[4:5]
	v_lshlrev_b32_e32 v49, 24, v7
	v_lshlrev_b32_e32 v9, 20, v9
	v_and_b32_e32 v49, 0x80000000, v49
	v_lshl_add_u32 v8, v8, 23, v13
	v_or3_b32 v49, v49, v8, v9
.LBB308_217:                            ;   in Loop: Header=BB308_9 Depth=1
	s_or_b64 exec, exec, s[36:37]
.LBB308_218:                            ;   in Loop: Header=BB308_9 Depth=1
	s_or_b64 exec, exec, s[34:35]
.LBB308_219:                            ;   in Loop: Header=BB308_9 Depth=1
	s_or_b64 exec, exec, s[16:17]
	v_lshrrev_b16_e32 v8, 8, v7
	v_cmp_ne_u16_e64 s[4:5], 0, v8
	v_mov_b32_e32 v51, 0
	v_mov_b32_e32 v50, 0
	s_and_saveexec_b64 s[16:17], s[4:5]
	s_cbranch_execz .LBB308_225
; %bb.220:                              ;   in Loop: Header=BB308_9 Depth=1
	v_cmp_ne_u16_e64 s[4:5], s41, v8
	v_bfrev_b32_e32 v50, 1
	s_and_saveexec_b64 s[34:35], s[4:5]
	s_cbranch_execz .LBB308_224
; %bb.221:                              ;   in Loop: Header=BB308_9 Depth=1
	v_and_b32_e32 v52, 0x7f, v8
	v_cmp_ne_u32_e64 s[4:5], s42, v52
	v_mov_b32_e32 v50, 0x7f800001
	s_and_saveexec_b64 s[36:37], s[4:5]
	s_cbranch_execz .LBB308_223
; %bb.222:                              ;   in Loop: Header=BB308_9 Depth=1
	v_and_b32_e32 v9, 7, v8
	v_lshrrev_b32_e32 v50, 3, v52
	v_cmp_gt_u32_e64 s[4:5], 8, v52
	v_ffbh_u32_e32 v52, v9
	v_min_u32_e32 v54, 32, v52
	v_subrev_u32_e32 v52, 28, v54
	v_lshlrev_b64 v[52:53], v52, v[8:9]
	v_sub_u32_e32 v8, 29, v54
	v_and_b32_e32 v52, 7, v52
	v_cndmask_b32_e64 v8, v50, v8, s[4:5]
	v_cndmask_b32_e64 v9, v9, v52, s[4:5]
	v_lshlrev_b32_e32 v7, 16, v7
	v_lshlrev_b32_e32 v9, 20, v9
	v_and_b32_e32 v7, 0x80000000, v7
	v_lshl_add_u32 v8, v8, 23, v13
	v_or3_b32 v50, v7, v8, v9
.LBB308_223:                            ;   in Loop: Header=BB308_9 Depth=1
	s_or_b64 exec, exec, s[36:37]
.LBB308_224:                            ;   in Loop: Header=BB308_9 Depth=1
	s_or_b64 exec, exec, s[34:35]
.LBB308_225:                            ;   in Loop: Header=BB308_9 Depth=1
	s_or_b64 exec, exec, s[16:17]
	global_load_ushort v8, v[5:6], off offset:2304
	s_waitcnt vmcnt(0)
	v_and_b32_e32 v7, 0xffff, v8
	v_cmp_ne_u16_sdwa s[4:5], v8, v0 src0_sel:BYTE_0 src1_sel:DWORD
	s_and_saveexec_b64 s[16:17], s[4:5]
	s_cbranch_execz .LBB308_231
; %bb.226:                              ;   in Loop: Header=BB308_9 Depth=1
	v_cmp_ne_u16_sdwa s[4:5], v7, s41 src0_sel:BYTE_0 src1_sel:DWORD
	v_bfrev_b32_e32 v51, 1
	s_and_saveexec_b64 s[34:35], s[4:5]
	s_cbranch_execz .LBB308_230
; %bb.227:                              ;   in Loop: Header=BB308_9 Depth=1
	v_and_b32_e32 v8, 0x7f, v7
	v_cmp_ne_u32_e64 s[4:5], s42, v8
	v_mov_b32_e32 v51, 0x7f800001
	s_and_saveexec_b64 s[36:37], s[4:5]
	s_cbranch_execz .LBB308_229
; %bb.228:                              ;   in Loop: Header=BB308_9 Depth=1
	v_and_b32_e32 v9, 7, v7
	v_lshrrev_b32_e32 v53, 3, v8
	v_cmp_gt_u32_e64 s[4:5], 8, v8
	v_ffbh_u32_e32 v8, v9
	v_min_u32_e32 v8, 32, v8
	v_subrev_u32_e32 v51, 28, v8
	v_lshlrev_b64 v[51:52], v51, v[7:8]
	v_sub_u32_e32 v8, 29, v8
	v_and_b32_e32 v51, 7, v51
	v_cndmask_b32_e64 v8, v53, v8, s[4:5]
	v_cndmask_b32_e64 v9, v9, v51, s[4:5]
	v_lshlrev_b32_e32 v51, 24, v7
	v_lshlrev_b32_e32 v9, 20, v9
	v_and_b32_e32 v51, 0x80000000, v51
	v_lshl_add_u32 v8, v8, 23, v13
	v_or3_b32 v51, v51, v8, v9
.LBB308_229:                            ;   in Loop: Header=BB308_9 Depth=1
	s_or_b64 exec, exec, s[36:37]
.LBB308_230:                            ;   in Loop: Header=BB308_9 Depth=1
	s_or_b64 exec, exec, s[34:35]
.LBB308_231:                            ;   in Loop: Header=BB308_9 Depth=1
	s_or_b64 exec, exec, s[16:17]
	v_lshrrev_b16_e32 v8, 8, v7
	v_cmp_ne_u16_e64 s[4:5], 0, v8
	v_mov_b32_e32 v53, 0
	v_mov_b32_e32 v52, 0
	s_and_saveexec_b64 s[16:17], s[4:5]
	s_cbranch_execz .LBB308_237
; %bb.232:                              ;   in Loop: Header=BB308_9 Depth=1
	v_cmp_ne_u16_e64 s[4:5], s41, v8
	v_bfrev_b32_e32 v52, 1
	s_and_saveexec_b64 s[34:35], s[4:5]
	s_cbranch_execz .LBB308_236
; %bb.233:                              ;   in Loop: Header=BB308_9 Depth=1
	v_and_b32_e32 v54, 0x7f, v8
	v_cmp_ne_u32_e64 s[4:5], s42, v54
	v_mov_b32_e32 v52, 0x7f800001
	s_and_saveexec_b64 s[36:37], s[4:5]
	s_cbranch_execz .LBB308_235
; %bb.234:                              ;   in Loop: Header=BB308_9 Depth=1
	v_and_b32_e32 v9, 7, v8
	v_lshrrev_b32_e32 v52, 3, v54
	v_cmp_gt_u32_e64 s[4:5], 8, v54
	v_ffbh_u32_e32 v54, v9
	v_min_u32_e32 v56, 32, v54
	v_subrev_u32_e32 v54, 28, v56
	v_lshlrev_b64 v[54:55], v54, v[8:9]
	v_sub_u32_e32 v8, 29, v56
	v_and_b32_e32 v54, 7, v54
	v_cndmask_b32_e64 v8, v52, v8, s[4:5]
	v_cndmask_b32_e64 v9, v9, v54, s[4:5]
	v_lshlrev_b32_e32 v7, 16, v7
	v_lshlrev_b32_e32 v9, 20, v9
	v_and_b32_e32 v7, 0x80000000, v7
	v_lshl_add_u32 v8, v8, 23, v13
	v_or3_b32 v52, v7, v8, v9
.LBB308_235:                            ;   in Loop: Header=BB308_9 Depth=1
	s_or_b64 exec, exec, s[36:37]
.LBB308_236:                            ;   in Loop: Header=BB308_9 Depth=1
	s_or_b64 exec, exec, s[34:35]
.LBB308_237:                            ;   in Loop: Header=BB308_9 Depth=1
	s_or_b64 exec, exec, s[16:17]
	global_load_ushort v8, v[5:6], off offset:2312
	s_waitcnt vmcnt(0)
	v_and_b32_e32 v7, 0xffff, v8
	v_cmp_ne_u16_sdwa s[4:5], v8, v0 src0_sel:BYTE_0 src1_sel:DWORD
	s_and_saveexec_b64 s[16:17], s[4:5]
	s_cbranch_execz .LBB308_243
; %bb.238:                              ;   in Loop: Header=BB308_9 Depth=1
	v_cmp_ne_u16_sdwa s[4:5], v7, s41 src0_sel:BYTE_0 src1_sel:DWORD
	v_bfrev_b32_e32 v53, 1
	s_and_saveexec_b64 s[34:35], s[4:5]
	s_cbranch_execz .LBB308_242
; %bb.239:                              ;   in Loop: Header=BB308_9 Depth=1
	v_and_b32_e32 v8, 0x7f, v7
	v_cmp_ne_u32_e64 s[4:5], s42, v8
	v_mov_b32_e32 v53, 0x7f800001
	s_and_saveexec_b64 s[36:37], s[4:5]
	s_cbranch_execz .LBB308_241
; %bb.240:                              ;   in Loop: Header=BB308_9 Depth=1
	v_and_b32_e32 v9, 7, v7
	v_lshrrev_b32_e32 v55, 3, v8
	v_cmp_gt_u32_e64 s[4:5], 8, v8
	v_ffbh_u32_e32 v8, v9
	v_min_u32_e32 v8, 32, v8
	v_subrev_u32_e32 v53, 28, v8
	v_lshlrev_b64 v[53:54], v53, v[7:8]
	v_sub_u32_e32 v8, 29, v8
	v_and_b32_e32 v53, 7, v53
	v_cndmask_b32_e64 v8, v55, v8, s[4:5]
	v_cndmask_b32_e64 v9, v9, v53, s[4:5]
	v_lshlrev_b32_e32 v53, 24, v7
	v_lshlrev_b32_e32 v9, 20, v9
	v_and_b32_e32 v53, 0x80000000, v53
	v_lshl_add_u32 v8, v8, 23, v13
	v_or3_b32 v53, v53, v8, v9
.LBB308_241:                            ;   in Loop: Header=BB308_9 Depth=1
	s_or_b64 exec, exec, s[36:37]
.LBB308_242:                            ;   in Loop: Header=BB308_9 Depth=1
	s_or_b64 exec, exec, s[34:35]
.LBB308_243:                            ;   in Loop: Header=BB308_9 Depth=1
	s_or_b64 exec, exec, s[16:17]
	v_lshrrev_b16_e32 v8, 8, v7
	v_cmp_ne_u16_e64 s[4:5], 0, v8
	v_mov_b32_e32 v55, 0
	v_mov_b32_e32 v54, 0
	s_and_saveexec_b64 s[16:17], s[4:5]
	s_cbranch_execz .LBB308_249
; %bb.244:                              ;   in Loop: Header=BB308_9 Depth=1
	v_cmp_ne_u16_e64 s[4:5], s41, v8
	v_bfrev_b32_e32 v54, 1
	s_and_saveexec_b64 s[34:35], s[4:5]
	s_cbranch_execz .LBB308_248
; %bb.245:                              ;   in Loop: Header=BB308_9 Depth=1
	v_and_b32_e32 v56, 0x7f, v8
	v_cmp_ne_u32_e64 s[4:5], s42, v56
	v_mov_b32_e32 v54, 0x7f800001
	s_and_saveexec_b64 s[36:37], s[4:5]
	s_cbranch_execz .LBB308_247
; %bb.246:                              ;   in Loop: Header=BB308_9 Depth=1
	v_and_b32_e32 v9, 7, v8
	v_lshrrev_b32_e32 v54, 3, v56
	v_cmp_gt_u32_e64 s[4:5], 8, v56
	v_ffbh_u32_e32 v56, v9
	v_min_u32_e32 v58, 32, v56
	v_subrev_u32_e32 v56, 28, v58
	v_lshlrev_b64 v[56:57], v56, v[8:9]
	v_sub_u32_e32 v8, 29, v58
	v_and_b32_e32 v56, 7, v56
	v_cndmask_b32_e64 v8, v54, v8, s[4:5]
	v_cndmask_b32_e64 v9, v9, v56, s[4:5]
	v_lshlrev_b32_e32 v7, 16, v7
	v_lshlrev_b32_e32 v9, 20, v9
	v_and_b32_e32 v7, 0x80000000, v7
	v_lshl_add_u32 v8, v8, 23, v13
	v_or3_b32 v54, v7, v8, v9
.LBB308_247:                            ;   in Loop: Header=BB308_9 Depth=1
	s_or_b64 exec, exec, s[36:37]
.LBB308_248:                            ;   in Loop: Header=BB308_9 Depth=1
	s_or_b64 exec, exec, s[34:35]
.LBB308_249:                            ;   in Loop: Header=BB308_9 Depth=1
	s_or_b64 exec, exec, s[16:17]
	global_load_ushort v8, v[5:6], off offset:2560
	s_waitcnt vmcnt(0)
	v_and_b32_e32 v7, 0xffff, v8
	v_cmp_ne_u16_sdwa s[4:5], v8, v0 src0_sel:BYTE_0 src1_sel:DWORD
	s_and_saveexec_b64 s[16:17], s[4:5]
	s_cbranch_execz .LBB308_255
; %bb.250:                              ;   in Loop: Header=BB308_9 Depth=1
	v_cmp_ne_u16_sdwa s[4:5], v7, s41 src0_sel:BYTE_0 src1_sel:DWORD
	v_bfrev_b32_e32 v55, 1
	s_and_saveexec_b64 s[34:35], s[4:5]
	s_cbranch_execz .LBB308_254
; %bb.251:                              ;   in Loop: Header=BB308_9 Depth=1
	v_and_b32_e32 v8, 0x7f, v7
	v_cmp_ne_u32_e64 s[4:5], s42, v8
	v_mov_b32_e32 v55, 0x7f800001
	s_and_saveexec_b64 s[36:37], s[4:5]
	s_cbranch_execz .LBB308_253
; %bb.252:                              ;   in Loop: Header=BB308_9 Depth=1
	v_and_b32_e32 v9, 7, v7
	v_lshrrev_b32_e32 v57, 3, v8
	v_cmp_gt_u32_e64 s[4:5], 8, v8
	v_ffbh_u32_e32 v8, v9
	v_min_u32_e32 v8, 32, v8
	v_subrev_u32_e32 v55, 28, v8
	v_lshlrev_b64 v[55:56], v55, v[7:8]
	v_sub_u32_e32 v8, 29, v8
	v_and_b32_e32 v55, 7, v55
	v_cndmask_b32_e64 v8, v57, v8, s[4:5]
	v_cndmask_b32_e64 v9, v9, v55, s[4:5]
	v_lshlrev_b32_e32 v55, 24, v7
	v_lshlrev_b32_e32 v9, 20, v9
	v_and_b32_e32 v55, 0x80000000, v55
	v_lshl_add_u32 v8, v8, 23, v13
	v_or3_b32 v55, v55, v8, v9
.LBB308_253:                            ;   in Loop: Header=BB308_9 Depth=1
	s_or_b64 exec, exec, s[36:37]
.LBB308_254:                            ;   in Loop: Header=BB308_9 Depth=1
	s_or_b64 exec, exec, s[34:35]
.LBB308_255:                            ;   in Loop: Header=BB308_9 Depth=1
	s_or_b64 exec, exec, s[16:17]
	v_lshrrev_b16_e32 v8, 8, v7
	v_cmp_ne_u16_e64 s[4:5], 0, v8
	v_mov_b32_e32 v56, 0
	v_mov_b32_e32 v57, 0
	s_and_saveexec_b64 s[16:17], s[4:5]
	s_cbranch_execz .LBB308_261
; %bb.256:                              ;   in Loop: Header=BB308_9 Depth=1
	v_cmp_ne_u16_e64 s[4:5], s41, v8
	v_bfrev_b32_e32 v57, 1
	s_and_saveexec_b64 s[34:35], s[4:5]
	s_cbranch_execz .LBB308_260
; %bb.257:                              ;   in Loop: Header=BB308_9 Depth=1
	v_and_b32_e32 v58, 0x7f, v8
	v_cmp_ne_u32_e64 s[4:5], s42, v58
	v_mov_b32_e32 v57, 0x7f800001
	s_and_saveexec_b64 s[36:37], s[4:5]
	s_cbranch_execz .LBB308_259
; %bb.258:                              ;   in Loop: Header=BB308_9 Depth=1
	v_and_b32_e32 v9, 7, v8
	v_ffbh_u32_e32 v57, v9
	v_min_u32_e32 v60, 32, v57
	v_subrev_u32_e32 v57, 28, v60
	v_lshrrev_b32_e32 v59, 3, v58
	v_cmp_gt_u32_e64 s[4:5], 8, v58
	v_lshlrev_b64 v[57:58], v57, v[8:9]
	v_sub_u32_e32 v8, 29, v60
	v_and_b32_e32 v57, 7, v57
	v_cndmask_b32_e64 v8, v59, v8, s[4:5]
	v_cndmask_b32_e64 v9, v9, v57, s[4:5]
	v_lshlrev_b32_e32 v7, 16, v7
	v_lshlrev_b32_e32 v9, 20, v9
	v_and_b32_e32 v7, 0x80000000, v7
	v_lshl_add_u32 v8, v8, 23, v13
	v_or3_b32 v57, v7, v8, v9
.LBB308_259:                            ;   in Loop: Header=BB308_9 Depth=1
	s_or_b64 exec, exec, s[36:37]
.LBB308_260:                            ;   in Loop: Header=BB308_9 Depth=1
	s_or_b64 exec, exec, s[34:35]
.LBB308_261:                            ;   in Loop: Header=BB308_9 Depth=1
	s_or_b64 exec, exec, s[16:17]
	global_load_ushort v8, v[5:6], off offset:2568
	s_waitcnt vmcnt(0)
	v_and_b32_e32 v7, 0xffff, v8
	v_cmp_ne_u16_sdwa s[4:5], v8, v0 src0_sel:BYTE_0 src1_sel:DWORD
	s_and_saveexec_b64 s[16:17], s[4:5]
	s_cbranch_execz .LBB308_267
; %bb.262:                              ;   in Loop: Header=BB308_9 Depth=1
	v_cmp_ne_u16_sdwa s[4:5], v7, s41 src0_sel:BYTE_0 src1_sel:DWORD
	v_bfrev_b32_e32 v56, 1
	s_and_saveexec_b64 s[34:35], s[4:5]
	s_cbranch_execz .LBB308_266
; %bb.263:                              ;   in Loop: Header=BB308_9 Depth=1
	v_and_b32_e32 v8, 0x7f, v7
	v_cmp_ne_u32_e64 s[4:5], s42, v8
	v_mov_b32_e32 v56, 0x7f800001
	s_and_saveexec_b64 s[36:37], s[4:5]
	s_cbranch_execz .LBB308_265
; %bb.264:                              ;   in Loop: Header=BB308_9 Depth=1
	v_and_b32_e32 v9, 7, v7
	v_lshrrev_b32_e32 v56, 3, v8
	v_cmp_gt_u32_e64 s[4:5], 8, v8
	v_ffbh_u32_e32 v8, v9
	v_min_u32_e32 v8, 32, v8
	v_subrev_u32_e32 v58, 28, v8
	v_lshlrev_b64 v[58:59], v58, v[7:8]
	v_sub_u32_e32 v8, 29, v8
	v_and_b32_e32 v58, 7, v58
	v_cndmask_b32_e64 v8, v56, v8, s[4:5]
	v_cndmask_b32_e64 v9, v9, v58, s[4:5]
	v_lshlrev_b32_e32 v56, 24, v7
	v_lshlrev_b32_e32 v9, 20, v9
	v_and_b32_e32 v56, 0x80000000, v56
	v_lshl_add_u32 v8, v8, 23, v13
	v_or3_b32 v56, v56, v8, v9
.LBB308_265:                            ;   in Loop: Header=BB308_9 Depth=1
	s_or_b64 exec, exec, s[36:37]
.LBB308_266:                            ;   in Loop: Header=BB308_9 Depth=1
	s_or_b64 exec, exec, s[34:35]
.LBB308_267:                            ;   in Loop: Header=BB308_9 Depth=1
	s_or_b64 exec, exec, s[16:17]
	v_lshrrev_b16_e32 v8, 8, v7
	v_cmp_ne_u16_e64 s[4:5], 0, v8
	v_mov_b32_e32 v60, 0
	v_mov_b32_e32 v59, 0
	s_and_saveexec_b64 s[16:17], s[4:5]
	s_cbranch_execz .LBB308_273
; %bb.268:                              ;   in Loop: Header=BB308_9 Depth=1
	v_cmp_ne_u16_e64 s[4:5], s41, v8
	v_bfrev_b32_e32 v59, 1
	s_and_saveexec_b64 s[34:35], s[4:5]
	s_cbranch_execz .LBB308_272
; %bb.269:                              ;   in Loop: Header=BB308_9 Depth=1
	v_and_b32_e32 v58, 0x7f, v8
	v_cmp_ne_u32_e64 s[4:5], s42, v58
	v_mov_b32_e32 v59, 0x7f800001
	s_and_saveexec_b64 s[36:37], s[4:5]
	s_cbranch_execz .LBB308_271
; %bb.270:                              ;   in Loop: Header=BB308_9 Depth=1
	v_and_b32_e32 v9, 7, v8
	v_lshrrev_b32_e32 v61, 3, v58
	v_cmp_gt_u32_e64 s[4:5], 8, v58
	v_ffbh_u32_e32 v58, v9
	v_min_u32_e32 v63, 32, v58
	v_subrev_u32_e32 v58, 28, v63
	v_lshlrev_b64 v[58:59], v58, v[8:9]
	v_sub_u32_e32 v8, 29, v63
	v_and_b32_e32 v58, 7, v58
	v_cndmask_b32_e64 v8, v61, v8, s[4:5]
	v_cndmask_b32_e64 v9, v9, v58, s[4:5]
	v_lshlrev_b32_e32 v7, 16, v7
	v_lshlrev_b32_e32 v9, 20, v9
	v_and_b32_e32 v7, 0x80000000, v7
	v_lshl_add_u32 v8, v8, 23, v13
	v_or3_b32 v59, v7, v8, v9
.LBB308_271:                            ;   in Loop: Header=BB308_9 Depth=1
	s_or_b64 exec, exec, s[36:37]
.LBB308_272:                            ;   in Loop: Header=BB308_9 Depth=1
	s_or_b64 exec, exec, s[34:35]
.LBB308_273:                            ;   in Loop: Header=BB308_9 Depth=1
	s_or_b64 exec, exec, s[16:17]
	global_load_ushort v8, v[5:6], off offset:2816
	s_waitcnt vmcnt(0)
	v_and_b32_e32 v7, 0xffff, v8
	v_cmp_ne_u16_sdwa s[4:5], v8, v0 src0_sel:BYTE_0 src1_sel:DWORD
	s_and_saveexec_b64 s[16:17], s[4:5]
	s_cbranch_execz .LBB308_279
; %bb.274:                              ;   in Loop: Header=BB308_9 Depth=1
	v_cmp_ne_u16_sdwa s[4:5], v7, s41 src0_sel:BYTE_0 src1_sel:DWORD
	v_bfrev_b32_e32 v60, 1
	s_and_saveexec_b64 s[34:35], s[4:5]
	s_cbranch_execz .LBB308_278
; %bb.275:                              ;   in Loop: Header=BB308_9 Depth=1
	v_and_b32_e32 v8, 0x7f, v7
	v_cmp_ne_u32_e64 s[4:5], s42, v8
	v_mov_b32_e32 v60, 0x7f800001
	s_and_saveexec_b64 s[36:37], s[4:5]
	s_cbranch_execz .LBB308_277
; %bb.276:                              ;   in Loop: Header=BB308_9 Depth=1
	v_and_b32_e32 v9, 7, v7
	v_lshrrev_b32_e32 v58, 3, v8
	v_cmp_gt_u32_e64 s[4:5], 8, v8
	v_ffbh_u32_e32 v8, v9
	v_min_u32_e32 v8, 32, v8
	v_subrev_u32_e32 v60, 28, v8
	v_lshlrev_b64 v[60:61], v60, v[7:8]
	v_sub_u32_e32 v8, 29, v8
	v_and_b32_e32 v60, 7, v60
	v_cndmask_b32_e64 v8, v58, v8, s[4:5]
	v_cndmask_b32_e64 v9, v9, v60, s[4:5]
	v_lshlrev_b32_e32 v58, 24, v7
	v_lshlrev_b32_e32 v9, 20, v9
	v_and_b32_e32 v58, 0x80000000, v58
	v_lshl_add_u32 v8, v8, 23, v13
	v_or3_b32 v60, v58, v8, v9
.LBB308_277:                            ;   in Loop: Header=BB308_9 Depth=1
	s_or_b64 exec, exec, s[36:37]
.LBB308_278:                            ;   in Loop: Header=BB308_9 Depth=1
	s_or_b64 exec, exec, s[34:35]
.LBB308_279:                            ;   in Loop: Header=BB308_9 Depth=1
	s_or_b64 exec, exec, s[16:17]
	v_lshrrev_b16_e32 v8, 8, v7
	v_cmp_ne_u16_e64 s[4:5], 0, v8
	v_mov_b32_e32 v63, 0
	v_mov_b32_e32 v61, 0
	s_and_saveexec_b64 s[16:17], s[4:5]
	s_cbranch_execz .LBB308_285
; %bb.280:                              ;   in Loop: Header=BB308_9 Depth=1
	v_cmp_ne_u16_e64 s[4:5], s41, v8
	v_bfrev_b32_e32 v61, 1
	s_and_saveexec_b64 s[34:35], s[4:5]
	s_cbranch_execz .LBB308_284
; %bb.281:                              ;   in Loop: Header=BB308_9 Depth=1
	v_and_b32_e32 v58, 0x7f, v8
	v_cmp_ne_u32_e64 s[4:5], s42, v58
	v_mov_b32_e32 v61, 0x7f800001
	s_and_saveexec_b64 s[36:37], s[4:5]
	s_cbranch_execz .LBB308_283
; %bb.282:                              ;   in Loop: Header=BB308_9 Depth=1
	v_and_b32_e32 v61, 7, v8
	v_ffbh_u32_e32 v2, v61
	v_min_u32_e32 v2, 32, v2
	v_subrev_u32_e32 v9, 28, v2
	v_lshlrev_b64 v[8:9], v9, v[8:9]
	v_lshrrev_b32_e32 v1, 3, v58
	v_cmp_gt_u32_e64 s[4:5], 8, v58
	v_sub_u32_e32 v2, 29, v2
	v_and_b32_e32 v8, 7, v8
	v_cndmask_b32_e64 v1, v1, v2, s[4:5]
	v_cndmask_b32_e64 v2, v61, v8, s[4:5]
	v_lshlrev_b32_e32 v7, 16, v7
	v_lshlrev_b32_e32 v2, 20, v2
	v_and_b32_e32 v7, 0x80000000, v7
	v_lshl_add_u32 v1, v1, 23, v13
	v_or3_b32 v61, v7, v1, v2
.LBB308_283:                            ;   in Loop: Header=BB308_9 Depth=1
	s_or_b64 exec, exec, s[36:37]
.LBB308_284:                            ;   in Loop: Header=BB308_9 Depth=1
	s_or_b64 exec, exec, s[34:35]
.LBB308_285:                            ;   in Loop: Header=BB308_9 Depth=1
	s_or_b64 exec, exec, s[16:17]
	global_load_ushort v1, v[5:6], off offset:2824
	s_waitcnt vmcnt(0)
	v_and_b32_e32 v5, 0xffff, v1
	v_cmp_ne_u16_sdwa s[4:5], v1, v0 src0_sel:BYTE_0 src1_sel:DWORD
	s_and_saveexec_b64 s[16:17], s[4:5]
	s_cbranch_execz .LBB308_291
; %bb.286:                              ;   in Loop: Header=BB308_9 Depth=1
	v_cmp_ne_u16_sdwa s[4:5], v5, s41 src0_sel:BYTE_0 src1_sel:DWORD
	v_bfrev_b32_e32 v63, 1
	s_and_saveexec_b64 s[34:35], s[4:5]
	s_cbranch_execz .LBB308_290
; %bb.287:                              ;   in Loop: Header=BB308_9 Depth=1
	v_and_b32_e32 v6, 0x7f, v5
	v_cmp_ne_u32_e64 s[4:5], s42, v6
	v_mov_b32_e32 v63, 0x7f800001
	s_and_saveexec_b64 s[36:37], s[4:5]
	s_cbranch_execz .LBB308_289
; %bb.288:                              ;   in Loop: Header=BB308_9 Depth=1
	v_and_b32_e32 v1, 7, v5
	v_lshrrev_b32_e32 v2, 3, v6
	v_cmp_gt_u32_e64 s[4:5], 8, v6
	v_ffbh_u32_e32 v6, v1
	v_min_u32_e32 v8, 32, v6
	v_subrev_u32_e32 v6, 28, v8
	v_lshlrev_b64 v[6:7], v6, v[5:6]
	v_sub_u32_e32 v7, 29, v8
	v_and_b32_e32 v6, 7, v6
	v_cndmask_b32_e64 v2, v2, v7, s[4:5]
	v_cndmask_b32_e64 v1, v1, v6, s[4:5]
	v_lshlrev_b32_e32 v6, 24, v5
	v_lshlrev_b32_e32 v1, 20, v1
	v_and_b32_e32 v6, 0x80000000, v6
	v_lshl_add_u32 v2, v2, 23, v13
	v_or3_b32 v63, v6, v2, v1
.LBB308_289:                            ;   in Loop: Header=BB308_9 Depth=1
	s_or_b64 exec, exec, s[36:37]
.LBB308_290:                            ;   in Loop: Header=BB308_9 Depth=1
	s_or_b64 exec, exec, s[34:35]
.LBB308_291:                            ;   in Loop: Header=BB308_9 Depth=1
	s_or_b64 exec, exec, s[16:17]
	v_lshrrev_b16_e32 v6, 8, v5
	v_cmp_ne_u16_e64 s[4:5], 0, v6
	v_mov_b32_e32 v58, 0
	s_and_saveexec_b64 s[16:17], s[4:5]
	s_cbranch_execz .LBB308_297
; %bb.292:                              ;   in Loop: Header=BB308_9 Depth=1
	v_cmp_ne_u16_e64 s[4:5], s41, v6
	v_bfrev_b32_e32 v58, 1
	s_and_saveexec_b64 s[34:35], s[4:5]
	s_cbranch_execz .LBB308_296
; %bb.293:                              ;   in Loop: Header=BB308_9 Depth=1
	v_and_b32_e32 v7, 0x7f, v6
	v_cmp_ne_u32_e64 s[4:5], s42, v7
	v_mov_b32_e32 v58, 0x7f800001
	s_and_saveexec_b64 s[36:37], s[4:5]
	s_cbranch_execz .LBB308_295
; %bb.294:                              ;   in Loop: Header=BB308_9 Depth=1
	v_and_b32_e32 v1, 7, v6
	v_lshrrev_b32_e32 v2, 3, v7
	v_cmp_gt_u32_e64 s[4:5], 8, v7
	v_ffbh_u32_e32 v7, v1
	v_min_u32_e32 v8, 32, v7
	v_subrev_u32_e32 v7, 28, v8
	v_lshlrev_b64 v[6:7], v7, v[6:7]
	v_sub_u32_e32 v7, 29, v8
	v_and_b32_e32 v6, 7, v6
	v_cndmask_b32_e64 v2, v2, v7, s[4:5]
	v_cndmask_b32_e64 v1, v1, v6, s[4:5]
	v_lshlrev_b32_e32 v5, 16, v5
	v_lshlrev_b32_e32 v1, 20, v1
	v_and_b32_e32 v5, 0x80000000, v5
	v_lshl_add_u32 v2, v2, 23, v13
	v_or3_b32 v58, v5, v2, v1
.LBB308_295:                            ;   in Loop: Header=BB308_9 Depth=1
	s_or_b64 exec, exec, s[36:37]
.LBB308_296:                            ;   in Loop: Header=BB308_9 Depth=1
	s_or_b64 exec, exec, s[34:35]
.LBB308_297:                            ;   in Loop: Header=BB308_9 Depth=1
	s_or_b64 exec, exec, s[16:17]
	s_waitcnt lgkmcnt(0)
	v_mul_f32_e32 v1, s40, v63
	v_bfe_u32 v2, v1, 16, 1
	v_add3_u32 v2, v2, v1, s43
	v_or_b32_e32 v5, 0x400000, v1
	v_cmp_u_f32_e64 s[4:5], v1, v1
	v_mul_f32_e32 v1, s40, v61
	v_cndmask_b32_e64 v5, v2, v5, s[4:5]
	v_bfe_u32 v2, v1, 16, 1
	v_add3_u32 v2, v2, v1, s43
	v_or_b32_e32 v6, 0x400000, v1
	v_cmp_u_f32_e64 s[4:5], v1, v1
	v_mul_f32_e32 v1, s40, v60
	v_cndmask_b32_e64 v6, v2, v6, s[4:5]
	;; [unrolled: 6-line block ×36, first 2 shown]
	v_bfe_u32 v2, v1, 16, 1
	v_add3_u32 v2, v2, v1, s43
	v_or_b32_e32 v9, 0x400000, v1
	v_cmp_u_f32_e64 s[4:5], v1, v1
	v_cndmask_b32_e64 v1, v2, v9, s[4:5]
	v_mul_f32_e32 v2, s40, v24
	v_bfe_u32 v9, v2, 16, 1
	v_add3_u32 v9, v9, v2, s43
	v_or_b32_e32 v24, 0x400000, v2
	v_cmp_u_f32_e64 s[4:5], v2, v2
	v_cndmask_b32_e64 v2, v9, v24, s[4:5]
	v_mul_f32_e32 v9, s40, v23
	v_bfe_u32 v23, v9, 16, 1
	v_add3_u32 v23, v23, v9, s43
	v_or_b32_e32 v24, 0x400000, v9
	v_cmp_u_f32_e64 s[4:5], v9, v9
	v_mul_f32_e32 v22, s40, v22
	v_cndmask_b32_e64 v9, v23, v24, s[4:5]
	v_bfe_u32 v23, v22, 16, 1
	v_add3_u32 v23, v23, v22, s43
	v_or_b32_e32 v24, 0x400000, v22
	v_cmp_u_f32_e64 s[4:5], v22, v22
	v_mul_f32_e32 v14, s40, v14
	v_cndmask_b32_e64 v22, v23, v24, s[4:5]
	v_bfe_u32 v23, v14, 16, 1
	v_add3_u32 v23, v23, v14, s43
	v_or_b32_e32 v24, 0x400000, v14
	v_cmp_u_f32_e64 s[4:5], v14, v14
	v_mul_f32_e32 v14, s40, v19
	v_bfe_u32 v19, v14, 16, 1
	v_cndmask_b32_e64 v23, v23, v24, s[4:5]
	v_add3_u32 v19, v19, v14, s43
	v_or_b32_e32 v24, 0x400000, v14
	v_cmp_u_f32_e64 s[4:5], v14, v14
	v_mul_f32_e32 v14, s40, v18
	v_bfe_u32 v18, v14, 16, 1
	v_cndmask_b32_e64 v19, v19, v24, s[4:5]
	;; [unrolled: 6-line block ×4, first 2 shown]
	v_add3_u32 v16, v16, v14, s43
	v_or_b32_e32 v24, 0x400000, v14
	v_cmp_u_f32_e64 s[4:5], v14, v14
	v_mul_f32_e32 v14, s40, v15
	v_bfe_u32 v15, v14, 16, 1
	v_mul_f32_e32 v10, s40, v10
	v_cndmask_b32_e64 v16, v16, v24, s[4:5]
	v_add3_u32 v15, v15, v14, s43
	v_or_b32_e32 v24, 0x400000, v14
	v_cmp_u_f32_e64 s[4:5], v14, v14
	v_bfe_u32 v14, v10, 16, 1
	v_cndmask_b32_e64 v15, v15, v24, s[4:5]
	v_add3_u32 v14, v14, v10, s43
	v_or_b32_e32 v24, 0x400000, v10
	v_cmp_u_f32_e64 s[4:5], v10, v10
	v_cndmask_b32_e64 v10, v14, v24, s[4:5]
	v_mul_f32_e32 v14, s40, v58
	v_bfe_u32 v24, v14, 16, 1
	v_add3_u32 v24, v24, v14, s43
	v_or_b32_e32 v25, 0x400000, v14
	v_cmp_u_f32_e64 s[4:5], v14, v14
	v_cndmask_b32_e64 v14, v24, v25, s[4:5]
	v_and_b32_e32 v24, 0xffff0000, v10
	v_and_b32_e32 v10, 0xffff0000, v16
	buffer_load_dword v16, off, s[44:47], 0 offset:12 ; 4-byte Folded Reload
	v_and_b32_e32 v9, 0xffff0000, v9
	v_and_b32_e32 v2, 0xffff0000, v2
	;; [unrolled: 1-line block ×3, first 2 shown]
	s_waitcnt vmcnt(0)
	v_mul_f32_e32 v10, v16, v10
	buffer_load_dword v16, off, s[44:47], 0 offset:4 ; 4-byte Folded Reload
	s_waitcnt vmcnt(0)
	v_fmac_f32_e32 v10, v16, v24
	v_and_b32_e32 v16, 0xffff0000, v15
	v_and_b32_e32 v15, 0xffff0000, v17
	buffer_load_dword v17, off, s[44:47], 0 offset:16 ; 4-byte Folded Reload
	s_waitcnt vmcnt(0)
	v_mul_f32_e32 v15, v17, v15
	buffer_load_dword v17, off, s[44:47], 0 offset:8 ; 4-byte Folded Reload
	s_waitcnt vmcnt(0)
	v_fmac_f32_e32 v15, v17, v16
	buffer_load_dword v17, off, s[44:47], 0 offset:20 ; 4-byte Folded Reload
	v_and_b32_e32 v16, 0xffff0000, v18
	s_waitcnt vmcnt(0)
	v_fmac_f32_e32 v10, v17, v16
	buffer_load_dword v17, off, s[44:47], 0 offset:24 ; 4-byte Folded Reload
	v_and_b32_e32 v16, 0xffff0000, v19
	;; [unrolled: 4-line block ×4, first 2 shown]
	s_waitcnt vmcnt(0)
	v_fmac_f32_e32 v15, v17, v16
	buffer_load_dword v16, off, s[44:47], 0 offset:36 ; 4-byte Folded Reload
	s_waitcnt vmcnt(0)
	v_fmac_f32_e32 v10, v16, v9
	buffer_load_dword v9, off, s[44:47], 0 offset:40 ; 4-byte Folded Reload
	;; [unrolled: 3-line block ×3, first 2 shown]
	buffer_load_dword v9, off, s[44:47], 0 offset:168 ; 4-byte Folded Reload
	s_waitcnt vmcnt(1)
	v_fmac_f32_e32 v10, v2, v1
	buffer_load_dword v2, off, s[44:47], 0 offset:48 ; 4-byte Folded Reload
	v_and_b32_e32 v1, 0xffff0000, v26
	s_waitcnt vmcnt(0)
	v_fmac_f32_e32 v15, v2, v1
	buffer_load_dword v2, off, s[44:47], 0 offset:56 ; 4-byte Folded Reload
	v_and_b32_e32 v1, 0xffff0000, v27
	;; [unrolled: 4-line block ×29, first 2 shown]
	s_waitcnt vmcnt(0)
	v_fmac_f32_e32 v15, v2, v1
	v_and_b32_e32 v1, 0xffff0000, v55
	v_fmac_f32_e32 v10, v9, v1
	buffer_load_dword v1, off, s[44:47], 0 offset:172 ; 4-byte Folded Reload
	v_and_b32_e32 v2, 0xffff0000, v57
	s_waitcnt vmcnt(0)
	v_fmac_f32_e32 v15, v1, v2
	v_and_b32_e32 v2, 0xffff0000, v8
	buffer_load_dword v8, off, s[44:47], 0 offset:176 ; 4-byte Folded Reload
	v_and_b32_e32 v1, 0xffff0000, v56
	s_waitcnt vmcnt(0)
	v_fmac_f32_e32 v10, v8, v1
	buffer_load_dword v1, off, s[44:47], 0 offset:180 ; 4-byte Folded Reload
	s_waitcnt vmcnt(0)
	v_fmac_f32_e32 v15, v1, v2
	v_and_b32_e32 v2, 0xffff0000, v6
	buffer_load_dword v6, off, s[44:47], 0 offset:184 ; 4-byte Folded Reload
	v_and_b32_e32 v1, 0xffff0000, v7
	s_waitcnt vmcnt(0)
	v_fmac_f32_e32 v10, v6, v1
	buffer_load_dword v1, off, s[44:47], 0 offset:188 ; 4-byte Folded Reload
	;; [unrolled: 8-line block ×3, first 2 shown]
	s_waitcnt vmcnt(0)
	v_fmac_f32_e32 v15, v1, v2
	buffer_load_dword v2, off, s[44:47], 0 offset:208 ; 4-byte Folded Reload
	v_add_f32_e32 v1, v10, v15
	s_waitcnt vmcnt(0)
	ds_bpermute_b32 v2, v2, v1
	s_waitcnt lgkmcnt(0)
	v_add_f32_e32 v5, v1, v2
	buffer_load_dword v1, off, s[44:47], 0 offset:212 ; 4-byte Folded Reload
	s_waitcnt vmcnt(0)
	ds_bpermute_b32 v6, v1, v5
	s_and_saveexec_b64 s[16:17], vcc
	s_cbranch_execz .LBB308_8
; %bb.298:                              ;   in Loop: Header=BB308_9 Depth=1
	v_add_u32_e32 v1, s38, v12
	v_cvt_f32_i32_e32 v1, v1
	s_waitcnt lgkmcnt(0)
	v_add_f32_e32 v2, v5, v6
	v_max_f32_e32 v5, v62, v62
	v_cmp_gt_i32_e64 s[4:5], s30, v12
	v_mul_f32_e32 v1, s33, v1
	v_cndmask_b32_e64 v1, 0, v1, s[2:3]
	v_fmac_f32_e32 v1, s31, v2
	v_cndmask_b32_e64 v2, 0, v1, s[4:5]
	v_max_f32_e32 v1, v5, v1
	v_cndmask_b32_e64 v62, v62, v1, s[4:5]
	ds_write_b32 v11, v2
	s_branch .LBB308_8
.LBB308_299:
	s_or_b64 exec, exec, s[14:15]
	buffer_load_dword v11, off, s[44:47], 0 offset:216 ; 4-byte Folded Reload
	buffer_load_dword v14, off, s[44:47], 0 offset:220 ; 4-byte Folded Reload
	;; [unrolled: 1-line block ×3, first 2 shown]
	s_waitcnt vmcnt(0)
	v_add_u32_e32 v15, 64, v8
.LBB308_300:
	s_or_b64 exec, exec, s[6:7]
	v_xor_b32_e32 v0, 32, v21
	v_cmp_lt_i32_e32 vcc, v0, v15
	v_cndmask_b32_e32 v0, v21, v0, vcc
	v_lshlrev_b32_e32 v0, 2, v0
	ds_bpermute_b32 v1, v0, v62
	v_xor_b32_e32 v3, 16, v21
	v_max_f32_e32 v2, v62, v62
	v_cmp_lt_i32_e32 vcc, v3, v15
	v_xor_b32_e32 v4, 8, v21
	s_waitcnt lgkmcnt(0)
	v_max_f32_e32 v1, v1, v1
	v_max_f32_e32 v2, v2, v1
	v_cndmask_b32_e32 v1, v21, v3, vcc
	v_lshlrev_b32_e32 v1, 2, v1
	ds_bpermute_b32 v3, v1, v2
	v_cmp_lt_i32_e32 vcc, v4, v15
	v_xor_b32_e32 v5, 4, v21
	v_and_b32_e32 v12, 63, v11
	s_waitcnt lgkmcnt(0)
	v_max_f32_e32 v3, v3, v3
	v_max_f32_e32 v2, v2, v3
	v_cndmask_b32_e32 v3, v21, v4, vcc
	v_lshlrev_b32_e32 v4, 2, v3
	ds_bpermute_b32 v3, v4, v2
	v_cmp_lt_i32_e32 vcc, v5, v15
	s_waitcnt lgkmcnt(0)
	v_max_f32_e32 v3, v3, v3
	v_max_f32_e32 v3, v2, v3
	v_cndmask_b32_e32 v2, v21, v5, vcc
	v_lshlrev_b32_e32 v5, 2, v2
	buffer_load_dword v2, off, s[44:47], 0  ; 4-byte Folded Reload
	ds_bpermute_b32 v6, v5, v3
	v_cmp_eq_u32_e32 vcc, 0, v12
	s_waitcnt vmcnt(0)
	v_lshlrev_b32_e32 v2, 2, v2
	s_and_saveexec_b64 s[2:3], vcc
	s_cbranch_execz .LBB308_302
; %bb.301:
	s_waitcnt lgkmcnt(0)
	v_max_f32_e32 v6, v6, v6
	v_max_f32_e32 v3, v3, v3
	;; [unrolled: 1-line block ×3, first 2 shown]
	ds_write_b32 v2, v3 offset:384
.LBB308_302:
	s_or_b64 exec, exec, s[2:3]
	v_cmp_gt_u32_e64 s[2:3], 2, v12
	s_waitcnt lgkmcnt(0)
	v_mov_b32_e32 v6, 0xff7fffff
	v_lshlrev_b32_e32 v3, 2, v12
	s_barrier
	s_and_saveexec_b64 s[4:5], s[2:3]
; %bb.303:
	ds_read_b32 v6, v3 offset:384
; %bb.304:
	s_or_b64 exec, exec, s[4:5]
	v_xor_b32_e32 v7, 1, v21
	v_cmp_lt_i32_e64 s[4:5], v7, v15
	v_cndmask_b32_e64 v7, v21, v7, s[4:5]
	v_lshlrev_b32_e32 v13, 2, v7
	s_waitcnt lgkmcnt(0)
	ds_bpermute_b32 v7, v13, v6
	v_max_f32_e32 v6, v6, v6
	s_lshl_b32 s4, s21, 4
	s_min_i32 s31, s4, s30
	v_cmp_gt_i32_e64 s[4:5], s31, v11
	s_waitcnt lgkmcnt(0)
	v_max_f32_e32 v7, v7, v7
	v_max_f32_e32 v6, v6, v7
	v_lshlrev_b32_e32 v7, 2, v8
	ds_bpermute_b32 v7, v7, v6
	v_mov_b32_e32 v6, 0
	s_and_saveexec_b64 s[14:15], s[4:5]
	s_cbranch_execz .LBB308_308
; %bb.305:
	v_mov_b32_e32 v6, 0x190
	v_lshl_add_u32 v8, v11, 2, v6
	v_mov_b32_e32 v6, 0
	s_mov_b64 s[16:17], 0
	v_mov_b32_e32 v9, v11
.LBB308_306:                            ; =>This Inner Loop Header: Depth=1
	ds_read_b32 v10, v8
	v_add_u32_e32 v9, 0x80, v9
	v_cmp_le_i32_e64 s[6:7], s31, v9
	s_or_b64 s[16:17], s[6:7], s[16:17]
	s_waitcnt lgkmcnt(0)
	v_sub_f32_e32 v10, v10, v7
	v_mul_f32_e32 v10, 0x3fb8aa3b, v10
	v_exp_f32_e32 v10, v10
	ds_write_b32 v8, v10
	v_add_f32_e32 v6, v6, v10
	v_add_u32_e32 v8, 0x200, v8
	s_andn2_b64 exec, exec, s[16:17]
	s_cbranch_execnz .LBB308_306
; %bb.307:
	s_or_b64 exec, exec, s[16:17]
.LBB308_308:
	s_or_b64 exec, exec, s[14:15]
	ds_bpermute_b32 v0, v0, v6
	s_waitcnt lgkmcnt(0)
	v_add_f32_e32 v0, v6, v0
	ds_bpermute_b32 v1, v1, v0
	s_waitcnt lgkmcnt(0)
	v_add_f32_e32 v0, v0, v1
	ds_bpermute_b32 v1, v4, v0
	v_xor_b32_e32 v4, 2, v21
	v_cmp_lt_i32_e64 s[6:7], v4, v15
	v_cndmask_b32_e64 v4, v21, v4, s[6:7]
	s_waitcnt lgkmcnt(0)
	v_add_f32_e32 v0, v0, v1
	ds_bpermute_b32 v1, v5, v0
	s_waitcnt lgkmcnt(0)
	v_add_f32_e32 v0, v0, v1
	v_lshlrev_b32_e32 v1, 2, v4
	ds_bpermute_b32 v1, v1, v0
	s_waitcnt lgkmcnt(0)
	v_add_f32_e32 v0, v0, v1
	ds_bpermute_b32 v1, v13, v0
	s_waitcnt lgkmcnt(0)
	v_add_f32_e32 v0, v0, v1
	s_and_saveexec_b64 s[6:7], vcc
; %bb.309:
	ds_write_b32 v2, v0 offset:392
; %bb.310:
	s_or_b64 exec, exec, s[6:7]
	s_waitcnt lgkmcnt(0)
	s_barrier
	s_and_saveexec_b64 s[6:7], s[2:3]
; %bb.311:
	ds_read_b32 v0, v3 offset:392
; %bb.312:
	s_or_b64 exec, exec, s[6:7]
	s_waitcnt lgkmcnt(0)
	ds_bpermute_b32 v1, v13, v0
	v_lshlrev_b32_e32 v2, 2, v21
	s_waitcnt lgkmcnt(0)
	v_add_f32_e32 v0, v0, v1
	v_and_b32_e32 v1, 0xffffff00, v2
	ds_bpermute_b32 v0, v1, v0
	s_and_saveexec_b64 s[2:3], s[4:5]
	s_cbranch_execz .LBB308_315
; %bb.313:
	s_waitcnt lgkmcnt(0)
	v_add_f32_e32 v1, 0x358637bd, v0
	v_div_scale_f32 v0, s[4:5], v1, v1, 1.0
	v_div_scale_f32 v2, vcc, 1.0, v1, 1.0
	s_mov_b64 s[4:5], 0
	v_rcp_f32_e32 v3, v0
	v_fma_f32 v4, -v0, v3, 1.0
	v_fmac_f32_e32 v3, v4, v3
	v_mul_f32_e32 v4, v2, v3
	v_fma_f32 v5, -v0, v4, v2
	v_fmac_f32_e32 v4, v5, v3
	v_fma_f32 v0, -v0, v4, v2
	v_div_fmas_f32 v2, v0, v3, v4
	v_mov_b32_e32 v0, 0x190
	v_lshl_add_u32 v0, v11, 2, v0
	v_div_fixup_f32 v1, v2, v1, 1.0
	v_mov_b32_e32 v2, v11
.LBB308_314:                            ; =>This Inner Loop Header: Depth=1
	ds_read_b32 v3, v0
	v_add_u32_e32 v2, 0x80, v2
	v_cmp_le_i32_e32 vcc, s31, v2
	s_or_b64 s[4:5], vcc, s[4:5]
	s_waitcnt lgkmcnt(0)
	v_mul_f32_e32 v3, v1, v3
	ds_write_b32 v0, v3
	v_add_u32_e32 v0, 0x200, v0
	s_andn2_b64 exec, exec, s[4:5]
	s_cbranch_execnz .LBB308_314
.LBB308_315:
	s_or_b64 exec, exec, s[2:3]
	v_mov_b32_e32 v29, 0
	v_and_b32_e32 v8, 1, v11
	v_mov_b32_e32 v28, 0
	v_mov_b32_e32 v27, 0
	;; [unrolled: 1-line block ×5, first 2 shown]
	s_waitcnt lgkmcnt(0)
	s_barrier
	s_and_saveexec_b64 s[2:3], s[0:1]
	s_cbranch_execz .LBB308_619
; %bb.316:
	s_ashr_i32 s0, s12, 31
	v_lshlrev_b32_e32 v0, 3, v11
	s_add_u32 s1, s28, s12
	v_and_b32_e32 v1, 8, v0
	s_addc_u32 s0, s29, s0
	v_and_b32_e32 v0, 0x1f8, v0
	buffer_store_dword v13, off, s[44:47], 0 offset:60 ; 4-byte Folded Spill
	buffer_store_dword v12, off, s[44:47], 0 offset:56 ; 4-byte Folded Spill
	v_mov_b32_e32 v2, s0
	v_add_co_u32_e32 v47, vcc, s1, v0
	v_addc_co_u32_e32 v48, vcc, 0, v2, vcc
	buffer_load_dword v2, off, s[44:47], 0  ; 4-byte Folded Reload
	s_load_dword s18, s[18:19], 0x0
	s_add_i32 s19, s21, -1
	s_lshl_b64 s[0:1], s[26:27], 2
	s_add_u32 s0, s24, s0
	s_addc_u32 s1, s25, s1
	s_mov_b32 s4, -1
	s_mov_b32 s31, s13
	s_mov_b32 s5, 0xffffff
	v_mov_b32_e32 v10, 0
	s_mov_b64 s[6:7], 0
	s_movk_i32 s24, 0x80
	s_movk_i32 s25, 0x7f
	;; [unrolled: 1-line block ×3, first 2 shown]
	v_mov_b32_e32 v24, 0
	v_mov_b32_e32 v25, 0
	;; [unrolled: 1-line block ×6, first 2 shown]
	buffer_store_dword v8, off, s[44:47], 0 offset:64 ; 4-byte Folded Spill
	buffer_store_dword v47, off, s[44:47], 0 offset:48 ; 4-byte Folded Spill
	s_nop 0
	buffer_store_dword v48, off, s[44:47], 0 offset:52 ; 4-byte Folded Spill
	s_waitcnt vmcnt(3)
	v_lshlrev_b32_e32 v0, 4, v2
	v_or3_b32 v30, v0, v1, 7
	v_lshlrev_b32_e32 v0, 5, v8
	v_lshl_or_b32 v0, v2, 6, v0
	v_add_u32_e32 v31, 0x190, v0
	v_and_b32_e32 v0, 60, v14
	v_mov_b32_e32 v1, s1
	v_add_co_u32_e32 v13, vcc, s0, v0
	v_addc_co_u32_e32 v14, vcc, 0, v1, vcc
	s_branch .LBB308_318
.LBB308_317:                            ;   in Loop: Header=BB308_318 Depth=1
	s_or_b64 exec, exec, s[0:1]
	v_bfe_u32 v21, v5, 16, 1
	v_add3_u32 v21, v21, v5, s26
	v_or_b32_e32 v36, 0x400000, v5
	v_cmp_u_f32_e32 vcc, v5, v5
	v_bfe_u32 v5, v6, 16, 1
	v_cndmask_b32_e32 v36, v21, v36, vcc
	v_add3_u32 v5, v5, v6, s26
	v_or_b32_e32 v21, 0x400000, v6
	v_cmp_u_f32_e32 vcc, v6, v6
	v_cndmask_b32_e32 v37, v5, v21, vcc
	v_bfe_u32 v5, v7, 16, 1
	v_add3_u32 v5, v5, v7, s26
	v_or_b32_e32 v6, 0x400000, v7
	v_cmp_u_f32_e32 vcc, v7, v7
	v_cndmask_b32_e32 v5, v5, v6, vcc
	v_bfe_u32 v6, v8, 16, 1
	;; [unrolled: 5-line block ×3, first 2 shown]
	v_add3_u32 v7, v7, v1, s26
	v_or_b32_e32 v8, 0x400000, v1
	v_cmp_u_f32_e32 vcc, v1, v1
	v_bfe_u32 v1, v2, 16, 1
	v_cndmask_b32_e32 v7, v7, v8, vcc
	v_add3_u32 v1, v1, v2, s26
	v_or_b32_e32 v8, 0x400000, v2
	v_cmp_u_f32_e32 vcc, v2, v2
	v_cndmask_b32_e32 v21, v1, v8, vcc
	v_bfe_u32 v1, v3, 16, 1
	v_add3_u32 v1, v1, v3, s26
	v_or_b32_e32 v2, 0x400000, v3
	v_cmp_u_f32_e32 vcc, v3, v3
	v_cndmask_b32_e32 v8, v1, v2, vcc
	v_bfe_u32 v1, v4, 16, 1
	v_add3_u32 v1, v1, v4, s26
	v_or_b32_e32 v2, 0x400000, v4
	v_cmp_u_f32_e32 vcc, v4, v4
	v_cndmask_b32_e32 v38, v1, v2, vcc
	v_and_b32_e32 v1, 0xffff0000, v37
	v_lshlrev_b32_e32 v2, 16, v32
	v_mul_f32_e32 v2, v1, v2
	v_bfe_u32 v3, v2, 16, 1
	v_add3_u32 v3, v3, v2, s26
	v_or_b32_e32 v4, 0x400000, v2
	v_cmp_u_f32_e32 vcc, v2, v2
	v_cndmask_b32_e32 v32, v3, v4, vcc
	v_and_b32_e32 v4, 0xffff0000, v36
	v_lshlrev_b32_e32 v2, 16, v46
	v_mul_f32_e32 v2, v4, v2
	;; [unrolled: 8-line block ×5, first 2 shown]
	v_bfe_u32 v19, v5, 16, 1
	v_add3_u32 v19, v19, v5, s26
	v_or_b32_e32 v21, 0x400000, v5
	v_cmp_u_f32_e32 vcc, v5, v5
	v_and_b32_e32 v7, 0xffff0000, v7
	v_lshlrev_b32_e32 v5, 16, v18
	v_mul_f32_e32 v5, v7, v5
	v_bfe_u32 v18, v5, 16, 1
	v_cndmask_b32_e32 v19, v19, v21, vcc
	v_add3_u32 v18, v18, v5, s26
	v_or_b32_e32 v21, 0x400000, v5
	v_cmp_u_f32_e32 vcc, v5, v5
	v_cndmask_b32_e32 v18, v18, v21, vcc
	v_and_b32_e32 v5, 0xffff0000, v38
	v_lshlrev_b32_e32 v21, 16, v44
	v_mul_f32_e32 v21, v5, v21
	v_bfe_u32 v38, v21, 16, 1
	v_add3_u32 v38, v38, v21, s26
	v_or_b32_e32 v43, 0x400000, v21
	v_cmp_u_f32_e32 vcc, v21, v21
	v_cndmask_b32_e32 v21, v38, v43, vcc
	v_and_b32_e32 v8, 0xffff0000, v8
	v_lshlrev_b32_e32 v38, 16, v42
	v_mul_f32_e32 v38, v8, v38
	v_bfe_u32 v42, v38, 16, 1
	v_and_b32_e32 v36, 0xffff0000, v36
	v_and_b32_e32 v32, 0xffff0000, v32
	v_add3_u32 v42, v42, v38, s26
	v_or_b32_e32 v43, 0x400000, v38
	v_cmp_u_f32_e32 vcc, v38, v38
	v_add_f32_e32 v32, v36, v32
	v_and_b32_e32 v36, 0xffff0000, v39
	v_and_b32_e32 v37, 0xffff0000, v37
	v_cndmask_b32_e32 v38, v42, v43, vcc
	v_add_f32_e32 v36, v36, v37
	v_and_b32_e32 v18, 0xffff0000, v18
	v_and_b32_e32 v19, 0xffff0000, v19
	v_add_f32_e32 v32, v36, v32
	v_add_f32_e32 v18, v18, v19
	v_and_b32_e32 v19, 0xffff0000, v38
	v_and_b32_e32 v21, 0xffff0000, v21
	v_add_f32_e32 v18, v18, v32
	v_add_f32_e32 v19, v19, v21
	;; [unrolled: 1-line block ×4, first 2 shown]
	v_lshlrev_b32_e32 v18, 16, v41
	v_mul_f32_e32 v18, v1, v18
	v_bfe_u32 v19, v18, 16, 1
	v_add3_u32 v19, v19, v18, s26
	v_or_b32_e32 v21, 0x400000, v18
	v_cmp_u_f32_e32 vcc, v18, v18
	v_cndmask_b32_e32 v18, v19, v21, vcc
	v_lshlrev_b32_e32 v19, 16, v40
	v_mul_f32_e32 v19, v4, v19
	v_bfe_u32 v21, v19, 16, 1
	v_lshlrev_b32_e32 v11, 16, v11
	v_add3_u32 v21, v21, v19, s26
	v_or_b32_e32 v32, 0x400000, v19
	v_cmp_u_f32_e32 vcc, v19, v19
	v_mul_f32_e32 v11, v2, v11
	v_cndmask_b32_e32 v19, v21, v32, vcc
	v_bfe_u32 v21, v11, 16, 1
	v_add3_u32 v21, v21, v11, s26
	v_or_b32_e32 v32, 0x400000, v11
	v_cmp_u_f32_e32 vcc, v11, v11
	v_cndmask_b32_e32 v11, v21, v32, vcc
	v_lshlrev_b32_e32 v21, 16, v22
	v_mul_f32_e32 v21, v6, v21
	v_bfe_u32 v22, v21, 16, 1
	v_add3_u32 v22, v22, v21, s26
	v_or_b32_e32 v32, 0x400000, v21
	v_cmp_u_f32_e32 vcc, v21, v21
	v_cndmask_b32_e32 v21, v22, v32, vcc
	v_lshlrev_b32_e32 v22, 16, v23
	v_mul_f32_e32 v22, v3, v22
	;; [unrolled: 7-line block ×3, first 2 shown]
	v_bfe_u32 v32, v23, 16, 1
	v_lshlrev_b32_e32 v12, 16, v12
	v_add3_u32 v32, v32, v23, s26
	v_or_b32_e32 v36, 0x400000, v23
	v_cmp_u_f32_e32 vcc, v23, v23
	v_mul_f32_e32 v12, v5, v12
	v_cndmask_b32_e32 v23, v32, v36, vcc
	v_bfe_u32 v32, v12, 16, 1
	v_lshlrev_b32_e32 v20, 16, v20
	v_and_b32_e32 v19, 0xffff0000, v19
	v_and_b32_e32 v18, 0xffff0000, v18
	v_add3_u32 v32, v32, v12, s26
	v_or_b32_e32 v36, 0x400000, v12
	v_cmp_u_f32_e32 vcc, v12, v12
	v_mul_f32_e32 v20, v8, v20
	v_add_f32_e32 v18, v19, v18
	v_and_b32_e32 v19, 0xffff0000, v21
	v_and_b32_e32 v11, 0xffff0000, v11
	v_cndmask_b32_e32 v12, v32, v36, vcc
	v_bfe_u32 v32, v20, 16, 1
	v_add_f32_e32 v11, v19, v11
	v_add3_u32 v32, v32, v20, s26
	v_or_b32_e32 v36, 0x400000, v20
	v_cmp_u_f32_e32 vcc, v20, v20
	v_add_f32_e32 v11, v11, v18
	v_and_b32_e32 v18, 0xffff0000, v23
	v_and_b32_e32 v19, 0xffff0000, v22
	v_cndmask_b32_e32 v20, v32, v36, vcc
	v_add_f32_e32 v18, v18, v19
	v_add_f32_e32 v11, v18, v11
	v_and_b32_e32 v18, 0xffff0000, v20
	v_and_b32_e32 v12, 0xffff0000, v12
	v_add_f32_e32 v12, v18, v12
	v_add_f32_e32 v11, v12, v11
	;; [unrolled: 1-line block ×3, first 2 shown]
	v_lshlrev_b32_e32 v11, 16, v61
	v_mul_f32_e32 v11, v1, v11
	v_bfe_u32 v12, v11, 16, 1
	v_add3_u32 v12, v12, v11, s26
	v_or_b32_e32 v18, 0x400000, v11
	v_cmp_u_f32_e32 vcc, v11, v11
	v_cndmask_b32_e32 v11, v12, v18, vcc
	v_lshlrev_b32_e32 v12, 16, v62
	v_mul_f32_e32 v12, v4, v12
	v_bfe_u32 v18, v12, 16, 1
	v_add3_u32 v18, v18, v12, s26
	v_or_b32_e32 v19, 0x400000, v12
	v_cmp_u_f32_e32 vcc, v12, v12
	v_cndmask_b32_e32 v12, v18, v19, vcc
	;; [unrolled: 7-line block ×7, first 2 shown]
	v_lshlrev_b32_e32 v23, 16, v57
	v_and_b32_e32 v12, 0xffff0000, v12
	v_and_b32_e32 v11, 0xffff0000, v11
	v_mul_f32_e32 v23, v8, v23
	v_add_f32_e32 v11, v12, v11
	v_and_b32_e32 v12, 0xffff0000, v19
	v_and_b32_e32 v18, 0xffff0000, v18
	v_bfe_u32 v32, v23, 16, 1
	v_add_f32_e32 v12, v12, v18
	v_add3_u32 v32, v32, v23, s26
	v_or_b32_e32 v36, 0x400000, v23
	v_cmp_u_f32_e32 vcc, v23, v23
	v_add_f32_e32 v11, v12, v11
	v_and_b32_e32 v12, 0xffff0000, v21
	v_and_b32_e32 v18, 0xffff0000, v20
	v_cndmask_b32_e32 v23, v32, v36, vcc
	v_add_f32_e32 v12, v12, v18
	v_add_f32_e32 v11, v12, v11
	v_and_b32_e32 v12, 0xffff0000, v23
	v_and_b32_e32 v18, 0xffff0000, v22
	v_add_f32_e32 v12, v12, v18
	v_add_f32_e32 v11, v12, v11
	;; [unrolled: 1-line block ×3, first 2 shown]
	v_lshlrev_b32_e32 v11, 16, v53
	v_mul_f32_e32 v11, v1, v11
	v_bfe_u32 v12, v11, 16, 1
	v_add3_u32 v12, v12, v11, s26
	v_or_b32_e32 v18, 0x400000, v11
	v_cmp_u_f32_e32 vcc, v11, v11
	v_cndmask_b32_e32 v11, v12, v18, vcc
	v_lshlrev_b32_e32 v12, 16, v54
	v_mul_f32_e32 v12, v4, v12
	v_bfe_u32 v18, v12, 16, 1
	v_add3_u32 v18, v18, v12, s26
	v_or_b32_e32 v19, 0x400000, v12
	v_cmp_u_f32_e32 vcc, v12, v12
	v_cndmask_b32_e32 v12, v18, v19, vcc
	;; [unrolled: 7-line block ×4, first 2 shown]
	buffer_load_dword v20, off, s[44:47], 0 offset:36 ; 4-byte Folded Reload
	v_and_b32_e32 v12, 0xffff0000, v12
	v_and_b32_e32 v11, 0xffff0000, v11
	v_add_f32_e32 v11, v12, v11
	v_and_b32_e32 v12, 0xffff0000, v19
	v_and_b32_e32 v18, 0xffff0000, v18
	v_add_f32_e32 v12, v12, v18
	v_add_f32_e32 v11, v12, v11
	v_lshlrev_b32_e32 v0, 16, v0
	v_mul_f32_e32 v0, v1, v0
	v_add_u32_e32 v30, 32, v30
	v_add_u32_e32 v31, 0x80, v31
	s_waitcnt vmcnt(0)
	v_lshlrev_b32_e32 v20, 16, v20
	v_mul_f32_e32 v20, v3, v20
	v_bfe_u32 v21, v20, 16, 1
	v_add3_u32 v21, v21, v20, s26
	v_or_b32_e32 v22, 0x400000, v20
	v_cmp_u_f32_e32 vcc, v20, v20
	v_cndmask_b32_e32 v20, v21, v22, vcc
	buffer_load_dword v21, off, s[44:47], 0 offset:40 ; 4-byte Folded Reload
	v_and_b32_e32 v18, 0xffff0000, v20
	s_waitcnt vmcnt(0)
	v_lshlrev_b32_e32 v21, 16, v21
	v_mul_f32_e32 v21, v7, v21
	v_bfe_u32 v22, v21, 16, 1
	v_add3_u32 v22, v22, v21, s26
	v_or_b32_e32 v23, 0x400000, v21
	v_cmp_u_f32_e32 vcc, v21, v21
	v_cndmask_b32_e32 v21, v22, v23, vcc
	v_lshlrev_b32_e32 v22, 16, v52
	v_mul_f32_e32 v22, v5, v22
	v_bfe_u32 v23, v22, 16, 1
	v_add3_u32 v23, v23, v22, s26
	v_or_b32_e32 v32, 0x400000, v22
	v_cmp_u_f32_e32 vcc, v22, v22
	v_cndmask_b32_e32 v22, v23, v32, vcc
	buffer_load_dword v23, off, s[44:47], 0 offset:44 ; 4-byte Folded Reload
	v_and_b32_e32 v12, 0xffff0000, v21
	v_add_f32_e32 v12, v12, v18
	v_add_f32_e32 v11, v12, v11
	v_and_b32_e32 v18, 0xffff0000, v22
	s_waitcnt vmcnt(0)
	v_lshlrev_b32_e32 v23, 16, v23
	v_mul_f32_e32 v23, v8, v23
	v_bfe_u32 v32, v23, 16, 1
	v_add3_u32 v32, v32, v23, s26
	v_or_b32_e32 v36, 0x400000, v23
	v_cmp_u_f32_e32 vcc, v23, v23
	v_cndmask_b32_e32 v23, v32, v36, vcc
	v_and_b32_e32 v12, 0xffff0000, v23
	v_add_f32_e32 v12, v12, v18
	v_add_f32_e32 v11, v12, v11
	;; [unrolled: 1-line block ×3, first 2 shown]
	buffer_load_dword v11, off, s[44:47], 0 offset:28 ; 4-byte Folded Reload
	s_waitcnt vmcnt(0)
	v_lshlrev_b32_e32 v11, 16, v11
	v_mul_f32_e32 v11, v1, v11
	v_bfe_u32 v12, v11, 16, 1
	v_add3_u32 v12, v12, v11, s26
	v_or_b32_e32 v18, 0x400000, v11
	v_cmp_u_f32_e32 vcc, v11, v11
	v_cndmask_b32_e32 v11, v12, v18, vcc
	buffer_load_dword v12, off, s[44:47], 0 offset:32 ; 4-byte Folded Reload
	v_and_b32_e32 v11, 0xffff0000, v11
	v_bfe_u32 v1, v0, 16, 1
	v_add3_u32 v1, v1, v0, s26
	s_waitcnt vmcnt(0)
	v_lshlrev_b32_e32 v12, 16, v12
	v_mul_f32_e32 v12, v4, v12
	v_bfe_u32 v18, v12, 16, 1
	v_add3_u32 v18, v18, v12, s26
	v_or_b32_e32 v19, 0x400000, v12
	v_cmp_u_f32_e32 vcc, v12, v12
	v_cndmask_b32_e32 v12, v18, v19, vcc
	buffer_load_dword v18, off, s[44:47], 0 offset:16 ; 4-byte Folded Reload
	v_and_b32_e32 v12, 0xffff0000, v12
	v_add_f32_e32 v11, v12, v11
	s_waitcnt vmcnt(0)
	v_lshlrev_b32_e32 v18, 16, v18
	v_mul_f32_e32 v18, v2, v18
	v_bfe_u32 v19, v18, 16, 1
	v_add3_u32 v19, v19, v18, s26
	v_or_b32_e32 v20, 0x400000, v18
	v_cmp_u_f32_e32 vcc, v18, v18
	v_cndmask_b32_e32 v18, v19, v20, vcc
	buffer_load_dword v19, off, s[44:47], 0 offset:20 ; 4-byte Folded Reload
	v_and_b32_e32 v18, 0xffff0000, v18
	s_waitcnt vmcnt(0)
	v_lshlrev_b32_e32 v19, 16, v19
	v_mul_f32_e32 v19, v6, v19
	v_bfe_u32 v20, v19, 16, 1
	v_add3_u32 v20, v20, v19, s26
	v_or_b32_e32 v21, 0x400000, v19
	v_cmp_u_f32_e32 vcc, v19, v19
	v_cndmask_b32_e32 v19, v20, v21, vcc
	buffer_load_dword v20, off, s[44:47], 0 offset:4 ; 4-byte Folded Reload
	v_and_b32_e32 v12, 0xffff0000, v19
	v_add_f32_e32 v12, v12, v18
	v_add_f32_e32 v11, v12, v11
	s_waitcnt vmcnt(0)
	v_lshlrev_b32_e32 v20, 16, v20
	v_mul_f32_e32 v20, v3, v20
	v_bfe_u32 v21, v20, 16, 1
	v_add3_u32 v21, v21, v20, s26
	v_or_b32_e32 v22, 0x400000, v20
	v_cmp_u_f32_e32 vcc, v20, v20
	v_cndmask_b32_e32 v20, v21, v22, vcc
	buffer_load_dword v21, off, s[44:47], 0 offset:8 ; 4-byte Folded Reload
	v_and_b32_e32 v18, 0xffff0000, v20
	s_waitcnt vmcnt(0)
	v_lshlrev_b32_e32 v21, 16, v21
	v_mul_f32_e32 v21, v7, v21
	v_bfe_u32 v22, v21, 16, 1
	v_add3_u32 v22, v22, v21, s26
	v_or_b32_e32 v23, 0x400000, v21
	v_cmp_u_f32_e32 vcc, v21, v21
	v_cndmask_b32_e32 v21, v22, v23, vcc
	buffer_load_dword v22, off, s[44:47], 0 offset:24 ; 4-byte Folded Reload
	v_and_b32_e32 v12, 0xffff0000, v21
	v_add_f32_e32 v12, v12, v18
	v_add_f32_e32 v11, v12, v11
	s_waitcnt vmcnt(0)
	v_lshlrev_b32_e32 v22, 16, v22
	v_mul_f32_e32 v22, v5, v22
	v_bfe_u32 v23, v22, 16, 1
	v_add3_u32 v23, v23, v22, s26
	v_or_b32_e32 v32, 0x400000, v22
	v_cmp_u_f32_e32 vcc, v22, v22
	v_cndmask_b32_e32 v22, v23, v32, vcc
	buffer_load_dword v23, off, s[44:47], 0 offset:12 ; 4-byte Folded Reload
	v_and_b32_e32 v18, 0xffff0000, v22
	s_waitcnt vmcnt(0)
	v_lshlrev_b32_e32 v23, 16, v23
	v_mul_f32_e32 v23, v8, v23
	v_bfe_u32 v32, v23, 16, 1
	v_add3_u32 v32, v32, v23, s26
	v_or_b32_e32 v36, 0x400000, v23
	v_cmp_u_f32_e32 vcc, v23, v23
	v_cndmask_b32_e32 v23, v32, v36, vcc
	v_and_b32_e32 v12, 0xffff0000, v23
	v_add_f32_e32 v12, v12, v18
	v_add_f32_e32 v11, v12, v11
	v_add_f32_e32 v29, v29, v11
	v_lshlrev_b32_e32 v11, 16, v35
	v_mul_f32_e32 v4, v4, v11
	v_bfe_u32 v11, v4, 16, 1
	v_add3_u32 v11, v11, v4, s26
	v_or_b32_e32 v12, 0x400000, v4
	v_cmp_u_f32_e32 vcc, v4, v4
	v_cndmask_b32_e32 v4, v11, v12, vcc
	v_or_b32_e32 v11, 0x400000, v0
	v_cmp_u_f32_e32 vcc, v0, v0
	v_cndmask_b32_e32 v0, v1, v11, vcc
	v_lshlrev_b32_e32 v1, 16, v34
	v_mul_f32_e32 v1, v6, v1
	v_bfe_u32 v6, v1, 16, 1
	v_add3_u32 v6, v6, v1, s26
	v_or_b32_e32 v11, 0x400000, v1
	v_cmp_u_f32_e32 vcc, v1, v1
	v_cndmask_b32_e32 v1, v6, v11, vcc
	v_lshlrev_b32_e32 v6, 16, v16
	v_mul_f32_e32 v2, v2, v6
	v_bfe_u32 v6, v2, 16, 1
	v_add3_u32 v6, v6, v2, s26
	;; [unrolled: 7-line block ×5, first 2 shown]
	v_or_b32_e32 v9, 0x400000, v7
	v_cmp_u_f32_e32 vcc, v7, v7
	v_cndmask_b32_e32 v7, v8, v9, vcc
	v_lshlrev_b32_e32 v8, 16, v33
	v_mul_f32_e32 v5, v5, v8
	v_and_b32_e32 v0, 0xffff0000, v0
	v_and_b32_e32 v4, 0xffff0000, v4
	;; [unrolled: 1-line block ×4, first 2 shown]
	v_bfe_u32 v8, v5, 16, 1
	v_add_f32_e32 v0, v4, v0
	v_add_f32_e32 v1, v1, v2
	v_add3_u32 v8, v8, v5, s26
	v_or_b32_e32 v9, 0x400000, v5
	v_cmp_u_f32_e32 vcc, v5, v5
	v_add_f32_e32 v0, v1, v0
	v_and_b32_e32 v1, 0xffff0000, v3
	v_and_b32_e32 v2, 0xffff0000, v6
	v_cndmask_b32_e32 v5, v8, v9, vcc
	v_add_f32_e32 v1, v2, v1
	v_add_f32_e32 v0, v1, v0
	v_and_b32_e32 v1, 0xffff0000, v5
	v_and_b32_e32 v2, 0xffff0000, v7
	v_add_f32_e32 v1, v2, v1
	v_add_f32_e32 v0, v1, v0
	;; [unrolled: 1-line block ×3, first 2 shown]
	buffer_load_dword v0, off, s[44:47], 0  ; 4-byte Folded Reload
	v_add_co_u32_e32 v13, vcc, 8, v13
	v_addc_co_u32_e32 v14, vcc, 0, v14, vcc
	s_waitcnt vmcnt(0)
	v_add_u32_e32 v0, 2, v0
	v_cmp_le_i32_e32 vcc, s21, v0
	s_or_b64 s[6:7], vcc, s[6:7]
	buffer_store_dword v0, off, s[44:47], 0 ; 4-byte Folded Spill
	s_andn2_b64 exec, exec, s[6:7]
	s_cbranch_execz .LBB308_618
.LBB308_318:                            ; =>This Inner Loop Header: Depth=1
	global_load_dword v0, v[13:14], off
	s_waitcnt vmcnt(0)
	v_mad_i64_i32 v[15:16], s[0:1], v0, s31, v[47:48]
	v_mov_b32_e32 v0, 0
	global_load_dwordx2 v[17:18], v[15:16], off
	ds_read2_b64 v[5:8], v31 offset1:1
	ds_read2_b64 v[1:4], v31 offset0:2 offset1:3
	s_waitcnt vmcnt(0)
	v_cmp_ne_u16_sdwa s[12:13], v17, v10 src0_sel:BYTE_0 src1_sel:DWORD
	s_and_saveexec_b64 s[0:1], s[12:13]
	s_cbranch_execz .LBB308_324
; %bb.319:                              ;   in Loop: Header=BB308_318 Depth=1
	v_cmp_ne_u16_sdwa s[14:15], v17, s24 src0_sel:BYTE_0 src1_sel:DWORD
	v_bfrev_b32_e32 v0, 1
	s_and_saveexec_b64 s[12:13], s[14:15]
	s_cbranch_execz .LBB308_323
; %bb.320:                              ;   in Loop: Header=BB308_318 Depth=1
	v_and_b32_e32 v9, 0x7f, v17
	v_cmp_ne_u32_e32 vcc, s25, v9
	v_mov_b32_e32 v0, 0x7f800001
	s_and_saveexec_b64 s[14:15], vcc
	s_cbranch_execz .LBB308_322
; %bb.321:                              ;   in Loop: Header=BB308_318 Depth=1
	v_and_b32_e32 v0, 7, v17
	v_ffbh_u32_e32 v0, v0
	v_min_u32_e32 v0, 32, v0
	v_subrev_u32_e32 v12, 28, v0
	v_cmp_gt_u32_e32 vcc, 8, v9
	v_lshrrev_b32_e32 v11, 3, v9
	v_sub_u32_e32 v0, 29, v0
	v_cndmask_b32_e32 v9, 0, v12, vcc
	v_cndmask_b32_e32 v0, v11, v0, vcc
	v_lshlrev_b64 v[11:12], v9, v[17:18]
	v_bfrev_b32_e32 v12, 60
	v_lshlrev_b32_e32 v9, 20, v11
	v_lshlrev_b32_e32 v11, 24, v17
	v_and_b32_e32 v9, 0x700000, v9
	v_and_b32_e32 v11, 0x80000000, v11
	v_lshl_add_u32 v0, v0, 23, v12
	v_or3_b32 v0, v11, v0, v9
.LBB308_322:                            ;   in Loop: Header=BB308_318 Depth=1
	s_or_b64 exec, exec, s[14:15]
.LBB308_323:                            ;   in Loop: Header=BB308_318 Depth=1
	s_or_b64 exec, exec, s[12:13]
.LBB308_324:                            ;   in Loop: Header=BB308_318 Depth=1
	s_or_b64 exec, exec, s[0:1]
	v_lshrrev_b16_e32 v9, 8, v17
	v_cmp_ne_u16_e32 vcc, 0, v9
	v_mov_b32_e32 v12, 0
	v_mov_b32_e32 v11, 0
	s_and_saveexec_b64 s[0:1], vcc
	s_cbranch_execz .LBB308_330
; %bb.325:                              ;   in Loop: Header=BB308_318 Depth=1
	v_cmp_ne_u16_e32 vcc, s24, v9
	v_bfrev_b32_e32 v11, 1
	s_and_saveexec_b64 s[12:13], vcc
	s_cbranch_execz .LBB308_329
; %bb.326:                              ;   in Loop: Header=BB308_318 Depth=1
	v_and_b32_e32 v19, 0x7f, v9
	v_cmp_ne_u32_e32 vcc, s25, v19
	v_mov_b32_e32 v11, 0x7f800001
	s_and_saveexec_b64 s[14:15], vcc
	s_cbranch_execz .LBB308_328
; %bb.327:                              ;   in Loop: Header=BB308_318 Depth=1
	v_and_b32_e32 v11, 7, v9
	v_ffbh_u32_e32 v22, v11
	v_min_u32_e32 v32, 32, v22
	v_subrev_u32_e32 v22, 28, v32
	v_lshlrev_b64 v[22:23], v22, v[9:10]
	v_lshrrev_b32_e32 v20, 3, v19
	v_sub_u32_e32 v9, 29, v32
	v_and_b32_e32 v22, 7, v22
	v_cmp_gt_u32_e32 vcc, 8, v19
	v_cndmask_b32_e32 v9, v20, v9, vcc
	v_cndmask_b32_e32 v11, v11, v22, vcc
	v_lshlrev_b32_e32 v19, 16, v17
	v_bfrev_b32_e32 v20, 60
	v_lshlrev_b32_e32 v11, 20, v11
	v_and_b32_e32 v19, 0x80000000, v19
	v_lshl_add_u32 v9, v9, 23, v20
	v_or3_b32 v11, v19, v9, v11
.LBB308_328:                            ;   in Loop: Header=BB308_318 Depth=1
	s_or_b64 exec, exec, s[14:15]
.LBB308_329:                            ;   in Loop: Header=BB308_318 Depth=1
	s_or_b64 exec, exec, s[12:13]
.LBB308_330:                            ;   in Loop: Header=BB308_318 Depth=1
	s_or_b64 exec, exec, s[0:1]
	v_lshrrev_b32_e32 v9, 16, v17
	v_cmp_ne_u16_sdwa s[12:13], v9, v10 src0_sel:BYTE_0 src1_sel:DWORD
	s_and_saveexec_b64 s[0:1], s[12:13]
	s_cbranch_execz .LBB308_336
; %bb.331:                              ;   in Loop: Header=BB308_318 Depth=1
	v_cmp_ne_u16_sdwa s[14:15], v9, s24 src0_sel:BYTE_0 src1_sel:DWORD
	v_bfrev_b32_e32 v12, 1
	s_and_saveexec_b64 s[12:13], s[14:15]
	s_cbranch_execz .LBB308_335
; %bb.332:                              ;   in Loop: Header=BB308_318 Depth=1
	v_bfe_u32 v19, v17, 16, 7
	v_cmp_ne_u32_e32 vcc, s25, v19
	v_mov_b32_e32 v12, 0x7f800001
	s_and_saveexec_b64 s[14:15], vcc
	s_cbranch_execz .LBB308_334
; %bb.333:                              ;   in Loop: Header=BB308_318 Depth=1
	v_and_b32_e32 v12, 7, v9
	v_ffbh_u32_e32 v22, v12
	v_min_u32_e32 v32, 32, v22
	v_subrev_u32_e32 v22, 28, v32
	v_lshlrev_b64 v[22:23], v22, v[9:10]
	v_lshrrev_b32_e32 v20, 3, v19
	v_sub_u32_e32 v23, 29, v32
	v_and_b32_e32 v22, 7, v22
	v_cmp_gt_u32_e32 vcc, 8, v19
	v_cndmask_b32_e32 v19, v20, v23, vcc
	v_cndmask_b32_e32 v12, v12, v22, vcc
	v_lshlrev_b32_e32 v9, 24, v9
	v_bfrev_b32_e32 v20, 60
	v_lshlrev_b32_e32 v12, 20, v12
	v_and_b32_e32 v9, 0x80000000, v9
	v_lshl_add_u32 v19, v19, 23, v20
	v_or3_b32 v12, v9, v19, v12
.LBB308_334:                            ;   in Loop: Header=BB308_318 Depth=1
	s_or_b64 exec, exec, s[14:15]
.LBB308_335:                            ;   in Loop: Header=BB308_318 Depth=1
	s_or_b64 exec, exec, s[12:13]
.LBB308_336:                            ;   in Loop: Header=BB308_318 Depth=1
	s_or_b64 exec, exec, s[0:1]
	v_cmp_lt_u32_e32 vcc, s5, v17
	v_mov_b32_e32 v22, 0
	v_mov_b32_e32 v20, 0
	s_and_saveexec_b64 s[0:1], vcc
	s_cbranch_execz .LBB308_342
; %bb.337:                              ;   in Loop: Header=BB308_318 Depth=1
	v_lshrrev_b32_e32 v9, 24, v17
	v_cmp_ne_u32_e32 vcc, s24, v9
	v_bfrev_b32_e32 v20, 1
	s_and_saveexec_b64 s[12:13], vcc
	s_cbranch_execz .LBB308_341
; %bb.338:                              ;   in Loop: Header=BB308_318 Depth=1
	v_bfe_u32 v19, v17, 24, 7
	v_cmp_ne_u32_e32 vcc, s25, v19
	v_mov_b32_e32 v20, 0x7f800001
	s_and_saveexec_b64 s[14:15], vcc
	s_cbranch_execz .LBB308_340
; %bb.339:                              ;   in Loop: Header=BB308_318 Depth=1
	v_and_b32_e32 v20, 7, v9
	v_ffbh_u32_e32 v32, v20
	v_min_u32_e32 v34, 32, v32
	v_subrev_u32_e32 v32, 28, v34
	v_lshlrev_b64 v[32:33], v32, v[9:10]
	v_lshrrev_b32_e32 v23, 3, v19
	v_sub_u32_e32 v33, 29, v34
	v_and_b32_e32 v32, 7, v32
	v_cmp_gt_u32_e32 vcc, 8, v19
	v_cndmask_b32_e32 v19, v23, v33, vcc
	v_cndmask_b32_e32 v20, v20, v32, vcc
	v_lshlrev_b32_e32 v9, 24, v9
	v_bfrev_b32_e32 v21, 60
	v_lshlrev_b32_e32 v20, 20, v20
	v_and_b32_e32 v9, 0x80000000, v9
	v_lshl_add_u32 v19, v19, 23, v21
	v_or3_b32 v20, v9, v19, v20
.LBB308_340:                            ;   in Loop: Header=BB308_318 Depth=1
	s_or_b64 exec, exec, s[14:15]
.LBB308_341:                            ;   in Loop: Header=BB308_318 Depth=1
	s_or_b64 exec, exec, s[12:13]
.LBB308_342:                            ;   in Loop: Header=BB308_318 Depth=1
	s_or_b64 exec, exec, s[0:1]
	v_mov_b32_e32 v9, v18
	v_cmp_ne_u16_sdwa s[12:13], v18, v10 src0_sel:BYTE_0 src1_sel:DWORD
	s_and_saveexec_b64 s[0:1], s[12:13]
	s_cbranch_execz .LBB308_348
; %bb.343:                              ;   in Loop: Header=BB308_318 Depth=1
	v_cmp_ne_u16_sdwa s[14:15], v18, s24 src0_sel:BYTE_0 src1_sel:DWORD
	v_bfrev_b32_e32 v22, 1
	s_and_saveexec_b64 s[12:13], s[14:15]
	s_cbranch_execz .LBB308_347
; %bb.344:                              ;   in Loop: Header=BB308_318 Depth=1
	v_and_b32_e32 v19, 0x7f, v18
	v_cmp_ne_u32_e32 vcc, s25, v19
	v_mov_b32_e32 v22, 0x7f800001
	s_and_saveexec_b64 s[14:15], vcc
	s_cbranch_execz .LBB308_346
; %bb.345:                              ;   in Loop: Header=BB308_318 Depth=1
	v_and_b32_e32 v22, 7, v18
	v_ffbh_u32_e32 v22, v22
	v_min_u32_e32 v22, 32, v22
	v_lshrrev_b32_e32 v23, 3, v19
	v_subrev_u32_e32 v32, 28, v22
	v_sub_u32_e32 v22, 29, v22
	v_cmp_gt_u32_e32 vcc, 8, v19
	v_cndmask_b32_e32 v19, v23, v22, vcc
	v_cndmask_b32_e32 v22, 0, v32, vcc
	v_lshlrev_b64 v[22:23], v22, v[9:10]
	v_lshlrev_b32_e32 v23, 24, v9
	v_lshlrev_b32_e32 v22, 20, v22
	v_bfrev_b32_e32 v21, 60
	v_and_b32_e32 v22, 0x700000, v22
	v_and_b32_e32 v23, 0x80000000, v23
	v_lshl_add_u32 v19, v19, 23, v21
	v_or3_b32 v22, v23, v19, v22
.LBB308_346:                            ;   in Loop: Header=BB308_318 Depth=1
	s_or_b64 exec, exec, s[14:15]
.LBB308_347:                            ;   in Loop: Header=BB308_318 Depth=1
	s_or_b64 exec, exec, s[12:13]
.LBB308_348:                            ;   in Loop: Header=BB308_318 Depth=1
	s_or_b64 exec, exec, s[0:1]
	v_lshrrev_b16_e32 v19, 8, v9
	v_cmp_ne_u16_e32 vcc, 0, v19
	v_mov_b32_e32 v23, 0
	v_mov_b32_e32 v32, 0
	s_and_saveexec_b64 s[0:1], vcc
	s_cbranch_execz .LBB308_354
; %bb.349:                              ;   in Loop: Header=BB308_318 Depth=1
	v_cmp_ne_u16_e32 vcc, s24, v19
	v_bfrev_b32_e32 v32, 1
	s_and_saveexec_b64 s[12:13], vcc
	s_cbranch_execz .LBB308_353
; %bb.350:                              ;   in Loop: Header=BB308_318 Depth=1
	v_and_b32_e32 v33, 0x7f, v19
	v_cmp_ne_u32_e32 vcc, s25, v33
	v_mov_b32_e32 v32, 0x7f800001
	s_and_saveexec_b64 s[14:15], vcc
	s_cbranch_execz .LBB308_352
; %bb.351:                              ;   in Loop: Header=BB308_318 Depth=1
	v_and_b32_e32 v32, 7, v19
	v_ffbh_u32_e32 v34, v32
	v_min_u32_e32 v37, 32, v34
	v_subrev_u32_e32 v34, 28, v37
	v_lshlrev_b64 v[34:35], v34, v[19:20]
	v_lshrrev_b32_e32 v36, 3, v33
	v_sub_u32_e32 v19, 29, v37
	v_and_b32_e32 v34, 7, v34
	v_cmp_gt_u32_e32 vcc, 8, v33
	v_cndmask_b32_e32 v19, v36, v19, vcc
	v_cndmask_b32_e32 v32, v32, v34, vcc
	v_lshlrev_b32_e32 v9, 16, v9
	v_bfrev_b32_e32 v21, 60
	v_lshlrev_b32_e32 v32, 20, v32
	v_and_b32_e32 v9, 0x80000000, v9
	v_lshl_add_u32 v19, v19, 23, v21
	v_or3_b32 v32, v9, v19, v32
.LBB308_352:                            ;   in Loop: Header=BB308_318 Depth=1
	s_or_b64 exec, exec, s[14:15]
.LBB308_353:                            ;   in Loop: Header=BB308_318 Depth=1
	s_or_b64 exec, exec, s[12:13]
.LBB308_354:                            ;   in Loop: Header=BB308_318 Depth=1
	s_or_b64 exec, exec, s[0:1]
	v_lshrrev_b32_e32 v9, 16, v18
	v_cmp_ne_u16_sdwa s[12:13], v9, v10 src0_sel:BYTE_0 src1_sel:DWORD
	s_and_saveexec_b64 s[0:1], s[12:13]
	s_cbranch_execz .LBB308_360
; %bb.355:                              ;   in Loop: Header=BB308_318 Depth=1
	v_cmp_ne_u16_sdwa s[14:15], v9, s24 src0_sel:BYTE_0 src1_sel:DWORD
	v_bfrev_b32_e32 v23, 1
	s_and_saveexec_b64 s[12:13], s[14:15]
	s_cbranch_execz .LBB308_359
; %bb.356:                              ;   in Loop: Header=BB308_318 Depth=1
	v_bfe_u32 v19, v18, 16, 7
	v_cmp_ne_u32_e32 vcc, s25, v19
	v_mov_b32_e32 v23, 0x7f800001
	s_and_saveexec_b64 s[14:15], vcc
	s_cbranch_execz .LBB308_358
; %bb.357:                              ;   in Loop: Header=BB308_318 Depth=1
	v_and_b32_e32 v23, 7, v9
	v_ffbh_u32_e32 v33, v23
	v_min_u32_e32 v36, 32, v33
	v_subrev_u32_e32 v33, 28, v36
	v_lshlrev_b64 v[33:34], v33, v[9:10]
	v_lshrrev_b32_e32 v35, 3, v19
	v_sub_u32_e32 v34, 29, v36
	v_and_b32_e32 v33, 7, v33
	v_cmp_gt_u32_e32 vcc, 8, v19
	v_cndmask_b32_e32 v19, v35, v34, vcc
	v_cndmask_b32_e32 v23, v23, v33, vcc
	v_lshlrev_b32_e32 v9, 24, v9
	v_bfrev_b32_e32 v21, 60
	v_lshlrev_b32_e32 v23, 20, v23
	v_and_b32_e32 v9, 0x80000000, v9
	v_lshl_add_u32 v19, v19, 23, v21
	v_or3_b32 v23, v9, v19, v23
.LBB308_358:                            ;   in Loop: Header=BB308_318 Depth=1
	s_or_b64 exec, exec, s[14:15]
.LBB308_359:                            ;   in Loop: Header=BB308_318 Depth=1
	s_or_b64 exec, exec, s[12:13]
.LBB308_360:                            ;   in Loop: Header=BB308_318 Depth=1
	s_or_b64 exec, exec, s[0:1]
	v_cmp_lt_u64_e32 vcc, s[4:5], v[17:18]
	v_mov_b32_e32 v17, 0
	s_and_saveexec_b64 s[0:1], vcc
	s_cbranch_execz .LBB308_366
; %bb.361:                              ;   in Loop: Header=BB308_318 Depth=1
	v_lshrrev_b32_e32 v9, 24, v18
	v_cmp_ne_u32_e32 vcc, s24, v9
	v_bfrev_b32_e32 v17, 1
	s_and_saveexec_b64 s[12:13], vcc
	s_cbranch_execz .LBB308_365
; %bb.362:                              ;   in Loop: Header=BB308_318 Depth=1
	v_bfe_u32 v18, v18, 24, 7
	v_cmp_ne_u32_e32 vcc, s25, v18
	v_mov_b32_e32 v17, 0x7f800001
	s_and_saveexec_b64 s[14:15], vcc
	s_cbranch_execz .LBB308_364
; %bb.363:                              ;   in Loop: Header=BB308_318 Depth=1
	v_and_b32_e32 v17, 7, v9
	v_ffbh_u32_e32 v33, v17
	v_min_u32_e32 v35, 32, v33
	v_subrev_u32_e32 v33, 28, v35
	v_lshlrev_b64 v[33:34], v33, v[9:10]
	v_lshrrev_b32_e32 v19, 3, v18
	v_sub_u32_e32 v34, 29, v35
	v_and_b32_e32 v33, 7, v33
	v_cmp_gt_u32_e32 vcc, 8, v18
	v_cndmask_b32_e32 v18, v19, v34, vcc
	v_cndmask_b32_e32 v17, v17, v33, vcc
	v_lshlrev_b32_e32 v9, 24, v9
	v_bfrev_b32_e32 v19, 60
	v_lshlrev_b32_e32 v17, 20, v17
	v_and_b32_e32 v9, 0x80000000, v9
	v_lshl_add_u32 v18, v18, 23, v19
	v_or3_b32 v17, v9, v18, v17
.LBB308_364:                            ;   in Loop: Header=BB308_318 Depth=1
	s_or_b64 exec, exec, s[14:15]
.LBB308_365:                            ;   in Loop: Header=BB308_318 Depth=1
	s_or_b64 exec, exec, s[12:13]
.LBB308_366:                            ;   in Loop: Header=BB308_318 Depth=1
	s_or_b64 exec, exec, s[0:1]
	buffer_load_dword v9, off, s[44:47], 0  ; 4-byte Folded Reload
	s_waitcnt lgkmcnt(0)
	v_mul_f32_e32 v0, s18, v0
	v_add_u32_e32 v49, -7, v30
	s_waitcnt vmcnt(0)
	v_cmp_eq_u32_e32 vcc, s19, v9
	v_mul_f32_e32 v9, s18, v32
	v_bfe_u32 v18, v9, 16, 1
	v_add3_u32 v18, v18, v9, s26
	v_or_b32_e32 v19, 0x400000, v9
	v_cmp_u_f32_e64 s[0:1], v9, v9
	v_cndmask_b32_e64 v9, v18, v19, s[0:1]
	v_lshrrev_b32_e32 v9, 16, v9
	buffer_store_dword v9, off, s[44:47], 0 offset:4 ; 4-byte Folded Spill
	v_mul_f32_e32 v9, s18, v22
	v_bfe_u32 v18, v9, 16, 1
	v_add3_u32 v18, v18, v9, s26
	v_or_b32_e32 v19, 0x400000, v9
	v_cmp_u_f32_e64 s[0:1], v9, v9
	v_cndmask_b32_e64 v9, v18, v19, s[0:1]
	v_lshrrev_b32_e32 v9, 16, v9
	buffer_store_dword v9, off, s[44:47], 0 offset:8 ; 4-byte Folded Spill
	v_mul_f32_e32 v9, s18, v20
	v_bfe_u32 v18, v9, 16, 1
	v_add3_u32 v18, v18, v9, s26
	v_or_b32_e32 v19, 0x400000, v9
	v_cmp_u_f32_e64 s[0:1], v9, v9
	v_cndmask_b32_e64 v9, v18, v19, s[0:1]
	v_lshrrev_b32_e32 v9, 16, v9
	buffer_store_dword v9, off, s[44:47], 0 offset:16 ; 4-byte Folded Spill
	v_mul_f32_e32 v9, s18, v12
	v_bfe_u32 v12, v9, 16, 1
	v_add3_u32 v12, v12, v9, s26
	v_or_b32_e32 v18, 0x400000, v9
	v_cmp_u_f32_e64 s[0:1], v9, v9
	v_cndmask_b32_e64 v9, v12, v18, s[0:1]
	v_lshrrev_b32_e32 v9, 16, v9
	buffer_store_dword v9, off, s[44:47], 0 offset:20 ; 4-byte Folded Spill
	v_mul_f32_e32 v9, s18, v11
	v_bfe_u32 v11, v9, 16, 1
	v_add3_u32 v11, v11, v9, s26
	v_or_b32_e32 v12, 0x400000, v9
	v_cmp_u_f32_e64 s[0:1], v9, v9
	v_cndmask_b32_e64 v9, v11, v12, s[0:1]
	v_lshrrev_b32_e32 v9, 16, v9
	buffer_store_dword v9, off, s[44:47], 0 offset:28 ; 4-byte Folded Spill
	v_bfe_u32 v9, v0, 16, 1
	v_add3_u32 v9, v9, v0, s26
	v_or_b32_e32 v11, 0x400000, v0
	v_cmp_u_f32_e64 s[0:1], v0, v0
	v_cndmask_b32_e64 v0, v9, v11, s[0:1]
	v_lshrrev_b32_e32 v0, 16, v0
	buffer_store_dword v0, off, s[44:47], 0 offset:32 ; 4-byte Folded Spill
	v_mul_f32_e32 v0, s18, v23
	v_bfe_u32 v9, v0, 16, 1
	v_add3_u32 v9, v9, v0, s26
	v_or_b32_e32 v11, 0x400000, v0
	v_cmp_u_f32_e64 s[0:1], v0, v0
	v_cndmask_b32_e64 v0, v9, v11, s[0:1]
	v_lshrrev_b32_e32 v0, 16, v0
	buffer_store_dword v0, off, s[44:47], 0 offset:12 ; 4-byte Folded Spill
	v_mul_f32_e32 v0, s18, v17
	v_bfe_u32 v9, v0, 16, 1
	v_add3_u32 v9, v9, v0, s26
	v_or_b32_e32 v11, 0x400000, v0
	v_cmp_u_f32_e64 s[0:1], v0, v0
	v_cndmask_b32_e64 v0, v9, v11, s[0:1]
	v_lshrrev_b32_e32 v0, 16, v0
	buffer_store_dword v0, off, s[44:47], 0 offset:24 ; 4-byte Folded Spill
	s_and_saveexec_b64 s[12:13], vcc
	s_cbranch_execz .LBB308_368
; %bb.367:                              ;   in Loop: Header=BB308_318 Depth=1
	buffer_load_dword v0, off, s[44:47], 0 offset:32 ; 4-byte Folded Reload
	v_cmp_gt_i32_e64 s[0:1], s30, v49
	s_waitcnt vmcnt(0)
	v_cndmask_b32_e64 v0, 0, v0, s[0:1]
	buffer_store_dword v0, off, s[44:47], 0 offset:32 ; 4-byte Folded Spill
	v_add_u32_e32 v0, -6, v30
	v_cmp_gt_i32_e64 s[0:1], s30, v0
	buffer_load_dword v0, off, s[44:47], 0 offset:28 ; 4-byte Folded Reload
	s_waitcnt vmcnt(0)
	v_cndmask_b32_e64 v0, 0, v0, s[0:1]
	buffer_store_dword v0, off, s[44:47], 0 offset:28 ; 4-byte Folded Spill
	v_add_u32_e32 v0, -5, v30
	v_cmp_gt_i32_e64 s[0:1], s30, v0
	buffer_load_dword v0, off, s[44:47], 0 offset:20 ; 4-byte Folded Reload
	;; [unrolled: 6-line block ×6, first 2 shown]
	s_waitcnt vmcnt(0)
	v_cndmask_b32_e64 v0, 0, v0, s[0:1]
	buffer_store_dword v0, off, s[44:47], 0 offset:12 ; 4-byte Folded Spill
	buffer_load_dword v0, off, s[44:47], 0 offset:24 ; 4-byte Folded Reload
	v_cmp_gt_i32_e64 s[0:1], s30, v30
	s_waitcnt vmcnt(0)
	v_cndmask_b32_e64 v0, 0, v0, s[0:1]
	buffer_store_dword v0, off, s[44:47], 0 offset:24 ; 4-byte Folded Spill
.LBB308_368:                            ;   in Loop: Header=BB308_318 Depth=1
	s_or_b64 exec, exec, s[12:13]
	global_load_dwordx2 v[17:18], v[15:16], off offset:512
	v_mov_b32_e32 v11, 0
	v_mov_b32_e32 v0, 0
	s_waitcnt vmcnt(0)
	v_cmp_ne_u16_sdwa s[0:1], v17, v10 src0_sel:BYTE_0 src1_sel:DWORD
	s_and_saveexec_b64 s[12:13], s[0:1]
	s_cbranch_execz .LBB308_374
; %bb.369:                              ;   in Loop: Header=BB308_318 Depth=1
	v_cmp_ne_u16_sdwa s[0:1], v17, s24 src0_sel:BYTE_0 src1_sel:DWORD
	v_bfrev_b32_e32 v0, 1
	s_and_saveexec_b64 s[14:15], s[0:1]
	s_cbranch_execz .LBB308_373
; %bb.370:                              ;   in Loop: Header=BB308_318 Depth=1
	v_and_b32_e32 v9, 0x7f, v17
	v_cmp_ne_u32_e64 s[0:1], s25, v9
	v_mov_b32_e32 v0, 0x7f800001
	s_and_saveexec_b64 s[16:17], s[0:1]
	s_cbranch_execz .LBB308_372
; %bb.371:                              ;   in Loop: Header=BB308_318 Depth=1
	v_and_b32_e32 v0, 7, v17
	v_ffbh_u32_e32 v0, v0
	v_min_u32_e32 v0, 32, v0
	v_subrev_u32_e32 v19, 28, v0
	v_cmp_gt_u32_e64 s[0:1], 8, v9
	v_lshrrev_b32_e32 v12, 3, v9
	v_cndmask_b32_e64 v9, 0, v19, s[0:1]
	v_lshlrev_b64 v[19:20], v9, v[17:18]
	v_sub_u32_e32 v0, 29, v0
	v_cndmask_b32_e64 v0, v12, v0, s[0:1]
	v_lshlrev_b32_e32 v9, 20, v19
	v_lshlrev_b32_e32 v12, 24, v17
	v_bfrev_b32_e32 v19, 60
	v_and_b32_e32 v9, 0x700000, v9
	v_and_b32_e32 v12, 0x80000000, v12
	v_lshl_add_u32 v0, v0, 23, v19
	v_or3_b32 v0, v12, v0, v9
.LBB308_372:                            ;   in Loop: Header=BB308_318 Depth=1
	s_or_b64 exec, exec, s[16:17]
.LBB308_373:                            ;   in Loop: Header=BB308_318 Depth=1
	s_or_b64 exec, exec, s[14:15]
.LBB308_374:                            ;   in Loop: Header=BB308_318 Depth=1
	s_or_b64 exec, exec, s[12:13]
	v_lshrrev_b16_e32 v9, 8, v17
	v_cmp_ne_u16_e64 s[0:1], 0, v9
	s_and_saveexec_b64 s[12:13], s[0:1]
	s_cbranch_execz .LBB308_380
; %bb.375:                              ;   in Loop: Header=BB308_318 Depth=1
	v_cmp_ne_u16_e64 s[0:1], s24, v9
	v_bfrev_b32_e32 v11, 1
	s_and_saveexec_b64 s[14:15], s[0:1]
	s_cbranch_execz .LBB308_379
; %bb.376:                              ;   in Loop: Header=BB308_318 Depth=1
	v_and_b32_e32 v12, 0x7f, v9
	v_cmp_ne_u32_e64 s[0:1], s25, v12
	v_mov_b32_e32 v11, 0x7f800001
	s_and_saveexec_b64 s[16:17], s[0:1]
	s_cbranch_execz .LBB308_378
; %bb.377:                              ;   in Loop: Header=BB308_318 Depth=1
	v_and_b32_e32 v11, 7, v9
	v_ffbh_u32_e32 v19, v11
	v_min_u32_e32 v23, 32, v19
	v_subrev_u32_e32 v19, 28, v23
	v_lshlrev_b64 v[19:20], v19, v[9:10]
	v_lshrrev_b32_e32 v22, 3, v12
	v_sub_u32_e32 v9, 29, v23
	v_and_b32_e32 v19, 7, v19
	v_cmp_gt_u32_e64 s[0:1], 8, v12
	v_cndmask_b32_e64 v9, v22, v9, s[0:1]
	v_cndmask_b32_e64 v11, v11, v19, s[0:1]
	v_lshlrev_b32_e32 v12, 16, v17
	v_bfrev_b32_e32 v19, 60
	v_lshlrev_b32_e32 v11, 20, v11
	v_and_b32_e32 v12, 0x80000000, v12
	v_lshl_add_u32 v9, v9, 23, v19
	v_or3_b32 v11, v12, v9, v11
.LBB308_378:                            ;   in Loop: Header=BB308_318 Depth=1
	s_or_b64 exec, exec, s[16:17]
.LBB308_379:                            ;   in Loop: Header=BB308_318 Depth=1
	s_or_b64 exec, exec, s[14:15]
.LBB308_380:                            ;   in Loop: Header=BB308_318 Depth=1
	s_or_b64 exec, exec, s[12:13]
	v_lshrrev_b32_e32 v9, 16, v17
	v_cmp_ne_u16_sdwa s[0:1], v9, v10 src0_sel:BYTE_0 src1_sel:DWORD
	v_mov_b32_e32 v20, 0
	v_mov_b32_e32 v12, 0
	s_and_saveexec_b64 s[12:13], s[0:1]
	s_cbranch_execz .LBB308_386
; %bb.381:                              ;   in Loop: Header=BB308_318 Depth=1
	v_cmp_ne_u16_sdwa s[0:1], v9, s24 src0_sel:BYTE_0 src1_sel:DWORD
	v_bfrev_b32_e32 v12, 1
	s_and_saveexec_b64 s[14:15], s[0:1]
	s_cbranch_execz .LBB308_385
; %bb.382:                              ;   in Loop: Header=BB308_318 Depth=1
	v_bfe_u32 v19, v17, 16, 7
	v_cmp_ne_u32_e64 s[0:1], s25, v19
	v_mov_b32_e32 v12, 0x7f800001
	s_and_saveexec_b64 s[16:17], s[0:1]
	s_cbranch_execz .LBB308_384
; %bb.383:                              ;   in Loop: Header=BB308_318 Depth=1
	v_and_b32_e32 v12, 7, v9
	v_ffbh_u32_e32 v22, v12
	v_min_u32_e32 v33, 32, v22
	v_subrev_u32_e32 v22, 28, v33
	v_lshlrev_b64 v[22:23], v22, v[9:10]
	v_lshrrev_b32_e32 v32, 3, v19
	v_sub_u32_e32 v23, 29, v33
	v_and_b32_e32 v22, 7, v22
	v_cmp_gt_u32_e64 s[0:1], 8, v19
	v_cndmask_b32_e64 v19, v32, v23, s[0:1]
	v_cndmask_b32_e64 v12, v12, v22, s[0:1]
	v_lshlrev_b32_e32 v9, 24, v9
	v_bfrev_b32_e32 v21, 60
	v_lshlrev_b32_e32 v12, 20, v12
	v_and_b32_e32 v9, 0x80000000, v9
	v_lshl_add_u32 v19, v19, 23, v21
	v_or3_b32 v12, v9, v19, v12
.LBB308_384:                            ;   in Loop: Header=BB308_318 Depth=1
	s_or_b64 exec, exec, s[16:17]
.LBB308_385:                            ;   in Loop: Header=BB308_318 Depth=1
	s_or_b64 exec, exec, s[14:15]
.LBB308_386:                            ;   in Loop: Header=BB308_318 Depth=1
	s_or_b64 exec, exec, s[12:13]
	v_cmp_lt_u32_e64 s[0:1], s5, v17
	s_and_saveexec_b64 s[12:13], s[0:1]
	s_cbranch_execz .LBB308_392
; %bb.387:                              ;   in Loop: Header=BB308_318 Depth=1
	v_lshrrev_b32_e32 v9, 24, v17
	v_cmp_ne_u32_e64 s[0:1], s24, v9
	v_bfrev_b32_e32 v20, 1
	s_and_saveexec_b64 s[14:15], s[0:1]
	s_cbranch_execz .LBB308_391
; %bb.388:                              ;   in Loop: Header=BB308_318 Depth=1
	v_bfe_u32 v19, v17, 24, 7
	v_cmp_ne_u32_e64 s[0:1], s25, v19
	v_mov_b32_e32 v20, 0x7f800001
	s_and_saveexec_b64 s[16:17], s[0:1]
	s_cbranch_execz .LBB308_390
; %bb.389:                              ;   in Loop: Header=BB308_318 Depth=1
	v_and_b32_e32 v20, 7, v9
	v_ffbh_u32_e32 v22, v20
	v_min_u32_e32 v33, 32, v22
	v_subrev_u32_e32 v22, 28, v33
	v_lshlrev_b64 v[22:23], v22, v[9:10]
	v_lshrrev_b32_e32 v32, 3, v19
	v_sub_u32_e32 v23, 29, v33
	v_and_b32_e32 v22, 7, v22
	v_cmp_gt_u32_e64 s[0:1], 8, v19
	v_cndmask_b32_e64 v19, v32, v23, s[0:1]
	v_cndmask_b32_e64 v20, v20, v22, s[0:1]
	v_lshlrev_b32_e32 v9, 24, v9
	v_bfrev_b32_e32 v21, 60
	v_lshlrev_b32_e32 v20, 20, v20
	v_and_b32_e32 v9, 0x80000000, v9
	v_lshl_add_u32 v19, v19, 23, v21
	v_or3_b32 v20, v9, v19, v20
.LBB308_390:                            ;   in Loop: Header=BB308_318 Depth=1
	s_or_b64 exec, exec, s[16:17]
.LBB308_391:                            ;   in Loop: Header=BB308_318 Depth=1
	s_or_b64 exec, exec, s[14:15]
.LBB308_392:                            ;   in Loop: Header=BB308_318 Depth=1
	s_or_b64 exec, exec, s[12:13]
	v_mov_b32_e32 v9, v18
	v_cmp_ne_u16_sdwa s[0:1], v18, v10 src0_sel:BYTE_0 src1_sel:DWORD
	v_mov_b32_e32 v23, 0
	v_mov_b32_e32 v22, 0
	s_and_saveexec_b64 s[12:13], s[0:1]
	s_cbranch_execz .LBB308_398
; %bb.393:                              ;   in Loop: Header=BB308_318 Depth=1
	v_cmp_ne_u16_sdwa s[0:1], v18, s24 src0_sel:BYTE_0 src1_sel:DWORD
	v_bfrev_b32_e32 v22, 1
	s_and_saveexec_b64 s[14:15], s[0:1]
	s_cbranch_execz .LBB308_397
; %bb.394:                              ;   in Loop: Header=BB308_318 Depth=1
	v_and_b32_e32 v19, 0x7f, v18
	v_cmp_ne_u32_e64 s[0:1], s25, v19
	v_mov_b32_e32 v22, 0x7f800001
	s_and_saveexec_b64 s[16:17], s[0:1]
	s_cbranch_execz .LBB308_396
; %bb.395:                              ;   in Loop: Header=BB308_318 Depth=1
	v_and_b32_e32 v22, 7, v18
	v_ffbh_u32_e32 v22, v22
	v_min_u32_e32 v22, 32, v22
	v_lshrrev_b32_e32 v32, 3, v19
	v_subrev_u32_e32 v33, 28, v22
	v_sub_u32_e32 v22, 29, v22
	v_cmp_gt_u32_e64 s[0:1], 8, v19
	v_cndmask_b32_e64 v19, v32, v22, s[0:1]
	v_cndmask_b32_e64 v22, 0, v33, s[0:1]
	v_lshlrev_b64 v[32:33], v22, v[9:10]
	v_bfrev_b32_e32 v21, 60
	v_lshlrev_b32_e32 v22, 20, v32
	v_lshlrev_b32_e32 v32, 24, v9
	v_and_b32_e32 v22, 0x700000, v22
	v_and_b32_e32 v32, 0x80000000, v32
	v_lshl_add_u32 v19, v19, 23, v21
	v_or3_b32 v22, v32, v19, v22
.LBB308_396:                            ;   in Loop: Header=BB308_318 Depth=1
	s_or_b64 exec, exec, s[16:17]
.LBB308_397:                            ;   in Loop: Header=BB308_318 Depth=1
	s_or_b64 exec, exec, s[14:15]
.LBB308_398:                            ;   in Loop: Header=BB308_318 Depth=1
	s_or_b64 exec, exec, s[12:13]
	v_lshrrev_b16_e32 v19, 8, v9
	v_cmp_ne_u16_e64 s[0:1], 0, v19
	s_and_saveexec_b64 s[12:13], s[0:1]
	s_cbranch_execz .LBB308_404
; %bb.399:                              ;   in Loop: Header=BB308_318 Depth=1
	v_cmp_ne_u16_e64 s[0:1], s24, v19
	v_bfrev_b32_e32 v23, 1
	s_and_saveexec_b64 s[14:15], s[0:1]
	s_cbranch_execz .LBB308_403
; %bb.400:                              ;   in Loop: Header=BB308_318 Depth=1
	v_and_b32_e32 v32, 0x7f, v19
	v_cmp_ne_u32_e64 s[0:1], s25, v32
	v_mov_b32_e32 v23, 0x7f800001
	s_and_saveexec_b64 s[16:17], s[0:1]
	s_cbranch_execz .LBB308_402
; %bb.401:                              ;   in Loop: Header=BB308_318 Depth=1
	v_and_b32_e32 v23, 7, v19
	v_ffbh_u32_e32 v33, v23
	v_min_u32_e32 v36, 32, v33
	v_subrev_u32_e32 v33, 28, v36
	v_lshlrev_b64 v[33:34], v33, v[19:20]
	v_lshrrev_b32_e32 v35, 3, v32
	v_sub_u32_e32 v19, 29, v36
	v_and_b32_e32 v33, 7, v33
	v_cmp_gt_u32_e64 s[0:1], 8, v32
	v_cndmask_b32_e64 v19, v35, v19, s[0:1]
	v_cndmask_b32_e64 v23, v23, v33, s[0:1]
	v_lshlrev_b32_e32 v9, 16, v9
	v_bfrev_b32_e32 v21, 60
	v_lshlrev_b32_e32 v23, 20, v23
	v_and_b32_e32 v9, 0x80000000, v9
	v_lshl_add_u32 v19, v19, 23, v21
	v_or3_b32 v23, v9, v19, v23
.LBB308_402:                            ;   in Loop: Header=BB308_318 Depth=1
	s_or_b64 exec, exec, s[16:17]
.LBB308_403:                            ;   in Loop: Header=BB308_318 Depth=1
	s_or_b64 exec, exec, s[14:15]
.LBB308_404:                            ;   in Loop: Header=BB308_318 Depth=1
	s_or_b64 exec, exec, s[12:13]
	v_lshrrev_b32_e32 v9, 16, v18
	v_cmp_ne_u16_sdwa s[0:1], v9, v10 src0_sel:BYTE_0 src1_sel:DWORD
	v_mov_b32_e32 v19, 0
	v_mov_b32_e32 v32, 0
	s_and_saveexec_b64 s[12:13], s[0:1]
	s_cbranch_execz .LBB308_410
; %bb.405:                              ;   in Loop: Header=BB308_318 Depth=1
	v_cmp_ne_u16_sdwa s[0:1], v9, s24 src0_sel:BYTE_0 src1_sel:DWORD
	v_bfrev_b32_e32 v32, 1
	s_and_saveexec_b64 s[14:15], s[0:1]
	s_cbranch_execz .LBB308_409
; %bb.406:                              ;   in Loop: Header=BB308_318 Depth=1
	v_bfe_u32 v33, v18, 16, 7
	v_cmp_ne_u32_e64 s[0:1], s25, v33
	v_mov_b32_e32 v32, 0x7f800001
	s_and_saveexec_b64 s[16:17], s[0:1]
	s_cbranch_execz .LBB308_408
; %bb.407:                              ;   in Loop: Header=BB308_318 Depth=1
	v_and_b32_e32 v32, 7, v9
	v_ffbh_u32_e32 v34, v32
	v_min_u32_e32 v37, 32, v34
	v_subrev_u32_e32 v34, 28, v37
	v_lshlrev_b64 v[34:35], v34, v[9:10]
	v_lshrrev_b32_e32 v36, 3, v33
	v_sub_u32_e32 v35, 29, v37
	v_and_b32_e32 v34, 7, v34
	v_cmp_gt_u32_e64 s[0:1], 8, v33
	v_cndmask_b32_e64 v33, v36, v35, s[0:1]
	v_cndmask_b32_e64 v32, v32, v34, s[0:1]
	v_lshlrev_b32_e32 v9, 24, v9
	v_bfrev_b32_e32 v21, 60
	v_lshlrev_b32_e32 v32, 20, v32
	v_and_b32_e32 v9, 0x80000000, v9
	v_lshl_add_u32 v33, v33, 23, v21
	v_or3_b32 v32, v9, v33, v32
.LBB308_408:                            ;   in Loop: Header=BB308_318 Depth=1
	s_or_b64 exec, exec, s[16:17]
.LBB308_409:                            ;   in Loop: Header=BB308_318 Depth=1
	s_or_b64 exec, exec, s[14:15]
.LBB308_410:                            ;   in Loop: Header=BB308_318 Depth=1
	s_or_b64 exec, exec, s[12:13]
	v_cmp_lt_u64_e64 s[0:1], s[4:5], v[17:18]
	s_and_saveexec_b64 s[12:13], s[0:1]
	s_cbranch_execz .LBB308_416
; %bb.411:                              ;   in Loop: Header=BB308_318 Depth=1
	v_lshrrev_b32_e32 v9, 24, v18
	v_cmp_ne_u32_e64 s[0:1], s24, v9
	v_bfrev_b32_e32 v19, 1
	s_and_saveexec_b64 s[14:15], s[0:1]
	s_cbranch_execz .LBB308_415
; %bb.412:                              ;   in Loop: Header=BB308_318 Depth=1
	v_bfe_u32 v17, v18, 24, 7
	v_cmp_ne_u32_e64 s[0:1], s25, v17
	v_mov_b32_e32 v19, 0x7f800001
	s_and_saveexec_b64 s[16:17], s[0:1]
	s_cbranch_execz .LBB308_414
; %bb.413:                              ;   in Loop: Header=BB308_318 Depth=1
	v_and_b32_e32 v33, 7, v9
	v_ffbh_u32_e32 v18, v33
	v_min_u32_e32 v35, 32, v18
	v_subrev_u32_e32 v18, 28, v35
	v_lshlrev_b64 v[18:19], v18, v[9:10]
	v_lshrrev_b32_e32 v34, 3, v17
	v_sub_u32_e32 v19, 29, v35
	v_and_b32_e32 v18, 7, v18
	v_cmp_gt_u32_e64 s[0:1], 8, v17
	v_cndmask_b32_e64 v17, v34, v19, s[0:1]
	v_cndmask_b32_e64 v18, v33, v18, s[0:1]
	v_lshlrev_b32_e32 v9, 24, v9
	v_bfrev_b32_e32 v19, 60
	v_lshlrev_b32_e32 v18, 20, v18
	v_and_b32_e32 v9, 0x80000000, v9
	v_lshl_add_u32 v17, v17, 23, v19
	v_or3_b32 v19, v9, v17, v18
.LBB308_414:                            ;   in Loop: Header=BB308_318 Depth=1
	s_or_b64 exec, exec, s[16:17]
.LBB308_415:                            ;   in Loop: Header=BB308_318 Depth=1
	s_or_b64 exec, exec, s[14:15]
.LBB308_416:                            ;   in Loop: Header=BB308_318 Depth=1
	s_or_b64 exec, exec, s[12:13]
	v_mul_f32_e32 v9, s18, v23
	v_bfe_u32 v17, v9, 16, 1
	v_add3_u32 v17, v17, v9, s26
	v_or_b32_e32 v18, 0x400000, v9
	v_cmp_u_f32_e64 s[0:1], v9, v9
	v_cndmask_b32_e64 v9, v17, v18, s[0:1]
	v_lshrrev_b32_e32 v9, 16, v9
	buffer_store_dword v9, off, s[44:47], 0 offset:36 ; 4-byte Folded Spill
	v_mul_f32_e32 v9, s18, v22
	v_bfe_u32 v17, v9, 16, 1
	v_add3_u32 v17, v17, v9, s26
	v_or_b32_e32 v18, 0x400000, v9
	v_cmp_u_f32_e64 s[0:1], v9, v9
	v_cndmask_b32_e64 v9, v17, v18, s[0:1]
	v_lshrrev_b32_e32 v9, 16, v9
	buffer_store_dword v9, off, s[44:47], 0 offset:40 ; 4-byte Folded Spill
	v_mul_f32_e32 v9, s18, v20
	v_bfe_u32 v17, v9, 16, 1
	v_add3_u32 v17, v17, v9, s26
	v_or_b32_e32 v18, 0x400000, v9
	v_cmp_u_f32_e64 s[0:1], v9, v9
	v_cndmask_b32_e64 v9, v17, v18, s[0:1]
	v_lshrrev_b32_e32 v50, 16, v9
	v_mul_f32_e32 v9, s18, v12
	v_bfe_u32 v12, v9, 16, 1
	v_add3_u32 v12, v12, v9, s26
	v_or_b32_e32 v17, 0x400000, v9
	v_cmp_u_f32_e64 s[0:1], v9, v9
	v_cndmask_b32_e64 v9, v12, v17, s[0:1]
	v_lshrrev_b32_e32 v51, 16, v9
	v_mul_f32_e32 v9, s18, v11
	v_bfe_u32 v11, v9, 16, 1
	v_add3_u32 v11, v11, v9, s26
	v_or_b32_e32 v12, 0x400000, v9
	v_cmp_u_f32_e64 s[0:1], v9, v9
	v_cndmask_b32_e64 v9, v11, v12, s[0:1]
	v_mul_f32_e32 v0, s18, v0
	v_lshrrev_b32_e32 v53, 16, v9
	v_bfe_u32 v9, v0, 16, 1
	v_add3_u32 v9, v9, v0, s26
	v_or_b32_e32 v11, 0x400000, v0
	v_cmp_u_f32_e64 s[0:1], v0, v0
	v_cndmask_b32_e64 v0, v9, v11, s[0:1]
	v_lshrrev_b32_e32 v54, 16, v0
	v_mul_f32_e32 v0, s18, v32
	v_bfe_u32 v9, v0, 16, 1
	v_add3_u32 v9, v9, v0, s26
	v_or_b32_e32 v11, 0x400000, v0
	v_cmp_u_f32_e64 s[0:1], v0, v0
	v_cndmask_b32_e64 v0, v9, v11, s[0:1]
	v_lshrrev_b32_e32 v0, 16, v0
	buffer_store_dword v0, off, s[44:47], 0 offset:44 ; 4-byte Folded Spill
	v_mul_f32_e32 v0, s18, v19
	v_bfe_u32 v9, v0, 16, 1
	v_add3_u32 v9, v9, v0, s26
	v_or_b32_e32 v11, 0x400000, v0
	v_cmp_u_f32_e64 s[0:1], v0, v0
	v_cndmask_b32_e64 v0, v9, v11, s[0:1]
	v_lshrrev_b32_e32 v52, 16, v0
	s_and_saveexec_b64 s[12:13], vcc
	s_cbranch_execz .LBB308_418
; %bb.417:                              ;   in Loop: Header=BB308_318 Depth=1
	v_cmp_gt_i32_e64 s[0:1], s30, v49
	v_add_u32_e32 v0, -6, v30
	v_cndmask_b32_e64 v54, 0, v54, s[0:1]
	v_cmp_gt_i32_e64 s[0:1], s30, v0
	v_add_u32_e32 v0, -5, v30
	v_cndmask_b32_e64 v53, 0, v53, s[0:1]
	;; [unrolled: 3-line block ×4, first 2 shown]
	v_cmp_gt_i32_e64 s[0:1], s30, v0
	buffer_load_dword v0, off, s[44:47], 0 offset:40 ; 4-byte Folded Reload
	s_waitcnt vmcnt(0)
	v_cndmask_b32_e64 v0, 0, v0, s[0:1]
	buffer_store_dword v0, off, s[44:47], 0 offset:40 ; 4-byte Folded Spill
	v_add_u32_e32 v0, -2, v30
	v_cmp_gt_i32_e64 s[0:1], s30, v0
	buffer_load_dword v0, off, s[44:47], 0 offset:36 ; 4-byte Folded Reload
	s_waitcnt vmcnt(0)
	v_cndmask_b32_e64 v0, 0, v0, s[0:1]
	buffer_store_dword v0, off, s[44:47], 0 offset:36 ; 4-byte Folded Spill
	v_add_u32_e32 v0, -1, v30
	v_cmp_gt_i32_e64 s[0:1], s30, v0
	buffer_load_dword v0, off, s[44:47], 0 offset:44 ; 4-byte Folded Reload
	s_waitcnt vmcnt(0)
	v_cndmask_b32_e64 v0, 0, v0, s[0:1]
	v_cmp_gt_i32_e64 s[0:1], s30, v30
	v_cndmask_b32_e64 v52, 0, v52, s[0:1]
	buffer_store_dword v0, off, s[44:47], 0 offset:44 ; 4-byte Folded Spill
.LBB308_418:                            ;   in Loop: Header=BB308_318 Depth=1
	s_or_b64 exec, exec, s[12:13]
	global_load_dwordx2 v[17:18], v[15:16], off offset:1024
	v_mov_b32_e32 v11, 0
	v_mov_b32_e32 v0, 0
	s_waitcnt vmcnt(0)
	v_cmp_ne_u16_sdwa s[0:1], v17, v10 src0_sel:BYTE_0 src1_sel:DWORD
	s_and_saveexec_b64 s[12:13], s[0:1]
	s_cbranch_execz .LBB308_424
; %bb.419:                              ;   in Loop: Header=BB308_318 Depth=1
	v_cmp_ne_u16_sdwa s[0:1], v17, s24 src0_sel:BYTE_0 src1_sel:DWORD
	v_bfrev_b32_e32 v0, 1
	s_and_saveexec_b64 s[14:15], s[0:1]
	s_cbranch_execz .LBB308_423
; %bb.420:                              ;   in Loop: Header=BB308_318 Depth=1
	v_and_b32_e32 v9, 0x7f, v17
	v_cmp_ne_u32_e64 s[0:1], s25, v9
	v_mov_b32_e32 v0, 0x7f800001
	s_and_saveexec_b64 s[16:17], s[0:1]
	s_cbranch_execz .LBB308_422
; %bb.421:                              ;   in Loop: Header=BB308_318 Depth=1
	v_and_b32_e32 v0, 7, v17
	v_ffbh_u32_e32 v0, v0
	v_min_u32_e32 v0, 32, v0
	v_subrev_u32_e32 v19, 28, v0
	v_cmp_gt_u32_e64 s[0:1], 8, v9
	v_lshrrev_b32_e32 v12, 3, v9
	v_cndmask_b32_e64 v9, 0, v19, s[0:1]
	v_lshlrev_b64 v[19:20], v9, v[17:18]
	v_sub_u32_e32 v0, 29, v0
	v_cndmask_b32_e64 v0, v12, v0, s[0:1]
	v_lshlrev_b32_e32 v9, 20, v19
	v_lshlrev_b32_e32 v12, 24, v17
	v_bfrev_b32_e32 v19, 60
	v_and_b32_e32 v9, 0x700000, v9
	v_and_b32_e32 v12, 0x80000000, v12
	v_lshl_add_u32 v0, v0, 23, v19
	v_or3_b32 v0, v12, v0, v9
.LBB308_422:                            ;   in Loop: Header=BB308_318 Depth=1
	s_or_b64 exec, exec, s[16:17]
.LBB308_423:                            ;   in Loop: Header=BB308_318 Depth=1
	s_or_b64 exec, exec, s[14:15]
.LBB308_424:                            ;   in Loop: Header=BB308_318 Depth=1
	s_or_b64 exec, exec, s[12:13]
	v_lshrrev_b16_e32 v9, 8, v17
	v_cmp_ne_u16_e64 s[0:1], 0, v9
	s_and_saveexec_b64 s[12:13], s[0:1]
	s_cbranch_execz .LBB308_430
; %bb.425:                              ;   in Loop: Header=BB308_318 Depth=1
	v_cmp_ne_u16_e64 s[0:1], s24, v9
	v_bfrev_b32_e32 v11, 1
	s_and_saveexec_b64 s[14:15], s[0:1]
	s_cbranch_execz .LBB308_429
; %bb.426:                              ;   in Loop: Header=BB308_318 Depth=1
	v_and_b32_e32 v12, 0x7f, v9
	v_cmp_ne_u32_e64 s[0:1], s25, v12
	v_mov_b32_e32 v11, 0x7f800001
	s_and_saveexec_b64 s[16:17], s[0:1]
	s_cbranch_execz .LBB308_428
; %bb.427:                              ;   in Loop: Header=BB308_318 Depth=1
	v_and_b32_e32 v11, 7, v9
	v_ffbh_u32_e32 v19, v11
	v_min_u32_e32 v23, 32, v19
	v_subrev_u32_e32 v19, 28, v23
	v_lshlrev_b64 v[19:20], v19, v[9:10]
	v_lshrrev_b32_e32 v22, 3, v12
	v_sub_u32_e32 v9, 29, v23
	v_and_b32_e32 v19, 7, v19
	v_cmp_gt_u32_e64 s[0:1], 8, v12
	v_cndmask_b32_e64 v9, v22, v9, s[0:1]
	v_cndmask_b32_e64 v11, v11, v19, s[0:1]
	v_lshlrev_b32_e32 v12, 16, v17
	v_bfrev_b32_e32 v19, 60
	v_lshlrev_b32_e32 v11, 20, v11
	v_and_b32_e32 v12, 0x80000000, v12
	v_lshl_add_u32 v9, v9, 23, v19
	v_or3_b32 v11, v12, v9, v11
.LBB308_428:                            ;   in Loop: Header=BB308_318 Depth=1
	s_or_b64 exec, exec, s[16:17]
.LBB308_429:                            ;   in Loop: Header=BB308_318 Depth=1
	s_or_b64 exec, exec, s[14:15]
.LBB308_430:                            ;   in Loop: Header=BB308_318 Depth=1
	s_or_b64 exec, exec, s[12:13]
	v_lshrrev_b32_e32 v9, 16, v17
	v_cmp_ne_u16_sdwa s[0:1], v9, v10 src0_sel:BYTE_0 src1_sel:DWORD
	v_mov_b32_e32 v20, 0
	v_mov_b32_e32 v12, 0
	s_and_saveexec_b64 s[12:13], s[0:1]
	s_cbranch_execz .LBB308_436
; %bb.431:                              ;   in Loop: Header=BB308_318 Depth=1
	v_cmp_ne_u16_sdwa s[0:1], v9, s24 src0_sel:BYTE_0 src1_sel:DWORD
	v_bfrev_b32_e32 v12, 1
	s_and_saveexec_b64 s[14:15], s[0:1]
	s_cbranch_execz .LBB308_435
; %bb.432:                              ;   in Loop: Header=BB308_318 Depth=1
	v_bfe_u32 v19, v17, 16, 7
	v_cmp_ne_u32_e64 s[0:1], s25, v19
	v_mov_b32_e32 v12, 0x7f800001
	s_and_saveexec_b64 s[16:17], s[0:1]
	s_cbranch_execz .LBB308_434
; %bb.433:                              ;   in Loop: Header=BB308_318 Depth=1
	v_and_b32_e32 v12, 7, v9
	v_lshrrev_b32_e32 v32, 3, v19
	v_cmp_gt_u32_e64 s[0:1], 8, v19
	v_ffbh_u32_e32 v19, v12
	v_min_u32_e32 v19, 32, v19
	v_subrev_u32_e32 v22, 28, v19
	v_lshlrev_b64 v[22:23], v22, v[9:10]
	v_sub_u32_e32 v19, 29, v19
	v_and_b32_e32 v22, 7, v22
	v_cndmask_b32_e64 v19, v32, v19, s[0:1]
	v_cndmask_b32_e64 v12, v12, v22, s[0:1]
	v_lshlrev_b32_e32 v9, 24, v9
	v_bfrev_b32_e32 v21, 60
	v_lshlrev_b32_e32 v12, 20, v12
	v_and_b32_e32 v9, 0x80000000, v9
	v_lshl_add_u32 v19, v19, 23, v21
	v_or3_b32 v12, v9, v19, v12
.LBB308_434:                            ;   in Loop: Header=BB308_318 Depth=1
	s_or_b64 exec, exec, s[16:17]
.LBB308_435:                            ;   in Loop: Header=BB308_318 Depth=1
	s_or_b64 exec, exec, s[14:15]
.LBB308_436:                            ;   in Loop: Header=BB308_318 Depth=1
	s_or_b64 exec, exec, s[12:13]
	v_cmp_lt_u32_e64 s[0:1], s5, v17
	s_and_saveexec_b64 s[12:13], s[0:1]
	s_cbranch_execz .LBB308_442
; %bb.437:                              ;   in Loop: Header=BB308_318 Depth=1
	v_lshrrev_b32_e32 v9, 24, v17
	v_cmp_ne_u32_e64 s[0:1], s24, v9
	v_bfrev_b32_e32 v20, 1
	s_and_saveexec_b64 s[14:15], s[0:1]
	s_cbranch_execz .LBB308_441
; %bb.438:                              ;   in Loop: Header=BB308_318 Depth=1
	v_bfe_u32 v19, v17, 24, 7
	v_cmp_ne_u32_e64 s[0:1], s25, v19
	v_mov_b32_e32 v20, 0x7f800001
	s_and_saveexec_b64 s[16:17], s[0:1]
	s_cbranch_execz .LBB308_440
; %bb.439:                              ;   in Loop: Header=BB308_318 Depth=1
	v_and_b32_e32 v22, 7, v9
	v_lshrrev_b32_e32 v23, 3, v19
	v_cmp_gt_u32_e64 s[0:1], 8, v19
	v_ffbh_u32_e32 v19, v22
	v_min_u32_e32 v32, 32, v19
	v_subrev_u32_e32 v19, 28, v32
	v_lshlrev_b64 v[19:20], v19, v[9:10]
	v_sub_u32_e32 v20, 29, v32
	v_and_b32_e32 v19, 7, v19
	v_cndmask_b32_e64 v20, v23, v20, s[0:1]
	v_cndmask_b32_e64 v19, v22, v19, s[0:1]
	v_lshlrev_b32_e32 v9, 24, v9
	v_bfrev_b32_e32 v21, 60
	v_lshlrev_b32_e32 v19, 20, v19
	v_and_b32_e32 v9, 0x80000000, v9
	v_lshl_add_u32 v20, v20, 23, v21
	v_or3_b32 v20, v9, v20, v19
.LBB308_440:                            ;   in Loop: Header=BB308_318 Depth=1
	s_or_b64 exec, exec, s[16:17]
.LBB308_441:                            ;   in Loop: Header=BB308_318 Depth=1
	s_or_b64 exec, exec, s[14:15]
.LBB308_442:                            ;   in Loop: Header=BB308_318 Depth=1
	s_or_b64 exec, exec, s[12:13]
	v_mov_b32_e32 v9, v18
	v_cmp_ne_u16_sdwa s[0:1], v18, v10 src0_sel:BYTE_0 src1_sel:DWORD
	v_mov_b32_e32 v23, 0
	v_mov_b32_e32 v22, 0
	s_and_saveexec_b64 s[12:13], s[0:1]
	s_cbranch_execz .LBB308_448
; %bb.443:                              ;   in Loop: Header=BB308_318 Depth=1
	v_cmp_ne_u16_sdwa s[0:1], v18, s24 src0_sel:BYTE_0 src1_sel:DWORD
	v_bfrev_b32_e32 v22, 1
	s_and_saveexec_b64 s[14:15], s[0:1]
	s_cbranch_execz .LBB308_447
; %bb.444:                              ;   in Loop: Header=BB308_318 Depth=1
	v_and_b32_e32 v19, 0x7f, v18
	v_cmp_ne_u32_e64 s[0:1], s25, v19
	v_mov_b32_e32 v22, 0x7f800001
	s_and_saveexec_b64 s[16:17], s[0:1]
	s_cbranch_execz .LBB308_446
; %bb.445:                              ;   in Loop: Header=BB308_318 Depth=1
	v_and_b32_e32 v22, 7, v18
	v_lshrrev_b32_e32 v32, 3, v19
	v_cmp_gt_u32_e64 s[0:1], 8, v19
	v_ffbh_u32_e32 v19, v22
	v_min_u32_e32 v19, 32, v19
	v_subrev_u32_e32 v22, 28, v19
	v_sub_u32_e32 v19, 29, v19
	v_cndmask_b32_e64 v22, 0, v22, s[0:1]
	v_cndmask_b32_e64 v19, v32, v19, s[0:1]
	v_lshlrev_b64 v[32:33], v22, v[9:10]
	v_bfrev_b32_e32 v21, 60
	v_lshlrev_b32_e32 v22, 20, v32
	v_lshlrev_b32_e32 v32, 24, v9
	v_and_b32_e32 v22, 0x700000, v22
	v_and_b32_e32 v32, 0x80000000, v32
	v_lshl_add_u32 v19, v19, 23, v21
	v_or3_b32 v22, v32, v19, v22
.LBB308_446:                            ;   in Loop: Header=BB308_318 Depth=1
	s_or_b64 exec, exec, s[16:17]
.LBB308_447:                            ;   in Loop: Header=BB308_318 Depth=1
	s_or_b64 exec, exec, s[14:15]
.LBB308_448:                            ;   in Loop: Header=BB308_318 Depth=1
	s_or_b64 exec, exec, s[12:13]
	v_lshrrev_b16_e32 v19, 8, v9
	v_cmp_ne_u16_e64 s[0:1], 0, v19
	s_and_saveexec_b64 s[12:13], s[0:1]
	s_cbranch_execz .LBB308_454
; %bb.449:                              ;   in Loop: Header=BB308_318 Depth=1
	v_cmp_ne_u16_e64 s[0:1], s24, v19
	v_bfrev_b32_e32 v23, 1
	s_and_saveexec_b64 s[14:15], s[0:1]
	s_cbranch_execz .LBB308_453
; %bb.450:                              ;   in Loop: Header=BB308_318 Depth=1
	v_and_b32_e32 v32, 0x7f, v19
	v_cmp_ne_u32_e64 s[0:1], s25, v32
	v_mov_b32_e32 v23, 0x7f800001
	s_and_saveexec_b64 s[16:17], s[0:1]
	s_cbranch_execz .LBB308_452
; %bb.451:                              ;   in Loop: Header=BB308_318 Depth=1
	v_and_b32_e32 v23, 7, v19
	v_lshrrev_b32_e32 v34, 3, v32
	v_cmp_gt_u32_e64 s[0:1], 8, v32
	v_ffbh_u32_e32 v32, v23
	v_min_u32_e32 v35, 32, v32
	v_subrev_u32_e32 v32, 28, v35
	v_lshlrev_b64 v[32:33], v32, v[19:20]
	v_sub_u32_e32 v19, 29, v35
	v_and_b32_e32 v32, 7, v32
	v_cndmask_b32_e64 v19, v34, v19, s[0:1]
	v_cndmask_b32_e64 v23, v23, v32, s[0:1]
	v_lshlrev_b32_e32 v9, 16, v9
	v_bfrev_b32_e32 v21, 60
	v_lshlrev_b32_e32 v23, 20, v23
	v_and_b32_e32 v9, 0x80000000, v9
	v_lshl_add_u32 v19, v19, 23, v21
	v_or3_b32 v23, v9, v19, v23
.LBB308_452:                            ;   in Loop: Header=BB308_318 Depth=1
	s_or_b64 exec, exec, s[16:17]
.LBB308_453:                            ;   in Loop: Header=BB308_318 Depth=1
	s_or_b64 exec, exec, s[14:15]
.LBB308_454:                            ;   in Loop: Header=BB308_318 Depth=1
	s_or_b64 exec, exec, s[12:13]
	v_lshrrev_b32_e32 v9, 16, v18
	v_cmp_ne_u16_sdwa s[0:1], v9, v10 src0_sel:BYTE_0 src1_sel:DWORD
	v_mov_b32_e32 v19, 0
	v_mov_b32_e32 v32, 0
	s_and_saveexec_b64 s[12:13], s[0:1]
	s_cbranch_execz .LBB308_460
; %bb.455:                              ;   in Loop: Header=BB308_318 Depth=1
	v_cmp_ne_u16_sdwa s[0:1], v9, s24 src0_sel:BYTE_0 src1_sel:DWORD
	v_bfrev_b32_e32 v32, 1
	s_and_saveexec_b64 s[14:15], s[0:1]
	s_cbranch_execz .LBB308_459
; %bb.456:                              ;   in Loop: Header=BB308_318 Depth=1
	v_bfe_u32 v33, v18, 16, 7
	v_cmp_ne_u32_e64 s[0:1], s25, v33
	v_mov_b32_e32 v32, 0x7f800001
	s_and_saveexec_b64 s[16:17], s[0:1]
	s_cbranch_execz .LBB308_458
; %bb.457:                              ;   in Loop: Header=BB308_318 Depth=1
	v_and_b32_e32 v34, 7, v9
	v_ffbh_u32_e32 v32, v34
	v_min_u32_e32 v36, 32, v32
	v_subrev_u32_e32 v32, 28, v36
	v_lshrrev_b32_e32 v35, 3, v33
	v_cmp_gt_u32_e64 s[0:1], 8, v33
	v_lshlrev_b64 v[32:33], v32, v[9:10]
	v_sub_u32_e32 v33, 29, v36
	v_and_b32_e32 v32, 7, v32
	v_cndmask_b32_e64 v33, v35, v33, s[0:1]
	v_cndmask_b32_e64 v32, v34, v32, s[0:1]
	v_lshlrev_b32_e32 v9, 24, v9
	v_bfrev_b32_e32 v21, 60
	v_lshlrev_b32_e32 v32, 20, v32
	v_and_b32_e32 v9, 0x80000000, v9
	v_lshl_add_u32 v33, v33, 23, v21
	v_or3_b32 v32, v9, v33, v32
.LBB308_458:                            ;   in Loop: Header=BB308_318 Depth=1
	s_or_b64 exec, exec, s[16:17]
.LBB308_459:                            ;   in Loop: Header=BB308_318 Depth=1
	s_or_b64 exec, exec, s[14:15]
.LBB308_460:                            ;   in Loop: Header=BB308_318 Depth=1
	s_or_b64 exec, exec, s[12:13]
	v_cmp_lt_u64_e64 s[0:1], s[4:5], v[17:18]
	s_and_saveexec_b64 s[12:13], s[0:1]
	s_cbranch_execz .LBB308_466
; %bb.461:                              ;   in Loop: Header=BB308_318 Depth=1
	v_lshrrev_b32_e32 v9, 24, v18
	v_cmp_ne_u32_e64 s[0:1], s24, v9
	v_bfrev_b32_e32 v19, 1
	s_and_saveexec_b64 s[14:15], s[0:1]
	s_cbranch_execz .LBB308_465
; %bb.462:                              ;   in Loop: Header=BB308_318 Depth=1
	v_bfe_u32 v17, v18, 24, 7
	v_cmp_ne_u32_e64 s[0:1], s25, v17
	v_mov_b32_e32 v19, 0x7f800001
	s_and_saveexec_b64 s[16:17], s[0:1]
	s_cbranch_execz .LBB308_464
; %bb.463:                              ;   in Loop: Header=BB308_318 Depth=1
	v_and_b32_e32 v19, 7, v9
	v_lshrrev_b32_e32 v33, 3, v17
	v_cmp_gt_u32_e64 s[0:1], 8, v17
	v_ffbh_u32_e32 v17, v19
	v_min_u32_e32 v34, 32, v17
	v_subrev_u32_e32 v17, 28, v34
	v_lshlrev_b64 v[17:18], v17, v[9:10]
	v_sub_u32_e32 v18, 29, v34
	v_and_b32_e32 v17, 7, v17
	v_cndmask_b32_e64 v18, v33, v18, s[0:1]
	v_cndmask_b32_e64 v17, v19, v17, s[0:1]
	v_lshlrev_b32_e32 v9, 24, v9
	v_bfrev_b32_e32 v19, 60
	v_lshlrev_b32_e32 v17, 20, v17
	v_and_b32_e32 v9, 0x80000000, v9
	v_lshl_add_u32 v18, v18, 23, v19
	v_or3_b32 v19, v9, v18, v17
.LBB308_464:                            ;   in Loop: Header=BB308_318 Depth=1
	s_or_b64 exec, exec, s[16:17]
.LBB308_465:                            ;   in Loop: Header=BB308_318 Depth=1
	s_or_b64 exec, exec, s[14:15]
.LBB308_466:                            ;   in Loop: Header=BB308_318 Depth=1
	s_or_b64 exec, exec, s[12:13]
	v_mul_f32_e32 v9, s18, v23
	v_bfe_u32 v17, v9, 16, 1
	v_add3_u32 v17, v17, v9, s26
	v_or_b32_e32 v18, 0x400000, v9
	v_cmp_u_f32_e64 s[0:1], v9, v9
	v_cndmask_b32_e64 v9, v17, v18, s[0:1]
	v_lshrrev_b32_e32 v55, 16, v9
	v_mul_f32_e32 v9, s18, v22
	v_bfe_u32 v17, v9, 16, 1
	v_add3_u32 v17, v17, v9, s26
	v_or_b32_e32 v18, 0x400000, v9
	v_cmp_u_f32_e64 s[0:1], v9, v9
	v_cndmask_b32_e64 v9, v17, v18, s[0:1]
	v_lshrrev_b32_e32 v56, 16, v9
	;; [unrolled: 7-line block ×4, first 2 shown]
	v_mul_f32_e32 v9, s18, v11
	v_bfe_u32 v11, v9, 16, 1
	v_add3_u32 v11, v11, v9, s26
	v_or_b32_e32 v12, 0x400000, v9
	v_cmp_u_f32_e64 s[0:1], v9, v9
	v_cndmask_b32_e64 v9, v11, v12, s[0:1]
	v_mul_f32_e32 v0, s18, v0
	v_lshrrev_b32_e32 v61, 16, v9
	v_bfe_u32 v9, v0, 16, 1
	v_add3_u32 v9, v9, v0, s26
	v_or_b32_e32 v11, 0x400000, v0
	v_cmp_u_f32_e64 s[0:1], v0, v0
	v_cndmask_b32_e64 v0, v9, v11, s[0:1]
	v_lshrrev_b32_e32 v62, 16, v0
	v_mul_f32_e32 v0, s18, v32
	v_bfe_u32 v9, v0, 16, 1
	v_add3_u32 v9, v9, v0, s26
	v_or_b32_e32 v11, 0x400000, v0
	v_cmp_u_f32_e64 s[0:1], v0, v0
	v_cndmask_b32_e64 v0, v9, v11, s[0:1]
	v_lshrrev_b32_e32 v57, 16, v0
	v_mul_f32_e32 v0, s18, v19
	v_bfe_u32 v9, v0, 16, 1
	v_add3_u32 v9, v9, v0, s26
	v_or_b32_e32 v11, 0x400000, v0
	v_cmp_u_f32_e64 s[0:1], v0, v0
	v_cndmask_b32_e64 v0, v9, v11, s[0:1]
	v_lshrrev_b32_e32 v60, 16, v0
	s_and_saveexec_b64 s[12:13], vcc
	s_cbranch_execz .LBB308_468
; %bb.467:                              ;   in Loop: Header=BB308_318 Depth=1
	v_cmp_gt_i32_e64 s[0:1], s30, v49
	v_add_u32_e32 v0, -6, v30
	v_cndmask_b32_e64 v62, 0, v62, s[0:1]
	v_cmp_gt_i32_e64 s[0:1], s30, v0
	v_add_u32_e32 v0, -5, v30
	v_cndmask_b32_e64 v61, 0, v61, s[0:1]
	;; [unrolled: 3-line block ×6, first 2 shown]
	v_cmp_gt_i32_e64 s[0:1], s30, v0
	v_cndmask_b32_e64 v57, 0, v57, s[0:1]
	v_cmp_gt_i32_e64 s[0:1], s30, v30
	v_cndmask_b32_e64 v60, 0, v60, s[0:1]
.LBB308_468:                            ;   in Loop: Header=BB308_318 Depth=1
	s_or_b64 exec, exec, s[12:13]
	global_load_dwordx2 v[17:18], v[15:16], off offset:1536
	v_mov_b32_e32 v12, 0
	v_mov_b32_e32 v0, 0
	s_waitcnt vmcnt(0)
	v_cmp_ne_u16_sdwa s[0:1], v17, v10 src0_sel:BYTE_0 src1_sel:DWORD
	s_and_saveexec_b64 s[12:13], s[0:1]
	s_cbranch_execz .LBB308_474
; %bb.469:                              ;   in Loop: Header=BB308_318 Depth=1
	v_cmp_ne_u16_sdwa s[0:1], v17, s24 src0_sel:BYTE_0 src1_sel:DWORD
	v_bfrev_b32_e32 v0, 1
	s_and_saveexec_b64 s[14:15], s[0:1]
	s_cbranch_execz .LBB308_473
; %bb.470:                              ;   in Loop: Header=BB308_318 Depth=1
	v_and_b32_e32 v9, 0x7f, v17
	v_cmp_ne_u32_e64 s[0:1], s25, v9
	v_mov_b32_e32 v0, 0x7f800001
	s_and_saveexec_b64 s[16:17], s[0:1]
	s_cbranch_execz .LBB308_472
; %bb.471:                              ;   in Loop: Header=BB308_318 Depth=1
	v_and_b32_e32 v0, 7, v17
	v_ffbh_u32_e32 v0, v0
	v_min_u32_e32 v0, 32, v0
	v_lshrrev_b32_e32 v11, 3, v9
	v_cmp_gt_u32_e64 s[0:1], 8, v9
	v_subrev_u32_e32 v9, 28, v0
	v_cndmask_b32_e64 v9, 0, v9, s[0:1]
	v_lshlrev_b64 v[19:20], v9, v[17:18]
	v_sub_u32_e32 v0, 29, v0
	v_cndmask_b32_e64 v0, v11, v0, s[0:1]
	v_lshlrev_b32_e32 v9, 20, v19
	v_lshlrev_b32_e32 v11, 24, v17
	v_bfrev_b32_e32 v19, 60
	v_and_b32_e32 v9, 0x700000, v9
	v_and_b32_e32 v11, 0x80000000, v11
	v_lshl_add_u32 v0, v0, 23, v19
	v_or3_b32 v0, v11, v0, v9
.LBB308_472:                            ;   in Loop: Header=BB308_318 Depth=1
	s_or_b64 exec, exec, s[16:17]
.LBB308_473:                            ;   in Loop: Header=BB308_318 Depth=1
	s_or_b64 exec, exec, s[14:15]
.LBB308_474:                            ;   in Loop: Header=BB308_318 Depth=1
	s_or_b64 exec, exec, s[12:13]
	v_lshrrev_b16_e32 v9, 8, v17
	v_cmp_ne_u16_e64 s[0:1], 0, v9
	s_and_saveexec_b64 s[12:13], s[0:1]
	s_cbranch_execz .LBB308_480
; %bb.475:                              ;   in Loop: Header=BB308_318 Depth=1
	v_cmp_ne_u16_e64 s[0:1], s24, v9
	v_bfrev_b32_e32 v12, 1
	s_and_saveexec_b64 s[14:15], s[0:1]
	s_cbranch_execz .LBB308_479
; %bb.476:                              ;   in Loop: Header=BB308_318 Depth=1
	v_and_b32_e32 v11, 0x7f, v9
	v_cmp_ne_u32_e64 s[0:1], s25, v11
	v_mov_b32_e32 v12, 0x7f800001
	s_and_saveexec_b64 s[16:17], s[0:1]
	s_cbranch_execz .LBB308_478
; %bb.477:                              ;   in Loop: Header=BB308_318 Depth=1
	v_and_b32_e32 v19, 7, v9
	v_lshrrev_b32_e32 v20, 3, v11
	v_cmp_gt_u32_e64 s[0:1], 8, v11
	v_ffbh_u32_e32 v11, v19
	v_min_u32_e32 v22, 32, v11
	v_subrev_u32_e32 v11, 28, v22
	v_lshlrev_b64 v[11:12], v11, v[9:10]
	v_sub_u32_e32 v9, 29, v22
	v_and_b32_e32 v11, 7, v11
	v_cndmask_b32_e64 v9, v20, v9, s[0:1]
	v_cndmask_b32_e64 v11, v19, v11, s[0:1]
	v_lshlrev_b32_e32 v12, 16, v17
	v_bfrev_b32_e32 v19, 60
	v_lshlrev_b32_e32 v11, 20, v11
	v_and_b32_e32 v12, 0x80000000, v12
	v_lshl_add_u32 v9, v9, 23, v19
	v_or3_b32 v12, v12, v9, v11
.LBB308_478:                            ;   in Loop: Header=BB308_318 Depth=1
	s_or_b64 exec, exec, s[16:17]
.LBB308_479:                            ;   in Loop: Header=BB308_318 Depth=1
	s_or_b64 exec, exec, s[14:15]
.LBB308_480:                            ;   in Loop: Header=BB308_318 Depth=1
	s_or_b64 exec, exec, s[12:13]
	v_lshrrev_b32_e32 v9, 16, v17
	v_cmp_ne_u16_sdwa s[0:1], v9, v10 src0_sel:BYTE_0 src1_sel:DWORD
	v_mov_b32_e32 v11, 0
	v_mov_b32_e32 v20, 0
	s_and_saveexec_b64 s[12:13], s[0:1]
	s_cbranch_execz .LBB308_486
; %bb.481:                              ;   in Loop: Header=BB308_318 Depth=1
	v_cmp_ne_u16_sdwa s[0:1], v9, s24 src0_sel:BYTE_0 src1_sel:DWORD
	v_bfrev_b32_e32 v20, 1
	s_and_saveexec_b64 s[14:15], s[0:1]
	s_cbranch_execz .LBB308_485
; %bb.482:                              ;   in Loop: Header=BB308_318 Depth=1
	v_bfe_u32 v19, v17, 16, 7
	v_cmp_ne_u32_e64 s[0:1], s25, v19
	v_mov_b32_e32 v20, 0x7f800001
	s_and_saveexec_b64 s[16:17], s[0:1]
	s_cbranch_execz .LBB308_484
; %bb.483:                              ;   in Loop: Header=BB308_318 Depth=1
	v_and_b32_e32 v22, 7, v9
	v_lshrrev_b32_e32 v23, 3, v19
	v_cmp_gt_u32_e64 s[0:1], 8, v19
	v_ffbh_u32_e32 v19, v22
	v_min_u32_e32 v32, 32, v19
	v_subrev_u32_e32 v19, 28, v32
	v_lshlrev_b64 v[19:20], v19, v[9:10]
	v_sub_u32_e32 v20, 29, v32
	v_and_b32_e32 v19, 7, v19
	v_cndmask_b32_e64 v20, v23, v20, s[0:1]
	v_cndmask_b32_e64 v19, v22, v19, s[0:1]
	v_lshlrev_b32_e32 v9, 24, v9
	v_bfrev_b32_e32 v21, 60
	v_lshlrev_b32_e32 v19, 20, v19
	v_and_b32_e32 v9, 0x80000000, v9
	v_lshl_add_u32 v20, v20, 23, v21
	v_or3_b32 v20, v9, v20, v19
.LBB308_484:                            ;   in Loop: Header=BB308_318 Depth=1
	s_or_b64 exec, exec, s[16:17]
.LBB308_485:                            ;   in Loop: Header=BB308_318 Depth=1
	s_or_b64 exec, exec, s[14:15]
.LBB308_486:                            ;   in Loop: Header=BB308_318 Depth=1
	s_or_b64 exec, exec, s[12:13]
	v_cmp_lt_u32_e64 s[0:1], s5, v17
	s_and_saveexec_b64 s[12:13], s[0:1]
	s_cbranch_execz .LBB308_492
; %bb.487:                              ;   in Loop: Header=BB308_318 Depth=1
	v_lshrrev_b32_e32 v9, 24, v17
	v_cmp_ne_u32_e64 s[0:1], s24, v9
	v_bfrev_b32_e32 v11, 1
	s_and_saveexec_b64 s[14:15], s[0:1]
	s_cbranch_execz .LBB308_491
; %bb.488:                              ;   in Loop: Header=BB308_318 Depth=1
	v_bfe_u32 v19, v17, 24, 7
	v_cmp_ne_u32_e64 s[0:1], s25, v19
	v_mov_b32_e32 v11, 0x7f800001
	s_and_saveexec_b64 s[16:17], s[0:1]
	s_cbranch_execz .LBB308_490
; %bb.489:                              ;   in Loop: Header=BB308_318 Depth=1
	v_and_b32_e32 v11, 7, v9
	v_lshrrev_b32_e32 v32, 3, v19
	v_cmp_gt_u32_e64 s[0:1], 8, v19
	v_ffbh_u32_e32 v19, v11
	v_min_u32_e32 v19, 32, v19
	v_subrev_u32_e32 v22, 28, v19
	v_lshlrev_b64 v[22:23], v22, v[9:10]
	v_sub_u32_e32 v19, 29, v19
	v_and_b32_e32 v22, 7, v22
	v_cndmask_b32_e64 v19, v32, v19, s[0:1]
	v_cndmask_b32_e64 v11, v11, v22, s[0:1]
	v_lshlrev_b32_e32 v9, 24, v9
	v_bfrev_b32_e32 v21, 60
	v_lshlrev_b32_e32 v11, 20, v11
	v_and_b32_e32 v9, 0x80000000, v9
	v_lshl_add_u32 v19, v19, 23, v21
	v_or3_b32 v11, v9, v19, v11
.LBB308_490:                            ;   in Loop: Header=BB308_318 Depth=1
	s_or_b64 exec, exec, s[16:17]
.LBB308_491:                            ;   in Loop: Header=BB308_318 Depth=1
	s_or_b64 exec, exec, s[14:15]
.LBB308_492:                            ;   in Loop: Header=BB308_318 Depth=1
	s_or_b64 exec, exec, s[12:13]
	v_mov_b32_e32 v9, v18
	v_cmp_ne_u16_sdwa s[0:1], v18, v10 src0_sel:BYTE_0 src1_sel:DWORD
	v_mov_b32_e32 v23, 0
	v_mov_b32_e32 v22, 0
	s_and_saveexec_b64 s[12:13], s[0:1]
	s_cbranch_execz .LBB308_498
; %bb.493:                              ;   in Loop: Header=BB308_318 Depth=1
	v_cmp_ne_u16_sdwa s[0:1], v18, s24 src0_sel:BYTE_0 src1_sel:DWORD
	v_bfrev_b32_e32 v22, 1
	s_and_saveexec_b64 s[14:15], s[0:1]
	s_cbranch_execz .LBB308_497
; %bb.494:                              ;   in Loop: Header=BB308_318 Depth=1
	v_and_b32_e32 v19, 0x7f, v18
	v_cmp_ne_u32_e64 s[0:1], s25, v19
	v_mov_b32_e32 v22, 0x7f800001
	s_and_saveexec_b64 s[16:17], s[0:1]
	s_cbranch_execz .LBB308_496
; %bb.495:                              ;   in Loop: Header=BB308_318 Depth=1
	v_and_b32_e32 v22, 7, v18
	v_lshrrev_b32_e32 v32, 3, v19
	v_cmp_gt_u32_e64 s[0:1], 8, v19
	v_ffbh_u32_e32 v19, v22
	v_min_u32_e32 v19, 32, v19
	v_subrev_u32_e32 v22, 28, v19
	v_sub_u32_e32 v19, 29, v19
	v_cndmask_b32_e64 v22, 0, v22, s[0:1]
	v_cndmask_b32_e64 v19, v32, v19, s[0:1]
	v_lshlrev_b64 v[32:33], v22, v[9:10]
	v_bfrev_b32_e32 v21, 60
	v_lshlrev_b32_e32 v22, 20, v32
	v_lshlrev_b32_e32 v32, 24, v9
	v_and_b32_e32 v22, 0x700000, v22
	v_and_b32_e32 v32, 0x80000000, v32
	v_lshl_add_u32 v19, v19, 23, v21
	v_or3_b32 v22, v32, v19, v22
.LBB308_496:                            ;   in Loop: Header=BB308_318 Depth=1
	s_or_b64 exec, exec, s[16:17]
.LBB308_497:                            ;   in Loop: Header=BB308_318 Depth=1
	s_or_b64 exec, exec, s[14:15]
.LBB308_498:                            ;   in Loop: Header=BB308_318 Depth=1
	s_or_b64 exec, exec, s[12:13]
	v_lshrrev_b16_e32 v19, 8, v9
	v_cmp_ne_u16_e64 s[0:1], 0, v19
	s_and_saveexec_b64 s[12:13], s[0:1]
	s_cbranch_execz .LBB308_504
; %bb.499:                              ;   in Loop: Header=BB308_318 Depth=1
	v_cmp_ne_u16_e64 s[0:1], s24, v19
	v_bfrev_b32_e32 v23, 1
	s_and_saveexec_b64 s[14:15], s[0:1]
	s_cbranch_execz .LBB308_503
; %bb.500:                              ;   in Loop: Header=BB308_318 Depth=1
	v_and_b32_e32 v32, 0x7f, v19
	v_cmp_ne_u32_e64 s[0:1], s25, v32
	v_mov_b32_e32 v23, 0x7f800001
	s_and_saveexec_b64 s[16:17], s[0:1]
	s_cbranch_execz .LBB308_502
; %bb.501:                              ;   in Loop: Header=BB308_318 Depth=1
	v_and_b32_e32 v23, 7, v19
	v_lshrrev_b32_e32 v34, 3, v32
	v_cmp_gt_u32_e64 s[0:1], 8, v32
	v_ffbh_u32_e32 v32, v23
	v_min_u32_e32 v35, 32, v32
	v_subrev_u32_e32 v32, 28, v35
	v_lshlrev_b64 v[32:33], v32, v[19:20]
	v_sub_u32_e32 v19, 29, v35
	v_and_b32_e32 v32, 7, v32
	v_cndmask_b32_e64 v19, v34, v19, s[0:1]
	v_cndmask_b32_e64 v23, v23, v32, s[0:1]
	v_lshlrev_b32_e32 v9, 16, v9
	v_bfrev_b32_e32 v21, 60
	v_lshlrev_b32_e32 v23, 20, v23
	v_and_b32_e32 v9, 0x80000000, v9
	v_lshl_add_u32 v19, v19, 23, v21
	v_or3_b32 v23, v9, v19, v23
.LBB308_502:                            ;   in Loop: Header=BB308_318 Depth=1
	s_or_b64 exec, exec, s[16:17]
.LBB308_503:                            ;   in Loop: Header=BB308_318 Depth=1
	s_or_b64 exec, exec, s[14:15]
.LBB308_504:                            ;   in Loop: Header=BB308_318 Depth=1
	s_or_b64 exec, exec, s[12:13]
	v_lshrrev_b32_e32 v9, 16, v18
	v_cmp_ne_u16_sdwa s[0:1], v9, v10 src0_sel:BYTE_0 src1_sel:DWORD
	v_mov_b32_e32 v19, 0
	v_mov_b32_e32 v32, 0
	s_and_saveexec_b64 s[12:13], s[0:1]
	s_cbranch_execz .LBB308_510
; %bb.505:                              ;   in Loop: Header=BB308_318 Depth=1
	v_cmp_ne_u16_sdwa s[0:1], v9, s24 src0_sel:BYTE_0 src1_sel:DWORD
	v_bfrev_b32_e32 v32, 1
	s_and_saveexec_b64 s[14:15], s[0:1]
	s_cbranch_execz .LBB308_509
; %bb.506:                              ;   in Loop: Header=BB308_318 Depth=1
	v_bfe_u32 v33, v18, 16, 7
	v_cmp_ne_u32_e64 s[0:1], s25, v33
	v_mov_b32_e32 v32, 0x7f800001
	s_and_saveexec_b64 s[16:17], s[0:1]
	s_cbranch_execz .LBB308_508
; %bb.507:                              ;   in Loop: Header=BB308_318 Depth=1
	v_and_b32_e32 v34, 7, v9
	v_ffbh_u32_e32 v32, v34
	v_min_u32_e32 v36, 32, v32
	v_subrev_u32_e32 v32, 28, v36
	v_lshrrev_b32_e32 v35, 3, v33
	v_cmp_gt_u32_e64 s[0:1], 8, v33
	v_lshlrev_b64 v[32:33], v32, v[9:10]
	v_sub_u32_e32 v33, 29, v36
	v_and_b32_e32 v32, 7, v32
	v_cndmask_b32_e64 v33, v35, v33, s[0:1]
	v_cndmask_b32_e64 v32, v34, v32, s[0:1]
	v_lshlrev_b32_e32 v9, 24, v9
	v_bfrev_b32_e32 v21, 60
	v_lshlrev_b32_e32 v32, 20, v32
	v_and_b32_e32 v9, 0x80000000, v9
	v_lshl_add_u32 v33, v33, 23, v21
	v_or3_b32 v32, v9, v33, v32
.LBB308_508:                            ;   in Loop: Header=BB308_318 Depth=1
	s_or_b64 exec, exec, s[16:17]
.LBB308_509:                            ;   in Loop: Header=BB308_318 Depth=1
	s_or_b64 exec, exec, s[14:15]
.LBB308_510:                            ;   in Loop: Header=BB308_318 Depth=1
	s_or_b64 exec, exec, s[12:13]
	v_cmp_lt_u64_e64 s[0:1], s[4:5], v[17:18]
	s_and_saveexec_b64 s[12:13], s[0:1]
	s_cbranch_execz .LBB308_516
; %bb.511:                              ;   in Loop: Header=BB308_318 Depth=1
	v_lshrrev_b32_e32 v9, 24, v18
	v_cmp_ne_u32_e64 s[0:1], s24, v9
	v_bfrev_b32_e32 v19, 1
	s_and_saveexec_b64 s[14:15], s[0:1]
	s_cbranch_execz .LBB308_515
; %bb.512:                              ;   in Loop: Header=BB308_318 Depth=1
	v_bfe_u32 v17, v18, 24, 7
	v_cmp_ne_u32_e64 s[0:1], s25, v17
	v_mov_b32_e32 v19, 0x7f800001
	s_and_saveexec_b64 s[16:17], s[0:1]
	s_cbranch_execz .LBB308_514
; %bb.513:                              ;   in Loop: Header=BB308_318 Depth=1
	v_and_b32_e32 v19, 7, v9
	v_lshrrev_b32_e32 v33, 3, v17
	v_cmp_gt_u32_e64 s[0:1], 8, v17
	v_ffbh_u32_e32 v17, v19
	v_min_u32_e32 v34, 32, v17
	v_subrev_u32_e32 v17, 28, v34
	v_lshlrev_b64 v[17:18], v17, v[9:10]
	v_sub_u32_e32 v18, 29, v34
	v_and_b32_e32 v17, 7, v17
	v_cndmask_b32_e64 v18, v33, v18, s[0:1]
	v_cndmask_b32_e64 v17, v19, v17, s[0:1]
	v_lshlrev_b32_e32 v9, 24, v9
	v_bfrev_b32_e32 v19, 60
	v_lshlrev_b32_e32 v17, 20, v17
	v_and_b32_e32 v9, 0x80000000, v9
	v_lshl_add_u32 v18, v18, 23, v19
	v_or3_b32 v19, v9, v18, v17
.LBB308_514:                            ;   in Loop: Header=BB308_318 Depth=1
	s_or_b64 exec, exec, s[16:17]
.LBB308_515:                            ;   in Loop: Header=BB308_318 Depth=1
	s_or_b64 exec, exec, s[14:15]
.LBB308_516:                            ;   in Loop: Header=BB308_318 Depth=1
	s_or_b64 exec, exec, s[12:13]
	v_mul_f32_e32 v9, s18, v23
	v_bfe_u32 v17, v9, 16, 1
	v_add3_u32 v17, v17, v9, s26
	v_or_b32_e32 v18, 0x400000, v9
	v_cmp_u_f32_e64 s[0:1], v9, v9
	v_cndmask_b32_e64 v9, v17, v18, s[0:1]
	v_lshrrev_b32_e32 v23, 16, v9
	v_mul_f32_e32 v9, s18, v22
	v_bfe_u32 v17, v9, 16, 1
	v_add3_u32 v17, v17, v9, s26
	v_or_b32_e32 v18, 0x400000, v9
	v_cmp_u_f32_e64 s[0:1], v9, v9
	v_cndmask_b32_e64 v9, v17, v18, s[0:1]
	v_lshrrev_b32_e32 v63, 16, v9
	;; [unrolled: 7-line block ×4, first 2 shown]
	v_mul_f32_e32 v9, s18, v12
	v_bfe_u32 v12, v9, 16, 1
	v_add3_u32 v12, v12, v9, s26
	v_or_b32_e32 v17, 0x400000, v9
	v_cmp_u_f32_e64 s[0:1], v9, v9
	v_cndmask_b32_e64 v9, v12, v17, s[0:1]
	v_mul_f32_e32 v0, s18, v0
	v_lshrrev_b32_e32 v41, 16, v9
	v_bfe_u32 v9, v0, 16, 1
	v_add3_u32 v9, v9, v0, s26
	v_or_b32_e32 v12, 0x400000, v0
	v_cmp_u_f32_e64 s[0:1], v0, v0
	v_cndmask_b32_e64 v0, v9, v12, s[0:1]
	v_lshrrev_b32_e32 v40, 16, v0
	v_mul_f32_e32 v0, s18, v32
	v_bfe_u32 v9, v0, 16, 1
	v_add3_u32 v9, v9, v0, s26
	v_or_b32_e32 v12, 0x400000, v0
	v_cmp_u_f32_e64 s[0:1], v0, v0
	v_cndmask_b32_e64 v0, v9, v12, s[0:1]
	v_lshrrev_b32_e32 v20, 16, v0
	v_mul_f32_e32 v0, s18, v19
	v_bfe_u32 v9, v0, 16, 1
	v_add3_u32 v9, v9, v0, s26
	v_or_b32_e32 v12, 0x400000, v0
	v_cmp_u_f32_e64 s[0:1], v0, v0
	v_cndmask_b32_e64 v0, v9, v12, s[0:1]
	v_lshrrev_b32_e32 v12, 16, v0
	s_and_saveexec_b64 s[12:13], vcc
	s_cbranch_execz .LBB308_518
; %bb.517:                              ;   in Loop: Header=BB308_318 Depth=1
	v_cmp_gt_i32_e64 s[0:1], s30, v49
	v_add_u32_e32 v0, -6, v30
	v_cndmask_b32_e64 v40, 0, v40, s[0:1]
	v_cmp_gt_i32_e64 s[0:1], s30, v0
	v_add_u32_e32 v0, -5, v30
	v_cndmask_b32_e64 v41, 0, v41, s[0:1]
	;; [unrolled: 3-line block ×6, first 2 shown]
	v_cmp_gt_i32_e64 s[0:1], s30, v0
	v_cndmask_b32_e64 v20, 0, v20, s[0:1]
	v_cmp_gt_i32_e64 s[0:1], s30, v30
	v_cndmask_b32_e64 v12, 0, v12, s[0:1]
.LBB308_518:                            ;   in Loop: Header=BB308_318 Depth=1
	s_or_b64 exec, exec, s[12:13]
	global_load_dwordx2 v[17:18], v[15:16], off offset:2048
	v_mov_b32_e32 v32, 0
	v_mov_b32_e32 v0, 0
	s_waitcnt vmcnt(0)
	v_cmp_ne_u16_sdwa s[0:1], v17, v10 src0_sel:BYTE_0 src1_sel:DWORD
	s_and_saveexec_b64 s[12:13], s[0:1]
	s_cbranch_execz .LBB308_524
; %bb.519:                              ;   in Loop: Header=BB308_318 Depth=1
	v_cmp_ne_u16_sdwa s[0:1], v17, s24 src0_sel:BYTE_0 src1_sel:DWORD
	v_bfrev_b32_e32 v0, 1
	s_and_saveexec_b64 s[14:15], s[0:1]
	s_cbranch_execz .LBB308_523
; %bb.520:                              ;   in Loop: Header=BB308_318 Depth=1
	v_and_b32_e32 v9, 0x7f, v17
	v_cmp_ne_u32_e64 s[0:1], s25, v9
	v_mov_b32_e32 v0, 0x7f800001
	s_and_saveexec_b64 s[16:17], s[0:1]
	s_cbranch_execz .LBB308_522
; %bb.521:                              ;   in Loop: Header=BB308_318 Depth=1
	v_and_b32_e32 v0, 7, v17
	v_ffbh_u32_e32 v0, v0
	v_min_u32_e32 v0, 32, v0
	v_lshrrev_b32_e32 v19, 3, v9
	v_cmp_gt_u32_e64 s[0:1], 8, v9
	v_subrev_u32_e32 v9, 28, v0
	v_cndmask_b32_e64 v9, 0, v9, s[0:1]
	v_lshlrev_b64 v[33:34], v9, v[17:18]
	v_sub_u32_e32 v0, 29, v0
	v_cndmask_b32_e64 v0, v19, v0, s[0:1]
	v_lshlrev_b32_e32 v9, 20, v33
	v_lshlrev_b32_e32 v19, 24, v17
	v_bfrev_b32_e32 v21, 60
	v_and_b32_e32 v9, 0x700000, v9
	v_and_b32_e32 v19, 0x80000000, v19
	v_lshl_add_u32 v0, v0, 23, v21
	v_or3_b32 v0, v19, v0, v9
.LBB308_522:                            ;   in Loop: Header=BB308_318 Depth=1
	s_or_b64 exec, exec, s[16:17]
.LBB308_523:                            ;   in Loop: Header=BB308_318 Depth=1
	s_or_b64 exec, exec, s[14:15]
.LBB308_524:                            ;   in Loop: Header=BB308_318 Depth=1
	s_or_b64 exec, exec, s[12:13]
	v_lshrrev_b16_e32 v9, 8, v17
	v_cmp_ne_u16_e64 s[0:1], 0, v9
	s_and_saveexec_b64 s[12:13], s[0:1]
	s_cbranch_execz .LBB308_530
; %bb.525:                              ;   in Loop: Header=BB308_318 Depth=1
	v_cmp_ne_u16_e64 s[0:1], s24, v9
	v_bfrev_b32_e32 v32, 1
	s_and_saveexec_b64 s[14:15], s[0:1]
	s_cbranch_execz .LBB308_529
; %bb.526:                              ;   in Loop: Header=BB308_318 Depth=1
	v_and_b32_e32 v19, 0x7f, v9
	v_cmp_ne_u32_e64 s[0:1], s25, v19
	v_mov_b32_e32 v32, 0x7f800001
	s_and_saveexec_b64 s[16:17], s[0:1]
	s_cbranch_execz .LBB308_528
; %bb.527:                              ;   in Loop: Header=BB308_318 Depth=1
	v_and_b32_e32 v34, 7, v9
	v_lshrrev_b32_e32 v35, 3, v19
	v_cmp_gt_u32_e64 s[0:1], 8, v19
	v_ffbh_u32_e32 v19, v34
	v_min_u32_e32 v19, 32, v19
	v_subrev_u32_e32 v32, 28, v19
	v_lshlrev_b64 v[32:33], v32, v[9:10]
	v_sub_u32_e32 v9, 29, v19
	v_and_b32_e32 v19, 7, v32
	v_cndmask_b32_e64 v9, v35, v9, s[0:1]
	v_cndmask_b32_e64 v19, v34, v19, s[0:1]
	v_lshlrev_b32_e32 v32, 16, v17
	v_bfrev_b32_e32 v21, 60
	v_lshlrev_b32_e32 v19, 20, v19
	v_and_b32_e32 v32, 0x80000000, v32
	v_lshl_add_u32 v9, v9, 23, v21
	v_or3_b32 v32, v32, v9, v19
.LBB308_528:                            ;   in Loop: Header=BB308_318 Depth=1
	s_or_b64 exec, exec, s[16:17]
.LBB308_529:                            ;   in Loop: Header=BB308_318 Depth=1
	s_or_b64 exec, exec, s[14:15]
.LBB308_530:                            ;   in Loop: Header=BB308_318 Depth=1
	s_or_b64 exec, exec, s[12:13]
	v_lshrrev_b32_e32 v9, 16, v17
	v_cmp_ne_u16_sdwa s[0:1], v9, v10 src0_sel:BYTE_0 src1_sel:DWORD
	v_mov_b32_e32 v34, 0
	v_mov_b32_e32 v33, 0
	s_and_saveexec_b64 s[12:13], s[0:1]
	s_cbranch_execz .LBB308_536
; %bb.531:                              ;   in Loop: Header=BB308_318 Depth=1
	v_cmp_ne_u16_sdwa s[0:1], v9, s24 src0_sel:BYTE_0 src1_sel:DWORD
	v_bfrev_b32_e32 v33, 1
	s_and_saveexec_b64 s[14:15], s[0:1]
	s_cbranch_execz .LBB308_535
; %bb.532:                              ;   in Loop: Header=BB308_318 Depth=1
	v_bfe_u32 v19, v17, 16, 7
	v_cmp_ne_u32_e64 s[0:1], s25, v19
	v_mov_b32_e32 v33, 0x7f800001
	s_and_saveexec_b64 s[16:17], s[0:1]
	s_cbranch_execz .LBB308_534
; %bb.533:                              ;   in Loop: Header=BB308_318 Depth=1
	v_and_b32_e32 v33, 7, v9
	v_lshrrev_b32_e32 v37, 3, v19
	v_cmp_gt_u32_e64 s[0:1], 8, v19
	v_ffbh_u32_e32 v19, v33
	v_min_u32_e32 v19, 32, v19
	v_subrev_u32_e32 v35, 28, v19
	v_lshlrev_b64 v[35:36], v35, v[9:10]
	v_sub_u32_e32 v19, 29, v19
	v_and_b32_e32 v35, 7, v35
	v_cndmask_b32_e64 v19, v37, v19, s[0:1]
	v_cndmask_b32_e64 v33, v33, v35, s[0:1]
	v_lshlrev_b32_e32 v9, 24, v9
	v_bfrev_b32_e32 v21, 60
	v_lshlrev_b32_e32 v33, 20, v33
	v_and_b32_e32 v9, 0x80000000, v9
	v_lshl_add_u32 v19, v19, 23, v21
	v_or3_b32 v33, v9, v19, v33
.LBB308_534:                            ;   in Loop: Header=BB308_318 Depth=1
	s_or_b64 exec, exec, s[16:17]
.LBB308_535:                            ;   in Loop: Header=BB308_318 Depth=1
	s_or_b64 exec, exec, s[14:15]
.LBB308_536:                            ;   in Loop: Header=BB308_318 Depth=1
	s_or_b64 exec, exec, s[12:13]
	v_cmp_lt_u32_e64 s[0:1], s5, v17
	s_and_saveexec_b64 s[12:13], s[0:1]
	s_cbranch_execz .LBB308_542
; %bb.537:                              ;   in Loop: Header=BB308_318 Depth=1
	v_lshrrev_b32_e32 v9, 24, v17
	v_cmp_ne_u32_e64 s[0:1], s24, v9
	v_bfrev_b32_e32 v34, 1
	s_and_saveexec_b64 s[14:15], s[0:1]
	s_cbranch_execz .LBB308_541
; %bb.538:                              ;   in Loop: Header=BB308_318 Depth=1
	v_bfe_u32 v19, v17, 24, 7
	v_cmp_ne_u32_e64 s[0:1], s25, v19
	v_mov_b32_e32 v34, 0x7f800001
	s_and_saveexec_b64 s[16:17], s[0:1]
	s_cbranch_execz .LBB308_540
; %bb.539:                              ;   in Loop: Header=BB308_318 Depth=1
	v_and_b32_e32 v36, 7, v9
	v_lshrrev_b32_e32 v37, 3, v19
	v_cmp_gt_u32_e64 s[0:1], 8, v19
	v_ffbh_u32_e32 v19, v36
	v_min_u32_e32 v19, 32, v19
	v_subrev_u32_e32 v34, 28, v19
	v_lshlrev_b64 v[34:35], v34, v[9:10]
	v_sub_u32_e32 v19, 29, v19
	v_and_b32_e32 v34, 7, v34
	v_cndmask_b32_e64 v19, v37, v19, s[0:1]
	v_cndmask_b32_e64 v34, v36, v34, s[0:1]
	v_lshlrev_b32_e32 v9, 24, v9
	v_bfrev_b32_e32 v21, 60
	v_lshlrev_b32_e32 v34, 20, v34
	v_and_b32_e32 v9, 0x80000000, v9
	v_lshl_add_u32 v19, v19, 23, v21
	v_or3_b32 v34, v9, v19, v34
.LBB308_540:                            ;   in Loop: Header=BB308_318 Depth=1
	s_or_b64 exec, exec, s[16:17]
.LBB308_541:                            ;   in Loop: Header=BB308_318 Depth=1
	s_or_b64 exec, exec, s[14:15]
.LBB308_542:                            ;   in Loop: Header=BB308_318 Depth=1
	s_or_b64 exec, exec, s[12:13]
	v_mov_b32_e32 v9, v18
	v_cmp_ne_u16_sdwa s[0:1], v18, v10 src0_sel:BYTE_0 src1_sel:DWORD
	v_mov_b32_e32 v36, 0
	v_mov_b32_e32 v35, 0
	s_and_saveexec_b64 s[12:13], s[0:1]
	s_cbranch_execz .LBB308_548
; %bb.543:                              ;   in Loop: Header=BB308_318 Depth=1
	v_cmp_ne_u16_sdwa s[0:1], v18, s24 src0_sel:BYTE_0 src1_sel:DWORD
	v_bfrev_b32_e32 v35, 1
	s_and_saveexec_b64 s[14:15], s[0:1]
	s_cbranch_execz .LBB308_547
; %bb.544:                              ;   in Loop: Header=BB308_318 Depth=1
	v_and_b32_e32 v19, 0x7f, v18
	v_cmp_ne_u32_e64 s[0:1], s25, v19
	v_mov_b32_e32 v35, 0x7f800001
	s_and_saveexec_b64 s[16:17], s[0:1]
	s_cbranch_execz .LBB308_546
; %bb.545:                              ;   in Loop: Header=BB308_318 Depth=1
	v_and_b32_e32 v35, 7, v18
	v_lshrrev_b32_e32 v37, 3, v19
	v_cmp_gt_u32_e64 s[0:1], 8, v19
	v_ffbh_u32_e32 v19, v35
	v_min_u32_e32 v19, 32, v19
	v_subrev_u32_e32 v35, 28, v19
	v_sub_u32_e32 v19, 29, v19
	v_cndmask_b32_e64 v35, 0, v35, s[0:1]
	v_cndmask_b32_e64 v19, v37, v19, s[0:1]
	v_lshlrev_b64 v[37:38], v35, v[9:10]
	v_bfrev_b32_e32 v21, 60
	v_lshlrev_b32_e32 v35, 20, v37
	v_lshlrev_b32_e32 v37, 24, v9
	v_and_b32_e32 v35, 0x700000, v35
	v_and_b32_e32 v37, 0x80000000, v37
	v_lshl_add_u32 v19, v19, 23, v21
	v_or3_b32 v35, v37, v19, v35
.LBB308_546:                            ;   in Loop: Header=BB308_318 Depth=1
	s_or_b64 exec, exec, s[16:17]
.LBB308_547:                            ;   in Loop: Header=BB308_318 Depth=1
	s_or_b64 exec, exec, s[14:15]
.LBB308_548:                            ;   in Loop: Header=BB308_318 Depth=1
	s_or_b64 exec, exec, s[12:13]
	v_lshrrev_b16_e32 v19, 8, v9
	v_cmp_ne_u16_e64 s[0:1], 0, v19
	s_and_saveexec_b64 s[12:13], s[0:1]
	s_cbranch_execz .LBB308_554
; %bb.549:                              ;   in Loop: Header=BB308_318 Depth=1
	v_cmp_ne_u16_e64 s[0:1], s24, v19
	v_bfrev_b32_e32 v36, 1
	s_and_saveexec_b64 s[14:15], s[0:1]
	s_cbranch_execz .LBB308_553
; %bb.550:                              ;   in Loop: Header=BB308_318 Depth=1
	v_and_b32_e32 v37, 0x7f, v19
	v_cmp_ne_u32_e64 s[0:1], s25, v37
	v_mov_b32_e32 v36, 0x7f800001
	s_and_saveexec_b64 s[16:17], s[0:1]
	s_cbranch_execz .LBB308_552
; %bb.551:                              ;   in Loop: Header=BB308_318 Depth=1
	v_and_b32_e32 v38, 7, v19
	v_ffbh_u32_e32 v36, v38
	v_min_u32_e32 v42, 32, v36
	v_subrev_u32_e32 v36, 28, v42
	v_lshrrev_b32_e32 v39, 3, v37
	v_cmp_gt_u32_e64 s[0:1], 8, v37
	v_lshlrev_b64 v[36:37], v36, v[19:20]
	v_sub_u32_e32 v19, 29, v42
	v_and_b32_e32 v36, 7, v36
	v_cndmask_b32_e64 v19, v39, v19, s[0:1]
	v_cndmask_b32_e64 v36, v38, v36, s[0:1]
	v_lshlrev_b32_e32 v9, 16, v9
	v_bfrev_b32_e32 v21, 60
	v_lshlrev_b32_e32 v36, 20, v36
	v_and_b32_e32 v9, 0x80000000, v9
	v_lshl_add_u32 v19, v19, 23, v21
	v_or3_b32 v36, v9, v19, v36
.LBB308_552:                            ;   in Loop: Header=BB308_318 Depth=1
	s_or_b64 exec, exec, s[16:17]
.LBB308_553:                            ;   in Loop: Header=BB308_318 Depth=1
	s_or_b64 exec, exec, s[14:15]
.LBB308_554:                            ;   in Loop: Header=BB308_318 Depth=1
	s_or_b64 exec, exec, s[12:13]
	v_lshrrev_b32_e32 v9, 16, v18
	v_cmp_ne_u16_sdwa s[0:1], v9, v10 src0_sel:BYTE_0 src1_sel:DWORD
	v_mov_b32_e32 v37, 0
	v_mov_b32_e32 v38, 0
	s_and_saveexec_b64 s[12:13], s[0:1]
	s_cbranch_execz .LBB308_560
; %bb.555:                              ;   in Loop: Header=BB308_318 Depth=1
	v_cmp_ne_u16_sdwa s[0:1], v9, s24 src0_sel:BYTE_0 src1_sel:DWORD
	v_bfrev_b32_e32 v38, 1
	s_and_saveexec_b64 s[14:15], s[0:1]
	s_cbranch_execz .LBB308_559
; %bb.556:                              ;   in Loop: Header=BB308_318 Depth=1
	v_bfe_u32 v19, v18, 16, 7
	v_cmp_ne_u32_e64 s[0:1], s25, v19
	v_mov_b32_e32 v38, 0x7f800001
	s_and_saveexec_b64 s[16:17], s[0:1]
	s_cbranch_execz .LBB308_558
; %bb.557:                              ;   in Loop: Header=BB308_318 Depth=1
	v_and_b32_e32 v42, 7, v9
	v_lshrrev_b32_e32 v43, 3, v19
	v_cmp_gt_u32_e64 s[0:1], 8, v19
	v_ffbh_u32_e32 v19, v42
	v_min_u32_e32 v19, 32, v19
	v_subrev_u32_e32 v38, 28, v19
	v_lshlrev_b64 v[38:39], v38, v[9:10]
	v_sub_u32_e32 v19, 29, v19
	v_and_b32_e32 v38, 7, v38
	v_cndmask_b32_e64 v19, v43, v19, s[0:1]
	v_cndmask_b32_e64 v38, v42, v38, s[0:1]
	v_lshlrev_b32_e32 v9, 24, v9
	v_bfrev_b32_e32 v21, 60
	v_lshlrev_b32_e32 v38, 20, v38
	v_and_b32_e32 v9, 0x80000000, v9
	v_lshl_add_u32 v19, v19, 23, v21
	v_or3_b32 v38, v9, v19, v38
.LBB308_558:                            ;   in Loop: Header=BB308_318 Depth=1
	s_or_b64 exec, exec, s[16:17]
.LBB308_559:                            ;   in Loop: Header=BB308_318 Depth=1
	s_or_b64 exec, exec, s[14:15]
.LBB308_560:                            ;   in Loop: Header=BB308_318 Depth=1
	s_or_b64 exec, exec, s[12:13]
	v_cmp_lt_u64_e64 s[0:1], s[4:5], v[17:18]
	s_and_saveexec_b64 s[12:13], s[0:1]
	s_cbranch_execz .LBB308_566
; %bb.561:                              ;   in Loop: Header=BB308_318 Depth=1
	v_lshrrev_b32_e32 v9, 24, v18
	v_cmp_ne_u32_e64 s[0:1], s24, v9
	v_bfrev_b32_e32 v37, 1
	s_and_saveexec_b64 s[14:15], s[0:1]
	s_cbranch_execz .LBB308_565
; %bb.562:                              ;   in Loop: Header=BB308_318 Depth=1
	v_bfe_u32 v17, v18, 24, 7
	v_cmp_ne_u32_e64 s[0:1], s25, v17
	v_mov_b32_e32 v37, 0x7f800001
	s_and_saveexec_b64 s[16:17], s[0:1]
	s_cbranch_execz .LBB308_564
; %bb.563:                              ;   in Loop: Header=BB308_318 Depth=1
	v_and_b32_e32 v19, 7, v9
	v_lshrrev_b32_e32 v37, 3, v17
	v_cmp_gt_u32_e64 s[0:1], 8, v17
	v_ffbh_u32_e32 v17, v19
	v_min_u32_e32 v39, 32, v17
	v_subrev_u32_e32 v17, 28, v39
	v_lshlrev_b64 v[17:18], v17, v[9:10]
	v_sub_u32_e32 v18, 29, v39
	v_and_b32_e32 v17, 7, v17
	v_cndmask_b32_e64 v18, v37, v18, s[0:1]
	v_cndmask_b32_e64 v17, v19, v17, s[0:1]
	v_lshlrev_b32_e32 v9, 24, v9
	v_bfrev_b32_e32 v19, 60
	v_lshlrev_b32_e32 v17, 20, v17
	v_and_b32_e32 v9, 0x80000000, v9
	v_lshl_add_u32 v18, v18, 23, v19
	v_or3_b32 v37, v9, v18, v17
.LBB308_564:                            ;   in Loop: Header=BB308_318 Depth=1
	s_or_b64 exec, exec, s[16:17]
.LBB308_565:                            ;   in Loop: Header=BB308_318 Depth=1
	s_or_b64 exec, exec, s[14:15]
.LBB308_566:                            ;   in Loop: Header=BB308_318 Depth=1
	s_or_b64 exec, exec, s[12:13]
	v_mul_f32_e32 v9, s18, v36
	v_bfe_u32 v17, v9, 16, 1
	v_add3_u32 v17, v17, v9, s26
	v_or_b32_e32 v18, 0x400000, v9
	v_cmp_u_f32_e64 s[0:1], v9, v9
	v_cndmask_b32_e64 v9, v17, v18, s[0:1]
	v_lshrrev_b32_e32 v19, 16, v9
	v_mul_f32_e32 v9, s18, v35
	v_bfe_u32 v17, v9, 16, 1
	v_add3_u32 v17, v17, v9, s26
	v_or_b32_e32 v18, 0x400000, v9
	v_cmp_u_f32_e64 s[0:1], v9, v9
	v_cndmask_b32_e64 v9, v17, v18, s[0:1]
	v_lshrrev_b32_e32 v18, 16, v9
	;; [unrolled: 7-line block ×4, first 2 shown]
	v_mul_f32_e32 v9, s18, v32
	v_bfe_u32 v17, v9, 16, 1
	v_add3_u32 v17, v17, v9, s26
	v_or_b32_e32 v32, 0x400000, v9
	v_cmp_u_f32_e64 s[0:1], v9, v9
	v_cndmask_b32_e64 v9, v17, v32, s[0:1]
	v_mul_f32_e32 v0, s18, v0
	v_lshrrev_b32_e32 v32, 16, v9
	v_bfe_u32 v9, v0, 16, 1
	v_add3_u32 v9, v9, v0, s26
	v_or_b32_e32 v17, 0x400000, v0
	v_cmp_u_f32_e64 s[0:1], v0, v0
	v_cndmask_b32_e64 v0, v9, v17, s[0:1]
	v_lshrrev_b32_e32 v46, 16, v0
	v_mul_f32_e32 v0, s18, v38
	v_bfe_u32 v9, v0, 16, 1
	v_add3_u32 v9, v9, v0, s26
	v_or_b32_e32 v17, 0x400000, v0
	v_cmp_u_f32_e64 s[0:1], v0, v0
	v_cndmask_b32_e64 v0, v9, v17, s[0:1]
	v_lshrrev_b32_e32 v42, 16, v0
	v_mul_f32_e32 v0, s18, v37
	v_bfe_u32 v9, v0, 16, 1
	v_add3_u32 v9, v9, v0, s26
	v_or_b32_e32 v17, 0x400000, v0
	v_cmp_u_f32_e64 s[0:1], v0, v0
	v_cndmask_b32_e64 v0, v9, v17, s[0:1]
	v_lshrrev_b32_e32 v44, 16, v0
	s_and_saveexec_b64 s[12:13], vcc
	s_cbranch_execz .LBB308_568
; %bb.567:                              ;   in Loop: Header=BB308_318 Depth=1
	v_cmp_gt_i32_e64 s[0:1], s30, v49
	v_add_u32_e32 v0, -6, v30
	v_cndmask_b32_e64 v46, 0, v46, s[0:1]
	v_cmp_gt_i32_e64 s[0:1], s30, v0
	v_add_u32_e32 v0, -5, v30
	v_cndmask_b32_e64 v32, 0, v32, s[0:1]
	;; [unrolled: 3-line block ×6, first 2 shown]
	v_cmp_gt_i32_e64 s[0:1], s30, v0
	v_cndmask_b32_e64 v42, 0, v42, s[0:1]
	v_cmp_gt_i32_e64 s[0:1], s30, v30
	v_cndmask_b32_e64 v44, 0, v44, s[0:1]
.LBB308_568:                            ;   in Loop: Header=BB308_318 Depth=1
	s_or_b64 exec, exec, s[12:13]
	global_load_dwordx2 v[15:16], v[15:16], off offset:2560
	v_mov_b32_e32 v0, 0
	v_mov_b32_e32 v33, 0
	s_waitcnt vmcnt(0)
	v_cmp_ne_u16_sdwa s[0:1], v15, v10 src0_sel:BYTE_0 src1_sel:DWORD
	s_and_saveexec_b64 s[12:13], s[0:1]
	s_cbranch_execz .LBB308_574
; %bb.569:                              ;   in Loop: Header=BB308_318 Depth=1
	v_cmp_ne_u16_sdwa s[0:1], v15, s24 src0_sel:BYTE_0 src1_sel:DWORD
	v_bfrev_b32_e32 v33, 1
	s_and_saveexec_b64 s[14:15], s[0:1]
	s_cbranch_execz .LBB308_573
; %bb.570:                              ;   in Loop: Header=BB308_318 Depth=1
	v_and_b32_e32 v9, 0x7f, v15
	v_cmp_ne_u32_e64 s[0:1], s25, v9
	v_mov_b32_e32 v33, 0x7f800001
	s_and_saveexec_b64 s[16:17], s[0:1]
	s_cbranch_execz .LBB308_572
; %bb.571:                              ;   in Loop: Header=BB308_318 Depth=1
	v_and_b32_e32 v17, 7, v15
	v_lshrrev_b32_e32 v33, 3, v9
	v_cmp_gt_u32_e64 s[0:1], 8, v9
	v_ffbh_u32_e32 v9, v17
	v_min_u32_e32 v9, 32, v9
	v_subrev_u32_e32 v17, 28, v9
	v_sub_u32_e32 v9, 29, v9
	v_cndmask_b32_e64 v17, 0, v17, s[0:1]
	v_cndmask_b32_e64 v9, v33, v9, s[0:1]
	v_lshlrev_b64 v[33:34], v17, v[15:16]
	v_bfrev_b32_e32 v21, 60
	v_lshlrev_b32_e32 v17, 20, v33
	v_lshlrev_b32_e32 v33, 24, v15
	v_and_b32_e32 v17, 0x700000, v17
	v_and_b32_e32 v33, 0x80000000, v33
	v_lshl_add_u32 v9, v9, 23, v21
	v_or3_b32 v33, v33, v9, v17
.LBB308_572:                            ;   in Loop: Header=BB308_318 Depth=1
	s_or_b64 exec, exec, s[16:17]
.LBB308_573:                            ;   in Loop: Header=BB308_318 Depth=1
	s_or_b64 exec, exec, s[14:15]
.LBB308_574:                            ;   in Loop: Header=BB308_318 Depth=1
	s_or_b64 exec, exec, s[12:13]
	v_lshrrev_b16_e32 v9, 8, v15
	v_cmp_ne_u16_e64 s[0:1], 0, v9
	s_and_saveexec_b64 s[12:13], s[0:1]
	s_cbranch_execz .LBB308_580
; %bb.575:                              ;   in Loop: Header=BB308_318 Depth=1
	v_cmp_ne_u16_e64 s[0:1], s24, v9
	v_bfrev_b32_e32 v0, 1
	s_and_saveexec_b64 s[14:15], s[0:1]
	s_cbranch_execz .LBB308_579
; %bb.576:                              ;   in Loop: Header=BB308_318 Depth=1
	v_and_b32_e32 v17, 0x7f, v9
	v_cmp_ne_u32_e64 s[0:1], s25, v17
	v_mov_b32_e32 v0, 0x7f800001
	s_and_saveexec_b64 s[16:17], s[0:1]
	s_cbranch_execz .LBB308_578
; %bb.577:                              ;   in Loop: Header=BB308_318 Depth=1
	v_and_b32_e32 v0, 7, v9
	v_lshrrev_b32_e32 v36, 3, v17
	v_cmp_gt_u32_e64 s[0:1], 8, v17
	v_ffbh_u32_e32 v17, v0
	v_min_u32_e32 v17, 32, v17
	v_subrev_u32_e32 v34, 28, v17
	v_lshlrev_b64 v[34:35], v34, v[9:10]
	v_sub_u32_e32 v9, 29, v17
	v_and_b32_e32 v17, 7, v34
	v_cndmask_b32_e64 v9, v36, v9, s[0:1]
	v_cndmask_b32_e64 v0, v0, v17, s[0:1]
	v_lshlrev_b32_e32 v17, 16, v15
	v_bfrev_b32_e32 v21, 60
	v_lshlrev_b32_e32 v0, 20, v0
	v_and_b32_e32 v17, 0x80000000, v17
	v_lshl_add_u32 v9, v9, 23, v21
	v_or3_b32 v0, v17, v9, v0
.LBB308_578:                            ;   in Loop: Header=BB308_318 Depth=1
	s_or_b64 exec, exec, s[16:17]
.LBB308_579:                            ;   in Loop: Header=BB308_318 Depth=1
	s_or_b64 exec, exec, s[14:15]
.LBB308_580:                            ;   in Loop: Header=BB308_318 Depth=1
	s_or_b64 exec, exec, s[12:13]
	v_lshrrev_b32_e32 v9, 16, v15
	v_cmp_ne_u16_sdwa s[0:1], v9, v10 src0_sel:BYTE_0 src1_sel:DWORD
	v_mov_b32_e32 v35, 0
	v_mov_b32_e32 v34, 0
	s_and_saveexec_b64 s[12:13], s[0:1]
	s_cbranch_execz .LBB308_586
; %bb.581:                              ;   in Loop: Header=BB308_318 Depth=1
	v_cmp_ne_u16_sdwa s[0:1], v9, s24 src0_sel:BYTE_0 src1_sel:DWORD
	v_bfrev_b32_e32 v34, 1
	s_and_saveexec_b64 s[14:15], s[0:1]
	s_cbranch_execz .LBB308_585
; %bb.582:                              ;   in Loop: Header=BB308_318 Depth=1
	v_bfe_u32 v17, v15, 16, 7
	v_cmp_ne_u32_e64 s[0:1], s25, v17
	v_mov_b32_e32 v34, 0x7f800001
	s_and_saveexec_b64 s[16:17], s[0:1]
	s_cbranch_execz .LBB308_584
; %bb.583:                              ;   in Loop: Header=BB308_318 Depth=1
	v_and_b32_e32 v34, 7, v9
	v_lshrrev_b32_e32 v38, 3, v17
	v_cmp_gt_u32_e64 s[0:1], 8, v17
	v_ffbh_u32_e32 v17, v34
	v_min_u32_e32 v17, 32, v17
	v_subrev_u32_e32 v36, 28, v17
	v_lshlrev_b64 v[36:37], v36, v[9:10]
	v_sub_u32_e32 v17, 29, v17
	v_and_b32_e32 v36, 7, v36
	v_cndmask_b32_e64 v17, v38, v17, s[0:1]
	v_cndmask_b32_e64 v34, v34, v36, s[0:1]
	v_lshlrev_b32_e32 v9, 24, v9
	v_bfrev_b32_e32 v21, 60
	v_lshlrev_b32_e32 v34, 20, v34
	v_and_b32_e32 v9, 0x80000000, v9
	v_lshl_add_u32 v17, v17, 23, v21
	v_or3_b32 v34, v9, v17, v34
.LBB308_584:                            ;   in Loop: Header=BB308_318 Depth=1
	s_or_b64 exec, exec, s[16:17]
.LBB308_585:                            ;   in Loop: Header=BB308_318 Depth=1
	s_or_b64 exec, exec, s[14:15]
.LBB308_586:                            ;   in Loop: Header=BB308_318 Depth=1
	s_or_b64 exec, exec, s[12:13]
	v_cmp_lt_u32_e64 s[0:1], s5, v15
	s_and_saveexec_b64 s[12:13], s[0:1]
	s_cbranch_execz .LBB308_592
; %bb.587:                              ;   in Loop: Header=BB308_318 Depth=1
	v_lshrrev_b32_e32 v9, 24, v15
	v_cmp_ne_u32_e64 s[0:1], s24, v9
	v_bfrev_b32_e32 v35, 1
	s_and_saveexec_b64 s[14:15], s[0:1]
	s_cbranch_execz .LBB308_591
; %bb.588:                              ;   in Loop: Header=BB308_318 Depth=1
	v_bfe_u32 v17, v15, 24, 7
	v_cmp_ne_u32_e64 s[0:1], s25, v17
	v_mov_b32_e32 v35, 0x7f800001
	s_and_saveexec_b64 s[16:17], s[0:1]
	s_cbranch_execz .LBB308_590
; %bb.589:                              ;   in Loop: Header=BB308_318 Depth=1
	v_and_b32_e32 v37, 7, v9
	v_lshrrev_b32_e32 v38, 3, v17
	v_cmp_gt_u32_e64 s[0:1], 8, v17
	v_ffbh_u32_e32 v17, v37
	v_min_u32_e32 v17, 32, v17
	v_subrev_u32_e32 v35, 28, v17
	v_lshlrev_b64 v[35:36], v35, v[9:10]
	v_sub_u32_e32 v17, 29, v17
	v_and_b32_e32 v35, 7, v35
	v_cndmask_b32_e64 v17, v38, v17, s[0:1]
	v_cndmask_b32_e64 v35, v37, v35, s[0:1]
	v_lshlrev_b32_e32 v9, 24, v9
	v_bfrev_b32_e32 v21, 60
	v_lshlrev_b32_e32 v35, 20, v35
	v_and_b32_e32 v9, 0x80000000, v9
	v_lshl_add_u32 v17, v17, 23, v21
	v_or3_b32 v35, v9, v17, v35
.LBB308_590:                            ;   in Loop: Header=BB308_318 Depth=1
	s_or_b64 exec, exec, s[16:17]
.LBB308_591:                            ;   in Loop: Header=BB308_318 Depth=1
	s_or_b64 exec, exec, s[14:15]
.LBB308_592:                            ;   in Loop: Header=BB308_318 Depth=1
	s_or_b64 exec, exec, s[12:13]
	v_mov_b32_e32 v9, v16
	v_cmp_ne_u16_sdwa s[0:1], v16, v10 src0_sel:BYTE_0 src1_sel:DWORD
	v_mov_b32_e32 v37, 0
	v_mov_b32_e32 v36, 0
	s_and_saveexec_b64 s[12:13], s[0:1]
	s_cbranch_execz .LBB308_598
; %bb.593:                              ;   in Loop: Header=BB308_318 Depth=1
	v_cmp_ne_u16_sdwa s[0:1], v16, s24 src0_sel:BYTE_0 src1_sel:DWORD
	v_bfrev_b32_e32 v36, 1
	s_and_saveexec_b64 s[14:15], s[0:1]
	s_cbranch_execz .LBB308_597
; %bb.594:                              ;   in Loop: Header=BB308_318 Depth=1
	v_and_b32_e32 v17, 0x7f, v16
	v_cmp_ne_u32_e64 s[0:1], s25, v17
	v_mov_b32_e32 v36, 0x7f800001
	s_and_saveexec_b64 s[16:17], s[0:1]
	s_cbranch_execz .LBB308_596
; %bb.595:                              ;   in Loop: Header=BB308_318 Depth=1
	v_and_b32_e32 v36, 7, v16
	v_lshrrev_b32_e32 v38, 3, v17
	v_cmp_gt_u32_e64 s[0:1], 8, v17
	v_ffbh_u32_e32 v17, v36
	v_min_u32_e32 v17, 32, v17
	v_subrev_u32_e32 v36, 28, v17
	v_sub_u32_e32 v17, 29, v17
	v_cndmask_b32_e64 v36, 0, v36, s[0:1]
	v_cndmask_b32_e64 v17, v38, v17, s[0:1]
	v_lshlrev_b64 v[38:39], v36, v[9:10]
	v_bfrev_b32_e32 v21, 60
	v_lshlrev_b32_e32 v36, 20, v38
	v_lshlrev_b32_e32 v38, 24, v9
	v_and_b32_e32 v36, 0x700000, v36
	v_and_b32_e32 v38, 0x80000000, v38
	v_lshl_add_u32 v17, v17, 23, v21
	v_or3_b32 v36, v38, v17, v36
.LBB308_596:                            ;   in Loop: Header=BB308_318 Depth=1
	s_or_b64 exec, exec, s[16:17]
.LBB308_597:                            ;   in Loop: Header=BB308_318 Depth=1
	s_or_b64 exec, exec, s[14:15]
.LBB308_598:                            ;   in Loop: Header=BB308_318 Depth=1
	s_or_b64 exec, exec, s[12:13]
	v_lshrrev_b16_e32 v17, 8, v9
	v_cmp_ne_u16_e64 s[0:1], 0, v17
	s_and_saveexec_b64 s[12:13], s[0:1]
	s_cbranch_execz .LBB308_604
; %bb.599:                              ;   in Loop: Header=BB308_318 Depth=1
	v_cmp_ne_u16_e64 s[0:1], s24, v17
	v_bfrev_b32_e32 v37, 1
	s_and_saveexec_b64 s[14:15], s[0:1]
	s_cbranch_execz .LBB308_603
; %bb.600:                              ;   in Loop: Header=BB308_318 Depth=1
	v_and_b32_e32 v38, 0x7f, v17
	v_cmp_ne_u32_e64 s[0:1], s25, v38
	v_mov_b32_e32 v37, 0x7f800001
	s_and_saveexec_b64 s[16:17], s[0:1]
	s_cbranch_execz .LBB308_602
; %bb.601:                              ;   in Loop: Header=BB308_318 Depth=1
	v_and_b32_e32 v39, 7, v17
	v_ffbh_u32_e32 v37, v39
	v_min_u32_e32 v48, 32, v37
	v_subrev_u32_e32 v37, 28, v48
	v_lshrrev_b32_e32 v47, 3, v38
	v_cmp_gt_u32_e64 s[0:1], 8, v38
	v_lshlrev_b64 v[37:38], v37, v[17:18]
	v_sub_u32_e32 v17, 29, v48
	v_cndmask_b32_e64 v17, v47, v17, s[0:1]
	buffer_load_dword v47, off, s[44:47], 0 offset:48 ; 4-byte Folded Reload
	buffer_load_dword v48, off, s[44:47], 0 offset:52 ; 4-byte Folded Reload
	v_and_b32_e32 v37, 7, v37
	v_cndmask_b32_e64 v37, v39, v37, s[0:1]
	v_lshlrev_b32_e32 v9, 16, v9
	v_bfrev_b32_e32 v21, 60
	v_lshlrev_b32_e32 v37, 20, v37
	v_and_b32_e32 v9, 0x80000000, v9
	v_lshl_add_u32 v17, v17, 23, v21
	v_or3_b32 v37, v9, v17, v37
.LBB308_602:                            ;   in Loop: Header=BB308_318 Depth=1
	s_or_b64 exec, exec, s[16:17]
.LBB308_603:                            ;   in Loop: Header=BB308_318 Depth=1
	s_or_b64 exec, exec, s[14:15]
.LBB308_604:                            ;   in Loop: Header=BB308_318 Depth=1
	s_or_b64 exec, exec, s[12:13]
	v_lshrrev_b32_e32 v9, 16, v16
	v_cmp_ne_u16_sdwa s[0:1], v9, v10 src0_sel:BYTE_0 src1_sel:DWORD
	v_mov_b32_e32 v38, 0
	v_mov_b32_e32 v17, 0
	s_and_saveexec_b64 s[12:13], s[0:1]
	s_cbranch_execz .LBB308_610
; %bb.605:                              ;   in Loop: Header=BB308_318 Depth=1
	v_cmp_ne_u16_sdwa s[0:1], v9, s24 src0_sel:BYTE_0 src1_sel:DWORD
	v_bfrev_b32_e32 v17, 1
	s_and_saveexec_b64 s[14:15], s[0:1]
	s_cbranch_execz .LBB308_609
; %bb.606:                              ;   in Loop: Header=BB308_318 Depth=1
	v_bfe_u32 v39, v16, 16, 7
	v_cmp_ne_u32_e64 s[0:1], s25, v39
	v_mov_b32_e32 v17, 0x7f800001
	s_and_saveexec_b64 s[16:17], s[0:1]
	s_cbranch_execz .LBB308_608
; %bb.607:                              ;   in Loop: Header=BB308_318 Depth=1
	v_and_b32_e32 v17, 7, v9
	v_lshrrev_b32_e32 v21, 3, v39
	v_cmp_gt_u32_e64 s[0:1], 8, v39
	v_ffbh_u32_e32 v39, v17
	v_min_u32_e32 v39, 32, v39
	s_waitcnt vmcnt(1)
	v_subrev_u32_e32 v47, 28, v39
	s_waitcnt vmcnt(0)
	v_lshlrev_b64 v[47:48], v47, v[9:10]
	v_sub_u32_e32 v39, 29, v39
	v_and_b32_e32 v47, 7, v47
	v_cndmask_b32_e64 v17, v17, v47, s[0:1]
	buffer_load_dword v47, off, s[44:47], 0 offset:48 ; 4-byte Folded Reload
	buffer_load_dword v48, off, s[44:47], 0 offset:52 ; 4-byte Folded Reload
	v_cndmask_b32_e64 v21, v21, v39, s[0:1]
	v_lshlrev_b32_e32 v9, 24, v9
	v_bfrev_b32_e32 v39, 60
	v_lshlrev_b32_e32 v17, 20, v17
	v_and_b32_e32 v9, 0x80000000, v9
	v_lshl_add_u32 v21, v21, 23, v39
	v_or3_b32 v17, v9, v21, v17
.LBB308_608:                            ;   in Loop: Header=BB308_318 Depth=1
	s_or_b64 exec, exec, s[16:17]
.LBB308_609:                            ;   in Loop: Header=BB308_318 Depth=1
	s_or_b64 exec, exec, s[14:15]
.LBB308_610:                            ;   in Loop: Header=BB308_318 Depth=1
	s_or_b64 exec, exec, s[12:13]
	v_cmp_lt_u64_e64 s[0:1], s[4:5], v[15:16]
	s_and_saveexec_b64 s[12:13], s[0:1]
	s_cbranch_execz .LBB308_616
; %bb.611:                              ;   in Loop: Header=BB308_318 Depth=1
	v_lshrrev_b32_e32 v9, 24, v16
	v_cmp_ne_u32_e64 s[0:1], s24, v9
	v_bfrev_b32_e32 v38, 1
	s_and_saveexec_b64 s[14:15], s[0:1]
	s_cbranch_execz .LBB308_615
; %bb.612:                              ;   in Loop: Header=BB308_318 Depth=1
	v_bfe_u32 v15, v16, 24, 7
	v_cmp_ne_u32_e64 s[0:1], s25, v15
	v_mov_b32_e32 v38, 0x7f800001
	s_and_saveexec_b64 s[16:17], s[0:1]
	s_cbranch_execz .LBB308_614
; %bb.613:                              ;   in Loop: Header=BB308_318 Depth=1
	v_and_b32_e32 v21, 7, v9
	v_lshrrev_b32_e32 v38, 3, v15
	v_cmp_gt_u32_e64 s[0:1], 8, v15
	v_ffbh_u32_e32 v15, v21
	v_min_u32_e32 v39, 32, v15
	v_subrev_u32_e32 v15, 28, v39
	v_lshlrev_b64 v[15:16], v15, v[9:10]
	v_sub_u32_e32 v16, 29, v39
	v_and_b32_e32 v15, 7, v15
	v_cndmask_b32_e64 v16, v38, v16, s[0:1]
	v_cndmask_b32_e64 v15, v21, v15, s[0:1]
	v_lshlrev_b32_e32 v9, 24, v9
	v_bfrev_b32_e32 v21, 60
	v_lshlrev_b32_e32 v15, 20, v15
	v_and_b32_e32 v9, 0x80000000, v9
	v_lshl_add_u32 v16, v16, 23, v21
	v_or3_b32 v38, v9, v16, v15
.LBB308_614:                            ;   in Loop: Header=BB308_318 Depth=1
	s_or_b64 exec, exec, s[16:17]
.LBB308_615:                            ;   in Loop: Header=BB308_318 Depth=1
	s_or_b64 exec, exec, s[14:15]
.LBB308_616:                            ;   in Loop: Header=BB308_318 Depth=1
	s_or_b64 exec, exec, s[12:13]
	v_mul_f32_e32 v9, s18, v37
	v_bfe_u32 v15, v9, 16, 1
	v_add3_u32 v15, v15, v9, s26
	v_or_b32_e32 v16, 0x400000, v9
	v_cmp_u_f32_e64 s[0:1], v9, v9
	v_cndmask_b32_e64 v9, v15, v16, s[0:1]
	v_mul_f32_e32 v15, s18, v36
	v_bfe_u32 v16, v15, 16, 1
	v_add3_u32 v16, v16, v15, s26
	v_or_b32_e32 v21, 0x400000, v15
	v_cmp_u_f32_e64 s[0:1], v15, v15
	v_cndmask_b32_e64 v15, v16, v21, s[0:1]
	;; [unrolled: 6-line block ×4, first 2 shown]
	v_mul_f32_e32 v0, s18, v0
	v_lshrrev_b32_e32 v34, 16, v21
	v_bfe_u32 v21, v0, 16, 1
	v_add3_u32 v21, v21, v0, s26
	v_or_b32_e32 v35, 0x400000, v0
	v_cmp_u_f32_e64 s[0:1], v0, v0
	v_cndmask_b32_e64 v0, v21, v35, s[0:1]
	v_mul_f32_e32 v21, s18, v33
	v_bfe_u32 v33, v21, 16, 1
	v_add3_u32 v33, v33, v21, s26
	v_or_b32_e32 v35, 0x400000, v21
	v_cmp_u_f32_e64 s[0:1], v21, v21
	v_cndmask_b32_e64 v21, v33, v35, s[0:1]
	v_mul_f32_e32 v17, s18, v17
	v_lshrrev_b32_e32 v35, 16, v21
	v_bfe_u32 v21, v17, 16, 1
	v_add3_u32 v21, v21, v17, s26
	v_or_b32_e32 v33, 0x400000, v17
	v_cmp_u_f32_e64 s[0:1], v17, v17
	v_cndmask_b32_e64 v17, v21, v33, s[0:1]
	v_mul_f32_e32 v21, s18, v38
	v_bfe_u32 v33, v21, 16, 1
	v_add3_u32 v33, v33, v21, s26
	v_or_b32_e32 v36, 0x400000, v21
	v_cmp_u_f32_e64 s[0:1], v21, v21
	v_cndmask_b32_e64 v21, v33, v36, s[0:1]
	v_lshrrev_b32_e32 v9, 16, v9
	v_lshrrev_b32_e32 v15, 16, v15
	;; [unrolled: 1-line block ×6, first 2 shown]
	s_and_saveexec_b64 s[0:1], vcc
	s_cbranch_execz .LBB308_317
; %bb.617:                              ;   in Loop: Header=BB308_318 Depth=1
	v_cmp_gt_i32_e32 vcc, s30, v49
	v_add_u32_e32 v21, -6, v30
	v_cndmask_b32_e32 v35, 0, v35, vcc
	v_cmp_gt_i32_e32 vcc, s30, v21
	v_add_u32_e32 v21, -5, v30
	v_cndmask_b32_e32 v0, 0, v0, vcc
	;; [unrolled: 3-line block ×6, first 2 shown]
	v_cmp_gt_i32_e32 vcc, s30, v21
	v_cndmask_b32_e32 v17, 0, v17, vcc
	v_cmp_gt_i32_e32 vcc, s30, v30
	v_cndmask_b32_e32 v33, 0, v33, vcc
	s_branch .LBB308_317
.LBB308_618:
	s_or_b64 exec, exec, s[6:7]
	buffer_load_dword v11, off, s[44:47], 0 offset:216 ; 4-byte Folded Reload
	buffer_load_dword v12, off, s[44:47], 0 offset:56 ; 4-byte Folded Reload
	;; [unrolled: 1-line block ×4, first 2 shown]
.LBB308_619:
	s_or_b64 exec, exec, s[2:3]
	s_waitcnt vmcnt(1)
	ds_bpermute_b32 v0, v13, v29
	ds_bpermute_b32 v1, v13, v28
	;; [unrolled: 1-line block ×5, first 2 shown]
	s_waitcnt lgkmcnt(4)
	v_add_f32_e32 v5, v29, v0
	ds_bpermute_b32 v0, v13, v24
	s_waitcnt lgkmcnt(4)
	v_add_f32_e32 v4, v28, v1
	s_waitcnt lgkmcnt(3)
	v_add_f32_e32 v1, v25, v7
	v_and_b32_e32 v7, 0x3c1, v11
	s_waitcnt lgkmcnt(2)
	v_add_f32_e32 v3, v27, v2
	s_waitcnt lgkmcnt(1)
	v_add_f32_e32 v2, v26, v6
	;; [unrolled: 2-line block ×3, first 2 shown]
	v_cmp_eq_u32_e32 vcc, 64, v7
	s_waitcnt vmcnt(0)
	s_barrier
	s_and_saveexec_b64 s[0:1], vcc
	s_cbranch_execz .LBB308_621
; %bb.620:
	v_mov_b32_e32 v6, 0x190
	v_lshl_add_u32 v6, v12, 1, v6
	ds_write2_b32 v6, v5, v4 offset1:32
	ds_write2_b32 v6, v3, v2 offset0:64 offset1:96
	ds_write2_b32 v6, v1, v0 offset0:128 offset1:160
.LBB308_621:
	s_or_b64 exec, exec, s[0:1]
	v_cmp_gt_u32_e32 vcc, 64, v11
	v_lshrrev_b32_e32 v6, 1, v11
	s_waitcnt lgkmcnt(0)
	s_barrier
	s_and_saveexec_b64 s[0:1], vcc
	s_cbranch_execz .LBB308_630
; %bb.622:
	v_cmp_eq_u32_e32 vcc, 0, v8
	v_mov_b32_e32 v8, 0x190
	v_lshl_add_u32 v8, v6, 2, v8
	s_and_saveexec_b64 s[2:3], vcc
	s_cbranch_execnz .LBB308_633
; %bb.623:
	s_or_b64 exec, exec, s[2:3]
	s_and_saveexec_b64 s[2:3], vcc
	s_cbranch_execnz .LBB308_634
.LBB308_624:
	s_or_b64 exec, exec, s[2:3]
	s_and_saveexec_b64 s[2:3], vcc
	s_cbranch_execnz .LBB308_635
.LBB308_625:
	s_or_b64 exec, exec, s[2:3]
	s_and_saveexec_b64 s[2:3], vcc
	s_cbranch_execnz .LBB308_636
.LBB308_626:
	s_or_b64 exec, exec, s[2:3]
	s_and_saveexec_b64 s[2:3], vcc
	s_cbranch_execnz .LBB308_637
.LBB308_627:
	s_or_b64 exec, exec, s[2:3]
	s_and_saveexec_b64 s[2:3], vcc
	s_cbranch_execz .LBB308_629
.LBB308_628:
	ds_read_b32 v8, v8 offset:640
	s_waitcnt lgkmcnt(0)
	v_add_f32_e32 v0, v0, v8
.LBB308_629:
	s_or_b64 exec, exec, s[2:3]
.LBB308_630:
	s_or_b64 exec, exec, s[0:1]
	v_cmp_eq_u32_e32 vcc, 0, v7
	s_barrier
	s_and_saveexec_b64 s[0:1], vcc
	s_cbranch_execz .LBB308_632
; %bb.631:
	s_mul_i32 s0, s10, s11
	s_mul_i32 s0, s0, s9
	s_mulk_i32 s0, 0xc0
	s_ashr_i32 s1, s0, 31
	s_lshl_b64 s[0:1], s[0:1], 1
	s_add_u32 s2, s22, s0
	s_mul_i32 s0, s11, s20
	s_addc_u32 s3, s23, s1
	s_ashr_i32 s1, s0, 31
	s_lshl_b64 s[0:1], s[0:1], 1
	s_add_u32 s2, s2, s0
	s_mul_i32 s0, s8, 0xc0
	s_addc_u32 s3, s3, s1
	s_ashr_i32 s1, s0, 31
	s_lshl_b64 s[0:1], s[0:1], 1
	s_add_u32 s0, s2, s0
	v_bfe_u32 v7, v5, 16, 1
	s_movk_i32 s2, 0x7fff
	v_add3_u32 v7, v7, v5, s2
	v_or_b32_e32 v8, 0x400000, v5
	v_cmp_u_f32_e32 vcc, v5, v5
	s_addc_u32 s1, s3, s1
	v_lshlrev_b32_e32 v6, 1, v6
	v_cndmask_b32_e32 v5, v7, v8, vcc
	global_store_short_d16_hi v6, v5, s[0:1]
	v_bfe_u32 v5, v4, 16, 1
	v_add3_u32 v5, v5, v4, s2
	v_or_b32_e32 v7, 0x400000, v4
	v_cmp_u_f32_e32 vcc, v4, v4
	v_cndmask_b32_e32 v4, v5, v7, vcc
	global_store_short_d16_hi v6, v4, s[0:1] offset:64
	v_bfe_u32 v4, v3, 16, 1
	v_add3_u32 v4, v4, v3, s2
	v_or_b32_e32 v5, 0x400000, v3
	v_cmp_u_f32_e32 vcc, v3, v3
	v_cndmask_b32_e32 v3, v4, v5, vcc
	global_store_short_d16_hi v6, v3, s[0:1] offset:128
	;; [unrolled: 6-line block ×5, first 2 shown]
.LBB308_632:
	s_endpgm
.LBB308_633:
	ds_read_b32 v9, v8
	s_waitcnt lgkmcnt(0)
	v_add_f32_e32 v5, v5, v9
	s_or_b64 exec, exec, s[2:3]
	s_and_saveexec_b64 s[2:3], vcc
	s_cbranch_execz .LBB308_624
.LBB308_634:
	ds_read_b32 v9, v8 offset:128
	s_waitcnt lgkmcnt(0)
	v_add_f32_e32 v4, v4, v9
	s_or_b64 exec, exec, s[2:3]
	s_and_saveexec_b64 s[2:3], vcc
	s_cbranch_execz .LBB308_625
.LBB308_635:
	ds_read_b32 v9, v8 offset:256
	s_waitcnt lgkmcnt(0)
	v_add_f32_e32 v3, v3, v9
	s_or_b64 exec, exec, s[2:3]
	s_and_saveexec_b64 s[2:3], vcc
	s_cbranch_execz .LBB308_626
.LBB308_636:
	ds_read_b32 v9, v8 offset:384
	s_waitcnt lgkmcnt(0)
	v_add_f32_e32 v2, v2, v9
	s_or_b64 exec, exec, s[2:3]
	s_and_saveexec_b64 s[2:3], vcc
	s_cbranch_execz .LBB308_627
.LBB308_637:
	ds_read_b32 v9, v8 offset:512
	s_waitcnt lgkmcnt(0)
	v_add_f32_e32 v1, v1, v9
	s_or_b64 exec, exec, s[2:3]
	s_and_saveexec_b64 s[2:3], vcc
	s_cbranch_execnz .LBB308_628
	s_branch .LBB308_629
	.section	.rodata,"a",@progbits
	.p2align	6, 0x0
	.amdhsa_kernel _ZN4vllm25paged_attention_v1_kernelI14__hip_bfloat16hLi192ELi16ELi128ELNS_18Fp8KVCacheDataTypeE1ELb0EEEvPT_PKS3_PKT0_S9_ifPKiSB_iPKfiiiSD_SD_iiiii
		.amdhsa_group_segment_fixed_size 400
		.amdhsa_private_segment_fixed_size 232
		.amdhsa_kernarg_size 384
		.amdhsa_user_sgpr_count 6
		.amdhsa_user_sgpr_private_segment_buffer 1
		.amdhsa_user_sgpr_dispatch_ptr 0
		.amdhsa_user_sgpr_queue_ptr 0
		.amdhsa_user_sgpr_kernarg_segment_ptr 1
		.amdhsa_user_sgpr_dispatch_id 0
		.amdhsa_user_sgpr_flat_scratch_init 0
		.amdhsa_user_sgpr_private_segment_size 0
		.amdhsa_uses_dynamic_stack 0
		.amdhsa_system_sgpr_private_segment_wavefront_offset 1
		.amdhsa_system_sgpr_workgroup_id_x 1
		.amdhsa_system_sgpr_workgroup_id_y 1
		.amdhsa_system_sgpr_workgroup_id_z 1
		.amdhsa_system_sgpr_workgroup_info 0
		.amdhsa_system_vgpr_workitem_id 0
		.amdhsa_next_free_vgpr 64
		.amdhsa_next_free_sgpr 48
		.amdhsa_reserve_vcc 1
		.amdhsa_reserve_flat_scratch 0
		.amdhsa_float_round_mode_32 0
		.amdhsa_float_round_mode_16_64 0
		.amdhsa_float_denorm_mode_32 3
		.amdhsa_float_denorm_mode_16_64 3
		.amdhsa_dx10_clamp 1
		.amdhsa_ieee_mode 1
		.amdhsa_fp16_overflow 0
		.amdhsa_exception_fp_ieee_invalid_op 0
		.amdhsa_exception_fp_denorm_src 0
		.amdhsa_exception_fp_ieee_div_zero 0
		.amdhsa_exception_fp_ieee_overflow 0
		.amdhsa_exception_fp_ieee_underflow 0
		.amdhsa_exception_fp_ieee_inexact 0
		.amdhsa_exception_int_div_zero 0
	.end_amdhsa_kernel
	.section	.text._ZN4vllm25paged_attention_v1_kernelI14__hip_bfloat16hLi192ELi16ELi128ELNS_18Fp8KVCacheDataTypeE1ELb0EEEvPT_PKS3_PKT0_S9_ifPKiSB_iPKfiiiSD_SD_iiiii,"axG",@progbits,_ZN4vllm25paged_attention_v1_kernelI14__hip_bfloat16hLi192ELi16ELi128ELNS_18Fp8KVCacheDataTypeE1ELb0EEEvPT_PKS3_PKT0_S9_ifPKiSB_iPKfiiiSD_SD_iiiii,comdat
.Lfunc_end308:
	.size	_ZN4vllm25paged_attention_v1_kernelI14__hip_bfloat16hLi192ELi16ELi128ELNS_18Fp8KVCacheDataTypeE1ELb0EEEvPT_PKS3_PKT0_S9_ifPKiSB_iPKfiiiSD_SD_iiiii, .Lfunc_end308-_ZN4vllm25paged_attention_v1_kernelI14__hip_bfloat16hLi192ELi16ELi128ELNS_18Fp8KVCacheDataTypeE1ELb0EEEvPT_PKS3_PKT0_S9_ifPKiSB_iPKfiiiSD_SD_iiiii
                                        ; -- End function
	.set _ZN4vllm25paged_attention_v1_kernelI14__hip_bfloat16hLi192ELi16ELi128ELNS_18Fp8KVCacheDataTypeE1ELb0EEEvPT_PKS3_PKT0_S9_ifPKiSB_iPKfiiiSD_SD_iiiii.num_vgpr, 64
	.set _ZN4vllm25paged_attention_v1_kernelI14__hip_bfloat16hLi192ELi16ELi128ELNS_18Fp8KVCacheDataTypeE1ELb0EEEvPT_PKS3_PKT0_S9_ifPKiSB_iPKfiiiSD_SD_iiiii.num_agpr, 0
	.set _ZN4vllm25paged_attention_v1_kernelI14__hip_bfloat16hLi192ELi16ELi128ELNS_18Fp8KVCacheDataTypeE1ELb0EEEvPT_PKS3_PKT0_S9_ifPKiSB_iPKfiiiSD_SD_iiiii.numbered_sgpr, 48
	.set _ZN4vllm25paged_attention_v1_kernelI14__hip_bfloat16hLi192ELi16ELi128ELNS_18Fp8KVCacheDataTypeE1ELb0EEEvPT_PKS3_PKT0_S9_ifPKiSB_iPKfiiiSD_SD_iiiii.num_named_barrier, 0
	.set _ZN4vllm25paged_attention_v1_kernelI14__hip_bfloat16hLi192ELi16ELi128ELNS_18Fp8KVCacheDataTypeE1ELb0EEEvPT_PKS3_PKT0_S9_ifPKiSB_iPKfiiiSD_SD_iiiii.private_seg_size, 232
	.set _ZN4vllm25paged_attention_v1_kernelI14__hip_bfloat16hLi192ELi16ELi128ELNS_18Fp8KVCacheDataTypeE1ELb0EEEvPT_PKS3_PKT0_S9_ifPKiSB_iPKfiiiSD_SD_iiiii.uses_vcc, 1
	.set _ZN4vllm25paged_attention_v1_kernelI14__hip_bfloat16hLi192ELi16ELi128ELNS_18Fp8KVCacheDataTypeE1ELb0EEEvPT_PKS3_PKT0_S9_ifPKiSB_iPKfiiiSD_SD_iiiii.uses_flat_scratch, 0
	.set _ZN4vllm25paged_attention_v1_kernelI14__hip_bfloat16hLi192ELi16ELi128ELNS_18Fp8KVCacheDataTypeE1ELb0EEEvPT_PKS3_PKT0_S9_ifPKiSB_iPKfiiiSD_SD_iiiii.has_dyn_sized_stack, 0
	.set _ZN4vllm25paged_attention_v1_kernelI14__hip_bfloat16hLi192ELi16ELi128ELNS_18Fp8KVCacheDataTypeE1ELb0EEEvPT_PKS3_PKT0_S9_ifPKiSB_iPKfiiiSD_SD_iiiii.has_recursion, 0
	.set _ZN4vllm25paged_attention_v1_kernelI14__hip_bfloat16hLi192ELi16ELi128ELNS_18Fp8KVCacheDataTypeE1ELb0EEEvPT_PKS3_PKT0_S9_ifPKiSB_iPKfiiiSD_SD_iiiii.has_indirect_call, 0
	.section	.AMDGPU.csdata,"",@progbits
; Kernel info:
; codeLenInByte = 31620
; TotalNumSgprs: 52
; NumVgprs: 64
; ScratchSize: 232
; MemoryBound: 0
; FloatMode: 240
; IeeeMode: 1
; LDSByteSize: 400 bytes/workgroup (compile time only)
; SGPRBlocks: 6
; VGPRBlocks: 15
; NumSGPRsForWavesPerEU: 52
; NumVGPRsForWavesPerEU: 64
; Occupancy: 4
; WaveLimiterHint : 1
; COMPUTE_PGM_RSRC2:SCRATCH_EN: 1
; COMPUTE_PGM_RSRC2:USER_SGPR: 6
; COMPUTE_PGM_RSRC2:TRAP_HANDLER: 0
; COMPUTE_PGM_RSRC2:TGID_X_EN: 1
; COMPUTE_PGM_RSRC2:TGID_Y_EN: 1
; COMPUTE_PGM_RSRC2:TGID_Z_EN: 1
; COMPUTE_PGM_RSRC2:TIDIG_COMP_CNT: 0
	.section	.text._ZN4vllm25paged_attention_v1_kernelI14__hip_bfloat16hLi256ELi16ELi128ELNS_18Fp8KVCacheDataTypeE1ELb0EEEvPT_PKS3_PKT0_S9_ifPKiSB_iPKfiiiSD_SD_iiiii,"axG",@progbits,_ZN4vllm25paged_attention_v1_kernelI14__hip_bfloat16hLi256ELi16ELi128ELNS_18Fp8KVCacheDataTypeE1ELb0EEEvPT_PKS3_PKT0_S9_ifPKiSB_iPKfiiiSD_SD_iiiii,comdat
	.protected	_ZN4vllm25paged_attention_v1_kernelI14__hip_bfloat16hLi256ELi16ELi128ELNS_18Fp8KVCacheDataTypeE1ELb0EEEvPT_PKS3_PKT0_S9_ifPKiSB_iPKfiiiSD_SD_iiiii ; -- Begin function _ZN4vllm25paged_attention_v1_kernelI14__hip_bfloat16hLi256ELi16ELi128ELNS_18Fp8KVCacheDataTypeE1ELb0EEEvPT_PKS3_PKT0_S9_ifPKiSB_iPKfiiiSD_SD_iiiii
	.globl	_ZN4vllm25paged_attention_v1_kernelI14__hip_bfloat16hLi256ELi16ELi128ELNS_18Fp8KVCacheDataTypeE1ELb0EEEvPT_PKS3_PKT0_S9_ifPKiSB_iPKfiiiSD_SD_iiiii
	.p2align	8
	.type	_ZN4vllm25paged_attention_v1_kernelI14__hip_bfloat16hLi256ELi16ELi128ELNS_18Fp8KVCacheDataTypeE1ELb0EEEvPT_PKS3_PKT0_S9_ifPKiSB_iPKfiiiSD_SD_iiiii,@function
_ZN4vllm25paged_attention_v1_kernelI14__hip_bfloat16hLi256ELi16ELi128ELNS_18Fp8KVCacheDataTypeE1ELb0EEEvPT_PKS3_PKT0_S9_ifPKiSB_iPKfiiiSD_SD_iiiii: ; @_ZN4vllm25paged_attention_v1_kernelI14__hip_bfloat16hLi256ELi16ELi128ELNS_18Fp8KVCacheDataTypeE1ELb0EEEvPT_PKS3_PKT0_S9_ifPKiSB_iPKfiiiSD_SD_iiiii
; %bb.0:
	s_mov_b64 s[46:47], s[2:3]
	s_mov_b64 s[44:45], s[0:1]
	s_add_u32 s44, s44, s9
	s_load_dword s9, s[4:5], 0x80
	s_load_dwordx2 s[0:1], s[4:5], 0x30
	s_load_dwordx2 s[30:31], s[4:5], 0x20
	s_addc_u32 s45, s45, 0
	s_mov_b32 s10, s7
	s_ashr_i32 s11, s7, 31
	s_lshl_b64 s[2:3], s[10:11], 2
	s_waitcnt lgkmcnt(0)
	s_add_u32 s0, s0, s2
	s_addc_u32 s1, s1, s3
	s_abs_i32 s2, s30
	v_cvt_f32_u32_e32 v1, s2
	s_sub_i32 s11, 0, s2
	s_abs_i32 s7, s9
	s_xor_b32 s3, s9, s30
	v_rcp_iflag_f32_e32 v1, v1
	s_ashr_i32 s3, s3, 31
	s_mov_b32 s33, 0
	v_mul_f32_e32 v1, 0x4f7ffffe, v1
	v_cvt_u32_f32_e32 v1, v1
	v_readfirstlane_b32 s12, v1
	s_mul_i32 s11, s11, s12
	s_mul_hi_u32 s11, s12, s11
	s_add_i32 s12, s12, s11
	s_mul_hi_u32 s11, s7, s12
	s_mul_i32 s12, s11, s2
	s_sub_i32 s7, s7, s12
	s_add_i32 s12, s11, 1
	s_sub_i32 s13, s7, s2
	s_cmp_ge_u32 s7, s2
	s_cselect_b32 s11, s12, s11
	s_cselect_b32 s7, s13, s7
	s_add_i32 s12, s11, 1
	s_cmp_ge_u32 s7, s2
	s_cselect_b32 s2, s12, s11
	s_xor_b32 s2, s2, s3
	s_sub_i32 s12, s2, s3
	s_abs_i32 s11, s12
	v_cvt_f32_u32_e32 v1, s11
	s_load_dwordx2 s[2:3], s[4:5], 0x40
	s_sub_i32 s7, 0, s11
	s_abs_i32 s16, s6
	v_rcp_iflag_f32_e32 v1, v1
	v_mul_f32_e32 v1, 0x4f7ffffe, v1
	v_cvt_u32_f32_e32 v1, v1
	v_readfirstlane_b32 s13, v1
	s_mul_i32 s7, s7, s13
	s_mul_hi_u32 s7, s13, s7
	s_add_i32 s13, s13, s7
	s_waitcnt lgkmcnt(0)
	s_cmp_eq_u64 s[2:3], 0
	s_mul_hi_u32 s17, s16, s13
	s_cbranch_scc1 .LBB309_2
; %bb.1:
	s_ashr_i32 s7, s6, 31
	s_lshl_b64 s[14:15], s[6:7], 2
	s_add_u32 s2, s2, s14
	s_addc_u32 s3, s3, s15
	s_load_dword s33, s[2:3], 0x0
.LBB309_2:
	s_load_dword s30, s[0:1], 0x0
	s_ashr_i32 s3, s12, 31
	s_load_dwordx4 s[12:15], s[4:5], 0x48
	s_ashr_i32 s2, s6, 31
	v_and_b32_e32 v11, 3, v0
	s_lshl_b32 s20, s6, 8
	s_movk_i32 s0, 0x80
	v_cmp_gt_u32_e32 vcc, s0, v0
	s_mov_b64 s[0:1], exec
	s_and_b64 s[6:7], s[0:1], vcc
	buffer_store_dword v0, off, s[44:47], 0 offset:348 ; 4-byte Folded Spill
	s_mov_b64 exec, s[6:7]
	s_cbranch_execz .LBB309_4
; %bb.3:
	v_lshlrev_b32_e32 v1, 2, v0
	buffer_load_dword v0, off, s[44:47], 0 offset:348 ; 4-byte Folded Reload
	s_load_dwordx2 s[6:7], s[4:5], 0x8
	s_waitcnt lgkmcnt(0)
	s_mul_i32 s18, s12, s10
	s_ashr_i32 s19, s18, 31
	s_lshl_b64 s[18:19], s[18:19], 1
	s_add_u32 s12, s6, s18
	s_addc_u32 s15, s7, s19
	s_ashr_i32 s21, s20, 31
	s_lshl_b64 s[6:7], s[20:21], 1
	s_add_u32 s6, s12, s6
	s_addc_u32 s7, s15, s7
	global_load_dword v1, v1, s[6:7]
	s_waitcnt vmcnt(1)
	v_and_b32_e32 v2, 0x3fc, v0
	buffer_load_dword v0, off, s[44:47], 0 offset:348 ; 4-byte Folded Reload
	v_lshl_add_u32 v2, v11, 7, v2
	s_waitcnt vmcnt(1)
	ds_write_b32 v2, v1
.LBB309_4:
	s_or_b64 exec, exec, s[0:1]
	s_waitcnt lgkmcnt(0)
	s_add_i32 s1, s30, 15
	s_ashr_i32 s6, s1, 31
	s_lshr_b32 s6, s6, 28
	s_add_i32 s1, s1, s6
	s_ashr_i32 s21, s1, 4
	s_xor_b32 s1, s2, s3
	s_mul_i32 s2, s17, s11
	s_sub_i32 s2, s16, s2
	s_add_i32 s3, s17, 1
	s_sub_i32 s6, s2, s11
	s_load_dwordx2 s[24:25], s[4:5], 0x28
	s_load_dword s0, s[4:5], 0x38
	s_cmp_ge_u32 s2, s11
	s_cselect_b32 s3, s3, s17
	s_cselect_b32 s2, s6, s2
	s_add_i32 s6, s3, 1
	s_cmp_ge_u32 s2, s11
	s_cselect_b32 s2, s6, s3
	s_waitcnt vmcnt(0)
	v_lshrrev_b32_e32 v1, 6, v0
	s_xor_b32 s2, s2, s1
	s_waitcnt lgkmcnt(0)
	s_mul_i32 s26, s0, s10
                                        ; implicit-def: $vgpr2
	s_sub_i32 s12, s2, s1
	s_barrier
	s_ashr_i32 s27, s26, 31
	v_cmp_gt_i32_e64 s[0:1], s21, v1
	buffer_store_dword v1, off, s[44:47], 0 ; 4-byte Folded Spill
	v_cmp_le_i32_e32 vcc, s21, v1
	v_mbcnt_lo_u32_b32 v1, -1, 0
                                        ; kill: killed $vgpr2
                                        ; implicit-def: $vgpr2
                                        ; kill: killed $vgpr2
                                        ; implicit-def: $vgpr2
                                        ; kill: killed $vgpr2
	s_and_saveexec_b64 s[2:3], vcc
	s_xor_b64 s[2:3], exec, s[2:3]
	s_cbranch_execz .LBB309_6
; %bb.5:
	v_mbcnt_hi_u32_b32 v1, -1, v1
	buffer_store_dword v1, off, s[44:47], 0 offset:352 ; 4-byte Folded Spill
	v_and_b32_e32 v1, 64, v1
	buffer_store_dword v1, off, s[44:47], 0 offset:364 ; 4-byte Folded Spill
	v_add_u32_e32 v1, 64, v1
	buffer_store_dword v1, off, s[44:47], 0 offset:356 ; 4-byte Folded Spill
                                        ; implicit-def: $vgpr11
                                        ; implicit-def: $vgpr1
.LBB309_6:
	s_or_saveexec_b64 s[6:7], s[2:3]
	s_load_dwordx2 s[22:23], s[4:5], 0x0
	s_load_dwordx2 s[28:29], s[4:5], 0x18
	s_load_dword s11, s[4:5], 0x88
	s_load_dwordx4 s[16:19], s[4:5], 0x58
	v_mov_b32_e32 v2, 0xff7fffff
	buffer_store_dword v2, off, s[44:47], 0 offset:68 ; 4-byte Folded Spill
	s_mul_i32 s12, s12, s14
	v_lshrrev_b32_e32 v2, 4, v0
	buffer_store_dword v2, off, s[44:47], 0 offset:360 ; 4-byte Folded Spill
	s_xor_b64 exec, exec, s[6:7]
	s_cbranch_execz .LBB309_396
; %bb.7:
	v_lshlrev_b32_e32 v10, 7, v11
	ds_read_b128 v[2:5], v10
	ds_read_b128 v[6:9], v10 offset:16
	s_load_dwordx2 s[2:3], s[4:5], 0x10
	s_ashr_i32 s4, s12, 31
	v_mbcnt_hi_u32_b32 v1, -1, v1
	s_waitcnt lgkmcnt(0)
	v_lshlrev_b32_e32 v12, 16, v2
	v_and_b32_e32 v2, 0xffff0000, v2
	buffer_store_dword v2, off, s[44:47], 0 offset:76 ; 4-byte Folded Spill
	v_lshlrev_b32_e32 v2, 16, v3
	buffer_store_dword v2, off, s[44:47], 0 offset:80 ; 4-byte Folded Spill
	v_and_b32_e32 v2, 0xffff0000, v3
	buffer_store_dword v2, off, s[44:47], 0 offset:84 ; 4-byte Folded Spill
	v_lshlrev_b32_e32 v2, 16, v4
	buffer_store_dword v2, off, s[44:47], 0 offset:88 ; 4-byte Folded Spill
	;; [unrolled: 4-line block ×6, first 2 shown]
	ds_read_b128 v[2:5], v10 offset:32
	v_and_b32_e32 v6, 0xffff0000, v8
	buffer_store_dword v6, off, s[44:47], 0 offset:128 ; 4-byte Folded Spill
	v_lshlrev_b32_e32 v6, 16, v9
	buffer_store_dword v6, off, s[44:47], 0 offset:132 ; 4-byte Folded Spill
	v_and_b32_e32 v6, 0xffff0000, v9
	buffer_store_dword v12, off, s[44:47], 0 offset:72 ; 4-byte Folded Spill
	buffer_store_dword v6, off, s[44:47], 0 offset:136 ; 4-byte Folded Spill
	ds_read_b128 v[6:9], v10 offset:48
	s_waitcnt lgkmcnt(1)
	v_lshlrev_b32_e32 v12, 16, v2
	v_and_b32_e32 v2, 0xffff0000, v2
	buffer_store_dword v2, off, s[44:47], 0 offset:144 ; 4-byte Folded Spill
	v_lshlrev_b32_e32 v2, 16, v3
	buffer_store_dword v2, off, s[44:47], 0 offset:148 ; 4-byte Folded Spill
	v_and_b32_e32 v2, 0xffff0000, v3
	buffer_store_dword v2, off, s[44:47], 0 offset:152 ; 4-byte Folded Spill
	v_lshlrev_b32_e32 v2, 16, v4
	buffer_store_dword v2, off, s[44:47], 0 offset:156 ; 4-byte Folded Spill
	;; [unrolled: 4-line block ×3, first 2 shown]
	v_and_b32_e32 v2, 0xffff0000, v5
	buffer_store_dword v2, off, s[44:47], 0 offset:168 ; 4-byte Folded Spill
	s_waitcnt lgkmcnt(0)
	v_lshlrev_b32_e32 v2, 16, v6
	buffer_store_dword v2, off, s[44:47], 0 offset:172 ; 4-byte Folded Spill
	v_and_b32_e32 v2, 0xffff0000, v6
	buffer_store_dword v2, off, s[44:47], 0 offset:176 ; 4-byte Folded Spill
	v_lshlrev_b32_e32 v2, 16, v7
	buffer_store_dword v2, off, s[44:47], 0 offset:180 ; 4-byte Folded Spill
	v_and_b32_e32 v2, 0xffff0000, v7
	buffer_store_dword v2, off, s[44:47], 0 offset:184 ; 4-byte Folded Spill
	v_lshlrev_b32_e32 v2, 16, v8
	buffer_store_dword v2, off, s[44:47], 0 offset:188 ; 4-byte Folded Spill
	ds_read_b128 v[2:5], v10 offset:64
	v_and_b32_e32 v6, 0xffff0000, v8
	buffer_store_dword v6, off, s[44:47], 0 offset:192 ; 4-byte Folded Spill
	v_lshlrev_b32_e32 v6, 16, v9
	buffer_store_dword v6, off, s[44:47], 0 offset:196 ; 4-byte Folded Spill
	v_and_b32_e32 v6, 0xffff0000, v9
	buffer_store_dword v12, off, s[44:47], 0 offset:140 ; 4-byte Folded Spill
	buffer_store_dword v6, off, s[44:47], 0 offset:200 ; 4-byte Folded Spill
	ds_read_b128 v[6:9], v10 offset:80
	s_waitcnt lgkmcnt(1)
	v_lshlrev_b32_e32 v12, 16, v2
	v_and_b32_e32 v2, 0xffff0000, v2
	buffer_store_dword v2, off, s[44:47], 0 offset:208 ; 4-byte Folded Spill
	v_lshlrev_b32_e32 v2, 16, v3
	buffer_store_dword v2, off, s[44:47], 0 offset:212 ; 4-byte Folded Spill
	v_and_b32_e32 v2, 0xffff0000, v3
	buffer_store_dword v2, off, s[44:47], 0 offset:216 ; 4-byte Folded Spill
	v_lshlrev_b32_e32 v2, 16, v4
	buffer_store_dword v2, off, s[44:47], 0 offset:220 ; 4-byte Folded Spill
	v_and_b32_e32 v2, 0xffff0000, v4
	buffer_store_dword v2, off, s[44:47], 0 offset:224 ; 4-byte Folded Spill
	v_lshlrev_b32_e32 v2, 16, v5
	buffer_store_dword v2, off, s[44:47], 0 offset:228 ; 4-byte Folded Spill
	v_and_b32_e32 v2, 0xffff0000, v5
	buffer_store_dword v2, off, s[44:47], 0 offset:232 ; 4-byte Folded Spill
	s_waitcnt lgkmcnt(0)
	v_lshlrev_b32_e32 v2, 16, v6
	buffer_store_dword v2, off, s[44:47], 0 offset:236 ; 4-byte Folded Spill
	v_and_b32_e32 v2, 0xffff0000, v6
	buffer_store_dword v2, off, s[44:47], 0 offset:240 ; 4-byte Folded Spill
	v_lshlrev_b32_e32 v2, 16, v7
	buffer_store_dword v2, off, s[44:47], 0 offset:244 ; 4-byte Folded Spill
	v_and_b32_e32 v2, 0xffff0000, v7
	buffer_store_dword v2, off, s[44:47], 0 offset:248 ; 4-byte Folded Spill
	;; [unrolled: 4-line block ×4, first 2 shown]
	buffer_store_dword v2, off, s[44:47], 0 offset:264 ; 4-byte Folded Spill
	ds_read_b128 v[2:5], v10 offset:96
	ds_read_b128 v[6:9], v10 offset:112
	s_add_u32 s2, s2, s12
	s_addc_u32 s3, s3, s4
	s_sub_i32 s38, 1, s30
	s_waitcnt lgkmcnt(1)
	v_lshlrev_b32_e32 v10, 16, v2
	v_and_b32_e32 v2, 0xffff0000, v2
	buffer_store_dword v2, off, s[44:47], 0 offset:272 ; 4-byte Folded Spill
	v_lshlrev_b32_e32 v2, 16, v3
	buffer_store_dword v2, off, s[44:47], 0 offset:276 ; 4-byte Folded Spill
	v_and_b32_e32 v2, 0xffff0000, v3
	buffer_store_dword v2, off, s[44:47], 0 offset:280 ; 4-byte Folded Spill
	v_lshlrev_b32_e32 v2, 16, v4
	buffer_store_dword v2, off, s[44:47], 0 offset:284 ; 4-byte Folded Spill
	;; [unrolled: 4-line block ×3, first 2 shown]
	v_and_b32_e32 v2, 0xffff0000, v5
	buffer_store_dword v2, off, s[44:47], 0 offset:296 ; 4-byte Folded Spill
	s_waitcnt lgkmcnt(0)
	v_lshlrev_b32_e32 v2, 16, v6
	buffer_store_dword v2, off, s[44:47], 0 offset:300 ; 4-byte Folded Spill
	v_and_b32_e32 v2, 0xffff0000, v6
	buffer_store_dword v2, off, s[44:47], 0 offset:304 ; 4-byte Folded Spill
	v_lshlrev_b32_e32 v2, 16, v7
	buffer_store_dword v2, off, s[44:47], 0 offset:308 ; 4-byte Folded Spill
	v_and_b32_e32 v2, 0xffff0000, v7
	buffer_store_dword v2, off, s[44:47], 0 offset:312 ; 4-byte Folded Spill
	;; [unrolled: 4-line block ×4, first 2 shown]
	v_bfe_u32 v2, v0, 2, 4
	v_lshlrev_b32_e32 v3, 4, v2
	v_mov_b32_e32 v4, s3
	v_add_co_u32_e32 v3, vcc, s2, v3
	v_lshlrev_b32_e32 v0, 1, v11
	v_addc_co_u32_e32 v4, vcc, 0, v4, vcc
	v_add_co_u32_e64 v3, s[2:3], v3, v0
	v_addc_co_u32_e64 v4, s[2:3], 0, v4, s[2:3]
	buffer_store_dword v10, off, s[44:47], 0 offset:268 ; 4-byte Folded Spill
	buffer_store_dword v3, off, s[44:47], 0 offset:332 ; 4-byte Folded Spill
	s_nop 0
	buffer_store_dword v4, off, s[44:47], 0 offset:336 ; 4-byte Folded Spill
	buffer_load_dword v0, off, s[44:47], 0 offset:360 ; 4-byte Folded Reload
	s_lshl_b64 s[2:3], s[26:27], 2
	s_add_u32 s2, s24, s2
	s_addc_u32 s3, s25, s3
	v_mov_b32_e32 v4, s3
	buffer_store_dword v1, off, s[44:47], 0 offset:352 ; 4-byte Folded Spill
	s_load_dword s40, s[16:17], 0x0
	v_cmp_eq_u32_e32 vcc, 0, v11
	s_mov_b32 s39, s13
	s_mov_b64 s[14:15], 0
	s_movk_i32 s41, 0x80
	s_movk_i32 s42, 0x7f
	;; [unrolled: 1-line block ×3, first 2 shown]
	s_waitcnt vmcnt(1)
	v_and_b32_e32 v0, 60, v0
	v_add_co_u32_e64 v5, s[2:3], s2, v0
	v_and_b32_e32 v0, 64, v1
	v_addc_co_u32_e64 v6, s[2:3], 0, v4, s[2:3]
	buffer_store_dword v0, off, s[44:47], 0 offset:364 ; 4-byte Folded Spill
	v_add_u32_e32 v3, 64, v0
	v_xor_b32_e32 v0, 2, v1
	v_cmp_lt_i32_e64 s[2:3], v0, v3
	v_cndmask_b32_e64 v0, v1, v0, s[2:3]
	v_lshlrev_b32_e32 v0, 2, v0
	buffer_store_dword v0, off, s[44:47], 0 offset:340 ; 4-byte Folded Spill
	v_xor_b32_e32 v0, 1, v1
	v_cmp_lt_i32_e64 s[2:3], v0, v3
	v_cndmask_b32_e64 v0, v1, v0, s[2:3]
	buffer_load_dword v1, off, s[44:47], 0  ; 4-byte Folded Reload
	v_lshlrev_b32_e32 v0, 2, v0
	buffer_store_dword v0, off, s[44:47], 0 offset:344 ; 4-byte Folded Spill
	v_cmp_neq_f32_e64 s[2:3], s33, 0
	buffer_store_dword v3, off, s[44:47], 0 offset:356 ; 4-byte Folded Spill
	s_waitcnt vmcnt(2)
	v_lshl_or_b32 v0, v1, 4, v2
	buffer_store_dword v0, off, s[44:47], 0 offset:28 ; 4-byte Folded Spill
	v_lshlrev_b32_e32 v0, 2, v2
	v_lshl_or_b32 v0, v1, 6, v0
	v_add_u32_e32 v0, 0x210, v0
	buffer_store_dword v0, off, s[44:47], 0 offset:32 ; 4-byte Folded Spill
	v_mov_b32_e32 v0, 0xff7fffff
	v_mov_b32_e32 v7, v1
	buffer_store_dword v0, off, s[44:47], 0 offset:68 ; 4-byte Folded Spill
	s_branch .LBB309_9
.LBB309_8:                              ;   in Loop: Header=BB309_9 Depth=1
	s_or_b64 exec, exec, s[16:17]
	buffer_load_dword v0, off, s[44:47], 0 offset:28 ; 4-byte Folded Reload
	s_waitcnt vmcnt(1)
	v_add_u32_e32 v7, 2, v7
	v_cmp_le_i32_e64 s[4:5], s21, v7
	s_or_b64 s[14:15], s[4:5], s[14:15]
	s_waitcnt vmcnt(0)
	v_add_u32_e32 v0, 32, v0
	buffer_store_dword v0, off, s[44:47], 0 offset:28 ; 4-byte Folded Spill
	buffer_load_dword v0, off, s[44:47], 0 offset:32 ; 4-byte Folded Reload
	s_waitcnt vmcnt(0)
	v_add_u32_e32 v0, 0x80, v0
	buffer_store_dword v0, off, s[44:47], 0 offset:32 ; 4-byte Folded Spill
	buffer_load_dword v5, off, s[44:47], 0 offset:36 ; 4-byte Folded Reload
	buffer_load_dword v6, off, s[44:47], 0 offset:40 ; 4-byte Folded Reload
	s_waitcnt vmcnt(1)
	v_add_co_u32_e64 v5, s[4:5], 8, v5
	s_waitcnt vmcnt(0)
	v_addc_co_u32_e64 v6, s[4:5], 0, v6, s[4:5]
	s_andn2_b64 exec, exec, s[14:15]
	s_cbranch_execz .LBB309_395
.LBB309_9:                              ; =>This Inner Loop Header: Depth=1
	buffer_store_dword v7, off, s[44:47], 0 offset:44 ; 4-byte Folded Spill
	buffer_store_dword v5, off, s[44:47], 0 offset:36 ; 4-byte Folded Spill
	s_nop 0
	buffer_store_dword v6, off, s[44:47], 0 offset:40 ; 4-byte Folded Spill
	v_mov_b32_e32 v31, 0
	global_load_dword v0, v[5:6], off
	s_waitcnt lgkmcnt(0)
	buffer_load_dword v1, off, s[44:47], 0 offset:332 ; 4-byte Folded Reload
	buffer_load_dword v2, off, s[44:47], 0 offset:336 ; 4-byte Folded Reload
	s_waitcnt vmcnt(0)
	v_mad_i64_i32 v[5:6], s[4:5], v0, s39, v[1:2]
	v_mov_b32_e32 v1, 0
	global_load_ushort v0, v[5:6], off
	s_waitcnt vmcnt(0)
	v_and_b32_e32 v7, 0xffff, v0
	v_cmp_ne_u16_sdwa s[4:5], v0, v1 src0_sel:BYTE_0 src1_sel:DWORD
	s_and_saveexec_b64 s[16:17], s[4:5]
	s_cbranch_execz .LBB309_15
; %bb.10:                               ;   in Loop: Header=BB309_9 Depth=1
	v_cmp_ne_u16_sdwa s[4:5], v7, s41 src0_sel:BYTE_0 src1_sel:DWORD
	v_bfrev_b32_e32 v31, 1
	s_and_saveexec_b64 s[34:35], s[4:5]
	s_cbranch_execz .LBB309_14
; %bb.11:                               ;   in Loop: Header=BB309_9 Depth=1
	v_and_b32_e32 v0, 0x7f, v7
	v_cmp_ne_u32_e64 s[4:5], s42, v0
	v_mov_b32_e32 v31, 0x7f800001
	s_and_saveexec_b64 s[36:37], s[4:5]
	s_cbranch_execz .LBB309_13
; %bb.12:                               ;   in Loop: Header=BB309_9 Depth=1
	v_and_b32_e32 v2, 7, v7
	v_lshrrev_b32_e32 v8, 3, v0
	v_cmp_gt_u32_e64 s[4:5], 8, v0
	v_ffbh_u32_e32 v0, v2
	v_min_u32_e32 v9, 32, v0
	v_subrev_u32_e32 v0, 28, v9
	v_lshlrev_b64 v[0:1], v0, v[7:8]
	v_sub_u32_e32 v1, 29, v9
	v_and_b32_e32 v0, 7, v0
	v_cndmask_b32_e64 v1, v8, v1, s[4:5]
	v_cndmask_b32_e64 v0, v2, v0, s[4:5]
	v_lshlrev_b32_e32 v2, 24, v7
	v_bfrev_b32_e32 v3, 60
	v_lshlrev_b32_e32 v0, 20, v0
	v_and_b32_e32 v2, 0x80000000, v2
	v_lshl_add_u32 v1, v1, 23, v3
	v_or3_b32 v31, v2, v1, v0
.LBB309_13:                             ;   in Loop: Header=BB309_9 Depth=1
	s_or_b64 exec, exec, s[36:37]
.LBB309_14:                             ;   in Loop: Header=BB309_9 Depth=1
	s_or_b64 exec, exec, s[34:35]
.LBB309_15:                             ;   in Loop: Header=BB309_9 Depth=1
	s_or_b64 exec, exec, s[16:17]
	v_lshrrev_b16_e32 v8, 8, v7
	v_mov_b32_e32 v0, 0
	v_cmp_ne_u16_e64 s[4:5], 0, v8
	buffer_store_dword v0, off, s[44:47], 0 offset:12 ; 4-byte Folded Spill
	v_mov_b32_e32 v0, 0
	buffer_store_dword v0, off, s[44:47], 0 offset:8 ; 4-byte Folded Spill
	s_and_saveexec_b64 s[16:17], s[4:5]
	s_cbranch_execz .LBB309_21
; %bb.16:                               ;   in Loop: Header=BB309_9 Depth=1
	v_cmp_ne_u16_e64 s[4:5], s41, v8
	v_bfrev_b32_e32 v0, 1
	buffer_store_dword v0, off, s[44:47], 0 offset:8 ; 4-byte Folded Spill
	s_and_saveexec_b64 s[34:35], s[4:5]
	s_cbranch_execz .LBB309_20
; %bb.17:                               ;   in Loop: Header=BB309_9 Depth=1
	v_and_b32_e32 v0, 0x7f, v8
	v_cmp_ne_u32_e64 s[4:5], s42, v0
	v_mov_b32_e32 v1, 0x7f800001
	buffer_store_dword v1, off, s[44:47], 0 offset:8 ; 4-byte Folded Spill
	s_and_saveexec_b64 s[36:37], s[4:5]
	s_cbranch_execz .LBB309_19
; %bb.18:                               ;   in Loop: Header=BB309_9 Depth=1
	v_and_b32_e32 v2, 7, v8
	v_lshrrev_b32_e32 v9, 3, v0
	v_cmp_gt_u32_e64 s[4:5], 8, v0
	v_ffbh_u32_e32 v0, v2
	v_min_u32_e32 v10, 32, v0
	v_subrev_u32_e32 v0, 28, v10
	v_lshlrev_b64 v[0:1], v0, v[8:9]
	v_sub_u32_e32 v1, 29, v10
	v_and_b32_e32 v0, 7, v0
	v_cndmask_b32_e64 v1, v9, v1, s[4:5]
	v_cndmask_b32_e64 v0, v2, v0, s[4:5]
	v_lshlrev_b32_e32 v2, 16, v7
	v_bfrev_b32_e32 v3, 60
	v_lshlrev_b32_e32 v0, 20, v0
	v_and_b32_e32 v2, 0x80000000, v2
	v_lshl_add_u32 v1, v1, 23, v3
	v_or3_b32 v0, v2, v1, v0
	buffer_store_dword v0, off, s[44:47], 0 offset:8 ; 4-byte Folded Spill
.LBB309_19:                             ;   in Loop: Header=BB309_9 Depth=1
	s_or_b64 exec, exec, s[36:37]
.LBB309_20:                             ;   in Loop: Header=BB309_9 Depth=1
	s_or_b64 exec, exec, s[34:35]
.LBB309_21:                             ;   in Loop: Header=BB309_9 Depth=1
	s_or_b64 exec, exec, s[16:17]
	global_load_ushort v0, v[5:6], off offset:8
	v_mov_b32_e32 v1, 0
	s_waitcnt vmcnt(0)
	v_and_b32_e32 v7, 0xffff, v0
	v_cmp_ne_u16_sdwa s[4:5], v0, v1 src0_sel:BYTE_0 src1_sel:DWORD
	s_and_saveexec_b64 s[16:17], s[4:5]
	s_cbranch_execz .LBB309_27
; %bb.22:                               ;   in Loop: Header=BB309_9 Depth=1
	v_cmp_ne_u16_sdwa s[4:5], v7, s41 src0_sel:BYTE_0 src1_sel:DWORD
	v_bfrev_b32_e32 v0, 1
	buffer_store_dword v0, off, s[44:47], 0 offset:12 ; 4-byte Folded Spill
	s_and_saveexec_b64 s[34:35], s[4:5]
	s_cbranch_execz .LBB309_26
; %bb.23:                               ;   in Loop: Header=BB309_9 Depth=1
	v_and_b32_e32 v0, 0x7f, v7
	v_cmp_ne_u32_e64 s[4:5], s42, v0
	v_mov_b32_e32 v1, 0x7f800001
	buffer_store_dword v1, off, s[44:47], 0 offset:12 ; 4-byte Folded Spill
	s_and_saveexec_b64 s[36:37], s[4:5]
	s_cbranch_execz .LBB309_25
; %bb.24:                               ;   in Loop: Header=BB309_9 Depth=1
	v_and_b32_e32 v2, 7, v7
	v_lshrrev_b32_e32 v8, 3, v0
	v_cmp_gt_u32_e64 s[4:5], 8, v0
	v_ffbh_u32_e32 v0, v2
	v_min_u32_e32 v9, 32, v0
	v_subrev_u32_e32 v0, 28, v9
	v_lshlrev_b64 v[0:1], v0, v[7:8]
	v_sub_u32_e32 v1, 29, v9
	v_and_b32_e32 v0, 7, v0
	v_cndmask_b32_e64 v1, v8, v1, s[4:5]
	v_cndmask_b32_e64 v0, v2, v0, s[4:5]
	v_lshlrev_b32_e32 v2, 24, v7
	v_bfrev_b32_e32 v3, 60
	v_lshlrev_b32_e32 v0, 20, v0
	v_and_b32_e32 v2, 0x80000000, v2
	v_lshl_add_u32 v1, v1, 23, v3
	v_or3_b32 v0, v2, v1, v0
	buffer_store_dword v0, off, s[44:47], 0 offset:12 ; 4-byte Folded Spill
.LBB309_25:                             ;   in Loop: Header=BB309_9 Depth=1
	s_or_b64 exec, exec, s[36:37]
.LBB309_26:                             ;   in Loop: Header=BB309_9 Depth=1
	s_or_b64 exec, exec, s[34:35]
.LBB309_27:                             ;   in Loop: Header=BB309_9 Depth=1
	s_or_b64 exec, exec, s[16:17]
	v_lshrrev_b16_e32 v8, 8, v7
	v_mov_b32_e32 v0, 0
	v_cmp_ne_u16_e64 s[4:5], 0, v8
	buffer_store_dword v0, off, s[44:47], 0 offset:20 ; 4-byte Folded Spill
	v_mov_b32_e32 v0, 0
	buffer_store_dword v0, off, s[44:47], 0 offset:16 ; 4-byte Folded Spill
	s_and_saveexec_b64 s[16:17], s[4:5]
	s_cbranch_execz .LBB309_33
; %bb.28:                               ;   in Loop: Header=BB309_9 Depth=1
	v_cmp_ne_u16_e64 s[4:5], s41, v8
	v_bfrev_b32_e32 v0, 1
	buffer_store_dword v0, off, s[44:47], 0 offset:16 ; 4-byte Folded Spill
	s_and_saveexec_b64 s[34:35], s[4:5]
	s_cbranch_execz .LBB309_32
; %bb.29:                               ;   in Loop: Header=BB309_9 Depth=1
	v_and_b32_e32 v0, 0x7f, v8
	v_cmp_ne_u32_e64 s[4:5], s42, v0
	v_mov_b32_e32 v1, 0x7f800001
	buffer_store_dword v1, off, s[44:47], 0 offset:16 ; 4-byte Folded Spill
	s_and_saveexec_b64 s[36:37], s[4:5]
	s_cbranch_execz .LBB309_31
; %bb.30:                               ;   in Loop: Header=BB309_9 Depth=1
	v_and_b32_e32 v2, 7, v8
	v_lshrrev_b32_e32 v9, 3, v0
	v_cmp_gt_u32_e64 s[4:5], 8, v0
	v_ffbh_u32_e32 v0, v2
	v_min_u32_e32 v10, 32, v0
	v_subrev_u32_e32 v0, 28, v10
	v_lshlrev_b64 v[0:1], v0, v[8:9]
	v_sub_u32_e32 v1, 29, v10
	v_and_b32_e32 v0, 7, v0
	v_cndmask_b32_e64 v1, v9, v1, s[4:5]
	v_cndmask_b32_e64 v0, v2, v0, s[4:5]
	v_lshlrev_b32_e32 v2, 16, v7
	v_bfrev_b32_e32 v3, 60
	v_lshlrev_b32_e32 v0, 20, v0
	v_and_b32_e32 v2, 0x80000000, v2
	v_lshl_add_u32 v1, v1, 23, v3
	v_or3_b32 v0, v2, v1, v0
	buffer_store_dword v0, off, s[44:47], 0 offset:16 ; 4-byte Folded Spill
.LBB309_31:                             ;   in Loop: Header=BB309_9 Depth=1
	s_or_b64 exec, exec, s[36:37]
.LBB309_32:                             ;   in Loop: Header=BB309_9 Depth=1
	s_or_b64 exec, exec, s[34:35]
.LBB309_33:                             ;   in Loop: Header=BB309_9 Depth=1
	s_or_b64 exec, exec, s[16:17]
	global_load_ushort v0, v[5:6], off offset:256
	v_mov_b32_e32 v1, 0
	s_waitcnt vmcnt(0)
	v_and_b32_e32 v7, 0xffff, v0
	v_cmp_ne_u16_sdwa s[4:5], v0, v1 src0_sel:BYTE_0 src1_sel:DWORD
	s_and_saveexec_b64 s[16:17], s[4:5]
	s_cbranch_execz .LBB309_39
; %bb.34:                               ;   in Loop: Header=BB309_9 Depth=1
	v_cmp_ne_u16_sdwa s[4:5], v7, s41 src0_sel:BYTE_0 src1_sel:DWORD
	v_bfrev_b32_e32 v0, 1
	buffer_store_dword v0, off, s[44:47], 0 offset:20 ; 4-byte Folded Spill
	s_and_saveexec_b64 s[34:35], s[4:5]
	s_cbranch_execz .LBB309_38
; %bb.35:                               ;   in Loop: Header=BB309_9 Depth=1
	v_and_b32_e32 v0, 0x7f, v7
	v_cmp_ne_u32_e64 s[4:5], s42, v0
	v_mov_b32_e32 v1, 0x7f800001
	buffer_store_dword v1, off, s[44:47], 0 offset:20 ; 4-byte Folded Spill
	s_and_saveexec_b64 s[36:37], s[4:5]
	s_cbranch_execz .LBB309_37
; %bb.36:                               ;   in Loop: Header=BB309_9 Depth=1
	v_and_b32_e32 v2, 7, v7
	v_lshrrev_b32_e32 v8, 3, v0
	v_cmp_gt_u32_e64 s[4:5], 8, v0
	v_ffbh_u32_e32 v0, v2
	v_min_u32_e32 v9, 32, v0
	v_subrev_u32_e32 v0, 28, v9
	v_lshlrev_b64 v[0:1], v0, v[7:8]
	v_sub_u32_e32 v1, 29, v9
	v_and_b32_e32 v0, 7, v0
	v_cndmask_b32_e64 v1, v8, v1, s[4:5]
	v_cndmask_b32_e64 v0, v2, v0, s[4:5]
	v_lshlrev_b32_e32 v2, 24, v7
	v_bfrev_b32_e32 v3, 60
	v_lshlrev_b32_e32 v0, 20, v0
	v_and_b32_e32 v2, 0x80000000, v2
	v_lshl_add_u32 v1, v1, 23, v3
	v_or3_b32 v0, v2, v1, v0
	buffer_store_dword v0, off, s[44:47], 0 offset:20 ; 4-byte Folded Spill
.LBB309_37:                             ;   in Loop: Header=BB309_9 Depth=1
	s_or_b64 exec, exec, s[36:37]
.LBB309_38:                             ;   in Loop: Header=BB309_9 Depth=1
	s_or_b64 exec, exec, s[34:35]
.LBB309_39:                             ;   in Loop: Header=BB309_9 Depth=1
	s_or_b64 exec, exec, s[16:17]
	v_lshrrev_b16_e32 v8, 8, v7
	v_cmp_ne_u16_e64 s[4:5], 0, v8
	v_mov_b32_e32 v43, 0
	v_mov_b32_e32 v0, 0
	buffer_store_dword v0, off, s[44:47], 0 offset:4 ; 4-byte Folded Spill
	s_and_saveexec_b64 s[16:17], s[4:5]
	s_cbranch_execz .LBB309_45
; %bb.40:                               ;   in Loop: Header=BB309_9 Depth=1
	v_cmp_ne_u16_e64 s[4:5], s41, v8
	v_bfrev_b32_e32 v0, 1
	buffer_store_dword v0, off, s[44:47], 0 offset:4 ; 4-byte Folded Spill
	s_and_saveexec_b64 s[34:35], s[4:5]
	s_cbranch_execz .LBB309_44
; %bb.41:                               ;   in Loop: Header=BB309_9 Depth=1
	v_and_b32_e32 v0, 0x7f, v8
	v_cmp_ne_u32_e64 s[4:5], s42, v0
	v_mov_b32_e32 v1, 0x7f800001
	buffer_store_dword v1, off, s[44:47], 0 offset:4 ; 4-byte Folded Spill
	s_and_saveexec_b64 s[36:37], s[4:5]
	s_cbranch_execz .LBB309_43
; %bb.42:                               ;   in Loop: Header=BB309_9 Depth=1
	v_and_b32_e32 v2, 7, v8
	v_lshrrev_b32_e32 v9, 3, v0
	v_cmp_gt_u32_e64 s[4:5], 8, v0
	v_ffbh_u32_e32 v0, v2
	v_min_u32_e32 v10, 32, v0
	v_subrev_u32_e32 v0, 28, v10
	v_lshlrev_b64 v[0:1], v0, v[8:9]
	v_sub_u32_e32 v1, 29, v10
	v_and_b32_e32 v0, 7, v0
	v_cndmask_b32_e64 v1, v9, v1, s[4:5]
	v_cndmask_b32_e64 v0, v2, v0, s[4:5]
	v_lshlrev_b32_e32 v2, 16, v7
	v_bfrev_b32_e32 v3, 60
	v_lshlrev_b32_e32 v0, 20, v0
	v_and_b32_e32 v2, 0x80000000, v2
	v_lshl_add_u32 v1, v1, 23, v3
	v_or3_b32 v0, v2, v1, v0
	buffer_store_dword v0, off, s[44:47], 0 offset:4 ; 4-byte Folded Spill
.LBB309_43:                             ;   in Loop: Header=BB309_9 Depth=1
	s_or_b64 exec, exec, s[36:37]
.LBB309_44:                             ;   in Loop: Header=BB309_9 Depth=1
	s_or_b64 exec, exec, s[34:35]
.LBB309_45:                             ;   in Loop: Header=BB309_9 Depth=1
	s_or_b64 exec, exec, s[16:17]
	global_load_ushort v0, v[5:6], off offset:264
	v_mov_b32_e32 v1, 0
	s_waitcnt vmcnt(0)
	v_and_b32_e32 v7, 0xffff, v0
	v_cmp_ne_u16_sdwa s[4:5], v0, v1 src0_sel:BYTE_0 src1_sel:DWORD
	s_and_saveexec_b64 s[16:17], s[4:5]
	s_cbranch_execz .LBB309_51
; %bb.46:                               ;   in Loop: Header=BB309_9 Depth=1
	v_cmp_ne_u16_sdwa s[4:5], v7, s41 src0_sel:BYTE_0 src1_sel:DWORD
	v_bfrev_b32_e32 v43, 1
	s_and_saveexec_b64 s[34:35], s[4:5]
	s_cbranch_execz .LBB309_50
; %bb.47:                               ;   in Loop: Header=BB309_9 Depth=1
	v_and_b32_e32 v0, 0x7f, v7
	v_cmp_ne_u32_e64 s[4:5], s42, v0
	v_mov_b32_e32 v43, 0x7f800001
	s_and_saveexec_b64 s[36:37], s[4:5]
	s_cbranch_execz .LBB309_49
; %bb.48:                               ;   in Loop: Header=BB309_9 Depth=1
	v_and_b32_e32 v2, 7, v7
	v_lshrrev_b32_e32 v8, 3, v0
	v_cmp_gt_u32_e64 s[4:5], 8, v0
	v_ffbh_u32_e32 v0, v2
	v_min_u32_e32 v9, 32, v0
	v_subrev_u32_e32 v0, 28, v9
	v_lshlrev_b64 v[0:1], v0, v[7:8]
	v_sub_u32_e32 v1, 29, v9
	v_and_b32_e32 v0, 7, v0
	v_cndmask_b32_e64 v1, v8, v1, s[4:5]
	v_cndmask_b32_e64 v0, v2, v0, s[4:5]
	v_lshlrev_b32_e32 v2, 24, v7
	v_bfrev_b32_e32 v3, 60
	v_lshlrev_b32_e32 v0, 20, v0
	v_and_b32_e32 v2, 0x80000000, v2
	v_lshl_add_u32 v1, v1, 23, v3
	v_or3_b32 v43, v2, v1, v0
.LBB309_49:                             ;   in Loop: Header=BB309_9 Depth=1
	s_or_b64 exec, exec, s[36:37]
.LBB309_50:                             ;   in Loop: Header=BB309_9 Depth=1
	s_or_b64 exec, exec, s[34:35]
.LBB309_51:                             ;   in Loop: Header=BB309_9 Depth=1
	s_or_b64 exec, exec, s[16:17]
	v_lshrrev_b16_e32 v8, 8, v7
	v_cmp_ne_u16_e64 s[4:5], 0, v8
	v_mov_b32_e32 v27, 0
	v_mov_b32_e32 v20, 0
	s_and_saveexec_b64 s[16:17], s[4:5]
	s_cbranch_execz .LBB309_57
; %bb.52:                               ;   in Loop: Header=BB309_9 Depth=1
	v_cmp_ne_u16_e64 s[4:5], s41, v8
	v_bfrev_b32_e32 v20, 1
	s_and_saveexec_b64 s[34:35], s[4:5]
	s_cbranch_execz .LBB309_56
; %bb.53:                               ;   in Loop: Header=BB309_9 Depth=1
	v_and_b32_e32 v0, 0x7f, v8
	v_cmp_ne_u32_e64 s[4:5], s42, v0
	v_mov_b32_e32 v20, 0x7f800001
	s_and_saveexec_b64 s[36:37], s[4:5]
	s_cbranch_execz .LBB309_55
; %bb.54:                               ;   in Loop: Header=BB309_9 Depth=1
	v_and_b32_e32 v2, 7, v8
	v_lshrrev_b32_e32 v9, 3, v0
	v_cmp_gt_u32_e64 s[4:5], 8, v0
	v_ffbh_u32_e32 v0, v2
	v_min_u32_e32 v10, 32, v0
	v_subrev_u32_e32 v0, 28, v10
	v_lshlrev_b64 v[0:1], v0, v[8:9]
	v_sub_u32_e32 v1, 29, v10
	v_and_b32_e32 v0, 7, v0
	v_cndmask_b32_e64 v1, v9, v1, s[4:5]
	v_cndmask_b32_e64 v0, v2, v0, s[4:5]
	v_lshlrev_b32_e32 v2, 16, v7
	v_bfrev_b32_e32 v3, 60
	v_lshlrev_b32_e32 v0, 20, v0
	v_and_b32_e32 v2, 0x80000000, v2
	v_lshl_add_u32 v1, v1, 23, v3
	v_or3_b32 v20, v2, v1, v0
.LBB309_55:                             ;   in Loop: Header=BB309_9 Depth=1
	s_or_b64 exec, exec, s[36:37]
.LBB309_56:                             ;   in Loop: Header=BB309_9 Depth=1
	s_or_b64 exec, exec, s[34:35]
.LBB309_57:                             ;   in Loop: Header=BB309_9 Depth=1
	s_or_b64 exec, exec, s[16:17]
	global_load_ushort v0, v[5:6], off offset:512
	v_mov_b32_e32 v1, 0
	s_waitcnt vmcnt(0)
	v_and_b32_e32 v7, 0xffff, v0
	v_cmp_ne_u16_sdwa s[4:5], v0, v1 src0_sel:BYTE_0 src1_sel:DWORD
	s_and_saveexec_b64 s[16:17], s[4:5]
	s_cbranch_execz .LBB309_63
; %bb.58:                               ;   in Loop: Header=BB309_9 Depth=1
	v_cmp_ne_u16_sdwa s[4:5], v7, s41 src0_sel:BYTE_0 src1_sel:DWORD
	v_bfrev_b32_e32 v27, 1
	s_and_saveexec_b64 s[34:35], s[4:5]
	s_cbranch_execz .LBB309_62
; %bb.59:                               ;   in Loop: Header=BB309_9 Depth=1
	v_and_b32_e32 v0, 0x7f, v7
	v_cmp_ne_u32_e64 s[4:5], s42, v0
	v_mov_b32_e32 v27, 0x7f800001
	s_and_saveexec_b64 s[36:37], s[4:5]
	s_cbranch_execz .LBB309_61
; %bb.60:                               ;   in Loop: Header=BB309_9 Depth=1
	v_and_b32_e32 v2, 7, v7
	v_lshrrev_b32_e32 v8, 3, v0
	v_cmp_gt_u32_e64 s[4:5], 8, v0
	v_ffbh_u32_e32 v0, v2
	v_min_u32_e32 v9, 32, v0
	v_subrev_u32_e32 v0, 28, v9
	v_lshlrev_b64 v[0:1], v0, v[7:8]
	v_sub_u32_e32 v1, 29, v9
	v_and_b32_e32 v0, 7, v0
	v_cndmask_b32_e64 v1, v8, v1, s[4:5]
	v_cndmask_b32_e64 v0, v2, v0, s[4:5]
	v_lshlrev_b32_e32 v2, 24, v7
	v_bfrev_b32_e32 v3, 60
	v_lshlrev_b32_e32 v0, 20, v0
	v_and_b32_e32 v2, 0x80000000, v2
	v_lshl_add_u32 v1, v1, 23, v3
	v_or3_b32 v27, v2, v1, v0
.LBB309_61:                             ;   in Loop: Header=BB309_9 Depth=1
	s_or_b64 exec, exec, s[36:37]
.LBB309_62:                             ;   in Loop: Header=BB309_9 Depth=1
	s_or_b64 exec, exec, s[34:35]
.LBB309_63:                             ;   in Loop: Header=BB309_9 Depth=1
	s_or_b64 exec, exec, s[16:17]
	v_lshrrev_b16_e32 v8, 8, v7
	v_cmp_ne_u16_e64 s[4:5], 0, v8
	v_mov_b32_e32 v56, 0
	v_mov_b32_e32 v29, 0
	s_and_saveexec_b64 s[16:17], s[4:5]
	s_cbranch_execz .LBB309_69
; %bb.64:                               ;   in Loop: Header=BB309_9 Depth=1
	v_cmp_ne_u16_e64 s[4:5], s41, v8
	v_bfrev_b32_e32 v29, 1
	s_and_saveexec_b64 s[34:35], s[4:5]
	s_cbranch_execz .LBB309_68
; %bb.65:                               ;   in Loop: Header=BB309_9 Depth=1
	v_and_b32_e32 v0, 0x7f, v8
	v_cmp_ne_u32_e64 s[4:5], s42, v0
	v_mov_b32_e32 v29, 0x7f800001
	s_and_saveexec_b64 s[36:37], s[4:5]
	s_cbranch_execz .LBB309_67
; %bb.66:                               ;   in Loop: Header=BB309_9 Depth=1
	v_and_b32_e32 v2, 7, v8
	v_lshrrev_b32_e32 v9, 3, v0
	v_cmp_gt_u32_e64 s[4:5], 8, v0
	v_ffbh_u32_e32 v0, v2
	v_min_u32_e32 v10, 32, v0
	v_subrev_u32_e32 v0, 28, v10
	v_lshlrev_b64 v[0:1], v0, v[8:9]
	v_sub_u32_e32 v1, 29, v10
	v_and_b32_e32 v0, 7, v0
	v_cndmask_b32_e64 v1, v9, v1, s[4:5]
	v_cndmask_b32_e64 v0, v2, v0, s[4:5]
	v_lshlrev_b32_e32 v2, 16, v7
	v_bfrev_b32_e32 v3, 60
	v_lshlrev_b32_e32 v0, 20, v0
	v_and_b32_e32 v2, 0x80000000, v2
	v_lshl_add_u32 v1, v1, 23, v3
	v_or3_b32 v29, v2, v1, v0
.LBB309_67:                             ;   in Loop: Header=BB309_9 Depth=1
	s_or_b64 exec, exec, s[36:37]
.LBB309_68:                             ;   in Loop: Header=BB309_9 Depth=1
	s_or_b64 exec, exec, s[34:35]
.LBB309_69:                             ;   in Loop: Header=BB309_9 Depth=1
	s_or_b64 exec, exec, s[16:17]
	global_load_ushort v0, v[5:6], off offset:520
	v_mov_b32_e32 v1, 0
	s_waitcnt vmcnt(0)
	v_and_b32_e32 v7, 0xffff, v0
	v_cmp_ne_u16_sdwa s[4:5], v0, v1 src0_sel:BYTE_0 src1_sel:DWORD
	s_and_saveexec_b64 s[16:17], s[4:5]
	s_cbranch_execz .LBB309_75
; %bb.70:                               ;   in Loop: Header=BB309_9 Depth=1
	v_cmp_ne_u16_sdwa s[4:5], v7, s41 src0_sel:BYTE_0 src1_sel:DWORD
	v_bfrev_b32_e32 v56, 1
	s_and_saveexec_b64 s[34:35], s[4:5]
	s_cbranch_execz .LBB309_74
; %bb.71:                               ;   in Loop: Header=BB309_9 Depth=1
	v_and_b32_e32 v0, 0x7f, v7
	v_cmp_ne_u32_e64 s[4:5], s42, v0
	v_mov_b32_e32 v56, 0x7f800001
	s_and_saveexec_b64 s[36:37], s[4:5]
	s_cbranch_execz .LBB309_73
; %bb.72:                               ;   in Loop: Header=BB309_9 Depth=1
	v_and_b32_e32 v2, 7, v7
	v_lshrrev_b32_e32 v8, 3, v0
	v_cmp_gt_u32_e64 s[4:5], 8, v0
	v_ffbh_u32_e32 v0, v2
	v_min_u32_e32 v9, 32, v0
	v_subrev_u32_e32 v0, 28, v9
	v_lshlrev_b64 v[0:1], v0, v[7:8]
	v_sub_u32_e32 v1, 29, v9
	v_and_b32_e32 v0, 7, v0
	v_cndmask_b32_e64 v1, v8, v1, s[4:5]
	v_cndmask_b32_e64 v0, v2, v0, s[4:5]
	v_lshlrev_b32_e32 v2, 24, v7
	v_bfrev_b32_e32 v3, 60
	v_lshlrev_b32_e32 v0, 20, v0
	v_and_b32_e32 v2, 0x80000000, v2
	v_lshl_add_u32 v1, v1, 23, v3
	v_or3_b32 v56, v2, v1, v0
.LBB309_73:                             ;   in Loop: Header=BB309_9 Depth=1
	s_or_b64 exec, exec, s[36:37]
.LBB309_74:                             ;   in Loop: Header=BB309_9 Depth=1
	s_or_b64 exec, exec, s[34:35]
.LBB309_75:                             ;   in Loop: Header=BB309_9 Depth=1
	s_or_b64 exec, exec, s[16:17]
	v_lshrrev_b16_e32 v8, 8, v7
	v_cmp_ne_u16_e64 s[4:5], 0, v8
	v_mov_b32_e32 v30, 0
	v_mov_b32_e32 v0, 0
	buffer_store_dword v0, off, s[44:47], 0 offset:24 ; 4-byte Folded Spill
	s_and_saveexec_b64 s[16:17], s[4:5]
	s_cbranch_execz .LBB309_81
; %bb.76:                               ;   in Loop: Header=BB309_9 Depth=1
	v_cmp_ne_u16_e64 s[4:5], s41, v8
	v_bfrev_b32_e32 v0, 1
	buffer_store_dword v0, off, s[44:47], 0 offset:24 ; 4-byte Folded Spill
	s_and_saveexec_b64 s[34:35], s[4:5]
	s_cbranch_execz .LBB309_80
; %bb.77:                               ;   in Loop: Header=BB309_9 Depth=1
	v_and_b32_e32 v0, 0x7f, v8
	v_cmp_ne_u32_e64 s[4:5], s42, v0
	v_mov_b32_e32 v1, 0x7f800001
	buffer_store_dword v1, off, s[44:47], 0 offset:24 ; 4-byte Folded Spill
	s_and_saveexec_b64 s[36:37], s[4:5]
	s_cbranch_execz .LBB309_79
; %bb.78:                               ;   in Loop: Header=BB309_9 Depth=1
	v_and_b32_e32 v2, 7, v8
	v_lshrrev_b32_e32 v9, 3, v0
	v_cmp_gt_u32_e64 s[4:5], 8, v0
	v_ffbh_u32_e32 v0, v2
	v_min_u32_e32 v10, 32, v0
	v_subrev_u32_e32 v0, 28, v10
	v_lshlrev_b64 v[0:1], v0, v[8:9]
	v_sub_u32_e32 v1, 29, v10
	v_and_b32_e32 v0, 7, v0
	v_cndmask_b32_e64 v1, v9, v1, s[4:5]
	v_cndmask_b32_e64 v0, v2, v0, s[4:5]
	v_lshlrev_b32_e32 v2, 16, v7
	v_bfrev_b32_e32 v3, 60
	v_lshlrev_b32_e32 v0, 20, v0
	v_and_b32_e32 v2, 0x80000000, v2
	v_lshl_add_u32 v1, v1, 23, v3
	v_or3_b32 v0, v2, v1, v0
	buffer_store_dword v0, off, s[44:47], 0 offset:24 ; 4-byte Folded Spill
.LBB309_79:                             ;   in Loop: Header=BB309_9 Depth=1
	s_or_b64 exec, exec, s[36:37]
.LBB309_80:                             ;   in Loop: Header=BB309_9 Depth=1
	s_or_b64 exec, exec, s[34:35]
.LBB309_81:                             ;   in Loop: Header=BB309_9 Depth=1
	s_or_b64 exec, exec, s[16:17]
	global_load_ushort v0, v[5:6], off offset:768
	v_mov_b32_e32 v1, 0
	s_waitcnt vmcnt(0)
	v_and_b32_e32 v7, 0xffff, v0
	v_cmp_ne_u16_sdwa s[4:5], v0, v1 src0_sel:BYTE_0 src1_sel:DWORD
	s_and_saveexec_b64 s[16:17], s[4:5]
	s_cbranch_execz .LBB309_87
; %bb.82:                               ;   in Loop: Header=BB309_9 Depth=1
	v_cmp_ne_u16_sdwa s[4:5], v7, s41 src0_sel:BYTE_0 src1_sel:DWORD
	v_bfrev_b32_e32 v30, 1
	s_and_saveexec_b64 s[34:35], s[4:5]
	s_cbranch_execz .LBB309_86
; %bb.83:                               ;   in Loop: Header=BB309_9 Depth=1
	v_and_b32_e32 v0, 0x7f, v7
	v_cmp_ne_u32_e64 s[4:5], s42, v0
	v_mov_b32_e32 v30, 0x7f800001
	s_and_saveexec_b64 s[36:37], s[4:5]
	s_cbranch_execz .LBB309_85
; %bb.84:                               ;   in Loop: Header=BB309_9 Depth=1
	v_and_b32_e32 v2, 7, v7
	v_lshrrev_b32_e32 v8, 3, v0
	v_cmp_gt_u32_e64 s[4:5], 8, v0
	v_ffbh_u32_e32 v0, v2
	v_min_u32_e32 v9, 32, v0
	v_subrev_u32_e32 v0, 28, v9
	v_lshlrev_b64 v[0:1], v0, v[7:8]
	v_sub_u32_e32 v1, 29, v9
	v_and_b32_e32 v0, 7, v0
	v_cndmask_b32_e64 v1, v8, v1, s[4:5]
	v_cndmask_b32_e64 v0, v2, v0, s[4:5]
	v_lshlrev_b32_e32 v2, 24, v7
	v_bfrev_b32_e32 v3, 60
	v_lshlrev_b32_e32 v0, 20, v0
	v_and_b32_e32 v2, 0x80000000, v2
	v_lshl_add_u32 v1, v1, 23, v3
	v_or3_b32 v30, v2, v1, v0
.LBB309_85:                             ;   in Loop: Header=BB309_9 Depth=1
	s_or_b64 exec, exec, s[36:37]
.LBB309_86:                             ;   in Loop: Header=BB309_9 Depth=1
	s_or_b64 exec, exec, s[34:35]
.LBB309_87:                             ;   in Loop: Header=BB309_9 Depth=1
	s_or_b64 exec, exec, s[16:17]
	v_lshrrev_b16_e32 v8, 8, v7
	v_cmp_ne_u16_e64 s[4:5], 0, v8
	v_mov_b32_e32 v4, 0
	v_mov_b32_e32 v28, 0
	s_and_saveexec_b64 s[16:17], s[4:5]
	s_cbranch_execz .LBB309_93
; %bb.88:                               ;   in Loop: Header=BB309_9 Depth=1
	v_cmp_ne_u16_e64 s[4:5], s41, v8
	v_bfrev_b32_e32 v28, 1
	s_and_saveexec_b64 s[34:35], s[4:5]
	s_cbranch_execz .LBB309_92
; %bb.89:                               ;   in Loop: Header=BB309_9 Depth=1
	v_and_b32_e32 v0, 0x7f, v8
	v_cmp_ne_u32_e64 s[4:5], s42, v0
	v_mov_b32_e32 v28, 0x7f800001
	s_and_saveexec_b64 s[36:37], s[4:5]
	s_cbranch_execz .LBB309_91
; %bb.90:                               ;   in Loop: Header=BB309_9 Depth=1
	v_and_b32_e32 v2, 7, v8
	v_lshrrev_b32_e32 v9, 3, v0
	v_cmp_gt_u32_e64 s[4:5], 8, v0
	v_ffbh_u32_e32 v0, v2
	v_min_u32_e32 v10, 32, v0
	v_subrev_u32_e32 v0, 28, v10
	v_lshlrev_b64 v[0:1], v0, v[8:9]
	v_sub_u32_e32 v1, 29, v10
	v_and_b32_e32 v0, 7, v0
	v_cndmask_b32_e64 v1, v9, v1, s[4:5]
	v_cndmask_b32_e64 v0, v2, v0, s[4:5]
	v_lshlrev_b32_e32 v2, 16, v7
	v_bfrev_b32_e32 v3, 60
	v_lshlrev_b32_e32 v0, 20, v0
	v_and_b32_e32 v2, 0x80000000, v2
	v_lshl_add_u32 v1, v1, 23, v3
	v_mov_b32_e32 v4, 0
	v_or3_b32 v28, v2, v1, v0
.LBB309_91:                             ;   in Loop: Header=BB309_9 Depth=1
	s_or_b64 exec, exec, s[36:37]
.LBB309_92:                             ;   in Loop: Header=BB309_9 Depth=1
	s_or_b64 exec, exec, s[34:35]
.LBB309_93:                             ;   in Loop: Header=BB309_9 Depth=1
	s_or_b64 exec, exec, s[16:17]
	global_load_ushort v0, v[5:6], off offset:776
	v_mov_b32_e32 v1, 0
	s_waitcnt vmcnt(0)
	v_and_b32_e32 v7, 0xffff, v0
	v_cmp_ne_u16_sdwa s[4:5], v0, v1 src0_sel:BYTE_0 src1_sel:DWORD
	s_and_saveexec_b64 s[16:17], s[4:5]
	s_cbranch_execz .LBB309_99
; %bb.94:                               ;   in Loop: Header=BB309_9 Depth=1
	v_cmp_ne_u16_sdwa s[4:5], v7, s41 src0_sel:BYTE_0 src1_sel:DWORD
	v_bfrev_b32_e32 v4, 1
	s_and_saveexec_b64 s[34:35], s[4:5]
	s_cbranch_execz .LBB309_98
; %bb.95:                               ;   in Loop: Header=BB309_9 Depth=1
	v_and_b32_e32 v0, 0x7f, v7
	v_cmp_ne_u32_e64 s[4:5], s42, v0
	v_mov_b32_e32 v4, 0x7f800001
	s_and_saveexec_b64 s[36:37], s[4:5]
	s_cbranch_execz .LBB309_97
; %bb.96:                               ;   in Loop: Header=BB309_9 Depth=1
	v_and_b32_e32 v2, 7, v7
	v_lshrrev_b32_e32 v8, 3, v0
	v_cmp_gt_u32_e64 s[4:5], 8, v0
	v_ffbh_u32_e32 v0, v2
	v_min_u32_e32 v9, 32, v0
	v_subrev_u32_e32 v0, 28, v9
	v_lshlrev_b64 v[0:1], v0, v[7:8]
	v_sub_u32_e32 v1, 29, v9
	v_and_b32_e32 v0, 7, v0
	v_cndmask_b32_e64 v1, v8, v1, s[4:5]
	v_cndmask_b32_e64 v0, v2, v0, s[4:5]
	v_lshlrev_b32_e32 v2, 24, v7
	v_bfrev_b32_e32 v3, 60
	v_lshlrev_b32_e32 v0, 20, v0
	v_and_b32_e32 v2, 0x80000000, v2
	v_lshl_add_u32 v1, v1, 23, v3
	v_or3_b32 v4, v2, v1, v0
.LBB309_97:                             ;   in Loop: Header=BB309_9 Depth=1
	s_or_b64 exec, exec, s[36:37]
.LBB309_98:                             ;   in Loop: Header=BB309_9 Depth=1
	s_or_b64 exec, exec, s[34:35]
.LBB309_99:                             ;   in Loop: Header=BB309_9 Depth=1
	s_or_b64 exec, exec, s[16:17]
	v_lshrrev_b16_e32 v8, 8, v7
	v_cmp_ne_u16_e64 s[4:5], 0, v8
	v_mov_b32_e32 v45, 0
	v_mov_b32_e32 v10, 0
	buffer_store_dword v4, off, s[44:47], 0 offset:56 ; 4-byte Folded Spill
	s_and_saveexec_b64 s[16:17], s[4:5]
	s_cbranch_execz .LBB309_105
; %bb.100:                              ;   in Loop: Header=BB309_9 Depth=1
	v_cmp_ne_u16_e64 s[4:5], s41, v8
	v_bfrev_b32_e32 v10, 1
	s_and_saveexec_b64 s[34:35], s[4:5]
	s_cbranch_execz .LBB309_104
; %bb.101:                              ;   in Loop: Header=BB309_9 Depth=1
	v_and_b32_e32 v0, 0x7f, v8
	v_cmp_ne_u32_e64 s[4:5], s42, v0
	v_mov_b32_e32 v10, 0x7f800001
	s_and_saveexec_b64 s[36:37], s[4:5]
	s_cbranch_execz .LBB309_103
; %bb.102:                              ;   in Loop: Header=BB309_9 Depth=1
	v_and_b32_e32 v2, 7, v8
	v_lshrrev_b32_e32 v9, 3, v0
	v_cmp_gt_u32_e64 s[4:5], 8, v0
	v_ffbh_u32_e32 v0, v2
	v_min_u32_e32 v10, 32, v0
	v_subrev_u32_e32 v0, 28, v10
	v_lshlrev_b64 v[0:1], v0, v[8:9]
	v_sub_u32_e32 v1, 29, v10
	v_and_b32_e32 v0, 7, v0
	v_cndmask_b32_e64 v1, v9, v1, s[4:5]
	v_cndmask_b32_e64 v0, v2, v0, s[4:5]
	v_lshlrev_b32_e32 v2, 16, v7
	v_bfrev_b32_e32 v3, 60
	v_lshlrev_b32_e32 v0, 20, v0
	v_and_b32_e32 v2, 0x80000000, v2
	v_lshl_add_u32 v1, v1, 23, v3
	v_or3_b32 v10, v2, v1, v0
.LBB309_103:                            ;   in Loop: Header=BB309_9 Depth=1
	s_or_b64 exec, exec, s[36:37]
.LBB309_104:                            ;   in Loop: Header=BB309_9 Depth=1
	s_or_b64 exec, exec, s[34:35]
.LBB309_105:                            ;   in Loop: Header=BB309_9 Depth=1
	s_or_b64 exec, exec, s[16:17]
	global_load_ushort v0, v[5:6], off offset:1024
	v_mov_b32_e32 v1, 0
	s_waitcnt vmcnt(0)
	v_and_b32_e32 v7, 0xffff, v0
	v_cmp_ne_u16_sdwa s[4:5], v0, v1 src0_sel:BYTE_0 src1_sel:DWORD
	s_and_saveexec_b64 s[16:17], s[4:5]
	s_cbranch_execz .LBB309_111
; %bb.106:                              ;   in Loop: Header=BB309_9 Depth=1
	v_cmp_ne_u16_sdwa s[4:5], v7, s41 src0_sel:BYTE_0 src1_sel:DWORD
	v_bfrev_b32_e32 v45, 1
	s_and_saveexec_b64 s[34:35], s[4:5]
	s_cbranch_execz .LBB309_110
; %bb.107:                              ;   in Loop: Header=BB309_9 Depth=1
	v_and_b32_e32 v0, 0x7f, v7
	v_cmp_ne_u32_e64 s[4:5], s42, v0
	v_mov_b32_e32 v45, 0x7f800001
	s_and_saveexec_b64 s[36:37], s[4:5]
	s_cbranch_execz .LBB309_109
; %bb.108:                              ;   in Loop: Header=BB309_9 Depth=1
	v_and_b32_e32 v2, 7, v7
	v_lshrrev_b32_e32 v8, 3, v0
	v_cmp_gt_u32_e64 s[4:5], 8, v0
	v_ffbh_u32_e32 v0, v2
	v_min_u32_e32 v9, 32, v0
	v_subrev_u32_e32 v0, 28, v9
	v_lshlrev_b64 v[0:1], v0, v[7:8]
	v_sub_u32_e32 v1, 29, v9
	v_and_b32_e32 v0, 7, v0
	v_cndmask_b32_e64 v1, v8, v1, s[4:5]
	v_cndmask_b32_e64 v0, v2, v0, s[4:5]
	v_lshlrev_b32_e32 v2, 24, v7
	v_bfrev_b32_e32 v3, 60
	v_lshlrev_b32_e32 v0, 20, v0
	v_and_b32_e32 v2, 0x80000000, v2
	v_lshl_add_u32 v1, v1, 23, v3
	v_or3_b32 v45, v2, v1, v0
.LBB309_109:                            ;   in Loop: Header=BB309_9 Depth=1
	s_or_b64 exec, exec, s[36:37]
.LBB309_110:                            ;   in Loop: Header=BB309_9 Depth=1
	s_or_b64 exec, exec, s[34:35]
.LBB309_111:                            ;   in Loop: Header=BB309_9 Depth=1
	s_or_b64 exec, exec, s[16:17]
	v_lshrrev_b16_e32 v8, 8, v7
	v_cmp_ne_u16_e64 s[4:5], 0, v8
	v_mov_b32_e32 v48, 0
	v_mov_b32_e32 v49, 0
	s_and_saveexec_b64 s[16:17], s[4:5]
	s_cbranch_execz .LBB309_117
; %bb.112:                              ;   in Loop: Header=BB309_9 Depth=1
	v_cmp_ne_u16_e64 s[4:5], s41, v8
	v_bfrev_b32_e32 v49, 1
	s_and_saveexec_b64 s[34:35], s[4:5]
	s_cbranch_execz .LBB309_116
; %bb.113:                              ;   in Loop: Header=BB309_9 Depth=1
	v_and_b32_e32 v0, 0x7f, v8
	v_cmp_ne_u32_e64 s[4:5], s42, v0
	v_mov_b32_e32 v49, 0x7f800001
	s_and_saveexec_b64 s[36:37], s[4:5]
	s_cbranch_execz .LBB309_115
; %bb.114:                              ;   in Loop: Header=BB309_9 Depth=1
	v_and_b32_e32 v2, 7, v8
	v_lshrrev_b32_e32 v9, 3, v0
	v_cmp_gt_u32_e64 s[4:5], 8, v0
	v_ffbh_u32_e32 v0, v2
	v_min_u32_e32 v11, 32, v0
	v_subrev_u32_e32 v0, 28, v11
	v_lshlrev_b64 v[0:1], v0, v[8:9]
	v_sub_u32_e32 v1, 29, v11
	v_and_b32_e32 v0, 7, v0
	v_cndmask_b32_e64 v1, v9, v1, s[4:5]
	v_cndmask_b32_e64 v0, v2, v0, s[4:5]
	v_lshlrev_b32_e32 v2, 16, v7
	v_bfrev_b32_e32 v3, 60
	v_lshlrev_b32_e32 v0, 20, v0
	v_and_b32_e32 v2, 0x80000000, v2
	v_lshl_add_u32 v1, v1, 23, v3
	v_or3_b32 v49, v2, v1, v0
.LBB309_115:                            ;   in Loop: Header=BB309_9 Depth=1
	s_or_b64 exec, exec, s[36:37]
.LBB309_116:                            ;   in Loop: Header=BB309_9 Depth=1
	s_or_b64 exec, exec, s[34:35]
.LBB309_117:                            ;   in Loop: Header=BB309_9 Depth=1
	s_or_b64 exec, exec, s[16:17]
	global_load_ushort v0, v[5:6], off offset:1032
	v_mov_b32_e32 v1, 0
	s_waitcnt vmcnt(0)
	v_and_b32_e32 v7, 0xffff, v0
	v_cmp_ne_u16_sdwa s[4:5], v0, v1 src0_sel:BYTE_0 src1_sel:DWORD
	s_and_saveexec_b64 s[16:17], s[4:5]
	s_cbranch_execz .LBB309_123
; %bb.118:                              ;   in Loop: Header=BB309_9 Depth=1
	v_cmp_ne_u16_sdwa s[4:5], v7, s41 src0_sel:BYTE_0 src1_sel:DWORD
	v_bfrev_b32_e32 v48, 1
	s_and_saveexec_b64 s[34:35], s[4:5]
	s_cbranch_execz .LBB309_122
; %bb.119:                              ;   in Loop: Header=BB309_9 Depth=1
	v_and_b32_e32 v0, 0x7f, v7
	v_cmp_ne_u32_e64 s[4:5], s42, v0
	v_mov_b32_e32 v48, 0x7f800001
	s_and_saveexec_b64 s[36:37], s[4:5]
	s_cbranch_execz .LBB309_121
; %bb.120:                              ;   in Loop: Header=BB309_9 Depth=1
	v_and_b32_e32 v2, 7, v7
	v_lshrrev_b32_e32 v8, 3, v0
	v_cmp_gt_u32_e64 s[4:5], 8, v0
	v_ffbh_u32_e32 v0, v2
	v_min_u32_e32 v9, 32, v0
	v_subrev_u32_e32 v0, 28, v9
	v_lshlrev_b64 v[0:1], v0, v[7:8]
	v_sub_u32_e32 v1, 29, v9
	v_and_b32_e32 v0, 7, v0
	v_cndmask_b32_e64 v1, v8, v1, s[4:5]
	v_cndmask_b32_e64 v0, v2, v0, s[4:5]
	v_lshlrev_b32_e32 v2, 24, v7
	v_bfrev_b32_e32 v3, 60
	v_lshlrev_b32_e32 v0, 20, v0
	v_and_b32_e32 v2, 0x80000000, v2
	v_lshl_add_u32 v1, v1, 23, v3
	v_or3_b32 v48, v2, v1, v0
.LBB309_121:                            ;   in Loop: Header=BB309_9 Depth=1
	s_or_b64 exec, exec, s[36:37]
.LBB309_122:                            ;   in Loop: Header=BB309_9 Depth=1
	s_or_b64 exec, exec, s[34:35]
.LBB309_123:                            ;   in Loop: Header=BB309_9 Depth=1
	s_or_b64 exec, exec, s[16:17]
	v_lshrrev_b16_e32 v8, 8, v7
	v_cmp_ne_u16_e64 s[4:5], 0, v8
	v_mov_b32_e32 v46, 0
	v_mov_b32_e32 v47, 0
	s_and_saveexec_b64 s[16:17], s[4:5]
	s_cbranch_execz .LBB309_129
; %bb.124:                              ;   in Loop: Header=BB309_9 Depth=1
	v_cmp_ne_u16_e64 s[4:5], s41, v8
	v_bfrev_b32_e32 v47, 1
	s_and_saveexec_b64 s[34:35], s[4:5]
	s_cbranch_execz .LBB309_128
; %bb.125:                              ;   in Loop: Header=BB309_9 Depth=1
	v_and_b32_e32 v0, 0x7f, v8
	v_cmp_ne_u32_e64 s[4:5], s42, v0
	v_mov_b32_e32 v47, 0x7f800001
	s_and_saveexec_b64 s[36:37], s[4:5]
	s_cbranch_execz .LBB309_127
; %bb.126:                              ;   in Loop: Header=BB309_9 Depth=1
	v_and_b32_e32 v2, 7, v8
	v_lshrrev_b32_e32 v9, 3, v0
	v_cmp_gt_u32_e64 s[4:5], 8, v0
	v_ffbh_u32_e32 v0, v2
	v_min_u32_e32 v11, 32, v0
	v_subrev_u32_e32 v0, 28, v11
	v_lshlrev_b64 v[0:1], v0, v[8:9]
	v_sub_u32_e32 v1, 29, v11
	v_and_b32_e32 v0, 7, v0
	v_cndmask_b32_e64 v1, v9, v1, s[4:5]
	v_cndmask_b32_e64 v0, v2, v0, s[4:5]
	v_lshlrev_b32_e32 v2, 16, v7
	v_bfrev_b32_e32 v3, 60
	v_lshlrev_b32_e32 v0, 20, v0
	v_and_b32_e32 v2, 0x80000000, v2
	v_lshl_add_u32 v1, v1, 23, v3
	v_or3_b32 v47, v2, v1, v0
.LBB309_127:                            ;   in Loop: Header=BB309_9 Depth=1
	s_or_b64 exec, exec, s[36:37]
.LBB309_128:                            ;   in Loop: Header=BB309_9 Depth=1
	s_or_b64 exec, exec, s[34:35]
.LBB309_129:                            ;   in Loop: Header=BB309_9 Depth=1
	s_or_b64 exec, exec, s[16:17]
	global_load_ushort v0, v[5:6], off offset:1280
	v_mov_b32_e32 v1, 0
	s_waitcnt vmcnt(0)
	v_and_b32_e32 v7, 0xffff, v0
	v_cmp_ne_u16_sdwa s[4:5], v0, v1 src0_sel:BYTE_0 src1_sel:DWORD
	s_and_saveexec_b64 s[16:17], s[4:5]
	s_cbranch_execz .LBB309_135
; %bb.130:                              ;   in Loop: Header=BB309_9 Depth=1
	v_cmp_ne_u16_sdwa s[4:5], v7, s41 src0_sel:BYTE_0 src1_sel:DWORD
	v_bfrev_b32_e32 v46, 1
	s_and_saveexec_b64 s[34:35], s[4:5]
	s_cbranch_execz .LBB309_134
; %bb.131:                              ;   in Loop: Header=BB309_9 Depth=1
	v_and_b32_e32 v0, 0x7f, v7
	v_cmp_ne_u32_e64 s[4:5], s42, v0
	v_mov_b32_e32 v46, 0x7f800001
	s_and_saveexec_b64 s[36:37], s[4:5]
	s_cbranch_execz .LBB309_133
; %bb.132:                              ;   in Loop: Header=BB309_9 Depth=1
	v_and_b32_e32 v2, 7, v7
	v_lshrrev_b32_e32 v8, 3, v0
	v_cmp_gt_u32_e64 s[4:5], 8, v0
	v_ffbh_u32_e32 v0, v2
	v_min_u32_e32 v9, 32, v0
	v_subrev_u32_e32 v0, 28, v9
	v_lshlrev_b64 v[0:1], v0, v[7:8]
	v_sub_u32_e32 v1, 29, v9
	v_and_b32_e32 v0, 7, v0
	v_cndmask_b32_e64 v1, v8, v1, s[4:5]
	v_cndmask_b32_e64 v0, v2, v0, s[4:5]
	v_lshlrev_b32_e32 v2, 24, v7
	v_bfrev_b32_e32 v3, 60
	v_lshlrev_b32_e32 v0, 20, v0
	v_and_b32_e32 v2, 0x80000000, v2
	v_lshl_add_u32 v1, v1, 23, v3
	v_or3_b32 v46, v2, v1, v0
.LBB309_133:                            ;   in Loop: Header=BB309_9 Depth=1
	s_or_b64 exec, exec, s[36:37]
.LBB309_134:                            ;   in Loop: Header=BB309_9 Depth=1
	s_or_b64 exec, exec, s[34:35]
.LBB309_135:                            ;   in Loop: Header=BB309_9 Depth=1
	s_or_b64 exec, exec, s[16:17]
	v_lshrrev_b16_e32 v8, 8, v7
	v_cmp_ne_u16_e64 s[4:5], 0, v8
	v_mov_b32_e32 v52, 0
	v_mov_b32_e32 v51, 0
	s_and_saveexec_b64 s[16:17], s[4:5]
	s_cbranch_execz .LBB309_141
; %bb.136:                              ;   in Loop: Header=BB309_9 Depth=1
	v_cmp_ne_u16_e64 s[4:5], s41, v8
	v_bfrev_b32_e32 v51, 1
	s_and_saveexec_b64 s[34:35], s[4:5]
	s_cbranch_execz .LBB309_140
; %bb.137:                              ;   in Loop: Header=BB309_9 Depth=1
	v_and_b32_e32 v0, 0x7f, v8
	v_cmp_ne_u32_e64 s[4:5], s42, v0
	v_mov_b32_e32 v51, 0x7f800001
	s_and_saveexec_b64 s[36:37], s[4:5]
	s_cbranch_execz .LBB309_139
; %bb.138:                              ;   in Loop: Header=BB309_9 Depth=1
	v_and_b32_e32 v2, 7, v8
	v_lshrrev_b32_e32 v9, 3, v0
	v_cmp_gt_u32_e64 s[4:5], 8, v0
	v_ffbh_u32_e32 v0, v2
	v_min_u32_e32 v11, 32, v0
	v_subrev_u32_e32 v0, 28, v11
	v_lshlrev_b64 v[0:1], v0, v[8:9]
	v_sub_u32_e32 v1, 29, v11
	v_and_b32_e32 v0, 7, v0
	v_cndmask_b32_e64 v1, v9, v1, s[4:5]
	v_cndmask_b32_e64 v0, v2, v0, s[4:5]
	v_lshlrev_b32_e32 v2, 16, v7
	v_bfrev_b32_e32 v3, 60
	v_lshlrev_b32_e32 v0, 20, v0
	v_and_b32_e32 v2, 0x80000000, v2
	v_lshl_add_u32 v1, v1, 23, v3
	v_or3_b32 v51, v2, v1, v0
.LBB309_139:                            ;   in Loop: Header=BB309_9 Depth=1
	s_or_b64 exec, exec, s[36:37]
.LBB309_140:                            ;   in Loop: Header=BB309_9 Depth=1
	s_or_b64 exec, exec, s[34:35]
.LBB309_141:                            ;   in Loop: Header=BB309_9 Depth=1
	s_or_b64 exec, exec, s[16:17]
	global_load_ushort v0, v[5:6], off offset:1288
	v_mov_b32_e32 v1, 0
	s_waitcnt vmcnt(0)
	v_and_b32_e32 v7, 0xffff, v0
	v_cmp_ne_u16_sdwa s[4:5], v0, v1 src0_sel:BYTE_0 src1_sel:DWORD
	s_and_saveexec_b64 s[16:17], s[4:5]
	s_cbranch_execz .LBB309_147
; %bb.142:                              ;   in Loop: Header=BB309_9 Depth=1
	v_cmp_ne_u16_sdwa s[4:5], v7, s41 src0_sel:BYTE_0 src1_sel:DWORD
	v_bfrev_b32_e32 v52, 1
	s_and_saveexec_b64 s[34:35], s[4:5]
	s_cbranch_execz .LBB309_146
; %bb.143:                              ;   in Loop: Header=BB309_9 Depth=1
	v_and_b32_e32 v0, 0x7f, v7
	v_cmp_ne_u32_e64 s[4:5], s42, v0
	v_mov_b32_e32 v52, 0x7f800001
	s_and_saveexec_b64 s[36:37], s[4:5]
	s_cbranch_execz .LBB309_145
; %bb.144:                              ;   in Loop: Header=BB309_9 Depth=1
	v_and_b32_e32 v2, 7, v7
	v_lshrrev_b32_e32 v8, 3, v0
	v_cmp_gt_u32_e64 s[4:5], 8, v0
	v_ffbh_u32_e32 v0, v2
	v_min_u32_e32 v9, 32, v0
	v_subrev_u32_e32 v0, 28, v9
	v_lshlrev_b64 v[0:1], v0, v[7:8]
	v_sub_u32_e32 v1, 29, v9
	v_and_b32_e32 v0, 7, v0
	v_cndmask_b32_e64 v1, v8, v1, s[4:5]
	v_cndmask_b32_e64 v0, v2, v0, s[4:5]
	v_lshlrev_b32_e32 v2, 24, v7
	v_bfrev_b32_e32 v3, 60
	v_lshlrev_b32_e32 v0, 20, v0
	v_and_b32_e32 v2, 0x80000000, v2
	v_lshl_add_u32 v1, v1, 23, v3
	v_or3_b32 v52, v2, v1, v0
.LBB309_145:                            ;   in Loop: Header=BB309_9 Depth=1
	s_or_b64 exec, exec, s[36:37]
.LBB309_146:                            ;   in Loop: Header=BB309_9 Depth=1
	s_or_b64 exec, exec, s[34:35]
.LBB309_147:                            ;   in Loop: Header=BB309_9 Depth=1
	s_or_b64 exec, exec, s[16:17]
	v_lshrrev_b16_e32 v8, 8, v7
	v_cmp_ne_u16_e64 s[4:5], 0, v8
	v_mov_b32_e32 v54, 0
	v_mov_b32_e32 v53, 0
	s_and_saveexec_b64 s[16:17], s[4:5]
	s_cbranch_execz .LBB309_153
; %bb.148:                              ;   in Loop: Header=BB309_9 Depth=1
	v_cmp_ne_u16_e64 s[4:5], s41, v8
	v_bfrev_b32_e32 v53, 1
	s_and_saveexec_b64 s[34:35], s[4:5]
	s_cbranch_execz .LBB309_152
; %bb.149:                              ;   in Loop: Header=BB309_9 Depth=1
	v_and_b32_e32 v0, 0x7f, v8
	v_cmp_ne_u32_e64 s[4:5], s42, v0
	v_mov_b32_e32 v53, 0x7f800001
	s_and_saveexec_b64 s[36:37], s[4:5]
	s_cbranch_execz .LBB309_151
; %bb.150:                              ;   in Loop: Header=BB309_9 Depth=1
	v_and_b32_e32 v2, 7, v8
	v_lshrrev_b32_e32 v9, 3, v0
	v_cmp_gt_u32_e64 s[4:5], 8, v0
	v_ffbh_u32_e32 v0, v2
	v_min_u32_e32 v11, 32, v0
	v_subrev_u32_e32 v0, 28, v11
	v_lshlrev_b64 v[0:1], v0, v[8:9]
	v_sub_u32_e32 v1, 29, v11
	v_and_b32_e32 v0, 7, v0
	v_cndmask_b32_e64 v1, v9, v1, s[4:5]
	v_cndmask_b32_e64 v0, v2, v0, s[4:5]
	v_lshlrev_b32_e32 v2, 16, v7
	v_bfrev_b32_e32 v3, 60
	v_lshlrev_b32_e32 v0, 20, v0
	v_and_b32_e32 v2, 0x80000000, v2
	v_lshl_add_u32 v1, v1, 23, v3
	v_or3_b32 v53, v2, v1, v0
.LBB309_151:                            ;   in Loop: Header=BB309_9 Depth=1
	s_or_b64 exec, exec, s[36:37]
.LBB309_152:                            ;   in Loop: Header=BB309_9 Depth=1
	s_or_b64 exec, exec, s[34:35]
.LBB309_153:                            ;   in Loop: Header=BB309_9 Depth=1
	s_or_b64 exec, exec, s[16:17]
	global_load_ushort v0, v[5:6], off offset:1536
	v_mov_b32_e32 v1, 0
	s_waitcnt vmcnt(0)
	v_and_b32_e32 v7, 0xffff, v0
	v_cmp_ne_u16_sdwa s[4:5], v0, v1 src0_sel:BYTE_0 src1_sel:DWORD
	s_and_saveexec_b64 s[16:17], s[4:5]
	s_cbranch_execz .LBB309_159
; %bb.154:                              ;   in Loop: Header=BB309_9 Depth=1
	v_cmp_ne_u16_sdwa s[4:5], v7, s41 src0_sel:BYTE_0 src1_sel:DWORD
	v_bfrev_b32_e32 v54, 1
	s_and_saveexec_b64 s[34:35], s[4:5]
	s_cbranch_execz .LBB309_158
; %bb.155:                              ;   in Loop: Header=BB309_9 Depth=1
	v_and_b32_e32 v0, 0x7f, v7
	v_cmp_ne_u32_e64 s[4:5], s42, v0
	v_mov_b32_e32 v54, 0x7f800001
	s_and_saveexec_b64 s[36:37], s[4:5]
	s_cbranch_execz .LBB309_157
; %bb.156:                              ;   in Loop: Header=BB309_9 Depth=1
	v_and_b32_e32 v2, 7, v7
	v_lshrrev_b32_e32 v8, 3, v0
	v_cmp_gt_u32_e64 s[4:5], 8, v0
	v_ffbh_u32_e32 v0, v2
	v_min_u32_e32 v9, 32, v0
	v_subrev_u32_e32 v0, 28, v9
	v_lshlrev_b64 v[0:1], v0, v[7:8]
	v_sub_u32_e32 v1, 29, v9
	v_and_b32_e32 v0, 7, v0
	v_cndmask_b32_e64 v1, v8, v1, s[4:5]
	v_cndmask_b32_e64 v0, v2, v0, s[4:5]
	v_lshlrev_b32_e32 v2, 24, v7
	v_bfrev_b32_e32 v3, 60
	v_lshlrev_b32_e32 v0, 20, v0
	v_and_b32_e32 v2, 0x80000000, v2
	v_lshl_add_u32 v1, v1, 23, v3
	v_or3_b32 v54, v2, v1, v0
.LBB309_157:                            ;   in Loop: Header=BB309_9 Depth=1
	s_or_b64 exec, exec, s[36:37]
.LBB309_158:                            ;   in Loop: Header=BB309_9 Depth=1
	s_or_b64 exec, exec, s[34:35]
.LBB309_159:                            ;   in Loop: Header=BB309_9 Depth=1
	s_or_b64 exec, exec, s[16:17]
	v_lshrrev_b16_e32 v8, 8, v7
	v_cmp_ne_u16_e64 s[4:5], 0, v8
	v_mov_b32_e32 v55, 0
	v_mov_b32_e32 v50, 0
	s_and_saveexec_b64 s[16:17], s[4:5]
	s_cbranch_execz .LBB309_165
; %bb.160:                              ;   in Loop: Header=BB309_9 Depth=1
	v_cmp_ne_u16_e64 s[4:5], s41, v8
	v_bfrev_b32_e32 v50, 1
	s_and_saveexec_b64 s[34:35], s[4:5]
	s_cbranch_execz .LBB309_164
; %bb.161:                              ;   in Loop: Header=BB309_9 Depth=1
	v_and_b32_e32 v0, 0x7f, v8
	v_cmp_ne_u32_e64 s[4:5], s42, v0
	v_mov_b32_e32 v50, 0x7f800001
	s_and_saveexec_b64 s[36:37], s[4:5]
	s_cbranch_execz .LBB309_163
; %bb.162:                              ;   in Loop: Header=BB309_9 Depth=1
	v_and_b32_e32 v2, 7, v8
	v_lshrrev_b32_e32 v9, 3, v0
	v_cmp_gt_u32_e64 s[4:5], 8, v0
	v_ffbh_u32_e32 v0, v2
	v_min_u32_e32 v11, 32, v0
	v_subrev_u32_e32 v0, 28, v11
	v_lshlrev_b64 v[0:1], v0, v[8:9]
	v_sub_u32_e32 v1, 29, v11
	v_and_b32_e32 v0, 7, v0
	v_cndmask_b32_e64 v1, v9, v1, s[4:5]
	v_cndmask_b32_e64 v0, v2, v0, s[4:5]
	v_lshlrev_b32_e32 v2, 16, v7
	v_bfrev_b32_e32 v3, 60
	v_lshlrev_b32_e32 v0, 20, v0
	v_and_b32_e32 v2, 0x80000000, v2
	v_lshl_add_u32 v1, v1, 23, v3
	v_or3_b32 v50, v2, v1, v0
.LBB309_163:                            ;   in Loop: Header=BB309_9 Depth=1
	s_or_b64 exec, exec, s[36:37]
.LBB309_164:                            ;   in Loop: Header=BB309_9 Depth=1
	s_or_b64 exec, exec, s[34:35]
.LBB309_165:                            ;   in Loop: Header=BB309_9 Depth=1
	s_or_b64 exec, exec, s[16:17]
	global_load_ushort v0, v[5:6], off offset:1544
	v_mov_b32_e32 v1, 0
	s_waitcnt vmcnt(0)
	v_and_b32_e32 v7, 0xffff, v0
	v_cmp_ne_u16_sdwa s[4:5], v0, v1 src0_sel:BYTE_0 src1_sel:DWORD
	s_and_saveexec_b64 s[16:17], s[4:5]
	s_cbranch_execz .LBB309_171
; %bb.166:                              ;   in Loop: Header=BB309_9 Depth=1
	v_cmp_ne_u16_sdwa s[4:5], v7, s41 src0_sel:BYTE_0 src1_sel:DWORD
	v_bfrev_b32_e32 v55, 1
	s_and_saveexec_b64 s[34:35], s[4:5]
	s_cbranch_execz .LBB309_170
; %bb.167:                              ;   in Loop: Header=BB309_9 Depth=1
	v_and_b32_e32 v0, 0x7f, v7
	v_cmp_ne_u32_e64 s[4:5], s42, v0
	v_mov_b32_e32 v55, 0x7f800001
	s_and_saveexec_b64 s[36:37], s[4:5]
	s_cbranch_execz .LBB309_169
; %bb.168:                              ;   in Loop: Header=BB309_9 Depth=1
	v_and_b32_e32 v2, 7, v7
	v_lshrrev_b32_e32 v8, 3, v0
	v_cmp_gt_u32_e64 s[4:5], 8, v0
	v_ffbh_u32_e32 v0, v2
	v_min_u32_e32 v9, 32, v0
	v_subrev_u32_e32 v0, 28, v9
	v_lshlrev_b64 v[0:1], v0, v[7:8]
	v_sub_u32_e32 v1, 29, v9
	v_and_b32_e32 v0, 7, v0
	v_cndmask_b32_e64 v1, v8, v1, s[4:5]
	v_cndmask_b32_e64 v0, v2, v0, s[4:5]
	v_lshlrev_b32_e32 v2, 24, v7
	v_bfrev_b32_e32 v3, 60
	v_lshlrev_b32_e32 v0, 20, v0
	v_and_b32_e32 v2, 0x80000000, v2
	v_lshl_add_u32 v1, v1, 23, v3
	v_or3_b32 v55, v2, v1, v0
.LBB309_169:                            ;   in Loop: Header=BB309_9 Depth=1
	s_or_b64 exec, exec, s[36:37]
.LBB309_170:                            ;   in Loop: Header=BB309_9 Depth=1
	s_or_b64 exec, exec, s[34:35]
.LBB309_171:                            ;   in Loop: Header=BB309_9 Depth=1
	s_or_b64 exec, exec, s[16:17]
	v_lshrrev_b16_e32 v8, 8, v7
	v_cmp_ne_u16_e64 s[4:5], 0, v8
	v_mov_b32_e32 v58, 0
	v_mov_b32_e32 v57, 0
	s_and_saveexec_b64 s[16:17], s[4:5]
	s_cbranch_execz .LBB309_177
; %bb.172:                              ;   in Loop: Header=BB309_9 Depth=1
	v_cmp_ne_u16_e64 s[4:5], s41, v8
	v_bfrev_b32_e32 v57, 1
	s_and_saveexec_b64 s[34:35], s[4:5]
	s_cbranch_execz .LBB309_176
; %bb.173:                              ;   in Loop: Header=BB309_9 Depth=1
	v_and_b32_e32 v0, 0x7f, v8
	v_cmp_ne_u32_e64 s[4:5], s42, v0
	v_mov_b32_e32 v57, 0x7f800001
	s_and_saveexec_b64 s[36:37], s[4:5]
	s_cbranch_execz .LBB309_175
; %bb.174:                              ;   in Loop: Header=BB309_9 Depth=1
	v_and_b32_e32 v2, 7, v8
	v_lshrrev_b32_e32 v9, 3, v0
	v_cmp_gt_u32_e64 s[4:5], 8, v0
	v_ffbh_u32_e32 v0, v2
	v_min_u32_e32 v11, 32, v0
	v_subrev_u32_e32 v0, 28, v11
	v_lshlrev_b64 v[0:1], v0, v[8:9]
	v_sub_u32_e32 v1, 29, v11
	v_and_b32_e32 v0, 7, v0
	v_cndmask_b32_e64 v1, v9, v1, s[4:5]
	v_cndmask_b32_e64 v0, v2, v0, s[4:5]
	v_lshlrev_b32_e32 v2, 16, v7
	v_bfrev_b32_e32 v3, 60
	v_lshlrev_b32_e32 v0, 20, v0
	v_and_b32_e32 v2, 0x80000000, v2
	v_lshl_add_u32 v1, v1, 23, v3
	v_or3_b32 v57, v2, v1, v0
.LBB309_175:                            ;   in Loop: Header=BB309_9 Depth=1
	s_or_b64 exec, exec, s[36:37]
.LBB309_176:                            ;   in Loop: Header=BB309_9 Depth=1
	s_or_b64 exec, exec, s[34:35]
.LBB309_177:                            ;   in Loop: Header=BB309_9 Depth=1
	s_or_b64 exec, exec, s[16:17]
	global_load_ushort v0, v[5:6], off offset:1792
	v_mov_b32_e32 v1, 0
	s_waitcnt vmcnt(0)
	v_and_b32_e32 v7, 0xffff, v0
	v_cmp_ne_u16_sdwa s[4:5], v0, v1 src0_sel:BYTE_0 src1_sel:DWORD
	s_and_saveexec_b64 s[16:17], s[4:5]
	s_cbranch_execz .LBB309_183
; %bb.178:                              ;   in Loop: Header=BB309_9 Depth=1
	v_cmp_ne_u16_sdwa s[4:5], v7, s41 src0_sel:BYTE_0 src1_sel:DWORD
	v_bfrev_b32_e32 v58, 1
	s_and_saveexec_b64 s[34:35], s[4:5]
	s_cbranch_execz .LBB309_182
; %bb.179:                              ;   in Loop: Header=BB309_9 Depth=1
	v_and_b32_e32 v0, 0x7f, v7
	v_cmp_ne_u32_e64 s[4:5], s42, v0
	v_mov_b32_e32 v58, 0x7f800001
	s_and_saveexec_b64 s[36:37], s[4:5]
	s_cbranch_execz .LBB309_181
; %bb.180:                              ;   in Loop: Header=BB309_9 Depth=1
	v_and_b32_e32 v2, 7, v7
	v_lshrrev_b32_e32 v8, 3, v0
	v_cmp_gt_u32_e64 s[4:5], 8, v0
	v_ffbh_u32_e32 v0, v2
	v_min_u32_e32 v9, 32, v0
	v_subrev_u32_e32 v0, 28, v9
	v_lshlrev_b64 v[0:1], v0, v[7:8]
	v_sub_u32_e32 v1, 29, v9
	v_and_b32_e32 v0, 7, v0
	v_cndmask_b32_e64 v1, v8, v1, s[4:5]
	v_cndmask_b32_e64 v0, v2, v0, s[4:5]
	v_lshlrev_b32_e32 v2, 24, v7
	v_bfrev_b32_e32 v3, 60
	v_lshlrev_b32_e32 v0, 20, v0
	v_and_b32_e32 v2, 0x80000000, v2
	v_lshl_add_u32 v1, v1, 23, v3
	v_or3_b32 v58, v2, v1, v0
.LBB309_181:                            ;   in Loop: Header=BB309_9 Depth=1
	s_or_b64 exec, exec, s[36:37]
.LBB309_182:                            ;   in Loop: Header=BB309_9 Depth=1
	s_or_b64 exec, exec, s[34:35]
.LBB309_183:                            ;   in Loop: Header=BB309_9 Depth=1
	s_or_b64 exec, exec, s[16:17]
	v_lshrrev_b16_e32 v8, 8, v7
	v_cmp_ne_u16_e64 s[4:5], 0, v8
	v_mov_b32_e32 v60, 0
	v_mov_b32_e32 v59, 0
	s_and_saveexec_b64 s[16:17], s[4:5]
	s_cbranch_execz .LBB309_189
; %bb.184:                              ;   in Loop: Header=BB309_9 Depth=1
	v_cmp_ne_u16_e64 s[4:5], s41, v8
	v_bfrev_b32_e32 v59, 1
	s_and_saveexec_b64 s[34:35], s[4:5]
	s_cbranch_execz .LBB309_188
; %bb.185:                              ;   in Loop: Header=BB309_9 Depth=1
	v_and_b32_e32 v0, 0x7f, v8
	v_cmp_ne_u32_e64 s[4:5], s42, v0
	v_mov_b32_e32 v59, 0x7f800001
	s_and_saveexec_b64 s[36:37], s[4:5]
	s_cbranch_execz .LBB309_187
; %bb.186:                              ;   in Loop: Header=BB309_9 Depth=1
	v_and_b32_e32 v2, 7, v8
	v_lshrrev_b32_e32 v9, 3, v0
	v_cmp_gt_u32_e64 s[4:5], 8, v0
	v_ffbh_u32_e32 v0, v2
	v_min_u32_e32 v11, 32, v0
	v_subrev_u32_e32 v0, 28, v11
	v_lshlrev_b64 v[0:1], v0, v[8:9]
	v_sub_u32_e32 v1, 29, v11
	v_and_b32_e32 v0, 7, v0
	v_cndmask_b32_e64 v1, v9, v1, s[4:5]
	v_cndmask_b32_e64 v0, v2, v0, s[4:5]
	v_lshlrev_b32_e32 v2, 16, v7
	v_bfrev_b32_e32 v3, 60
	v_lshlrev_b32_e32 v0, 20, v0
	v_and_b32_e32 v2, 0x80000000, v2
	v_lshl_add_u32 v1, v1, 23, v3
	v_or3_b32 v59, v2, v1, v0
.LBB309_187:                            ;   in Loop: Header=BB309_9 Depth=1
	s_or_b64 exec, exec, s[36:37]
.LBB309_188:                            ;   in Loop: Header=BB309_9 Depth=1
	s_or_b64 exec, exec, s[34:35]
.LBB309_189:                            ;   in Loop: Header=BB309_9 Depth=1
	s_or_b64 exec, exec, s[16:17]
	global_load_ushort v0, v[5:6], off offset:1800
	v_mov_b32_e32 v1, 0
	s_waitcnt vmcnt(0)
	v_and_b32_e32 v7, 0xffff, v0
	v_cmp_ne_u16_sdwa s[4:5], v0, v1 src0_sel:BYTE_0 src1_sel:DWORD
	s_and_saveexec_b64 s[16:17], s[4:5]
	s_cbranch_execz .LBB309_195
; %bb.190:                              ;   in Loop: Header=BB309_9 Depth=1
	v_cmp_ne_u16_sdwa s[4:5], v7, s41 src0_sel:BYTE_0 src1_sel:DWORD
	v_bfrev_b32_e32 v60, 1
	s_and_saveexec_b64 s[34:35], s[4:5]
	s_cbranch_execz .LBB309_194
; %bb.191:                              ;   in Loop: Header=BB309_9 Depth=1
	v_and_b32_e32 v0, 0x7f, v7
	v_cmp_ne_u32_e64 s[4:5], s42, v0
	v_mov_b32_e32 v60, 0x7f800001
	s_and_saveexec_b64 s[36:37], s[4:5]
	s_cbranch_execz .LBB309_193
; %bb.192:                              ;   in Loop: Header=BB309_9 Depth=1
	v_and_b32_e32 v2, 7, v7
	v_lshrrev_b32_e32 v8, 3, v0
	v_cmp_gt_u32_e64 s[4:5], 8, v0
	v_ffbh_u32_e32 v0, v2
	v_min_u32_e32 v9, 32, v0
	v_subrev_u32_e32 v0, 28, v9
	v_lshlrev_b64 v[0:1], v0, v[7:8]
	v_sub_u32_e32 v1, 29, v9
	v_and_b32_e32 v0, 7, v0
	v_cndmask_b32_e64 v1, v8, v1, s[4:5]
	v_cndmask_b32_e64 v0, v2, v0, s[4:5]
	v_lshlrev_b32_e32 v2, 24, v7
	v_bfrev_b32_e32 v3, 60
	v_lshlrev_b32_e32 v0, 20, v0
	v_and_b32_e32 v2, 0x80000000, v2
	v_lshl_add_u32 v1, v1, 23, v3
	v_or3_b32 v60, v2, v1, v0
.LBB309_193:                            ;   in Loop: Header=BB309_9 Depth=1
	s_or_b64 exec, exec, s[36:37]
.LBB309_194:                            ;   in Loop: Header=BB309_9 Depth=1
	s_or_b64 exec, exec, s[34:35]
.LBB309_195:                            ;   in Loop: Header=BB309_9 Depth=1
	s_or_b64 exec, exec, s[16:17]
	v_lshrrev_b16_e32 v8, 8, v7
	v_cmp_ne_u16_e64 s[4:5], 0, v8
	v_mov_b32_e32 v62, 0
	v_mov_b32_e32 v61, 0
	s_and_saveexec_b64 s[16:17], s[4:5]
	s_cbranch_execz .LBB309_201
; %bb.196:                              ;   in Loop: Header=BB309_9 Depth=1
	v_cmp_ne_u16_e64 s[4:5], s41, v8
	v_bfrev_b32_e32 v61, 1
	s_and_saveexec_b64 s[34:35], s[4:5]
	s_cbranch_execz .LBB309_200
; %bb.197:                              ;   in Loop: Header=BB309_9 Depth=1
	v_and_b32_e32 v0, 0x7f, v8
	v_cmp_ne_u32_e64 s[4:5], s42, v0
	v_mov_b32_e32 v61, 0x7f800001
	s_and_saveexec_b64 s[36:37], s[4:5]
	s_cbranch_execz .LBB309_199
; %bb.198:                              ;   in Loop: Header=BB309_9 Depth=1
	v_and_b32_e32 v2, 7, v8
	v_lshrrev_b32_e32 v9, 3, v0
	v_cmp_gt_u32_e64 s[4:5], 8, v0
	v_ffbh_u32_e32 v0, v2
	v_min_u32_e32 v11, 32, v0
	v_subrev_u32_e32 v0, 28, v11
	v_lshlrev_b64 v[0:1], v0, v[8:9]
	v_sub_u32_e32 v1, 29, v11
	v_and_b32_e32 v0, 7, v0
	v_cndmask_b32_e64 v1, v9, v1, s[4:5]
	v_cndmask_b32_e64 v0, v2, v0, s[4:5]
	v_lshlrev_b32_e32 v2, 16, v7
	v_bfrev_b32_e32 v3, 60
	v_lshlrev_b32_e32 v0, 20, v0
	v_and_b32_e32 v2, 0x80000000, v2
	v_lshl_add_u32 v1, v1, 23, v3
	v_or3_b32 v61, v2, v1, v0
.LBB309_199:                            ;   in Loop: Header=BB309_9 Depth=1
	s_or_b64 exec, exec, s[36:37]
.LBB309_200:                            ;   in Loop: Header=BB309_9 Depth=1
	s_or_b64 exec, exec, s[34:35]
.LBB309_201:                            ;   in Loop: Header=BB309_9 Depth=1
	s_or_b64 exec, exec, s[16:17]
	global_load_ushort v0, v[5:6], off offset:2048
	v_mov_b32_e32 v1, 0
	s_waitcnt vmcnt(0)
	v_and_b32_e32 v7, 0xffff, v0
	v_cmp_ne_u16_sdwa s[4:5], v0, v1 src0_sel:BYTE_0 src1_sel:DWORD
	s_and_saveexec_b64 s[16:17], s[4:5]
	s_cbranch_execz .LBB309_207
; %bb.202:                              ;   in Loop: Header=BB309_9 Depth=1
	v_cmp_ne_u16_sdwa s[4:5], v7, s41 src0_sel:BYTE_0 src1_sel:DWORD
	v_bfrev_b32_e32 v62, 1
	s_and_saveexec_b64 s[34:35], s[4:5]
	s_cbranch_execz .LBB309_206
; %bb.203:                              ;   in Loop: Header=BB309_9 Depth=1
	v_and_b32_e32 v0, 0x7f, v7
	v_cmp_ne_u32_e64 s[4:5], s42, v0
	v_mov_b32_e32 v62, 0x7f800001
	s_and_saveexec_b64 s[36:37], s[4:5]
	s_cbranch_execz .LBB309_205
; %bb.204:                              ;   in Loop: Header=BB309_9 Depth=1
	v_and_b32_e32 v2, 7, v7
	v_lshrrev_b32_e32 v8, 3, v0
	v_cmp_gt_u32_e64 s[4:5], 8, v0
	v_ffbh_u32_e32 v0, v2
	v_min_u32_e32 v9, 32, v0
	v_subrev_u32_e32 v0, 28, v9
	v_lshlrev_b64 v[0:1], v0, v[7:8]
	v_sub_u32_e32 v1, 29, v9
	v_and_b32_e32 v0, 7, v0
	v_cndmask_b32_e64 v1, v8, v1, s[4:5]
	v_cndmask_b32_e64 v0, v2, v0, s[4:5]
	v_lshlrev_b32_e32 v2, 24, v7
	v_bfrev_b32_e32 v3, 60
	v_lshlrev_b32_e32 v0, 20, v0
	v_and_b32_e32 v2, 0x80000000, v2
	v_lshl_add_u32 v1, v1, 23, v3
	v_or3_b32 v62, v2, v1, v0
.LBB309_205:                            ;   in Loop: Header=BB309_9 Depth=1
	s_or_b64 exec, exec, s[36:37]
.LBB309_206:                            ;   in Loop: Header=BB309_9 Depth=1
	s_or_b64 exec, exec, s[34:35]
.LBB309_207:                            ;   in Loop: Header=BB309_9 Depth=1
	s_or_b64 exec, exec, s[16:17]
	v_lshrrev_b16_e32 v8, 8, v7
	v_cmp_ne_u16_e64 s[4:5], 0, v8
	v_mov_b32_e32 v26, 0
	v_mov_b32_e32 v9, 0
	s_and_saveexec_b64 s[16:17], s[4:5]
	s_cbranch_execz .LBB309_213
; %bb.208:                              ;   in Loop: Header=BB309_9 Depth=1
	v_cmp_ne_u16_e64 s[4:5], s41, v8
	v_bfrev_b32_e32 v9, 1
	s_and_saveexec_b64 s[34:35], s[4:5]
	s_cbranch_execz .LBB309_212
; %bb.209:                              ;   in Loop: Header=BB309_9 Depth=1
	v_and_b32_e32 v0, 0x7f, v8
	v_cmp_ne_u32_e64 s[4:5], s42, v0
	v_mov_b32_e32 v9, 0x7f800001
	s_and_saveexec_b64 s[36:37], s[4:5]
	s_cbranch_execz .LBB309_211
; %bb.210:                              ;   in Loop: Header=BB309_9 Depth=1
	v_and_b32_e32 v2, 7, v8
	v_lshrrev_b32_e32 v9, 3, v0
	v_cmp_gt_u32_e64 s[4:5], 8, v0
	v_ffbh_u32_e32 v0, v2
	v_min_u32_e32 v11, 32, v0
	v_subrev_u32_e32 v0, 28, v11
	v_lshlrev_b64 v[0:1], v0, v[8:9]
	v_sub_u32_e32 v1, 29, v11
	v_and_b32_e32 v0, 7, v0
	v_cndmask_b32_e64 v1, v9, v1, s[4:5]
	v_cndmask_b32_e64 v0, v2, v0, s[4:5]
	v_lshlrev_b32_e32 v2, 16, v7
	v_bfrev_b32_e32 v3, 60
	v_lshlrev_b32_e32 v0, 20, v0
	v_and_b32_e32 v2, 0x80000000, v2
	v_lshl_add_u32 v1, v1, 23, v3
	v_or3_b32 v9, v2, v1, v0
.LBB309_211:                            ;   in Loop: Header=BB309_9 Depth=1
	s_or_b64 exec, exec, s[36:37]
.LBB309_212:                            ;   in Loop: Header=BB309_9 Depth=1
	s_or_b64 exec, exec, s[34:35]
.LBB309_213:                            ;   in Loop: Header=BB309_9 Depth=1
	s_or_b64 exec, exec, s[16:17]
	global_load_ushort v0, v[5:6], off offset:2056
	v_mov_b32_e32 v1, 0
	s_waitcnt vmcnt(0)
	v_and_b32_e32 v7, 0xffff, v0
	v_cmp_ne_u16_sdwa s[4:5], v0, v1 src0_sel:BYTE_0 src1_sel:DWORD
	s_and_saveexec_b64 s[16:17], s[4:5]
	s_cbranch_execz .LBB309_219
; %bb.214:                              ;   in Loop: Header=BB309_9 Depth=1
	v_cmp_ne_u16_sdwa s[4:5], v7, s41 src0_sel:BYTE_0 src1_sel:DWORD
	v_bfrev_b32_e32 v26, 1
	s_and_saveexec_b64 s[34:35], s[4:5]
	s_cbranch_execz .LBB309_218
; %bb.215:                              ;   in Loop: Header=BB309_9 Depth=1
	v_and_b32_e32 v0, 0x7f, v7
	v_cmp_ne_u32_e64 s[4:5], s42, v0
	v_mov_b32_e32 v26, 0x7f800001
	s_and_saveexec_b64 s[36:37], s[4:5]
	s_cbranch_execz .LBB309_217
; %bb.216:                              ;   in Loop: Header=BB309_9 Depth=1
	v_and_b32_e32 v2, 7, v7
	v_lshrrev_b32_e32 v8, 3, v0
	v_cmp_gt_u32_e64 s[4:5], 8, v0
	v_ffbh_u32_e32 v0, v2
	v_min_u32_e32 v11, 32, v0
	v_subrev_u32_e32 v0, 28, v11
	v_lshlrev_b64 v[0:1], v0, v[7:8]
	v_sub_u32_e32 v1, 29, v11
	v_and_b32_e32 v0, 7, v0
	v_cndmask_b32_e64 v1, v8, v1, s[4:5]
	v_cndmask_b32_e64 v0, v2, v0, s[4:5]
	v_lshlrev_b32_e32 v2, 24, v7
	v_bfrev_b32_e32 v3, 60
	v_lshlrev_b32_e32 v0, 20, v0
	v_and_b32_e32 v2, 0x80000000, v2
	v_lshl_add_u32 v1, v1, 23, v3
	v_or3_b32 v26, v2, v1, v0
.LBB309_217:                            ;   in Loop: Header=BB309_9 Depth=1
	s_or_b64 exec, exec, s[36:37]
.LBB309_218:                            ;   in Loop: Header=BB309_9 Depth=1
	s_or_b64 exec, exec, s[34:35]
.LBB309_219:                            ;   in Loop: Header=BB309_9 Depth=1
	s_or_b64 exec, exec, s[16:17]
	v_lshrrev_b16_e32 v8, 8, v7
	v_cmp_ne_u16_e64 s[4:5], 0, v8
	v_mov_b32_e32 v0, 0
	v_mov_b32_e32 v11, 0
	s_and_saveexec_b64 s[16:17], s[4:5]
	s_cbranch_execz .LBB309_225
; %bb.220:                              ;   in Loop: Header=BB309_9 Depth=1
	v_cmp_ne_u16_e64 s[4:5], s41, v8
	v_bfrev_b32_e32 v11, 1
	s_and_saveexec_b64 s[34:35], s[4:5]
	s_cbranch_execz .LBB309_224
; %bb.221:                              ;   in Loop: Header=BB309_9 Depth=1
	v_and_b32_e32 v1, 0x7f, v8
	v_cmp_ne_u32_e64 s[4:5], s42, v1
	v_mov_b32_e32 v11, 0x7f800001
	s_and_saveexec_b64 s[36:37], s[4:5]
	s_cbranch_execz .LBB309_223
; %bb.222:                              ;   in Loop: Header=BB309_9 Depth=1
	v_and_b32_e32 v11, 7, v8
	v_lshrrev_b32_e32 v12, 3, v1
	v_cmp_gt_u32_e64 s[4:5], 8, v1
	v_ffbh_u32_e32 v1, v11
	v_min_u32_e32 v13, 32, v1
	v_subrev_u32_e32 v1, 28, v13
	v_lshlrev_b64 v[1:2], v1, v[8:9]
	v_sub_u32_e32 v2, 29, v13
	v_and_b32_e32 v1, 7, v1
	v_cndmask_b32_e64 v2, v12, v2, s[4:5]
	v_cndmask_b32_e64 v1, v11, v1, s[4:5]
	v_lshlrev_b32_e32 v7, 16, v7
	v_bfrev_b32_e32 v3, 60
	v_lshlrev_b32_e32 v1, 20, v1
	v_and_b32_e32 v7, 0x80000000, v7
	v_lshl_add_u32 v2, v2, 23, v3
	v_or3_b32 v11, v7, v2, v1
.LBB309_223:                            ;   in Loop: Header=BB309_9 Depth=1
	s_or_b64 exec, exec, s[36:37]
.LBB309_224:                            ;   in Loop: Header=BB309_9 Depth=1
	s_or_b64 exec, exec, s[34:35]
.LBB309_225:                            ;   in Loop: Header=BB309_9 Depth=1
	s_or_b64 exec, exec, s[16:17]
	global_load_ushort v1, v[5:6], off offset:2304
	v_mov_b32_e32 v2, 0
	s_waitcnt vmcnt(0)
	v_and_b32_e32 v7, 0xffff, v1
	v_cmp_ne_u16_sdwa s[4:5], v1, v2 src0_sel:BYTE_0 src1_sel:DWORD
	s_and_saveexec_b64 s[16:17], s[4:5]
	s_cbranch_execz .LBB309_231
; %bb.226:                              ;   in Loop: Header=BB309_9 Depth=1
	v_cmp_ne_u16_sdwa s[4:5], v7, s41 src0_sel:BYTE_0 src1_sel:DWORD
	v_bfrev_b32_e32 v0, 1
	s_and_saveexec_b64 s[34:35], s[4:5]
	s_cbranch_execz .LBB309_230
; %bb.227:                              ;   in Loop: Header=BB309_9 Depth=1
	v_and_b32_e32 v1, 0x7f, v7
	v_cmp_ne_u32_e64 s[4:5], s42, v1
	v_mov_b32_e32 v0, 0x7f800001
	s_and_saveexec_b64 s[36:37], s[4:5]
	s_cbranch_execz .LBB309_229
; %bb.228:                              ;   in Loop: Header=BB309_9 Depth=1
	v_and_b32_e32 v2, 7, v7
	v_ffbh_u32_e32 v0, v2
	v_min_u32_e32 v12, 32, v0
	v_lshrrev_b32_e32 v8, 3, v1
	v_subrev_u32_e32 v0, 28, v12
	v_cmp_gt_u32_e64 s[4:5], 8, v1
	v_lshlrev_b64 v[0:1], v0, v[7:8]
	v_sub_u32_e32 v1, 29, v12
	v_and_b32_e32 v0, 7, v0
	v_cndmask_b32_e64 v1, v8, v1, s[4:5]
	v_cndmask_b32_e64 v0, v2, v0, s[4:5]
	v_lshlrev_b32_e32 v2, 24, v7
	v_bfrev_b32_e32 v3, 60
	v_lshlrev_b32_e32 v0, 20, v0
	v_and_b32_e32 v2, 0x80000000, v2
	v_lshl_add_u32 v1, v1, 23, v3
	v_or3_b32 v0, v2, v1, v0
.LBB309_229:                            ;   in Loop: Header=BB309_9 Depth=1
	s_or_b64 exec, exec, s[36:37]
.LBB309_230:                            ;   in Loop: Header=BB309_9 Depth=1
	s_or_b64 exec, exec, s[34:35]
.LBB309_231:                            ;   in Loop: Header=BB309_9 Depth=1
	s_or_b64 exec, exec, s[16:17]
	v_lshrrev_b16_e32 v8, 8, v7
	v_cmp_ne_u16_e64 s[4:5], 0, v8
	v_mov_b32_e32 v13, 0
	v_mov_b32_e32 v12, 0
	s_and_saveexec_b64 s[16:17], s[4:5]
	s_cbranch_execz .LBB309_237
; %bb.232:                              ;   in Loop: Header=BB309_9 Depth=1
	v_cmp_ne_u16_e64 s[4:5], s41, v8
	v_bfrev_b32_e32 v12, 1
	s_and_saveexec_b64 s[34:35], s[4:5]
	s_cbranch_execz .LBB309_236
; %bb.233:                              ;   in Loop: Header=BB309_9 Depth=1
	v_and_b32_e32 v1, 0x7f, v8
	v_cmp_ne_u32_e64 s[4:5], s42, v1
	v_mov_b32_e32 v12, 0x7f800001
	s_and_saveexec_b64 s[36:37], s[4:5]
	s_cbranch_execz .LBB309_235
; %bb.234:                              ;   in Loop: Header=BB309_9 Depth=1
	v_and_b32_e32 v12, 7, v8
	v_lshrrev_b32_e32 v14, 3, v1
	v_cmp_gt_u32_e64 s[4:5], 8, v1
	v_ffbh_u32_e32 v1, v12
	v_min_u32_e32 v15, 32, v1
	v_subrev_u32_e32 v1, 28, v15
	v_lshlrev_b64 v[1:2], v1, v[8:9]
	v_sub_u32_e32 v2, 29, v15
	v_and_b32_e32 v1, 7, v1
	v_cndmask_b32_e64 v2, v14, v2, s[4:5]
	v_cndmask_b32_e64 v1, v12, v1, s[4:5]
	v_lshlrev_b32_e32 v7, 16, v7
	v_bfrev_b32_e32 v3, 60
	v_lshlrev_b32_e32 v1, 20, v1
	v_and_b32_e32 v7, 0x80000000, v7
	v_lshl_add_u32 v2, v2, 23, v3
	v_or3_b32 v12, v7, v2, v1
.LBB309_235:                            ;   in Loop: Header=BB309_9 Depth=1
	s_or_b64 exec, exec, s[36:37]
.LBB309_236:                            ;   in Loop: Header=BB309_9 Depth=1
	s_or_b64 exec, exec, s[34:35]
.LBB309_237:                            ;   in Loop: Header=BB309_9 Depth=1
	s_or_b64 exec, exec, s[16:17]
	global_load_ushort v1, v[5:6], off offset:2312
	v_mov_b32_e32 v2, 0
	s_waitcnt vmcnt(0)
	v_and_b32_e32 v7, 0xffff, v1
	v_cmp_ne_u16_sdwa s[4:5], v1, v2 src0_sel:BYTE_0 src1_sel:DWORD
	s_and_saveexec_b64 s[16:17], s[4:5]
	s_cbranch_execz .LBB309_243
; %bb.238:                              ;   in Loop: Header=BB309_9 Depth=1
	v_cmp_ne_u16_sdwa s[4:5], v7, s41 src0_sel:BYTE_0 src1_sel:DWORD
	v_bfrev_b32_e32 v13, 1
	s_and_saveexec_b64 s[34:35], s[4:5]
	s_cbranch_execz .LBB309_242
; %bb.239:                              ;   in Loop: Header=BB309_9 Depth=1
	v_and_b32_e32 v1, 0x7f, v7
	v_cmp_ne_u32_e64 s[4:5], s42, v1
	v_mov_b32_e32 v13, 0x7f800001
	s_and_saveexec_b64 s[36:37], s[4:5]
	s_cbranch_execz .LBB309_241
; %bb.240:                              ;   in Loop: Header=BB309_9 Depth=1
	v_and_b32_e32 v8, 7, v7
	v_lshrrev_b32_e32 v13, 3, v1
	v_cmp_gt_u32_e64 s[4:5], 8, v1
	v_ffbh_u32_e32 v1, v8
	v_min_u32_e32 v14, 32, v1
	v_subrev_u32_e32 v1, 28, v14
	v_lshlrev_b64 v[1:2], v1, v[7:8]
	v_sub_u32_e32 v2, 29, v14
	v_and_b32_e32 v1, 7, v1
	v_cndmask_b32_e64 v2, v13, v2, s[4:5]
	v_cndmask_b32_e64 v1, v8, v1, s[4:5]
	v_lshlrev_b32_e32 v8, 24, v7
	v_bfrev_b32_e32 v3, 60
	v_lshlrev_b32_e32 v1, 20, v1
	v_and_b32_e32 v8, 0x80000000, v8
	v_lshl_add_u32 v2, v2, 23, v3
	v_or3_b32 v13, v8, v2, v1
.LBB309_241:                            ;   in Loop: Header=BB309_9 Depth=1
	s_or_b64 exec, exec, s[36:37]
.LBB309_242:                            ;   in Loop: Header=BB309_9 Depth=1
	s_or_b64 exec, exec, s[34:35]
.LBB309_243:                            ;   in Loop: Header=BB309_9 Depth=1
	s_or_b64 exec, exec, s[16:17]
	v_lshrrev_b16_e32 v8, 8, v7
	v_cmp_ne_u16_e64 s[4:5], 0, v8
	v_mov_b32_e32 v15, 0
	v_mov_b32_e32 v14, 0
	s_and_saveexec_b64 s[16:17], s[4:5]
	s_cbranch_execz .LBB309_249
; %bb.244:                              ;   in Loop: Header=BB309_9 Depth=1
	v_cmp_ne_u16_e64 s[4:5], s41, v8
	v_bfrev_b32_e32 v14, 1
	s_and_saveexec_b64 s[34:35], s[4:5]
	s_cbranch_execz .LBB309_248
; %bb.245:                              ;   in Loop: Header=BB309_9 Depth=1
	v_and_b32_e32 v1, 0x7f, v8
	v_cmp_ne_u32_e64 s[4:5], s42, v1
	v_mov_b32_e32 v14, 0x7f800001
	s_and_saveexec_b64 s[36:37], s[4:5]
	s_cbranch_execz .LBB309_247
; %bb.246:                              ;   in Loop: Header=BB309_9 Depth=1
	v_and_b32_e32 v14, 7, v8
	v_lshrrev_b32_e32 v16, 3, v1
	v_cmp_gt_u32_e64 s[4:5], 8, v1
	v_ffbh_u32_e32 v1, v14
	v_min_u32_e32 v17, 32, v1
	v_subrev_u32_e32 v1, 28, v17
	v_lshlrev_b64 v[1:2], v1, v[8:9]
	v_sub_u32_e32 v2, 29, v17
	v_and_b32_e32 v1, 7, v1
	v_cndmask_b32_e64 v2, v16, v2, s[4:5]
	v_cndmask_b32_e64 v1, v14, v1, s[4:5]
	v_lshlrev_b32_e32 v7, 16, v7
	v_bfrev_b32_e32 v3, 60
	v_lshlrev_b32_e32 v1, 20, v1
	v_and_b32_e32 v7, 0x80000000, v7
	v_lshl_add_u32 v2, v2, 23, v3
	v_or3_b32 v14, v7, v2, v1
.LBB309_247:                            ;   in Loop: Header=BB309_9 Depth=1
	s_or_b64 exec, exec, s[36:37]
.LBB309_248:                            ;   in Loop: Header=BB309_9 Depth=1
	s_or_b64 exec, exec, s[34:35]
.LBB309_249:                            ;   in Loop: Header=BB309_9 Depth=1
	s_or_b64 exec, exec, s[16:17]
	global_load_ushort v1, v[5:6], off offset:2560
	v_mov_b32_e32 v2, 0
	s_waitcnt vmcnt(0)
	v_and_b32_e32 v7, 0xffff, v1
	v_cmp_ne_u16_sdwa s[4:5], v1, v2 src0_sel:BYTE_0 src1_sel:DWORD
	s_and_saveexec_b64 s[16:17], s[4:5]
	s_cbranch_execz .LBB309_255
; %bb.250:                              ;   in Loop: Header=BB309_9 Depth=1
	v_cmp_ne_u16_sdwa s[4:5], v7, s41 src0_sel:BYTE_0 src1_sel:DWORD
	v_bfrev_b32_e32 v15, 1
	s_and_saveexec_b64 s[34:35], s[4:5]
	s_cbranch_execz .LBB309_254
; %bb.251:                              ;   in Loop: Header=BB309_9 Depth=1
	v_and_b32_e32 v1, 0x7f, v7
	v_cmp_ne_u32_e64 s[4:5], s42, v1
	v_mov_b32_e32 v15, 0x7f800001
	s_and_saveexec_b64 s[36:37], s[4:5]
	s_cbranch_execz .LBB309_253
; %bb.252:                              ;   in Loop: Header=BB309_9 Depth=1
	v_and_b32_e32 v8, 7, v7
	v_lshrrev_b32_e32 v15, 3, v1
	v_cmp_gt_u32_e64 s[4:5], 8, v1
	v_ffbh_u32_e32 v1, v8
	v_min_u32_e32 v16, 32, v1
	v_subrev_u32_e32 v1, 28, v16
	v_lshlrev_b64 v[1:2], v1, v[7:8]
	v_sub_u32_e32 v2, 29, v16
	v_and_b32_e32 v1, 7, v1
	v_cndmask_b32_e64 v2, v15, v2, s[4:5]
	v_cndmask_b32_e64 v1, v8, v1, s[4:5]
	v_lshlrev_b32_e32 v8, 24, v7
	v_bfrev_b32_e32 v3, 60
	v_lshlrev_b32_e32 v1, 20, v1
	v_and_b32_e32 v8, 0x80000000, v8
	v_lshl_add_u32 v2, v2, 23, v3
	v_or3_b32 v15, v8, v2, v1
.LBB309_253:                            ;   in Loop: Header=BB309_9 Depth=1
	s_or_b64 exec, exec, s[36:37]
.LBB309_254:                            ;   in Loop: Header=BB309_9 Depth=1
	s_or_b64 exec, exec, s[34:35]
.LBB309_255:                            ;   in Loop: Header=BB309_9 Depth=1
	s_or_b64 exec, exec, s[16:17]
	v_lshrrev_b16_e32 v8, 8, v7
	v_cmp_ne_u16_e64 s[4:5], 0, v8
	v_mov_b32_e32 v17, 0
	v_mov_b32_e32 v16, 0
	s_and_saveexec_b64 s[16:17], s[4:5]
	s_cbranch_execz .LBB309_261
; %bb.256:                              ;   in Loop: Header=BB309_9 Depth=1
	v_cmp_ne_u16_e64 s[4:5], s41, v8
	v_bfrev_b32_e32 v16, 1
	s_and_saveexec_b64 s[34:35], s[4:5]
	s_cbranch_execz .LBB309_260
; %bb.257:                              ;   in Loop: Header=BB309_9 Depth=1
	v_and_b32_e32 v1, 0x7f, v8
	v_cmp_ne_u32_e64 s[4:5], s42, v1
	v_mov_b32_e32 v16, 0x7f800001
	s_and_saveexec_b64 s[36:37], s[4:5]
	s_cbranch_execz .LBB309_259
; %bb.258:                              ;   in Loop: Header=BB309_9 Depth=1
	v_and_b32_e32 v16, 7, v8
	v_lshrrev_b32_e32 v18, 3, v1
	v_cmp_gt_u32_e64 s[4:5], 8, v1
	v_ffbh_u32_e32 v1, v16
	v_min_u32_e32 v19, 32, v1
	v_subrev_u32_e32 v1, 28, v19
	v_lshlrev_b64 v[1:2], v1, v[8:9]
	v_sub_u32_e32 v2, 29, v19
	v_and_b32_e32 v1, 7, v1
	v_cndmask_b32_e64 v2, v18, v2, s[4:5]
	v_cndmask_b32_e64 v1, v16, v1, s[4:5]
	v_lshlrev_b32_e32 v7, 16, v7
	v_bfrev_b32_e32 v3, 60
	v_lshlrev_b32_e32 v1, 20, v1
	v_and_b32_e32 v7, 0x80000000, v7
	v_lshl_add_u32 v2, v2, 23, v3
	v_or3_b32 v16, v7, v2, v1
.LBB309_259:                            ;   in Loop: Header=BB309_9 Depth=1
	s_or_b64 exec, exec, s[36:37]
.LBB309_260:                            ;   in Loop: Header=BB309_9 Depth=1
	s_or_b64 exec, exec, s[34:35]
.LBB309_261:                            ;   in Loop: Header=BB309_9 Depth=1
	s_or_b64 exec, exec, s[16:17]
	global_load_ushort v1, v[5:6], off offset:2568
	v_mov_b32_e32 v2, 0
	s_waitcnt vmcnt(0)
	v_and_b32_e32 v7, 0xffff, v1
	v_cmp_ne_u16_sdwa s[4:5], v1, v2 src0_sel:BYTE_0 src1_sel:DWORD
	s_and_saveexec_b64 s[16:17], s[4:5]
	s_cbranch_execz .LBB309_267
; %bb.262:                              ;   in Loop: Header=BB309_9 Depth=1
	v_cmp_ne_u16_sdwa s[4:5], v7, s41 src0_sel:BYTE_0 src1_sel:DWORD
	v_bfrev_b32_e32 v17, 1
	s_and_saveexec_b64 s[34:35], s[4:5]
	s_cbranch_execz .LBB309_266
; %bb.263:                              ;   in Loop: Header=BB309_9 Depth=1
	v_and_b32_e32 v1, 0x7f, v7
	v_cmp_ne_u32_e64 s[4:5], s42, v1
	v_mov_b32_e32 v17, 0x7f800001
	s_and_saveexec_b64 s[36:37], s[4:5]
	s_cbranch_execz .LBB309_265
; %bb.264:                              ;   in Loop: Header=BB309_9 Depth=1
	v_and_b32_e32 v8, 7, v7
	v_lshrrev_b32_e32 v17, 3, v1
	v_cmp_gt_u32_e64 s[4:5], 8, v1
	v_ffbh_u32_e32 v1, v8
	v_min_u32_e32 v18, 32, v1
	v_subrev_u32_e32 v1, 28, v18
	v_lshlrev_b64 v[1:2], v1, v[7:8]
	v_sub_u32_e32 v2, 29, v18
	v_and_b32_e32 v1, 7, v1
	v_cndmask_b32_e64 v2, v17, v2, s[4:5]
	v_cndmask_b32_e64 v1, v8, v1, s[4:5]
	v_lshlrev_b32_e32 v8, 24, v7
	v_bfrev_b32_e32 v3, 60
	v_lshlrev_b32_e32 v1, 20, v1
	v_and_b32_e32 v8, 0x80000000, v8
	v_lshl_add_u32 v2, v2, 23, v3
	v_or3_b32 v17, v8, v2, v1
.LBB309_265:                            ;   in Loop: Header=BB309_9 Depth=1
	s_or_b64 exec, exec, s[36:37]
.LBB309_266:                            ;   in Loop: Header=BB309_9 Depth=1
	s_or_b64 exec, exec, s[34:35]
.LBB309_267:                            ;   in Loop: Header=BB309_9 Depth=1
	s_or_b64 exec, exec, s[16:17]
	v_lshrrev_b16_e32 v8, 8, v7
	v_cmp_ne_u16_e64 s[4:5], 0, v8
	v_mov_b32_e32 v19, 0
	v_mov_b32_e32 v18, 0
	s_and_saveexec_b64 s[16:17], s[4:5]
	s_cbranch_execz .LBB309_273
; %bb.268:                              ;   in Loop: Header=BB309_9 Depth=1
	v_cmp_ne_u16_e64 s[4:5], s41, v8
	v_bfrev_b32_e32 v18, 1
	s_and_saveexec_b64 s[34:35], s[4:5]
	s_cbranch_execz .LBB309_272
; %bb.269:                              ;   in Loop: Header=BB309_9 Depth=1
	v_and_b32_e32 v1, 0x7f, v8
	v_cmp_ne_u32_e64 s[4:5], s42, v1
	v_mov_b32_e32 v18, 0x7f800001
	s_and_saveexec_b64 s[36:37], s[4:5]
	s_cbranch_execz .LBB309_271
; %bb.270:                              ;   in Loop: Header=BB309_9 Depth=1
	v_and_b32_e32 v18, 7, v8
	v_lshrrev_b32_e32 v21, 3, v1
	v_cmp_gt_u32_e64 s[4:5], 8, v1
	v_ffbh_u32_e32 v1, v18
	v_min_u32_e32 v22, 32, v1
	v_subrev_u32_e32 v1, 28, v22
	v_lshlrev_b64 v[1:2], v1, v[8:9]
	v_sub_u32_e32 v2, 29, v22
	v_and_b32_e32 v1, 7, v1
	v_cndmask_b32_e64 v2, v21, v2, s[4:5]
	v_cndmask_b32_e64 v1, v18, v1, s[4:5]
	v_lshlrev_b32_e32 v7, 16, v7
	v_bfrev_b32_e32 v3, 60
	v_lshlrev_b32_e32 v1, 20, v1
	v_and_b32_e32 v7, 0x80000000, v7
	v_lshl_add_u32 v2, v2, 23, v3
	v_or3_b32 v18, v7, v2, v1
.LBB309_271:                            ;   in Loop: Header=BB309_9 Depth=1
	s_or_b64 exec, exec, s[36:37]
.LBB309_272:                            ;   in Loop: Header=BB309_9 Depth=1
	s_or_b64 exec, exec, s[34:35]
.LBB309_273:                            ;   in Loop: Header=BB309_9 Depth=1
	s_or_b64 exec, exec, s[16:17]
	global_load_ushort v1, v[5:6], off offset:2816
	v_mov_b32_e32 v2, 0
	s_waitcnt vmcnt(0)
	v_and_b32_e32 v7, 0xffff, v1
	v_cmp_ne_u16_sdwa s[4:5], v1, v2 src0_sel:BYTE_0 src1_sel:DWORD
	s_and_saveexec_b64 s[16:17], s[4:5]
	s_cbranch_execz .LBB309_279
; %bb.274:                              ;   in Loop: Header=BB309_9 Depth=1
	v_cmp_ne_u16_sdwa s[4:5], v7, s41 src0_sel:BYTE_0 src1_sel:DWORD
	v_bfrev_b32_e32 v19, 1
	s_and_saveexec_b64 s[34:35], s[4:5]
	s_cbranch_execz .LBB309_278
; %bb.275:                              ;   in Loop: Header=BB309_9 Depth=1
	v_and_b32_e32 v1, 0x7f, v7
	v_cmp_ne_u32_e64 s[4:5], s42, v1
	v_mov_b32_e32 v19, 0x7f800001
	s_and_saveexec_b64 s[36:37], s[4:5]
	s_cbranch_execz .LBB309_277
; %bb.276:                              ;   in Loop: Header=BB309_9 Depth=1
	v_and_b32_e32 v8, 7, v7
	v_lshrrev_b32_e32 v19, 3, v1
	v_cmp_gt_u32_e64 s[4:5], 8, v1
	v_ffbh_u32_e32 v1, v8
	v_min_u32_e32 v21, 32, v1
	v_subrev_u32_e32 v1, 28, v21
	v_lshlrev_b64 v[1:2], v1, v[7:8]
	v_sub_u32_e32 v2, 29, v21
	v_and_b32_e32 v1, 7, v1
	v_cndmask_b32_e64 v2, v19, v2, s[4:5]
	v_cndmask_b32_e64 v1, v8, v1, s[4:5]
	v_lshlrev_b32_e32 v8, 24, v7
	v_bfrev_b32_e32 v3, 60
	v_lshlrev_b32_e32 v1, 20, v1
	v_and_b32_e32 v8, 0x80000000, v8
	v_lshl_add_u32 v2, v2, 23, v3
	v_or3_b32 v19, v8, v2, v1
.LBB309_277:                            ;   in Loop: Header=BB309_9 Depth=1
	s_or_b64 exec, exec, s[36:37]
.LBB309_278:                            ;   in Loop: Header=BB309_9 Depth=1
	s_or_b64 exec, exec, s[34:35]
.LBB309_279:                            ;   in Loop: Header=BB309_9 Depth=1
	s_or_b64 exec, exec, s[16:17]
	v_lshrrev_b16_e32 v8, 8, v7
	v_cmp_ne_u16_e64 s[4:5], 0, v8
	v_mov_b32_e32 v22, 0
	v_mov_b32_e32 v21, 0
	s_and_saveexec_b64 s[16:17], s[4:5]
	s_cbranch_execz .LBB309_285
; %bb.280:                              ;   in Loop: Header=BB309_9 Depth=1
	v_cmp_ne_u16_e64 s[4:5], s41, v8
	v_bfrev_b32_e32 v21, 1
	s_and_saveexec_b64 s[34:35], s[4:5]
	s_cbranch_execz .LBB309_284
; %bb.281:                              ;   in Loop: Header=BB309_9 Depth=1
	v_and_b32_e32 v1, 0x7f, v8
	v_cmp_ne_u32_e64 s[4:5], s42, v1
	v_mov_b32_e32 v21, 0x7f800001
	s_and_saveexec_b64 s[36:37], s[4:5]
	s_cbranch_execz .LBB309_283
; %bb.282:                              ;   in Loop: Header=BB309_9 Depth=1
	v_and_b32_e32 v21, 7, v8
	v_lshrrev_b32_e32 v23, 3, v1
	v_cmp_gt_u32_e64 s[4:5], 8, v1
	v_ffbh_u32_e32 v1, v21
	v_min_u32_e32 v24, 32, v1
	v_subrev_u32_e32 v1, 28, v24
	v_lshlrev_b64 v[1:2], v1, v[8:9]
	v_sub_u32_e32 v2, 29, v24
	v_and_b32_e32 v1, 7, v1
	v_cndmask_b32_e64 v2, v23, v2, s[4:5]
	v_cndmask_b32_e64 v1, v21, v1, s[4:5]
	v_lshlrev_b32_e32 v7, 16, v7
	v_bfrev_b32_e32 v3, 60
	v_lshlrev_b32_e32 v1, 20, v1
	v_and_b32_e32 v7, 0x80000000, v7
	v_lshl_add_u32 v2, v2, 23, v3
	v_or3_b32 v21, v7, v2, v1
.LBB309_283:                            ;   in Loop: Header=BB309_9 Depth=1
	s_or_b64 exec, exec, s[36:37]
.LBB309_284:                            ;   in Loop: Header=BB309_9 Depth=1
	s_or_b64 exec, exec, s[34:35]
.LBB309_285:                            ;   in Loop: Header=BB309_9 Depth=1
	s_or_b64 exec, exec, s[16:17]
	global_load_ushort v1, v[5:6], off offset:2824
	v_mov_b32_e32 v2, 0
	s_waitcnt vmcnt(0)
	v_and_b32_e32 v7, 0xffff, v1
	v_cmp_ne_u16_sdwa s[4:5], v1, v2 src0_sel:BYTE_0 src1_sel:DWORD
	s_and_saveexec_b64 s[16:17], s[4:5]
	s_cbranch_execz .LBB309_291
; %bb.286:                              ;   in Loop: Header=BB309_9 Depth=1
	v_cmp_ne_u16_sdwa s[4:5], v7, s41 src0_sel:BYTE_0 src1_sel:DWORD
	v_bfrev_b32_e32 v22, 1
	s_and_saveexec_b64 s[34:35], s[4:5]
	s_cbranch_execz .LBB309_290
; %bb.287:                              ;   in Loop: Header=BB309_9 Depth=1
	v_and_b32_e32 v1, 0x7f, v7
	v_cmp_ne_u32_e64 s[4:5], s42, v1
	v_mov_b32_e32 v22, 0x7f800001
	s_and_saveexec_b64 s[36:37], s[4:5]
	s_cbranch_execz .LBB309_289
; %bb.288:                              ;   in Loop: Header=BB309_9 Depth=1
	v_and_b32_e32 v8, 7, v7
	v_lshrrev_b32_e32 v22, 3, v1
	v_cmp_gt_u32_e64 s[4:5], 8, v1
	v_ffbh_u32_e32 v1, v8
	v_min_u32_e32 v23, 32, v1
	v_subrev_u32_e32 v1, 28, v23
	v_lshlrev_b64 v[1:2], v1, v[7:8]
	v_sub_u32_e32 v2, 29, v23
	v_and_b32_e32 v1, 7, v1
	v_cndmask_b32_e64 v2, v22, v2, s[4:5]
	v_cndmask_b32_e64 v1, v8, v1, s[4:5]
	v_lshlrev_b32_e32 v8, 24, v7
	v_bfrev_b32_e32 v3, 60
	v_lshlrev_b32_e32 v1, 20, v1
	v_and_b32_e32 v8, 0x80000000, v8
	v_lshl_add_u32 v2, v2, 23, v3
	v_or3_b32 v22, v8, v2, v1
.LBB309_289:                            ;   in Loop: Header=BB309_9 Depth=1
	s_or_b64 exec, exec, s[36:37]
.LBB309_290:                            ;   in Loop: Header=BB309_9 Depth=1
	s_or_b64 exec, exec, s[34:35]
.LBB309_291:                            ;   in Loop: Header=BB309_9 Depth=1
	s_or_b64 exec, exec, s[16:17]
	v_lshrrev_b16_e32 v8, 8, v7
	v_cmp_ne_u16_e64 s[4:5], 0, v8
	v_mov_b32_e32 v25, 0
	v_mov_b32_e32 v24, 0
	s_and_saveexec_b64 s[16:17], s[4:5]
	s_cbranch_execz .LBB309_297
; %bb.292:                              ;   in Loop: Header=BB309_9 Depth=1
	v_cmp_ne_u16_e64 s[4:5], s41, v8
	v_bfrev_b32_e32 v24, 1
	s_and_saveexec_b64 s[34:35], s[4:5]
	s_cbranch_execz .LBB309_296
; %bb.293:                              ;   in Loop: Header=BB309_9 Depth=1
	v_and_b32_e32 v1, 0x7f, v8
	v_cmp_ne_u32_e64 s[4:5], s42, v1
	v_mov_b32_e32 v24, 0x7f800001
	s_and_saveexec_b64 s[36:37], s[4:5]
	s_cbranch_execz .LBB309_295
; %bb.294:                              ;   in Loop: Header=BB309_9 Depth=1
	v_and_b32_e32 v23, 7, v8
	v_lshrrev_b32_e32 v24, 3, v1
	v_cmp_gt_u32_e64 s[4:5], 8, v1
	v_ffbh_u32_e32 v1, v23
	v_min_u32_e32 v32, 32, v1
	v_subrev_u32_e32 v1, 28, v32
	v_lshlrev_b64 v[1:2], v1, v[8:9]
	v_sub_u32_e32 v2, 29, v32
	v_and_b32_e32 v1, 7, v1
	v_cndmask_b32_e64 v2, v24, v2, s[4:5]
	v_cndmask_b32_e64 v1, v23, v1, s[4:5]
	v_lshlrev_b32_e32 v7, 16, v7
	v_bfrev_b32_e32 v3, 60
	v_lshlrev_b32_e32 v1, 20, v1
	v_and_b32_e32 v7, 0x80000000, v7
	v_lshl_add_u32 v2, v2, 23, v3
	v_or3_b32 v24, v7, v2, v1
.LBB309_295:                            ;   in Loop: Header=BB309_9 Depth=1
	s_or_b64 exec, exec, s[36:37]
.LBB309_296:                            ;   in Loop: Header=BB309_9 Depth=1
	s_or_b64 exec, exec, s[34:35]
.LBB309_297:                            ;   in Loop: Header=BB309_9 Depth=1
	s_or_b64 exec, exec, s[16:17]
	global_load_ushort v1, v[5:6], off offset:3072
	v_mov_b32_e32 v2, 0
	s_waitcnt vmcnt(0)
	v_and_b32_e32 v7, 0xffff, v1
	v_cmp_ne_u16_sdwa s[4:5], v1, v2 src0_sel:BYTE_0 src1_sel:DWORD
	s_and_saveexec_b64 s[16:17], s[4:5]
	s_cbranch_execz .LBB309_303
; %bb.298:                              ;   in Loop: Header=BB309_9 Depth=1
	v_cmp_ne_u16_sdwa s[4:5], v7, s41 src0_sel:BYTE_0 src1_sel:DWORD
	v_bfrev_b32_e32 v25, 1
	s_and_saveexec_b64 s[34:35], s[4:5]
	s_cbranch_execz .LBB309_302
; %bb.299:                              ;   in Loop: Header=BB309_9 Depth=1
	v_and_b32_e32 v1, 0x7f, v7
	v_cmp_ne_u32_e64 s[4:5], s42, v1
	v_mov_b32_e32 v25, 0x7f800001
	s_and_saveexec_b64 s[36:37], s[4:5]
	s_cbranch_execz .LBB309_301
; %bb.300:                              ;   in Loop: Header=BB309_9 Depth=1
	v_and_b32_e32 v8, 7, v7
	v_lshrrev_b32_e32 v23, 3, v1
	v_cmp_gt_u32_e64 s[4:5], 8, v1
	v_ffbh_u32_e32 v1, v8
	v_min_u32_e32 v25, 32, v1
	v_subrev_u32_e32 v1, 28, v25
	v_lshlrev_b64 v[1:2], v1, v[7:8]
	v_sub_u32_e32 v2, 29, v25
	v_and_b32_e32 v1, 7, v1
	v_cndmask_b32_e64 v2, v23, v2, s[4:5]
	v_cndmask_b32_e64 v1, v8, v1, s[4:5]
	v_lshlrev_b32_e32 v8, 24, v7
	v_bfrev_b32_e32 v3, 60
	v_lshlrev_b32_e32 v1, 20, v1
	v_and_b32_e32 v8, 0x80000000, v8
	v_lshl_add_u32 v2, v2, 23, v3
	v_or3_b32 v25, v8, v2, v1
.LBB309_301:                            ;   in Loop: Header=BB309_9 Depth=1
	s_or_b64 exec, exec, s[36:37]
.LBB309_302:                            ;   in Loop: Header=BB309_9 Depth=1
	s_or_b64 exec, exec, s[34:35]
.LBB309_303:                            ;   in Loop: Header=BB309_9 Depth=1
	s_or_b64 exec, exec, s[16:17]
	v_lshrrev_b16_e32 v8, 8, v7
	v_cmp_ne_u16_e64 s[4:5], 0, v8
	v_mov_b32_e32 v2, 0
	v_mov_b32_e32 v1, 0
	s_and_saveexec_b64 s[16:17], s[4:5]
	s_cbranch_execz .LBB309_309
; %bb.304:                              ;   in Loop: Header=BB309_9 Depth=1
	v_cmp_ne_u16_e64 s[4:5], s41, v8
	v_bfrev_b32_e32 v1, 1
	s_and_saveexec_b64 s[34:35], s[4:5]
	s_cbranch_execz .LBB309_308
; %bb.305:                              ;   in Loop: Header=BB309_9 Depth=1
	v_and_b32_e32 v23, 0x7f, v8
	v_cmp_ne_u32_e64 s[4:5], s42, v23
	v_mov_b32_e32 v1, 0x7f800001
	s_and_saveexec_b64 s[36:37], s[4:5]
	s_cbranch_execz .LBB309_307
; %bb.306:                              ;   in Loop: Header=BB309_9 Depth=1
	v_and_b32_e32 v1, 7, v8
	v_lshrrev_b32_e32 v34, 3, v23
	v_cmp_gt_u32_e64 s[4:5], 8, v23
	v_ffbh_u32_e32 v23, v1
	v_min_u32_e32 v23, 32, v23
	v_subrev_u32_e32 v32, 28, v23
	v_lshlrev_b64 v[32:33], v32, v[8:9]
	v_sub_u32_e32 v8, 29, v23
	v_and_b32_e32 v23, 7, v32
	v_cndmask_b32_e64 v8, v34, v8, s[4:5]
	v_cndmask_b32_e64 v1, v1, v23, s[4:5]
	v_lshlrev_b32_e32 v7, 16, v7
	v_bfrev_b32_e32 v3, 60
	v_lshlrev_b32_e32 v1, 20, v1
	v_and_b32_e32 v7, 0x80000000, v7
	v_lshl_add_u32 v8, v8, 23, v3
	v_or3_b32 v1, v7, v8, v1
.LBB309_307:                            ;   in Loop: Header=BB309_9 Depth=1
	s_or_b64 exec, exec, s[36:37]
.LBB309_308:                            ;   in Loop: Header=BB309_9 Depth=1
	s_or_b64 exec, exec, s[34:35]
.LBB309_309:                            ;   in Loop: Header=BB309_9 Depth=1
	s_or_b64 exec, exec, s[16:17]
	global_load_ushort v8, v[5:6], off offset:3080
	v_mov_b32_e32 v3, 0
	s_waitcnt vmcnt(0)
	v_and_b32_e32 v7, 0xffff, v8
	v_cmp_ne_u16_sdwa s[4:5], v8, v3 src0_sel:BYTE_0 src1_sel:DWORD
	s_and_saveexec_b64 s[16:17], s[4:5]
	s_cbranch_execz .LBB309_315
; %bb.310:                              ;   in Loop: Header=BB309_9 Depth=1
	v_cmp_ne_u16_sdwa s[4:5], v7, s41 src0_sel:BYTE_0 src1_sel:DWORD
	v_bfrev_b32_e32 v2, 1
	s_and_saveexec_b64 s[34:35], s[4:5]
	s_cbranch_execz .LBB309_314
; %bb.311:                              ;   in Loop: Header=BB309_9 Depth=1
	v_and_b32_e32 v8, 0x7f, v7
	v_cmp_ne_u32_e64 s[4:5], s42, v8
	v_mov_b32_e32 v2, 0x7f800001
	s_and_saveexec_b64 s[36:37], s[4:5]
	s_cbranch_execz .LBB309_313
; %bb.312:                              ;   in Loop: Header=BB309_9 Depth=1
	v_and_b32_e32 v2, 7, v7
	v_lshrrev_b32_e32 v23, 3, v8
	v_cmp_gt_u32_e64 s[4:5], 8, v8
	v_ffbh_u32_e32 v8, v2
	v_min_u32_e32 v8, 32, v8
	v_subrev_u32_e32 v32, 28, v8
	v_lshlrev_b64 v[32:33], v32, v[7:8]
	v_sub_u32_e32 v8, 29, v8
	v_and_b32_e32 v32, 7, v32
	v_cndmask_b32_e64 v8, v23, v8, s[4:5]
	v_cndmask_b32_e64 v2, v2, v32, s[4:5]
	v_lshlrev_b32_e32 v23, 24, v7
	v_bfrev_b32_e32 v3, 60
	v_lshlrev_b32_e32 v2, 20, v2
	v_and_b32_e32 v23, 0x80000000, v23
	v_lshl_add_u32 v8, v8, 23, v3
	v_or3_b32 v2, v23, v8, v2
.LBB309_313:                            ;   in Loop: Header=BB309_9 Depth=1
	s_or_b64 exec, exec, s[36:37]
.LBB309_314:                            ;   in Loop: Header=BB309_9 Depth=1
	s_or_b64 exec, exec, s[34:35]
.LBB309_315:                            ;   in Loop: Header=BB309_9 Depth=1
	s_or_b64 exec, exec, s[16:17]
	v_lshrrev_b16_e32 v8, 8, v7
	v_cmp_ne_u16_e64 s[4:5], 0, v8
	v_mov_b32_e32 v32, 0
	v_mov_b32_e32 v23, 0
	s_and_saveexec_b64 s[16:17], s[4:5]
	s_cbranch_execz .LBB309_321
; %bb.316:                              ;   in Loop: Header=BB309_9 Depth=1
	v_cmp_ne_u16_e64 s[4:5], s41, v8
	v_bfrev_b32_e32 v23, 1
	s_and_saveexec_b64 s[34:35], s[4:5]
	s_cbranch_execz .LBB309_320
; %bb.317:                              ;   in Loop: Header=BB309_9 Depth=1
	v_and_b32_e32 v33, 0x7f, v8
	v_cmp_ne_u32_e64 s[4:5], s42, v33
	v_mov_b32_e32 v23, 0x7f800001
	s_and_saveexec_b64 s[36:37], s[4:5]
	s_cbranch_execz .LBB309_319
; %bb.318:                              ;   in Loop: Header=BB309_9 Depth=1
	v_and_b32_e32 v23, 7, v8
	v_lshrrev_b32_e32 v35, 3, v33
	v_cmp_gt_u32_e64 s[4:5], 8, v33
	v_ffbh_u32_e32 v33, v23
	v_min_u32_e32 v36, 32, v33
	v_subrev_u32_e32 v33, 28, v36
	v_lshlrev_b64 v[33:34], v33, v[8:9]
	v_sub_u32_e32 v8, 29, v36
	v_and_b32_e32 v33, 7, v33
	v_cndmask_b32_e64 v8, v35, v8, s[4:5]
	v_cndmask_b32_e64 v23, v23, v33, s[4:5]
	v_lshlrev_b32_e32 v7, 16, v7
	v_bfrev_b32_e32 v3, 60
	v_lshlrev_b32_e32 v23, 20, v23
	v_and_b32_e32 v7, 0x80000000, v7
	v_lshl_add_u32 v8, v8, 23, v3
	v_or3_b32 v23, v7, v8, v23
.LBB309_319:                            ;   in Loop: Header=BB309_9 Depth=1
	s_or_b64 exec, exec, s[36:37]
.LBB309_320:                            ;   in Loop: Header=BB309_9 Depth=1
	s_or_b64 exec, exec, s[34:35]
.LBB309_321:                            ;   in Loop: Header=BB309_9 Depth=1
	s_or_b64 exec, exec, s[16:17]
	global_load_ushort v8, v[5:6], off offset:3328
	v_mov_b32_e32 v3, 0
	s_waitcnt vmcnt(0)
	v_and_b32_e32 v7, 0xffff, v8
	v_cmp_ne_u16_sdwa s[4:5], v8, v3 src0_sel:BYTE_0 src1_sel:DWORD
	s_and_saveexec_b64 s[16:17], s[4:5]
	s_cbranch_execz .LBB309_327
; %bb.322:                              ;   in Loop: Header=BB309_9 Depth=1
	v_cmp_ne_u16_sdwa s[4:5], v7, s41 src0_sel:BYTE_0 src1_sel:DWORD
	v_bfrev_b32_e32 v32, 1
	s_and_saveexec_b64 s[34:35], s[4:5]
	s_cbranch_execz .LBB309_326
; %bb.323:                              ;   in Loop: Header=BB309_9 Depth=1
	v_and_b32_e32 v8, 0x7f, v7
	v_cmp_ne_u32_e64 s[4:5], s42, v8
	v_mov_b32_e32 v32, 0x7f800001
	s_and_saveexec_b64 s[36:37], s[4:5]
	s_cbranch_execz .LBB309_325
; %bb.324:                              ;   in Loop: Header=BB309_9 Depth=1
	v_and_b32_e32 v34, 7, v7
	v_lshrrev_b32_e32 v35, 3, v8
	v_cmp_gt_u32_e64 s[4:5], 8, v8
	v_ffbh_u32_e32 v8, v34
	v_min_u32_e32 v8, 32, v8
	v_subrev_u32_e32 v32, 28, v8
	v_lshlrev_b64 v[32:33], v32, v[7:8]
	v_sub_u32_e32 v8, 29, v8
	v_and_b32_e32 v32, 7, v32
	v_cndmask_b32_e64 v8, v35, v8, s[4:5]
	v_cndmask_b32_e64 v32, v34, v32, s[4:5]
	v_lshlrev_b32_e32 v33, 24, v7
	v_bfrev_b32_e32 v3, 60
	v_lshlrev_b32_e32 v32, 20, v32
	v_and_b32_e32 v33, 0x80000000, v33
	v_lshl_add_u32 v8, v8, 23, v3
	v_or3_b32 v32, v33, v8, v32
.LBB309_325:                            ;   in Loop: Header=BB309_9 Depth=1
	s_or_b64 exec, exec, s[36:37]
.LBB309_326:                            ;   in Loop: Header=BB309_9 Depth=1
	s_or_b64 exec, exec, s[34:35]
.LBB309_327:                            ;   in Loop: Header=BB309_9 Depth=1
	s_or_b64 exec, exec, s[16:17]
	v_lshrrev_b16_e32 v8, 8, v7
	v_cmp_ne_u16_e64 s[4:5], 0, v8
	v_mov_b32_e32 v33, 0
	v_mov_b32_e32 v3, 0
	s_and_saveexec_b64 s[16:17], s[4:5]
	s_cbranch_execz .LBB309_333
; %bb.328:                              ;   in Loop: Header=BB309_9 Depth=1
	v_cmp_ne_u16_e64 s[4:5], s41, v8
	v_bfrev_b32_e32 v3, 1
	s_and_saveexec_b64 s[34:35], s[4:5]
	s_cbranch_execz .LBB309_332
; %bb.329:                              ;   in Loop: Header=BB309_9 Depth=1
	v_and_b32_e32 v34, 0x7f, v8
	v_cmp_ne_u32_e64 s[4:5], s42, v34
	v_mov_b32_e32 v3, 0x7f800001
	s_and_saveexec_b64 s[36:37], s[4:5]
	s_cbranch_execz .LBB309_331
; %bb.330:                              ;   in Loop: Header=BB309_9 Depth=1
	v_and_b32_e32 v36, 7, v8
	v_lshrrev_b32_e32 v37, 3, v34
	v_cmp_gt_u32_e64 s[4:5], 8, v34
	v_ffbh_u32_e32 v34, v36
	v_min_u32_e32 v38, 32, v34
	v_subrev_u32_e32 v34, 28, v38
	v_lshlrev_b64 v[34:35], v34, v[8:9]
	v_sub_u32_e32 v8, 29, v38
	v_and_b32_e32 v34, 7, v34
	v_cndmask_b32_e64 v8, v37, v8, s[4:5]
	v_cndmask_b32_e64 v34, v36, v34, s[4:5]
	v_lshlrev_b32_e32 v7, 16, v7
	v_bfrev_b32_e32 v3, 60
	v_lshlrev_b32_e32 v34, 20, v34
	v_and_b32_e32 v7, 0x80000000, v7
	v_lshl_add_u32 v8, v8, 23, v3
	v_or3_b32 v3, v7, v8, v34
.LBB309_331:                            ;   in Loop: Header=BB309_9 Depth=1
	s_or_b64 exec, exec, s[36:37]
.LBB309_332:                            ;   in Loop: Header=BB309_9 Depth=1
	s_or_b64 exec, exec, s[34:35]
.LBB309_333:                            ;   in Loop: Header=BB309_9 Depth=1
	s_or_b64 exec, exec, s[16:17]
	global_load_ushort v8, v[5:6], off offset:3336
	v_mov_b32_e32 v4, 0
	s_waitcnt vmcnt(0)
	v_and_b32_e32 v7, 0xffff, v8
	v_cmp_ne_u16_sdwa s[4:5], v8, v4 src0_sel:BYTE_0 src1_sel:DWORD
	s_and_saveexec_b64 s[16:17], s[4:5]
	s_cbranch_execz .LBB309_339
; %bb.334:                              ;   in Loop: Header=BB309_9 Depth=1
	v_cmp_ne_u16_sdwa s[4:5], v7, s41 src0_sel:BYTE_0 src1_sel:DWORD
	v_bfrev_b32_e32 v33, 1
	s_and_saveexec_b64 s[34:35], s[4:5]
	s_cbranch_execz .LBB309_338
; %bb.335:                              ;   in Loop: Header=BB309_9 Depth=1
	v_and_b32_e32 v8, 0x7f, v7
	v_cmp_ne_u32_e64 s[4:5], s42, v8
	v_mov_b32_e32 v33, 0x7f800001
	s_and_saveexec_b64 s[36:37], s[4:5]
	s_cbranch_execz .LBB309_337
; %bb.336:                              ;   in Loop: Header=BB309_9 Depth=1
	v_and_b32_e32 v35, 7, v7
	v_lshrrev_b32_e32 v36, 3, v8
	v_cmp_gt_u32_e64 s[4:5], 8, v8
	v_ffbh_u32_e32 v8, v35
	v_min_u32_e32 v8, 32, v8
	v_subrev_u32_e32 v33, 28, v8
	v_lshlrev_b64 v[33:34], v33, v[7:8]
	v_sub_u32_e32 v8, 29, v8
	v_and_b32_e32 v33, 7, v33
	v_cndmask_b32_e64 v8, v36, v8, s[4:5]
	v_cndmask_b32_e64 v33, v35, v33, s[4:5]
	v_lshlrev_b32_e32 v34, 24, v7
	v_bfrev_b32_e32 v4, 60
	v_lshlrev_b32_e32 v33, 20, v33
	v_and_b32_e32 v34, 0x80000000, v34
	v_lshl_add_u32 v8, v8, 23, v4
	v_or3_b32 v33, v34, v8, v33
.LBB309_337:                            ;   in Loop: Header=BB309_9 Depth=1
	s_or_b64 exec, exec, s[36:37]
.LBB309_338:                            ;   in Loop: Header=BB309_9 Depth=1
	s_or_b64 exec, exec, s[34:35]
.LBB309_339:                            ;   in Loop: Header=BB309_9 Depth=1
	s_or_b64 exec, exec, s[16:17]
	v_lshrrev_b16_e32 v8, 8, v7
	v_cmp_ne_u16_e64 s[4:5], 0, v8
	v_mov_b32_e32 v36, 0
	v_mov_b32_e32 v37, 0
	s_and_saveexec_b64 s[16:17], s[4:5]
	s_cbranch_execz .LBB309_345
; %bb.340:                              ;   in Loop: Header=BB309_9 Depth=1
	v_cmp_ne_u16_e64 s[4:5], s41, v8
	v_bfrev_b32_e32 v37, 1
	s_and_saveexec_b64 s[34:35], s[4:5]
	s_cbranch_execz .LBB309_344
; %bb.341:                              ;   in Loop: Header=BB309_9 Depth=1
	v_and_b32_e32 v34, 0x7f, v8
	v_cmp_ne_u32_e64 s[4:5], s42, v34
	v_mov_b32_e32 v37, 0x7f800001
	s_and_saveexec_b64 s[36:37], s[4:5]
	s_cbranch_execz .LBB309_343
; %bb.342:                              ;   in Loop: Header=BB309_9 Depth=1
	v_and_b32_e32 v37, 7, v8
	v_lshrrev_b32_e32 v38, 3, v34
	v_cmp_gt_u32_e64 s[4:5], 8, v34
	v_ffbh_u32_e32 v34, v37
	v_min_u32_e32 v39, 32, v34
	v_subrev_u32_e32 v34, 28, v39
	v_lshlrev_b64 v[34:35], v34, v[8:9]
	v_sub_u32_e32 v8, 29, v39
	v_and_b32_e32 v34, 7, v34
	v_cndmask_b32_e64 v8, v38, v8, s[4:5]
	v_cndmask_b32_e64 v34, v37, v34, s[4:5]
	v_lshlrev_b32_e32 v7, 16, v7
	v_bfrev_b32_e32 v4, 60
	v_lshlrev_b32_e32 v34, 20, v34
	v_and_b32_e32 v7, 0x80000000, v7
	v_lshl_add_u32 v8, v8, 23, v4
	v_or3_b32 v37, v7, v8, v34
.LBB309_343:                            ;   in Loop: Header=BB309_9 Depth=1
	s_or_b64 exec, exec, s[36:37]
.LBB309_344:                            ;   in Loop: Header=BB309_9 Depth=1
	s_or_b64 exec, exec, s[34:35]
.LBB309_345:                            ;   in Loop: Header=BB309_9 Depth=1
	s_or_b64 exec, exec, s[16:17]
	global_load_ushort v8, v[5:6], off offset:3584
	v_mov_b32_e32 v4, 0
	s_waitcnt vmcnt(0)
	v_and_b32_e32 v7, 0xffff, v8
	v_cmp_ne_u16_sdwa s[4:5], v8, v4 src0_sel:BYTE_0 src1_sel:DWORD
	s_and_saveexec_b64 s[16:17], s[4:5]
	s_cbranch_execz .LBB309_351
; %bb.346:                              ;   in Loop: Header=BB309_9 Depth=1
	v_cmp_ne_u16_sdwa s[4:5], v7, s41 src0_sel:BYTE_0 src1_sel:DWORD
	v_bfrev_b32_e32 v36, 1
	s_and_saveexec_b64 s[34:35], s[4:5]
	s_cbranch_execz .LBB309_350
; %bb.347:                              ;   in Loop: Header=BB309_9 Depth=1
	v_and_b32_e32 v8, 0x7f, v7
	v_cmp_ne_u32_e64 s[4:5], s42, v8
	v_mov_b32_e32 v36, 0x7f800001
	s_and_saveexec_b64 s[36:37], s[4:5]
	s_cbranch_execz .LBB309_349
; %bb.348:                              ;   in Loop: Header=BB309_9 Depth=1
	v_and_b32_e32 v36, 7, v7
	v_lshrrev_b32_e32 v38, 3, v8
	v_cmp_gt_u32_e64 s[4:5], 8, v8
	v_ffbh_u32_e32 v8, v36
	v_min_u32_e32 v8, 32, v8
	v_subrev_u32_e32 v34, 28, v8
	v_lshlrev_b64 v[34:35], v34, v[7:8]
	v_sub_u32_e32 v8, 29, v8
	v_and_b32_e32 v34, 7, v34
	v_cndmask_b32_e64 v8, v38, v8, s[4:5]
	v_cndmask_b32_e64 v34, v36, v34, s[4:5]
	v_lshlrev_b32_e32 v35, 24, v7
	v_bfrev_b32_e32 v4, 60
	v_lshlrev_b32_e32 v34, 20, v34
	v_and_b32_e32 v35, 0x80000000, v35
	v_lshl_add_u32 v8, v8, 23, v4
	v_or3_b32 v36, v35, v8, v34
.LBB309_349:                            ;   in Loop: Header=BB309_9 Depth=1
	s_or_b64 exec, exec, s[36:37]
.LBB309_350:                            ;   in Loop: Header=BB309_9 Depth=1
	s_or_b64 exec, exec, s[34:35]
.LBB309_351:                            ;   in Loop: Header=BB309_9 Depth=1
	s_or_b64 exec, exec, s[16:17]
	v_lshrrev_b16_e32 v8, 8, v7
	v_cmp_ne_u16_e64 s[4:5], 0, v8
	v_mov_b32_e32 v34, 0
	v_mov_b32_e32 v35, 0
	s_and_saveexec_b64 s[16:17], s[4:5]
	s_cbranch_execz .LBB309_357
; %bb.352:                              ;   in Loop: Header=BB309_9 Depth=1
	v_cmp_ne_u16_e64 s[4:5], s41, v8
	v_bfrev_b32_e32 v35, 1
	s_and_saveexec_b64 s[34:35], s[4:5]
	s_cbranch_execz .LBB309_356
; %bb.353:                              ;   in Loop: Header=BB309_9 Depth=1
	v_and_b32_e32 v38, 0x7f, v8
	v_cmp_ne_u32_e64 s[4:5], s42, v38
	v_mov_b32_e32 v35, 0x7f800001
	s_and_saveexec_b64 s[36:37], s[4:5]
	s_cbranch_execz .LBB309_355
; %bb.354:                              ;   in Loop: Header=BB309_9 Depth=1
	v_and_b32_e32 v35, 7, v8
	v_lshrrev_b32_e32 v40, 3, v38
	v_cmp_gt_u32_e64 s[4:5], 8, v38
	v_ffbh_u32_e32 v38, v35
	v_min_u32_e32 v41, 32, v38
	v_subrev_u32_e32 v38, 28, v41
	v_lshlrev_b64 v[38:39], v38, v[8:9]
	v_sub_u32_e32 v8, 29, v41
	v_and_b32_e32 v38, 7, v38
	v_cndmask_b32_e64 v8, v40, v8, s[4:5]
	v_cndmask_b32_e64 v35, v35, v38, s[4:5]
	v_lshlrev_b32_e32 v7, 16, v7
	v_bfrev_b32_e32 v4, 60
	v_lshlrev_b32_e32 v35, 20, v35
	v_and_b32_e32 v7, 0x80000000, v7
	v_lshl_add_u32 v8, v8, 23, v4
	v_or3_b32 v35, v7, v8, v35
.LBB309_355:                            ;   in Loop: Header=BB309_9 Depth=1
	s_or_b64 exec, exec, s[36:37]
.LBB309_356:                            ;   in Loop: Header=BB309_9 Depth=1
	s_or_b64 exec, exec, s[34:35]
.LBB309_357:                            ;   in Loop: Header=BB309_9 Depth=1
	s_or_b64 exec, exec, s[16:17]
	global_load_ushort v8, v[5:6], off offset:3592
	v_mov_b32_e32 v4, 0
	s_waitcnt vmcnt(0)
	v_and_b32_e32 v7, 0xffff, v8
	v_cmp_ne_u16_sdwa s[4:5], v8, v4 src0_sel:BYTE_0 src1_sel:DWORD
	s_and_saveexec_b64 s[16:17], s[4:5]
	s_cbranch_execz .LBB309_363
; %bb.358:                              ;   in Loop: Header=BB309_9 Depth=1
	v_cmp_ne_u16_sdwa s[4:5], v7, s41 src0_sel:BYTE_0 src1_sel:DWORD
	v_bfrev_b32_e32 v34, 1
	s_and_saveexec_b64 s[34:35], s[4:5]
	s_cbranch_execz .LBB309_362
; %bb.359:                              ;   in Loop: Header=BB309_9 Depth=1
	v_and_b32_e32 v8, 0x7f, v7
	v_cmp_ne_u32_e64 s[4:5], s42, v8
	v_mov_b32_e32 v34, 0x7f800001
	s_and_saveexec_b64 s[36:37], s[4:5]
	s_cbranch_execz .LBB309_361
; %bb.360:                              ;   in Loop: Header=BB309_9 Depth=1
	v_and_b32_e32 v34, 7, v7
	v_lshrrev_b32_e32 v40, 3, v8
	v_cmp_gt_u32_e64 s[4:5], 8, v8
	v_ffbh_u32_e32 v8, v34
	v_min_u32_e32 v8, 32, v8
	v_subrev_u32_e32 v38, 28, v8
	v_lshlrev_b64 v[38:39], v38, v[7:8]
	v_sub_u32_e32 v8, 29, v8
	v_and_b32_e32 v38, 7, v38
	v_cndmask_b32_e64 v8, v40, v8, s[4:5]
	v_cndmask_b32_e64 v34, v34, v38, s[4:5]
	v_lshlrev_b32_e32 v38, 24, v7
	v_bfrev_b32_e32 v4, 60
	v_lshlrev_b32_e32 v34, 20, v34
	v_and_b32_e32 v38, 0x80000000, v38
	v_lshl_add_u32 v8, v8, 23, v4
	v_or3_b32 v34, v38, v8, v34
.LBB309_361:                            ;   in Loop: Header=BB309_9 Depth=1
	s_or_b64 exec, exec, s[36:37]
.LBB309_362:                            ;   in Loop: Header=BB309_9 Depth=1
	s_or_b64 exec, exec, s[34:35]
.LBB309_363:                            ;   in Loop: Header=BB309_9 Depth=1
	s_or_b64 exec, exec, s[16:17]
	v_lshrrev_b16_e32 v8, 8, v7
	v_cmp_ne_u16_e64 s[4:5], 0, v8
	v_mov_b32_e32 v40, 0
	v_mov_b32_e32 v39, 0
	s_and_saveexec_b64 s[16:17], s[4:5]
	s_cbranch_execz .LBB309_369
; %bb.364:                              ;   in Loop: Header=BB309_9 Depth=1
	v_cmp_ne_u16_e64 s[4:5], s41, v8
	v_bfrev_b32_e32 v39, 1
	s_and_saveexec_b64 s[34:35], s[4:5]
	s_cbranch_execz .LBB309_368
; %bb.365:                              ;   in Loop: Header=BB309_9 Depth=1
	v_and_b32_e32 v38, 0x7f, v8
	v_cmp_ne_u32_e64 s[4:5], s42, v38
	v_mov_b32_e32 v39, 0x7f800001
	s_and_saveexec_b64 s[36:37], s[4:5]
	s_cbranch_execz .LBB309_367
; %bb.366:                              ;   in Loop: Header=BB309_9 Depth=1
	v_and_b32_e32 v41, 7, v8
	v_lshrrev_b32_e32 v42, 3, v38
	v_cmp_gt_u32_e64 s[4:5], 8, v38
	v_ffbh_u32_e32 v38, v41
	v_min_u32_e32 v44, 32, v38
	v_subrev_u32_e32 v38, 28, v44
	v_lshlrev_b64 v[38:39], v38, v[8:9]
	v_sub_u32_e32 v8, 29, v44
	v_and_b32_e32 v38, 7, v38
	v_cndmask_b32_e64 v8, v42, v8, s[4:5]
	v_cndmask_b32_e64 v38, v41, v38, s[4:5]
	v_lshlrev_b32_e32 v7, 16, v7
	v_bfrev_b32_e32 v4, 60
	v_lshlrev_b32_e32 v38, 20, v38
	v_and_b32_e32 v7, 0x80000000, v7
	v_lshl_add_u32 v8, v8, 23, v4
	v_or3_b32 v39, v7, v8, v38
.LBB309_367:                            ;   in Loop: Header=BB309_9 Depth=1
	s_or_b64 exec, exec, s[36:37]
.LBB309_368:                            ;   in Loop: Header=BB309_9 Depth=1
	s_or_b64 exec, exec, s[34:35]
.LBB309_369:                            ;   in Loop: Header=BB309_9 Depth=1
	s_or_b64 exec, exec, s[16:17]
	global_load_ushort v8, v[5:6], off offset:3840
	v_mov_b32_e32 v4, 0
	s_waitcnt vmcnt(0)
	v_and_b32_e32 v7, 0xffff, v8
	v_cmp_ne_u16_sdwa s[4:5], v8, v4 src0_sel:BYTE_0 src1_sel:DWORD
	s_and_saveexec_b64 s[16:17], s[4:5]
	s_cbranch_execz .LBB309_375
; %bb.370:                              ;   in Loop: Header=BB309_9 Depth=1
	v_cmp_ne_u16_sdwa s[4:5], v7, s41 src0_sel:BYTE_0 src1_sel:DWORD
	v_bfrev_b32_e32 v40, 1
	s_and_saveexec_b64 s[34:35], s[4:5]
	s_cbranch_execz .LBB309_374
; %bb.371:                              ;   in Loop: Header=BB309_9 Depth=1
	v_and_b32_e32 v8, 0x7f, v7
	v_cmp_ne_u32_e64 s[4:5], s42, v8
	v_mov_b32_e32 v40, 0x7f800001
	s_and_saveexec_b64 s[36:37], s[4:5]
	s_cbranch_execz .LBB309_373
; %bb.372:                              ;   in Loop: Header=BB309_9 Depth=1
	v_and_b32_e32 v38, 7, v7
	v_lshrrev_b32_e32 v42, 3, v8
	v_cmp_gt_u32_e64 s[4:5], 8, v8
	v_ffbh_u32_e32 v8, v38
	v_min_u32_e32 v8, 32, v8
	v_subrev_u32_e32 v40, 28, v8
	v_lshlrev_b64 v[40:41], v40, v[7:8]
	v_sub_u32_e32 v8, 29, v8
	v_and_b32_e32 v40, 7, v40
	v_cndmask_b32_e64 v8, v42, v8, s[4:5]
	v_cndmask_b32_e64 v38, v38, v40, s[4:5]
	v_lshlrev_b32_e32 v40, 24, v7
	v_bfrev_b32_e32 v4, 60
	v_lshlrev_b32_e32 v38, 20, v38
	v_and_b32_e32 v40, 0x80000000, v40
	v_lshl_add_u32 v8, v8, 23, v4
	v_or3_b32 v40, v40, v8, v38
.LBB309_373:                            ;   in Loop: Header=BB309_9 Depth=1
	s_or_b64 exec, exec, s[36:37]
.LBB309_374:                            ;   in Loop: Header=BB309_9 Depth=1
	s_or_b64 exec, exec, s[34:35]
.LBB309_375:                            ;   in Loop: Header=BB309_9 Depth=1
	s_or_b64 exec, exec, s[16:17]
	v_lshrrev_b16_e32 v8, 8, v7
	v_cmp_ne_u16_e64 s[4:5], 0, v8
	v_mov_b32_e32 v42, 0
	v_mov_b32_e32 v41, 0
	s_and_saveexec_b64 s[16:17], s[4:5]
	s_cbranch_execz .LBB309_381
; %bb.376:                              ;   in Loop: Header=BB309_9 Depth=1
	v_cmp_ne_u16_e64 s[4:5], s41, v8
	v_bfrev_b32_e32 v41, 1
	s_and_saveexec_b64 s[34:35], s[4:5]
	s_cbranch_execz .LBB309_380
; %bb.377:                              ;   in Loop: Header=BB309_9 Depth=1
	v_and_b32_e32 v38, 0x7f, v8
	v_cmp_ne_u32_e64 s[4:5], s42, v38
	v_mov_b32_e32 v41, 0x7f800001
	s_and_saveexec_b64 s[36:37], s[4:5]
	s_cbranch_execz .LBB309_379
; %bb.378:                              ;   in Loop: Header=BB309_9 Depth=1
	v_and_b32_e32 v41, 7, v8
	v_mov_b32_e32 v63, v61
	v_mov_b32_e32 v61, v59
	;; [unrolled: 1-line block ×10, first 2 shown]
	v_lshrrev_b32_e32 v31, 3, v38
	v_cmp_gt_u32_e64 s[4:5], 8, v38
	v_ffbh_u32_e32 v38, v41
	v_mov_b32_e32 v44, v56
	v_min_u32_e32 v38, 32, v38
	buffer_store_dword v23, off, s[44:47], 0 offset:48 ; 4-byte Folded Spill
	v_mov_b32_e32 v23, v2
	v_mov_b32_e32 v2, v1
	;; [unrolled: 1-line block ×31, first 2 shown]
	v_subrev_u32_e32 v44, 28, v38
	buffer_load_dword v29, off, s[44:47], 0 offset:4 ; 4-byte Folded Reload
	v_mov_b32_e32 v56, v45
	v_lshlrev_b64 v[44:45], v44, v[8:9]
	s_waitcnt vmcnt(0)
	v_mov_b32_e32 v29, v10
	v_mov_b32_e32 v10, v49
	;; [unrolled: 1-line block ×28, first 2 shown]
	buffer_load_dword v23, off, s[44:47], 0 offset:48 ; 4-byte Folded Reload
	v_sub_u32_e32 v8, 29, v38
	v_and_b32_e32 v38, 7, v44
	v_mov_b32_e32 v45, v4
	v_cndmask_b32_e64 v8, v31, v8, s[4:5]
	v_cndmask_b32_e64 v31, v41, v38, s[4:5]
	v_lshlrev_b32_e32 v7, 16, v7
	v_bfrev_b32_e32 v4, 60
	v_lshlrev_b32_e32 v31, 20, v31
	v_and_b32_e32 v7, 0x80000000, v7
	v_lshl_add_u32 v8, v8, 23, v4
	v_mov_b32_e32 v4, v28
	v_or3_b32 v41, v7, v8, v31
	v_mov_b32_e32 v31, v30
	v_mov_b32_e32 v30, v47
	;; [unrolled: 1-line block ×14, first 2 shown]
.LBB309_379:                            ;   in Loop: Header=BB309_9 Depth=1
	s_or_b64 exec, exec, s[36:37]
.LBB309_380:                            ;   in Loop: Header=BB309_9 Depth=1
	s_or_b64 exec, exec, s[34:35]
.LBB309_381:                            ;   in Loop: Header=BB309_9 Depth=1
	s_or_b64 exec, exec, s[16:17]
	global_load_ushort v6, v[5:6], off offset:3848
	v_mov_b32_e32 v4, 0
	s_waitcnt vmcnt(0)
	v_and_b32_e32 v5, 0xffff, v6
	v_cmp_ne_u16_sdwa s[4:5], v6, v4 src0_sel:BYTE_0 src1_sel:DWORD
	s_and_saveexec_b64 s[16:17], s[4:5]
	s_cbranch_execz .LBB309_387
; %bb.382:                              ;   in Loop: Header=BB309_9 Depth=1
	v_cmp_ne_u16_sdwa s[4:5], v5, s41 src0_sel:BYTE_0 src1_sel:DWORD
	v_bfrev_b32_e32 v42, 1
	s_and_saveexec_b64 s[34:35], s[4:5]
	s_cbranch_execz .LBB309_386
; %bb.383:                              ;   in Loop: Header=BB309_9 Depth=1
	v_and_b32_e32 v6, 0x7f, v5
	v_cmp_ne_u32_e64 s[4:5], s42, v6
	v_mov_b32_e32 v42, 0x7f800001
	s_and_saveexec_b64 s[36:37], s[4:5]
	s_cbranch_execz .LBB309_385
; %bb.384:                              ;   in Loop: Header=BB309_9 Depth=1
	v_and_b32_e32 v8, 7, v5
	v_mov_b32_e32 v4, v31
	v_lshrrev_b32_e32 v31, 3, v6
	v_cmp_gt_u32_e64 s[4:5], 8, v6
	v_ffbh_u32_e32 v6, v8
	v_min_u32_e32 v38, 32, v6
	v_subrev_u32_e32 v6, 28, v38
	v_lshlrev_b64 v[6:7], v6, v[5:6]
	v_sub_u32_e32 v7, 29, v38
	v_and_b32_e32 v6, 7, v6
	v_cndmask_b32_e64 v7, v31, v7, s[4:5]
	v_mov_b32_e32 v31, v4
	v_cndmask_b32_e64 v6, v8, v6, s[4:5]
	v_lshlrev_b32_e32 v8, 24, v5
	v_bfrev_b32_e32 v4, 60
	v_lshlrev_b32_e32 v6, 20, v6
	v_and_b32_e32 v8, 0x80000000, v8
	v_lshl_add_u32 v7, v7, 23, v4
	v_or3_b32 v42, v8, v7, v6
.LBB309_385:                            ;   in Loop: Header=BB309_9 Depth=1
	s_or_b64 exec, exec, s[36:37]
.LBB309_386:                            ;   in Loop: Header=BB309_9 Depth=1
	s_or_b64 exec, exec, s[34:35]
.LBB309_387:                            ;   in Loop: Header=BB309_9 Depth=1
	s_or_b64 exec, exec, s[16:17]
	v_lshrrev_b16_e32 v6, 8, v5
	v_mov_b32_e32 v44, v49
	buffer_store_dword v43, off, s[44:47], 0 offset:52 ; 4-byte Folded Spill
	buffer_store_dword v31, off, s[44:47], 0 offset:48 ; 4-byte Folded Spill
	v_cmp_ne_u16_e64 s[4:5], 0, v6
	v_mov_b32_e32 v43, 0
	s_and_saveexec_b64 s[16:17], s[4:5]
	s_cbranch_execz .LBB309_393
; %bb.388:                              ;   in Loop: Header=BB309_9 Depth=1
	v_cmp_ne_u16_e64 s[4:5], s41, v6
	v_bfrev_b32_e32 v43, 1
	s_and_saveexec_b64 s[34:35], s[4:5]
	s_cbranch_execz .LBB309_392
; %bb.389:                              ;   in Loop: Header=BB309_9 Depth=1
	v_and_b32_e32 v7, 0x7f, v6
	v_cmp_ne_u32_e64 s[4:5], s42, v7
	v_mov_b32_e32 v43, 0x7f800001
	s_and_saveexec_b64 s[36:37], s[4:5]
	s_cbranch_execz .LBB309_391
; %bb.390:                              ;   in Loop: Header=BB309_9 Depth=1
	v_and_b32_e32 v8, 7, v6
	v_lshrrev_b32_e32 v31, 3, v7
	v_cmp_gt_u32_e64 s[4:5], 8, v7
	v_ffbh_u32_e32 v7, v8
	v_min_u32_e32 v38, 32, v7
	v_subrev_u32_e32 v7, 28, v38
	v_lshlrev_b64 v[6:7], v7, v[6:7]
	v_sub_u32_e32 v7, 29, v38
	v_and_b32_e32 v6, 7, v6
	v_cndmask_b32_e64 v7, v31, v7, s[4:5]
	v_cndmask_b32_e64 v6, v8, v6, s[4:5]
	v_lshlrev_b32_e32 v5, 16, v5
	v_bfrev_b32_e32 v4, 60
	v_lshlrev_b32_e32 v6, 20, v6
	v_and_b32_e32 v5, 0x80000000, v5
	v_lshl_add_u32 v7, v7, 23, v4
	v_or3_b32 v43, v5, v7, v6
.LBB309_391:                            ;   in Loop: Header=BB309_9 Depth=1
	s_or_b64 exec, exec, s[36:37]
.LBB309_392:                            ;   in Loop: Header=BB309_9 Depth=1
	s_or_b64 exec, exec, s[34:35]
.LBB309_393:                            ;   in Loop: Header=BB309_9 Depth=1
	s_or_b64 exec, exec, s[16:17]
	s_waitcnt lgkmcnt(0)
	v_mul_f32_e32 v5, s40, v42
	v_bfe_u32 v6, v5, 16, 1
	v_add3_u32 v6, v6, v5, s43
	v_or_b32_e32 v7, 0x400000, v5
	v_cmp_u_f32_e64 s[4:5], v5, v5
	v_cndmask_b32_e64 v4, v6, v7, s[4:5]
	v_mul_f32_e32 v6, s40, v41
	v_bfe_u32 v7, v6, 16, 1
	v_add3_u32 v7, v7, v6, s43
	v_or_b32_e32 v8, 0x400000, v6
	v_cmp_u_f32_e64 s[4:5], v6, v6
	buffer_store_dword v4, off, s[44:47], 0 offset:60 ; 4-byte Folded Spill
	v_cndmask_b32_e64 v4, v7, v8, s[4:5]
	v_mul_f32_e32 v7, s40, v40
	v_bfe_u32 v8, v7, 16, 1
	v_add3_u32 v8, v8, v7, s43
	v_or_b32_e32 v31, 0x400000, v7
	v_cmp_u_f32_e64 s[4:5], v7, v7
	v_cndmask_b32_e64 v7, v8, v31, s[4:5]
	v_mul_f32_e32 v8, s40, v39
	v_bfe_u32 v31, v8, 16, 1
	v_add3_u32 v31, v31, v8, s43
	v_or_b32_e32 v39, 0x400000, v8
	v_cmp_u_f32_e64 s[4:5], v8, v8
	;; [unrolled: 6-line block ×3, first 2 shown]
	v_mul_f32_e32 v31, s40, v35
	v_bfe_u32 v35, v31, 16, 1
	v_cndmask_b32_e64 v34, v34, v39, s[4:5]
	v_add3_u32 v35, v35, v31, s43
	v_or_b32_e32 v39, 0x400000, v31
	v_cmp_u_f32_e64 s[4:5], v31, v31
	v_mul_f32_e32 v31, s40, v36
	v_bfe_u32 v36, v31, 16, 1
	v_cndmask_b32_e64 v35, v35, v39, s[4:5]
	v_add3_u32 v36, v36, v31, s43
	v_or_b32_e32 v39, 0x400000, v31
	v_cmp_u_f32_e64 s[4:5], v31, v31
	;; [unrolled: 6-line block ×4, first 2 shown]
	v_mul_f32_e32 v31, s40, v3
	v_cndmask_b32_e64 v33, v33, v39, s[4:5]
	v_bfe_u32 v39, v31, 16, 1
	v_add3_u32 v39, v39, v31, s43
	v_or_b32_e32 v40, 0x400000, v31
	v_cmp_u_f32_e64 s[4:5], v31, v31
	v_mul_f32_e32 v31, s40, v32
	v_bfe_u32 v32, v31, 16, 1
	v_mul_f32_e32 v23, s40, v23
	v_cndmask_b32_e64 v6, v39, v40, s[4:5]
	v_add3_u32 v32, v32, v31, s43
	v_or_b32_e32 v39, 0x400000, v31
	v_cmp_u_f32_e64 s[4:5], v31, v31
	v_bfe_u32 v31, v23, 16, 1
	v_cndmask_b32_e64 v32, v32, v39, s[4:5]
	v_add3_u32 v31, v31, v23, s43
	v_or_b32_e32 v39, 0x400000, v23
	v_cmp_u_f32_e64 s[4:5], v23, v23
	v_mul_f32_e32 v2, s40, v2
	v_cndmask_b32_e64 v23, v31, v39, s[4:5]
	v_bfe_u32 v31, v2, 16, 1
	v_add3_u32 v31, v31, v2, s43
	v_or_b32_e32 v39, 0x400000, v2
	v_cmp_u_f32_e64 s[4:5], v2, v2
	v_mul_f32_e32 v1, s40, v1
	v_cndmask_b32_e64 v5, v31, v39, s[4:5]
	v_bfe_u32 v31, v1, 16, 1
	;; [unrolled: 6-line block ×15, first 2 shown]
	v_add3_u32 v31, v31, v0, s43
	v_or_b32_e32 v39, 0x400000, v0
	v_cmp_u_f32_e64 s[4:5], v0, v0
	buffer_load_dword v0, off, s[44:47], 0 offset:56 ; 4-byte Folded Reload
	v_mul_f32_e32 v11, s40, v11
	v_cndmask_b32_e64 v1, v31, v39, s[4:5]
	v_bfe_u32 v31, v11, 16, 1
	v_add3_u32 v31, v31, v11, s43
	v_or_b32_e32 v39, 0x400000, v11
	v_cmp_u_f32_e64 s[4:5], v11, v11
	v_mul_f32_e32 v26, s40, v26
	v_cndmask_b32_e64 v11, v31, v39, s[4:5]
	v_bfe_u32 v31, v26, 16, 1
	v_add3_u32 v31, v31, v26, s43
	v_or_b32_e32 v39, 0x400000, v26
	v_cmp_u_f32_e64 s[4:5], v26, v26
	;; [unrolled: 6-line block ×3, first 2 shown]
	v_cndmask_b32_e64 v9, v31, v39, s[4:5]
	v_mul_f32_e32 v31, s40, v62
	v_bfe_u32 v39, v31, 16, 1
	v_add3_u32 v39, v39, v31, s43
	v_or_b32_e32 v40, 0x400000, v31
	v_cmp_u_f32_e64 s[4:5], v31, v31
	v_mul_f32_e32 v31, s40, v61
	v_cndmask_b32_e64 v63, v39, v40, s[4:5]
	v_bfe_u32 v39, v31, 16, 1
	v_add3_u32 v39, v39, v31, s43
	v_or_b32_e32 v40, 0x400000, v31
	v_cmp_u_f32_e64 s[4:5], v31, v31
	v_mul_f32_e32 v31, s40, v60
	v_cndmask_b32_e64 v62, v39, v40, s[4:5]
	v_bfe_u32 v39, v31, 16, 1
	v_add3_u32 v39, v39, v31, s43
	v_or_b32_e32 v40, 0x400000, v31
	v_cmp_u_f32_e64 s[4:5], v31, v31
	v_mul_f32_e32 v31, s40, v59
	v_cndmask_b32_e64 v61, v39, v40, s[4:5]
	v_bfe_u32 v39, v31, 16, 1
	v_add3_u32 v39, v39, v31, s43
	v_or_b32_e32 v40, 0x400000, v31
	v_cmp_u_f32_e64 s[4:5], v31, v31
	v_mul_f32_e32 v31, s40, v58
	v_cndmask_b32_e64 v60, v39, v40, s[4:5]
	v_bfe_u32 v39, v31, 16, 1
	v_add3_u32 v39, v39, v31, s43
	v_or_b32_e32 v40, 0x400000, v31
	v_cmp_u_f32_e64 s[4:5], v31, v31
	v_mul_f32_e32 v31, s40, v57
	v_cndmask_b32_e64 v59, v39, v40, s[4:5]
	v_bfe_u32 v39, v31, 16, 1
	v_add3_u32 v39, v39, v31, s43
	v_or_b32_e32 v40, 0x400000, v31
	v_cmp_u_f32_e64 s[4:5], v31, v31
	v_mul_f32_e32 v31, s40, v55
	v_cndmask_b32_e64 v58, v39, v40, s[4:5]
	v_bfe_u32 v39, v31, 16, 1
	v_add3_u32 v39, v39, v31, s43
	v_or_b32_e32 v40, 0x400000, v31
	v_cmp_u_f32_e64 s[4:5], v31, v31
	v_mul_f32_e32 v31, s40, v50
	v_cndmask_b32_e64 v57, v39, v40, s[4:5]
	v_bfe_u32 v39, v31, 16, 1
	v_add3_u32 v39, v39, v31, s43
	v_or_b32_e32 v40, 0x400000, v31
	v_cmp_u_f32_e64 s[4:5], v31, v31
	v_mul_f32_e32 v31, s40, v54
	v_cndmask_b32_e64 v39, v39, v40, s[4:5]
	v_bfe_u32 v40, v31, 16, 1
	v_add3_u32 v40, v40, v31, s43
	v_or_b32_e32 v41, 0x400000, v31
	v_cmp_u_f32_e64 s[4:5], v31, v31
	v_mul_f32_e32 v31, s40, v53
	v_cndmask_b32_e64 v40, v40, v41, s[4:5]
	v_bfe_u32 v41, v31, 16, 1
	v_add3_u32 v41, v41, v31, s43
	v_or_b32_e32 v42, 0x400000, v31
	v_cmp_u_f32_e64 s[4:5], v31, v31
	v_mul_f32_e32 v31, s40, v52
	v_cndmask_b32_e64 v54, v41, v42, s[4:5]
	v_bfe_u32 v41, v31, 16, 1
	v_add3_u32 v41, v41, v31, s43
	v_or_b32_e32 v42, 0x400000, v31
	v_cmp_u_f32_e64 s[4:5], v31, v31
	v_mul_f32_e32 v31, s40, v51
	v_cndmask_b32_e64 v53, v41, v42, s[4:5]
	v_bfe_u32 v41, v31, 16, 1
	v_add3_u32 v41, v41, v31, s43
	v_or_b32_e32 v42, 0x400000, v31
	v_cmp_u_f32_e64 s[4:5], v31, v31
	v_mul_f32_e32 v31, s40, v46
	v_cndmask_b32_e64 v52, v41, v42, s[4:5]
	v_bfe_u32 v41, v31, 16, 1
	v_add3_u32 v41, v41, v31, s43
	v_or_b32_e32 v42, 0x400000, v31
	v_cmp_u_f32_e64 s[4:5], v31, v31
	v_mul_f32_e32 v31, s40, v47
	v_cndmask_b32_e64 v51, v41, v42, s[4:5]
	v_bfe_u32 v41, v31, 16, 1
	v_add3_u32 v41, v41, v31, s43
	v_or_b32_e32 v42, 0x400000, v31
	v_cmp_u_f32_e64 s[4:5], v31, v31
	v_mul_f32_e32 v31, s40, v48
	v_cndmask_b32_e64 v50, v41, v42, s[4:5]
	v_bfe_u32 v41, v31, 16, 1
	v_add3_u32 v41, v41, v31, s43
	v_or_b32_e32 v42, 0x400000, v31
	v_cmp_u_f32_e64 s[4:5], v31, v31
	v_mul_f32_e32 v31, s40, v44
	v_cndmask_b32_e64 v49, v41, v42, s[4:5]
	v_bfe_u32 v41, v31, 16, 1
	v_add3_u32 v41, v41, v31, s43
	v_or_b32_e32 v42, 0x400000, v31
	v_cmp_u_f32_e64 s[4:5], v31, v31
	v_mul_f32_e32 v31, s40, v45
	v_cndmask_b32_e64 v48, v41, v42, s[4:5]
	v_bfe_u32 v41, v31, 16, 1
	v_mul_f32_e32 v10, s40, v10
	v_add3_u32 v41, v41, v31, s43
	v_or_b32_e32 v42, 0x400000, v31
	v_cmp_u_f32_e64 s[4:5], v31, v31
	v_bfe_u32 v31, v10, 16, 1
	v_cndmask_b32_e64 v47, v41, v42, s[4:5]
	v_add3_u32 v31, v31, v10, s43
	v_or_b32_e32 v41, 0x400000, v10
	v_cmp_u_f32_e64 s[4:5], v10, v10
	s_waitcnt vmcnt(0)
	v_mul_f32_e32 v10, s40, v0
	buffer_load_dword v0, off, s[44:47], 0 offset:24 ; 4-byte Folded Reload
	v_cndmask_b32_e64 v55, v31, v41, s[4:5]
	v_bfe_u32 v31, v10, 16, 1
	v_add3_u32 v31, v31, v10, s43
	v_or_b32_e32 v41, 0x400000, v10
	v_cmp_u_f32_e64 s[4:5], v10, v10
	v_mul_f32_e32 v10, s40, v28
	v_cndmask_b32_e64 v46, v31, v41, s[4:5]
	v_bfe_u32 v31, v10, 16, 1
	v_add3_u32 v31, v31, v10, s43
	v_or_b32_e32 v41, 0x400000, v10
	v_cmp_u_f32_e64 s[4:5], v10, v10
	v_mul_f32_e32 v10, s40, v30
	v_cndmask_b32_e64 v41, v31, v41, s[4:5]
	v_bfe_u32 v31, v10, 16, 1
	v_add3_u32 v31, v31, v10, s43
	v_or_b32_e32 v42, 0x400000, v10
	v_cmp_u_f32_e64 s[4:5], v10, v10
	v_cndmask_b32_e64 v42, v31, v42, s[4:5]
	buffer_store_dword v4, off, s[44:47], 0 offset:64 ; 4-byte Folded Spill
	s_waitcnt vmcnt(1)
	v_mul_f32_e32 v10, s40, v0
	buffer_load_dword v0, off, s[44:47], 0 offset:52 ; 4-byte Folded Reload
	v_bfe_u32 v31, v10, 16, 1
	v_add3_u32 v31, v31, v10, s43
	v_or_b32_e32 v44, 0x400000, v10
	v_cmp_u_f32_e64 s[4:5], v10, v10
	v_mul_f32_e32 v10, s40, v56
	v_cndmask_b32_e64 v44, v31, v44, s[4:5]
	v_bfe_u32 v31, v10, 16, 1
	v_add3_u32 v31, v31, v10, s43
	v_or_b32_e32 v45, 0x400000, v10
	v_cmp_u_f32_e64 s[4:5], v10, v10
	v_mul_f32_e32 v10, s40, v29
	v_cndmask_b32_e64 v45, v31, v45, s[4:5]
	;; [unrolled: 6-line block ×4, first 2 shown]
	v_bfe_u32 v31, v10, 16, 1
	v_add3_u32 v31, v31, v10, s43
	v_or_b32_e32 v28, 0x400000, v10
	v_cmp_u_f32_e64 s[4:5], v10, v10
	v_cndmask_b32_e64 v28, v31, v28, s[4:5]
	s_waitcnt vmcnt(0)
	v_mul_f32_e32 v10, s40, v0
	buffer_load_dword v0, off, s[44:47], 0 offset:4 ; 4-byte Folded Reload
	v_bfe_u32 v31, v10, 16, 1
	v_add3_u32 v31, v31, v10, s43
	v_or_b32_e32 v27, 0x400000, v10
	v_cmp_u_f32_e64 s[4:5], v10, v10
	v_cndmask_b32_e64 v27, v31, v27, s[4:5]
	s_waitcnt vmcnt(0)
	v_mul_f32_e32 v10, s40, v0
	buffer_load_dword v0, off, s[44:47], 0 offset:20 ; 4-byte Folded Reload
	;; [unrolled: 8-line block ×4, first 2 shown]
	v_bfe_u32 v10, v4, 16, 1
	v_add3_u32 v10, v10, v4, s43
	v_or_b32_e32 v31, 0x400000, v4
	v_cmp_u_f32_e64 s[4:5], v4, v4
	v_cndmask_b32_e64 v4, v10, v31, s[4:5]
	v_and_b32_e32 v4, 0xffff0000, v4
	s_waitcnt vmcnt(0)
	v_mul_f32_e32 v10, s40, v0
	buffer_load_dword v0, off, s[44:47], 0 offset:8 ; 4-byte Folded Reload
	v_bfe_u32 v31, v10, 16, 1
	v_add3_u32 v31, v31, v10, s43
	v_or_b32_e32 v29, 0x400000, v10
	v_cmp_u_f32_e64 s[4:5], v10, v10
	v_cndmask_b32_e64 v29, v31, v29, s[4:5]
	v_and_b32_e32 v29, 0xffff0000, v29
	s_waitcnt vmcnt(0)
	v_mul_f32_e32 v10, s40, v0
	v_bfe_u32 v31, v10, 16, 1
	v_add3_u32 v31, v31, v10, s43
	v_or_b32_e32 v0, 0x400000, v10
	v_cmp_u_f32_e64 s[4:5], v10, v10
	buffer_load_dword v10, off, s[44:47], 0 offset:48 ; 4-byte Folded Reload
	v_cndmask_b32_e64 v0, v31, v0, s[4:5]
	v_and_b32_e32 v0, 0xffff0000, v0
	s_waitcnt vmcnt(0)
	v_mul_f32_e32 v10, s40, v10
	v_bfe_u32 v31, v10, 16, 1
	v_add3_u32 v31, v31, v10, s43
	v_or_b32_e32 v38, 0x400000, v10
	v_cmp_u_f32_e64 s[4:5], v10, v10
	v_mul_f32_e32 v10, s40, v43
	v_cndmask_b32_e64 v31, v31, v38, s[4:5]
	v_bfe_u32 v38, v10, 16, 1
	v_add3_u32 v38, v38, v10, s43
	v_or_b32_e32 v43, 0x400000, v10
	v_cmp_u_f32_e64 s[4:5], v10, v10
	v_cndmask_b32_e64 v10, v38, v43, s[4:5]
	v_and_b32_e32 v38, 0xffff0000, v31
	buffer_load_dword v31, off, s[44:47], 0 offset:80 ; 4-byte Folded Reload
	s_waitcnt vmcnt(0)
	v_mul_f32_e32 v31, v31, v29
	buffer_load_dword v29, off, s[44:47], 0 offset:72 ; 4-byte Folded Reload
	s_waitcnt vmcnt(0)
	v_fmac_f32_e32 v31, v29, v38
	buffer_load_dword v29, off, s[44:47], 0 offset:84 ; 4-byte Folded Reload
	s_waitcnt vmcnt(0)
	v_mul_f32_e32 v38, v29, v4
	buffer_load_dword v4, off, s[44:47], 0 offset:76 ; 4-byte Folded Reload
	s_waitcnt vmcnt(0)
	v_fmac_f32_e32 v38, v4, v0
	v_and_b32_e32 v0, 0xffff0000, v3
	buffer_load_dword v3, off, s[44:47], 0 offset:88 ; 4-byte Folded Reload
	s_waitcnt vmcnt(0)
	v_fmac_f32_e32 v31, v3, v0
	buffer_load_dword v3, off, s[44:47], 0 offset:92 ; 4-byte Folded Reload
	v_and_b32_e32 v0, 0xffff0000, v20
	s_waitcnt vmcnt(0)
	v_fmac_f32_e32 v38, v3, v0
	buffer_load_dword v3, off, s[44:47], 0 offset:96 ; 4-byte Folded Reload
	v_and_b32_e32 v0, 0xffff0000, v27
	;; [unrolled: 4-line block ×31, first 2 shown]
	s_waitcnt vmcnt(0)
	v_fmac_f32_e32 v38, v3, v0
	v_and_b32_e32 v0, 0xffff0000, v1
	buffer_load_dword v1, off, s[44:47], 0 offset:220 ; 4-byte Folded Reload
	s_waitcnt vmcnt(0)
	v_fmac_f32_e32 v31, v1, v0
	buffer_load_dword v1, off, s[44:47], 0 offset:224 ; 4-byte Folded Reload
	v_and_b32_e32 v0, 0xffff0000, v12
	s_waitcnt vmcnt(0)
	v_fmac_f32_e32 v38, v1, v0
	buffer_load_dword v1, off, s[44:47], 0 offset:228 ; 4-byte Folded Reload
	v_and_b32_e32 v0, 0xffff0000, v13
	;; [unrolled: 4-line block ×24, first 2 shown]
	s_waitcnt vmcnt(0)
	v_fmac_f32_e32 v31, v1, v0
	buffer_load_dword v0, off, s[44:47], 0 offset:64 ; 4-byte Folded Reload
	buffer_load_dword v1, off, s[44:47], 0 offset:320 ; 4-byte Folded Reload
	s_waitcnt vmcnt(1)
	v_and_b32_e32 v0, 0xffff0000, v0
	s_waitcnt vmcnt(0)
	v_fmac_f32_e32 v38, v1, v0
	buffer_load_dword v0, off, s[44:47], 0 offset:60 ; 4-byte Folded Reload
	buffer_load_dword v1, off, s[44:47], 0 offset:324 ; 4-byte Folded Reload
	s_waitcnt vmcnt(1)
	v_and_b32_e32 v0, 0xffff0000, v0
	s_waitcnt vmcnt(0)
	v_fmac_f32_e32 v31, v1, v0
	buffer_load_dword v1, off, s[44:47], 0 offset:328 ; 4-byte Folded Reload
	v_and_b32_e32 v0, 0xffff0000, v10
	s_waitcnt vmcnt(0)
	v_fmac_f32_e32 v38, v1, v0
	buffer_load_dword v1, off, s[44:47], 0 offset:340 ; 4-byte Folded Reload
	v_add_f32_e32 v0, v31, v38
	s_waitcnt vmcnt(0)
	ds_bpermute_b32 v1, v1, v0
	s_waitcnt lgkmcnt(0)
	v_add_f32_e32 v0, v0, v1
	buffer_load_dword v1, off, s[44:47], 0 offset:344 ; 4-byte Folded Reload
	s_waitcnt vmcnt(0)
	ds_bpermute_b32 v1, v1, v0
	s_mov_b64 s[16:17], exec
	buffer_load_dword v7, off, s[44:47], 0 offset:44 ; 4-byte Folded Reload
	s_and_b64 s[4:5], s[16:17], vcc
	s_mov_b64 exec, s[4:5]
	s_cbranch_execz .LBB309_8
; %bb.394:                              ;   in Loop: Header=BB309_9 Depth=1
	buffer_load_dword v4, off, s[44:47], 0 offset:28 ; 4-byte Folded Reload
	buffer_load_dword v3, off, s[44:47], 0 offset:68 ; 4-byte Folded Reload
	s_waitcnt lgkmcnt(0)
	v_add_f32_e32 v0, v0, v1
	s_waitcnt vmcnt(1)
	v_add_u32_e32 v2, s38, v4
	v_cmp_gt_i32_e64 s[4:5], s30, v4
	buffer_load_dword v4, off, s[44:47], 0 offset:32 ; 4-byte Folded Reload
	v_cvt_f32_i32_e32 v2, v2
	s_waitcnt vmcnt(1)
	v_max_f32_e32 v1, v3, v3
	v_mul_f32_e32 v2, s33, v2
	v_cndmask_b32_e64 v2, 0, v2, s[2:3]
	v_fmac_f32_e32 v2, s31, v0
	v_cndmask_b32_e64 v0, 0, v2, s[4:5]
	s_waitcnt vmcnt(0)
	ds_write_b32 v4, v0
	v_max_f32_e32 v0, v1, v2
	v_cndmask_b32_e64 v3, v3, v0, s[4:5]
	buffer_store_dword v3, off, s[44:47], 0 offset:68 ; 4-byte Folded Spill
	s_branch .LBB309_8
.LBB309_395:
	s_or_b64 exec, exec, s[14:15]
.LBB309_396:
	s_or_b64 exec, exec, s[6:7]
	buffer_load_dword v6, off, s[44:47], 0 offset:352 ; 4-byte Folded Reload
	buffer_load_dword v7, off, s[44:47], 0 offset:356 ; 4-byte Folded Reload
	;; [unrolled: 1-line block ×3, first 2 shown]
	s_waitcnt vmcnt(2)
	v_xor_b32_e32 v0, 32, v6
	s_waitcnt vmcnt(1)
	v_cmp_lt_i32_e32 vcc, v0, v7
	v_cndmask_b32_e32 v0, v6, v0, vcc
	v_lshlrev_b32_e32 v0, 2, v0
	s_waitcnt vmcnt(0) lgkmcnt(0)
	ds_bpermute_b32 v1, v0, v2
	v_xor_b32_e32 v3, 16, v6
	v_max_f32_e32 v2, v2, v2
	v_cmp_lt_i32_e32 vcc, v3, v7
	v_xor_b32_e32 v4, 8, v6
	s_waitcnt lgkmcnt(0)
	v_max_f32_e32 v1, v1, v1
	v_max_f32_e32 v2, v2, v1
	v_cndmask_b32_e32 v1, v6, v3, vcc
	v_lshlrev_b32_e32 v1, 2, v1
	ds_bpermute_b32 v3, v1, v2
	v_cmp_lt_i32_e32 vcc, v4, v7
	v_xor_b32_e32 v5, 4, v6
	s_waitcnt lgkmcnt(0)
	v_max_f32_e32 v3, v3, v3
	v_max_f32_e32 v2, v2, v3
	v_cndmask_b32_e32 v3, v6, v4, vcc
	v_lshlrev_b32_e32 v4, 2, v3
	ds_bpermute_b32 v3, v4, v2
	v_cmp_lt_i32_e32 vcc, v5, v7
	s_waitcnt lgkmcnt(0)
	v_max_f32_e32 v3, v3, v3
	v_max_f32_e32 v3, v2, v3
	v_cndmask_b32_e32 v2, v6, v5, vcc
	v_lshlrev_b32_e32 v5, 2, v2
	buffer_load_dword v2, off, s[44:47], 0 offset:348 ; 4-byte Folded Reload
	ds_bpermute_b32 v6, v5, v3
	s_waitcnt vmcnt(0)
	v_and_b32_e32 v11, 63, v2
	buffer_load_dword v2, off, s[44:47], 0  ; 4-byte Folded Reload
	v_cmp_eq_u32_e32 vcc, 0, v11
	s_waitcnt vmcnt(0)
	v_lshlrev_b32_e32 v2, 2, v2
	s_and_saveexec_b64 s[2:3], vcc
	s_cbranch_execz .LBB309_398
; %bb.397:
	s_waitcnt lgkmcnt(0)
	v_max_f32_e32 v6, v6, v6
	v_max_f32_e32 v3, v3, v3
	;; [unrolled: 1-line block ×3, first 2 shown]
	ds_write_b32 v2, v3 offset:512
.LBB309_398:
	s_or_b64 exec, exec, s[2:3]
	v_cmp_gt_u32_e64 s[2:3], 2, v11
	s_waitcnt lgkmcnt(0)
	v_mov_b32_e32 v6, 0xff7fffff
	v_lshlrev_b32_e32 v3, 2, v11
	s_barrier
	s_and_saveexec_b64 s[4:5], s[2:3]
; %bb.399:
	ds_read_b32 v6, v3 offset:512
; %bb.400:
	s_or_b64 exec, exec, s[4:5]
	buffer_load_dword v8, off, s[44:47], 0 offset:352 ; 4-byte Folded Reload
	buffer_load_dword v9, off, s[44:47], 0 offset:356 ; 4-byte Folded Reload
	s_waitcnt vmcnt(1)
	v_xor_b32_e32 v7, 1, v8
	s_waitcnt vmcnt(0)
	v_cmp_lt_i32_e64 s[4:5], v7, v9
	v_cndmask_b32_e64 v7, v8, v7, s[4:5]
	v_lshlrev_b32_e32 v12, 2, v7
	s_waitcnt lgkmcnt(0)
	ds_bpermute_b32 v7, v12, v6
	v_max_f32_e32 v6, v6, v6
	s_lshl_b32 s4, s21, 4
	s_min_i32 s31, s4, s30
	s_waitcnt lgkmcnt(0)
	v_max_f32_e32 v7, v7, v7
	v_max_f32_e32 v6, v6, v7
	buffer_load_dword v7, off, s[44:47], 0 offset:364 ; 4-byte Folded Reload
	s_waitcnt vmcnt(0)
	v_lshlrev_b32_e32 v7, 2, v7
	ds_bpermute_b32 v7, v7, v6
	buffer_load_dword v6, off, s[44:47], 0 offset:348 ; 4-byte Folded Reload
	s_waitcnt vmcnt(0)
	v_cmp_gt_i32_e64 s[4:5], s31, v6
	v_mov_b32_e32 v6, 0
	s_and_saveexec_b64 s[14:15], s[4:5]
	s_cbranch_execz .LBB309_404
; %bb.401:
	buffer_load_dword v9, off, s[44:47], 0 offset:348 ; 4-byte Folded Reload
	v_mov_b32_e32 v6, 0x210
	s_mov_b64 s[16:17], 0
	s_waitcnt vmcnt(0)
	v_lshl_add_u32 v8, v9, 2, v6
	v_mov_b32_e32 v6, 0
.LBB309_402:                            ; =>This Inner Loop Header: Depth=1
	ds_read_b32 v10, v8
	v_add_u32_e32 v9, 0x80, v9
	v_cmp_le_i32_e64 s[6:7], s31, v9
	s_or_b64 s[16:17], s[6:7], s[16:17]
	s_waitcnt lgkmcnt(0)
	v_sub_f32_e32 v10, v10, v7
	v_mul_f32_e32 v10, 0x3fb8aa3b, v10
	v_exp_f32_e32 v10, v10
	ds_write_b32 v8, v10
	v_add_f32_e32 v6, v6, v10
	v_add_u32_e32 v8, 0x200, v8
	s_andn2_b64 exec, exec, s[16:17]
	s_cbranch_execnz .LBB309_402
; %bb.403:
	s_or_b64 exec, exec, s[16:17]
.LBB309_404:
	s_or_b64 exec, exec, s[14:15]
	ds_bpermute_b32 v0, v0, v6
	s_waitcnt lgkmcnt(0)
	v_add_f32_e32 v0, v6, v0
	ds_bpermute_b32 v1, v1, v0
	buffer_load_dword v6, off, s[44:47], 0 offset:356 ; 4-byte Folded Reload
	s_waitcnt lgkmcnt(0)
	v_add_f32_e32 v0, v0, v1
	ds_bpermute_b32 v1, v4, v0
	s_waitcnt lgkmcnt(0)
	v_add_f32_e32 v0, v0, v1
	ds_bpermute_b32 v1, v5, v0
	buffer_load_dword v5, off, s[44:47], 0 offset:352 ; 4-byte Folded Reload
	s_waitcnt lgkmcnt(0)
	v_add_f32_e32 v0, v0, v1
	s_waitcnt vmcnt(0)
	v_xor_b32_e32 v4, 2, v5
	v_cmp_lt_i32_e64 s[6:7], v4, v6
	v_cndmask_b32_e64 v4, v5, v4, s[6:7]
	v_lshlrev_b32_e32 v1, 2, v4
	ds_bpermute_b32 v1, v1, v0
	s_waitcnt lgkmcnt(0)
	v_add_f32_e32 v0, v0, v1
	ds_bpermute_b32 v1, v12, v0
	s_waitcnt lgkmcnt(0)
	v_add_f32_e32 v0, v0, v1
	s_and_saveexec_b64 s[6:7], vcc
; %bb.405:
	ds_write_b32 v2, v0 offset:520
; %bb.406:
	s_or_b64 exec, exec, s[6:7]
	s_waitcnt lgkmcnt(0)
	s_barrier
	s_and_saveexec_b64 s[6:7], s[2:3]
; %bb.407:
	ds_read_b32 v0, v3 offset:520
; %bb.408:
	s_or_b64 exec, exec, s[6:7]
	buffer_load_dword v2, off, s[44:47], 0 offset:352 ; 4-byte Folded Reload
	s_waitcnt lgkmcnt(0)
	ds_bpermute_b32 v1, v12, v0
	s_waitcnt lgkmcnt(0)
	v_add_f32_e32 v0, v0, v1
	s_waitcnt vmcnt(0)
	v_lshlrev_b32_e32 v2, 2, v2
	v_and_b32_e32 v1, 0xffffff00, v2
	ds_bpermute_b32 v0, v1, v0
	s_and_saveexec_b64 s[2:3], s[4:5]
	s_cbranch_execz .LBB309_411
; %bb.409:
	s_waitcnt lgkmcnt(0)
	v_add_f32_e32 v1, 0x358637bd, v0
	v_div_scale_f32 v0, s[4:5], v1, v1, 1.0
	v_div_scale_f32 v2, vcc, 1.0, v1, 1.0
	s_mov_b64 s[4:5], 0
	v_rcp_f32_e32 v3, v0
	v_fma_f32 v4, -v0, v3, 1.0
	v_fmac_f32_e32 v3, v4, v3
	v_mul_f32_e32 v4, v2, v3
	v_fma_f32 v5, -v0, v4, v2
	v_fmac_f32_e32 v4, v5, v3
	v_fma_f32 v0, -v0, v4, v2
	v_div_fmas_f32 v2, v0, v3, v4
	buffer_load_dword v3, off, s[44:47], 0 offset:348 ; 4-byte Folded Reload
	v_mov_b32_e32 v0, 0x210
	v_div_fixup_f32 v1, v2, v1, 1.0
	s_waitcnt vmcnt(0)
	v_lshl_add_u32 v0, v3, 2, v0
	v_mov_b32_e32 v2, v3
.LBB309_410:                            ; =>This Inner Loop Header: Depth=1
	ds_read_b32 v3, v0
	v_add_u32_e32 v2, 0x80, v2
	v_cmp_le_i32_e32 vcc, s31, v2
	s_or_b64 s[4:5], vcc, s[4:5]
	s_waitcnt lgkmcnt(0)
	v_mul_f32_e32 v3, v1, v3
	ds_write_b32 v0, v3
	v_add_u32_e32 v0, 0x200, v0
	s_andn2_b64 exec, exec, s[4:5]
	s_cbranch_execnz .LBB309_410
.LBB309_411:
	s_or_b64 exec, exec, s[2:3]
	s_waitcnt lgkmcnt(0)
	s_barrier
	buffer_load_dword v0, off, s[44:47], 0 offset:348 ; 4-byte Folded Reload
	v_mov_b32_e32 v29, 0
	v_mov_b32_e32 v31, 0
	;; [unrolled: 1-line block ×8, first 2 shown]
	s_waitcnt vmcnt(0)
	v_and_b32_e32 v13, 1, v0
	s_and_saveexec_b64 s[2:3], s[0:1]
	s_cbranch_execz .LBB309_815
; %bb.412:
	s_ashr_i32 s0, s12, 31
	v_lshlrev_b32_e32 v0, 3, v0
	s_add_u32 s1, s28, s12
	v_and_b32_e32 v1, 8, v0
	s_addc_u32 s0, s29, s0
	v_and_b32_e32 v0, 0x1f8, v0
	v_mov_b32_e32 v2, s0
	v_add_co_u32_e32 v3, vcc, s1, v0
	buffer_store_dword v12, off, s[44:47], 0 offset:132 ; 4-byte Folded Spill
	buffer_store_dword v11, off, s[44:47], 0 offset:128 ; 4-byte Folded Spill
	v_addc_co_u32_e32 v4, vcc, 0, v2, vcc
	s_load_dword s18, s[18:19], 0x0
	buffer_store_dword v3, off, s[44:47], 0 offset:120 ; 4-byte Folded Spill
	s_nop 0
	buffer_store_dword v4, off, s[44:47], 0 offset:124 ; 4-byte Folded Spill
	buffer_load_dword v2, off, s[44:47], 0  ; 4-byte Folded Reload
	s_add_i32 s19, s21, -1
	s_lshl_b64 s[0:1], s[26:27], 2
	s_add_u32 s0, s24, s0
	s_addc_u32 s1, s25, s1
	s_mov_b32 s4, -1
	buffer_store_dword v13, off, s[44:47], 0 offset:136 ; 4-byte Folded Spill
	s_mov_b32 s31, s13
	s_mov_b32 s5, 0xffffff
	v_mov_b32_e32 v10, 0
	s_mov_b64 s[6:7], 0
	s_movk_i32 s24, 0x80
	s_movk_i32 s25, 0x7f
	;; [unrolled: 1-line block ×3, first 2 shown]
	v_mov_b32_e32 v24, 0
	v_mov_b32_e32 v25, 0
	;; [unrolled: 1-line block ×8, first 2 shown]
	s_waitcnt vmcnt(1)
	v_lshlrev_b32_e32 v0, 4, v2
	v_or3_b32 v32, v0, v1, 7
	v_lshlrev_b32_e32 v0, 5, v13
	v_lshl_or_b32 v0, v2, 6, v0
	v_add_u32_e32 v33, 0x210, v0
	buffer_load_dword v0, off, s[44:47], 0 offset:360 ; 4-byte Folded Reload
	v_mov_b32_e32 v1, s1
	s_waitcnt vmcnt(0)
	v_and_b32_e32 v0, 60, v0
	v_add_co_u32_e32 v13, vcc, s0, v0
	v_addc_co_u32_e32 v14, vcc, 0, v1, vcc
	s_branch .LBB309_414
.LBB309_413:                            ;   in Loop: Header=BB309_414 Depth=1
	s_or_b64 exec, exec, s[0:1]
	v_bfe_u32 v11, v5, 16, 1
	v_add3_u32 v11, v11, v5, s26
	v_or_b32_e32 v12, 0x400000, v5
	v_cmp_u_f32_e32 vcc, v5, v5
	v_bfe_u32 v5, v6, 16, 1
	v_cndmask_b32_e32 v62, v11, v12, vcc
	v_add3_u32 v5, v5, v6, s26
	v_or_b32_e32 v11, 0x400000, v6
	v_cmp_u_f32_e32 vcc, v6, v6
	v_cndmask_b32_e32 v63, v5, v11, vcc
	v_bfe_u32 v5, v7, 16, 1
	v_add3_u32 v5, v5, v7, s26
	v_or_b32_e32 v6, 0x400000, v7
	v_cmp_u_f32_e32 vcc, v7, v7
	v_cndmask_b32_e32 v5, v5, v6, vcc
	v_bfe_u32 v6, v8, 16, 1
	;; [unrolled: 5-line block ×3, first 2 shown]
	v_add3_u32 v7, v7, v1, s26
	v_or_b32_e32 v8, 0x400000, v1
	v_cmp_u_f32_e32 vcc, v1, v1
	v_bfe_u32 v1, v2, 16, 1
	v_cndmask_b32_e32 v7, v7, v8, vcc
	v_add3_u32 v1, v1, v2, s26
	v_or_b32_e32 v8, 0x400000, v2
	v_cmp_u_f32_e32 vcc, v2, v2
	v_cndmask_b32_e32 v11, v1, v8, vcc
	v_bfe_u32 v1, v3, 16, 1
	v_add3_u32 v1, v1, v3, s26
	v_or_b32_e32 v2, 0x400000, v3
	v_cmp_u_f32_e32 vcc, v3, v3
	v_cndmask_b32_e32 v8, v1, v2, vcc
	v_bfe_u32 v1, v4, 16, 1
	v_add3_u32 v1, v1, v4, s26
	v_or_b32_e32 v2, 0x400000, v4
	v_cmp_u_f32_e32 vcc, v4, v4
	v_cndmask_b32_e32 v12, v1, v2, vcc
	v_and_b32_e32 v1, 0xffff0000, v63
	v_lshlrev_b32_e32 v2, 16, v59
	v_mul_f32_e32 v2, v1, v2
	v_bfe_u32 v3, v2, 16, 1
	v_add3_u32 v3, v3, v2, s26
	v_or_b32_e32 v4, 0x400000, v2
	v_cmp_u_f32_e32 vcc, v2, v2
	v_cndmask_b32_e32 v21, v3, v4, vcc
	v_and_b32_e32 v4, 0xffff0000, v62
	v_lshlrev_b32_e32 v2, 16, v58
	v_mul_f32_e32 v2, v4, v2
	;; [unrolled: 8-line block ×5, first 2 shown]
	v_bfe_u32 v11, v5, 16, 1
	v_add3_u32 v11, v11, v5, s26
	v_or_b32_e32 v19, 0x400000, v5
	v_cmp_u_f32_e32 vcc, v5, v5
	v_and_b32_e32 v7, 0xffff0000, v7
	v_lshlrev_b32_e32 v5, 16, v18
	v_mul_f32_e32 v5, v7, v5
	v_bfe_u32 v18, v5, 16, 1
	v_cndmask_b32_e32 v11, v11, v19, vcc
	v_add3_u32 v18, v18, v5, s26
	v_or_b32_e32 v19, 0x400000, v5
	v_cmp_u_f32_e32 vcc, v5, v5
	v_and_b32_e32 v5, 0xffff0000, v12
	v_lshlrev_b32_e32 v12, 16, v49
	v_mul_f32_e32 v12, v5, v12
	v_cndmask_b32_e32 v18, v18, v19, vcc
	v_bfe_u32 v19, v12, 16, 1
	v_add3_u32 v19, v19, v12, s26
	v_or_b32_e32 v48, 0x400000, v12
	v_cmp_u_f32_e32 vcc, v12, v12
	v_cndmask_b32_e32 v12, v19, v48, vcc
	v_and_b32_e32 v8, 0xffff0000, v8
	v_lshlrev_b32_e32 v19, 16, v47
	v_mul_f32_e32 v19, v8, v19
	v_bfe_u32 v47, v19, 16, 1
	v_and_b32_e32 v22, 0xffff0000, v22
	v_and_b32_e32 v21, 0xffff0000, v21
	v_add3_u32 v47, v47, v19, s26
	v_or_b32_e32 v48, 0x400000, v19
	v_cmp_u_f32_e32 vcc, v19, v19
	v_add_f32_e32 v21, v22, v21
	v_and_b32_e32 v22, 0xffff0000, v34
	v_and_b32_e32 v23, 0xffff0000, v23
	v_cndmask_b32_e32 v19, v47, v48, vcc
	v_add_f32_e32 v22, v22, v23
	v_and_b32_e32 v18, 0xffff0000, v18
	v_and_b32_e32 v11, 0xffff0000, v11
	v_add_f32_e32 v21, v22, v21
	v_add_f32_e32 v11, v18, v11
	v_and_b32_e32 v18, 0xffff0000, v19
	v_and_b32_e32 v12, 0xffff0000, v12
	v_add_f32_e32 v11, v11, v21
	v_add_f32_e32 v12, v18, v12
	v_add_f32_e32 v11, v12, v11
	v_add_f32_e32 v25, v25, v11
	v_lshlrev_b32_e32 v11, 16, v46
	v_mul_f32_e32 v11, v1, v11
	v_bfe_u32 v12, v11, 16, 1
	v_add3_u32 v12, v12, v11, s26
	v_or_b32_e32 v18, 0x400000, v11
	v_cmp_u_f32_e32 vcc, v11, v11
	v_cndmask_b32_e32 v11, v12, v18, vcc
	v_lshlrev_b32_e32 v12, 16, v45
	v_mul_f32_e32 v12, v4, v12
	v_bfe_u32 v18, v12, 16, 1
	v_add3_u32 v18, v18, v12, s26
	v_or_b32_e32 v19, 0x400000, v12
	v_cmp_u_f32_e32 vcc, v12, v12
	v_cndmask_b32_e32 v12, v18, v19, vcc
	v_lshlrev_b32_e32 v18, 16, v20
	v_mul_f32_e32 v18, v2, v18
	v_bfe_u32 v19, v18, 16, 1
	v_lshlrev_b32_e32 v0, 16, v0
	v_add3_u32 v19, v19, v18, s26
	v_or_b32_e32 v20, 0x400000, v18
	v_cmp_u_f32_e32 vcc, v18, v18
	v_mul_f32_e32 v0, v6, v0
	v_cndmask_b32_e32 v18, v19, v20, vcc
	v_bfe_u32 v19, v0, 16, 1
	v_add3_u32 v19, v19, v0, s26
	v_or_b32_e32 v20, 0x400000, v0
	v_cmp_u_f32_e32 vcc, v0, v0
	v_cndmask_b32_e32 v0, v19, v20, vcc
	v_lshlrev_b32_e32 v19, 16, v41
	v_mul_f32_e32 v19, v3, v19
	v_bfe_u32 v20, v19, 16, 1
	v_add3_u32 v20, v20, v19, s26
	v_or_b32_e32 v21, 0x400000, v19
	v_cmp_u_f32_e32 vcc, v19, v19
	v_cndmask_b32_e32 v19, v20, v21, vcc
	v_lshlrev_b32_e32 v20, 16, v40
	v_mul_f32_e32 v20, v7, v20
	;; [unrolled: 7-line block ×3, first 2 shown]
	v_bfe_u32 v22, v21, 16, 1
	v_add3_u32 v22, v22, v21, s26
	v_or_b32_e32 v23, 0x400000, v21
	v_cmp_u_f32_e32 vcc, v21, v21
	v_cndmask_b32_e32 v21, v22, v23, vcc
	v_lshlrev_b32_e32 v22, 16, v42
	v_and_b32_e32 v12, 0xffff0000, v12
	v_and_b32_e32 v11, 0xffff0000, v11
	v_mul_f32_e32 v22, v8, v22
	v_add_f32_e32 v11, v12, v11
	v_and_b32_e32 v0, 0xffff0000, v0
	v_and_b32_e32 v12, 0xffff0000, v18
	v_bfe_u32 v23, v22, 16, 1
	v_add_f32_e32 v0, v0, v12
	v_add3_u32 v23, v23, v22, s26
	v_or_b32_e32 v34, 0x400000, v22
	v_cmp_u_f32_e32 vcc, v22, v22
	v_add_f32_e32 v0, v0, v11
	v_and_b32_e32 v11, 0xffff0000, v20
	v_and_b32_e32 v12, 0xffff0000, v19
	v_cndmask_b32_e32 v22, v23, v34, vcc
	v_add_f32_e32 v11, v11, v12
	v_add_f32_e32 v0, v11, v0
	v_and_b32_e32 v11, 0xffff0000, v22
	v_and_b32_e32 v12, 0xffff0000, v21
	v_add_f32_e32 v11, v11, v12
	v_add_f32_e32 v0, v11, v0
	;; [unrolled: 1-line block ×3, first 2 shown]
	v_lshlrev_b32_e32 v0, 16, v39
	v_mul_f32_e32 v0, v1, v0
	v_bfe_u32 v11, v0, 16, 1
	v_add3_u32 v11, v11, v0, s26
	v_or_b32_e32 v12, 0x400000, v0
	v_cmp_u_f32_e32 vcc, v0, v0
	v_cndmask_b32_e32 v0, v11, v12, vcc
	v_lshlrev_b32_e32 v11, 16, v38
	v_mul_f32_e32 v11, v4, v11
	v_bfe_u32 v12, v11, 16, 1
	v_add3_u32 v12, v12, v11, s26
	v_or_b32_e32 v18, 0x400000, v11
	v_cmp_u_f32_e32 vcc, v11, v11
	v_cndmask_b32_e32 v11, v12, v18, vcc
	;; [unrolled: 7-line block ×7, first 2 shown]
	v_lshlrev_b32_e32 v22, 16, v56
	v_and_b32_e32 v11, 0xffff0000, v11
	v_and_b32_e32 v0, 0xffff0000, v0
	v_mul_f32_e32 v22, v8, v22
	v_add_f32_e32 v0, v11, v0
	v_and_b32_e32 v11, 0xffff0000, v18
	v_and_b32_e32 v12, 0xffff0000, v12
	v_bfe_u32 v23, v22, 16, 1
	v_add_f32_e32 v11, v11, v12
	v_add3_u32 v23, v23, v22, s26
	v_or_b32_e32 v34, 0x400000, v22
	v_cmp_u_f32_e32 vcc, v22, v22
	v_add_f32_e32 v0, v11, v0
	v_and_b32_e32 v11, 0xffff0000, v20
	v_and_b32_e32 v12, 0xffff0000, v19
	v_cndmask_b32_e32 v22, v23, v34, vcc
	v_add_f32_e32 v11, v11, v12
	v_add_f32_e32 v0, v11, v0
	v_and_b32_e32 v11, 0xffff0000, v22
	v_and_b32_e32 v12, 0xffff0000, v21
	v_add_f32_e32 v11, v11, v12
	v_add_f32_e32 v0, v11, v0
	;; [unrolled: 1-line block ×3, first 2 shown]
	v_lshlrev_b32_e32 v0, 16, v53
	v_mul_f32_e32 v0, v1, v0
	v_bfe_u32 v11, v0, 16, 1
	v_add3_u32 v11, v11, v0, s26
	v_or_b32_e32 v12, 0x400000, v0
	v_cmp_u_f32_e32 vcc, v0, v0
	v_cndmask_b32_e32 v0, v11, v12, vcc
	v_lshlrev_b32_e32 v11, 16, v52
	v_mul_f32_e32 v11, v4, v11
	v_bfe_u32 v12, v11, 16, 1
	v_add3_u32 v12, v12, v11, s26
	v_or_b32_e32 v18, 0x400000, v11
	v_cmp_u_f32_e32 vcc, v11, v11
	v_cndmask_b32_e32 v11, v12, v18, vcc
	;; [unrolled: 7-line block ×3, first 2 shown]
	buffer_load_dword v18, off, s[44:47], 0 offset:116 ; 4-byte Folded Reload
	v_and_b32_e32 v11, 0xffff0000, v11
	v_and_b32_e32 v0, 0xffff0000, v0
	v_add_f32_e32 v0, v11, v0
	v_and_b32_e32 v12, 0xffff0000, v12
	v_add_u32_e32 v32, 32, v32
	v_add_u32_e32 v33, 0x80, v33
	s_waitcnt vmcnt(0)
	v_lshlrev_b32_e32 v18, 16, v18
	v_mul_f32_e32 v18, v6, v18
	v_bfe_u32 v19, v18, 16, 1
	v_add3_u32 v19, v19, v18, s26
	v_or_b32_e32 v20, 0x400000, v18
	v_cmp_u_f32_e32 vcc, v18, v18
	v_cndmask_b32_e32 v18, v19, v20, vcc
	buffer_load_dword v19, off, s[44:47], 0 offset:108 ; 4-byte Folded Reload
	v_and_b32_e32 v11, 0xffff0000, v18
	v_add_f32_e32 v11, v11, v12
	v_add_f32_e32 v0, v11, v0
	s_waitcnt vmcnt(0)
	v_lshlrev_b32_e32 v19, 16, v19
	v_mul_f32_e32 v19, v3, v19
	v_bfe_u32 v20, v19, 16, 1
	v_add3_u32 v20, v20, v19, s26
	v_or_b32_e32 v21, 0x400000, v19
	v_cmp_u_f32_e32 vcc, v19, v19
	v_cndmask_b32_e32 v19, v20, v21, vcc
	buffer_load_dword v20, off, s[44:47], 0 offset:104 ; 4-byte Folded Reload
	v_and_b32_e32 v12, 0xffff0000, v19
	s_waitcnt vmcnt(0)
	v_lshlrev_b32_e32 v20, 16, v20
	v_mul_f32_e32 v20, v7, v20
	v_bfe_u32 v21, v20, 16, 1
	v_add3_u32 v21, v21, v20, s26
	v_or_b32_e32 v22, 0x400000, v20
	v_cmp_u_f32_e32 vcc, v20, v20
	v_cndmask_b32_e32 v20, v21, v22, vcc
	v_lshlrev_b32_e32 v21, 16, v51
	v_mul_f32_e32 v21, v5, v21
	v_bfe_u32 v22, v21, 16, 1
	v_add3_u32 v22, v22, v21, s26
	v_or_b32_e32 v23, 0x400000, v21
	v_cmp_u_f32_e32 vcc, v21, v21
	v_cndmask_b32_e32 v21, v22, v23, vcc
	buffer_load_dword v22, off, s[44:47], 0 offset:112 ; 4-byte Folded Reload
	v_and_b32_e32 v11, 0xffff0000, v20
	v_add_f32_e32 v11, v11, v12
	v_add_f32_e32 v0, v11, v0
	v_and_b32_e32 v12, 0xffff0000, v21
	s_waitcnt vmcnt(0)
	v_lshlrev_b32_e32 v22, 16, v22
	v_mul_f32_e32 v22, v8, v22
	v_bfe_u32 v23, v22, 16, 1
	v_add3_u32 v23, v23, v22, s26
	v_or_b32_e32 v34, 0x400000, v22
	v_cmp_u_f32_e32 vcc, v22, v22
	v_cndmask_b32_e32 v22, v23, v34, vcc
	v_and_b32_e32 v11, 0xffff0000, v22
	v_add_f32_e32 v11, v11, v12
	v_add_f32_e32 v0, v11, v0
	;; [unrolled: 1-line block ×3, first 2 shown]
	buffer_load_dword v0, off, s[44:47], 0 offset:100 ; 4-byte Folded Reload
	s_waitcnt vmcnt(0)
	v_lshlrev_b32_e32 v0, 16, v0
	v_mul_f32_e32 v0, v1, v0
	v_bfe_u32 v11, v0, 16, 1
	v_add3_u32 v11, v11, v0, s26
	v_or_b32_e32 v12, 0x400000, v0
	v_cmp_u_f32_e32 vcc, v0, v0
	v_cndmask_b32_e32 v0, v11, v12, vcc
	buffer_load_dword v11, off, s[44:47], 0 offset:96 ; 4-byte Folded Reload
	v_and_b32_e32 v0, 0xffff0000, v0
	s_waitcnt vmcnt(0)
	v_lshlrev_b32_e32 v11, 16, v11
	v_mul_f32_e32 v11, v4, v11
	v_bfe_u32 v12, v11, 16, 1
	v_add3_u32 v12, v12, v11, s26
	v_or_b32_e32 v18, 0x400000, v11
	v_cmp_u_f32_e32 vcc, v11, v11
	v_cndmask_b32_e32 v11, v12, v18, vcc
	buffer_load_dword v12, off, s[44:47], 0 offset:88 ; 4-byte Folded Reload
	v_and_b32_e32 v11, 0xffff0000, v11
	v_add_f32_e32 v0, v11, v0
	s_waitcnt vmcnt(0)
	v_lshlrev_b32_e32 v12, 16, v12
	v_mul_f32_e32 v12, v2, v12
	v_bfe_u32 v18, v12, 16, 1
	v_add3_u32 v18, v18, v12, s26
	v_or_b32_e32 v19, 0x400000, v12
	v_cmp_u_f32_e32 vcc, v12, v12
	v_cndmask_b32_e32 v12, v18, v19, vcc
	buffer_load_dword v18, off, s[44:47], 0 offset:84 ; 4-byte Folded Reload
	v_and_b32_e32 v12, 0xffff0000, v12
	s_waitcnt vmcnt(0)
	v_lshlrev_b32_e32 v18, 16, v18
	v_mul_f32_e32 v18, v6, v18
	v_bfe_u32 v19, v18, 16, 1
	v_add3_u32 v19, v19, v18, s26
	v_or_b32_e32 v20, 0x400000, v18
	v_cmp_u_f32_e32 vcc, v18, v18
	v_cndmask_b32_e32 v18, v19, v20, vcc
	buffer_load_dword v19, off, s[44:47], 0 offset:76 ; 4-byte Folded Reload
	v_and_b32_e32 v11, 0xffff0000, v18
	v_add_f32_e32 v11, v11, v12
	v_add_f32_e32 v0, v11, v0
	s_waitcnt vmcnt(0)
	v_lshlrev_b32_e32 v19, 16, v19
	v_mul_f32_e32 v19, v3, v19
	v_bfe_u32 v20, v19, 16, 1
	v_add3_u32 v20, v20, v19, s26
	v_or_b32_e32 v21, 0x400000, v19
	v_cmp_u_f32_e32 vcc, v19, v19
	v_cndmask_b32_e32 v19, v20, v21, vcc
	buffer_load_dword v20, off, s[44:47], 0 offset:72 ; 4-byte Folded Reload
	v_and_b32_e32 v12, 0xffff0000, v19
	s_waitcnt vmcnt(0)
	v_lshlrev_b32_e32 v20, 16, v20
	v_mul_f32_e32 v20, v7, v20
	v_bfe_u32 v21, v20, 16, 1
	v_add3_u32 v21, v21, v20, s26
	v_or_b32_e32 v22, 0x400000, v20
	v_cmp_u_f32_e32 vcc, v20, v20
	v_cndmask_b32_e32 v20, v21, v22, vcc
	buffer_load_dword v21, off, s[44:47], 0 offset:92 ; 4-byte Folded Reload
	v_and_b32_e32 v11, 0xffff0000, v20
	v_add_f32_e32 v11, v11, v12
	v_add_f32_e32 v0, v11, v0
	s_waitcnt vmcnt(0)
	v_lshlrev_b32_e32 v21, 16, v21
	v_mul_f32_e32 v21, v5, v21
	v_bfe_u32 v22, v21, 16, 1
	v_add3_u32 v22, v22, v21, s26
	v_or_b32_e32 v23, 0x400000, v21
	v_cmp_u_f32_e32 vcc, v21, v21
	v_cndmask_b32_e32 v21, v22, v23, vcc
	buffer_load_dword v22, off, s[44:47], 0 offset:80 ; 4-byte Folded Reload
	v_and_b32_e32 v12, 0xffff0000, v21
	s_waitcnt vmcnt(0)
	v_lshlrev_b32_e32 v22, 16, v22
	v_mul_f32_e32 v22, v8, v22
	v_bfe_u32 v23, v22, 16, 1
	v_add3_u32 v23, v23, v22, s26
	v_or_b32_e32 v34, 0x400000, v22
	v_cmp_u_f32_e32 vcc, v22, v22
	v_cndmask_b32_e32 v22, v23, v34, vcc
	v_and_b32_e32 v11, 0xffff0000, v22
	v_add_f32_e32 v11, v11, v12
	v_add_f32_e32 v0, v11, v0
	;; [unrolled: 1-line block ×3, first 2 shown]
	buffer_load_dword v0, off, s[44:47], 0 offset:64 ; 4-byte Folded Reload
	s_waitcnt vmcnt(0)
	v_lshlrev_b32_e32 v0, 16, v0
	v_mul_f32_e32 v0, v1, v0
	v_bfe_u32 v11, v0, 16, 1
	v_add3_u32 v11, v11, v0, s26
	v_or_b32_e32 v12, 0x400000, v0
	v_cmp_u_f32_e32 vcc, v0, v0
	v_cndmask_b32_e32 v0, v11, v12, vcc
	buffer_load_dword v11, off, s[44:47], 0 offset:68 ; 4-byte Folded Reload
	v_and_b32_e32 v0, 0xffff0000, v0
	s_waitcnt vmcnt(0)
	v_lshlrev_b32_e32 v11, 16, v11
	v_mul_f32_e32 v11, v4, v11
	v_bfe_u32 v12, v11, 16, 1
	v_add3_u32 v12, v12, v11, s26
	v_or_b32_e32 v18, 0x400000, v11
	v_cmp_u_f32_e32 vcc, v11, v11
	v_cndmask_b32_e32 v11, v12, v18, vcc
	buffer_load_dword v12, off, s[44:47], 0 offset:52 ; 4-byte Folded Reload
	v_and_b32_e32 v11, 0xffff0000, v11
	v_add_f32_e32 v0, v11, v0
	s_waitcnt vmcnt(0)
	v_lshlrev_b32_e32 v12, 16, v12
	v_mul_f32_e32 v12, v2, v12
	v_bfe_u32 v18, v12, 16, 1
	v_add3_u32 v18, v18, v12, s26
	v_or_b32_e32 v19, 0x400000, v12
	v_cmp_u_f32_e32 vcc, v12, v12
	v_cndmask_b32_e32 v12, v18, v19, vcc
	buffer_load_dword v18, off, s[44:47], 0 offset:56 ; 4-byte Folded Reload
	v_and_b32_e32 v12, 0xffff0000, v12
	s_waitcnt vmcnt(0)
	v_lshlrev_b32_e32 v18, 16, v18
	v_mul_f32_e32 v18, v6, v18
	v_bfe_u32 v19, v18, 16, 1
	v_add3_u32 v19, v19, v18, s26
	v_or_b32_e32 v20, 0x400000, v18
	v_cmp_u_f32_e32 vcc, v18, v18
	v_cndmask_b32_e32 v18, v19, v20, vcc
	buffer_load_dword v19, off, s[44:47], 0 offset:36 ; 4-byte Folded Reload
	v_and_b32_e32 v11, 0xffff0000, v18
	v_add_f32_e32 v11, v11, v12
	v_add_f32_e32 v0, v11, v0
	s_waitcnt vmcnt(0)
	v_lshlrev_b32_e32 v19, 16, v19
	v_mul_f32_e32 v19, v3, v19
	v_bfe_u32 v20, v19, 16, 1
	v_add3_u32 v20, v20, v19, s26
	v_or_b32_e32 v21, 0x400000, v19
	v_cmp_u_f32_e32 vcc, v19, v19
	v_cndmask_b32_e32 v19, v20, v21, vcc
	buffer_load_dword v20, off, s[44:47], 0 offset:44 ; 4-byte Folded Reload
	v_and_b32_e32 v12, 0xffff0000, v19
	s_waitcnt vmcnt(0)
	v_lshlrev_b32_e32 v20, 16, v20
	v_mul_f32_e32 v20, v7, v20
	v_bfe_u32 v21, v20, 16, 1
	v_add3_u32 v21, v21, v20, s26
	v_or_b32_e32 v22, 0x400000, v20
	v_cmp_u_f32_e32 vcc, v20, v20
	v_cndmask_b32_e32 v20, v21, v22, vcc
	buffer_load_dword v21, off, s[44:47], 0 offset:60 ; 4-byte Folded Reload
	v_and_b32_e32 v11, 0xffff0000, v20
	v_add_f32_e32 v11, v11, v12
	v_add_f32_e32 v0, v11, v0
	s_waitcnt vmcnt(0)
	v_lshlrev_b32_e32 v21, 16, v21
	v_mul_f32_e32 v21, v5, v21
	v_bfe_u32 v22, v21, 16, 1
	v_add3_u32 v22, v22, v21, s26
	v_or_b32_e32 v23, 0x400000, v21
	v_cmp_u_f32_e32 vcc, v21, v21
	v_cndmask_b32_e32 v21, v22, v23, vcc
	buffer_load_dword v22, off, s[44:47], 0 offset:48 ; 4-byte Folded Reload
	v_and_b32_e32 v12, 0xffff0000, v21
	s_waitcnt vmcnt(0)
	v_lshlrev_b32_e32 v22, 16, v22
	v_mul_f32_e32 v22, v8, v22
	v_bfe_u32 v23, v22, 16, 1
	v_add3_u32 v23, v23, v22, s26
	v_or_b32_e32 v34, 0x400000, v22
	v_cmp_u_f32_e32 vcc, v22, v22
	v_cndmask_b32_e32 v22, v23, v34, vcc
	v_and_b32_e32 v11, 0xffff0000, v22
	v_add_f32_e32 v11, v11, v12
	v_add_f32_e32 v0, v11, v0
	;; [unrolled: 1-line block ×3, first 2 shown]
	buffer_load_dword v0, off, s[44:47], 0 offset:28 ; 4-byte Folded Reload
	s_waitcnt vmcnt(0)
	v_lshlrev_b32_e32 v0, 16, v0
	v_mul_f32_e32 v0, v1, v0
	v_bfe_u32 v11, v0, 16, 1
	v_add3_u32 v11, v11, v0, s26
	v_or_b32_e32 v12, 0x400000, v0
	v_cmp_u_f32_e32 vcc, v0, v0
	v_cndmask_b32_e32 v0, v11, v12, vcc
	buffer_load_dword v11, off, s[44:47], 0 offset:32 ; 4-byte Folded Reload
	v_and_b32_e32 v0, 0xffff0000, v0
	s_waitcnt vmcnt(0)
	v_lshlrev_b32_e32 v11, 16, v11
	v_mul_f32_e32 v11, v4, v11
	v_bfe_u32 v12, v11, 16, 1
	v_add3_u32 v12, v12, v11, s26
	v_or_b32_e32 v18, 0x400000, v11
	v_cmp_u_f32_e32 vcc, v11, v11
	v_cndmask_b32_e32 v11, v12, v18, vcc
	buffer_load_dword v12, off, s[44:47], 0 offset:16 ; 4-byte Folded Reload
	v_and_b32_e32 v11, 0xffff0000, v11
	v_add_f32_e32 v0, v11, v0
	s_waitcnt vmcnt(0)
	v_lshlrev_b32_e32 v12, 16, v12
	v_mul_f32_e32 v12, v2, v12
	v_bfe_u32 v18, v12, 16, 1
	v_add3_u32 v18, v18, v12, s26
	v_or_b32_e32 v19, 0x400000, v12
	v_cmp_u_f32_e32 vcc, v12, v12
	v_cndmask_b32_e32 v12, v18, v19, vcc
	buffer_load_dword v18, off, s[44:47], 0 offset:20 ; 4-byte Folded Reload
	v_and_b32_e32 v12, 0xffff0000, v12
	s_waitcnt vmcnt(0)
	v_lshlrev_b32_e32 v18, 16, v18
	v_mul_f32_e32 v18, v6, v18
	v_bfe_u32 v19, v18, 16, 1
	v_add3_u32 v19, v19, v18, s26
	v_or_b32_e32 v20, 0x400000, v18
	v_cmp_u_f32_e32 vcc, v18, v18
	v_cndmask_b32_e32 v18, v19, v20, vcc
	buffer_load_dword v19, off, s[44:47], 0 offset:4 ; 4-byte Folded Reload
	v_and_b32_e32 v11, 0xffff0000, v18
	v_add_f32_e32 v11, v11, v12
	v_add_f32_e32 v0, v11, v0
	s_waitcnt vmcnt(0)
	v_lshlrev_b32_e32 v19, 16, v19
	v_mul_f32_e32 v19, v3, v19
	v_bfe_u32 v20, v19, 16, 1
	v_add3_u32 v20, v20, v19, s26
	v_or_b32_e32 v21, 0x400000, v19
	v_cmp_u_f32_e32 vcc, v19, v19
	v_cndmask_b32_e32 v19, v20, v21, vcc
	buffer_load_dword v20, off, s[44:47], 0 offset:8 ; 4-byte Folded Reload
	v_and_b32_e32 v12, 0xffff0000, v19
	s_waitcnt vmcnt(0)
	v_lshlrev_b32_e32 v20, 16, v20
	v_mul_f32_e32 v20, v7, v20
	v_bfe_u32 v21, v20, 16, 1
	v_add3_u32 v21, v21, v20, s26
	v_or_b32_e32 v22, 0x400000, v20
	v_cmp_u_f32_e32 vcc, v20, v20
	v_cndmask_b32_e32 v20, v21, v22, vcc
	buffer_load_dword v21, off, s[44:47], 0 offset:24 ; 4-byte Folded Reload
	v_and_b32_e32 v11, 0xffff0000, v20
	v_add_f32_e32 v11, v11, v12
	v_add_f32_e32 v0, v11, v0
	s_waitcnt vmcnt(0)
	v_lshlrev_b32_e32 v21, 16, v21
	v_mul_f32_e32 v21, v5, v21
	v_bfe_u32 v22, v21, 16, 1
	v_add3_u32 v22, v22, v21, s26
	v_or_b32_e32 v23, 0x400000, v21
	v_cmp_u_f32_e32 vcc, v21, v21
	v_cndmask_b32_e32 v21, v22, v23, vcc
	buffer_load_dword v22, off, s[44:47], 0 offset:12 ; 4-byte Folded Reload
	v_and_b32_e32 v12, 0xffff0000, v21
	s_waitcnt vmcnt(0)
	v_lshlrev_b32_e32 v22, 16, v22
	v_mul_f32_e32 v22, v8, v22
	v_bfe_u32 v23, v22, 16, 1
	v_add3_u32 v23, v23, v22, s26
	v_or_b32_e32 v34, 0x400000, v22
	v_cmp_u_f32_e32 vcc, v22, v22
	v_cndmask_b32_e32 v22, v23, v34, vcc
	v_and_b32_e32 v11, 0xffff0000, v22
	v_add_f32_e32 v11, v11, v12
	v_add_f32_e32 v0, v11, v0
	;; [unrolled: 1-line block ×3, first 2 shown]
	v_lshlrev_b32_e32 v0, 16, v61
	v_mul_f32_e32 v0, v4, v0
	v_bfe_u32 v4, v0, 16, 1
	v_add3_u32 v4, v4, v0, s26
	v_or_b32_e32 v11, 0x400000, v0
	v_cmp_u_f32_e32 vcc, v0, v0
	v_cndmask_b32_e32 v0, v4, v11, vcc
	v_lshlrev_b32_e32 v4, 16, v60
	v_mul_f32_e32 v1, v1, v4
	v_bfe_u32 v4, v1, 16, 1
	v_add3_u32 v4, v4, v1, s26
	v_or_b32_e32 v11, 0x400000, v1
	v_cmp_u_f32_e32 vcc, v1, v1
	v_cndmask_b32_e32 v1, v4, v11, vcc
	v_lshlrev_b32_e32 v4, 16, v57
	v_mul_f32_e32 v4, v6, v4
	v_bfe_u32 v6, v4, 16, 1
	v_add3_u32 v6, v6, v4, s26
	v_or_b32_e32 v11, 0x400000, v4
	v_cmp_u_f32_e32 vcc, v4, v4
	v_cndmask_b32_e32 v4, v6, v11, vcc
	v_lshlrev_b32_e32 v6, 16, v16
	v_mul_f32_e32 v2, v2, v6
	v_bfe_u32 v6, v2, 16, 1
	v_add3_u32 v6, v6, v2, s26
	v_or_b32_e32 v11, 0x400000, v2
	v_cmp_u_f32_e32 vcc, v2, v2
	v_cndmask_b32_e32 v2, v6, v11, vcc
	v_lshlrev_b32_e32 v6, 16, v15
	v_mul_f32_e32 v6, v7, v6
	v_bfe_u32 v7, v6, 16, 1
	v_add3_u32 v7, v7, v6, s26
	v_or_b32_e32 v11, 0x400000, v6
	v_cmp_u_f32_e32 vcc, v6, v6
	v_cndmask_b32_e32 v6, v7, v11, vcc
	v_lshlrev_b32_e32 v7, 16, v9
	v_mul_f32_e32 v3, v3, v7
	v_bfe_u32 v7, v3, 16, 1
	v_add3_u32 v7, v7, v3, s26
	v_or_b32_e32 v9, 0x400000, v3
	v_cmp_u_f32_e32 vcc, v3, v3
	v_cndmask_b32_e32 v3, v7, v9, vcc
	v_lshlrev_b32_e32 v7, 16, v17
	v_mul_f32_e32 v7, v8, v7
	v_bfe_u32 v8, v7, 16, 1
	v_add3_u32 v8, v8, v7, s26
	v_or_b32_e32 v9, 0x400000, v7
	v_cmp_u_f32_e32 vcc, v7, v7
	v_cndmask_b32_e32 v7, v8, v9, vcc
	v_lshlrev_b32_e32 v8, 16, v43
	v_and_b32_e32 v1, 0xffff0000, v1
	v_and_b32_e32 v0, 0xffff0000, v0
	v_mul_f32_e32 v5, v5, v8
	v_add_f32_e32 v0, v0, v1
	v_and_b32_e32 v1, 0xffff0000, v2
	v_and_b32_e32 v2, 0xffff0000, v4
	v_bfe_u32 v8, v5, 16, 1
	v_add_f32_e32 v1, v2, v1
	v_add3_u32 v8, v8, v5, s26
	v_or_b32_e32 v9, 0x400000, v5
	v_cmp_u_f32_e32 vcc, v5, v5
	v_add_f32_e32 v0, v1, v0
	v_and_b32_e32 v1, 0xffff0000, v3
	v_and_b32_e32 v2, 0xffff0000, v6
	v_cndmask_b32_e32 v5, v8, v9, vcc
	v_add_f32_e32 v1, v2, v1
	v_add_f32_e32 v0, v1, v0
	v_and_b32_e32 v1, 0xffff0000, v5
	v_and_b32_e32 v2, 0xffff0000, v7
	v_add_f32_e32 v1, v2, v1
	v_add_f32_e32 v0, v1, v0
	;; [unrolled: 1-line block ×3, first 2 shown]
	buffer_load_dword v0, off, s[44:47], 0  ; 4-byte Folded Reload
	v_add_co_u32_e32 v13, vcc, 8, v13
	v_addc_co_u32_e32 v14, vcc, 0, v14, vcc
	s_waitcnt vmcnt(0)
	v_add_u32_e32 v0, 2, v0
	v_cmp_le_i32_e32 vcc, s21, v0
	s_or_b64 s[6:7], vcc, s[6:7]
	buffer_store_dword v0, off, s[44:47], 0 ; 4-byte Folded Spill
	s_andn2_b64 exec, exec, s[6:7]
	s_cbranch_execz .LBB309_814
.LBB309_414:                            ; =>This Inner Loop Header: Depth=1
	global_load_dword v0, v[13:14], off
	buffer_load_dword v1, off, s[44:47], 0 offset:120 ; 4-byte Folded Reload
	buffer_load_dword v2, off, s[44:47], 0 offset:124 ; 4-byte Folded Reload
	s_waitcnt vmcnt(0)
	v_mad_i64_i32 v[15:16], s[0:1], v0, s31, v[1:2]
	v_mov_b32_e32 v0, 0
	global_load_dwordx2 v[17:18], v[15:16], off
	ds_read2_b64 v[5:8], v33 offset1:1
	ds_read2_b64 v[1:4], v33 offset0:2 offset1:3
	s_waitcnt vmcnt(0)
	v_cmp_ne_u16_sdwa s[12:13], v17, v10 src0_sel:BYTE_0 src1_sel:DWORD
	s_and_saveexec_b64 s[0:1], s[12:13]
	s_cbranch_execz .LBB309_420
; %bb.415:                              ;   in Loop: Header=BB309_414 Depth=1
	v_cmp_ne_u16_sdwa s[14:15], v17, s24 src0_sel:BYTE_0 src1_sel:DWORD
	v_bfrev_b32_e32 v0, 1
	s_and_saveexec_b64 s[12:13], s[14:15]
	s_cbranch_execz .LBB309_419
; %bb.416:                              ;   in Loop: Header=BB309_414 Depth=1
	v_and_b32_e32 v9, 0x7f, v17
	v_cmp_ne_u32_e32 vcc, s25, v9
	v_mov_b32_e32 v0, 0x7f800001
	s_and_saveexec_b64 s[14:15], vcc
	s_cbranch_execz .LBB309_418
; %bb.417:                              ;   in Loop: Header=BB309_414 Depth=1
	v_and_b32_e32 v0, 7, v17
	v_ffbh_u32_e32 v0, v0
	v_min_u32_e32 v0, 32, v0
	v_subrev_u32_e32 v12, 28, v0
	v_cmp_gt_u32_e32 vcc, 8, v9
	v_lshrrev_b32_e32 v11, 3, v9
	v_sub_u32_e32 v0, 29, v0
	v_cndmask_b32_e32 v9, 0, v12, vcc
	v_cndmask_b32_e32 v0, v11, v0, vcc
	v_lshlrev_b64 v[11:12], v9, v[17:18]
	v_bfrev_b32_e32 v12, 60
	v_lshlrev_b32_e32 v9, 20, v11
	v_lshlrev_b32_e32 v11, 24, v17
	v_and_b32_e32 v9, 0x700000, v9
	v_and_b32_e32 v11, 0x80000000, v11
	v_lshl_add_u32 v0, v0, 23, v12
	v_or3_b32 v0, v11, v0, v9
.LBB309_418:                            ;   in Loop: Header=BB309_414 Depth=1
	s_or_b64 exec, exec, s[14:15]
.LBB309_419:                            ;   in Loop: Header=BB309_414 Depth=1
	s_or_b64 exec, exec, s[12:13]
.LBB309_420:                            ;   in Loop: Header=BB309_414 Depth=1
	s_or_b64 exec, exec, s[0:1]
	v_lshrrev_b16_e32 v9, 8, v17
	v_cmp_ne_u16_e32 vcc, 0, v9
	v_mov_b32_e32 v12, 0
	v_mov_b32_e32 v11, 0
	s_and_saveexec_b64 s[0:1], vcc
	s_cbranch_execz .LBB309_426
; %bb.421:                              ;   in Loop: Header=BB309_414 Depth=1
	v_cmp_ne_u16_e32 vcc, s24, v9
	v_bfrev_b32_e32 v11, 1
	s_and_saveexec_b64 s[12:13], vcc
	s_cbranch_execz .LBB309_425
; %bb.422:                              ;   in Loop: Header=BB309_414 Depth=1
	v_and_b32_e32 v19, 0x7f, v9
	v_cmp_ne_u32_e32 vcc, s25, v19
	v_mov_b32_e32 v11, 0x7f800001
	s_and_saveexec_b64 s[14:15], vcc
	s_cbranch_execz .LBB309_424
; %bb.423:                              ;   in Loop: Header=BB309_414 Depth=1
	v_and_b32_e32 v11, 7, v9
	v_ffbh_u32_e32 v20, v11
	v_min_u32_e32 v23, 32, v20
	v_subrev_u32_e32 v20, 28, v23
	v_lshlrev_b64 v[20:21], v20, v[9:10]
	v_lshrrev_b32_e32 v22, 3, v19
	v_sub_u32_e32 v9, 29, v23
	v_and_b32_e32 v20, 7, v20
	v_cmp_gt_u32_e32 vcc, 8, v19
	v_cndmask_b32_e32 v9, v22, v9, vcc
	v_cndmask_b32_e32 v11, v11, v20, vcc
	v_lshlrev_b32_e32 v19, 16, v17
	v_bfrev_b32_e32 v20, 60
	v_lshlrev_b32_e32 v11, 20, v11
	v_and_b32_e32 v19, 0x80000000, v19
	v_lshl_add_u32 v9, v9, 23, v20
	v_or3_b32 v11, v19, v9, v11
.LBB309_424:                            ;   in Loop: Header=BB309_414 Depth=1
	s_or_b64 exec, exec, s[14:15]
.LBB309_425:                            ;   in Loop: Header=BB309_414 Depth=1
	s_or_b64 exec, exec, s[12:13]
.LBB309_426:                            ;   in Loop: Header=BB309_414 Depth=1
	s_or_b64 exec, exec, s[0:1]
	v_lshrrev_b32_e32 v9, 16, v17
	v_cmp_ne_u16_sdwa s[12:13], v9, v10 src0_sel:BYTE_0 src1_sel:DWORD
	s_and_saveexec_b64 s[0:1], s[12:13]
	s_cbranch_execz .LBB309_432
; %bb.427:                              ;   in Loop: Header=BB309_414 Depth=1
	v_cmp_ne_u16_sdwa s[14:15], v9, s24 src0_sel:BYTE_0 src1_sel:DWORD
	v_bfrev_b32_e32 v12, 1
	s_and_saveexec_b64 s[12:13], s[14:15]
	s_cbranch_execz .LBB309_431
; %bb.428:                              ;   in Loop: Header=BB309_414 Depth=1
	v_bfe_u32 v19, v17, 16, 7
	v_cmp_ne_u32_e32 vcc, s25, v19
	v_mov_b32_e32 v12, 0x7f800001
	s_and_saveexec_b64 s[14:15], vcc
	s_cbranch_execz .LBB309_430
; %bb.429:                              ;   in Loop: Header=BB309_414 Depth=1
	v_and_b32_e32 v12, 7, v9
	v_ffbh_u32_e32 v20, v12
	v_min_u32_e32 v23, 32, v20
	v_subrev_u32_e32 v20, 28, v23
	v_lshlrev_b64 v[20:21], v20, v[9:10]
	v_lshrrev_b32_e32 v22, 3, v19
	v_sub_u32_e32 v21, 29, v23
	v_and_b32_e32 v20, 7, v20
	v_cmp_gt_u32_e32 vcc, 8, v19
	v_cndmask_b32_e32 v19, v22, v21, vcc
	v_cndmask_b32_e32 v12, v12, v20, vcc
	v_lshlrev_b32_e32 v9, 24, v9
	v_bfrev_b32_e32 v20, 60
	v_lshlrev_b32_e32 v12, 20, v12
	v_and_b32_e32 v9, 0x80000000, v9
	v_lshl_add_u32 v19, v19, 23, v20
	v_or3_b32 v12, v9, v19, v12
.LBB309_430:                            ;   in Loop: Header=BB309_414 Depth=1
	s_or_b64 exec, exec, s[14:15]
.LBB309_431:                            ;   in Loop: Header=BB309_414 Depth=1
	s_or_b64 exec, exec, s[12:13]
.LBB309_432:                            ;   in Loop: Header=BB309_414 Depth=1
	s_or_b64 exec, exec, s[0:1]
	v_cmp_lt_u32_e32 vcc, s5, v17
	v_mov_b32_e32 v21, 0
	v_mov_b32_e32 v20, 0
	s_and_saveexec_b64 s[0:1], vcc
	s_cbranch_execz .LBB309_438
; %bb.433:                              ;   in Loop: Header=BB309_414 Depth=1
	v_lshrrev_b32_e32 v9, 24, v17
	v_cmp_ne_u32_e32 vcc, s24, v9
	v_bfrev_b32_e32 v20, 1
	s_and_saveexec_b64 s[12:13], vcc
	s_cbranch_execz .LBB309_437
; %bb.434:                              ;   in Loop: Header=BB309_414 Depth=1
	v_bfe_u32 v19, v17, 24, 7
	v_cmp_ne_u32_e32 vcc, s25, v19
	v_mov_b32_e32 v20, 0x7f800001
	s_and_saveexec_b64 s[14:15], vcc
	s_cbranch_execz .LBB309_436
; %bb.435:                              ;   in Loop: Header=BB309_414 Depth=1
	v_and_b32_e32 v20, 7, v9
	v_ffbh_u32_e32 v22, v20
	v_min_u32_e32 v35, 32, v22
	v_subrev_u32_e32 v22, 28, v35
	v_lshlrev_b64 v[22:23], v22, v[9:10]
	v_lshrrev_b32_e32 v34, 3, v19
	v_sub_u32_e32 v23, 29, v35
	v_and_b32_e32 v22, 7, v22
	v_cmp_gt_u32_e32 vcc, 8, v19
	v_cndmask_b32_e32 v19, v34, v23, vcc
	v_cndmask_b32_e32 v20, v20, v22, vcc
	v_lshlrev_b32_e32 v9, 24, v9
	v_bfrev_b32_e32 v22, 60
	v_lshlrev_b32_e32 v20, 20, v20
	v_and_b32_e32 v9, 0x80000000, v9
	v_lshl_add_u32 v19, v19, 23, v22
	v_or3_b32 v20, v9, v19, v20
.LBB309_436:                            ;   in Loop: Header=BB309_414 Depth=1
	s_or_b64 exec, exec, s[14:15]
.LBB309_437:                            ;   in Loop: Header=BB309_414 Depth=1
	s_or_b64 exec, exec, s[12:13]
.LBB309_438:                            ;   in Loop: Header=BB309_414 Depth=1
	s_or_b64 exec, exec, s[0:1]
	v_mov_b32_e32 v9, v18
	v_cmp_ne_u16_sdwa s[12:13], v18, v10 src0_sel:BYTE_0 src1_sel:DWORD
	s_and_saveexec_b64 s[0:1], s[12:13]
	s_cbranch_execz .LBB309_444
; %bb.439:                              ;   in Loop: Header=BB309_414 Depth=1
	v_cmp_ne_u16_sdwa s[14:15], v18, s24 src0_sel:BYTE_0 src1_sel:DWORD
	v_bfrev_b32_e32 v21, 1
	s_and_saveexec_b64 s[12:13], s[14:15]
	s_cbranch_execz .LBB309_443
; %bb.440:                              ;   in Loop: Header=BB309_414 Depth=1
	v_and_b32_e32 v19, 0x7f, v18
	v_cmp_ne_u32_e32 vcc, s25, v19
	v_mov_b32_e32 v21, 0x7f800001
	s_and_saveexec_b64 s[14:15], vcc
	s_cbranch_execz .LBB309_442
; %bb.441:                              ;   in Loop: Header=BB309_414 Depth=1
	v_and_b32_e32 v21, 7, v18
	v_ffbh_u32_e32 v21, v21
	v_min_u32_e32 v21, 32, v21
	v_lshrrev_b32_e32 v22, 3, v19
	v_subrev_u32_e32 v23, 28, v21
	v_sub_u32_e32 v21, 29, v21
	v_cmp_gt_u32_e32 vcc, 8, v19
	v_cndmask_b32_e32 v19, v22, v21, vcc
	v_cndmask_b32_e32 v21, 0, v23, vcc
	v_lshlrev_b64 v[21:22], v21, v[9:10]
	v_lshlrev_b32_e32 v22, 24, v9
	v_lshlrev_b32_e32 v21, 20, v21
	v_bfrev_b32_e32 v23, 60
	v_and_b32_e32 v21, 0x700000, v21
	v_and_b32_e32 v22, 0x80000000, v22
	v_lshl_add_u32 v19, v19, 23, v23
	v_or3_b32 v21, v22, v19, v21
.LBB309_442:                            ;   in Loop: Header=BB309_414 Depth=1
	s_or_b64 exec, exec, s[14:15]
.LBB309_443:                            ;   in Loop: Header=BB309_414 Depth=1
	s_or_b64 exec, exec, s[12:13]
.LBB309_444:                            ;   in Loop: Header=BB309_414 Depth=1
	s_or_b64 exec, exec, s[0:1]
	v_lshrrev_b16_e32 v19, 8, v9
	v_cmp_ne_u16_e32 vcc, 0, v19
	v_mov_b32_e32 v22, 0
	v_mov_b32_e32 v23, 0
	s_and_saveexec_b64 s[0:1], vcc
	s_cbranch_execz .LBB309_450
; %bb.445:                              ;   in Loop: Header=BB309_414 Depth=1
	v_cmp_ne_u16_e32 vcc, s24, v19
	v_bfrev_b32_e32 v23, 1
	s_and_saveexec_b64 s[12:13], vcc
	s_cbranch_execz .LBB309_449
; %bb.446:                              ;   in Loop: Header=BB309_414 Depth=1
	v_and_b32_e32 v34, 0x7f, v19
	v_cmp_ne_u32_e32 vcc, s25, v34
	v_mov_b32_e32 v23, 0x7f800001
	s_and_saveexec_b64 s[14:15], vcc
	s_cbranch_execz .LBB309_448
; %bb.447:                              ;   in Loop: Header=BB309_414 Depth=1
	v_and_b32_e32 v23, 7, v19
	v_ffbh_u32_e32 v35, v23
	v_min_u32_e32 v38, 32, v35
	v_subrev_u32_e32 v35, 28, v38
	v_lshlrev_b64 v[35:36], v35, v[19:20]
	v_lshrrev_b32_e32 v37, 3, v34
	v_sub_u32_e32 v19, 29, v38
	v_and_b32_e32 v35, 7, v35
	v_cmp_gt_u32_e32 vcc, 8, v34
	v_cndmask_b32_e32 v19, v37, v19, vcc
	v_cndmask_b32_e32 v23, v23, v35, vcc
	v_lshlrev_b32_e32 v9, 16, v9
	v_bfrev_b32_e32 v34, 60
	v_lshlrev_b32_e32 v23, 20, v23
	v_and_b32_e32 v9, 0x80000000, v9
	v_lshl_add_u32 v19, v19, 23, v34
	v_or3_b32 v23, v9, v19, v23
.LBB309_448:                            ;   in Loop: Header=BB309_414 Depth=1
	s_or_b64 exec, exec, s[14:15]
.LBB309_449:                            ;   in Loop: Header=BB309_414 Depth=1
	s_or_b64 exec, exec, s[12:13]
.LBB309_450:                            ;   in Loop: Header=BB309_414 Depth=1
	s_or_b64 exec, exec, s[0:1]
	v_lshrrev_b32_e32 v9, 16, v18
	v_cmp_ne_u16_sdwa s[12:13], v9, v10 src0_sel:BYTE_0 src1_sel:DWORD
	s_and_saveexec_b64 s[0:1], s[12:13]
	s_cbranch_execz .LBB309_456
; %bb.451:                              ;   in Loop: Header=BB309_414 Depth=1
	v_cmp_ne_u16_sdwa s[14:15], v9, s24 src0_sel:BYTE_0 src1_sel:DWORD
	v_bfrev_b32_e32 v22, 1
	s_and_saveexec_b64 s[12:13], s[14:15]
	s_cbranch_execz .LBB309_455
; %bb.452:                              ;   in Loop: Header=BB309_414 Depth=1
	v_bfe_u32 v19, v18, 16, 7
	v_cmp_ne_u32_e32 vcc, s25, v19
	v_mov_b32_e32 v22, 0x7f800001
	s_and_saveexec_b64 s[14:15], vcc
	s_cbranch_execz .LBB309_454
; %bb.453:                              ;   in Loop: Header=BB309_414 Depth=1
	v_and_b32_e32 v22, 7, v9
	v_ffbh_u32_e32 v34, v22
	v_min_u32_e32 v37, 32, v34
	v_subrev_u32_e32 v34, 28, v37
	v_lshlrev_b64 v[34:35], v34, v[9:10]
	v_lshrrev_b32_e32 v36, 3, v19
	v_sub_u32_e32 v35, 29, v37
	v_and_b32_e32 v34, 7, v34
	v_cmp_gt_u32_e32 vcc, 8, v19
	v_cndmask_b32_e32 v19, v36, v35, vcc
	v_cndmask_b32_e32 v22, v22, v34, vcc
	v_lshlrev_b32_e32 v9, 24, v9
	v_bfrev_b32_e32 v34, 60
	v_lshlrev_b32_e32 v22, 20, v22
	v_and_b32_e32 v9, 0x80000000, v9
	v_lshl_add_u32 v19, v19, 23, v34
	v_or3_b32 v22, v9, v19, v22
.LBB309_454:                            ;   in Loop: Header=BB309_414 Depth=1
	s_or_b64 exec, exec, s[14:15]
.LBB309_455:                            ;   in Loop: Header=BB309_414 Depth=1
	s_or_b64 exec, exec, s[12:13]
.LBB309_456:                            ;   in Loop: Header=BB309_414 Depth=1
	s_or_b64 exec, exec, s[0:1]
	v_cmp_lt_u64_e32 vcc, s[4:5], v[17:18]
	v_mov_b32_e32 v17, 0
	s_and_saveexec_b64 s[0:1], vcc
	s_cbranch_execz .LBB309_462
; %bb.457:                              ;   in Loop: Header=BB309_414 Depth=1
	v_lshrrev_b32_e32 v9, 24, v18
	v_cmp_ne_u32_e32 vcc, s24, v9
	v_bfrev_b32_e32 v17, 1
	s_and_saveexec_b64 s[12:13], vcc
	s_cbranch_execz .LBB309_461
; %bb.458:                              ;   in Loop: Header=BB309_414 Depth=1
	v_bfe_u32 v18, v18, 24, 7
	v_cmp_ne_u32_e32 vcc, s25, v18
	v_mov_b32_e32 v17, 0x7f800001
	s_and_saveexec_b64 s[14:15], vcc
	s_cbranch_execz .LBB309_460
; %bb.459:                              ;   in Loop: Header=BB309_414 Depth=1
	v_and_b32_e32 v17, 7, v9
	v_ffbh_u32_e32 v34, v17
	v_min_u32_e32 v36, 32, v34
	v_subrev_u32_e32 v34, 28, v36
	v_lshlrev_b64 v[34:35], v34, v[9:10]
	v_lshrrev_b32_e32 v19, 3, v18
	v_sub_u32_e32 v35, 29, v36
	v_and_b32_e32 v34, 7, v34
	v_cmp_gt_u32_e32 vcc, 8, v18
	v_cndmask_b32_e32 v18, v19, v35, vcc
	v_cndmask_b32_e32 v17, v17, v34, vcc
	v_lshlrev_b32_e32 v9, 24, v9
	v_bfrev_b32_e32 v19, 60
	v_lshlrev_b32_e32 v17, 20, v17
	v_and_b32_e32 v9, 0x80000000, v9
	v_lshl_add_u32 v18, v18, 23, v19
	v_or3_b32 v17, v9, v18, v17
.LBB309_460:                            ;   in Loop: Header=BB309_414 Depth=1
	s_or_b64 exec, exec, s[14:15]
.LBB309_461:                            ;   in Loop: Header=BB309_414 Depth=1
	s_or_b64 exec, exec, s[12:13]
.LBB309_462:                            ;   in Loop: Header=BB309_414 Depth=1
	s_or_b64 exec, exec, s[0:1]
	buffer_load_dword v9, off, s[44:47], 0  ; 4-byte Folded Reload
	s_waitcnt lgkmcnt(0)
	v_mul_f32_e32 v0, s18, v0
	s_waitcnt vmcnt(0)
	v_cmp_eq_u32_e32 vcc, s19, v9
	v_mul_f32_e32 v9, s18, v23
	v_bfe_u32 v18, v9, 16, 1
	v_add3_u32 v18, v18, v9, s26
	v_or_b32_e32 v19, 0x400000, v9
	v_cmp_u_f32_e64 s[0:1], v9, v9
	v_cndmask_b32_e64 v9, v18, v19, s[0:1]
	v_lshrrev_b32_e32 v9, 16, v9
	buffer_store_dword v9, off, s[44:47], 0 offset:4 ; 4-byte Folded Spill
	v_mul_f32_e32 v9, s18, v21
	v_bfe_u32 v18, v9, 16, 1
	v_add3_u32 v18, v18, v9, s26
	v_or_b32_e32 v19, 0x400000, v9
	v_cmp_u_f32_e64 s[0:1], v9, v9
	v_cndmask_b32_e64 v9, v18, v19, s[0:1]
	v_lshrrev_b32_e32 v9, 16, v9
	buffer_store_dword v9, off, s[44:47], 0 offset:8 ; 4-byte Folded Spill
	;; [unrolled: 8-line block ×5, first 2 shown]
	v_bfe_u32 v9, v0, 16, 1
	v_add3_u32 v9, v9, v0, s26
	v_or_b32_e32 v11, 0x400000, v0
	v_cmp_u_f32_e64 s[0:1], v0, v0
	v_cndmask_b32_e64 v0, v9, v11, s[0:1]
	v_lshrrev_b32_e32 v0, 16, v0
	buffer_store_dword v0, off, s[44:47], 0 offset:32 ; 4-byte Folded Spill
	v_mul_f32_e32 v0, s18, v22
	v_bfe_u32 v9, v0, 16, 1
	v_add3_u32 v9, v9, v0, s26
	v_or_b32_e32 v11, 0x400000, v0
	v_cmp_u_f32_e64 s[0:1], v0, v0
	v_cndmask_b32_e64 v0, v9, v11, s[0:1]
	v_lshrrev_b32_e32 v0, 16, v0
	buffer_store_dword v0, off, s[44:47], 0 offset:12 ; 4-byte Folded Spill
	v_mul_f32_e32 v0, s18, v17
	v_bfe_u32 v9, v0, 16, 1
	v_add3_u32 v9, v9, v0, s26
	v_or_b32_e32 v11, 0x400000, v0
	v_cmp_u_f32_e64 s[0:1], v0, v0
	v_cndmask_b32_e64 v0, v9, v11, s[0:1]
	v_lshrrev_b32_e32 v0, 16, v0
	buffer_store_dword v0, off, s[44:47], 0 offset:24 ; 4-byte Folded Spill
	s_and_saveexec_b64 s[12:13], vcc
	s_cbranch_execz .LBB309_464
; %bb.463:                              ;   in Loop: Header=BB309_414 Depth=1
	v_add_u32_e32 v0, -7, v32
	v_cmp_gt_i32_e64 s[0:1], s30, v0
	buffer_load_dword v0, off, s[44:47], 0 offset:32 ; 4-byte Folded Reload
	s_waitcnt vmcnt(0)
	v_cndmask_b32_e64 v0, 0, v0, s[0:1]
	buffer_store_dword v0, off, s[44:47], 0 offset:32 ; 4-byte Folded Spill
	v_add_u32_e32 v0, -6, v32
	v_cmp_gt_i32_e64 s[0:1], s30, v0
	buffer_load_dword v0, off, s[44:47], 0 offset:28 ; 4-byte Folded Reload
	s_waitcnt vmcnt(0)
	v_cndmask_b32_e64 v0, 0, v0, s[0:1]
	buffer_store_dword v0, off, s[44:47], 0 offset:28 ; 4-byte Folded Spill
	;; [unrolled: 6-line block ×7, first 2 shown]
	buffer_load_dword v0, off, s[44:47], 0 offset:24 ; 4-byte Folded Reload
	v_cmp_gt_i32_e64 s[0:1], s30, v32
	s_waitcnt vmcnt(0)
	v_cndmask_b32_e64 v0, 0, v0, s[0:1]
	buffer_store_dword v0, off, s[44:47], 0 offset:24 ; 4-byte Folded Spill
.LBB309_464:                            ;   in Loop: Header=BB309_414 Depth=1
	s_or_b64 exec, exec, s[12:13]
	global_load_dwordx2 v[17:18], v[15:16], off offset:512
	v_mov_b32_e32 v11, 0
	v_mov_b32_e32 v0, 0
	s_waitcnt vmcnt(0)
	v_cmp_ne_u16_sdwa s[0:1], v17, v10 src0_sel:BYTE_0 src1_sel:DWORD
	s_and_saveexec_b64 s[12:13], s[0:1]
	s_cbranch_execz .LBB309_470
; %bb.465:                              ;   in Loop: Header=BB309_414 Depth=1
	v_cmp_ne_u16_sdwa s[0:1], v17, s24 src0_sel:BYTE_0 src1_sel:DWORD
	v_bfrev_b32_e32 v0, 1
	s_and_saveexec_b64 s[14:15], s[0:1]
	s_cbranch_execz .LBB309_469
; %bb.466:                              ;   in Loop: Header=BB309_414 Depth=1
	v_and_b32_e32 v9, 0x7f, v17
	v_cmp_ne_u32_e64 s[0:1], s25, v9
	v_mov_b32_e32 v0, 0x7f800001
	s_and_saveexec_b64 s[16:17], s[0:1]
	s_cbranch_execz .LBB309_468
; %bb.467:                              ;   in Loop: Header=BB309_414 Depth=1
	v_and_b32_e32 v0, 7, v17
	v_ffbh_u32_e32 v0, v0
	v_min_u32_e32 v0, 32, v0
	v_subrev_u32_e32 v19, 28, v0
	v_cmp_gt_u32_e64 s[0:1], 8, v9
	v_lshrrev_b32_e32 v12, 3, v9
	v_cndmask_b32_e64 v9, 0, v19, s[0:1]
	v_lshlrev_b64 v[19:20], v9, v[17:18]
	v_sub_u32_e32 v0, 29, v0
	v_cndmask_b32_e64 v0, v12, v0, s[0:1]
	v_lshlrev_b32_e32 v9, 20, v19
	v_lshlrev_b32_e32 v12, 24, v17
	v_bfrev_b32_e32 v19, 60
	v_and_b32_e32 v9, 0x700000, v9
	v_and_b32_e32 v12, 0x80000000, v12
	v_lshl_add_u32 v0, v0, 23, v19
	v_or3_b32 v0, v12, v0, v9
.LBB309_468:                            ;   in Loop: Header=BB309_414 Depth=1
	s_or_b64 exec, exec, s[16:17]
.LBB309_469:                            ;   in Loop: Header=BB309_414 Depth=1
	s_or_b64 exec, exec, s[14:15]
.LBB309_470:                            ;   in Loop: Header=BB309_414 Depth=1
	s_or_b64 exec, exec, s[12:13]
	v_lshrrev_b16_e32 v9, 8, v17
	v_cmp_ne_u16_e64 s[0:1], 0, v9
	s_and_saveexec_b64 s[12:13], s[0:1]
	s_cbranch_execz .LBB309_476
; %bb.471:                              ;   in Loop: Header=BB309_414 Depth=1
	v_cmp_ne_u16_e64 s[0:1], s24, v9
	v_bfrev_b32_e32 v11, 1
	s_and_saveexec_b64 s[14:15], s[0:1]
	s_cbranch_execz .LBB309_475
; %bb.472:                              ;   in Loop: Header=BB309_414 Depth=1
	v_and_b32_e32 v12, 0x7f, v9
	v_cmp_ne_u32_e64 s[0:1], s25, v12
	v_mov_b32_e32 v11, 0x7f800001
	s_and_saveexec_b64 s[16:17], s[0:1]
	s_cbranch_execz .LBB309_474
; %bb.473:                              ;   in Loop: Header=BB309_414 Depth=1
	v_and_b32_e32 v11, 7, v9
	v_ffbh_u32_e32 v19, v11
	v_min_u32_e32 v22, 32, v19
	v_subrev_u32_e32 v19, 28, v22
	v_lshlrev_b64 v[19:20], v19, v[9:10]
	v_lshrrev_b32_e32 v21, 3, v12
	v_sub_u32_e32 v9, 29, v22
	v_and_b32_e32 v19, 7, v19
	v_cmp_gt_u32_e64 s[0:1], 8, v12
	v_cndmask_b32_e64 v9, v21, v9, s[0:1]
	v_cndmask_b32_e64 v11, v11, v19, s[0:1]
	v_lshlrev_b32_e32 v12, 16, v17
	v_bfrev_b32_e32 v19, 60
	v_lshlrev_b32_e32 v11, 20, v11
	v_and_b32_e32 v12, 0x80000000, v12
	v_lshl_add_u32 v9, v9, 23, v19
	v_or3_b32 v11, v12, v9, v11
.LBB309_474:                            ;   in Loop: Header=BB309_414 Depth=1
	s_or_b64 exec, exec, s[16:17]
.LBB309_475:                            ;   in Loop: Header=BB309_414 Depth=1
	s_or_b64 exec, exec, s[14:15]
.LBB309_476:                            ;   in Loop: Header=BB309_414 Depth=1
	s_or_b64 exec, exec, s[12:13]
	v_lshrrev_b32_e32 v9, 16, v17
	v_cmp_ne_u16_sdwa s[0:1], v9, v10 src0_sel:BYTE_0 src1_sel:DWORD
	v_mov_b32_e32 v20, 0
	v_mov_b32_e32 v12, 0
	s_and_saveexec_b64 s[12:13], s[0:1]
	s_cbranch_execz .LBB309_482
; %bb.477:                              ;   in Loop: Header=BB309_414 Depth=1
	v_cmp_ne_u16_sdwa s[0:1], v9, s24 src0_sel:BYTE_0 src1_sel:DWORD
	v_bfrev_b32_e32 v12, 1
	s_and_saveexec_b64 s[14:15], s[0:1]
	s_cbranch_execz .LBB309_481
; %bb.478:                              ;   in Loop: Header=BB309_414 Depth=1
	v_bfe_u32 v19, v17, 16, 7
	v_cmp_ne_u32_e64 s[0:1], s25, v19
	v_mov_b32_e32 v12, 0x7f800001
	s_and_saveexec_b64 s[16:17], s[0:1]
	s_cbranch_execz .LBB309_480
; %bb.479:                              ;   in Loop: Header=BB309_414 Depth=1
	v_and_b32_e32 v12, 7, v9
	v_ffbh_u32_e32 v21, v12
	v_min_u32_e32 v34, 32, v21
	v_subrev_u32_e32 v21, 28, v34
	v_lshlrev_b64 v[21:22], v21, v[9:10]
	v_lshrrev_b32_e32 v23, 3, v19
	v_sub_u32_e32 v22, 29, v34
	v_and_b32_e32 v21, 7, v21
	v_cmp_gt_u32_e64 s[0:1], 8, v19
	v_cndmask_b32_e64 v19, v23, v22, s[0:1]
	v_cndmask_b32_e64 v12, v12, v21, s[0:1]
	v_lshlrev_b32_e32 v9, 24, v9
	v_bfrev_b32_e32 v21, 60
	v_lshlrev_b32_e32 v12, 20, v12
	v_and_b32_e32 v9, 0x80000000, v9
	v_lshl_add_u32 v19, v19, 23, v21
	v_or3_b32 v12, v9, v19, v12
.LBB309_480:                            ;   in Loop: Header=BB309_414 Depth=1
	s_or_b64 exec, exec, s[16:17]
.LBB309_481:                            ;   in Loop: Header=BB309_414 Depth=1
	s_or_b64 exec, exec, s[14:15]
.LBB309_482:                            ;   in Loop: Header=BB309_414 Depth=1
	s_or_b64 exec, exec, s[12:13]
	v_cmp_lt_u32_e64 s[0:1], s5, v17
	s_and_saveexec_b64 s[12:13], s[0:1]
	s_cbranch_execz .LBB309_488
; %bb.483:                              ;   in Loop: Header=BB309_414 Depth=1
	v_lshrrev_b32_e32 v9, 24, v17
	v_cmp_ne_u32_e64 s[0:1], s24, v9
	v_bfrev_b32_e32 v20, 1
	s_and_saveexec_b64 s[14:15], s[0:1]
	s_cbranch_execz .LBB309_487
; %bb.484:                              ;   in Loop: Header=BB309_414 Depth=1
	v_bfe_u32 v19, v17, 24, 7
	v_cmp_ne_u32_e64 s[0:1], s25, v19
	v_mov_b32_e32 v20, 0x7f800001
	s_and_saveexec_b64 s[16:17], s[0:1]
	s_cbranch_execz .LBB309_486
; %bb.485:                              ;   in Loop: Header=BB309_414 Depth=1
	v_and_b32_e32 v22, 7, v9
	v_ffbh_u32_e32 v20, v22
	v_min_u32_e32 v34, 32, v20
	v_subrev_u32_e32 v20, 28, v34
	v_lshlrev_b64 v[20:21], v20, v[9:10]
	v_lshrrev_b32_e32 v23, 3, v19
	v_sub_u32_e32 v21, 29, v34
	v_and_b32_e32 v20, 7, v20
	v_cmp_gt_u32_e64 s[0:1], 8, v19
	v_cndmask_b32_e64 v19, v23, v21, s[0:1]
	v_cndmask_b32_e64 v20, v22, v20, s[0:1]
	v_lshlrev_b32_e32 v9, 24, v9
	v_bfrev_b32_e32 v21, 60
	v_lshlrev_b32_e32 v20, 20, v20
	v_and_b32_e32 v9, 0x80000000, v9
	v_lshl_add_u32 v19, v19, 23, v21
	v_or3_b32 v20, v9, v19, v20
.LBB309_486:                            ;   in Loop: Header=BB309_414 Depth=1
	s_or_b64 exec, exec, s[16:17]
.LBB309_487:                            ;   in Loop: Header=BB309_414 Depth=1
	s_or_b64 exec, exec, s[14:15]
.LBB309_488:                            ;   in Loop: Header=BB309_414 Depth=1
	s_or_b64 exec, exec, s[12:13]
	v_mov_b32_e32 v9, v18
	v_cmp_ne_u16_sdwa s[0:1], v18, v10 src0_sel:BYTE_0 src1_sel:DWORD
	v_mov_b32_e32 v22, 0
	v_mov_b32_e32 v21, 0
	s_and_saveexec_b64 s[12:13], s[0:1]
	s_cbranch_execz .LBB309_494
; %bb.489:                              ;   in Loop: Header=BB309_414 Depth=1
	v_cmp_ne_u16_sdwa s[0:1], v18, s24 src0_sel:BYTE_0 src1_sel:DWORD
	v_bfrev_b32_e32 v21, 1
	s_and_saveexec_b64 s[14:15], s[0:1]
	s_cbranch_execz .LBB309_493
; %bb.490:                              ;   in Loop: Header=BB309_414 Depth=1
	v_and_b32_e32 v19, 0x7f, v18
	v_cmp_ne_u32_e64 s[0:1], s25, v19
	v_mov_b32_e32 v21, 0x7f800001
	s_and_saveexec_b64 s[16:17], s[0:1]
	s_cbranch_execz .LBB309_492
; %bb.491:                              ;   in Loop: Header=BB309_414 Depth=1
	v_and_b32_e32 v21, 7, v18
	v_ffbh_u32_e32 v21, v21
	v_min_u32_e32 v21, 32, v21
	v_lshrrev_b32_e32 v23, 3, v19
	v_subrev_u32_e32 v34, 28, v21
	v_sub_u32_e32 v21, 29, v21
	v_cmp_gt_u32_e64 s[0:1], 8, v19
	v_cndmask_b32_e64 v19, v23, v21, s[0:1]
	v_cndmask_b32_e64 v21, 0, v34, s[0:1]
	v_lshlrev_b64 v[34:35], v21, v[9:10]
	v_lshlrev_b32_e32 v23, 24, v9
	v_lshlrev_b32_e32 v21, 20, v34
	v_bfrev_b32_e32 v34, 60
	v_and_b32_e32 v21, 0x700000, v21
	v_and_b32_e32 v23, 0x80000000, v23
	v_lshl_add_u32 v19, v19, 23, v34
	v_or3_b32 v21, v23, v19, v21
.LBB309_492:                            ;   in Loop: Header=BB309_414 Depth=1
	s_or_b64 exec, exec, s[16:17]
.LBB309_493:                            ;   in Loop: Header=BB309_414 Depth=1
	s_or_b64 exec, exec, s[14:15]
.LBB309_494:                            ;   in Loop: Header=BB309_414 Depth=1
	s_or_b64 exec, exec, s[12:13]
	v_lshrrev_b16_e32 v19, 8, v9
	v_cmp_ne_u16_e64 s[0:1], 0, v19
	s_and_saveexec_b64 s[12:13], s[0:1]
	s_cbranch_execz .LBB309_500
; %bb.495:                              ;   in Loop: Header=BB309_414 Depth=1
	v_cmp_ne_u16_e64 s[0:1], s24, v19
	v_bfrev_b32_e32 v22, 1
	s_and_saveexec_b64 s[14:15], s[0:1]
	s_cbranch_execz .LBB309_499
; %bb.496:                              ;   in Loop: Header=BB309_414 Depth=1
	v_and_b32_e32 v23, 0x7f, v19
	v_cmp_ne_u32_e64 s[0:1], s25, v23
	v_mov_b32_e32 v22, 0x7f800001
	s_and_saveexec_b64 s[16:17], s[0:1]
	s_cbranch_execz .LBB309_498
; %bb.497:                              ;   in Loop: Header=BB309_414 Depth=1
	v_and_b32_e32 v22, 7, v19
	v_ffbh_u32_e32 v34, v22
	v_min_u32_e32 v37, 32, v34
	v_subrev_u32_e32 v34, 28, v37
	v_lshlrev_b64 v[34:35], v34, v[19:20]
	v_lshrrev_b32_e32 v36, 3, v23
	v_sub_u32_e32 v19, 29, v37
	v_and_b32_e32 v34, 7, v34
	v_cmp_gt_u32_e64 s[0:1], 8, v23
	v_cndmask_b32_e64 v19, v36, v19, s[0:1]
	v_cndmask_b32_e64 v22, v22, v34, s[0:1]
	v_lshlrev_b32_e32 v9, 16, v9
	v_bfrev_b32_e32 v23, 60
	v_lshlrev_b32_e32 v22, 20, v22
	v_and_b32_e32 v9, 0x80000000, v9
	v_lshl_add_u32 v19, v19, 23, v23
	v_or3_b32 v22, v9, v19, v22
.LBB309_498:                            ;   in Loop: Header=BB309_414 Depth=1
	s_or_b64 exec, exec, s[16:17]
.LBB309_499:                            ;   in Loop: Header=BB309_414 Depth=1
	s_or_b64 exec, exec, s[14:15]
.LBB309_500:                            ;   in Loop: Header=BB309_414 Depth=1
	s_or_b64 exec, exec, s[12:13]
	v_lshrrev_b32_e32 v9, 16, v18
	v_cmp_ne_u16_sdwa s[0:1], v9, v10 src0_sel:BYTE_0 src1_sel:DWORD
	v_mov_b32_e32 v19, 0
	v_mov_b32_e32 v23, 0
	s_and_saveexec_b64 s[12:13], s[0:1]
	s_cbranch_execz .LBB309_506
; %bb.501:                              ;   in Loop: Header=BB309_414 Depth=1
	v_cmp_ne_u16_sdwa s[0:1], v9, s24 src0_sel:BYTE_0 src1_sel:DWORD
	v_bfrev_b32_e32 v23, 1
	s_and_saveexec_b64 s[14:15], s[0:1]
	s_cbranch_execz .LBB309_505
; %bb.502:                              ;   in Loop: Header=BB309_414 Depth=1
	v_bfe_u32 v34, v18, 16, 7
	v_cmp_ne_u32_e64 s[0:1], s25, v34
	v_mov_b32_e32 v23, 0x7f800001
	s_and_saveexec_b64 s[16:17], s[0:1]
	s_cbranch_execz .LBB309_504
; %bb.503:                              ;   in Loop: Header=BB309_414 Depth=1
	v_and_b32_e32 v23, 7, v9
	v_ffbh_u32_e32 v35, v23
	v_min_u32_e32 v38, 32, v35
	v_subrev_u32_e32 v35, 28, v38
	v_lshlrev_b64 v[35:36], v35, v[9:10]
	v_lshrrev_b32_e32 v37, 3, v34
	v_sub_u32_e32 v36, 29, v38
	v_and_b32_e32 v35, 7, v35
	v_cmp_gt_u32_e64 s[0:1], 8, v34
	v_cndmask_b32_e64 v34, v37, v36, s[0:1]
	v_cndmask_b32_e64 v23, v23, v35, s[0:1]
	v_lshlrev_b32_e32 v9, 24, v9
	v_bfrev_b32_e32 v35, 60
	v_lshlrev_b32_e32 v23, 20, v23
	v_and_b32_e32 v9, 0x80000000, v9
	v_lshl_add_u32 v34, v34, 23, v35
	v_or3_b32 v23, v9, v34, v23
.LBB309_504:                            ;   in Loop: Header=BB309_414 Depth=1
	s_or_b64 exec, exec, s[16:17]
.LBB309_505:                            ;   in Loop: Header=BB309_414 Depth=1
	s_or_b64 exec, exec, s[14:15]
.LBB309_506:                            ;   in Loop: Header=BB309_414 Depth=1
	s_or_b64 exec, exec, s[12:13]
	v_cmp_lt_u64_e64 s[0:1], s[4:5], v[17:18]
	s_and_saveexec_b64 s[12:13], s[0:1]
	s_cbranch_execz .LBB309_512
; %bb.507:                              ;   in Loop: Header=BB309_414 Depth=1
	v_lshrrev_b32_e32 v9, 24, v18
	v_cmp_ne_u32_e64 s[0:1], s24, v9
	v_bfrev_b32_e32 v19, 1
	s_and_saveexec_b64 s[14:15], s[0:1]
	s_cbranch_execz .LBB309_511
; %bb.508:                              ;   in Loop: Header=BB309_414 Depth=1
	v_bfe_u32 v17, v18, 24, 7
	v_cmp_ne_u32_e64 s[0:1], s25, v17
	v_mov_b32_e32 v19, 0x7f800001
	s_and_saveexec_b64 s[16:17], s[0:1]
	s_cbranch_execz .LBB309_510
; %bb.509:                              ;   in Loop: Header=BB309_414 Depth=1
	v_and_b32_e32 v34, 7, v9
	v_ffbh_u32_e32 v18, v34
	v_min_u32_e32 v36, 32, v18
	v_subrev_u32_e32 v18, 28, v36
	v_lshlrev_b64 v[18:19], v18, v[9:10]
	v_lshrrev_b32_e32 v35, 3, v17
	v_sub_u32_e32 v19, 29, v36
	v_and_b32_e32 v18, 7, v18
	v_cmp_gt_u32_e64 s[0:1], 8, v17
	v_cndmask_b32_e64 v17, v35, v19, s[0:1]
	v_cndmask_b32_e64 v18, v34, v18, s[0:1]
	v_lshlrev_b32_e32 v9, 24, v9
	v_bfrev_b32_e32 v19, 60
	v_lshlrev_b32_e32 v18, 20, v18
	v_and_b32_e32 v9, 0x80000000, v9
	v_lshl_add_u32 v17, v17, 23, v19
	v_or3_b32 v19, v9, v17, v18
.LBB309_510:                            ;   in Loop: Header=BB309_414 Depth=1
	s_or_b64 exec, exec, s[16:17]
.LBB309_511:                            ;   in Loop: Header=BB309_414 Depth=1
	s_or_b64 exec, exec, s[14:15]
.LBB309_512:                            ;   in Loop: Header=BB309_414 Depth=1
	s_or_b64 exec, exec, s[12:13]
	v_mul_f32_e32 v9, s18, v22
	v_bfe_u32 v17, v9, 16, 1
	v_add3_u32 v17, v17, v9, s26
	v_or_b32_e32 v18, 0x400000, v9
	v_cmp_u_f32_e64 s[0:1], v9, v9
	v_cndmask_b32_e64 v9, v17, v18, s[0:1]
	v_lshrrev_b32_e32 v9, 16, v9
	buffer_store_dword v9, off, s[44:47], 0 offset:36 ; 4-byte Folded Spill
	v_mul_f32_e32 v9, s18, v21
	v_bfe_u32 v17, v9, 16, 1
	v_add3_u32 v17, v17, v9, s26
	v_or_b32_e32 v18, 0x400000, v9
	v_cmp_u_f32_e64 s[0:1], v9, v9
	v_cndmask_b32_e64 v9, v17, v18, s[0:1]
	v_lshrrev_b32_e32 v9, 16, v9
	buffer_store_dword v9, off, s[44:47], 0 offset:44 ; 4-byte Folded Spill
	;; [unrolled: 8-line block ×4, first 2 shown]
	v_mul_f32_e32 v9, s18, v11
	v_bfe_u32 v11, v9, 16, 1
	v_add3_u32 v11, v11, v9, s26
	v_or_b32_e32 v12, 0x400000, v9
	v_cmp_u_f32_e64 s[0:1], v9, v9
	v_cndmask_b32_e64 v9, v11, v12, s[0:1]
	v_lshrrev_b32_e32 v9, 16, v9
	v_mul_f32_e32 v0, s18, v0
	buffer_store_dword v9, off, s[44:47], 0 offset:64 ; 4-byte Folded Spill
	v_bfe_u32 v9, v0, 16, 1
	v_add3_u32 v9, v9, v0, s26
	v_or_b32_e32 v11, 0x400000, v0
	v_cmp_u_f32_e64 s[0:1], v0, v0
	v_cndmask_b32_e64 v0, v9, v11, s[0:1]
	v_lshrrev_b32_e32 v0, 16, v0
	buffer_store_dword v0, off, s[44:47], 0 offset:68 ; 4-byte Folded Spill
	v_mul_f32_e32 v0, s18, v23
	v_bfe_u32 v9, v0, 16, 1
	v_add3_u32 v9, v9, v0, s26
	v_or_b32_e32 v11, 0x400000, v0
	v_cmp_u_f32_e64 s[0:1], v0, v0
	v_cndmask_b32_e64 v0, v9, v11, s[0:1]
	v_lshrrev_b32_e32 v0, 16, v0
	buffer_store_dword v0, off, s[44:47], 0 offset:48 ; 4-byte Folded Spill
	v_mul_f32_e32 v0, s18, v19
	v_bfe_u32 v9, v0, 16, 1
	v_add3_u32 v9, v9, v0, s26
	v_or_b32_e32 v11, 0x400000, v0
	v_cmp_u_f32_e64 s[0:1], v0, v0
	v_cndmask_b32_e64 v0, v9, v11, s[0:1]
	v_lshrrev_b32_e32 v0, 16, v0
	buffer_store_dword v0, off, s[44:47], 0 offset:60 ; 4-byte Folded Spill
	s_and_saveexec_b64 s[12:13], vcc
	s_cbranch_execz .LBB309_514
; %bb.513:                              ;   in Loop: Header=BB309_414 Depth=1
	v_add_u32_e32 v0, -7, v32
	v_cmp_gt_i32_e64 s[0:1], s30, v0
	buffer_load_dword v0, off, s[44:47], 0 offset:68 ; 4-byte Folded Reload
	s_waitcnt vmcnt(0)
	v_cndmask_b32_e64 v0, 0, v0, s[0:1]
	buffer_store_dword v0, off, s[44:47], 0 offset:68 ; 4-byte Folded Spill
	v_add_u32_e32 v0, -6, v32
	v_cmp_gt_i32_e64 s[0:1], s30, v0
	buffer_load_dword v0, off, s[44:47], 0 offset:64 ; 4-byte Folded Reload
	s_waitcnt vmcnt(0)
	v_cndmask_b32_e64 v0, 0, v0, s[0:1]
	buffer_store_dword v0, off, s[44:47], 0 offset:64 ; 4-byte Folded Spill
	;; [unrolled: 6-line block ×7, first 2 shown]
	buffer_load_dword v0, off, s[44:47], 0 offset:60 ; 4-byte Folded Reload
	v_cmp_gt_i32_e64 s[0:1], s30, v32
	s_waitcnt vmcnt(0)
	v_cndmask_b32_e64 v0, 0, v0, s[0:1]
	buffer_store_dword v0, off, s[44:47], 0 offset:60 ; 4-byte Folded Spill
.LBB309_514:                            ;   in Loop: Header=BB309_414 Depth=1
	s_or_b64 exec, exec, s[12:13]
	global_load_dwordx2 v[17:18], v[15:16], off offset:1024
	v_mov_b32_e32 v11, 0
	v_mov_b32_e32 v0, 0
	s_waitcnt vmcnt(0)
	v_cmp_ne_u16_sdwa s[0:1], v17, v10 src0_sel:BYTE_0 src1_sel:DWORD
	s_and_saveexec_b64 s[12:13], s[0:1]
	s_cbranch_execz .LBB309_520
; %bb.515:                              ;   in Loop: Header=BB309_414 Depth=1
	v_cmp_ne_u16_sdwa s[0:1], v17, s24 src0_sel:BYTE_0 src1_sel:DWORD
	v_bfrev_b32_e32 v0, 1
	s_and_saveexec_b64 s[14:15], s[0:1]
	s_cbranch_execz .LBB309_519
; %bb.516:                              ;   in Loop: Header=BB309_414 Depth=1
	v_and_b32_e32 v9, 0x7f, v17
	v_cmp_ne_u32_e64 s[0:1], s25, v9
	v_mov_b32_e32 v0, 0x7f800001
	s_and_saveexec_b64 s[16:17], s[0:1]
	s_cbranch_execz .LBB309_518
; %bb.517:                              ;   in Loop: Header=BB309_414 Depth=1
	v_and_b32_e32 v0, 7, v17
	v_ffbh_u32_e32 v0, v0
	v_min_u32_e32 v0, 32, v0
	v_subrev_u32_e32 v19, 28, v0
	v_cmp_gt_u32_e64 s[0:1], 8, v9
	v_lshrrev_b32_e32 v12, 3, v9
	v_cndmask_b32_e64 v9, 0, v19, s[0:1]
	v_lshlrev_b64 v[19:20], v9, v[17:18]
	v_sub_u32_e32 v0, 29, v0
	v_cndmask_b32_e64 v0, v12, v0, s[0:1]
	v_lshlrev_b32_e32 v9, 20, v19
	v_lshlrev_b32_e32 v12, 24, v17
	v_bfrev_b32_e32 v19, 60
	v_and_b32_e32 v9, 0x700000, v9
	v_and_b32_e32 v12, 0x80000000, v12
	v_lshl_add_u32 v0, v0, 23, v19
	v_or3_b32 v0, v12, v0, v9
.LBB309_518:                            ;   in Loop: Header=BB309_414 Depth=1
	s_or_b64 exec, exec, s[16:17]
.LBB309_519:                            ;   in Loop: Header=BB309_414 Depth=1
	s_or_b64 exec, exec, s[14:15]
.LBB309_520:                            ;   in Loop: Header=BB309_414 Depth=1
	s_or_b64 exec, exec, s[12:13]
	v_lshrrev_b16_e32 v9, 8, v17
	v_cmp_ne_u16_e64 s[0:1], 0, v9
	s_and_saveexec_b64 s[12:13], s[0:1]
	s_cbranch_execz .LBB309_526
; %bb.521:                              ;   in Loop: Header=BB309_414 Depth=1
	v_cmp_ne_u16_e64 s[0:1], s24, v9
	v_bfrev_b32_e32 v11, 1
	s_and_saveexec_b64 s[14:15], s[0:1]
	s_cbranch_execz .LBB309_525
; %bb.522:                              ;   in Loop: Header=BB309_414 Depth=1
	v_and_b32_e32 v12, 0x7f, v9
	v_cmp_ne_u32_e64 s[0:1], s25, v12
	v_mov_b32_e32 v11, 0x7f800001
	s_and_saveexec_b64 s[16:17], s[0:1]
	s_cbranch_execz .LBB309_524
; %bb.523:                              ;   in Loop: Header=BB309_414 Depth=1
	v_and_b32_e32 v19, 7, v9
	v_ffbh_u32_e32 v11, v19
	v_min_u32_e32 v21, 32, v11
	v_subrev_u32_e32 v11, 28, v21
	v_lshrrev_b32_e32 v20, 3, v12
	v_cmp_gt_u32_e64 s[0:1], 8, v12
	v_lshlrev_b64 v[11:12], v11, v[9:10]
	v_sub_u32_e32 v9, 29, v21
	v_and_b32_e32 v11, 7, v11
	v_cndmask_b32_e64 v9, v20, v9, s[0:1]
	v_cndmask_b32_e64 v11, v19, v11, s[0:1]
	v_lshlrev_b32_e32 v12, 16, v17
	v_bfrev_b32_e32 v19, 60
	v_lshlrev_b32_e32 v11, 20, v11
	v_and_b32_e32 v12, 0x80000000, v12
	v_lshl_add_u32 v9, v9, 23, v19
	v_or3_b32 v11, v12, v9, v11
.LBB309_524:                            ;   in Loop: Header=BB309_414 Depth=1
	s_or_b64 exec, exec, s[16:17]
.LBB309_525:                            ;   in Loop: Header=BB309_414 Depth=1
	s_or_b64 exec, exec, s[14:15]
.LBB309_526:                            ;   in Loop: Header=BB309_414 Depth=1
	s_or_b64 exec, exec, s[12:13]
	v_lshrrev_b32_e32 v9, 16, v17
	v_cmp_ne_u16_sdwa s[0:1], v9, v10 src0_sel:BYTE_0 src1_sel:DWORD
	v_mov_b32_e32 v20, 0
	v_mov_b32_e32 v12, 0
	s_and_saveexec_b64 s[12:13], s[0:1]
	s_cbranch_execz .LBB309_532
; %bb.527:                              ;   in Loop: Header=BB309_414 Depth=1
	v_cmp_ne_u16_sdwa s[0:1], v9, s24 src0_sel:BYTE_0 src1_sel:DWORD
	v_bfrev_b32_e32 v12, 1
	s_and_saveexec_b64 s[14:15], s[0:1]
	s_cbranch_execz .LBB309_531
; %bb.528:                              ;   in Loop: Header=BB309_414 Depth=1
	v_bfe_u32 v19, v17, 16, 7
	v_cmp_ne_u32_e64 s[0:1], s25, v19
	v_mov_b32_e32 v12, 0x7f800001
	s_and_saveexec_b64 s[16:17], s[0:1]
	s_cbranch_execz .LBB309_530
; %bb.529:                              ;   in Loop: Header=BB309_414 Depth=1
	v_and_b32_e32 v12, 7, v9
	v_lshrrev_b32_e32 v23, 3, v19
	v_cmp_gt_u32_e64 s[0:1], 8, v19
	v_ffbh_u32_e32 v19, v12
	v_min_u32_e32 v19, 32, v19
	v_subrev_u32_e32 v21, 28, v19
	v_lshlrev_b64 v[21:22], v21, v[9:10]
	v_sub_u32_e32 v19, 29, v19
	v_and_b32_e32 v21, 7, v21
	v_cndmask_b32_e64 v19, v23, v19, s[0:1]
	v_cndmask_b32_e64 v12, v12, v21, s[0:1]
	v_lshlrev_b32_e32 v9, 24, v9
	v_bfrev_b32_e32 v21, 60
	v_lshlrev_b32_e32 v12, 20, v12
	v_and_b32_e32 v9, 0x80000000, v9
	v_lshl_add_u32 v19, v19, 23, v21
	v_or3_b32 v12, v9, v19, v12
.LBB309_530:                            ;   in Loop: Header=BB309_414 Depth=1
	s_or_b64 exec, exec, s[16:17]
.LBB309_531:                            ;   in Loop: Header=BB309_414 Depth=1
	s_or_b64 exec, exec, s[14:15]
.LBB309_532:                            ;   in Loop: Header=BB309_414 Depth=1
	s_or_b64 exec, exec, s[12:13]
	v_cmp_lt_u32_e64 s[0:1], s5, v17
	s_and_saveexec_b64 s[12:13], s[0:1]
	s_cbranch_execz .LBB309_538
; %bb.533:                              ;   in Loop: Header=BB309_414 Depth=1
	v_lshrrev_b32_e32 v9, 24, v17
	v_cmp_ne_u32_e64 s[0:1], s24, v9
	v_bfrev_b32_e32 v20, 1
	s_and_saveexec_b64 s[14:15], s[0:1]
	s_cbranch_execz .LBB309_537
; %bb.534:                              ;   in Loop: Header=BB309_414 Depth=1
	v_bfe_u32 v19, v17, 24, 7
	v_cmp_ne_u32_e64 s[0:1], s25, v19
	v_mov_b32_e32 v20, 0x7f800001
	s_and_saveexec_b64 s[16:17], s[0:1]
	s_cbranch_execz .LBB309_536
; %bb.535:                              ;   in Loop: Header=BB309_414 Depth=1
	v_and_b32_e32 v21, 7, v9
	v_lshrrev_b32_e32 v22, 3, v19
	v_cmp_gt_u32_e64 s[0:1], 8, v19
	v_ffbh_u32_e32 v19, v21
	v_min_u32_e32 v23, 32, v19
	v_subrev_u32_e32 v19, 28, v23
	v_lshlrev_b64 v[19:20], v19, v[9:10]
	v_sub_u32_e32 v20, 29, v23
	v_and_b32_e32 v19, 7, v19
	v_cndmask_b32_e64 v20, v22, v20, s[0:1]
	v_cndmask_b32_e64 v19, v21, v19, s[0:1]
	v_lshlrev_b32_e32 v9, 24, v9
	v_bfrev_b32_e32 v21, 60
	v_lshlrev_b32_e32 v19, 20, v19
	v_and_b32_e32 v9, 0x80000000, v9
	v_lshl_add_u32 v20, v20, 23, v21
	v_or3_b32 v20, v9, v20, v19
.LBB309_536:                            ;   in Loop: Header=BB309_414 Depth=1
	s_or_b64 exec, exec, s[16:17]
.LBB309_537:                            ;   in Loop: Header=BB309_414 Depth=1
	s_or_b64 exec, exec, s[14:15]
.LBB309_538:                            ;   in Loop: Header=BB309_414 Depth=1
	s_or_b64 exec, exec, s[12:13]
	v_mov_b32_e32 v9, v18
	v_cmp_ne_u16_sdwa s[0:1], v18, v10 src0_sel:BYTE_0 src1_sel:DWORD
	v_mov_b32_e32 v22, 0
	v_mov_b32_e32 v21, 0
	s_and_saveexec_b64 s[12:13], s[0:1]
	s_cbranch_execz .LBB309_544
; %bb.539:                              ;   in Loop: Header=BB309_414 Depth=1
	v_cmp_ne_u16_sdwa s[0:1], v18, s24 src0_sel:BYTE_0 src1_sel:DWORD
	v_bfrev_b32_e32 v21, 1
	s_and_saveexec_b64 s[14:15], s[0:1]
	s_cbranch_execz .LBB309_543
; %bb.540:                              ;   in Loop: Header=BB309_414 Depth=1
	v_and_b32_e32 v19, 0x7f, v18
	v_cmp_ne_u32_e64 s[0:1], s25, v19
	v_mov_b32_e32 v21, 0x7f800001
	s_and_saveexec_b64 s[16:17], s[0:1]
	s_cbranch_execz .LBB309_542
; %bb.541:                              ;   in Loop: Header=BB309_414 Depth=1
	v_and_b32_e32 v21, 7, v18
	v_lshrrev_b32_e32 v23, 3, v19
	v_cmp_gt_u32_e64 s[0:1], 8, v19
	v_ffbh_u32_e32 v19, v21
	v_min_u32_e32 v19, 32, v19
	v_subrev_u32_e32 v21, 28, v19
	v_cndmask_b32_e64 v21, 0, v21, s[0:1]
	v_lshlrev_b64 v[34:35], v21, v[9:10]
	v_sub_u32_e32 v19, 29, v19
	v_cndmask_b32_e64 v19, v23, v19, s[0:1]
	v_lshlrev_b32_e32 v21, 20, v34
	v_lshlrev_b32_e32 v23, 24, v9
	v_bfrev_b32_e32 v34, 60
	v_and_b32_e32 v21, 0x700000, v21
	v_and_b32_e32 v23, 0x80000000, v23
	v_lshl_add_u32 v19, v19, 23, v34
	v_or3_b32 v21, v23, v19, v21
.LBB309_542:                            ;   in Loop: Header=BB309_414 Depth=1
	s_or_b64 exec, exec, s[16:17]
.LBB309_543:                            ;   in Loop: Header=BB309_414 Depth=1
	s_or_b64 exec, exec, s[14:15]
.LBB309_544:                            ;   in Loop: Header=BB309_414 Depth=1
	s_or_b64 exec, exec, s[12:13]
	v_lshrrev_b16_e32 v19, 8, v9
	v_cmp_ne_u16_e64 s[0:1], 0, v19
	s_and_saveexec_b64 s[12:13], s[0:1]
	s_cbranch_execz .LBB309_550
; %bb.545:                              ;   in Loop: Header=BB309_414 Depth=1
	v_cmp_ne_u16_e64 s[0:1], s24, v19
	v_bfrev_b32_e32 v22, 1
	s_and_saveexec_b64 s[14:15], s[0:1]
	s_cbranch_execz .LBB309_549
; %bb.546:                              ;   in Loop: Header=BB309_414 Depth=1
	v_and_b32_e32 v23, 0x7f, v19
	v_cmp_ne_u32_e64 s[0:1], s25, v23
	v_mov_b32_e32 v22, 0x7f800001
	s_and_saveexec_b64 s[16:17], s[0:1]
	s_cbranch_execz .LBB309_548
; %bb.547:                              ;   in Loop: Header=BB309_414 Depth=1
	v_and_b32_e32 v34, 7, v19
	v_ffbh_u32_e32 v22, v34
	v_min_u32_e32 v36, 32, v22
	v_subrev_u32_e32 v22, 28, v36
	v_lshrrev_b32_e32 v35, 3, v23
	v_cmp_gt_u32_e64 s[0:1], 8, v23
	v_lshlrev_b64 v[22:23], v22, v[19:20]
	v_sub_u32_e32 v19, 29, v36
	v_and_b32_e32 v22, 7, v22
	v_cndmask_b32_e64 v19, v35, v19, s[0:1]
	v_cndmask_b32_e64 v22, v34, v22, s[0:1]
	v_lshlrev_b32_e32 v9, 16, v9
	v_bfrev_b32_e32 v23, 60
	v_lshlrev_b32_e32 v22, 20, v22
	v_and_b32_e32 v9, 0x80000000, v9
	v_lshl_add_u32 v19, v19, 23, v23
	v_or3_b32 v22, v9, v19, v22
.LBB309_548:                            ;   in Loop: Header=BB309_414 Depth=1
	s_or_b64 exec, exec, s[16:17]
.LBB309_549:                            ;   in Loop: Header=BB309_414 Depth=1
	s_or_b64 exec, exec, s[14:15]
.LBB309_550:                            ;   in Loop: Header=BB309_414 Depth=1
	s_or_b64 exec, exec, s[12:13]
	v_lshrrev_b32_e32 v9, 16, v18
	v_cmp_ne_u16_sdwa s[0:1], v9, v10 src0_sel:BYTE_0 src1_sel:DWORD
	v_mov_b32_e32 v19, 0
	v_mov_b32_e32 v23, 0
	s_and_saveexec_b64 s[12:13], s[0:1]
	s_cbranch_execz .LBB309_556
; %bb.551:                              ;   in Loop: Header=BB309_414 Depth=1
	v_cmp_ne_u16_sdwa s[0:1], v9, s24 src0_sel:BYTE_0 src1_sel:DWORD
	v_bfrev_b32_e32 v23, 1
	s_and_saveexec_b64 s[14:15], s[0:1]
	s_cbranch_execz .LBB309_555
; %bb.552:                              ;   in Loop: Header=BB309_414 Depth=1
	v_bfe_u32 v34, v18, 16, 7
	v_cmp_ne_u32_e64 s[0:1], s25, v34
	v_mov_b32_e32 v23, 0x7f800001
	s_and_saveexec_b64 s[16:17], s[0:1]
	s_cbranch_execz .LBB309_554
; %bb.553:                              ;   in Loop: Header=BB309_414 Depth=1
	v_and_b32_e32 v23, 7, v9
	v_lshrrev_b32_e32 v36, 3, v34
	v_cmp_gt_u32_e64 s[0:1], 8, v34
	v_ffbh_u32_e32 v34, v23
	v_min_u32_e32 v37, 32, v34
	v_subrev_u32_e32 v34, 28, v37
	v_lshlrev_b64 v[34:35], v34, v[9:10]
	v_sub_u32_e32 v35, 29, v37
	v_and_b32_e32 v34, 7, v34
	v_cndmask_b32_e64 v35, v36, v35, s[0:1]
	v_cndmask_b32_e64 v23, v23, v34, s[0:1]
	v_lshlrev_b32_e32 v9, 24, v9
	v_bfrev_b32_e32 v34, 60
	v_lshlrev_b32_e32 v23, 20, v23
	v_and_b32_e32 v9, 0x80000000, v9
	v_lshl_add_u32 v34, v35, 23, v34
	v_or3_b32 v23, v9, v34, v23
.LBB309_554:                            ;   in Loop: Header=BB309_414 Depth=1
	s_or_b64 exec, exec, s[16:17]
.LBB309_555:                            ;   in Loop: Header=BB309_414 Depth=1
	s_or_b64 exec, exec, s[14:15]
.LBB309_556:                            ;   in Loop: Header=BB309_414 Depth=1
	s_or_b64 exec, exec, s[12:13]
	v_cmp_lt_u64_e64 s[0:1], s[4:5], v[17:18]
	s_and_saveexec_b64 s[12:13], s[0:1]
	s_cbranch_execz .LBB309_562
; %bb.557:                              ;   in Loop: Header=BB309_414 Depth=1
	v_lshrrev_b32_e32 v9, 24, v18
	v_cmp_ne_u32_e64 s[0:1], s24, v9
	v_bfrev_b32_e32 v19, 1
	s_and_saveexec_b64 s[14:15], s[0:1]
	s_cbranch_execz .LBB309_561
; %bb.558:                              ;   in Loop: Header=BB309_414 Depth=1
	v_bfe_u32 v17, v18, 24, 7
	v_cmp_ne_u32_e64 s[0:1], s25, v17
	v_mov_b32_e32 v19, 0x7f800001
	s_and_saveexec_b64 s[16:17], s[0:1]
	s_cbranch_execz .LBB309_560
; %bb.559:                              ;   in Loop: Header=BB309_414 Depth=1
	v_and_b32_e32 v19, 7, v9
	v_lshrrev_b32_e32 v34, 3, v17
	v_cmp_gt_u32_e64 s[0:1], 8, v17
	v_ffbh_u32_e32 v17, v19
	v_min_u32_e32 v35, 32, v17
	v_subrev_u32_e32 v17, 28, v35
	v_lshlrev_b64 v[17:18], v17, v[9:10]
	v_sub_u32_e32 v18, 29, v35
	v_and_b32_e32 v17, 7, v17
	v_cndmask_b32_e64 v18, v34, v18, s[0:1]
	v_cndmask_b32_e64 v17, v19, v17, s[0:1]
	v_lshlrev_b32_e32 v9, 24, v9
	v_bfrev_b32_e32 v19, 60
	v_lshlrev_b32_e32 v17, 20, v17
	v_and_b32_e32 v9, 0x80000000, v9
	v_lshl_add_u32 v18, v18, 23, v19
	v_or3_b32 v19, v9, v18, v17
.LBB309_560:                            ;   in Loop: Header=BB309_414 Depth=1
	s_or_b64 exec, exec, s[16:17]
.LBB309_561:                            ;   in Loop: Header=BB309_414 Depth=1
	s_or_b64 exec, exec, s[14:15]
.LBB309_562:                            ;   in Loop: Header=BB309_414 Depth=1
	s_or_b64 exec, exec, s[12:13]
	v_mul_f32_e32 v9, s18, v22
	v_bfe_u32 v17, v9, 16, 1
	v_add3_u32 v17, v17, v9, s26
	v_or_b32_e32 v18, 0x400000, v9
	v_cmp_u_f32_e64 s[0:1], v9, v9
	v_cndmask_b32_e64 v9, v17, v18, s[0:1]
	v_lshrrev_b32_e32 v9, 16, v9
	buffer_store_dword v9, off, s[44:47], 0 offset:76 ; 4-byte Folded Spill
	v_mul_f32_e32 v9, s18, v21
	v_bfe_u32 v17, v9, 16, 1
	v_add3_u32 v17, v17, v9, s26
	v_or_b32_e32 v18, 0x400000, v9
	v_cmp_u_f32_e64 s[0:1], v9, v9
	v_cndmask_b32_e64 v9, v17, v18, s[0:1]
	v_lshrrev_b32_e32 v9, 16, v9
	buffer_store_dword v9, off, s[44:47], 0 offset:72 ; 4-byte Folded Spill
	;; [unrolled: 8-line block ×4, first 2 shown]
	v_mul_f32_e32 v9, s18, v11
	v_bfe_u32 v11, v9, 16, 1
	v_add3_u32 v11, v11, v9, s26
	v_or_b32_e32 v12, 0x400000, v9
	v_cmp_u_f32_e64 s[0:1], v9, v9
	v_cndmask_b32_e64 v9, v11, v12, s[0:1]
	v_lshrrev_b32_e32 v9, 16, v9
	v_mul_f32_e32 v0, s18, v0
	buffer_store_dword v9, off, s[44:47], 0 offset:100 ; 4-byte Folded Spill
	v_bfe_u32 v9, v0, 16, 1
	v_add3_u32 v9, v9, v0, s26
	v_or_b32_e32 v11, 0x400000, v0
	v_cmp_u_f32_e64 s[0:1], v0, v0
	v_cndmask_b32_e64 v0, v9, v11, s[0:1]
	v_lshrrev_b32_e32 v0, 16, v0
	buffer_store_dword v0, off, s[44:47], 0 offset:96 ; 4-byte Folded Spill
	v_mul_f32_e32 v0, s18, v23
	v_bfe_u32 v9, v0, 16, 1
	v_add3_u32 v9, v9, v0, s26
	v_or_b32_e32 v11, 0x400000, v0
	v_cmp_u_f32_e64 s[0:1], v0, v0
	v_cndmask_b32_e64 v0, v9, v11, s[0:1]
	v_lshrrev_b32_e32 v0, 16, v0
	buffer_store_dword v0, off, s[44:47], 0 offset:80 ; 4-byte Folded Spill
	v_mul_f32_e32 v0, s18, v19
	v_bfe_u32 v9, v0, 16, 1
	v_add3_u32 v9, v9, v0, s26
	v_or_b32_e32 v11, 0x400000, v0
	v_cmp_u_f32_e64 s[0:1], v0, v0
	v_cndmask_b32_e64 v0, v9, v11, s[0:1]
	v_lshrrev_b32_e32 v0, 16, v0
	buffer_store_dword v0, off, s[44:47], 0 offset:92 ; 4-byte Folded Spill
	s_and_saveexec_b64 s[12:13], vcc
	s_cbranch_execz .LBB309_564
; %bb.563:                              ;   in Loop: Header=BB309_414 Depth=1
	v_add_u32_e32 v0, -7, v32
	v_cmp_gt_i32_e64 s[0:1], s30, v0
	buffer_load_dword v0, off, s[44:47], 0 offset:96 ; 4-byte Folded Reload
	s_waitcnt vmcnt(0)
	v_cndmask_b32_e64 v0, 0, v0, s[0:1]
	buffer_store_dword v0, off, s[44:47], 0 offset:96 ; 4-byte Folded Spill
	v_add_u32_e32 v0, -6, v32
	v_cmp_gt_i32_e64 s[0:1], s30, v0
	buffer_load_dword v0, off, s[44:47], 0 offset:100 ; 4-byte Folded Reload
	s_waitcnt vmcnt(0)
	v_cndmask_b32_e64 v0, 0, v0, s[0:1]
	buffer_store_dword v0, off, s[44:47], 0 offset:100 ; 4-byte Folded Spill
	;; [unrolled: 6-line block ×7, first 2 shown]
	buffer_load_dword v0, off, s[44:47], 0 offset:92 ; 4-byte Folded Reload
	v_cmp_gt_i32_e64 s[0:1], s30, v32
	s_waitcnt vmcnt(0)
	v_cndmask_b32_e64 v0, 0, v0, s[0:1]
	buffer_store_dword v0, off, s[44:47], 0 offset:92 ; 4-byte Folded Spill
.LBB309_564:                            ;   in Loop: Header=BB309_414 Depth=1
	s_or_b64 exec, exec, s[12:13]
	global_load_dwordx2 v[17:18], v[15:16], off offset:1536
	v_mov_b32_e32 v11, 0
	v_mov_b32_e32 v0, 0
	s_waitcnt vmcnt(0)
	v_cmp_ne_u16_sdwa s[0:1], v17, v10 src0_sel:BYTE_0 src1_sel:DWORD
	s_and_saveexec_b64 s[12:13], s[0:1]
	s_cbranch_execz .LBB309_570
; %bb.565:                              ;   in Loop: Header=BB309_414 Depth=1
	v_cmp_ne_u16_sdwa s[0:1], v17, s24 src0_sel:BYTE_0 src1_sel:DWORD
	v_bfrev_b32_e32 v0, 1
	s_and_saveexec_b64 s[14:15], s[0:1]
	s_cbranch_execz .LBB309_569
; %bb.566:                              ;   in Loop: Header=BB309_414 Depth=1
	v_and_b32_e32 v9, 0x7f, v17
	v_cmp_ne_u32_e64 s[0:1], s25, v9
	v_mov_b32_e32 v0, 0x7f800001
	s_and_saveexec_b64 s[16:17], s[0:1]
	s_cbranch_execz .LBB309_568
; %bb.567:                              ;   in Loop: Header=BB309_414 Depth=1
	v_and_b32_e32 v0, 7, v17
	v_ffbh_u32_e32 v0, v0
	v_min_u32_e32 v0, 32, v0
	v_lshrrev_b32_e32 v12, 3, v9
	v_cmp_gt_u32_e64 s[0:1], 8, v9
	v_subrev_u32_e32 v9, 28, v0
	v_cndmask_b32_e64 v9, 0, v9, s[0:1]
	v_lshlrev_b64 v[19:20], v9, v[17:18]
	v_sub_u32_e32 v0, 29, v0
	v_cndmask_b32_e64 v0, v12, v0, s[0:1]
	v_lshlrev_b32_e32 v9, 20, v19
	v_lshlrev_b32_e32 v12, 24, v17
	v_bfrev_b32_e32 v19, 60
	v_and_b32_e32 v9, 0x700000, v9
	v_and_b32_e32 v12, 0x80000000, v12
	v_lshl_add_u32 v0, v0, 23, v19
	v_or3_b32 v0, v12, v0, v9
.LBB309_568:                            ;   in Loop: Header=BB309_414 Depth=1
	s_or_b64 exec, exec, s[16:17]
.LBB309_569:                            ;   in Loop: Header=BB309_414 Depth=1
	s_or_b64 exec, exec, s[14:15]
.LBB309_570:                            ;   in Loop: Header=BB309_414 Depth=1
	s_or_b64 exec, exec, s[12:13]
	v_lshrrev_b16_e32 v9, 8, v17
	v_cmp_ne_u16_e64 s[0:1], 0, v9
	s_and_saveexec_b64 s[12:13], s[0:1]
	s_cbranch_execz .LBB309_576
; %bb.571:                              ;   in Loop: Header=BB309_414 Depth=1
	v_cmp_ne_u16_e64 s[0:1], s24, v9
	v_bfrev_b32_e32 v11, 1
	s_and_saveexec_b64 s[14:15], s[0:1]
	s_cbranch_execz .LBB309_575
; %bb.572:                              ;   in Loop: Header=BB309_414 Depth=1
	v_and_b32_e32 v12, 0x7f, v9
	v_cmp_ne_u32_e64 s[0:1], s25, v12
	v_mov_b32_e32 v11, 0x7f800001
	s_and_saveexec_b64 s[16:17], s[0:1]
	s_cbranch_execz .LBB309_574
; %bb.573:                              ;   in Loop: Header=BB309_414 Depth=1
	v_and_b32_e32 v19, 7, v9
	v_ffbh_u32_e32 v11, v19
	v_min_u32_e32 v21, 32, v11
	v_subrev_u32_e32 v11, 28, v21
	v_lshrrev_b32_e32 v20, 3, v12
	v_cmp_gt_u32_e64 s[0:1], 8, v12
	v_lshlrev_b64 v[11:12], v11, v[9:10]
	v_sub_u32_e32 v9, 29, v21
	v_and_b32_e32 v11, 7, v11
	v_cndmask_b32_e64 v9, v20, v9, s[0:1]
	v_cndmask_b32_e64 v11, v19, v11, s[0:1]
	v_lshlrev_b32_e32 v12, 16, v17
	v_bfrev_b32_e32 v19, 60
	v_lshlrev_b32_e32 v11, 20, v11
	v_and_b32_e32 v12, 0x80000000, v12
	v_lshl_add_u32 v9, v9, 23, v19
	v_or3_b32 v11, v12, v9, v11
.LBB309_574:                            ;   in Loop: Header=BB309_414 Depth=1
	s_or_b64 exec, exec, s[16:17]
.LBB309_575:                            ;   in Loop: Header=BB309_414 Depth=1
	s_or_b64 exec, exec, s[14:15]
.LBB309_576:                            ;   in Loop: Header=BB309_414 Depth=1
	s_or_b64 exec, exec, s[12:13]
	v_lshrrev_b32_e32 v9, 16, v17
	v_cmp_ne_u16_sdwa s[0:1], v9, v10 src0_sel:BYTE_0 src1_sel:DWORD
	v_mov_b32_e32 v20, 0
	v_mov_b32_e32 v12, 0
	s_and_saveexec_b64 s[12:13], s[0:1]
	s_cbranch_execz .LBB309_582
; %bb.577:                              ;   in Loop: Header=BB309_414 Depth=1
	v_cmp_ne_u16_sdwa s[0:1], v9, s24 src0_sel:BYTE_0 src1_sel:DWORD
	v_bfrev_b32_e32 v12, 1
	s_and_saveexec_b64 s[14:15], s[0:1]
	s_cbranch_execz .LBB309_581
; %bb.578:                              ;   in Loop: Header=BB309_414 Depth=1
	v_bfe_u32 v19, v17, 16, 7
	v_cmp_ne_u32_e64 s[0:1], s25, v19
	v_mov_b32_e32 v12, 0x7f800001
	s_and_saveexec_b64 s[16:17], s[0:1]
	s_cbranch_execz .LBB309_580
; %bb.579:                              ;   in Loop: Header=BB309_414 Depth=1
	v_and_b32_e32 v12, 7, v9
	v_lshrrev_b32_e32 v23, 3, v19
	v_cmp_gt_u32_e64 s[0:1], 8, v19
	v_ffbh_u32_e32 v19, v12
	v_min_u32_e32 v19, 32, v19
	v_subrev_u32_e32 v21, 28, v19
	v_lshlrev_b64 v[21:22], v21, v[9:10]
	v_sub_u32_e32 v19, 29, v19
	v_and_b32_e32 v21, 7, v21
	v_cndmask_b32_e64 v19, v23, v19, s[0:1]
	v_cndmask_b32_e64 v12, v12, v21, s[0:1]
	v_lshlrev_b32_e32 v9, 24, v9
	v_bfrev_b32_e32 v21, 60
	v_lshlrev_b32_e32 v12, 20, v12
	v_and_b32_e32 v9, 0x80000000, v9
	v_lshl_add_u32 v19, v19, 23, v21
	v_or3_b32 v12, v9, v19, v12
.LBB309_580:                            ;   in Loop: Header=BB309_414 Depth=1
	s_or_b64 exec, exec, s[16:17]
.LBB309_581:                            ;   in Loop: Header=BB309_414 Depth=1
	s_or_b64 exec, exec, s[14:15]
.LBB309_582:                            ;   in Loop: Header=BB309_414 Depth=1
	s_or_b64 exec, exec, s[12:13]
	v_cmp_lt_u32_e64 s[0:1], s5, v17
	s_and_saveexec_b64 s[12:13], s[0:1]
	s_cbranch_execz .LBB309_588
; %bb.583:                              ;   in Loop: Header=BB309_414 Depth=1
	v_lshrrev_b32_e32 v9, 24, v17
	v_cmp_ne_u32_e64 s[0:1], s24, v9
	v_bfrev_b32_e32 v20, 1
	s_and_saveexec_b64 s[14:15], s[0:1]
	s_cbranch_execz .LBB309_587
; %bb.584:                              ;   in Loop: Header=BB309_414 Depth=1
	v_bfe_u32 v19, v17, 24, 7
	v_cmp_ne_u32_e64 s[0:1], s25, v19
	v_mov_b32_e32 v20, 0x7f800001
	s_and_saveexec_b64 s[16:17], s[0:1]
	s_cbranch_execz .LBB309_586
; %bb.585:                              ;   in Loop: Header=BB309_414 Depth=1
	v_and_b32_e32 v21, 7, v9
	v_lshrrev_b32_e32 v22, 3, v19
	v_cmp_gt_u32_e64 s[0:1], 8, v19
	v_ffbh_u32_e32 v19, v21
	v_min_u32_e32 v23, 32, v19
	v_subrev_u32_e32 v19, 28, v23
	v_lshlrev_b64 v[19:20], v19, v[9:10]
	v_sub_u32_e32 v20, 29, v23
	v_and_b32_e32 v19, 7, v19
	v_cndmask_b32_e64 v20, v22, v20, s[0:1]
	v_cndmask_b32_e64 v19, v21, v19, s[0:1]
	v_lshlrev_b32_e32 v9, 24, v9
	v_bfrev_b32_e32 v21, 60
	v_lshlrev_b32_e32 v19, 20, v19
	v_and_b32_e32 v9, 0x80000000, v9
	v_lshl_add_u32 v20, v20, 23, v21
	v_or3_b32 v20, v9, v20, v19
.LBB309_586:                            ;   in Loop: Header=BB309_414 Depth=1
	s_or_b64 exec, exec, s[16:17]
.LBB309_587:                            ;   in Loop: Header=BB309_414 Depth=1
	s_or_b64 exec, exec, s[14:15]
.LBB309_588:                            ;   in Loop: Header=BB309_414 Depth=1
	s_or_b64 exec, exec, s[12:13]
	v_mov_b32_e32 v9, v18
	v_cmp_ne_u16_sdwa s[0:1], v18, v10 src0_sel:BYTE_0 src1_sel:DWORD
	v_mov_b32_e32 v22, 0
	v_mov_b32_e32 v21, 0
	s_and_saveexec_b64 s[12:13], s[0:1]
	s_cbranch_execz .LBB309_594
; %bb.589:                              ;   in Loop: Header=BB309_414 Depth=1
	v_cmp_ne_u16_sdwa s[0:1], v18, s24 src0_sel:BYTE_0 src1_sel:DWORD
	v_bfrev_b32_e32 v21, 1
	s_and_saveexec_b64 s[14:15], s[0:1]
	s_cbranch_execz .LBB309_593
; %bb.590:                              ;   in Loop: Header=BB309_414 Depth=1
	v_and_b32_e32 v19, 0x7f, v18
	v_cmp_ne_u32_e64 s[0:1], s25, v19
	v_mov_b32_e32 v21, 0x7f800001
	s_and_saveexec_b64 s[16:17], s[0:1]
	s_cbranch_execz .LBB309_592
; %bb.591:                              ;   in Loop: Header=BB309_414 Depth=1
	v_and_b32_e32 v21, 7, v18
	v_lshrrev_b32_e32 v23, 3, v19
	v_cmp_gt_u32_e64 s[0:1], 8, v19
	v_ffbh_u32_e32 v19, v21
	v_min_u32_e32 v19, 32, v19
	v_subrev_u32_e32 v21, 28, v19
	v_cndmask_b32_e64 v21, 0, v21, s[0:1]
	v_lshlrev_b64 v[34:35], v21, v[9:10]
	v_sub_u32_e32 v19, 29, v19
	v_cndmask_b32_e64 v19, v23, v19, s[0:1]
	v_lshlrev_b32_e32 v21, 20, v34
	v_lshlrev_b32_e32 v23, 24, v9
	v_bfrev_b32_e32 v34, 60
	v_and_b32_e32 v21, 0x700000, v21
	v_and_b32_e32 v23, 0x80000000, v23
	v_lshl_add_u32 v19, v19, 23, v34
	v_or3_b32 v21, v23, v19, v21
.LBB309_592:                            ;   in Loop: Header=BB309_414 Depth=1
	s_or_b64 exec, exec, s[16:17]
.LBB309_593:                            ;   in Loop: Header=BB309_414 Depth=1
	s_or_b64 exec, exec, s[14:15]
.LBB309_594:                            ;   in Loop: Header=BB309_414 Depth=1
	s_or_b64 exec, exec, s[12:13]
	v_lshrrev_b16_e32 v19, 8, v9
	v_cmp_ne_u16_e64 s[0:1], 0, v19
	s_and_saveexec_b64 s[12:13], s[0:1]
	s_cbranch_execz .LBB309_600
; %bb.595:                              ;   in Loop: Header=BB309_414 Depth=1
	v_cmp_ne_u16_e64 s[0:1], s24, v19
	v_bfrev_b32_e32 v22, 1
	s_and_saveexec_b64 s[14:15], s[0:1]
	s_cbranch_execz .LBB309_599
; %bb.596:                              ;   in Loop: Header=BB309_414 Depth=1
	v_and_b32_e32 v23, 0x7f, v19
	v_cmp_ne_u32_e64 s[0:1], s25, v23
	v_mov_b32_e32 v22, 0x7f800001
	s_and_saveexec_b64 s[16:17], s[0:1]
	s_cbranch_execz .LBB309_598
; %bb.597:                              ;   in Loop: Header=BB309_414 Depth=1
	v_and_b32_e32 v34, 7, v19
	v_ffbh_u32_e32 v22, v34
	v_min_u32_e32 v36, 32, v22
	v_subrev_u32_e32 v22, 28, v36
	v_lshrrev_b32_e32 v35, 3, v23
	v_cmp_gt_u32_e64 s[0:1], 8, v23
	v_lshlrev_b64 v[22:23], v22, v[19:20]
	v_sub_u32_e32 v19, 29, v36
	v_and_b32_e32 v22, 7, v22
	v_cndmask_b32_e64 v19, v35, v19, s[0:1]
	v_cndmask_b32_e64 v22, v34, v22, s[0:1]
	v_lshlrev_b32_e32 v9, 16, v9
	v_bfrev_b32_e32 v23, 60
	v_lshlrev_b32_e32 v22, 20, v22
	v_and_b32_e32 v9, 0x80000000, v9
	v_lshl_add_u32 v19, v19, 23, v23
	v_or3_b32 v22, v9, v19, v22
.LBB309_598:                            ;   in Loop: Header=BB309_414 Depth=1
	s_or_b64 exec, exec, s[16:17]
.LBB309_599:                            ;   in Loop: Header=BB309_414 Depth=1
	s_or_b64 exec, exec, s[14:15]
.LBB309_600:                            ;   in Loop: Header=BB309_414 Depth=1
	s_or_b64 exec, exec, s[12:13]
	v_lshrrev_b32_e32 v9, 16, v18
	v_cmp_ne_u16_sdwa s[0:1], v9, v10 src0_sel:BYTE_0 src1_sel:DWORD
	v_mov_b32_e32 v19, 0
	v_mov_b32_e32 v23, 0
	s_and_saveexec_b64 s[12:13], s[0:1]
	s_cbranch_execz .LBB309_606
; %bb.601:                              ;   in Loop: Header=BB309_414 Depth=1
	v_cmp_ne_u16_sdwa s[0:1], v9, s24 src0_sel:BYTE_0 src1_sel:DWORD
	v_bfrev_b32_e32 v23, 1
	s_and_saveexec_b64 s[14:15], s[0:1]
	s_cbranch_execz .LBB309_605
; %bb.602:                              ;   in Loop: Header=BB309_414 Depth=1
	v_bfe_u32 v34, v18, 16, 7
	v_cmp_ne_u32_e64 s[0:1], s25, v34
	v_mov_b32_e32 v23, 0x7f800001
	s_and_saveexec_b64 s[16:17], s[0:1]
	s_cbranch_execz .LBB309_604
; %bb.603:                              ;   in Loop: Header=BB309_414 Depth=1
	v_and_b32_e32 v23, 7, v9
	v_lshrrev_b32_e32 v36, 3, v34
	v_cmp_gt_u32_e64 s[0:1], 8, v34
	v_ffbh_u32_e32 v34, v23
	v_min_u32_e32 v37, 32, v34
	v_subrev_u32_e32 v34, 28, v37
	v_lshlrev_b64 v[34:35], v34, v[9:10]
	v_sub_u32_e32 v35, 29, v37
	v_and_b32_e32 v34, 7, v34
	v_cndmask_b32_e64 v35, v36, v35, s[0:1]
	v_cndmask_b32_e64 v23, v23, v34, s[0:1]
	v_lshlrev_b32_e32 v9, 24, v9
	v_bfrev_b32_e32 v34, 60
	v_lshlrev_b32_e32 v23, 20, v23
	v_and_b32_e32 v9, 0x80000000, v9
	v_lshl_add_u32 v34, v35, 23, v34
	v_or3_b32 v23, v9, v34, v23
.LBB309_604:                            ;   in Loop: Header=BB309_414 Depth=1
	s_or_b64 exec, exec, s[16:17]
.LBB309_605:                            ;   in Loop: Header=BB309_414 Depth=1
	s_or_b64 exec, exec, s[14:15]
.LBB309_606:                            ;   in Loop: Header=BB309_414 Depth=1
	s_or_b64 exec, exec, s[12:13]
	v_cmp_lt_u64_e64 s[0:1], s[4:5], v[17:18]
	s_and_saveexec_b64 s[12:13], s[0:1]
	s_cbranch_execz .LBB309_612
; %bb.607:                              ;   in Loop: Header=BB309_414 Depth=1
	v_lshrrev_b32_e32 v9, 24, v18
	v_cmp_ne_u32_e64 s[0:1], s24, v9
	v_bfrev_b32_e32 v19, 1
	s_and_saveexec_b64 s[14:15], s[0:1]
	s_cbranch_execz .LBB309_611
; %bb.608:                              ;   in Loop: Header=BB309_414 Depth=1
	v_bfe_u32 v17, v18, 24, 7
	v_cmp_ne_u32_e64 s[0:1], s25, v17
	v_mov_b32_e32 v19, 0x7f800001
	s_and_saveexec_b64 s[16:17], s[0:1]
	s_cbranch_execz .LBB309_610
; %bb.609:                              ;   in Loop: Header=BB309_414 Depth=1
	v_and_b32_e32 v19, 7, v9
	v_lshrrev_b32_e32 v34, 3, v17
	v_cmp_gt_u32_e64 s[0:1], 8, v17
	v_ffbh_u32_e32 v17, v19
	v_min_u32_e32 v35, 32, v17
	v_subrev_u32_e32 v17, 28, v35
	v_lshlrev_b64 v[17:18], v17, v[9:10]
	v_sub_u32_e32 v18, 29, v35
	v_and_b32_e32 v17, 7, v17
	v_cndmask_b32_e64 v18, v34, v18, s[0:1]
	v_cndmask_b32_e64 v17, v19, v17, s[0:1]
	v_lshlrev_b32_e32 v9, 24, v9
	v_bfrev_b32_e32 v19, 60
	v_lshlrev_b32_e32 v17, 20, v17
	v_and_b32_e32 v9, 0x80000000, v9
	v_lshl_add_u32 v18, v18, 23, v19
	v_or3_b32 v19, v9, v18, v17
.LBB309_610:                            ;   in Loop: Header=BB309_414 Depth=1
	s_or_b64 exec, exec, s[16:17]
.LBB309_611:                            ;   in Loop: Header=BB309_414 Depth=1
	s_or_b64 exec, exec, s[14:15]
.LBB309_612:                            ;   in Loop: Header=BB309_414 Depth=1
	s_or_b64 exec, exec, s[12:13]
	v_mul_f32_e32 v9, s18, v22
	v_bfe_u32 v17, v9, 16, 1
	v_add3_u32 v17, v17, v9, s26
	v_or_b32_e32 v18, 0x400000, v9
	v_cmp_u_f32_e64 s[0:1], v9, v9
	v_cndmask_b32_e64 v9, v17, v18, s[0:1]
	v_lshrrev_b32_e32 v9, 16, v9
	buffer_store_dword v9, off, s[44:47], 0 offset:108 ; 4-byte Folded Spill
	v_mul_f32_e32 v9, s18, v21
	v_bfe_u32 v17, v9, 16, 1
	v_add3_u32 v17, v17, v9, s26
	v_or_b32_e32 v18, 0x400000, v9
	v_cmp_u_f32_e64 s[0:1], v9, v9
	v_cndmask_b32_e64 v9, v17, v18, s[0:1]
	v_lshrrev_b32_e32 v9, 16, v9
	buffer_store_dword v9, off, s[44:47], 0 offset:104 ; 4-byte Folded Spill
	v_mul_f32_e32 v9, s18, v20
	v_bfe_u32 v17, v9, 16, 1
	v_add3_u32 v17, v17, v9, s26
	v_or_b32_e32 v18, 0x400000, v9
	v_cmp_u_f32_e64 s[0:1], v9, v9
	v_cndmask_b32_e64 v9, v17, v18, s[0:1]
	v_lshrrev_b32_e32 v50, 16, v9
	v_mul_f32_e32 v9, s18, v12
	v_bfe_u32 v12, v9, 16, 1
	v_add3_u32 v12, v12, v9, s26
	v_or_b32_e32 v17, 0x400000, v9
	v_cmp_u_f32_e64 s[0:1], v9, v9
	v_cndmask_b32_e64 v9, v12, v17, s[0:1]
	v_lshrrev_b32_e32 v9, 16, v9
	buffer_store_dword v9, off, s[44:47], 0 offset:116 ; 4-byte Folded Spill
	v_mul_f32_e32 v9, s18, v11
	v_bfe_u32 v11, v9, 16, 1
	v_add3_u32 v11, v11, v9, s26
	v_or_b32_e32 v17, 0x400000, v9
	v_cmp_u_f32_e64 s[0:1], v9, v9
	v_cndmask_b32_e64 v9, v11, v17, s[0:1]
	v_mul_f32_e32 v0, s18, v0
	v_lshrrev_b32_e32 v53, 16, v9
	v_bfe_u32 v9, v0, 16, 1
	v_add3_u32 v9, v9, v0, s26
	v_or_b32_e32 v11, 0x400000, v0
	v_cmp_u_f32_e64 s[0:1], v0, v0
	v_cndmask_b32_e64 v0, v9, v11, s[0:1]
	v_lshrrev_b32_e32 v52, 16, v0
	v_mul_f32_e32 v0, s18, v23
	v_bfe_u32 v9, v0, 16, 1
	v_add3_u32 v9, v9, v0, s26
	v_or_b32_e32 v11, 0x400000, v0
	v_cmp_u_f32_e64 s[0:1], v0, v0
	v_cndmask_b32_e64 v0, v9, v11, s[0:1]
	v_lshrrev_b32_e32 v0, 16, v0
	buffer_store_dword v0, off, s[44:47], 0 offset:112 ; 4-byte Folded Spill
	v_mul_f32_e32 v0, s18, v19
	v_bfe_u32 v9, v0, 16, 1
	v_add3_u32 v9, v9, v0, s26
	v_or_b32_e32 v17, 0x400000, v0
	v_cmp_u_f32_e64 s[0:1], v0, v0
	v_cndmask_b32_e64 v0, v9, v17, s[0:1]
	v_lshrrev_b32_e32 v51, 16, v0
	s_and_saveexec_b64 s[12:13], vcc
	s_cbranch_execz .LBB309_614
; %bb.613:                              ;   in Loop: Header=BB309_414 Depth=1
	v_add_u32_e32 v0, -7, v32
	v_cmp_gt_i32_e64 s[0:1], s30, v0
	v_add_u32_e32 v0, -6, v32
	v_cndmask_b32_e64 v52, 0, v52, s[0:1]
	v_cmp_gt_i32_e64 s[0:1], s30, v0
	v_add_u32_e32 v0, -5, v32
	v_cndmask_b32_e64 v53, 0, v53, s[0:1]
	v_cmp_gt_i32_e64 s[0:1], s30, v0
	buffer_load_dword v0, off, s[44:47], 0 offset:116 ; 4-byte Folded Reload
	s_waitcnt vmcnt(0)
	v_cndmask_b32_e64 v0, 0, v0, s[0:1]
	buffer_store_dword v0, off, s[44:47], 0 offset:116 ; 4-byte Folded Spill
	v_add_u32_e32 v0, -4, v32
	v_cmp_gt_i32_e64 s[0:1], s30, v0
	v_add_u32_e32 v0, -3, v32
	v_cndmask_b32_e64 v50, 0, v50, s[0:1]
	v_cmp_gt_i32_e64 s[0:1], s30, v0
	buffer_load_dword v0, off, s[44:47], 0 offset:104 ; 4-byte Folded Reload
	s_waitcnt vmcnt(0)
	v_cndmask_b32_e64 v0, 0, v0, s[0:1]
	buffer_store_dword v0, off, s[44:47], 0 offset:104 ; 4-byte Folded Spill
	v_add_u32_e32 v0, -2, v32
	v_cmp_gt_i32_e64 s[0:1], s30, v0
	buffer_load_dword v0, off, s[44:47], 0 offset:108 ; 4-byte Folded Reload
	s_waitcnt vmcnt(0)
	v_cndmask_b32_e64 v0, 0, v0, s[0:1]
	buffer_store_dword v0, off, s[44:47], 0 offset:108 ; 4-byte Folded Spill
	v_add_u32_e32 v0, -1, v32
	v_cmp_gt_i32_e64 s[0:1], s30, v0
	buffer_load_dword v0, off, s[44:47], 0 offset:112 ; 4-byte Folded Reload
	s_waitcnt vmcnt(0)
	v_cndmask_b32_e64 v0, 0, v0, s[0:1]
	v_cmp_gt_i32_e64 s[0:1], s30, v32
	v_cndmask_b32_e64 v51, 0, v51, s[0:1]
	buffer_store_dword v0, off, s[44:47], 0 offset:112 ; 4-byte Folded Spill
.LBB309_614:                            ;   in Loop: Header=BB309_414 Depth=1
	s_or_b64 exec, exec, s[12:13]
	global_load_dwordx2 v[17:18], v[15:16], off offset:2048
	v_mov_b32_e32 v20, 0
	v_mov_b32_e32 v0, 0
	s_waitcnt vmcnt(0)
	v_cmp_ne_u16_sdwa s[0:1], v17, v10 src0_sel:BYTE_0 src1_sel:DWORD
	s_and_saveexec_b64 s[12:13], s[0:1]
	s_cbranch_execz .LBB309_620
; %bb.615:                              ;   in Loop: Header=BB309_414 Depth=1
	v_cmp_ne_u16_sdwa s[0:1], v17, s24 src0_sel:BYTE_0 src1_sel:DWORD
	v_bfrev_b32_e32 v0, 1
	s_and_saveexec_b64 s[14:15], s[0:1]
	s_cbranch_execz .LBB309_619
; %bb.616:                              ;   in Loop: Header=BB309_414 Depth=1
	v_and_b32_e32 v9, 0x7f, v17
	v_cmp_ne_u32_e64 s[0:1], s25, v9
	v_mov_b32_e32 v0, 0x7f800001
	s_and_saveexec_b64 s[16:17], s[0:1]
	s_cbranch_execz .LBB309_618
; %bb.617:                              ;   in Loop: Header=BB309_414 Depth=1
	v_and_b32_e32 v0, 7, v17
	v_ffbh_u32_e32 v0, v0
	v_min_u32_e32 v0, 32, v0
	v_lshrrev_b32_e32 v19, 3, v9
	v_cmp_gt_u32_e64 s[0:1], 8, v9
	v_subrev_u32_e32 v9, 28, v0
	v_cndmask_b32_e64 v9, 0, v9, s[0:1]
	v_lshlrev_b64 v[34:35], v9, v[17:18]
	v_sub_u32_e32 v0, 29, v0
	v_cndmask_b32_e64 v0, v19, v0, s[0:1]
	v_lshlrev_b32_e32 v9, 20, v34
	v_lshlrev_b32_e32 v19, 24, v17
	v_bfrev_b32_e32 v11, 60
	v_and_b32_e32 v9, 0x700000, v9
	v_and_b32_e32 v19, 0x80000000, v19
	v_lshl_add_u32 v0, v0, 23, v11
	v_or3_b32 v0, v19, v0, v9
.LBB309_618:                            ;   in Loop: Header=BB309_414 Depth=1
	s_or_b64 exec, exec, s[16:17]
.LBB309_619:                            ;   in Loop: Header=BB309_414 Depth=1
	s_or_b64 exec, exec, s[14:15]
.LBB309_620:                            ;   in Loop: Header=BB309_414 Depth=1
	s_or_b64 exec, exec, s[12:13]
	v_lshrrev_b16_e32 v9, 8, v17
	v_cmp_ne_u16_e64 s[0:1], 0, v9
	s_and_saveexec_b64 s[12:13], s[0:1]
	s_cbranch_execz .LBB309_626
; %bb.621:                              ;   in Loop: Header=BB309_414 Depth=1
	v_cmp_ne_u16_e64 s[0:1], s24, v9
	v_bfrev_b32_e32 v20, 1
	s_and_saveexec_b64 s[14:15], s[0:1]
	s_cbranch_execz .LBB309_625
; %bb.622:                              ;   in Loop: Header=BB309_414 Depth=1
	v_and_b32_e32 v19, 0x7f, v9
	v_cmp_ne_u32_e64 s[0:1], s25, v19
	v_mov_b32_e32 v20, 0x7f800001
	s_and_saveexec_b64 s[16:17], s[0:1]
	s_cbranch_execz .LBB309_624
; %bb.623:                              ;   in Loop: Header=BB309_414 Depth=1
	v_and_b32_e32 v21, 7, v9
	v_lshrrev_b32_e32 v22, 3, v19
	v_cmp_gt_u32_e64 s[0:1], 8, v19
	v_ffbh_u32_e32 v19, v21
	v_min_u32_e32 v23, 32, v19
	v_subrev_u32_e32 v19, 28, v23
	v_lshlrev_b64 v[19:20], v19, v[9:10]
	v_sub_u32_e32 v9, 29, v23
	v_and_b32_e32 v19, 7, v19
	v_cndmask_b32_e64 v9, v22, v9, s[0:1]
	v_cndmask_b32_e64 v19, v21, v19, s[0:1]
	v_lshlrev_b32_e32 v20, 16, v17
	v_bfrev_b32_e32 v11, 60
	v_lshlrev_b32_e32 v19, 20, v19
	v_and_b32_e32 v20, 0x80000000, v20
	v_lshl_add_u32 v9, v9, 23, v11
	v_or3_b32 v20, v20, v9, v19
.LBB309_624:                            ;   in Loop: Header=BB309_414 Depth=1
	s_or_b64 exec, exec, s[16:17]
.LBB309_625:                            ;   in Loop: Header=BB309_414 Depth=1
	s_or_b64 exec, exec, s[14:15]
.LBB309_626:                            ;   in Loop: Header=BB309_414 Depth=1
	s_or_b64 exec, exec, s[12:13]
	v_lshrrev_b32_e32 v9, 16, v17
	v_cmp_ne_u16_sdwa s[0:1], v9, v10 src0_sel:BYTE_0 src1_sel:DWORD
	v_mov_b32_e32 v35, 0
	v_mov_b32_e32 v34, 0
	s_and_saveexec_b64 s[12:13], s[0:1]
	s_cbranch_execz .LBB309_632
; %bb.627:                              ;   in Loop: Header=BB309_414 Depth=1
	v_cmp_ne_u16_sdwa s[0:1], v9, s24 src0_sel:BYTE_0 src1_sel:DWORD
	v_bfrev_b32_e32 v34, 1
	s_and_saveexec_b64 s[14:15], s[0:1]
	s_cbranch_execz .LBB309_631
; %bb.628:                              ;   in Loop: Header=BB309_414 Depth=1
	v_bfe_u32 v19, v17, 16, 7
	v_cmp_ne_u32_e64 s[0:1], s25, v19
	v_mov_b32_e32 v34, 0x7f800001
	s_and_saveexec_b64 s[16:17], s[0:1]
	s_cbranch_execz .LBB309_630
; %bb.629:                              ;   in Loop: Header=BB309_414 Depth=1
	v_and_b32_e32 v21, 7, v9
	v_lshrrev_b32_e32 v22, 3, v19
	v_cmp_gt_u32_e64 s[0:1], 8, v19
	v_ffbh_u32_e32 v19, v21
	v_min_u32_e32 v19, 32, v19
	v_subrev_u32_e32 v23, 28, v19
	v_lshlrev_b64 v[36:37], v23, v[9:10]
	v_sub_u32_e32 v19, 29, v19
	v_and_b32_e32 v23, 7, v36
	v_cndmask_b32_e64 v19, v22, v19, s[0:1]
	v_cndmask_b32_e64 v21, v21, v23, s[0:1]
	v_lshlrev_b32_e32 v9, 24, v9
	v_bfrev_b32_e32 v11, 60
	v_lshlrev_b32_e32 v21, 20, v21
	v_and_b32_e32 v9, 0x80000000, v9
	v_lshl_add_u32 v19, v19, 23, v11
	v_or3_b32 v34, v9, v19, v21
.LBB309_630:                            ;   in Loop: Header=BB309_414 Depth=1
	s_or_b64 exec, exec, s[16:17]
.LBB309_631:                            ;   in Loop: Header=BB309_414 Depth=1
	s_or_b64 exec, exec, s[14:15]
.LBB309_632:                            ;   in Loop: Header=BB309_414 Depth=1
	s_or_b64 exec, exec, s[12:13]
	v_cmp_lt_u32_e64 s[0:1], s5, v17
	s_and_saveexec_b64 s[12:13], s[0:1]
	s_cbranch_execz .LBB309_638
; %bb.633:                              ;   in Loop: Header=BB309_414 Depth=1
	v_lshrrev_b32_e32 v9, 24, v17
	v_cmp_ne_u32_e64 s[0:1], s24, v9
	v_bfrev_b32_e32 v35, 1
	s_and_saveexec_b64 s[14:15], s[0:1]
	s_cbranch_execz .LBB309_637
; %bb.634:                              ;   in Loop: Header=BB309_414 Depth=1
	v_bfe_u32 v19, v17, 24, 7
	v_cmp_ne_u32_e64 s[0:1], s25, v19
	v_mov_b32_e32 v35, 0x7f800001
	s_and_saveexec_b64 s[16:17], s[0:1]
	s_cbranch_execz .LBB309_636
; %bb.635:                              ;   in Loop: Header=BB309_414 Depth=1
	v_and_b32_e32 v21, 7, v9
	v_lshrrev_b32_e32 v22, 3, v19
	v_cmp_gt_u32_e64 s[0:1], 8, v19
	v_ffbh_u32_e32 v19, v21
	v_min_u32_e32 v19, 32, v19
	v_subrev_u32_e32 v23, 28, v19
	v_lshlrev_b64 v[35:36], v23, v[9:10]
	v_sub_u32_e32 v19, 29, v19
	v_and_b32_e32 v23, 7, v35
	v_cndmask_b32_e64 v19, v22, v19, s[0:1]
	v_cndmask_b32_e64 v21, v21, v23, s[0:1]
	v_lshlrev_b32_e32 v9, 24, v9
	v_bfrev_b32_e32 v11, 60
	v_lshlrev_b32_e32 v21, 20, v21
	v_and_b32_e32 v9, 0x80000000, v9
	v_lshl_add_u32 v19, v19, 23, v11
	v_or3_b32 v35, v9, v19, v21
.LBB309_636:                            ;   in Loop: Header=BB309_414 Depth=1
	s_or_b64 exec, exec, s[16:17]
.LBB309_637:                            ;   in Loop: Header=BB309_414 Depth=1
	s_or_b64 exec, exec, s[14:15]
.LBB309_638:                            ;   in Loop: Header=BB309_414 Depth=1
	s_or_b64 exec, exec, s[12:13]
	v_mov_b32_e32 v9, v18
	v_cmp_ne_u16_sdwa s[0:1], v18, v10 src0_sel:BYTE_0 src1_sel:DWORD
	v_mov_b32_e32 v37, 0
	v_mov_b32_e32 v36, 0
	s_and_saveexec_b64 s[12:13], s[0:1]
	s_cbranch_execz .LBB309_644
; %bb.639:                              ;   in Loop: Header=BB309_414 Depth=1
	v_cmp_ne_u16_sdwa s[0:1], v18, s24 src0_sel:BYTE_0 src1_sel:DWORD
	v_bfrev_b32_e32 v36, 1
	s_and_saveexec_b64 s[14:15], s[0:1]
	s_cbranch_execz .LBB309_643
; %bb.640:                              ;   in Loop: Header=BB309_414 Depth=1
	v_and_b32_e32 v19, 0x7f, v18
	v_cmp_ne_u32_e64 s[0:1], s25, v19
	v_mov_b32_e32 v36, 0x7f800001
	s_and_saveexec_b64 s[16:17], s[0:1]
	s_cbranch_execz .LBB309_642
; %bb.641:                              ;   in Loop: Header=BB309_414 Depth=1
	v_and_b32_e32 v21, 7, v18
	v_lshrrev_b32_e32 v22, 3, v19
	v_cmp_gt_u32_e64 s[0:1], 8, v19
	v_ffbh_u32_e32 v19, v21
	v_min_u32_e32 v19, 32, v19
	v_subrev_u32_e32 v21, 28, v19
	v_cndmask_b32_e64 v21, 0, v21, s[0:1]
	v_lshlrev_b64 v[38:39], v21, v[9:10]
	v_sub_u32_e32 v19, 29, v19
	v_cndmask_b32_e64 v19, v22, v19, s[0:1]
	v_lshlrev_b32_e32 v21, 20, v38
	v_lshlrev_b32_e32 v22, 24, v9
	v_bfrev_b32_e32 v11, 60
	v_and_b32_e32 v21, 0x700000, v21
	v_and_b32_e32 v22, 0x80000000, v22
	v_lshl_add_u32 v19, v19, 23, v11
	v_or3_b32 v36, v22, v19, v21
.LBB309_642:                            ;   in Loop: Header=BB309_414 Depth=1
	s_or_b64 exec, exec, s[16:17]
.LBB309_643:                            ;   in Loop: Header=BB309_414 Depth=1
	s_or_b64 exec, exec, s[14:15]
.LBB309_644:                            ;   in Loop: Header=BB309_414 Depth=1
	s_or_b64 exec, exec, s[12:13]
	v_lshrrev_b16_e32 v19, 8, v9
	v_cmp_ne_u16_e64 s[0:1], 0, v19
	s_and_saveexec_b64 s[12:13], s[0:1]
	s_cbranch_execz .LBB309_650
; %bb.645:                              ;   in Loop: Header=BB309_414 Depth=1
	v_cmp_ne_u16_e64 s[0:1], s24, v19
	v_bfrev_b32_e32 v37, 1
	s_and_saveexec_b64 s[14:15], s[0:1]
	s_cbranch_execz .LBB309_649
; %bb.646:                              ;   in Loop: Header=BB309_414 Depth=1
	v_and_b32_e32 v23, 0x7f, v19
	v_cmp_ne_u32_e64 s[0:1], s25, v23
	v_mov_b32_e32 v37, 0x7f800001
	s_and_saveexec_b64 s[16:17], s[0:1]
	s_cbranch_execz .LBB309_648
; %bb.647:                              ;   in Loop: Header=BB309_414 Depth=1
	v_and_b32_e32 v21, 7, v19
	v_lshrrev_b32_e32 v22, 3, v23
	v_cmp_gt_u32_e64 s[0:1], 8, v23
	v_ffbh_u32_e32 v23, v21
	v_min_u32_e32 v23, 32, v23
	v_subrev_u32_e32 v37, 28, v23
	v_lshlrev_b64 v[37:38], v37, v[19:20]
	v_sub_u32_e32 v19, 29, v23
	v_and_b32_e32 v23, 7, v37
	v_cndmask_b32_e64 v19, v22, v19, s[0:1]
	v_cndmask_b32_e64 v21, v21, v23, s[0:1]
	v_lshlrev_b32_e32 v9, 16, v9
	v_bfrev_b32_e32 v11, 60
	v_lshlrev_b32_e32 v21, 20, v21
	v_and_b32_e32 v9, 0x80000000, v9
	v_lshl_add_u32 v19, v19, 23, v11
	v_or3_b32 v37, v9, v19, v21
.LBB309_648:                            ;   in Loop: Header=BB309_414 Depth=1
	s_or_b64 exec, exec, s[16:17]
.LBB309_649:                            ;   in Loop: Header=BB309_414 Depth=1
	s_or_b64 exec, exec, s[14:15]
.LBB309_650:                            ;   in Loop: Header=BB309_414 Depth=1
	s_or_b64 exec, exec, s[12:13]
	v_lshrrev_b32_e32 v9, 16, v18
	v_cmp_ne_u16_sdwa s[0:1], v9, v10 src0_sel:BYTE_0 src1_sel:DWORD
	v_mov_b32_e32 v19, 0
	v_mov_b32_e32 v23, 0
	s_and_saveexec_b64 s[12:13], s[0:1]
	s_cbranch_execz .LBB309_656
; %bb.651:                              ;   in Loop: Header=BB309_414 Depth=1
	v_cmp_ne_u16_sdwa s[0:1], v9, s24 src0_sel:BYTE_0 src1_sel:DWORD
	v_bfrev_b32_e32 v23, 1
	s_and_saveexec_b64 s[14:15], s[0:1]
	s_cbranch_execz .LBB309_655
; %bb.652:                              ;   in Loop: Header=BB309_414 Depth=1
	v_bfe_u32 v38, v18, 16, 7
	v_cmp_ne_u32_e64 s[0:1], s25, v38
	v_mov_b32_e32 v23, 0x7f800001
	s_and_saveexec_b64 s[16:17], s[0:1]
	s_cbranch_execz .LBB309_654
; %bb.653:                              ;   in Loop: Header=BB309_414 Depth=1
	v_and_b32_e32 v21, 7, v9
	v_ffbh_u32_e32 v23, v21
	v_min_u32_e32 v23, 32, v23
	v_lshrrev_b32_e32 v22, 3, v38
	v_cmp_gt_u32_e64 s[0:1], 8, v38
	v_subrev_u32_e32 v38, 28, v23
	v_lshlrev_b64 v[38:39], v38, v[9:10]
	v_sub_u32_e32 v23, 29, v23
	v_and_b32_e32 v38, 7, v38
	v_cndmask_b32_e64 v22, v22, v23, s[0:1]
	v_cndmask_b32_e64 v21, v21, v38, s[0:1]
	v_lshlrev_b32_e32 v9, 24, v9
	v_bfrev_b32_e32 v11, 60
	v_lshlrev_b32_e32 v21, 20, v21
	v_and_b32_e32 v9, 0x80000000, v9
	v_lshl_add_u32 v22, v22, 23, v11
	v_or3_b32 v23, v9, v22, v21
.LBB309_654:                            ;   in Loop: Header=BB309_414 Depth=1
	s_or_b64 exec, exec, s[16:17]
.LBB309_655:                            ;   in Loop: Header=BB309_414 Depth=1
	s_or_b64 exec, exec, s[14:15]
.LBB309_656:                            ;   in Loop: Header=BB309_414 Depth=1
	s_or_b64 exec, exec, s[12:13]
	v_cmp_lt_u64_e64 s[0:1], s[4:5], v[17:18]
	s_and_saveexec_b64 s[12:13], s[0:1]
	s_cbranch_execz .LBB309_662
; %bb.657:                              ;   in Loop: Header=BB309_414 Depth=1
	v_lshrrev_b32_e32 v9, 24, v18
	v_cmp_ne_u32_e64 s[0:1], s24, v9
	v_bfrev_b32_e32 v19, 1
	s_and_saveexec_b64 s[14:15], s[0:1]
	s_cbranch_execz .LBB309_661
; %bb.658:                              ;   in Loop: Header=BB309_414 Depth=1
	v_bfe_u32 v17, v18, 24, 7
	v_cmp_ne_u32_e64 s[0:1], s25, v17
	v_mov_b32_e32 v19, 0x7f800001
	s_and_saveexec_b64 s[16:17], s[0:1]
	s_cbranch_execz .LBB309_660
; %bb.659:                              ;   in Loop: Header=BB309_414 Depth=1
	v_and_b32_e32 v19, 7, v9
	v_lshrrev_b32_e32 v21, 3, v17
	v_cmp_gt_u32_e64 s[0:1], 8, v17
	v_ffbh_u32_e32 v17, v19
	v_min_u32_e32 v22, 32, v17
	v_subrev_u32_e32 v17, 28, v22
	v_lshlrev_b64 v[17:18], v17, v[9:10]
	v_sub_u32_e32 v18, 29, v22
	v_and_b32_e32 v17, 7, v17
	v_cndmask_b32_e64 v18, v21, v18, s[0:1]
	v_cndmask_b32_e64 v17, v19, v17, s[0:1]
	v_lshlrev_b32_e32 v9, 24, v9
	v_bfrev_b32_e32 v11, 60
	v_lshlrev_b32_e32 v17, 20, v17
	v_and_b32_e32 v9, 0x80000000, v9
	v_lshl_add_u32 v18, v18, 23, v11
	v_or3_b32 v19, v9, v18, v17
.LBB309_660:                            ;   in Loop: Header=BB309_414 Depth=1
	s_or_b64 exec, exec, s[16:17]
.LBB309_661:                            ;   in Loop: Header=BB309_414 Depth=1
	s_or_b64 exec, exec, s[14:15]
.LBB309_662:                            ;   in Loop: Header=BB309_414 Depth=1
	s_or_b64 exec, exec, s[12:13]
	v_mul_f32_e32 v9, s18, v37
	v_bfe_u32 v17, v9, 16, 1
	v_add3_u32 v17, v17, v9, s26
	v_or_b32_e32 v18, 0x400000, v9
	v_cmp_u_f32_e64 s[0:1], v9, v9
	v_cndmask_b32_e64 v9, v17, v18, s[0:1]
	v_lshrrev_b32_e32 v55, 16, v9
	v_mul_f32_e32 v9, s18, v36
	v_bfe_u32 v17, v9, 16, 1
	v_add3_u32 v17, v17, v9, s26
	v_or_b32_e32 v18, 0x400000, v9
	v_cmp_u_f32_e64 s[0:1], v9, v9
	v_cndmask_b32_e64 v9, v17, v18, s[0:1]
	v_lshrrev_b32_e32 v54, 16, v9
	;; [unrolled: 7-line block ×4, first 2 shown]
	v_mul_f32_e32 v9, s18, v20
	v_bfe_u32 v17, v9, 16, 1
	v_add3_u32 v17, v17, v9, s26
	v_or_b32_e32 v18, 0x400000, v9
	v_cmp_u_f32_e64 s[0:1], v9, v9
	v_cndmask_b32_e64 v9, v17, v18, s[0:1]
	v_mul_f32_e32 v0, s18, v0
	v_lshrrev_b32_e32 v39, 16, v9
	v_bfe_u32 v9, v0, 16, 1
	v_add3_u32 v9, v9, v0, s26
	v_or_b32_e32 v17, 0x400000, v0
	v_cmp_u_f32_e64 s[0:1], v0, v0
	v_cndmask_b32_e64 v0, v9, v17, s[0:1]
	v_lshrrev_b32_e32 v38, 16, v0
	v_mul_f32_e32 v0, s18, v23
	v_bfe_u32 v9, v0, 16, 1
	v_add3_u32 v9, v9, v0, s26
	v_or_b32_e32 v17, 0x400000, v0
	v_cmp_u_f32_e64 s[0:1], v0, v0
	v_cndmask_b32_e64 v0, v9, v17, s[0:1]
	v_lshrrev_b32_e32 v56, 16, v0
	v_mul_f32_e32 v0, s18, v19
	v_bfe_u32 v9, v0, 16, 1
	v_add3_u32 v9, v9, v0, s26
	v_or_b32_e32 v17, 0x400000, v0
	v_cmp_u_f32_e64 s[0:1], v0, v0
	v_cndmask_b32_e64 v0, v9, v17, s[0:1]
	v_lshrrev_b32_e32 v37, 16, v0
	s_and_saveexec_b64 s[12:13], vcc
	s_cbranch_execz .LBB309_664
; %bb.663:                              ;   in Loop: Header=BB309_414 Depth=1
	v_add_u32_e32 v0, -7, v32
	v_cmp_gt_i32_e64 s[0:1], s30, v0
	v_add_u32_e32 v0, -6, v32
	v_cndmask_b32_e64 v38, 0, v38, s[0:1]
	v_cmp_gt_i32_e64 s[0:1], s30, v0
	v_add_u32_e32 v0, -5, v32
	v_cndmask_b32_e64 v39, 0, v39, s[0:1]
	;; [unrolled: 3-line block ×6, first 2 shown]
	v_cmp_gt_i32_e64 s[0:1], s30, v0
	v_cndmask_b32_e64 v56, 0, v56, s[0:1]
	v_cmp_gt_i32_e64 s[0:1], s30, v32
	v_cndmask_b32_e64 v37, 0, v37, s[0:1]
.LBB309_664:                            ;   in Loop: Header=BB309_414 Depth=1
	s_or_b64 exec, exec, s[12:13]
	global_load_dwordx2 v[17:18], v[15:16], off offset:2560
	v_mov_b32_e32 v42, 0
	v_mov_b32_e32 v34, 0
	s_waitcnt vmcnt(0)
	v_cmp_ne_u16_sdwa s[0:1], v17, v10 src0_sel:BYTE_0 src1_sel:DWORD
	s_and_saveexec_b64 s[12:13], s[0:1]
	s_cbranch_execz .LBB309_670
; %bb.665:                              ;   in Loop: Header=BB309_414 Depth=1
	v_cmp_ne_u16_sdwa s[0:1], v17, s24 src0_sel:BYTE_0 src1_sel:DWORD
	v_bfrev_b32_e32 v34, 1
	s_and_saveexec_b64 s[14:15], s[0:1]
	s_cbranch_execz .LBB309_669
; %bb.666:                              ;   in Loop: Header=BB309_414 Depth=1
	v_and_b32_e32 v0, 0x7f, v17
	v_cmp_ne_u32_e64 s[0:1], s25, v0
	v_mov_b32_e32 v34, 0x7f800001
	s_and_saveexec_b64 s[16:17], s[0:1]
	s_cbranch_execz .LBB309_668
; %bb.667:                              ;   in Loop: Header=BB309_414 Depth=1
	v_and_b32_e32 v9, 7, v17
	v_lshrrev_b32_e32 v19, 3, v0
	v_cmp_gt_u32_e64 s[0:1], 8, v0
	v_ffbh_u32_e32 v0, v9
	v_min_u32_e32 v0, 32, v0
	v_subrev_u32_e32 v9, 28, v0
	v_sub_u32_e32 v0, 29, v0
	v_cndmask_b32_e64 v9, 0, v9, s[0:1]
	v_cndmask_b32_e64 v0, v19, v0, s[0:1]
	v_lshlrev_b64 v[19:20], v9, v[17:18]
	v_bfrev_b32_e32 v11, 60
	v_lshlrev_b32_e32 v9, 20, v19
	v_lshlrev_b32_e32 v19, 24, v17
	v_and_b32_e32 v9, 0x700000, v9
	v_and_b32_e32 v19, 0x80000000, v19
	v_lshl_add_u32 v0, v0, 23, v11
	v_or3_b32 v34, v19, v0, v9
.LBB309_668:                            ;   in Loop: Header=BB309_414 Depth=1
	s_or_b64 exec, exec, s[16:17]
.LBB309_669:                            ;   in Loop: Header=BB309_414 Depth=1
	s_or_b64 exec, exec, s[14:15]
.LBB309_670:                            ;   in Loop: Header=BB309_414 Depth=1
	s_or_b64 exec, exec, s[12:13]
	v_lshrrev_b16_e32 v9, 8, v17
	v_cmp_ne_u16_e64 s[0:1], 0, v9
	s_and_saveexec_b64 s[12:13], s[0:1]
	s_cbranch_execz .LBB309_676
; %bb.671:                              ;   in Loop: Header=BB309_414 Depth=1
	v_cmp_ne_u16_e64 s[0:1], s24, v9
	v_bfrev_b32_e32 v42, 1
	s_and_saveexec_b64 s[14:15], s[0:1]
	s_cbranch_execz .LBB309_675
; %bb.672:                              ;   in Loop: Header=BB309_414 Depth=1
	v_and_b32_e32 v0, 0x7f, v9
	v_cmp_ne_u32_e64 s[0:1], s25, v0
	v_mov_b32_e32 v42, 0x7f800001
	s_and_saveexec_b64 s[16:17], s[0:1]
	s_cbranch_execz .LBB309_674
; %bb.673:                              ;   in Loop: Header=BB309_414 Depth=1
	v_and_b32_e32 v21, 7, v9
	v_lshrrev_b32_e32 v22, 3, v0
	v_cmp_gt_u32_e64 s[0:1], 8, v0
	v_ffbh_u32_e32 v0, v21
	v_min_u32_e32 v0, 32, v0
	v_subrev_u32_e32 v19, 28, v0
	v_lshlrev_b64 v[19:20], v19, v[9:10]
	v_sub_u32_e32 v0, 29, v0
	v_and_b32_e32 v9, 7, v19
	v_cndmask_b32_e64 v0, v22, v0, s[0:1]
	v_cndmask_b32_e64 v9, v21, v9, s[0:1]
	v_lshlrev_b32_e32 v19, 16, v17
	v_bfrev_b32_e32 v11, 60
	v_lshlrev_b32_e32 v9, 20, v9
	v_and_b32_e32 v19, 0x80000000, v19
	v_lshl_add_u32 v0, v0, 23, v11
	v_or3_b32 v42, v19, v0, v9
.LBB309_674:                            ;   in Loop: Header=BB309_414 Depth=1
	s_or_b64 exec, exec, s[16:17]
.LBB309_675:                            ;   in Loop: Header=BB309_414 Depth=1
	s_or_b64 exec, exec, s[14:15]
.LBB309_676:                            ;   in Loop: Header=BB309_414 Depth=1
	s_or_b64 exec, exec, s[12:13]
	v_lshrrev_b32_e32 v9, 16, v17
	v_cmp_ne_u16_sdwa s[0:1], v9, v10 src0_sel:BYTE_0 src1_sel:DWORD
	v_mov_b32_e32 v20, 0
	v_mov_b32_e32 v0, 0
	s_and_saveexec_b64 s[12:13], s[0:1]
	s_cbranch_execz .LBB309_682
; %bb.677:                              ;   in Loop: Header=BB309_414 Depth=1
	v_cmp_ne_u16_sdwa s[0:1], v9, s24 src0_sel:BYTE_0 src1_sel:DWORD
	v_bfrev_b32_e32 v0, 1
	s_and_saveexec_b64 s[14:15], s[0:1]
	s_cbranch_execz .LBB309_681
; %bb.678:                              ;   in Loop: Header=BB309_414 Depth=1
	v_bfe_u32 v19, v17, 16, 7
	v_cmp_ne_u32_e64 s[0:1], s25, v19
	v_mov_b32_e32 v0, 0x7f800001
	s_and_saveexec_b64 s[16:17], s[0:1]
	s_cbranch_execz .LBB309_680
; %bb.679:                              ;   in Loop: Header=BB309_414 Depth=1
	v_and_b32_e32 v0, 7, v9
	v_lshrrev_b32_e32 v21, 3, v19
	v_cmp_gt_u32_e64 s[0:1], 8, v19
	v_ffbh_u32_e32 v19, v0
	v_min_u32_e32 v19, 32, v19
	v_subrev_u32_e32 v22, 28, v19
	v_lshlrev_b64 v[40:41], v22, v[9:10]
	v_sub_u32_e32 v19, 29, v19
	v_and_b32_e32 v22, 7, v40
	v_cndmask_b32_e64 v19, v21, v19, s[0:1]
	v_cndmask_b32_e64 v0, v0, v22, s[0:1]
	v_lshlrev_b32_e32 v9, 24, v9
	v_bfrev_b32_e32 v11, 60
	v_lshlrev_b32_e32 v0, 20, v0
	v_and_b32_e32 v9, 0x80000000, v9
	v_lshl_add_u32 v19, v19, 23, v11
	v_or3_b32 v0, v9, v19, v0
.LBB309_680:                            ;   in Loop: Header=BB309_414 Depth=1
	s_or_b64 exec, exec, s[16:17]
.LBB309_681:                            ;   in Loop: Header=BB309_414 Depth=1
	s_or_b64 exec, exec, s[14:15]
.LBB309_682:                            ;   in Loop: Header=BB309_414 Depth=1
	s_or_b64 exec, exec, s[12:13]
	v_cmp_lt_u32_e64 s[0:1], s5, v17
	s_and_saveexec_b64 s[12:13], s[0:1]
	s_cbranch_execz .LBB309_688
; %bb.683:                              ;   in Loop: Header=BB309_414 Depth=1
	v_lshrrev_b32_e32 v9, 24, v17
	v_cmp_ne_u32_e64 s[0:1], s24, v9
	v_bfrev_b32_e32 v20, 1
	s_and_saveexec_b64 s[14:15], s[0:1]
	s_cbranch_execz .LBB309_687
; %bb.684:                              ;   in Loop: Header=BB309_414 Depth=1
	v_bfe_u32 v19, v17, 24, 7
	v_cmp_ne_u32_e64 s[0:1], s25, v19
	v_mov_b32_e32 v20, 0x7f800001
	s_and_saveexec_b64 s[16:17], s[0:1]
	s_cbranch_execz .LBB309_686
; %bb.685:                              ;   in Loop: Header=BB309_414 Depth=1
	v_and_b32_e32 v21, 7, v9
	v_lshrrev_b32_e32 v22, 3, v19
	v_cmp_gt_u32_e64 s[0:1], 8, v19
	v_ffbh_u32_e32 v19, v21
	v_min_u32_e32 v23, 32, v19
	v_subrev_u32_e32 v19, 28, v23
	v_lshlrev_b64 v[19:20], v19, v[9:10]
	v_sub_u32_e32 v20, 29, v23
	v_and_b32_e32 v19, 7, v19
	v_cndmask_b32_e64 v20, v22, v20, s[0:1]
	v_cndmask_b32_e64 v19, v21, v19, s[0:1]
	v_lshlrev_b32_e32 v9, 24, v9
	v_bfrev_b32_e32 v11, 60
	v_lshlrev_b32_e32 v19, 20, v19
	v_and_b32_e32 v9, 0x80000000, v9
	v_lshl_add_u32 v20, v20, 23, v11
	v_or3_b32 v20, v9, v20, v19
.LBB309_686:                            ;   in Loop: Header=BB309_414 Depth=1
	s_or_b64 exec, exec, s[16:17]
.LBB309_687:                            ;   in Loop: Header=BB309_414 Depth=1
	s_or_b64 exec, exec, s[14:15]
.LBB309_688:                            ;   in Loop: Header=BB309_414 Depth=1
	s_or_b64 exec, exec, s[12:13]
	v_mov_b32_e32 v9, v18
	v_cmp_ne_u16_sdwa s[0:1], v18, v10 src0_sel:BYTE_0 src1_sel:DWORD
	v_mov_b32_e32 v41, 0
	v_mov_b32_e32 v40, 0
	s_and_saveexec_b64 s[12:13], s[0:1]
	s_cbranch_execz .LBB309_694
; %bb.689:                              ;   in Loop: Header=BB309_414 Depth=1
	v_cmp_ne_u16_sdwa s[0:1], v18, s24 src0_sel:BYTE_0 src1_sel:DWORD
	v_bfrev_b32_e32 v40, 1
	s_and_saveexec_b64 s[14:15], s[0:1]
	s_cbranch_execz .LBB309_693
; %bb.690:                              ;   in Loop: Header=BB309_414 Depth=1
	v_and_b32_e32 v19, 0x7f, v18
	v_cmp_ne_u32_e64 s[0:1], s25, v19
	v_mov_b32_e32 v40, 0x7f800001
	s_and_saveexec_b64 s[16:17], s[0:1]
	s_cbranch_execz .LBB309_692
; %bb.691:                              ;   in Loop: Header=BB309_414 Depth=1
	v_and_b32_e32 v21, 7, v18
	v_lshrrev_b32_e32 v22, 3, v19
	v_cmp_gt_u32_e64 s[0:1], 8, v19
	v_ffbh_u32_e32 v19, v21
	v_min_u32_e32 v19, 32, v19
	v_subrev_u32_e32 v21, 28, v19
	v_cndmask_b32_e64 v21, 0, v21, s[0:1]
	v_lshlrev_b64 v[43:44], v21, v[9:10]
	v_sub_u32_e32 v19, 29, v19
	v_cndmask_b32_e64 v19, v22, v19, s[0:1]
	v_lshlrev_b32_e32 v21, 20, v43
	v_lshlrev_b32_e32 v22, 24, v9
	v_bfrev_b32_e32 v11, 60
	v_and_b32_e32 v21, 0x700000, v21
	v_and_b32_e32 v22, 0x80000000, v22
	v_lshl_add_u32 v19, v19, 23, v11
	v_or3_b32 v40, v22, v19, v21
.LBB309_692:                            ;   in Loop: Header=BB309_414 Depth=1
	s_or_b64 exec, exec, s[16:17]
.LBB309_693:                            ;   in Loop: Header=BB309_414 Depth=1
	s_or_b64 exec, exec, s[14:15]
.LBB309_694:                            ;   in Loop: Header=BB309_414 Depth=1
	s_or_b64 exec, exec, s[12:13]
	v_lshrrev_b16_e32 v19, 8, v9
	v_cmp_ne_u16_e64 s[0:1], 0, v19
	s_and_saveexec_b64 s[12:13], s[0:1]
	s_cbranch_execz .LBB309_700
; %bb.695:                              ;   in Loop: Header=BB309_414 Depth=1
	v_cmp_ne_u16_e64 s[0:1], s24, v19
	v_bfrev_b32_e32 v41, 1
	s_and_saveexec_b64 s[14:15], s[0:1]
	s_cbranch_execz .LBB309_699
; %bb.696:                              ;   in Loop: Header=BB309_414 Depth=1
	v_and_b32_e32 v23, 0x7f, v19
	v_cmp_ne_u32_e64 s[0:1], s25, v23
	v_mov_b32_e32 v41, 0x7f800001
	s_and_saveexec_b64 s[16:17], s[0:1]
	s_cbranch_execz .LBB309_698
; %bb.697:                              ;   in Loop: Header=BB309_414 Depth=1
	v_and_b32_e32 v21, 7, v19
	v_lshrrev_b32_e32 v22, 3, v23
	v_cmp_gt_u32_e64 s[0:1], 8, v23
	v_ffbh_u32_e32 v23, v21
	v_min_u32_e32 v23, 32, v23
	v_subrev_u32_e32 v41, 28, v23
	v_lshlrev_b64 v[43:44], v41, v[19:20]
	v_sub_u32_e32 v19, 29, v23
	v_and_b32_e32 v23, 7, v43
	v_cndmask_b32_e64 v19, v22, v19, s[0:1]
	v_cndmask_b32_e64 v21, v21, v23, s[0:1]
	v_lshlrev_b32_e32 v9, 16, v9
	v_bfrev_b32_e32 v11, 60
	v_lshlrev_b32_e32 v21, 20, v21
	v_and_b32_e32 v9, 0x80000000, v9
	v_lshl_add_u32 v19, v19, 23, v11
	v_or3_b32 v41, v9, v19, v21
.LBB309_698:                            ;   in Loop: Header=BB309_414 Depth=1
	s_or_b64 exec, exec, s[16:17]
.LBB309_699:                            ;   in Loop: Header=BB309_414 Depth=1
	s_or_b64 exec, exec, s[14:15]
.LBB309_700:                            ;   in Loop: Header=BB309_414 Depth=1
	s_or_b64 exec, exec, s[12:13]
	v_lshrrev_b32_e32 v9, 16, v18
	v_cmp_ne_u16_sdwa s[0:1], v9, v10 src0_sel:BYTE_0 src1_sel:DWORD
	v_mov_b32_e32 v19, 0
	v_mov_b32_e32 v23, 0
	s_and_saveexec_b64 s[12:13], s[0:1]
	s_cbranch_execz .LBB309_706
; %bb.701:                              ;   in Loop: Header=BB309_414 Depth=1
	v_cmp_ne_u16_sdwa s[0:1], v9, s24 src0_sel:BYTE_0 src1_sel:DWORD
	v_bfrev_b32_e32 v23, 1
	s_and_saveexec_b64 s[14:15], s[0:1]
	s_cbranch_execz .LBB309_705
; %bb.702:                              ;   in Loop: Header=BB309_414 Depth=1
	v_bfe_u32 v43, v18, 16, 7
	v_cmp_ne_u32_e64 s[0:1], s25, v43
	v_mov_b32_e32 v23, 0x7f800001
	s_and_saveexec_b64 s[16:17], s[0:1]
	s_cbranch_execz .LBB309_704
; %bb.703:                              ;   in Loop: Header=BB309_414 Depth=1
	v_and_b32_e32 v21, 7, v9
	v_ffbh_u32_e32 v23, v21
	v_min_u32_e32 v23, 32, v23
	v_lshrrev_b32_e32 v22, 3, v43
	v_cmp_gt_u32_e64 s[0:1], 8, v43
	v_subrev_u32_e32 v43, 28, v23
	v_lshlrev_b64 v[43:44], v43, v[9:10]
	v_sub_u32_e32 v23, 29, v23
	v_and_b32_e32 v43, 7, v43
	v_cndmask_b32_e64 v22, v22, v23, s[0:1]
	v_cndmask_b32_e64 v21, v21, v43, s[0:1]
	v_lshlrev_b32_e32 v9, 24, v9
	v_bfrev_b32_e32 v11, 60
	v_lshlrev_b32_e32 v21, 20, v21
	v_and_b32_e32 v9, 0x80000000, v9
	v_lshl_add_u32 v22, v22, 23, v11
	v_or3_b32 v23, v9, v22, v21
.LBB309_704:                            ;   in Loop: Header=BB309_414 Depth=1
	s_or_b64 exec, exec, s[16:17]
.LBB309_705:                            ;   in Loop: Header=BB309_414 Depth=1
	s_or_b64 exec, exec, s[14:15]
.LBB309_706:                            ;   in Loop: Header=BB309_414 Depth=1
	s_or_b64 exec, exec, s[12:13]
	v_cmp_lt_u64_e64 s[0:1], s[4:5], v[17:18]
	s_and_saveexec_b64 s[12:13], s[0:1]
	s_cbranch_execz .LBB309_712
; %bb.707:                              ;   in Loop: Header=BB309_414 Depth=1
	v_lshrrev_b32_e32 v9, 24, v18
	v_cmp_ne_u32_e64 s[0:1], s24, v9
	v_bfrev_b32_e32 v19, 1
	s_and_saveexec_b64 s[14:15], s[0:1]
	s_cbranch_execz .LBB309_711
; %bb.708:                              ;   in Loop: Header=BB309_414 Depth=1
	v_bfe_u32 v17, v18, 24, 7
	v_cmp_ne_u32_e64 s[0:1], s25, v17
	v_mov_b32_e32 v19, 0x7f800001
	s_and_saveexec_b64 s[16:17], s[0:1]
	s_cbranch_execz .LBB309_710
; %bb.709:                              ;   in Loop: Header=BB309_414 Depth=1
	v_and_b32_e32 v19, 7, v9
	v_lshrrev_b32_e32 v21, 3, v17
	v_cmp_gt_u32_e64 s[0:1], 8, v17
	v_ffbh_u32_e32 v17, v19
	v_min_u32_e32 v22, 32, v17
	v_subrev_u32_e32 v17, 28, v22
	v_lshlrev_b64 v[17:18], v17, v[9:10]
	v_sub_u32_e32 v18, 29, v22
	v_and_b32_e32 v17, 7, v17
	v_cndmask_b32_e64 v18, v21, v18, s[0:1]
	v_cndmask_b32_e64 v17, v19, v17, s[0:1]
	v_lshlrev_b32_e32 v9, 24, v9
	v_bfrev_b32_e32 v11, 60
	v_lshlrev_b32_e32 v17, 20, v17
	v_and_b32_e32 v9, 0x80000000, v9
	v_lshl_add_u32 v18, v18, 23, v11
	v_or3_b32 v19, v9, v18, v17
.LBB309_710:                            ;   in Loop: Header=BB309_414 Depth=1
	s_or_b64 exec, exec, s[16:17]
.LBB309_711:                            ;   in Loop: Header=BB309_414 Depth=1
	s_or_b64 exec, exec, s[14:15]
.LBB309_712:                            ;   in Loop: Header=BB309_414 Depth=1
	s_or_b64 exec, exec, s[12:13]
	v_mul_f32_e32 v9, s18, v41
	v_bfe_u32 v17, v9, 16, 1
	v_add3_u32 v17, v17, v9, s26
	v_or_b32_e32 v18, 0x400000, v9
	v_cmp_u_f32_e64 s[0:1], v9, v9
	v_cndmask_b32_e64 v9, v17, v18, s[0:1]
	v_lshrrev_b32_e32 v41, 16, v9
	v_mul_f32_e32 v9, s18, v40
	v_bfe_u32 v17, v9, 16, 1
	v_add3_u32 v17, v17, v9, s26
	v_or_b32_e32 v18, 0x400000, v9
	v_cmp_u_f32_e64 s[0:1], v9, v9
	v_cndmask_b32_e64 v9, v17, v18, s[0:1]
	v_lshrrev_b32_e32 v40, 16, v9
	v_mul_f32_e32 v9, s18, v20
	v_bfe_u32 v17, v9, 16, 1
	v_add3_u32 v17, v17, v9, s26
	v_or_b32_e32 v18, 0x400000, v9
	v_cmp_u_f32_e64 s[0:1], v9, v9
	v_cndmask_b32_e64 v9, v17, v18, s[0:1]
	v_mul_f32_e32 v0, s18, v0
	v_lshrrev_b32_e32 v20, 16, v9
	v_bfe_u32 v9, v0, 16, 1
	v_add3_u32 v9, v9, v0, s26
	v_or_b32_e32 v17, 0x400000, v0
	v_cmp_u_f32_e64 s[0:1], v0, v0
	v_cndmask_b32_e64 v0, v9, v17, s[0:1]
	v_mul_f32_e32 v9, s18, v42
	v_bfe_u32 v17, v9, 16, 1
	v_add3_u32 v17, v17, v9, s26
	v_or_b32_e32 v18, 0x400000, v9
	v_cmp_u_f32_e64 s[0:1], v9, v9
	v_cndmask_b32_e64 v9, v17, v18, s[0:1]
	v_lshrrev_b32_e32 v46, 16, v9
	v_mul_f32_e32 v9, s18, v34
	v_bfe_u32 v17, v9, 16, 1
	v_add3_u32 v17, v17, v9, s26
	v_or_b32_e32 v18, 0x400000, v9
	v_cmp_u_f32_e64 s[0:1], v9, v9
	v_cndmask_b32_e64 v9, v17, v18, s[0:1]
	v_lshrrev_b32_e32 v45, 16, v9
	;; [unrolled: 7-line block ×4, first 2 shown]
	v_lshrrev_b32_e32 v44, 16, v9
	s_and_saveexec_b64 s[12:13], vcc
	s_cbranch_execz .LBB309_714
; %bb.713:                              ;   in Loop: Header=BB309_414 Depth=1
	v_add_u32_e32 v9, -7, v32
	v_cmp_gt_i32_e64 s[0:1], s30, v9
	v_add_u32_e32 v9, -6, v32
	v_cndmask_b32_e64 v45, 0, v45, s[0:1]
	v_cmp_gt_i32_e64 s[0:1], s30, v9
	v_add_u32_e32 v9, -5, v32
	v_cndmask_b32_e64 v46, 0, v46, s[0:1]
	;; [unrolled: 3-line block ×6, first 2 shown]
	v_cmp_gt_i32_e64 s[0:1], s30, v9
	v_cndmask_b32_e64 v42, 0, v42, s[0:1]
	v_cmp_gt_i32_e64 s[0:1], s30, v32
	v_cndmask_b32_e64 v44, 0, v44, s[0:1]
.LBB309_714:                            ;   in Loop: Header=BB309_414 Depth=1
	s_or_b64 exec, exec, s[12:13]
	global_load_dwordx2 v[17:18], v[15:16], off offset:3072
	v_mov_b32_e32 v47, 0
	v_mov_b32_e32 v43, 0
	s_waitcnt vmcnt(0)
	v_cmp_ne_u16_sdwa s[0:1], v17, v10 src0_sel:BYTE_0 src1_sel:DWORD
	s_and_saveexec_b64 s[12:13], s[0:1]
	s_cbranch_execz .LBB309_720
; %bb.715:                              ;   in Loop: Header=BB309_414 Depth=1
	v_cmp_ne_u16_sdwa s[0:1], v17, s24 src0_sel:BYTE_0 src1_sel:DWORD
	v_bfrev_b32_e32 v43, 1
	s_and_saveexec_b64 s[14:15], s[0:1]
	s_cbranch_execz .LBB309_719
; %bb.716:                              ;   in Loop: Header=BB309_414 Depth=1
	v_and_b32_e32 v9, 0x7f, v17
	v_cmp_ne_u32_e64 s[0:1], s25, v9
	v_mov_b32_e32 v43, 0x7f800001
	s_and_saveexec_b64 s[16:17], s[0:1]
	s_cbranch_execz .LBB309_718
; %bb.717:                              ;   in Loop: Header=BB309_414 Depth=1
	v_and_b32_e32 v19, 7, v17
	v_lshrrev_b32_e32 v21, 3, v9
	v_cmp_gt_u32_e64 s[0:1], 8, v9
	v_ffbh_u32_e32 v9, v19
	v_min_u32_e32 v9, 32, v9
	v_subrev_u32_e32 v19, 28, v9
	v_cndmask_b32_e64 v19, 0, v19, s[0:1]
	v_lshlrev_b64 v[48:49], v19, v[17:18]
	v_sub_u32_e32 v9, 29, v9
	v_cndmask_b32_e64 v9, v21, v9, s[0:1]
	v_lshlrev_b32_e32 v19, 20, v48
	v_lshlrev_b32_e32 v21, 24, v17
	v_bfrev_b32_e32 v11, 60
	v_and_b32_e32 v19, 0x700000, v19
	v_and_b32_e32 v21, 0x80000000, v21
	v_lshl_add_u32 v9, v9, 23, v11
	v_or3_b32 v43, v21, v9, v19
.LBB309_718:                            ;   in Loop: Header=BB309_414 Depth=1
	s_or_b64 exec, exec, s[16:17]
.LBB309_719:                            ;   in Loop: Header=BB309_414 Depth=1
	s_or_b64 exec, exec, s[14:15]
.LBB309_720:                            ;   in Loop: Header=BB309_414 Depth=1
	s_or_b64 exec, exec, s[12:13]
	v_lshrrev_b16_e32 v9, 8, v17
	v_cmp_ne_u16_e64 s[0:1], 0, v9
	s_and_saveexec_b64 s[12:13], s[0:1]
	s_cbranch_execz .LBB309_726
; %bb.721:                              ;   in Loop: Header=BB309_414 Depth=1
	v_cmp_ne_u16_e64 s[0:1], s24, v9
	v_bfrev_b32_e32 v47, 1
	s_and_saveexec_b64 s[14:15], s[0:1]
	s_cbranch_execz .LBB309_725
; %bb.722:                              ;   in Loop: Header=BB309_414 Depth=1
	v_and_b32_e32 v19, 0x7f, v9
	v_cmp_ne_u32_e64 s[0:1], s25, v19
	v_mov_b32_e32 v47, 0x7f800001
	s_and_saveexec_b64 s[16:17], s[0:1]
	s_cbranch_execz .LBB309_724
; %bb.723:                              ;   in Loop: Header=BB309_414 Depth=1
	v_and_b32_e32 v21, 7, v9
	v_lshrrev_b32_e32 v22, 3, v19
	v_cmp_gt_u32_e64 s[0:1], 8, v19
	v_ffbh_u32_e32 v19, v21
	v_min_u32_e32 v19, 32, v19
	v_subrev_u32_e32 v23, 28, v19
	v_lshlrev_b64 v[47:48], v23, v[9:10]
	v_sub_u32_e32 v9, 29, v19
	v_and_b32_e32 v19, 7, v47
	v_cndmask_b32_e64 v9, v22, v9, s[0:1]
	v_cndmask_b32_e64 v19, v21, v19, s[0:1]
	v_lshlrev_b32_e32 v21, 16, v17
	v_bfrev_b32_e32 v11, 60
	v_lshlrev_b32_e32 v19, 20, v19
	v_and_b32_e32 v21, 0x80000000, v21
	v_lshl_add_u32 v9, v9, 23, v11
	v_or3_b32 v47, v21, v9, v19
.LBB309_724:                            ;   in Loop: Header=BB309_414 Depth=1
	s_or_b64 exec, exec, s[16:17]
.LBB309_725:                            ;   in Loop: Header=BB309_414 Depth=1
	s_or_b64 exec, exec, s[14:15]
.LBB309_726:                            ;   in Loop: Header=BB309_414 Depth=1
	s_or_b64 exec, exec, s[12:13]
	v_lshrrev_b32_e32 v9, 16, v17
	v_cmp_ne_u16_sdwa s[0:1], v9, v10 src0_sel:BYTE_0 src1_sel:DWORD
	v_mov_b32_e32 v34, 0
	v_mov_b32_e32 v48, 0
	s_and_saveexec_b64 s[12:13], s[0:1]
	s_cbranch_execz .LBB309_732
; %bb.727:                              ;   in Loop: Header=BB309_414 Depth=1
	v_cmp_ne_u16_sdwa s[0:1], v9, s24 src0_sel:BYTE_0 src1_sel:DWORD
	v_bfrev_b32_e32 v48, 1
	s_and_saveexec_b64 s[14:15], s[0:1]
	s_cbranch_execz .LBB309_731
; %bb.728:                              ;   in Loop: Header=BB309_414 Depth=1
	v_bfe_u32 v19, v17, 16, 7
	v_cmp_ne_u32_e64 s[0:1], s25, v19
	v_mov_b32_e32 v48, 0x7f800001
	s_and_saveexec_b64 s[16:17], s[0:1]
	s_cbranch_execz .LBB309_730
; %bb.729:                              ;   in Loop: Header=BB309_414 Depth=1
	v_and_b32_e32 v21, 7, v9
	v_lshrrev_b32_e32 v22, 3, v19
	v_cmp_gt_u32_e64 s[0:1], 8, v19
	v_ffbh_u32_e32 v19, v21
	v_min_u32_e32 v19, 32, v19
	v_subrev_u32_e32 v23, 28, v19
	v_lshlrev_b64 v[48:49], v23, v[9:10]
	v_sub_u32_e32 v19, 29, v19
	v_and_b32_e32 v23, 7, v48
	v_cndmask_b32_e64 v19, v22, v19, s[0:1]
	v_cndmask_b32_e64 v21, v21, v23, s[0:1]
	v_lshlrev_b32_e32 v9, 24, v9
	v_bfrev_b32_e32 v11, 60
	v_lshlrev_b32_e32 v21, 20, v21
	v_and_b32_e32 v9, 0x80000000, v9
	v_lshl_add_u32 v19, v19, 23, v11
	v_or3_b32 v48, v9, v19, v21
.LBB309_730:                            ;   in Loop: Header=BB309_414 Depth=1
	s_or_b64 exec, exec, s[16:17]
.LBB309_731:                            ;   in Loop: Header=BB309_414 Depth=1
	s_or_b64 exec, exec, s[14:15]
.LBB309_732:                            ;   in Loop: Header=BB309_414 Depth=1
	s_or_b64 exec, exec, s[12:13]
	v_cmp_lt_u32_e64 s[0:1], s5, v17
	s_and_saveexec_b64 s[12:13], s[0:1]
	s_cbranch_execz .LBB309_738
; %bb.733:                              ;   in Loop: Header=BB309_414 Depth=1
	v_lshrrev_b32_e32 v9, 24, v17
	v_cmp_ne_u32_e64 s[0:1], s24, v9
	v_bfrev_b32_e32 v34, 1
	s_and_saveexec_b64 s[14:15], s[0:1]
	s_cbranch_execz .LBB309_737
; %bb.734:                              ;   in Loop: Header=BB309_414 Depth=1
	v_bfe_u32 v19, v17, 24, 7
	v_cmp_ne_u32_e64 s[0:1], s25, v19
	v_mov_b32_e32 v34, 0x7f800001
	s_and_saveexec_b64 s[16:17], s[0:1]
	s_cbranch_execz .LBB309_736
; %bb.735:                              ;   in Loop: Header=BB309_414 Depth=1
	v_and_b32_e32 v21, 7, v9
	v_lshrrev_b32_e32 v22, 3, v19
	v_cmp_gt_u32_e64 s[0:1], 8, v19
	v_ffbh_u32_e32 v19, v21
	v_min_u32_e32 v19, 32, v19
	v_subrev_u32_e32 v23, 28, v19
	v_lshlrev_b64 v[57:58], v23, v[9:10]
	v_sub_u32_e32 v19, 29, v19
	v_and_b32_e32 v23, 7, v57
	v_cndmask_b32_e64 v19, v22, v19, s[0:1]
	v_cndmask_b32_e64 v21, v21, v23, s[0:1]
	v_lshlrev_b32_e32 v9, 24, v9
	v_bfrev_b32_e32 v11, 60
	v_lshlrev_b32_e32 v21, 20, v21
	v_and_b32_e32 v9, 0x80000000, v9
	v_lshl_add_u32 v19, v19, 23, v11
	v_or3_b32 v34, v9, v19, v21
.LBB309_736:                            ;   in Loop: Header=BB309_414 Depth=1
	s_or_b64 exec, exec, s[16:17]
.LBB309_737:                            ;   in Loop: Header=BB309_414 Depth=1
	s_or_b64 exec, exec, s[14:15]
.LBB309_738:                            ;   in Loop: Header=BB309_414 Depth=1
	s_or_b64 exec, exec, s[12:13]
	v_mov_b32_e32 v9, v18
	v_cmp_ne_u16_sdwa s[0:1], v18, v10 src0_sel:BYTE_0 src1_sel:DWORD
	v_mov_b32_e32 v57, 0
	v_mov_b32_e32 v49, 0
	s_and_saveexec_b64 s[12:13], s[0:1]
	s_cbranch_execz .LBB309_744
; %bb.739:                              ;   in Loop: Header=BB309_414 Depth=1
	v_cmp_ne_u16_sdwa s[0:1], v18, s24 src0_sel:BYTE_0 src1_sel:DWORD
	v_bfrev_b32_e32 v49, 1
	s_and_saveexec_b64 s[14:15], s[0:1]
	s_cbranch_execz .LBB309_743
; %bb.740:                              ;   in Loop: Header=BB309_414 Depth=1
	v_and_b32_e32 v19, 0x7f, v18
	v_cmp_ne_u32_e64 s[0:1], s25, v19
	v_mov_b32_e32 v49, 0x7f800001
	s_and_saveexec_b64 s[16:17], s[0:1]
	s_cbranch_execz .LBB309_742
; %bb.741:                              ;   in Loop: Header=BB309_414 Depth=1
	v_and_b32_e32 v21, 7, v18
	v_lshrrev_b32_e32 v22, 3, v19
	v_cmp_gt_u32_e64 s[0:1], 8, v19
	v_ffbh_u32_e32 v19, v21
	v_min_u32_e32 v19, 32, v19
	v_subrev_u32_e32 v21, 28, v19
	v_cndmask_b32_e64 v21, 0, v21, s[0:1]
	v_lshlrev_b64 v[58:59], v21, v[9:10]
	v_sub_u32_e32 v19, 29, v19
	v_cndmask_b32_e64 v19, v22, v19, s[0:1]
	v_lshlrev_b32_e32 v21, 20, v58
	v_lshlrev_b32_e32 v22, 24, v9
	v_bfrev_b32_e32 v11, 60
	v_and_b32_e32 v21, 0x700000, v21
	v_and_b32_e32 v22, 0x80000000, v22
	v_lshl_add_u32 v19, v19, 23, v11
	v_or3_b32 v49, v22, v19, v21
.LBB309_742:                            ;   in Loop: Header=BB309_414 Depth=1
	s_or_b64 exec, exec, s[16:17]
.LBB309_743:                            ;   in Loop: Header=BB309_414 Depth=1
	s_or_b64 exec, exec, s[14:15]
.LBB309_744:                            ;   in Loop: Header=BB309_414 Depth=1
	s_or_b64 exec, exec, s[12:13]
	v_lshrrev_b16_e32 v19, 8, v9
	v_cmp_ne_u16_e64 s[0:1], 0, v19
	s_and_saveexec_b64 s[12:13], s[0:1]
	s_cbranch_execz .LBB309_750
; %bb.745:                              ;   in Loop: Header=BB309_414 Depth=1
	v_cmp_ne_u16_e64 s[0:1], s24, v19
	v_bfrev_b32_e32 v57, 1
	s_and_saveexec_b64 s[14:15], s[0:1]
	s_cbranch_execz .LBB309_749
; %bb.746:                              ;   in Loop: Header=BB309_414 Depth=1
	v_and_b32_e32 v23, 0x7f, v19
	v_cmp_ne_u32_e64 s[0:1], s25, v23
	v_mov_b32_e32 v57, 0x7f800001
	s_and_saveexec_b64 s[16:17], s[0:1]
	s_cbranch_execz .LBB309_748
; %bb.747:                              ;   in Loop: Header=BB309_414 Depth=1
	v_and_b32_e32 v21, 7, v19
	v_lshrrev_b32_e32 v22, 3, v23
	v_cmp_gt_u32_e64 s[0:1], 8, v23
	v_ffbh_u32_e32 v23, v21
	v_min_u32_e32 v23, 32, v23
	v_subrev_u32_e32 v57, 28, v23
	v_lshlrev_b64 v[57:58], v57, v[19:20]
	v_sub_u32_e32 v19, 29, v23
	v_and_b32_e32 v23, 7, v57
	v_cndmask_b32_e64 v19, v22, v19, s[0:1]
	v_cndmask_b32_e64 v21, v21, v23, s[0:1]
	v_lshlrev_b32_e32 v9, 16, v9
	v_bfrev_b32_e32 v11, 60
	v_lshlrev_b32_e32 v21, 20, v21
	v_and_b32_e32 v9, 0x80000000, v9
	v_lshl_add_u32 v19, v19, 23, v11
	v_or3_b32 v57, v9, v19, v21
.LBB309_748:                            ;   in Loop: Header=BB309_414 Depth=1
	s_or_b64 exec, exec, s[16:17]
.LBB309_749:                            ;   in Loop: Header=BB309_414 Depth=1
	s_or_b64 exec, exec, s[14:15]
.LBB309_750:                            ;   in Loop: Header=BB309_414 Depth=1
	s_or_b64 exec, exec, s[12:13]
	v_lshrrev_b32_e32 v9, 16, v18
	v_cmp_ne_u16_sdwa s[0:1], v9, v10 src0_sel:BYTE_0 src1_sel:DWORD
	v_mov_b32_e32 v60, 0
	v_mov_b32_e32 v23, 0
	s_and_saveexec_b64 s[12:13], s[0:1]
	s_cbranch_execz .LBB309_756
; %bb.751:                              ;   in Loop: Header=BB309_414 Depth=1
	v_cmp_ne_u16_sdwa s[0:1], v9, s24 src0_sel:BYTE_0 src1_sel:DWORD
	v_bfrev_b32_e32 v23, 1
	s_and_saveexec_b64 s[14:15], s[0:1]
	s_cbranch_execz .LBB309_755
; %bb.752:                              ;   in Loop: Header=BB309_414 Depth=1
	v_bfe_u32 v19, v18, 16, 7
	v_cmp_ne_u32_e64 s[0:1], s25, v19
	v_mov_b32_e32 v23, 0x7f800001
	s_and_saveexec_b64 s[16:17], s[0:1]
	s_cbranch_execz .LBB309_754
; %bb.753:                              ;   in Loop: Header=BB309_414 Depth=1
	v_and_b32_e32 v21, 7, v9
	v_lshrrev_b32_e32 v22, 3, v19
	v_cmp_gt_u32_e64 s[0:1], 8, v19
	v_ffbh_u32_e32 v19, v21
	v_min_u32_e32 v19, 32, v19
	v_subrev_u32_e32 v23, 28, v19
	v_lshlrev_b64 v[58:59], v23, v[9:10]
	v_sub_u32_e32 v19, 29, v19
	v_and_b32_e32 v23, 7, v58
	v_cndmask_b32_e64 v19, v22, v19, s[0:1]
	v_cndmask_b32_e64 v21, v21, v23, s[0:1]
	v_lshlrev_b32_e32 v9, 24, v9
	v_bfrev_b32_e32 v11, 60
	v_lshlrev_b32_e32 v21, 20, v21
	v_and_b32_e32 v9, 0x80000000, v9
	v_lshl_add_u32 v19, v19, 23, v11
	v_or3_b32 v23, v9, v19, v21
.LBB309_754:                            ;   in Loop: Header=BB309_414 Depth=1
	s_or_b64 exec, exec, s[16:17]
.LBB309_755:                            ;   in Loop: Header=BB309_414 Depth=1
	s_or_b64 exec, exec, s[14:15]
.LBB309_756:                            ;   in Loop: Header=BB309_414 Depth=1
	s_or_b64 exec, exec, s[12:13]
	v_cmp_lt_u64_e64 s[0:1], s[4:5], v[17:18]
	s_and_saveexec_b64 s[12:13], s[0:1]
	s_cbranch_execz .LBB309_762
; %bb.757:                              ;   in Loop: Header=BB309_414 Depth=1
	v_lshrrev_b32_e32 v9, 24, v18
	v_cmp_ne_u32_e64 s[0:1], s24, v9
	v_bfrev_b32_e32 v60, 1
	s_and_saveexec_b64 s[14:15], s[0:1]
	s_cbranch_execz .LBB309_761
; %bb.758:                              ;   in Loop: Header=BB309_414 Depth=1
	v_bfe_u32 v17, v18, 24, 7
	v_cmp_ne_u32_e64 s[0:1], s25, v17
	v_mov_b32_e32 v60, 0x7f800001
	s_and_saveexec_b64 s[16:17], s[0:1]
	s_cbranch_execz .LBB309_760
; %bb.759:                              ;   in Loop: Header=BB309_414 Depth=1
	v_and_b32_e32 v19, 7, v9
	v_lshrrev_b32_e32 v21, 3, v17
	v_cmp_gt_u32_e64 s[0:1], 8, v17
	v_ffbh_u32_e32 v17, v19
	v_min_u32_e32 v22, 32, v17
	v_subrev_u32_e32 v17, 28, v22
	v_lshlrev_b64 v[17:18], v17, v[9:10]
	v_sub_u32_e32 v18, 29, v22
	v_and_b32_e32 v17, 7, v17
	v_cndmask_b32_e64 v18, v21, v18, s[0:1]
	v_cndmask_b32_e64 v17, v19, v17, s[0:1]
	v_lshlrev_b32_e32 v9, 24, v9
	v_bfrev_b32_e32 v11, 60
	v_lshlrev_b32_e32 v17, 20, v17
	v_and_b32_e32 v9, 0x80000000, v9
	v_lshl_add_u32 v18, v18, 23, v11
	v_or3_b32 v60, v9, v18, v17
.LBB309_760:                            ;   in Loop: Header=BB309_414 Depth=1
	s_or_b64 exec, exec, s[16:17]
.LBB309_761:                            ;   in Loop: Header=BB309_414 Depth=1
	s_or_b64 exec, exec, s[14:15]
.LBB309_762:                            ;   in Loop: Header=BB309_414 Depth=1
	s_or_b64 exec, exec, s[12:13]
	v_mul_f32_e32 v9, s18, v57
	v_bfe_u32 v17, v9, 16, 1
	v_add3_u32 v17, v17, v9, s26
	v_or_b32_e32 v18, 0x400000, v9
	v_cmp_u_f32_e64 s[0:1], v9, v9
	v_cndmask_b32_e64 v9, v17, v18, s[0:1]
	v_lshrrev_b32_e32 v19, 16, v9
	v_mul_f32_e32 v9, s18, v49
	v_bfe_u32 v17, v9, 16, 1
	v_add3_u32 v17, v17, v9, s26
	v_or_b32_e32 v18, 0x400000, v9
	v_cmp_u_f32_e64 s[0:1], v9, v9
	v_cndmask_b32_e64 v9, v17, v18, s[0:1]
	v_lshrrev_b32_e32 v18, 16, v9
	;; [unrolled: 7-line block ×8, first 2 shown]
	s_and_saveexec_b64 s[12:13], vcc
	s_cbranch_execz .LBB309_764
; %bb.763:                              ;   in Loop: Header=BB309_414 Depth=1
	v_add_u32_e32 v9, -7, v32
	v_cmp_gt_i32_e64 s[0:1], s30, v9
	v_add_u32_e32 v9, -6, v32
	v_cndmask_b32_e64 v58, 0, v58, s[0:1]
	v_cmp_gt_i32_e64 s[0:1], s30, v9
	v_add_u32_e32 v9, -5, v32
	v_cndmask_b32_e64 v59, 0, v59, s[0:1]
	;; [unrolled: 3-line block ×6, first 2 shown]
	v_cmp_gt_i32_e64 s[0:1], s30, v9
	v_cndmask_b32_e64 v47, 0, v47, s[0:1]
	v_cmp_gt_i32_e64 s[0:1], s30, v32
	v_cndmask_b32_e64 v49, 0, v49, s[0:1]
.LBB309_764:                            ;   in Loop: Header=BB309_414 Depth=1
	s_or_b64 exec, exec, s[12:13]
	global_load_dwordx2 v[15:16], v[15:16], off offset:3584
	v_mov_b32_e32 v60, 0
	v_mov_b32_e32 v43, 0
	s_waitcnt vmcnt(0)
	v_cmp_ne_u16_sdwa s[0:1], v15, v10 src0_sel:BYTE_0 src1_sel:DWORD
	s_and_saveexec_b64 s[12:13], s[0:1]
	s_cbranch_execz .LBB309_770
; %bb.765:                              ;   in Loop: Header=BB309_414 Depth=1
	v_cmp_ne_u16_sdwa s[0:1], v15, s24 src0_sel:BYTE_0 src1_sel:DWORD
	v_bfrev_b32_e32 v43, 1
	s_and_saveexec_b64 s[14:15], s[0:1]
	s_cbranch_execz .LBB309_769
; %bb.766:                              ;   in Loop: Header=BB309_414 Depth=1
	v_and_b32_e32 v9, 0x7f, v15
	v_cmp_ne_u32_e64 s[0:1], s25, v9
	v_mov_b32_e32 v43, 0x7f800001
	s_and_saveexec_b64 s[16:17], s[0:1]
	s_cbranch_execz .LBB309_768
; %bb.767:                              ;   in Loop: Header=BB309_414 Depth=1
	v_and_b32_e32 v17, 7, v15
	v_lshrrev_b32_e32 v21, 3, v9
	v_cmp_gt_u32_e64 s[0:1], 8, v9
	v_ffbh_u32_e32 v9, v17
	v_min_u32_e32 v9, 32, v9
	v_subrev_u32_e32 v17, 28, v9
	v_cndmask_b32_e64 v17, 0, v17, s[0:1]
	v_lshlrev_b64 v[61:62], v17, v[15:16]
	v_sub_u32_e32 v9, 29, v9
	v_cndmask_b32_e64 v9, v21, v9, s[0:1]
	v_lshlrev_b32_e32 v17, 20, v61
	v_lshlrev_b32_e32 v21, 24, v15
	v_bfrev_b32_e32 v11, 60
	v_and_b32_e32 v17, 0x700000, v17
	v_and_b32_e32 v21, 0x80000000, v21
	v_lshl_add_u32 v9, v9, 23, v11
	v_or3_b32 v43, v21, v9, v17
.LBB309_768:                            ;   in Loop: Header=BB309_414 Depth=1
	s_or_b64 exec, exec, s[16:17]
.LBB309_769:                            ;   in Loop: Header=BB309_414 Depth=1
	s_or_b64 exec, exec, s[14:15]
.LBB309_770:                            ;   in Loop: Header=BB309_414 Depth=1
	s_or_b64 exec, exec, s[12:13]
	v_lshrrev_b16_e32 v9, 8, v15
	v_cmp_ne_u16_e64 s[0:1], 0, v9
	s_and_saveexec_b64 s[12:13], s[0:1]
	s_cbranch_execz .LBB309_776
; %bb.771:                              ;   in Loop: Header=BB309_414 Depth=1
	v_cmp_ne_u16_e64 s[0:1], s24, v9
	v_bfrev_b32_e32 v60, 1
	s_and_saveexec_b64 s[14:15], s[0:1]
	s_cbranch_execz .LBB309_775
; %bb.772:                              ;   in Loop: Header=BB309_414 Depth=1
	v_and_b32_e32 v17, 0x7f, v9
	v_cmp_ne_u32_e64 s[0:1], s25, v17
	v_mov_b32_e32 v60, 0x7f800001
	s_and_saveexec_b64 s[16:17], s[0:1]
	s_cbranch_execz .LBB309_774
; %bb.773:                              ;   in Loop: Header=BB309_414 Depth=1
	v_and_b32_e32 v21, 7, v9
	v_lshrrev_b32_e32 v22, 3, v17
	v_cmp_gt_u32_e64 s[0:1], 8, v17
	v_ffbh_u32_e32 v17, v21
	v_min_u32_e32 v17, 32, v17
	v_subrev_u32_e32 v23, 28, v17
	v_lshlrev_b64 v[60:61], v23, v[9:10]
	v_sub_u32_e32 v9, 29, v17
	v_and_b32_e32 v17, 7, v60
	v_cndmask_b32_e64 v9, v22, v9, s[0:1]
	v_cndmask_b32_e64 v17, v21, v17, s[0:1]
	v_lshlrev_b32_e32 v21, 16, v15
	v_bfrev_b32_e32 v11, 60
	v_lshlrev_b32_e32 v17, 20, v17
	v_and_b32_e32 v21, 0x80000000, v21
	v_lshl_add_u32 v9, v9, 23, v11
	v_or3_b32 v60, v21, v9, v17
.LBB309_774:                            ;   in Loop: Header=BB309_414 Depth=1
	s_or_b64 exec, exec, s[16:17]
.LBB309_775:                            ;   in Loop: Header=BB309_414 Depth=1
	s_or_b64 exec, exec, s[14:15]
.LBB309_776:                            ;   in Loop: Header=BB309_414 Depth=1
	s_or_b64 exec, exec, s[12:13]
	v_lshrrev_b32_e32 v9, 16, v15
	v_cmp_ne_u16_sdwa s[0:1], v9, v10 src0_sel:BYTE_0 src1_sel:DWORD
	v_mov_b32_e32 v61, 0
	v_mov_b32_e32 v57, 0
	s_and_saveexec_b64 s[12:13], s[0:1]
	s_cbranch_execz .LBB309_782
; %bb.777:                              ;   in Loop: Header=BB309_414 Depth=1
	v_cmp_ne_u16_sdwa s[0:1], v9, s24 src0_sel:BYTE_0 src1_sel:DWORD
	v_bfrev_b32_e32 v57, 1
	s_and_saveexec_b64 s[14:15], s[0:1]
	s_cbranch_execz .LBB309_781
; %bb.778:                              ;   in Loop: Header=BB309_414 Depth=1
	v_bfe_u32 v17, v15, 16, 7
	v_cmp_ne_u32_e64 s[0:1], s25, v17
	v_mov_b32_e32 v57, 0x7f800001
	s_and_saveexec_b64 s[16:17], s[0:1]
	s_cbranch_execz .LBB309_780
; %bb.779:                              ;   in Loop: Header=BB309_414 Depth=1
	v_and_b32_e32 v21, 7, v9
	v_lshrrev_b32_e32 v22, 3, v17
	v_cmp_gt_u32_e64 s[0:1], 8, v17
	v_ffbh_u32_e32 v17, v21
	v_min_u32_e32 v17, 32, v17
	v_subrev_u32_e32 v23, 28, v17
	v_lshlrev_b64 v[62:63], v23, v[9:10]
	v_sub_u32_e32 v17, 29, v17
	v_and_b32_e32 v23, 7, v62
	v_cndmask_b32_e64 v17, v22, v17, s[0:1]
	v_cndmask_b32_e64 v21, v21, v23, s[0:1]
	v_lshlrev_b32_e32 v9, 24, v9
	v_bfrev_b32_e32 v11, 60
	v_lshlrev_b32_e32 v21, 20, v21
	v_and_b32_e32 v9, 0x80000000, v9
	v_lshl_add_u32 v17, v17, 23, v11
	v_or3_b32 v57, v9, v17, v21
.LBB309_780:                            ;   in Loop: Header=BB309_414 Depth=1
	s_or_b64 exec, exec, s[16:17]
.LBB309_781:                            ;   in Loop: Header=BB309_414 Depth=1
	s_or_b64 exec, exec, s[14:15]
.LBB309_782:                            ;   in Loop: Header=BB309_414 Depth=1
	s_or_b64 exec, exec, s[12:13]
	v_cmp_lt_u32_e64 s[0:1], s5, v15
	s_and_saveexec_b64 s[12:13], s[0:1]
	s_cbranch_execz .LBB309_788
; %bb.783:                              ;   in Loop: Header=BB309_414 Depth=1
	v_lshrrev_b32_e32 v9, 24, v15
	v_cmp_ne_u32_e64 s[0:1], s24, v9
	v_bfrev_b32_e32 v61, 1
	s_and_saveexec_b64 s[14:15], s[0:1]
	s_cbranch_execz .LBB309_787
; %bb.784:                              ;   in Loop: Header=BB309_414 Depth=1
	v_bfe_u32 v17, v15, 24, 7
	v_cmp_ne_u32_e64 s[0:1], s25, v17
	v_mov_b32_e32 v61, 0x7f800001
	s_and_saveexec_b64 s[16:17], s[0:1]
	s_cbranch_execz .LBB309_786
; %bb.785:                              ;   in Loop: Header=BB309_414 Depth=1
	v_and_b32_e32 v21, 7, v9
	v_lshrrev_b32_e32 v22, 3, v17
	v_cmp_gt_u32_e64 s[0:1], 8, v17
	v_ffbh_u32_e32 v17, v21
	v_min_u32_e32 v17, 32, v17
	v_subrev_u32_e32 v23, 28, v17
	v_lshlrev_b64 v[61:62], v23, v[9:10]
	v_sub_u32_e32 v17, 29, v17
	v_and_b32_e32 v23, 7, v61
	v_cndmask_b32_e64 v17, v22, v17, s[0:1]
	v_cndmask_b32_e64 v21, v21, v23, s[0:1]
	v_lshlrev_b32_e32 v9, 24, v9
	v_bfrev_b32_e32 v11, 60
	v_lshlrev_b32_e32 v21, 20, v21
	v_and_b32_e32 v9, 0x80000000, v9
	v_lshl_add_u32 v17, v17, 23, v11
	v_or3_b32 v61, v9, v17, v21
.LBB309_786:                            ;   in Loop: Header=BB309_414 Depth=1
	s_or_b64 exec, exec, s[16:17]
.LBB309_787:                            ;   in Loop: Header=BB309_414 Depth=1
	s_or_b64 exec, exec, s[14:15]
.LBB309_788:                            ;   in Loop: Header=BB309_414 Depth=1
	s_or_b64 exec, exec, s[12:13]
	v_mov_b32_e32 v9, v16
	v_cmp_ne_u16_sdwa s[0:1], v16, v10 src0_sel:BYTE_0 src1_sel:DWORD
	v_mov_b32_e32 v63, 0
	v_mov_b32_e32 v62, 0
	s_and_saveexec_b64 s[12:13], s[0:1]
	s_cbranch_execz .LBB309_794
; %bb.789:                              ;   in Loop: Header=BB309_414 Depth=1
	v_cmp_ne_u16_sdwa s[0:1], v16, s24 src0_sel:BYTE_0 src1_sel:DWORD
	v_bfrev_b32_e32 v62, 1
	s_and_saveexec_b64 s[14:15], s[0:1]
	s_cbranch_execz .LBB309_793
; %bb.790:                              ;   in Loop: Header=BB309_414 Depth=1
	v_and_b32_e32 v17, 0x7f, v16
	v_cmp_ne_u32_e64 s[0:1], s25, v17
	v_mov_b32_e32 v62, 0x7f800001
	s_and_saveexec_b64 s[16:17], s[0:1]
	s_cbranch_execz .LBB309_792
; %bb.791:                              ;   in Loop: Header=BB309_414 Depth=1
	v_and_b32_e32 v21, 7, v16
	v_lshrrev_b32_e32 v22, 3, v17
	v_cmp_gt_u32_e64 s[0:1], 8, v17
	v_ffbh_u32_e32 v17, v21
	v_min_u32_e32 v17, 32, v17
	v_subrev_u32_e32 v21, 28, v17
	v_sub_u32_e32 v17, 29, v17
	v_cndmask_b32_e64 v21, 0, v21, s[0:1]
	v_cndmask_b32_e64 v17, v22, v17, s[0:1]
	v_lshlrev_b64 v[21:22], v21, v[9:10]
	v_lshlrev_b32_e32 v22, 24, v9
	v_lshlrev_b32_e32 v21, 20, v21
	v_bfrev_b32_e32 v11, 60
	v_and_b32_e32 v21, 0x700000, v21
	v_and_b32_e32 v22, 0x80000000, v22
	v_lshl_add_u32 v17, v17, 23, v11
	v_or3_b32 v62, v22, v17, v21
.LBB309_792:                            ;   in Loop: Header=BB309_414 Depth=1
	s_or_b64 exec, exec, s[16:17]
.LBB309_793:                            ;   in Loop: Header=BB309_414 Depth=1
	s_or_b64 exec, exec, s[14:15]
.LBB309_794:                            ;   in Loop: Header=BB309_414 Depth=1
	s_or_b64 exec, exec, s[12:13]
	v_lshrrev_b16_e32 v17, 8, v9
	v_cmp_ne_u16_e64 s[0:1], 0, v17
	s_and_saveexec_b64 s[12:13], s[0:1]
	s_cbranch_execz .LBB309_800
; %bb.795:                              ;   in Loop: Header=BB309_414 Depth=1
	v_cmp_ne_u16_e64 s[0:1], s24, v17
	v_bfrev_b32_e32 v63, 1
	s_and_saveexec_b64 s[14:15], s[0:1]
	s_cbranch_execz .LBB309_799
; %bb.796:                              ;   in Loop: Header=BB309_414 Depth=1
	v_and_b32_e32 v23, 0x7f, v17
	v_cmp_ne_u32_e64 s[0:1], s25, v23
	v_mov_b32_e32 v63, 0x7f800001
	s_and_saveexec_b64 s[16:17], s[0:1]
	s_cbranch_execz .LBB309_798
; %bb.797:                              ;   in Loop: Header=BB309_414 Depth=1
	v_and_b32_e32 v63, 7, v17
	v_ffbh_u32_e32 v21, v63
	v_lshrrev_b32_e32 v11, 3, v23
	v_cmp_gt_u32_e64 s[0:1], 8, v23
	v_min_u32_e32 v23, 32, v21
	v_subrev_u32_e32 v21, 28, v23
	v_lshlrev_b64 v[21:22], v21, v[17:18]
	v_sub_u32_e32 v17, 29, v23
	v_and_b32_e32 v21, 7, v21
	v_cndmask_b32_e64 v11, v11, v17, s[0:1]
	v_cndmask_b32_e64 v17, v63, v21, s[0:1]
	v_lshlrev_b32_e32 v9, 16, v9
	v_bfrev_b32_e32 v12, 60
	v_lshlrev_b32_e32 v17, 20, v17
	v_and_b32_e32 v9, 0x80000000, v9
	v_lshl_add_u32 v11, v11, 23, v12
	v_or3_b32 v63, v9, v11, v17
.LBB309_798:                            ;   in Loop: Header=BB309_414 Depth=1
	s_or_b64 exec, exec, s[16:17]
.LBB309_799:                            ;   in Loop: Header=BB309_414 Depth=1
	s_or_b64 exec, exec, s[14:15]
.LBB309_800:                            ;   in Loop: Header=BB309_414 Depth=1
	s_or_b64 exec, exec, s[12:13]
	v_lshrrev_b32_e32 v9, 16, v16
	v_cmp_ne_u16_sdwa s[0:1], v9, v10 src0_sel:BYTE_0 src1_sel:DWORD
	v_mov_b32_e32 v23, 0
	v_mov_b32_e32 v17, 0
	s_and_saveexec_b64 s[12:13], s[0:1]
	s_cbranch_execz .LBB309_806
; %bb.801:                              ;   in Loop: Header=BB309_414 Depth=1
	v_cmp_ne_u16_sdwa s[0:1], v9, s24 src0_sel:BYTE_0 src1_sel:DWORD
	v_bfrev_b32_e32 v17, 1
	s_and_saveexec_b64 s[14:15], s[0:1]
	s_cbranch_execz .LBB309_805
; %bb.802:                              ;   in Loop: Header=BB309_414 Depth=1
	v_bfe_u32 v21, v16, 16, 7
	v_cmp_ne_u32_e64 s[0:1], s25, v21
	v_mov_b32_e32 v17, 0x7f800001
	s_and_saveexec_b64 s[16:17], s[0:1]
	s_cbranch_execz .LBB309_804
; %bb.803:                              ;   in Loop: Header=BB309_414 Depth=1
	v_and_b32_e32 v11, 7, v9
	v_lshrrev_b32_e32 v17, 3, v21
	v_cmp_gt_u32_e64 s[0:1], 8, v21
	v_ffbh_u32_e32 v21, v11
	v_min_u32_e32 v12, 32, v21
	v_subrev_u32_e32 v21, 28, v12
	v_lshlrev_b64 v[21:22], v21, v[9:10]
	v_sub_u32_e32 v12, 29, v12
	v_and_b32_e32 v21, 7, v21
	v_cndmask_b32_e64 v12, v17, v12, s[0:1]
	v_cndmask_b32_e64 v11, v11, v21, s[0:1]
	v_lshlrev_b32_e32 v9, 24, v9
	v_bfrev_b32_e32 v17, 60
	v_lshlrev_b32_e32 v11, 20, v11
	v_and_b32_e32 v9, 0x80000000, v9
	v_lshl_add_u32 v12, v12, 23, v17
	v_or3_b32 v17, v9, v12, v11
.LBB309_804:                            ;   in Loop: Header=BB309_414 Depth=1
	s_or_b64 exec, exec, s[16:17]
.LBB309_805:                            ;   in Loop: Header=BB309_414 Depth=1
	s_or_b64 exec, exec, s[14:15]
.LBB309_806:                            ;   in Loop: Header=BB309_414 Depth=1
	s_or_b64 exec, exec, s[12:13]
	v_cmp_lt_u64_e64 s[0:1], s[4:5], v[15:16]
	s_and_saveexec_b64 s[12:13], s[0:1]
	s_cbranch_execz .LBB309_812
; %bb.807:                              ;   in Loop: Header=BB309_414 Depth=1
	v_lshrrev_b32_e32 v9, 24, v16
	v_cmp_ne_u32_e64 s[0:1], s24, v9
	v_bfrev_b32_e32 v23, 1
	s_and_saveexec_b64 s[14:15], s[0:1]
	s_cbranch_execz .LBB309_811
; %bb.808:                              ;   in Loop: Header=BB309_414 Depth=1
	v_bfe_u32 v15, v16, 24, 7
	v_cmp_ne_u32_e64 s[0:1], s25, v15
	v_mov_b32_e32 v23, 0x7f800001
	s_and_saveexec_b64 s[16:17], s[0:1]
	s_cbranch_execz .LBB309_810
; %bb.809:                              ;   in Loop: Header=BB309_414 Depth=1
	v_and_b32_e32 v11, 7, v9
	v_lshrrev_b32_e32 v12, 3, v15
	v_cmp_gt_u32_e64 s[0:1], 8, v15
	v_ffbh_u32_e32 v15, v11
	v_min_u32_e32 v21, 32, v15
	v_subrev_u32_e32 v15, 28, v21
	v_lshlrev_b64 v[15:16], v15, v[9:10]
	v_sub_u32_e32 v16, 29, v21
	v_and_b32_e32 v15, 7, v15
	v_cndmask_b32_e64 v12, v12, v16, s[0:1]
	v_cndmask_b32_e64 v11, v11, v15, s[0:1]
	v_lshlrev_b32_e32 v9, 24, v9
	v_bfrev_b32_e32 v15, 60
	v_lshlrev_b32_e32 v11, 20, v11
	v_and_b32_e32 v9, 0x80000000, v9
	v_lshl_add_u32 v12, v12, 23, v15
	v_or3_b32 v23, v9, v12, v11
.LBB309_810:                            ;   in Loop: Header=BB309_414 Depth=1
	s_or_b64 exec, exec, s[16:17]
.LBB309_811:                            ;   in Loop: Header=BB309_414 Depth=1
	s_or_b64 exec, exec, s[14:15]
.LBB309_812:                            ;   in Loop: Header=BB309_414 Depth=1
	s_or_b64 exec, exec, s[12:13]
	v_mul_f32_e32 v9, s18, v63
	v_bfe_u32 v11, v9, 16, 1
	v_add3_u32 v11, v11, v9, s26
	v_or_b32_e32 v12, 0x400000, v9
	v_cmp_u_f32_e64 s[0:1], v9, v9
	v_cndmask_b32_e64 v9, v11, v12, s[0:1]
	v_mul_f32_e32 v11, s18, v62
	v_bfe_u32 v12, v11, 16, 1
	v_add3_u32 v12, v12, v11, s26
	v_or_b32_e32 v15, 0x400000, v11
	v_cmp_u_f32_e64 s[0:1], v11, v11
	v_cndmask_b32_e64 v11, v12, v15, s[0:1]
	v_lshrrev_b32_e32 v15, 16, v11
	v_mul_f32_e32 v11, s18, v61
	v_bfe_u32 v12, v11, 16, 1
	v_add3_u32 v12, v12, v11, s26
	v_or_b32_e32 v16, 0x400000, v11
	v_cmp_u_f32_e64 s[0:1], v11, v11
	v_cndmask_b32_e64 v11, v12, v16, s[0:1]
	v_lshrrev_b32_e32 v16, 16, v11
	;; [unrolled: 7-line block ×7, first 2 shown]
	v_lshrrev_b32_e32 v43, 16, v11
	s_and_saveexec_b64 s[0:1], vcc
	s_cbranch_execz .LBB309_413
; %bb.813:                              ;   in Loop: Header=BB309_414 Depth=1
	v_add_u32_e32 v11, -7, v32
	v_cmp_gt_i32_e32 vcc, s30, v11
	v_add_u32_e32 v11, -6, v32
	v_cndmask_b32_e32 v61, 0, v61, vcc
	v_cmp_gt_i32_e32 vcc, s30, v11
	v_add_u32_e32 v11, -5, v32
	v_cndmask_b32_e32 v60, 0, v60, vcc
	;; [unrolled: 3-line block ×6, first 2 shown]
	v_cmp_gt_i32_e32 vcc, s30, v11
	v_cndmask_b32_e32 v17, 0, v17, vcc
	v_cmp_gt_i32_e32 vcc, s30, v32
	v_cndmask_b32_e32 v43, 0, v43, vcc
	s_branch .LBB309_413
.LBB309_814:
	s_or_b64 exec, exec, s[6:7]
	buffer_load_dword v11, off, s[44:47], 0 offset:128 ; 4-byte Folded Reload
	buffer_load_dword v12, off, s[44:47], 0 offset:132 ; 4-byte Folded Reload
	;; [unrolled: 1-line block ×3, first 2 shown]
.LBB309_815:
	s_or_b64 exec, exec, s[2:3]
	s_waitcnt vmcnt(1)
	ds_bpermute_b32 v1, v12, v31
	ds_bpermute_b32 v8, v12, v25
	s_waitcnt vmcnt(0) lgkmcnt(0)
	s_barrier
	v_add_f32_e32 v6, v31, v1
	ds_bpermute_b32 v1, v12, v27
	ds_bpermute_b32 v0, v12, v29
	;; [unrolled: 1-line block ×4, first 2 shown]
	s_waitcnt lgkmcnt(3)
	v_add_f32_e32 v3, v27, v1
	v_add_f32_e32 v1, v25, v8
	buffer_load_dword v8, off, s[44:47], 0 offset:348 ; 4-byte Folded Reload
	s_waitcnt lgkmcnt(2)
	v_add_f32_e32 v7, v29, v0
	ds_bpermute_b32 v0, v12, v28
	s_waitcnt lgkmcnt(2)
	v_add_f32_e32 v4, v30, v2
	ds_bpermute_b32 v2, v12, v26
	s_waitcnt lgkmcnt(1)
	v_add_f32_e32 v5, v28, v0
	v_add_f32_e32 v0, v24, v9
	s_waitcnt lgkmcnt(0)
	v_add_f32_e32 v2, v26, v2
	s_waitcnt vmcnt(0)
	v_and_b32_e32 v9, 0x3c1, v8
	v_cmp_eq_u32_e32 vcc, 64, v9
	s_and_saveexec_b64 s[0:1], vcc
	s_cbranch_execz .LBB309_817
; %bb.816:
	v_mov_b32_e32 v8, 0x210
	v_lshl_add_u32 v8, v11, 1, v8
	ds_write2_b32 v8, v7, v6 offset1:32
	ds_write2_b32 v8, v4, v5 offset0:64 offset1:96
	ds_write2_b32 v8, v3, v2 offset0:128 offset1:160
	;; [unrolled: 1-line block ×3, first 2 shown]
.LBB309_817:
	s_or_b64 exec, exec, s[0:1]
	buffer_load_dword v8, off, s[44:47], 0 offset:348 ; 4-byte Folded Reload
	s_waitcnt vmcnt(0) lgkmcnt(0)
	s_barrier
	v_cmp_gt_u32_e32 vcc, 64, v8
	v_lshrrev_b32_e32 v8, 1, v8
	s_and_saveexec_b64 s[0:1], vcc
	s_cbranch_execz .LBB309_828
; %bb.818:
	v_mov_b32_e32 v10, 0x210
	v_cmp_eq_u32_e32 vcc, 0, v13
	v_lshl_add_u32 v10, v8, 2, v10
	s_and_saveexec_b64 s[2:3], vcc
	s_cbranch_execnz .LBB309_831
; %bb.819:
	s_or_b64 exec, exec, s[2:3]
	s_and_saveexec_b64 s[2:3], vcc
	s_cbranch_execnz .LBB309_832
.LBB309_820:
	s_or_b64 exec, exec, s[2:3]
	s_and_saveexec_b64 s[2:3], vcc
	s_cbranch_execnz .LBB309_833
.LBB309_821:
	s_or_b64 exec, exec, s[2:3]
	s_and_saveexec_b64 s[2:3], vcc
	s_cbranch_execnz .LBB309_834
.LBB309_822:
	s_or_b64 exec, exec, s[2:3]
	s_and_saveexec_b64 s[2:3], vcc
	s_cbranch_execnz .LBB309_835
.LBB309_823:
	s_or_b64 exec, exec, s[2:3]
	s_and_saveexec_b64 s[2:3], vcc
	s_cbranch_execnz .LBB309_836
.LBB309_824:
	s_or_b64 exec, exec, s[2:3]
	s_and_saveexec_b64 s[2:3], vcc
	s_cbranch_execnz .LBB309_837
.LBB309_825:
	s_or_b64 exec, exec, s[2:3]
	s_and_saveexec_b64 s[2:3], vcc
	s_cbranch_execz .LBB309_827
.LBB309_826:
	ds_read_b32 v10, v10 offset:896
	s_waitcnt lgkmcnt(0)
	v_add_f32_e32 v0, v0, v10
.LBB309_827:
	s_or_b64 exec, exec, s[2:3]
.LBB309_828:
	s_or_b64 exec, exec, s[0:1]
	v_cmp_eq_u32_e32 vcc, 0, v9
	s_barrier
	s_and_saveexec_b64 s[0:1], vcc
	s_cbranch_execz .LBB309_830
; %bb.829:
	s_mul_i32 s0, s10, s11
	s_mul_i32 s0, s0, s9
	s_lshl_b32 s0, s0, 8
	s_ashr_i32 s1, s0, 31
	s_lshl_b64 s[0:1], s[0:1], 1
	s_add_u32 s2, s22, s0
	s_mul_i32 s0, s11, s20
	s_addc_u32 s3, s23, s1
	s_ashr_i32 s1, s0, 31
	s_lshl_b64 s[0:1], s[0:1], 1
	s_add_u32 s2, s2, s0
	s_addc_u32 s3, s3, s1
	s_lshl_b32 s0, s8, 8
	s_ashr_i32 s1, s0, 31
	s_lshl_b64 s[0:1], s[0:1], 1
	s_add_u32 s0, s2, s0
	v_bfe_u32 v9, v7, 16, 1
	s_movk_i32 s2, 0x7fff
	v_add3_u32 v9, v9, v7, s2
	v_or_b32_e32 v10, 0x400000, v7
	v_cmp_u_f32_e32 vcc, v7, v7
	s_addc_u32 s1, s3, s1
	v_lshlrev_b32_e32 v8, 1, v8
	v_cndmask_b32_e32 v7, v9, v10, vcc
	global_store_short_d16_hi v8, v7, s[0:1]
	v_bfe_u32 v7, v6, 16, 1
	v_add3_u32 v7, v7, v6, s2
	v_or_b32_e32 v9, 0x400000, v6
	v_cmp_u_f32_e32 vcc, v6, v6
	v_cndmask_b32_e32 v6, v7, v9, vcc
	global_store_short_d16_hi v8, v6, s[0:1] offset:64
	v_bfe_u32 v6, v4, 16, 1
	v_add3_u32 v6, v6, v4, s2
	v_or_b32_e32 v7, 0x400000, v4
	v_cmp_u_f32_e32 vcc, v4, v4
	v_cndmask_b32_e32 v4, v6, v7, vcc
	global_store_short_d16_hi v8, v4, s[0:1] offset:128
	;; [unrolled: 6-line block ×7, first 2 shown]
.LBB309_830:
	s_endpgm
.LBB309_831:
	ds_read_b32 v11, v10
	s_waitcnt lgkmcnt(0)
	v_add_f32_e32 v7, v7, v11
	s_or_b64 exec, exec, s[2:3]
	s_and_saveexec_b64 s[2:3], vcc
	s_cbranch_execz .LBB309_820
.LBB309_832:
	ds_read_b32 v11, v10 offset:128
	s_waitcnt lgkmcnt(0)
	v_add_f32_e32 v6, v6, v11
	s_or_b64 exec, exec, s[2:3]
	s_and_saveexec_b64 s[2:3], vcc
	s_cbranch_execz .LBB309_821
.LBB309_833:
	ds_read_b32 v11, v10 offset:256
	s_waitcnt lgkmcnt(0)
	v_add_f32_e32 v4, v4, v11
	s_or_b64 exec, exec, s[2:3]
	s_and_saveexec_b64 s[2:3], vcc
	s_cbranch_execz .LBB309_822
.LBB309_834:
	ds_read_b32 v11, v10 offset:384
	s_waitcnt lgkmcnt(0)
	v_add_f32_e32 v5, v5, v11
	s_or_b64 exec, exec, s[2:3]
	s_and_saveexec_b64 s[2:3], vcc
	s_cbranch_execz .LBB309_823
.LBB309_835:
	ds_read_b32 v11, v10 offset:512
	s_waitcnt lgkmcnt(0)
	v_add_f32_e32 v3, v3, v11
	s_or_b64 exec, exec, s[2:3]
	s_and_saveexec_b64 s[2:3], vcc
	s_cbranch_execz .LBB309_824
.LBB309_836:
	ds_read_b32 v11, v10 offset:640
	s_waitcnt lgkmcnt(0)
	v_add_f32_e32 v2, v2, v11
	s_or_b64 exec, exec, s[2:3]
	s_and_saveexec_b64 s[2:3], vcc
	s_cbranch_execz .LBB309_825
.LBB309_837:
	ds_read_b32 v11, v10 offset:768
	s_waitcnt lgkmcnt(0)
	v_add_f32_e32 v1, v1, v11
	s_or_b64 exec, exec, s[2:3]
	s_and_saveexec_b64 s[2:3], vcc
	s_cbranch_execnz .LBB309_826
	s_branch .LBB309_827
	.section	.rodata,"a",@progbits
	.p2align	6, 0x0
	.amdhsa_kernel _ZN4vllm25paged_attention_v1_kernelI14__hip_bfloat16hLi256ELi16ELi128ELNS_18Fp8KVCacheDataTypeE1ELb0EEEvPT_PKS3_PKT0_S9_ifPKiSB_iPKfiiiSD_SD_iiiii
		.amdhsa_group_segment_fixed_size 528
		.amdhsa_private_segment_fixed_size 372
		.amdhsa_kernarg_size 384
		.amdhsa_user_sgpr_count 6
		.amdhsa_user_sgpr_private_segment_buffer 1
		.amdhsa_user_sgpr_dispatch_ptr 0
		.amdhsa_user_sgpr_queue_ptr 0
		.amdhsa_user_sgpr_kernarg_segment_ptr 1
		.amdhsa_user_sgpr_dispatch_id 0
		.amdhsa_user_sgpr_flat_scratch_init 0
		.amdhsa_user_sgpr_private_segment_size 0
		.amdhsa_uses_dynamic_stack 0
		.amdhsa_system_sgpr_private_segment_wavefront_offset 1
		.amdhsa_system_sgpr_workgroup_id_x 1
		.amdhsa_system_sgpr_workgroup_id_y 1
		.amdhsa_system_sgpr_workgroup_id_z 1
		.amdhsa_system_sgpr_workgroup_info 0
		.amdhsa_system_vgpr_workitem_id 0
		.amdhsa_next_free_vgpr 64
		.amdhsa_next_free_sgpr 48
		.amdhsa_reserve_vcc 1
		.amdhsa_reserve_flat_scratch 0
		.amdhsa_float_round_mode_32 0
		.amdhsa_float_round_mode_16_64 0
		.amdhsa_float_denorm_mode_32 3
		.amdhsa_float_denorm_mode_16_64 3
		.amdhsa_dx10_clamp 1
		.amdhsa_ieee_mode 1
		.amdhsa_fp16_overflow 0
		.amdhsa_exception_fp_ieee_invalid_op 0
		.amdhsa_exception_fp_denorm_src 0
		.amdhsa_exception_fp_ieee_div_zero 0
		.amdhsa_exception_fp_ieee_overflow 0
		.amdhsa_exception_fp_ieee_underflow 0
		.amdhsa_exception_fp_ieee_inexact 0
		.amdhsa_exception_int_div_zero 0
	.end_amdhsa_kernel
	.section	.text._ZN4vllm25paged_attention_v1_kernelI14__hip_bfloat16hLi256ELi16ELi128ELNS_18Fp8KVCacheDataTypeE1ELb0EEEvPT_PKS3_PKT0_S9_ifPKiSB_iPKfiiiSD_SD_iiiii,"axG",@progbits,_ZN4vllm25paged_attention_v1_kernelI14__hip_bfloat16hLi256ELi16ELi128ELNS_18Fp8KVCacheDataTypeE1ELb0EEEvPT_PKS3_PKT0_S9_ifPKiSB_iPKfiiiSD_SD_iiiii,comdat
.Lfunc_end309:
	.size	_ZN4vllm25paged_attention_v1_kernelI14__hip_bfloat16hLi256ELi16ELi128ELNS_18Fp8KVCacheDataTypeE1ELb0EEEvPT_PKS3_PKT0_S9_ifPKiSB_iPKfiiiSD_SD_iiiii, .Lfunc_end309-_ZN4vllm25paged_attention_v1_kernelI14__hip_bfloat16hLi256ELi16ELi128ELNS_18Fp8KVCacheDataTypeE1ELb0EEEvPT_PKS3_PKT0_S9_ifPKiSB_iPKfiiiSD_SD_iiiii
                                        ; -- End function
	.set _ZN4vllm25paged_attention_v1_kernelI14__hip_bfloat16hLi256ELi16ELi128ELNS_18Fp8KVCacheDataTypeE1ELb0EEEvPT_PKS3_PKT0_S9_ifPKiSB_iPKfiiiSD_SD_iiiii.num_vgpr, 64
	.set _ZN4vllm25paged_attention_v1_kernelI14__hip_bfloat16hLi256ELi16ELi128ELNS_18Fp8KVCacheDataTypeE1ELb0EEEvPT_PKS3_PKT0_S9_ifPKiSB_iPKfiiiSD_SD_iiiii.num_agpr, 0
	.set _ZN4vllm25paged_attention_v1_kernelI14__hip_bfloat16hLi256ELi16ELi128ELNS_18Fp8KVCacheDataTypeE1ELb0EEEvPT_PKS3_PKT0_S9_ifPKiSB_iPKfiiiSD_SD_iiiii.numbered_sgpr, 48
	.set _ZN4vllm25paged_attention_v1_kernelI14__hip_bfloat16hLi256ELi16ELi128ELNS_18Fp8KVCacheDataTypeE1ELb0EEEvPT_PKS3_PKT0_S9_ifPKiSB_iPKfiiiSD_SD_iiiii.num_named_barrier, 0
	.set _ZN4vllm25paged_attention_v1_kernelI14__hip_bfloat16hLi256ELi16ELi128ELNS_18Fp8KVCacheDataTypeE1ELb0EEEvPT_PKS3_PKT0_S9_ifPKiSB_iPKfiiiSD_SD_iiiii.private_seg_size, 372
	.set _ZN4vllm25paged_attention_v1_kernelI14__hip_bfloat16hLi256ELi16ELi128ELNS_18Fp8KVCacheDataTypeE1ELb0EEEvPT_PKS3_PKT0_S9_ifPKiSB_iPKfiiiSD_SD_iiiii.uses_vcc, 1
	.set _ZN4vllm25paged_attention_v1_kernelI14__hip_bfloat16hLi256ELi16ELi128ELNS_18Fp8KVCacheDataTypeE1ELb0EEEvPT_PKS3_PKT0_S9_ifPKiSB_iPKfiiiSD_SD_iiiii.uses_flat_scratch, 0
	.set _ZN4vllm25paged_attention_v1_kernelI14__hip_bfloat16hLi256ELi16ELi128ELNS_18Fp8KVCacheDataTypeE1ELb0EEEvPT_PKS3_PKT0_S9_ifPKiSB_iPKfiiiSD_SD_iiiii.has_dyn_sized_stack, 0
	.set _ZN4vllm25paged_attention_v1_kernelI14__hip_bfloat16hLi256ELi16ELi128ELNS_18Fp8KVCacheDataTypeE1ELb0EEEvPT_PKS3_PKT0_S9_ifPKiSB_iPKfiiiSD_SD_iiiii.has_recursion, 0
	.set _ZN4vllm25paged_attention_v1_kernelI14__hip_bfloat16hLi256ELi16ELi128ELNS_18Fp8KVCacheDataTypeE1ELb0EEEvPT_PKS3_PKT0_S9_ifPKiSB_iPKfiiiSD_SD_iiiii.has_indirect_call, 0
	.section	.AMDGPU.csdata,"",@progbits
; Kernel info:
; codeLenInByte = 43308
; TotalNumSgprs: 52
; NumVgprs: 64
; ScratchSize: 372
; MemoryBound: 0
; FloatMode: 240
; IeeeMode: 1
; LDSByteSize: 528 bytes/workgroup (compile time only)
; SGPRBlocks: 6
; VGPRBlocks: 15
; NumSGPRsForWavesPerEU: 52
; NumVGPRsForWavesPerEU: 64
; Occupancy: 4
; WaveLimiterHint : 1
; COMPUTE_PGM_RSRC2:SCRATCH_EN: 1
; COMPUTE_PGM_RSRC2:USER_SGPR: 6
; COMPUTE_PGM_RSRC2:TRAP_HANDLER: 0
; COMPUTE_PGM_RSRC2:TGID_X_EN: 1
; COMPUTE_PGM_RSRC2:TGID_Y_EN: 1
; COMPUTE_PGM_RSRC2:TGID_Z_EN: 1
; COMPUTE_PGM_RSRC2:TIDIG_COMP_CNT: 0
	.section	.text._ZN4vllm25paged_attention_v1_kernelI14__hip_bfloat16hLi32ELi32ELi128ELNS_18Fp8KVCacheDataTypeE1ELb1EEEvPT_PKS3_PKT0_S9_ifPKiSB_iPKfiiiSD_SD_iiiii,"axG",@progbits,_ZN4vllm25paged_attention_v1_kernelI14__hip_bfloat16hLi32ELi32ELi128ELNS_18Fp8KVCacheDataTypeE1ELb1EEEvPT_PKS3_PKT0_S9_ifPKiSB_iPKfiiiSD_SD_iiiii,comdat
	.protected	_ZN4vllm25paged_attention_v1_kernelI14__hip_bfloat16hLi32ELi32ELi128ELNS_18Fp8KVCacheDataTypeE1ELb1EEEvPT_PKS3_PKT0_S9_ifPKiSB_iPKfiiiSD_SD_iiiii ; -- Begin function _ZN4vllm25paged_attention_v1_kernelI14__hip_bfloat16hLi32ELi32ELi128ELNS_18Fp8KVCacheDataTypeE1ELb1EEEvPT_PKS3_PKT0_S9_ifPKiSB_iPKfiiiSD_SD_iiiii
	.globl	_ZN4vllm25paged_attention_v1_kernelI14__hip_bfloat16hLi32ELi32ELi128ELNS_18Fp8KVCacheDataTypeE1ELb1EEEvPT_PKS3_PKT0_S9_ifPKiSB_iPKfiiiSD_SD_iiiii
	.p2align	8
	.type	_ZN4vllm25paged_attention_v1_kernelI14__hip_bfloat16hLi32ELi32ELi128ELNS_18Fp8KVCacheDataTypeE1ELb1EEEvPT_PKS3_PKT0_S9_ifPKiSB_iPKfiiiSD_SD_iiiii,@function
_ZN4vllm25paged_attention_v1_kernelI14__hip_bfloat16hLi32ELi32ELi128ELNS_18Fp8KVCacheDataTypeE1ELb1EEEvPT_PKS3_PKT0_S9_ifPKiSB_iPKfiiiSD_SD_iiiii: ; @_ZN4vllm25paged_attention_v1_kernelI14__hip_bfloat16hLi32ELi32ELi128ELNS_18Fp8KVCacheDataTypeE1ELb1EEEvPT_PKS3_PKT0_S9_ifPKiSB_iPKfiiiSD_SD_iiiii
; %bb.0:
	s_load_dword s9, s[4:5], 0x80
	s_load_dwordx2 s[0:1], s[4:5], 0x30
	s_load_dwordx2 s[36:37], s[4:5], 0x20
	s_mov_b32 s10, s7
	s_ashr_i32 s11, s7, 31
	s_lshl_b64 s[2:3], s[10:11], 2
	s_waitcnt lgkmcnt(0)
	s_add_u32 s0, s0, s2
	s_addc_u32 s1, s1, s3
	s_abs_i32 s2, s36
	v_cvt_f32_u32_e32 v1, s2
	s_sub_i32 s11, 0, s2
	s_abs_i32 s7, s9
	s_xor_b32 s3, s9, s36
	v_rcp_iflag_f32_e32 v1, v1
	s_ashr_i32 s3, s3, 31
	s_mov_b32 s48, 0
	v_mul_f32_e32 v1, 0x4f7ffffe, v1
	v_cvt_u32_f32_e32 v1, v1
	v_readfirstlane_b32 s12, v1
	s_mul_i32 s11, s11, s12
	s_mul_hi_u32 s11, s12, s11
	s_add_i32 s12, s12, s11
	s_mul_hi_u32 s11, s7, s12
	s_mul_i32 s12, s11, s2
	s_sub_i32 s7, s7, s12
	s_add_i32 s12, s11, 1
	s_sub_i32 s13, s7, s2
	s_cmp_ge_u32 s7, s2
	s_cselect_b32 s11, s12, s11
	s_cselect_b32 s7, s13, s7
	s_add_i32 s12, s11, 1
	s_cmp_ge_u32 s7, s2
	s_cselect_b32 s2, s12, s11
	s_xor_b32 s2, s2, s3
	s_sub_i32 s15, s2, s3
	s_abs_i32 s12, s15
	v_cvt_f32_u32_e32 v1, s12
	s_load_dwordx2 s[2:3], s[4:5], 0x40
	s_sub_i32 s7, 0, s12
	s_abs_i32 s13, s6
	v_rcp_iflag_f32_e32 v1, v1
	v_mul_f32_e32 v1, 0x4f7ffffe, v1
	v_cvt_u32_f32_e32 v1, v1
	v_readfirstlane_b32 s11, v1
	s_mul_i32 s7, s7, s11
	s_mul_hi_u32 s7, s11, s7
	s_add_i32 s11, s11, s7
	s_waitcnt lgkmcnt(0)
	s_cmp_eq_u64 s[2:3], 0
	s_mul_hi_u32 s14, s13, s11
	s_cbranch_scc1 .LBB310_2
; %bb.1:
	s_ashr_i32 s7, s6, 31
	s_lshl_b64 s[16:17], s[6:7], 2
	s_add_u32 s2, s2, s16
	s_addc_u32 s3, s3, s17
	s_load_dword s48, s[2:3], 0x0
.LBB310_2:
	s_load_dword s11, s[0:1], 0x0
	s_load_dwordx4 s[16:19], s[4:5], 0x48
	s_ashr_i32 s2, s6, 31
	s_ashr_i32 s7, s15, 31
	v_and_b32_e32 v1, 1, v0
	s_lshl_b32 s24, s6, 5
	v_cmp_gt_u32_e32 vcc, 8, v0
	v_lshlrev_b32_e32 v17, 3, v0
	s_and_saveexec_b64 s[0:1], vcc
	s_cbranch_execz .LBB310_4
; %bb.3:
	s_load_dwordx2 s[20:21], s[4:5], 0x8
	s_waitcnt lgkmcnt(0)
	s_mul_i32 s22, s16, s10
	s_ashr_i32 s23, s22, 31
	s_lshl_b64 s[22:23], s[22:23], 1
	v_lshlrev_b32_e32 v4, 2, v0
	s_add_u32 s3, s20, s22
	s_addc_u32 s15, s21, s23
	s_ashr_i32 s25, s24, 31
	s_lshl_b64 s[20:21], s[24:25], 1
	s_add_u32 s20, s3, s20
	s_addc_u32 s21, s15, s21
	global_load_dwordx2 v[2:3], v17, s[20:21]
	v_and_b32_e32 v4, 0xff8, v4
	v_lshl_add_u32 v4, v1, 5, v4
	s_waitcnt vmcnt(0)
	ds_write_b64 v4, v[2:3]
.LBB310_4:
	s_or_b64 exec, exec, s[0:1]
	s_mul_i32 s1, s14, s12
	s_sub_i32 s1, s13, s1
	s_xor_b32 s0, s2, s7
	s_add_i32 s2, s14, 1
	s_sub_i32 s7, s1, s12
	s_load_dwordx4 s[20:23], s[4:5], 0x68
	s_load_dword s3, s[4:5], 0x78
	s_cmp_ge_u32 s1, s12
	s_cselect_b32 s2, s2, s14
	s_cselect_b32 s1, s7, s1
	s_add_i32 s7, s2, 1
	s_cmp_ge_u32 s1, s12
	s_cselect_b32 s1, s7, s2
	s_waitcnt lgkmcnt(0)
	s_abs_i32 s25, s23
	v_cvt_f32_u32_e32 v2, s25
	s_xor_b32 s1, s1, s0
	s_sub_i32 s2, s1, s0
	s_sub_i32 s0, 0, s25
	v_rcp_iflag_f32_e32 v2, v2
	s_add_i32 s12, s11, -1
	s_abs_i32 s7, s12
	v_mul_f32_e32 v2, 0x4f7ffffe, v2
	v_cvt_u32_f32_e32 v2, v2
	s_barrier
	v_readfirstlane_b32 s33, v2
	s_mul_i32 s0, s0, s33
	s_mul_hi_u32 s0, s33, s0
	s_add_i32 s33, s33, s0
	s_cmp_lt_i32 s3, 0
	s_mul_hi_u32 s16, s7, s33
	s_cbranch_scc0 .LBB310_6
; %bb.5:
	s_mul_i32 s0, s20, s36
	s_add_i32 s0, s2, s0
	s_mul_i32 s0, s0, s3
	s_sub_i32 s36, 1, s0
	s_mov_b64 s[0:1], 0
	s_branch .LBB310_7
.LBB310_6:
	s_mov_b64 s[0:1], -1
                                        ; implicit-def: $sgpr36
.LBB310_7:
	s_load_dwordx2 s[28:29], s[4:5], 0x28
	s_ashr_i32 s19, s12, 31
	s_andn2_b64 vcc, exec, s[0:1]
	s_ashr_i32 s46, s23, 31
	s_cbranch_vccnz .LBB310_9
; %bb.8:
	s_mul_i32 s0, s9, s20
	s_add_i32 s0, s0, s6
	s_mul_i32 s0, s0, s3
	s_add_i32 s36, s0, 1
.LBB310_9:
	s_load_dword s0, s[4:5], 0x38
	s_load_dwordx2 s[26:27], s[4:5], 0x0
	s_load_dwordx2 s[34:35], s[4:5], 0x18
	s_load_dword s23, s[4:5], 0x88
	s_load_dwordx4 s[12:15], s[4:5], 0x58
	s_mul_i32 s1, s16, s25
	s_waitcnt lgkmcnt(0)
	s_mul_i32 s30, s0, s10
	s_sub_i32 s1, s7, s1
	s_ashr_i32 s31, s30, 31
	s_xor_b32 s0, s19, s46
	s_add_i32 s3, s16, 1
	s_sub_i32 s6, s1, s25
	s_cmp_ge_u32 s1, s25
	s_cselect_b32 s3, s3, s16
	s_cselect_b32 s1, s6, s1
	s_add_i32 s6, s3, 1
	s_cmp_ge_u32 s1, s25
	s_cselect_b32 s1, s6, s3
	s_xor_b32 s1, s1, s0
	s_sub_i32 s16, s1, s0
	s_add_i32 s0, s11, 31
	s_ashr_i32 s1, s0, 31
	s_lshr_b32 s1, s1, 27
	s_add_i32 s0, s0, s1
	s_ashr_i32 s47, s0, 5
	v_lshrrev_b32_e32 v20, 6, v0
	v_cmp_gt_i32_e64 s[0:1], s47, v20
	v_mov_b32_e32 v25, 0xff7fffff
	s_mul_i32 s20, s2, s18
	v_lshrrev_b32_e32 v18, 4, v0
	v_lshlrev_b32_e32 v21, 5, v20
	v_mbcnt_lo_u32_b32 v19, -1, 0
	s_and_saveexec_b64 s[18:19], s[0:1]
	s_cbranch_execz .LBB310_117
; %bb.10:
	s_load_dwordx2 s[2:3], s[4:5], 0x10
	s_sub_i32 s49, s16, s21
	s_ashr_i32 s4, s20, 31
	v_cmp_eq_u32_e32 vcc, 0, v1
	v_bfe_u32 v22, v0, 1, 5
	s_waitcnt lgkmcnt(0)
	s_add_u32 s5, s2, s20
	s_addc_u32 s4, s3, s4
	s_abs_i32 s50, s22
	v_cvt_f32_u32_e32 v2, s50
	s_sub_i32 s2, 0, s50
	v_lshlrev_b32_e32 v3, 2, v1
	v_lshlrev_b32_e32 v23, 5, v1
	v_rcp_iflag_f32_e32 v2, v2
	v_lshlrev_b32_e32 v4, 4, v22
	v_mov_b32_e32 v5, s4
	v_add_co_u32_e64 v4, s[4:5], s5, v4
	v_mul_f32_e32 v2, 0x4f7ffffe, v2
	v_cvt_u32_f32_e32 v2, v2
	v_addc_co_u32_e64 v5, s[4:5], 0, v5, s[4:5]
	v_add_co_u32_e64 v9, s[4:5], v4, v3
	v_mul_lo_u32 v1, s2, v2
	v_addc_co_u32_e64 v10, s[4:5], 0, v5, s[4:5]
	s_lshl_b64 s[4:5], s[30:31], 2
	v_mul_hi_u32 v1, v2, v1
	s_add_u32 s4, s28, s4
	s_addc_u32 s5, s29, s5
	s_mov_b32 s51, s17
	v_add_u32_e32 v24, v2, v1
	v_and_b32_e32 v1, 60, v18
	v_mov_b32_e32 v2, s5
	v_add_co_u32_e64 v11, s[4:5], s4, v1
	v_subrev_u32_e32 v1, s11, v22
	v_add_u32_e32 v27, 1, v1
	v_lshlrev_b32_e32 v1, 2, v22
	v_lshl_or_b32 v1, v20, 7, v1
	v_cmp_neq_f32_e64 s[2:3], s48, 0
	v_addc_co_u32_e64 v12, s[4:5], 0, v2, s[4:5]
	v_lshlrev_b32_e32 v26, 5, v20
	v_add_u32_e32 v28, 0x50, v1
	v_mov_b32_e32 v29, 0xff7fffff
	s_mov_b64 s[38:39], 0
	s_movk_i32 s52, 0x80
	s_movk_i32 s53, 0x7f
	s_mov_b32 s54, 0xffffff
	s_movk_i32 s55, 0x7fff
	v_mov_b32_e32 v30, 0
	v_bfrev_b32_e32 v31, 60
	v_mbcnt_hi_u32_b32 v32, -1, v19
	v_mov_b32_e32 v25, 0xff7fffff
	v_mov_b32_e32 v33, v20
	s_branch .LBB310_13
.LBB310_11:                             ;   in Loop: Header=BB310_13 Depth=1
	s_or_b64 exec, exec, s[40:41]
.LBB310_12:                             ;   in Loop: Header=BB310_13 Depth=1
	s_or_b64 exec, exec, s[6:7]
	v_add_co_u32_e64 v11, s[4:5], 8, v11
	v_add_u32_e32 v33, 2, v33
	v_addc_co_u32_e64 v12, s[4:5], 0, v12, s[4:5]
	v_cmp_le_i32_e64 s[4:5], s47, v33
	v_add_u32_e32 v26, 64, v26
	s_or_b64 s[38:39], s[4:5], s[38:39]
	v_add_u32_e32 v28, 0x100, v28
	s_andn2_b64 exec, exec, s[38:39]
	s_cbranch_execz .LBB310_116
.LBB310_13:                             ; =>This Inner Loop Header: Depth=1
	v_mul_hi_u32 v1, v26, s33
	s_waitcnt lgkmcnt(0)
	v_mul_lo_u32 v2, v1, s25
	v_add_u32_e32 v3, 1, v1
	v_sub_u32_e32 v2, v26, v2
	v_cmp_le_u32_e64 s[4:5], s25, v2
	v_cndmask_b32_e64 v1, v1, v3, s[4:5]
	v_subrev_u32_e32 v3, s25, v2
	v_cndmask_b32_e64 v2, v2, v3, s[4:5]
	v_add_u32_e32 v3, 1, v1
	v_cmp_le_u32_e64 s[4:5], s25, v2
	v_cndmask_b32_e64 v1, v1, v3, s[4:5]
	v_xor_b32_e32 v1, s46, v1
	v_subrev_u32_e32 v1, s46, v1
	v_add_u32_e32 v2, s36, v1
	v_sub_u32_e32 v3, 0, v2
	v_max_i32_e32 v3, v2, v3
	v_mul_hi_u32 v4, v3, v24
	v_ashrrev_i32_e32 v2, 31, v2
	v_cmp_ge_i32_e64 s[6:7], s49, v1
	v_mul_lo_u32 v4, v4, s50
	v_sub_u32_e32 v3, v3, v4
	v_subrev_u32_e32 v4, s50, v3
	v_cmp_le_u32_e64 s[4:5], s50, v3
	v_cndmask_b32_e64 v3, v3, v4, s[4:5]
	v_subrev_u32_e32 v4, s50, v3
	v_cmp_le_u32_e64 s[4:5], s50, v3
	v_cndmask_b32_e64 v3, v3, v4, s[4:5]
	v_xor_b32_e32 v3, v3, v2
	v_sub_u32_e32 v2, v3, v2
	v_cmp_ne_u32_e64 s[4:5], 0, v2
	s_and_b64 s[4:5], s[4:5], s[6:7]
	s_and_saveexec_b64 s[6:7], s[4:5]
	s_xor_b64 s[4:5], exec, s[6:7]
	s_cbranch_execz .LBB310_17
; %bb.14:                               ;   in Loop: Header=BB310_13 Depth=1
	s_and_saveexec_b64 s[6:7], vcc
; %bb.15:                               ;   in Loop: Header=BB310_13 Depth=1
	ds_write_b32 v28, v29
; %bb.16:                               ;   in Loop: Header=BB310_13 Depth=1
	s_or_b64 exec, exec, s[6:7]
.LBB310_17:                             ;   in Loop: Header=BB310_13 Depth=1
	s_andn2_saveexec_b64 s[6:7], s[4:5]
	s_cbranch_execz .LBB310_12
; %bb.18:                               ;   in Loop: Header=BB310_13 Depth=1
	global_load_dword v1, v[11:12], off
	v_mov_b32_e32 v35, 0
	v_mov_b32_e32 v34, 0
	s_waitcnt vmcnt(0)
	v_mad_i64_i32 v[13:14], s[4:5], v1, s51, v[9:10]
	global_load_dword v15, v[13:14], off
	ds_read_b128 v[5:8], v23
	ds_read_b128 v[1:4], v23 offset:16
	s_load_dword s56, s[12:13], 0x0
	s_waitcnt vmcnt(0)
	v_cmp_ne_u16_sdwa s[4:5], v15, v30 src0_sel:BYTE_0 src1_sel:DWORD
	s_and_saveexec_b64 s[40:41], s[4:5]
	s_cbranch_execz .LBB310_24
; %bb.19:                               ;   in Loop: Header=BB310_13 Depth=1
	v_cmp_ne_u16_sdwa s[4:5], v15, s52 src0_sel:BYTE_0 src1_sel:DWORD
	v_bfrev_b32_e32 v34, 1
	s_and_saveexec_b64 s[42:43], s[4:5]
	s_cbranch_execz .LBB310_23
; %bb.20:                               ;   in Loop: Header=BB310_13 Depth=1
	v_and_b32_e32 v16, 0x7f, v15
	v_cmp_ne_u32_e64 s[4:5], s53, v16
	v_mov_b32_e32 v34, 0x7f800001
	s_and_saveexec_b64 s[44:45], s[4:5]
	s_cbranch_execz .LBB310_22
; %bb.21:                               ;   in Loop: Header=BB310_13 Depth=1
	v_and_b32_e32 v34, 7, v15
	v_ffbh_u32_e32 v36, v34
	v_min_u32_e32 v39, 32, v36
	v_subrev_u32_e32 v36, 28, v39
	v_lshlrev_b64 v[36:37], v36, v[15:16]
	v_lshrrev_b32_e32 v38, 3, v16
	v_sub_u32_e32 v37, 29, v39
	v_and_b32_e32 v36, 7, v36
	v_cmp_gt_u32_e64 s[4:5], 8, v16
	v_cndmask_b32_e64 v16, v38, v37, s[4:5]
	v_cndmask_b32_e64 v34, v34, v36, s[4:5]
	v_lshlrev_b32_e32 v36, 24, v15
	v_lshlrev_b32_e32 v34, 20, v34
	v_and_b32_e32 v36, 0x80000000, v36
	v_lshl_add_u32 v16, v16, 23, v31
	v_or3_b32 v34, v36, v16, v34
.LBB310_22:                             ;   in Loop: Header=BB310_13 Depth=1
	s_or_b64 exec, exec, s[44:45]
.LBB310_23:                             ;   in Loop: Header=BB310_13 Depth=1
	s_or_b64 exec, exec, s[42:43]
.LBB310_24:                             ;   in Loop: Header=BB310_13 Depth=1
	s_or_b64 exec, exec, s[40:41]
	v_lshrrev_b16_e32 v16, 8, v15
	v_cmp_ne_u16_e64 s[4:5], 0, v16
	s_and_saveexec_b64 s[40:41], s[4:5]
	s_cbranch_execz .LBB310_30
; %bb.25:                               ;   in Loop: Header=BB310_13 Depth=1
	v_cmp_ne_u16_e64 s[4:5], s52, v16
	v_bfrev_b32_e32 v35, 1
	s_and_saveexec_b64 s[42:43], s[4:5]
	s_cbranch_execz .LBB310_29
; %bb.26:                               ;   in Loop: Header=BB310_13 Depth=1
	v_and_b32_e32 v36, 0x7f, v16
	v_cmp_ne_u32_e64 s[4:5], s53, v36
	v_mov_b32_e32 v35, 0x7f800001
	s_and_saveexec_b64 s[44:45], s[4:5]
	s_cbranch_execz .LBB310_28
; %bb.27:                               ;   in Loop: Header=BB310_13 Depth=1
	v_and_b32_e32 v35, 7, v16
	v_ffbh_u32_e32 v37, v35
	v_min_u32_e32 v40, 32, v37
	v_subrev_u32_e32 v37, 28, v40
	v_lshlrev_b64 v[37:38], v37, v[16:17]
	v_lshrrev_b32_e32 v39, 3, v36
	v_sub_u32_e32 v16, 29, v40
	v_and_b32_e32 v37, 7, v37
	v_cmp_gt_u32_e64 s[4:5], 8, v36
	v_cndmask_b32_e64 v16, v39, v16, s[4:5]
	v_cndmask_b32_e64 v35, v35, v37, s[4:5]
	v_lshlrev_b32_e32 v36, 16, v15
	v_lshlrev_b32_e32 v35, 20, v35
	v_and_b32_e32 v36, 0x80000000, v36
	v_lshl_add_u32 v16, v16, 23, v31
	v_or3_b32 v35, v36, v16, v35
.LBB310_28:                             ;   in Loop: Header=BB310_13 Depth=1
	s_or_b64 exec, exec, s[44:45]
.LBB310_29:                             ;   in Loop: Header=BB310_13 Depth=1
	s_or_b64 exec, exec, s[42:43]
.LBB310_30:                             ;   in Loop: Header=BB310_13 Depth=1
	s_or_b64 exec, exec, s[40:41]
	v_lshrrev_b32_e32 v16, 16, v15
	v_cmp_ne_u16_sdwa s[4:5], v16, v30 src0_sel:BYTE_0 src1_sel:DWORD
	v_mov_b32_e32 v36, 0
	v_mov_b32_e32 v37, 0
	s_and_saveexec_b64 s[40:41], s[4:5]
	s_cbranch_execz .LBB310_36
; %bb.31:                               ;   in Loop: Header=BB310_13 Depth=1
	v_cmp_ne_u16_sdwa s[4:5], v16, s52 src0_sel:BYTE_0 src1_sel:DWORD
	v_bfrev_b32_e32 v37, 1
	s_and_saveexec_b64 s[42:43], s[4:5]
	s_cbranch_execz .LBB310_35
; %bb.32:                               ;   in Loop: Header=BB310_13 Depth=1
	v_bfe_u32 v38, v15, 16, 7
	v_cmp_ne_u32_e64 s[4:5], s53, v38
	v_mov_b32_e32 v37, 0x7f800001
	s_and_saveexec_b64 s[44:45], s[4:5]
	s_cbranch_execz .LBB310_34
; %bb.33:                               ;   in Loop: Header=BB310_13 Depth=1
	v_and_b32_e32 v37, 7, v16
	v_ffbh_u32_e32 v39, v37
	v_min_u32_e32 v42, 32, v39
	v_subrev_u32_e32 v39, 28, v42
	v_lshlrev_b64 v[39:40], v39, v[16:17]
	v_lshrrev_b32_e32 v41, 3, v38
	v_sub_u32_e32 v40, 29, v42
	v_and_b32_e32 v39, 7, v39
	v_cmp_gt_u32_e64 s[4:5], 8, v38
	v_cndmask_b32_e64 v38, v41, v40, s[4:5]
	v_cndmask_b32_e64 v37, v37, v39, s[4:5]
	v_lshlrev_b32_e32 v16, 24, v16
	v_lshlrev_b32_e32 v37, 20, v37
	v_and_b32_e32 v16, 0x80000000, v16
	v_lshl_add_u32 v38, v38, 23, v31
	v_or3_b32 v37, v16, v38, v37
.LBB310_34:                             ;   in Loop: Header=BB310_13 Depth=1
	s_or_b64 exec, exec, s[44:45]
.LBB310_35:                             ;   in Loop: Header=BB310_13 Depth=1
	s_or_b64 exec, exec, s[42:43]
.LBB310_36:                             ;   in Loop: Header=BB310_13 Depth=1
	s_or_b64 exec, exec, s[40:41]
	v_cmp_lt_u32_e64 s[4:5], s54, v15
	s_and_saveexec_b64 s[40:41], s[4:5]
	s_cbranch_execz .LBB310_42
; %bb.37:                               ;   in Loop: Header=BB310_13 Depth=1
	v_lshrrev_b32_e32 v16, 24, v15
	v_cmp_ne_u32_e64 s[4:5], s52, v16
	v_bfrev_b32_e32 v36, 1
	s_and_saveexec_b64 s[42:43], s[4:5]
	s_cbranch_execz .LBB310_41
; %bb.38:                               ;   in Loop: Header=BB310_13 Depth=1
	v_bfe_u32 v15, v15, 24, 7
	v_cmp_ne_u32_e64 s[4:5], s53, v15
	v_mov_b32_e32 v36, 0x7f800001
	s_and_saveexec_b64 s[44:45], s[4:5]
	s_cbranch_execz .LBB310_40
; %bb.39:                               ;   in Loop: Header=BB310_13 Depth=1
	v_and_b32_e32 v36, 7, v16
	v_ffbh_u32_e32 v38, v36
	v_min_u32_e32 v41, 32, v38
	v_subrev_u32_e32 v38, 28, v41
	v_lshlrev_b64 v[38:39], v38, v[16:17]
	v_lshrrev_b32_e32 v40, 3, v15
	v_sub_u32_e32 v39, 29, v41
	v_and_b32_e32 v38, 7, v38
	v_cmp_gt_u32_e64 s[4:5], 8, v15
	v_cndmask_b32_e64 v15, v40, v39, s[4:5]
	v_cndmask_b32_e64 v36, v36, v38, s[4:5]
	v_lshlrev_b32_e32 v16, 24, v16
	v_lshlrev_b32_e32 v36, 20, v36
	v_and_b32_e32 v16, 0x80000000, v16
	v_lshl_add_u32 v15, v15, 23, v31
	v_or3_b32 v36, v16, v15, v36
.LBB310_40:                             ;   in Loop: Header=BB310_13 Depth=1
	s_or_b64 exec, exec, s[44:45]
.LBB310_41:                             ;   in Loop: Header=BB310_13 Depth=1
	s_or_b64 exec, exec, s[42:43]
.LBB310_42:                             ;   in Loop: Header=BB310_13 Depth=1
	s_or_b64 exec, exec, s[40:41]
	global_load_dword v15, v[13:14], off offset:8
	v_mov_b32_e32 v39, 0
	v_mov_b32_e32 v38, 0
	s_waitcnt vmcnt(0)
	v_cmp_ne_u16_sdwa s[4:5], v15, v30 src0_sel:BYTE_0 src1_sel:DWORD
	s_and_saveexec_b64 s[40:41], s[4:5]
	s_cbranch_execz .LBB310_48
; %bb.43:                               ;   in Loop: Header=BB310_13 Depth=1
	v_cmp_ne_u16_sdwa s[4:5], v15, s52 src0_sel:BYTE_0 src1_sel:DWORD
	v_bfrev_b32_e32 v38, 1
	s_and_saveexec_b64 s[42:43], s[4:5]
	s_cbranch_execz .LBB310_47
; %bb.44:                               ;   in Loop: Header=BB310_13 Depth=1
	v_and_b32_e32 v16, 0x7f, v15
	v_cmp_ne_u32_e64 s[4:5], s53, v16
	v_mov_b32_e32 v38, 0x7f800001
	s_and_saveexec_b64 s[44:45], s[4:5]
	s_cbranch_execz .LBB310_46
; %bb.45:                               ;   in Loop: Header=BB310_13 Depth=1
	v_and_b32_e32 v38, 7, v15
	v_ffbh_u32_e32 v40, v38
	v_min_u32_e32 v43, 32, v40
	v_subrev_u32_e32 v40, 28, v43
	v_lshlrev_b64 v[40:41], v40, v[15:16]
	v_lshrrev_b32_e32 v42, 3, v16
	v_sub_u32_e32 v41, 29, v43
	v_and_b32_e32 v40, 7, v40
	v_cmp_gt_u32_e64 s[4:5], 8, v16
	v_cndmask_b32_e64 v16, v42, v41, s[4:5]
	v_cndmask_b32_e64 v38, v38, v40, s[4:5]
	v_lshlrev_b32_e32 v40, 24, v15
	v_lshlrev_b32_e32 v38, 20, v38
	v_and_b32_e32 v40, 0x80000000, v40
	v_lshl_add_u32 v16, v16, 23, v31
	v_or3_b32 v38, v40, v16, v38
.LBB310_46:                             ;   in Loop: Header=BB310_13 Depth=1
	s_or_b64 exec, exec, s[44:45]
.LBB310_47:                             ;   in Loop: Header=BB310_13 Depth=1
	s_or_b64 exec, exec, s[42:43]
.LBB310_48:                             ;   in Loop: Header=BB310_13 Depth=1
	s_or_b64 exec, exec, s[40:41]
	v_lshrrev_b16_e32 v16, 8, v15
	v_cmp_ne_u16_e64 s[4:5], 0, v16
	s_and_saveexec_b64 s[40:41], s[4:5]
	s_cbranch_execz .LBB310_54
; %bb.49:                               ;   in Loop: Header=BB310_13 Depth=1
	v_cmp_ne_u16_e64 s[4:5], s52, v16
	v_bfrev_b32_e32 v39, 1
	s_and_saveexec_b64 s[42:43], s[4:5]
	s_cbranch_execz .LBB310_53
; %bb.50:                               ;   in Loop: Header=BB310_13 Depth=1
	v_and_b32_e32 v40, 0x7f, v16
	v_cmp_ne_u32_e64 s[4:5], s53, v40
	v_mov_b32_e32 v39, 0x7f800001
	s_and_saveexec_b64 s[44:45], s[4:5]
	s_cbranch_execz .LBB310_52
; %bb.51:                               ;   in Loop: Header=BB310_13 Depth=1
	v_and_b32_e32 v39, 7, v16
	v_ffbh_u32_e32 v41, v39
	v_min_u32_e32 v44, 32, v41
	v_subrev_u32_e32 v41, 28, v44
	v_lshlrev_b64 v[41:42], v41, v[16:17]
	v_lshrrev_b32_e32 v43, 3, v40
	v_sub_u32_e32 v16, 29, v44
	v_and_b32_e32 v41, 7, v41
	v_cmp_gt_u32_e64 s[4:5], 8, v40
	v_cndmask_b32_e64 v16, v43, v16, s[4:5]
	v_cndmask_b32_e64 v39, v39, v41, s[4:5]
	v_lshlrev_b32_e32 v40, 16, v15
	v_lshlrev_b32_e32 v39, 20, v39
	v_and_b32_e32 v40, 0x80000000, v40
	v_lshl_add_u32 v16, v16, 23, v31
	v_or3_b32 v39, v40, v16, v39
.LBB310_52:                             ;   in Loop: Header=BB310_13 Depth=1
	s_or_b64 exec, exec, s[44:45]
.LBB310_53:                             ;   in Loop: Header=BB310_13 Depth=1
	s_or_b64 exec, exec, s[42:43]
.LBB310_54:                             ;   in Loop: Header=BB310_13 Depth=1
	s_or_b64 exec, exec, s[40:41]
	v_lshrrev_b32_e32 v16, 16, v15
	v_cmp_ne_u16_sdwa s[4:5], v16, v30 src0_sel:BYTE_0 src1_sel:DWORD
	v_mov_b32_e32 v40, 0
	v_mov_b32_e32 v41, 0
	s_and_saveexec_b64 s[40:41], s[4:5]
	s_cbranch_execz .LBB310_60
; %bb.55:                               ;   in Loop: Header=BB310_13 Depth=1
	v_cmp_ne_u16_sdwa s[4:5], v16, s52 src0_sel:BYTE_0 src1_sel:DWORD
	v_bfrev_b32_e32 v41, 1
	s_and_saveexec_b64 s[42:43], s[4:5]
	s_cbranch_execz .LBB310_59
; %bb.56:                               ;   in Loop: Header=BB310_13 Depth=1
	v_bfe_u32 v42, v15, 16, 7
	v_cmp_ne_u32_e64 s[4:5], s53, v42
	v_mov_b32_e32 v41, 0x7f800001
	s_and_saveexec_b64 s[44:45], s[4:5]
	s_cbranch_execz .LBB310_58
; %bb.57:                               ;   in Loop: Header=BB310_13 Depth=1
	v_and_b32_e32 v41, 7, v16
	v_ffbh_u32_e32 v43, v41
	v_min_u32_e32 v46, 32, v43
	v_subrev_u32_e32 v43, 28, v46
	v_lshlrev_b64 v[43:44], v43, v[16:17]
	v_lshrrev_b32_e32 v45, 3, v42
	v_sub_u32_e32 v44, 29, v46
	v_and_b32_e32 v43, 7, v43
	v_cmp_gt_u32_e64 s[4:5], 8, v42
	v_cndmask_b32_e64 v42, v45, v44, s[4:5]
	v_cndmask_b32_e64 v41, v41, v43, s[4:5]
	v_lshlrev_b32_e32 v16, 24, v16
	v_lshlrev_b32_e32 v41, 20, v41
	v_and_b32_e32 v16, 0x80000000, v16
	v_lshl_add_u32 v42, v42, 23, v31
	v_or3_b32 v41, v16, v42, v41
.LBB310_58:                             ;   in Loop: Header=BB310_13 Depth=1
	s_or_b64 exec, exec, s[44:45]
.LBB310_59:                             ;   in Loop: Header=BB310_13 Depth=1
	s_or_b64 exec, exec, s[42:43]
.LBB310_60:                             ;   in Loop: Header=BB310_13 Depth=1
	s_or_b64 exec, exec, s[40:41]
	v_cmp_lt_u32_e64 s[4:5], s54, v15
	s_and_saveexec_b64 s[40:41], s[4:5]
	s_cbranch_execz .LBB310_66
; %bb.61:                               ;   in Loop: Header=BB310_13 Depth=1
	v_lshrrev_b32_e32 v16, 24, v15
	v_cmp_ne_u32_e64 s[4:5], s52, v16
	v_bfrev_b32_e32 v40, 1
	s_and_saveexec_b64 s[42:43], s[4:5]
	s_cbranch_execz .LBB310_65
; %bb.62:                               ;   in Loop: Header=BB310_13 Depth=1
	v_bfe_u32 v15, v15, 24, 7
	v_cmp_ne_u32_e64 s[4:5], s53, v15
	v_mov_b32_e32 v40, 0x7f800001
	s_and_saveexec_b64 s[44:45], s[4:5]
	s_cbranch_execz .LBB310_64
; %bb.63:                               ;   in Loop: Header=BB310_13 Depth=1
	v_and_b32_e32 v40, 7, v16
	v_ffbh_u32_e32 v42, v40
	v_min_u32_e32 v45, 32, v42
	v_subrev_u32_e32 v42, 28, v45
	v_lshlrev_b64 v[42:43], v42, v[16:17]
	v_lshrrev_b32_e32 v44, 3, v15
	v_sub_u32_e32 v43, 29, v45
	v_and_b32_e32 v42, 7, v42
	v_cmp_gt_u32_e64 s[4:5], 8, v15
	v_cndmask_b32_e64 v15, v44, v43, s[4:5]
	v_cndmask_b32_e64 v40, v40, v42, s[4:5]
	v_lshlrev_b32_e32 v16, 24, v16
	v_lshlrev_b32_e32 v40, 20, v40
	v_and_b32_e32 v16, 0x80000000, v16
	v_lshl_add_u32 v15, v15, 23, v31
	v_or3_b32 v40, v16, v15, v40
.LBB310_64:                             ;   in Loop: Header=BB310_13 Depth=1
	s_or_b64 exec, exec, s[44:45]
.LBB310_65:                             ;   in Loop: Header=BB310_13 Depth=1
	s_or_b64 exec, exec, s[42:43]
.LBB310_66:                             ;   in Loop: Header=BB310_13 Depth=1
	s_or_b64 exec, exec, s[40:41]
	global_load_dword v15, v[13:14], off offset:512
	v_mov_b32_e32 v43, 0
	v_mov_b32_e32 v42, 0
	s_waitcnt vmcnt(0)
	v_cmp_ne_u16_sdwa s[4:5], v15, v30 src0_sel:BYTE_0 src1_sel:DWORD
	s_and_saveexec_b64 s[40:41], s[4:5]
	s_cbranch_execz .LBB310_72
; %bb.67:                               ;   in Loop: Header=BB310_13 Depth=1
	v_cmp_ne_u16_sdwa s[4:5], v15, s52 src0_sel:BYTE_0 src1_sel:DWORD
	v_bfrev_b32_e32 v42, 1
	s_and_saveexec_b64 s[42:43], s[4:5]
	s_cbranch_execz .LBB310_71
; %bb.68:                               ;   in Loop: Header=BB310_13 Depth=1
	v_and_b32_e32 v16, 0x7f, v15
	v_cmp_ne_u32_e64 s[4:5], s53, v16
	v_mov_b32_e32 v42, 0x7f800001
	s_and_saveexec_b64 s[44:45], s[4:5]
	s_cbranch_execz .LBB310_70
; %bb.69:                               ;   in Loop: Header=BB310_13 Depth=1
	v_and_b32_e32 v42, 7, v15
	v_ffbh_u32_e32 v44, v42
	v_min_u32_e32 v47, 32, v44
	v_subrev_u32_e32 v44, 28, v47
	v_lshlrev_b64 v[44:45], v44, v[15:16]
	v_lshrrev_b32_e32 v46, 3, v16
	v_sub_u32_e32 v45, 29, v47
	v_and_b32_e32 v44, 7, v44
	v_cmp_gt_u32_e64 s[4:5], 8, v16
	v_cndmask_b32_e64 v16, v46, v45, s[4:5]
	v_cndmask_b32_e64 v42, v42, v44, s[4:5]
	v_lshlrev_b32_e32 v44, 24, v15
	v_lshlrev_b32_e32 v42, 20, v42
	v_and_b32_e32 v44, 0x80000000, v44
	v_lshl_add_u32 v16, v16, 23, v31
	v_or3_b32 v42, v44, v16, v42
.LBB310_70:                             ;   in Loop: Header=BB310_13 Depth=1
	s_or_b64 exec, exec, s[44:45]
.LBB310_71:                             ;   in Loop: Header=BB310_13 Depth=1
	s_or_b64 exec, exec, s[42:43]
.LBB310_72:                             ;   in Loop: Header=BB310_13 Depth=1
	s_or_b64 exec, exec, s[40:41]
	v_lshrrev_b16_e32 v16, 8, v15
	v_cmp_ne_u16_e64 s[4:5], 0, v16
	s_and_saveexec_b64 s[40:41], s[4:5]
	s_cbranch_execz .LBB310_78
; %bb.73:                               ;   in Loop: Header=BB310_13 Depth=1
	v_cmp_ne_u16_e64 s[4:5], s52, v16
	v_bfrev_b32_e32 v43, 1
	s_and_saveexec_b64 s[42:43], s[4:5]
	s_cbranch_execz .LBB310_77
; %bb.74:                               ;   in Loop: Header=BB310_13 Depth=1
	v_and_b32_e32 v44, 0x7f, v16
	v_cmp_ne_u32_e64 s[4:5], s53, v44
	v_mov_b32_e32 v43, 0x7f800001
	s_and_saveexec_b64 s[44:45], s[4:5]
	s_cbranch_execz .LBB310_76
; %bb.75:                               ;   in Loop: Header=BB310_13 Depth=1
	v_and_b32_e32 v43, 7, v16
	v_ffbh_u32_e32 v45, v43
	v_min_u32_e32 v48, 32, v45
	v_subrev_u32_e32 v45, 28, v48
	v_lshlrev_b64 v[45:46], v45, v[16:17]
	v_lshrrev_b32_e32 v47, 3, v44
	v_sub_u32_e32 v16, 29, v48
	v_and_b32_e32 v45, 7, v45
	v_cmp_gt_u32_e64 s[4:5], 8, v44
	v_cndmask_b32_e64 v16, v47, v16, s[4:5]
	v_cndmask_b32_e64 v43, v43, v45, s[4:5]
	v_lshlrev_b32_e32 v44, 16, v15
	v_lshlrev_b32_e32 v43, 20, v43
	v_and_b32_e32 v44, 0x80000000, v44
	v_lshl_add_u32 v16, v16, 23, v31
	v_or3_b32 v43, v44, v16, v43
.LBB310_76:                             ;   in Loop: Header=BB310_13 Depth=1
	s_or_b64 exec, exec, s[44:45]
.LBB310_77:                             ;   in Loop: Header=BB310_13 Depth=1
	s_or_b64 exec, exec, s[42:43]
.LBB310_78:                             ;   in Loop: Header=BB310_13 Depth=1
	s_or_b64 exec, exec, s[40:41]
	v_lshrrev_b32_e32 v16, 16, v15
	v_cmp_ne_u16_sdwa s[4:5], v16, v30 src0_sel:BYTE_0 src1_sel:DWORD
	v_mov_b32_e32 v44, 0
	v_mov_b32_e32 v45, 0
	s_and_saveexec_b64 s[40:41], s[4:5]
	s_cbranch_execz .LBB310_84
; %bb.79:                               ;   in Loop: Header=BB310_13 Depth=1
	v_cmp_ne_u16_sdwa s[4:5], v16, s52 src0_sel:BYTE_0 src1_sel:DWORD
	v_bfrev_b32_e32 v45, 1
	s_and_saveexec_b64 s[42:43], s[4:5]
	s_cbranch_execz .LBB310_83
; %bb.80:                               ;   in Loop: Header=BB310_13 Depth=1
	v_bfe_u32 v46, v15, 16, 7
	v_cmp_ne_u32_e64 s[4:5], s53, v46
	v_mov_b32_e32 v45, 0x7f800001
	s_and_saveexec_b64 s[44:45], s[4:5]
	s_cbranch_execz .LBB310_82
; %bb.81:                               ;   in Loop: Header=BB310_13 Depth=1
	v_and_b32_e32 v45, 7, v16
	v_ffbh_u32_e32 v47, v45
	v_min_u32_e32 v50, 32, v47
	v_subrev_u32_e32 v47, 28, v50
	v_lshlrev_b64 v[47:48], v47, v[16:17]
	v_lshrrev_b32_e32 v49, 3, v46
	v_sub_u32_e32 v48, 29, v50
	v_and_b32_e32 v47, 7, v47
	v_cmp_gt_u32_e64 s[4:5], 8, v46
	v_cndmask_b32_e64 v46, v49, v48, s[4:5]
	v_cndmask_b32_e64 v45, v45, v47, s[4:5]
	v_lshlrev_b32_e32 v16, 24, v16
	v_lshlrev_b32_e32 v45, 20, v45
	v_and_b32_e32 v16, 0x80000000, v16
	v_lshl_add_u32 v46, v46, 23, v31
	v_or3_b32 v45, v16, v46, v45
.LBB310_82:                             ;   in Loop: Header=BB310_13 Depth=1
	s_or_b64 exec, exec, s[44:45]
.LBB310_83:                             ;   in Loop: Header=BB310_13 Depth=1
	s_or_b64 exec, exec, s[42:43]
.LBB310_84:                             ;   in Loop: Header=BB310_13 Depth=1
	s_or_b64 exec, exec, s[40:41]
	v_cmp_lt_u32_e64 s[4:5], s54, v15
	s_and_saveexec_b64 s[40:41], s[4:5]
	s_cbranch_execz .LBB310_90
; %bb.85:                               ;   in Loop: Header=BB310_13 Depth=1
	v_lshrrev_b32_e32 v16, 24, v15
	v_cmp_ne_u32_e64 s[4:5], s52, v16
	v_bfrev_b32_e32 v44, 1
	s_and_saveexec_b64 s[42:43], s[4:5]
	s_cbranch_execz .LBB310_89
; %bb.86:                               ;   in Loop: Header=BB310_13 Depth=1
	v_bfe_u32 v15, v15, 24, 7
	v_cmp_ne_u32_e64 s[4:5], s53, v15
	v_mov_b32_e32 v44, 0x7f800001
	s_and_saveexec_b64 s[44:45], s[4:5]
	s_cbranch_execz .LBB310_88
; %bb.87:                               ;   in Loop: Header=BB310_13 Depth=1
	v_and_b32_e32 v44, 7, v16
	v_ffbh_u32_e32 v46, v44
	v_min_u32_e32 v49, 32, v46
	v_subrev_u32_e32 v46, 28, v49
	v_lshlrev_b64 v[46:47], v46, v[16:17]
	v_lshrrev_b32_e32 v48, 3, v15
	v_sub_u32_e32 v47, 29, v49
	v_and_b32_e32 v46, 7, v46
	v_cmp_gt_u32_e64 s[4:5], 8, v15
	v_cndmask_b32_e64 v15, v48, v47, s[4:5]
	v_cndmask_b32_e64 v44, v44, v46, s[4:5]
	v_lshlrev_b32_e32 v16, 24, v16
	v_lshlrev_b32_e32 v44, 20, v44
	v_and_b32_e32 v16, 0x80000000, v16
	v_lshl_add_u32 v15, v15, 23, v31
	v_or3_b32 v44, v16, v15, v44
.LBB310_88:                             ;   in Loop: Header=BB310_13 Depth=1
	s_or_b64 exec, exec, s[44:45]
.LBB310_89:                             ;   in Loop: Header=BB310_13 Depth=1
	s_or_b64 exec, exec, s[42:43]
.LBB310_90:                             ;   in Loop: Header=BB310_13 Depth=1
	s_or_b64 exec, exec, s[40:41]
	global_load_dword v13, v[13:14], off offset:520
	v_mov_b32_e32 v16, 0
	v_mov_b32_e32 v15, 0
	s_waitcnt vmcnt(0)
	v_cmp_ne_u16_sdwa s[4:5], v13, v30 src0_sel:BYTE_0 src1_sel:DWORD
	s_and_saveexec_b64 s[40:41], s[4:5]
	s_cbranch_execz .LBB310_96
; %bb.91:                               ;   in Loop: Header=BB310_13 Depth=1
	v_cmp_ne_u16_sdwa s[4:5], v13, s52 src0_sel:BYTE_0 src1_sel:DWORD
	v_bfrev_b32_e32 v15, 1
	s_and_saveexec_b64 s[42:43], s[4:5]
	s_cbranch_execz .LBB310_95
; %bb.92:                               ;   in Loop: Header=BB310_13 Depth=1
	v_and_b32_e32 v14, 0x7f, v13
	v_cmp_ne_u32_e64 s[4:5], s53, v14
	v_mov_b32_e32 v15, 0x7f800001
	s_and_saveexec_b64 s[44:45], s[4:5]
	s_cbranch_execz .LBB310_94
; %bb.93:                               ;   in Loop: Header=BB310_13 Depth=1
	v_and_b32_e32 v15, 7, v13
	v_ffbh_u32_e32 v46, v15
	v_min_u32_e32 v49, 32, v46
	v_subrev_u32_e32 v46, 28, v49
	v_lshlrev_b64 v[46:47], v46, v[13:14]
	v_lshrrev_b32_e32 v48, 3, v14
	v_sub_u32_e32 v47, 29, v49
	v_and_b32_e32 v46, 7, v46
	v_cmp_gt_u32_e64 s[4:5], 8, v14
	v_cndmask_b32_e64 v14, v48, v47, s[4:5]
	v_cndmask_b32_e64 v15, v15, v46, s[4:5]
	v_lshlrev_b32_e32 v46, 24, v13
	v_lshlrev_b32_e32 v15, 20, v15
	v_and_b32_e32 v46, 0x80000000, v46
	v_lshl_add_u32 v14, v14, 23, v31
	v_or3_b32 v15, v46, v14, v15
.LBB310_94:                             ;   in Loop: Header=BB310_13 Depth=1
	s_or_b64 exec, exec, s[44:45]
.LBB310_95:                             ;   in Loop: Header=BB310_13 Depth=1
	s_or_b64 exec, exec, s[42:43]
.LBB310_96:                             ;   in Loop: Header=BB310_13 Depth=1
	s_or_b64 exec, exec, s[40:41]
	v_lshrrev_b16_e32 v14, 8, v13
	v_cmp_ne_u16_e64 s[4:5], 0, v14
	s_and_saveexec_b64 s[40:41], s[4:5]
	s_cbranch_execz .LBB310_102
; %bb.97:                               ;   in Loop: Header=BB310_13 Depth=1
	v_cmp_ne_u16_e64 s[4:5], s52, v14
	v_bfrev_b32_e32 v16, 1
	s_and_saveexec_b64 s[42:43], s[4:5]
	s_cbranch_execz .LBB310_101
; %bb.98:                               ;   in Loop: Header=BB310_13 Depth=1
	v_and_b32_e32 v46, 0x7f, v14
	v_cmp_ne_u32_e64 s[4:5], s53, v46
	v_mov_b32_e32 v16, 0x7f800001
	s_and_saveexec_b64 s[44:45], s[4:5]
	s_cbranch_execz .LBB310_100
; %bb.99:                               ;   in Loop: Header=BB310_13 Depth=1
	v_and_b32_e32 v16, 7, v14
	v_ffbh_u32_e32 v47, v16
	v_min_u32_e32 v50, 32, v47
	v_subrev_u32_e32 v47, 28, v50
	v_lshlrev_b64 v[47:48], v47, v[14:15]
	v_lshrrev_b32_e32 v49, 3, v46
	v_sub_u32_e32 v14, 29, v50
	v_and_b32_e32 v47, 7, v47
	v_cmp_gt_u32_e64 s[4:5], 8, v46
	v_cndmask_b32_e64 v14, v49, v14, s[4:5]
	v_cndmask_b32_e64 v16, v16, v47, s[4:5]
	v_lshlrev_b32_e32 v46, 16, v13
	v_lshlrev_b32_e32 v16, 20, v16
	v_and_b32_e32 v46, 0x80000000, v46
	v_lshl_add_u32 v14, v14, 23, v31
	v_or3_b32 v16, v46, v14, v16
.LBB310_100:                            ;   in Loop: Header=BB310_13 Depth=1
	s_or_b64 exec, exec, s[44:45]
.LBB310_101:                            ;   in Loop: Header=BB310_13 Depth=1
	s_or_b64 exec, exec, s[42:43]
.LBB310_102:                            ;   in Loop: Header=BB310_13 Depth=1
	s_or_b64 exec, exec, s[40:41]
	v_lshrrev_b32_e32 v14, 16, v13
	v_cmp_ne_u16_sdwa s[4:5], v14, v30 src0_sel:BYTE_0 src1_sel:DWORD
	v_mov_b32_e32 v46, 0
	v_mov_b32_e32 v47, 0
	s_and_saveexec_b64 s[40:41], s[4:5]
	s_cbranch_execz .LBB310_108
; %bb.103:                              ;   in Loop: Header=BB310_13 Depth=1
	v_cmp_ne_u16_sdwa s[4:5], v14, s52 src0_sel:BYTE_0 src1_sel:DWORD
	v_bfrev_b32_e32 v47, 1
	s_and_saveexec_b64 s[42:43], s[4:5]
	s_cbranch_execz .LBB310_107
; %bb.104:                              ;   in Loop: Header=BB310_13 Depth=1
	v_bfe_u32 v48, v13, 16, 7
	v_cmp_ne_u32_e64 s[4:5], s53, v48
	v_mov_b32_e32 v47, 0x7f800001
	s_and_saveexec_b64 s[44:45], s[4:5]
	s_cbranch_execz .LBB310_106
; %bb.105:                              ;   in Loop: Header=BB310_13 Depth=1
	v_and_b32_e32 v47, 7, v14
	v_ffbh_u32_e32 v49, v47
	v_min_u32_e32 v52, 32, v49
	v_subrev_u32_e32 v49, 28, v52
	v_lshlrev_b64 v[49:50], v49, v[14:15]
	v_lshrrev_b32_e32 v51, 3, v48
	v_sub_u32_e32 v50, 29, v52
	v_and_b32_e32 v49, 7, v49
	v_cmp_gt_u32_e64 s[4:5], 8, v48
	v_cndmask_b32_e64 v48, v51, v50, s[4:5]
	v_cndmask_b32_e64 v47, v47, v49, s[4:5]
	v_lshlrev_b32_e32 v14, 24, v14
	v_lshlrev_b32_e32 v47, 20, v47
	v_and_b32_e32 v14, 0x80000000, v14
	v_lshl_add_u32 v48, v48, 23, v31
	v_or3_b32 v47, v14, v48, v47
.LBB310_106:                            ;   in Loop: Header=BB310_13 Depth=1
	s_or_b64 exec, exec, s[44:45]
.LBB310_107:                            ;   in Loop: Header=BB310_13 Depth=1
	s_or_b64 exec, exec, s[42:43]
.LBB310_108:                            ;   in Loop: Header=BB310_13 Depth=1
	s_or_b64 exec, exec, s[40:41]
	v_cmp_lt_u32_e64 s[4:5], s54, v13
	s_and_saveexec_b64 s[40:41], s[4:5]
	s_cbranch_execz .LBB310_114
; %bb.109:                              ;   in Loop: Header=BB310_13 Depth=1
	v_lshrrev_b32_e32 v14, 24, v13
	v_cmp_ne_u32_e64 s[4:5], s52, v14
	v_bfrev_b32_e32 v46, 1
	s_and_saveexec_b64 s[42:43], s[4:5]
	s_cbranch_execz .LBB310_113
; %bb.110:                              ;   in Loop: Header=BB310_13 Depth=1
	v_bfe_u32 v13, v13, 24, 7
	v_cmp_ne_u32_e64 s[4:5], s53, v13
	v_mov_b32_e32 v46, 0x7f800001
	s_and_saveexec_b64 s[44:45], s[4:5]
	s_cbranch_execz .LBB310_112
; %bb.111:                              ;   in Loop: Header=BB310_13 Depth=1
	v_and_b32_e32 v46, 7, v14
	v_ffbh_u32_e32 v48, v46
	v_min_u32_e32 v51, 32, v48
	v_subrev_u32_e32 v48, 28, v51
	v_lshlrev_b64 v[48:49], v48, v[14:15]
	v_lshrrev_b32_e32 v50, 3, v13
	v_sub_u32_e32 v49, 29, v51
	v_and_b32_e32 v48, 7, v48
	v_cmp_gt_u32_e64 s[4:5], 8, v13
	v_cndmask_b32_e64 v13, v50, v49, s[4:5]
	v_cndmask_b32_e64 v46, v46, v48, s[4:5]
	v_lshlrev_b32_e32 v14, 24, v14
	v_lshlrev_b32_e32 v46, 20, v46
	v_and_b32_e32 v14, 0x80000000, v14
	v_lshl_add_u32 v13, v13, 23, v31
	v_or3_b32 v46, v14, v13, v46
.LBB310_112:                            ;   in Loop: Header=BB310_13 Depth=1
	s_or_b64 exec, exec, s[44:45]
.LBB310_113:                            ;   in Loop: Header=BB310_13 Depth=1
	s_or_b64 exec, exec, s[42:43]
.LBB310_114:                            ;   in Loop: Header=BB310_13 Depth=1
	s_or_b64 exec, exec, s[40:41]
	s_waitcnt lgkmcnt(0)
	v_mul_f32_e32 v13, s56, v16
	v_bfe_u32 v14, v13, 16, 1
	v_add3_u32 v14, v14, v13, s55
	v_or_b32_e32 v16, 0x400000, v13
	v_cmp_u_f32_e64 s[4:5], v13, v13
	v_cndmask_b32_e64 v13, v14, v16, s[4:5]
	v_mul_f32_e32 v14, s56, v15
	v_bfe_u32 v15, v14, 16, 1
	v_add3_u32 v15, v15, v14, s55
	v_or_b32_e32 v16, 0x400000, v14
	v_cmp_u_f32_e64 s[4:5], v14, v14
	v_cndmask_b32_e64 v14, v15, v16, s[4:5]
	;; [unrolled: 6-line block ×3, first 2 shown]
	v_mul_f32_e32 v16, s56, v44
	v_bfe_u32 v44, v16, 16, 1
	v_add3_u32 v44, v44, v16, s55
	v_or_b32_e32 v45, 0x400000, v16
	v_cmp_u_f32_e64 s[4:5], v16, v16
	v_mul_f32_e32 v43, s56, v43
	v_cndmask_b32_e64 v16, v44, v45, s[4:5]
	v_bfe_u32 v44, v43, 16, 1
	v_add3_u32 v44, v44, v43, s55
	v_or_b32_e32 v45, 0x400000, v43
	v_cmp_u_f32_e64 s[4:5], v43, v43
	v_mul_f32_e32 v42, s56, v42
	v_cndmask_b32_e64 v43, v44, v45, s[4:5]
	;; [unrolled: 6-line block ×10, first 2 shown]
	v_bfe_u32 v44, v34, 16, 1
	v_add3_u32 v44, v44, v34, s55
	v_or_b32_e32 v45, 0x400000, v34
	v_cmp_u_f32_e64 s[4:5], v34, v34
	v_cndmask_b32_e64 v34, v44, v45, s[4:5]
	v_lshlrev_b32_e32 v48, 16, v7
	v_and_b32_e32 v38, 0xffff0000, v38
	v_lshlrev_b32_e32 v44, 16, v5
	v_and_b32_e32 v55, 64, v32
	v_and_b32_e32 v7, 0xffff0000, v7
	;; [unrolled: 1-line block ×4, first 2 shown]
	v_mul_f32_e32 v38, v48, v38
	v_lshlrev_b32_e32 v49, 16, v8
	v_xor_b32_e32 v54, 1, v32
	v_add_u32_e32 v55, 64, v55
	v_mul_f32_e32 v47, s56, v47
	v_and_b32_e32 v5, 0xffff0000, v5
	v_and_b32_e32 v8, 0xffff0000, v8
	;; [unrolled: 1-line block ×3, first 2 shown]
	v_fmac_f32_e32 v38, v44, v34
	v_mul_f32_e32 v7, v7, v39
	v_and_b32_e32 v34, 0xffff0000, v40
	v_lshlrev_b32_e32 v45, 16, v6
	v_cmp_lt_i32_e64 s[4:5], v54, v55
	v_bfe_u32 v55, v47, 16, 1
	v_and_b32_e32 v6, 0xffff0000, v6
	v_and_b32_e32 v36, 0xffff0000, v36
	v_fmac_f32_e32 v7, v5, v35
	v_and_b32_e32 v5, 0xffff0000, v41
	v_mul_f32_e32 v8, v8, v34
	v_lshlrev_b32_e32 v50, 16, v1
	v_cndmask_b32_e64 v54, v32, v54, s[4:5]
	v_add3_u32 v55, v55, v47, s55
	v_or_b32_e32 v56, 0x400000, v47
	v_cmp_u_f32_e64 s[4:5], v47, v47
	v_mul_f32_e32 v46, s56, v46
	v_and_b32_e32 v1, 0xffff0000, v1
	v_and_b32_e32 v37, 0xffff0000, v37
	v_mul_f32_e32 v5, v49, v5
	v_fmac_f32_e32 v8, v6, v36
	v_and_b32_e32 v6, 0xffff0000, v42
	v_and_b32_e32 v34, 0xffff0000, v43
	v_lshlrev_b32_e32 v51, 16, v2
	v_cndmask_b32_e64 v47, v55, v56, s[4:5]
	v_bfe_u32 v55, v46, 16, 1
	v_and_b32_e32 v2, 0xffff0000, v2
	v_fmac_f32_e32 v5, v45, v37
	v_fmac_f32_e32 v38, v50, v6
	;; [unrolled: 1-line block ×3, first 2 shown]
	v_and_b32_e32 v1, 0xffff0000, v15
	v_and_b32_e32 v6, 0xffff0000, v16
	v_lshlrev_b32_e32 v52, 16, v3
	v_add3_u32 v55, v55, v46, s55
	v_or_b32_e32 v56, 0x400000, v46
	v_cmp_u_f32_e64 s[4:5], v46, v46
	v_and_b32_e32 v3, 0xffff0000, v3
	v_fmac_f32_e32 v5, v51, v1
	v_fmac_f32_e32 v8, v2, v6
	v_and_b32_e32 v1, 0xffff0000, v14
	v_and_b32_e32 v2, 0xffff0000, v13
	v_lshlrev_b32_e32 v53, 16, v4
	v_cndmask_b32_e64 v46, v55, v56, s[4:5]
	v_fmac_f32_e32 v38, v52, v1
	v_fmac_f32_e32 v7, v3, v2
	v_and_b32_e32 v1, 0xffff0000, v47
	v_and_b32_e32 v4, 0xffff0000, v4
	;; [unrolled: 1-line block ×3, first 2 shown]
	v_fmac_f32_e32 v5, v53, v1
	v_add_f32_e32 v1, v38, v7
	v_fmac_f32_e32 v8, v4, v2
	v_add_f32_e32 v1, v1, v5
	v_lshlrev_b32_e32 v54, 2, v54
	v_add_f32_e32 v1, v1, v8
	ds_bpermute_b32 v2, v54, v1
	s_and_saveexec_b64 s[40:41], vcc
	s_cbranch_execz .LBB310_11
; %bb.115:                              ;   in Loop: Header=BB310_13 Depth=1
	v_add_u32_e32 v3, v27, v26
	v_cvt_f32_i32_e32 v3, v3
	s_waitcnt lgkmcnt(0)
	v_add_f32_e32 v1, v1, v2
	v_add_u32_e32 v4, v22, v26
	v_cmp_gt_i32_e64 s[4:5], s11, v4
	v_mul_f32_e32 v2, s48, v3
	v_cndmask_b32_e64 v2, 0, v2, s[2:3]
	v_fmac_f32_e32 v2, s37, v1
	v_cndmask_b32_e64 v1, 0, v2, s[4:5]
	ds_write_b32 v28, v1
	v_max_f32_e32 v1, v25, v25
	v_max_f32_e32 v1, v1, v2
	v_cndmask_b32_e64 v25, v25, v1, s[4:5]
	s_branch .LBB310_11
.LBB310_116:
	s_or_b64 exec, exec, s[38:39]
.LBB310_117:
	s_or_b64 exec, exec, s[18:19]
	v_mbcnt_hi_u32_b32 v1, -1, v19
	v_and_b32_e32 v8, 64, v1
	v_add_u32_e32 v9, 64, v8
	s_waitcnt lgkmcnt(0)
	v_xor_b32_e32 v2, 32, v1
	v_cmp_lt_i32_e32 vcc, v2, v9
	v_cndmask_b32_e32 v2, v1, v2, vcc
	v_lshlrev_b32_e32 v2, 2, v2
	ds_bpermute_b32 v3, v2, v25
	v_xor_b32_e32 v5, 16, v1
	v_max_f32_e32 v4, v25, v25
	v_cmp_lt_i32_e32 vcc, v5, v9
	v_xor_b32_e32 v6, 8, v1
	s_waitcnt lgkmcnt(0)
	v_max_f32_e32 v3, v3, v3
	v_max_f32_e32 v4, v4, v3
	v_cndmask_b32_e32 v3, v1, v5, vcc
	v_lshlrev_b32_e32 v3, 2, v3
	ds_bpermute_b32 v5, v3, v4
	v_cmp_lt_i32_e32 vcc, v6, v9
	v_xor_b32_e32 v7, 4, v1
	v_xor_b32_e32 v10, 2, v1
	v_and_b32_e32 v22, 63, v0
	s_waitcnt lgkmcnt(0)
	v_max_f32_e32 v5, v5, v5
	v_max_f32_e32 v5, v4, v5
	v_cndmask_b32_e32 v4, v1, v6, vcc
	v_lshlrev_b32_e32 v4, 2, v4
	ds_bpermute_b32 v6, v4, v5
	v_cmp_lt_i32_e32 vcc, v7, v9
	s_waitcnt lgkmcnt(0)
	v_max_f32_e32 v6, v6, v6
	v_max_f32_e32 v6, v5, v6
	v_cndmask_b32_e32 v5, v1, v7, vcc
	v_lshlrev_b32_e32 v5, 2, v5
	ds_bpermute_b32 v7, v5, v6
	v_cmp_lt_i32_e32 vcc, v10, v9
	s_waitcnt lgkmcnt(0)
	v_max_f32_e32 v7, v7, v7
	v_max_f32_e32 v7, v6, v7
	v_cndmask_b32_e32 v6, v1, v10, vcc
	v_lshlrev_b32_e32 v23, 2, v6
	ds_bpermute_b32 v10, v23, v7
	v_cmp_eq_u32_e32 vcc, 0, v22
	v_lshlrev_b32_e32 v6, 2, v20
	s_and_saveexec_b64 s[2:3], vcc
	s_cbranch_execz .LBB310_119
; %bb.118:
	s_waitcnt lgkmcnt(0)
	v_max_f32_e32 v10, v10, v10
	v_max_f32_e32 v7, v7, v7
	;; [unrolled: 1-line block ×3, first 2 shown]
	ds_write_b32 v6, v7 offset:64
.LBB310_119:
	s_or_b64 exec, exec, s[2:3]
	v_cmp_gt_u32_e64 s[2:3], 2, v22
	s_waitcnt lgkmcnt(0)
	v_mov_b32_e32 v10, 0xff7fffff
	v_lshlrev_b32_e32 v7, 2, v22
	s_barrier
	s_and_saveexec_b64 s[4:5], s[2:3]
; %bb.120:
	ds_read_b32 v10, v7 offset:64
; %bb.121:
	s_or_b64 exec, exec, s[4:5]
	v_xor_b32_e32 v11, 1, v1
	v_cmp_lt_i32_e64 s[4:5], v11, v9
	v_cndmask_b32_e64 v9, v1, v11, s[4:5]
	v_lshlrev_b32_e32 v24, 2, v9
	s_waitcnt lgkmcnt(0)
	ds_bpermute_b32 v9, v24, v10
	v_max_f32_e32 v10, v10, v10
	v_lshlrev_b32_e32 v8, 2, v8
	s_lshl_b32 s4, s47, 5
	s_min_i32 s37, s4, s11
	s_waitcnt lgkmcnt(0)
	v_max_f32_e32 v9, v9, v9
	v_max_f32_e32 v9, v10, v9
	ds_bpermute_b32 v9, v8, v9
	v_cmp_gt_i32_e64 s[4:5], s37, v0
	v_mov_b32_e32 v8, 0
	s_and_saveexec_b64 s[12:13], s[4:5]
	s_cbranch_execz .LBB310_125
; %bb.122:
	v_mov_b32_e32 v8, 0x50
	v_lshl_add_u32 v10, v0, 2, v8
	v_mov_b32_e32 v8, 0
	s_mov_b64 s[18:19], 0
	v_mov_b32_e32 v11, v0
.LBB310_123:                            ; =>This Inner Loop Header: Depth=1
	ds_read_b32 v12, v10
	v_add_u32_e32 v11, 0x80, v11
	v_cmp_le_i32_e64 s[6:7], s37, v11
	s_or_b64 s[18:19], s[6:7], s[18:19]
	s_waitcnt lgkmcnt(0)
	v_sub_f32_e32 v12, v12, v9
	v_mul_f32_e32 v12, 0x3fb8aa3b, v12
	v_exp_f32_e32 v12, v12
	ds_write_b32 v10, v12
	v_add_f32_e32 v8, v8, v12
	v_add_u32_e32 v10, 0x200, v10
	s_andn2_b64 exec, exec, s[18:19]
	s_cbranch_execnz .LBB310_123
; %bb.124:
	s_or_b64 exec, exec, s[18:19]
.LBB310_125:
	s_or_b64 exec, exec, s[12:13]
	ds_bpermute_b32 v2, v2, v8
	s_waitcnt lgkmcnt(0)
	v_add_f32_e32 v2, v8, v2
	ds_bpermute_b32 v3, v3, v2
	s_waitcnt lgkmcnt(0)
	v_add_f32_e32 v2, v2, v3
	;; [unrolled: 3-line block ×6, first 2 shown]
	s_and_saveexec_b64 s[6:7], vcc
; %bb.126:
	ds_write_b32 v6, v2 offset:72
; %bb.127:
	s_or_b64 exec, exec, s[6:7]
	s_waitcnt lgkmcnt(0)
	s_barrier
	s_and_saveexec_b64 s[6:7], s[2:3]
; %bb.128:
	ds_read_b32 v2, v7 offset:72
; %bb.129:
	s_or_b64 exec, exec, s[6:7]
	s_waitcnt lgkmcnt(0)
	ds_bpermute_b32 v3, v24, v2
	v_lshlrev_b32_e32 v1, 2, v1
	v_and_b32_e32 v1, 0x100, v1
	s_waitcnt lgkmcnt(0)
	v_add_f32_e32 v2, v2, v3
	ds_bpermute_b32 v1, v1, v2
	s_and_saveexec_b64 s[2:3], s[4:5]
	s_cbranch_execz .LBB310_132
; %bb.130:
	s_waitcnt lgkmcnt(0)
	v_add_f32_e32 v2, 0x358637bd, v1
	v_div_scale_f32 v1, s[4:5], v2, v2, 1.0
	v_div_scale_f32 v3, vcc, 1.0, v2, 1.0
	s_mov_b64 s[4:5], 0
	v_rcp_f32_e32 v4, v1
	v_fma_f32 v5, -v1, v4, 1.0
	v_fmac_f32_e32 v4, v5, v4
	v_mul_f32_e32 v5, v3, v4
	v_fma_f32 v6, -v1, v5, v3
	v_fmac_f32_e32 v5, v6, v4
	v_fma_f32 v1, -v1, v5, v3
	v_div_fmas_f32 v3, v1, v4, v5
	v_mov_b32_e32 v1, 0x50
	v_lshl_add_u32 v1, v0, 2, v1
	v_div_fixup_f32 v2, v3, v2, 1.0
	v_mov_b32_e32 v3, v0
.LBB310_131:                            ; =>This Inner Loop Header: Depth=1
	ds_read_b32 v4, v1
	v_add_u32_e32 v3, 0x80, v3
	v_cmp_le_i32_e32 vcc, s37, v3
	s_or_b64 s[4:5], vcc, s[4:5]
	s_waitcnt lgkmcnt(0)
	v_mul_f32_e32 v4, v2, v4
	ds_write_b32 v1, v4
	v_add_u32_e32 v1, 0x200, v1
	s_andn2_b64 exec, exec, s[4:5]
	s_cbranch_execnz .LBB310_131
.LBB310_132:
	s_or_b64 exec, exec, s[2:3]
	v_mov_b32_e32 v27, 0
	v_and_b32_e32 v25, 3, v0
	v_mov_b32_e32 v28, 0
	s_waitcnt lgkmcnt(0)
	s_barrier
	s_and_saveexec_b64 s[2:3], s[0:1]
	s_cbranch_execz .LBB310_238
; %bb.133:
	s_sub_i32 s37, s16, s21
	s_ashr_i32 s0, s20, 31
	s_add_u32 s1, s34, s20
	s_addc_u32 s0, s35, s0
	s_abs_i32 s22, s22
	v_cvt_f32_u32_e32 v1, s22
	s_sub_i32 s6, 0, s22
	v_and_b32_e32 v2, 0x1f8, v17
	s_add_i32 s35, s47, -1
	v_rcp_iflag_f32_e32 v1, v1
	v_mov_b32_e32 v5, s0
	v_add_co_u32_e32 v11, vcc, s1, v2
	v_mul_f32_e32 v1, 0x4f7ffffe, v1
	v_cvt_u32_f32_e32 v1, v1
	s_lshl_b64 s[0:1], s[30:31], 2
	s_add_u32 s0, s28, s0
	v_and_b32_e32 v4, 60, v18
	v_mul_lo_u32 v3, s6, v1
	v_addc_co_u32_e32 v12, vcc, 0, v5, vcc
	s_addc_u32 s1, s29, s1
	v_mul_hi_u32 v3, v1, v3
	v_add_co_u32_e32 v13, vcc, s0, v4
	s_mov_b32 s4, -1
	v_add_u32_e32 v29, v1, v3
	v_mov_b32_e32 v1, s1
	v_addc_co_u32_e32 v14, vcc, 0, v1, vcc
	v_lshlrev_b32_e32 v1, 5, v25
	v_lshl_or_b32 v1, v20, 7, v1
	v_and_b32_e32 v26, 24, v17
	s_mov_b32 s34, s17
	s_mov_b32 s5, 0xffffff
	v_mov_b32_e32 v10, 0
	v_add_u32_e32 v30, 0x50, v1
	s_mov_b64 s[6:7], 0
	s_movk_i32 s28, 0x80
	s_movk_i32 s29, 0x7f
	;; [unrolled: 1-line block ×3, first 2 shown]
	v_bfrev_b32_e32 v31, 60
	v_mov_b32_e32 v28, 0
	v_mov_b32_e32 v27, 0
	s_branch .LBB310_136
.LBB310_134:                            ;   in Loop: Header=BB310_136 Depth=1
	s_or_b64 exec, exec, s[0:1]
	v_bfe_u32 v38, v5, 16, 1
	v_add3_u32 v38, v38, v5, s30
	v_or_b32_e32 v39, 0x400000, v5
	v_cmp_u_f32_e32 vcc, v5, v5
	v_cndmask_b32_e32 v5, v38, v39, vcc
	v_bfe_u32 v38, v6, 16, 1
	v_add3_u32 v38, v38, v6, s30
	v_or_b32_e32 v39, 0x400000, v6
	v_cmp_u_f32_e32 vcc, v6, v6
	v_cndmask_b32_e32 v6, v38, v39, vcc
	;; [unrolled: 5-line block ×7, first 2 shown]
	v_bfe_u32 v38, v4, 16, 1
	v_and_b32_e32 v5, 0xffff0000, v5
	v_lshlrev_b32_e32 v37, 16, v37
	v_add3_u32 v38, v38, v4, s30
	v_or_b32_e32 v39, 0x400000, v4
	v_cmp_u_f32_e32 vcc, v4, v4
	v_mul_f32_e32 v37, v5, v37
	v_cndmask_b32_e32 v4, v38, v39, vcc
	v_bfe_u32 v38, v37, 16, 1
	v_and_b32_e32 v6, 0xffff0000, v6
	v_lshlrev_b32_e32 v36, 16, v36
	v_add3_u32 v38, v38, v37, s30
	v_or_b32_e32 v39, 0x400000, v37
	v_cmp_u_f32_e32 vcc, v37, v37
	v_mul_f32_e32 v36, v6, v36
	v_cndmask_b32_e32 v37, v38, v39, vcc
	;; [unrolled: 8-line block ×8, first 2 shown]
	v_bfe_u32 v38, v33, 16, 1
	v_and_b32_e32 v36, 0xffff0000, v36
	v_and_b32_e32 v37, 0xffff0000, v37
	;; [unrolled: 1-line block ×4, first 2 shown]
	v_add3_u32 v38, v38, v33, s30
	v_or_b32_e32 v39, 0x400000, v33
	v_cmp_u_f32_e32 vcc, v33, v33
	v_add_f32_e32 v36, v37, v36
	v_add_f32_e32 v32, v35, v32
	v_and_b32_e32 v18, 0xffff0000, v18
	v_and_b32_e32 v19, 0xffff0000, v19
	v_cndmask_b32_e32 v33, v38, v39, vcc
	v_add_f32_e32 v32, v32, v36
	v_add_f32_e32 v18, v19, v18
	;; [unrolled: 1-line block ×3, first 2 shown]
	v_and_b32_e32 v19, 0xffff0000, v33
	v_and_b32_e32 v32, 0xffff0000, v34
	v_add_f32_e32 v19, v32, v19
	v_add_f32_e32 v18, v19, v18
	;; [unrolled: 1-line block ×3, first 2 shown]
	v_lshlrev_b32_e32 v18, 16, v49
	v_mul_f32_e32 v5, v5, v18
	v_bfe_u32 v18, v5, 16, 1
	v_add3_u32 v18, v18, v5, s30
	v_or_b32_e32 v19, 0x400000, v5
	v_cmp_u_f32_e32 vcc, v5, v5
	v_cndmask_b32_e32 v5, v18, v19, vcc
	v_lshlrev_b32_e32 v18, 16, v47
	v_mul_f32_e32 v6, v6, v18
	v_bfe_u32 v18, v6, 16, 1
	v_add3_u32 v18, v18, v6, s30
	v_or_b32_e32 v19, 0x400000, v6
	v_cmp_u_f32_e32 vcc, v6, v6
	v_cndmask_b32_e32 v6, v18, v19, vcc
	v_lshlrev_b32_e32 v18, 16, v48
	v_mul_f32_e32 v7, v7, v18
	v_lshlrev_b32_e32 v16, 16, v16
	v_bfe_u32 v18, v7, 16, 1
	v_mul_f32_e32 v8, v8, v16
	v_lshlrev_b32_e32 v15, 16, v15
	v_add3_u32 v18, v18, v7, s30
	v_or_b32_e32 v19, 0x400000, v7
	v_cmp_u_f32_e32 vcc, v7, v7
	v_bfe_u32 v16, v8, 16, 1
	v_mul_f32_e32 v1, v1, v15
	v_lshlrev_b32_e32 v9, 16, v9
	v_cndmask_b32_e32 v7, v18, v19, vcc
	v_add3_u32 v16, v16, v8, s30
	v_or_b32_e32 v18, 0x400000, v8
	v_cmp_u_f32_e32 vcc, v8, v8
	v_bfe_u32 v15, v1, 16, 1
	v_mul_f32_e32 v2, v2, v9
	v_cndmask_b32_e32 v8, v16, v18, vcc
	v_add3_u32 v15, v15, v1, s30
	v_or_b32_e32 v16, 0x400000, v1
	v_cmp_u_f32_e32 vcc, v1, v1
	v_bfe_u32 v9, v2, 16, 1
	v_cndmask_b32_e32 v1, v15, v16, vcc
	v_add3_u32 v9, v9, v2, s30
	v_or_b32_e32 v15, 0x400000, v2
	v_cmp_u_f32_e32 vcc, v2, v2
	v_cndmask_b32_e32 v2, v9, v15, vcc
	v_lshlrev_b32_e32 v9, 16, v17
	v_mul_f32_e32 v3, v3, v9
	v_bfe_u32 v9, v3, 16, 1
	v_add3_u32 v9, v9, v3, s30
	v_or_b32_e32 v15, 0x400000, v3
	v_cmp_u_f32_e32 vcc, v3, v3
	v_cndmask_b32_e32 v3, v9, v15, vcc
	v_lshlrev_b32_e32 v9, 16, v46
	v_mul_f32_e32 v4, v4, v9
	v_bfe_u32 v9, v4, 16, 1
	v_and_b32_e32 v6, 0xffff0000, v6
	v_and_b32_e32 v5, 0xffff0000, v5
	v_add3_u32 v9, v9, v4, s30
	v_or_b32_e32 v15, 0x400000, v4
	v_cmp_u_f32_e32 vcc, v4, v4
	v_add_f32_e32 v5, v5, v6
	v_and_b32_e32 v6, 0xffff0000, v8
	v_and_b32_e32 v7, 0xffff0000, v7
	v_cndmask_b32_e32 v4, v9, v15, vcc
	v_add_f32_e32 v6, v7, v6
	v_and_b32_e32 v2, 0xffff0000, v2
	v_and_b32_e32 v1, 0xffff0000, v1
	v_add_f32_e32 v5, v6, v5
	v_add_f32_e32 v1, v1, v2
	v_and_b32_e32 v2, 0xffff0000, v4
	v_and_b32_e32 v3, 0xffff0000, v3
	v_add_f32_e32 v1, v1, v5
	v_add_f32_e32 v2, v3, v2
	;; [unrolled: 1-line block ×4, first 2 shown]
.LBB310_135:                            ;   in Loop: Header=BB310_136 Depth=1
	s_or_b64 exec, exec, s[12:13]
	v_add_co_u32_e32 v13, vcc, 8, v13
	v_add_u32_e32 v20, 2, v20
	v_addc_co_u32_e32 v14, vcc, 0, v14, vcc
	v_cmp_le_i32_e32 vcc, s47, v20
	v_add_u32_e32 v21, 64, v21
	s_or_b64 s[6:7], vcc, s[6:7]
	v_add_u32_e32 v30, 0x100, v30
	s_andn2_b64 exec, exec, s[6:7]
	s_cbranch_execz .LBB310_237
.LBB310_136:                            ; =>This Inner Loop Header: Depth=1
	v_mul_hi_u32 v1, v21, s33
	v_mul_lo_u32 v2, v1, s25
	v_add_u32_e32 v3, 1, v1
	v_sub_u32_e32 v2, v21, v2
	v_cmp_le_u32_e32 vcc, s25, v2
	v_cndmask_b32_e32 v1, v1, v3, vcc
	v_subrev_u32_e32 v3, s25, v2
	v_cndmask_b32_e32 v2, v2, v3, vcc
	v_add_u32_e32 v3, 1, v1
	v_cmp_le_u32_e32 vcc, s25, v2
	v_cndmask_b32_e32 v1, v1, v3, vcc
	v_xor_b32_e32 v1, s46, v1
	v_subrev_u32_e32 v1, s46, v1
	v_add_u32_e32 v2, s36, v1
	v_sub_u32_e32 v3, 0, v2
	v_max_i32_e32 v3, v2, v3
	v_mul_hi_u32 v4, v3, v29
	v_ashrrev_i32_e32 v2, 31, v2
	v_cmp_lt_i32_e64 s[0:1], s37, v1
	v_mul_lo_u32 v4, v4, s22
	v_sub_u32_e32 v3, v3, v4
	v_subrev_u32_e32 v4, s22, v3
	v_cmp_le_u32_e32 vcc, s22, v3
	v_cndmask_b32_e32 v3, v3, v4, vcc
	v_subrev_u32_e32 v4, s22, v3
	v_cmp_le_u32_e32 vcc, s22, v3
	v_cndmask_b32_e32 v3, v3, v4, vcc
	v_xor_b32_e32 v3, v3, v2
	v_sub_u32_e32 v2, v3, v2
	v_cmp_eq_u32_e32 vcc, 0, v2
	s_or_b64 s[0:1], vcc, s[0:1]
	s_and_saveexec_b64 s[12:13], s[0:1]
	s_cbranch_execz .LBB310_135
; %bb.137:                              ;   in Loop: Header=BB310_136 Depth=1
	global_load_dword v1, v[13:14], off
	v_mov_b32_e32 v34, 0
	v_mov_b32_e32 v33, 0
	s_waitcnt vmcnt(0)
	v_mad_i64_i32 v[15:16], s[0:1], v1, s34, v[11:12]
	global_load_dwordx2 v[17:18], v[15:16], off
	ds_read2_b64 v[5:8], v30 offset1:1
	ds_read2_b64 v[1:4], v30 offset0:2 offset1:3
	s_load_dword s31, s[14:15], 0x0
	s_waitcnt vmcnt(0)
	v_cmp_ne_u16_sdwa s[16:17], v17, v10 src0_sel:BYTE_0 src1_sel:DWORD
	s_and_saveexec_b64 s[0:1], s[16:17]
	s_cbranch_execz .LBB310_143
; %bb.138:                              ;   in Loop: Header=BB310_136 Depth=1
	v_cmp_ne_u16_sdwa s[18:19], v17, s28 src0_sel:BYTE_0 src1_sel:DWORD
	v_bfrev_b32_e32 v33, 1
	s_and_saveexec_b64 s[16:17], s[18:19]
	s_cbranch_execz .LBB310_142
; %bb.139:                              ;   in Loop: Header=BB310_136 Depth=1
	v_and_b32_e32 v9, 0x7f, v17
	v_cmp_ne_u32_e32 vcc, s29, v9
	v_mov_b32_e32 v33, 0x7f800001
	s_and_saveexec_b64 s[18:19], vcc
	s_cbranch_execz .LBB310_141
; %bb.140:                              ;   in Loop: Header=BB310_136 Depth=1
	v_and_b32_e32 v19, 7, v17
	v_ffbh_u32_e32 v19, v19
	v_min_u32_e32 v19, 32, v19
	v_lshrrev_b32_e32 v32, 3, v9
	v_subrev_u32_e32 v33, 28, v19
	v_sub_u32_e32 v19, 29, v19
	v_cmp_gt_u32_e32 vcc, 8, v9
	v_cndmask_b32_e32 v9, v32, v19, vcc
	v_cndmask_b32_e32 v19, 0, v33, vcc
	v_lshlrev_b64 v[32:33], v19, v[17:18]
	v_lshl_add_u32 v9, v9, 23, v31
	v_lshlrev_b32_e32 v19, 20, v32
	v_lshlrev_b32_e32 v32, 24, v17
	v_and_b32_e32 v19, 0x700000, v19
	v_and_b32_e32 v32, 0x80000000, v32
	v_or3_b32 v33, v32, v9, v19
.LBB310_141:                            ;   in Loop: Header=BB310_136 Depth=1
	s_or_b64 exec, exec, s[18:19]
.LBB310_142:                            ;   in Loop: Header=BB310_136 Depth=1
	s_or_b64 exec, exec, s[16:17]
.LBB310_143:                            ;   in Loop: Header=BB310_136 Depth=1
	s_or_b64 exec, exec, s[0:1]
	v_lshrrev_b16_e32 v9, 8, v17
	v_cmp_ne_u16_e32 vcc, 0, v9
	s_and_saveexec_b64 s[0:1], vcc
	s_cbranch_execz .LBB310_149
; %bb.144:                              ;   in Loop: Header=BB310_136 Depth=1
	v_cmp_ne_u16_e32 vcc, s28, v9
	v_bfrev_b32_e32 v34, 1
	s_and_saveexec_b64 s[16:17], vcc
	s_cbranch_execz .LBB310_148
; %bb.145:                              ;   in Loop: Header=BB310_136 Depth=1
	v_and_b32_e32 v19, 0x7f, v9
	v_cmp_ne_u32_e32 vcc, s29, v19
	v_mov_b32_e32 v34, 0x7f800001
	s_and_saveexec_b64 s[18:19], vcc
	s_cbranch_execz .LBB310_147
; %bb.146:                              ;   in Loop: Header=BB310_136 Depth=1
	v_and_b32_e32 v32, 7, v9
	v_ffbh_u32_e32 v34, v32
	v_min_u32_e32 v37, 32, v34
	v_subrev_u32_e32 v34, 28, v37
	v_lshlrev_b64 v[34:35], v34, v[9:10]
	v_lshrrev_b32_e32 v36, 3, v19
	v_sub_u32_e32 v9, 29, v37
	v_and_b32_e32 v34, 7, v34
	v_cmp_gt_u32_e32 vcc, 8, v19
	v_cndmask_b32_e32 v9, v36, v9, vcc
	v_cndmask_b32_e32 v19, v32, v34, vcc
	v_lshlrev_b32_e32 v32, 16, v17
	v_lshlrev_b32_e32 v19, 20, v19
	v_and_b32_e32 v32, 0x80000000, v32
	v_lshl_add_u32 v9, v9, 23, v31
	v_or3_b32 v34, v32, v9, v19
.LBB310_147:                            ;   in Loop: Header=BB310_136 Depth=1
	s_or_b64 exec, exec, s[18:19]
.LBB310_148:                            ;   in Loop: Header=BB310_136 Depth=1
	s_or_b64 exec, exec, s[16:17]
.LBB310_149:                            ;   in Loop: Header=BB310_136 Depth=1
	s_or_b64 exec, exec, s[0:1]
	v_lshrrev_b32_e32 v9, 16, v17
	v_cmp_ne_u16_sdwa s[16:17], v9, v10 src0_sel:BYTE_0 src1_sel:DWORD
	v_mov_b32_e32 v32, 0
	v_mov_b32_e32 v35, 0
	s_and_saveexec_b64 s[0:1], s[16:17]
	s_cbranch_execz .LBB310_155
; %bb.150:                              ;   in Loop: Header=BB310_136 Depth=1
	v_cmp_ne_u16_sdwa s[18:19], v9, s28 src0_sel:BYTE_0 src1_sel:DWORD
	v_bfrev_b32_e32 v35, 1
	s_and_saveexec_b64 s[16:17], s[18:19]
	s_cbranch_execz .LBB310_154
; %bb.151:                              ;   in Loop: Header=BB310_136 Depth=1
	v_bfe_u32 v19, v17, 16, 7
	v_cmp_ne_u32_e32 vcc, s29, v19
	v_mov_b32_e32 v35, 0x7f800001
	s_and_saveexec_b64 s[18:19], vcc
	s_cbranch_execz .LBB310_153
; %bb.152:                              ;   in Loop: Header=BB310_136 Depth=1
	v_and_b32_e32 v37, 7, v9
	v_ffbh_u32_e32 v35, v37
	v_min_u32_e32 v39, 32, v35
	v_subrev_u32_e32 v35, 28, v39
	v_lshlrev_b64 v[35:36], v35, v[9:10]
	v_lshrrev_b32_e32 v38, 3, v19
	v_sub_u32_e32 v36, 29, v39
	v_and_b32_e32 v35, 7, v35
	v_cmp_gt_u32_e32 vcc, 8, v19
	v_cndmask_b32_e32 v19, v38, v36, vcc
	v_cndmask_b32_e32 v35, v37, v35, vcc
	v_lshlrev_b32_e32 v9, 24, v9
	v_lshlrev_b32_e32 v35, 20, v35
	v_and_b32_e32 v9, 0x80000000, v9
	v_lshl_add_u32 v19, v19, 23, v31
	v_or3_b32 v35, v9, v19, v35
.LBB310_153:                            ;   in Loop: Header=BB310_136 Depth=1
	s_or_b64 exec, exec, s[18:19]
.LBB310_154:                            ;   in Loop: Header=BB310_136 Depth=1
	s_or_b64 exec, exec, s[16:17]
.LBB310_155:                            ;   in Loop: Header=BB310_136 Depth=1
	s_or_b64 exec, exec, s[0:1]
	v_cmp_lt_u32_e32 vcc, s5, v17
	s_and_saveexec_b64 s[0:1], vcc
	s_cbranch_execz .LBB310_161
; %bb.156:                              ;   in Loop: Header=BB310_136 Depth=1
	v_lshrrev_b32_e32 v9, 24, v17
	v_cmp_ne_u32_e32 vcc, s28, v9
	v_bfrev_b32_e32 v32, 1
	s_and_saveexec_b64 s[16:17], vcc
	s_cbranch_execz .LBB310_160
; %bb.157:                              ;   in Loop: Header=BB310_136 Depth=1
	v_bfe_u32 v19, v17, 24, 7
	v_cmp_ne_u32_e32 vcc, s29, v19
	v_mov_b32_e32 v32, 0x7f800001
	s_and_saveexec_b64 s[18:19], vcc
	s_cbranch_execz .LBB310_159
; %bb.158:                              ;   in Loop: Header=BB310_136 Depth=1
	v_and_b32_e32 v32, 7, v9
	v_ffbh_u32_e32 v36, v32
	v_min_u32_e32 v39, 32, v36
	v_subrev_u32_e32 v36, 28, v39
	v_lshlrev_b64 v[36:37], v36, v[9:10]
	v_lshrrev_b32_e32 v38, 3, v19
	v_sub_u32_e32 v37, 29, v39
	v_and_b32_e32 v36, 7, v36
	v_cmp_gt_u32_e32 vcc, 8, v19
	v_cndmask_b32_e32 v19, v38, v37, vcc
	v_cndmask_b32_e32 v32, v32, v36, vcc
	v_lshlrev_b32_e32 v9, 24, v9
	v_lshlrev_b32_e32 v32, 20, v32
	v_and_b32_e32 v9, 0x80000000, v9
	v_lshl_add_u32 v19, v19, 23, v31
	v_or3_b32 v32, v9, v19, v32
.LBB310_159:                            ;   in Loop: Header=BB310_136 Depth=1
	s_or_b64 exec, exec, s[18:19]
.LBB310_160:                            ;   in Loop: Header=BB310_136 Depth=1
	s_or_b64 exec, exec, s[16:17]
.LBB310_161:                            ;   in Loop: Header=BB310_136 Depth=1
	s_or_b64 exec, exec, s[0:1]
	v_mov_b32_e32 v9, v18
	v_cmp_ne_u16_sdwa s[16:17], v18, v10 src0_sel:BYTE_0 src1_sel:DWORD
	v_mov_b32_e32 v37, 0
	v_mov_b32_e32 v36, 0
	s_and_saveexec_b64 s[0:1], s[16:17]
	s_cbranch_execz .LBB310_167
; %bb.162:                              ;   in Loop: Header=BB310_136 Depth=1
	v_cmp_ne_u16_sdwa s[18:19], v18, s28 src0_sel:BYTE_0 src1_sel:DWORD
	v_bfrev_b32_e32 v36, 1
	s_and_saveexec_b64 s[16:17], s[18:19]
	s_cbranch_execz .LBB310_166
; %bb.163:                              ;   in Loop: Header=BB310_136 Depth=1
	v_and_b32_e32 v19, 0x7f, v18
	v_cmp_ne_u32_e32 vcc, s29, v19
	v_mov_b32_e32 v36, 0x7f800001
	s_and_saveexec_b64 s[18:19], vcc
	s_cbranch_execz .LBB310_165
; %bb.164:                              ;   in Loop: Header=BB310_136 Depth=1
	v_and_b32_e32 v36, 7, v18
	v_ffbh_u32_e32 v36, v36
	v_min_u32_e32 v36, 32, v36
	v_lshrrev_b32_e32 v38, 3, v19
	v_subrev_u32_e32 v39, 28, v36
	v_sub_u32_e32 v36, 29, v36
	v_cmp_gt_u32_e32 vcc, 8, v19
	v_cndmask_b32_e32 v19, v38, v36, vcc
	v_cndmask_b32_e32 v36, 0, v39, vcc
	v_lshlrev_b64 v[38:39], v36, v[9:10]
	v_lshl_add_u32 v19, v19, 23, v31
	v_lshlrev_b32_e32 v36, 20, v38
	v_lshlrev_b32_e32 v38, 24, v9
	v_and_b32_e32 v36, 0x700000, v36
	v_and_b32_e32 v38, 0x80000000, v38
	v_or3_b32 v36, v38, v19, v36
.LBB310_165:                            ;   in Loop: Header=BB310_136 Depth=1
	s_or_b64 exec, exec, s[18:19]
.LBB310_166:                            ;   in Loop: Header=BB310_136 Depth=1
	s_or_b64 exec, exec, s[16:17]
.LBB310_167:                            ;   in Loop: Header=BB310_136 Depth=1
	s_or_b64 exec, exec, s[0:1]
	v_lshrrev_b16_e32 v19, 8, v9
	v_cmp_ne_u16_e32 vcc, 0, v19
	s_and_saveexec_b64 s[0:1], vcc
	s_cbranch_execz .LBB310_173
; %bb.168:                              ;   in Loop: Header=BB310_136 Depth=1
	v_cmp_ne_u16_e32 vcc, s28, v19
	v_bfrev_b32_e32 v37, 1
	s_and_saveexec_b64 s[16:17], vcc
	s_cbranch_execz .LBB310_172
; %bb.169:                              ;   in Loop: Header=BB310_136 Depth=1
	v_and_b32_e32 v38, 0x7f, v19
	v_cmp_ne_u32_e32 vcc, s29, v38
	v_mov_b32_e32 v37, 0x7f800001
	s_and_saveexec_b64 s[18:19], vcc
	s_cbranch_execz .LBB310_171
; %bb.170:                              ;   in Loop: Header=BB310_136 Depth=1
	v_and_b32_e32 v37, 7, v19
	v_ffbh_u32_e32 v39, v37
	v_min_u32_e32 v42, 32, v39
	v_subrev_u32_e32 v39, 28, v42
	v_lshlrev_b64 v[39:40], v39, v[19:20]
	v_lshrrev_b32_e32 v41, 3, v38
	v_sub_u32_e32 v19, 29, v42
	v_and_b32_e32 v39, 7, v39
	v_cmp_gt_u32_e32 vcc, 8, v38
	v_cndmask_b32_e32 v19, v41, v19, vcc
	v_cndmask_b32_e32 v37, v37, v39, vcc
	v_lshlrev_b32_e32 v9, 16, v9
	v_lshlrev_b32_e32 v37, 20, v37
	v_and_b32_e32 v9, 0x80000000, v9
	v_lshl_add_u32 v19, v19, 23, v31
	v_or3_b32 v37, v9, v19, v37
.LBB310_171:                            ;   in Loop: Header=BB310_136 Depth=1
	s_or_b64 exec, exec, s[18:19]
.LBB310_172:                            ;   in Loop: Header=BB310_136 Depth=1
	s_or_b64 exec, exec, s[16:17]
.LBB310_173:                            ;   in Loop: Header=BB310_136 Depth=1
	s_or_b64 exec, exec, s[0:1]
	v_lshrrev_b32_e32 v9, 16, v18
	v_cmp_ne_u16_sdwa s[16:17], v9, v10 src0_sel:BYTE_0 src1_sel:DWORD
	v_mov_b32_e32 v39, 0
	v_mov_b32_e32 v40, 0
	s_and_saveexec_b64 s[0:1], s[16:17]
	s_cbranch_execz .LBB310_179
; %bb.174:                              ;   in Loop: Header=BB310_136 Depth=1
	v_cmp_ne_u16_sdwa s[18:19], v9, s28 src0_sel:BYTE_0 src1_sel:DWORD
	v_bfrev_b32_e32 v40, 1
	s_and_saveexec_b64 s[16:17], s[18:19]
	s_cbranch_execz .LBB310_178
; %bb.175:                              ;   in Loop: Header=BB310_136 Depth=1
	v_bfe_u32 v19, v18, 16, 7
	v_cmp_ne_u32_e32 vcc, s29, v19
	v_mov_b32_e32 v40, 0x7f800001
	s_and_saveexec_b64 s[18:19], vcc
	s_cbranch_execz .LBB310_177
; %bb.176:                              ;   in Loop: Header=BB310_136 Depth=1
	v_and_b32_e32 v38, 7, v9
	v_ffbh_u32_e32 v40, v38
	v_min_u32_e32 v43, 32, v40
	v_subrev_u32_e32 v40, 28, v43
	v_lshlrev_b64 v[40:41], v40, v[9:10]
	v_lshrrev_b32_e32 v42, 3, v19
	v_sub_u32_e32 v41, 29, v43
	v_and_b32_e32 v40, 7, v40
	v_cmp_gt_u32_e32 vcc, 8, v19
	v_cndmask_b32_e32 v19, v42, v41, vcc
	v_cndmask_b32_e32 v38, v38, v40, vcc
	v_lshlrev_b32_e32 v9, 24, v9
	v_lshlrev_b32_e32 v38, 20, v38
	v_and_b32_e32 v9, 0x80000000, v9
	v_lshl_add_u32 v19, v19, 23, v31
	v_or3_b32 v40, v9, v19, v38
.LBB310_177:                            ;   in Loop: Header=BB310_136 Depth=1
	s_or_b64 exec, exec, s[18:19]
.LBB310_178:                            ;   in Loop: Header=BB310_136 Depth=1
	s_or_b64 exec, exec, s[16:17]
.LBB310_179:                            ;   in Loop: Header=BB310_136 Depth=1
	s_or_b64 exec, exec, s[0:1]
	v_cmp_lt_u64_e32 vcc, s[4:5], v[17:18]
	s_and_saveexec_b64 s[0:1], vcc
	s_cbranch_execz .LBB310_185
; %bb.180:                              ;   in Loop: Header=BB310_136 Depth=1
	v_lshrrev_b32_e32 v9, 24, v18
	v_cmp_ne_u32_e32 vcc, s28, v9
	v_bfrev_b32_e32 v39, 1
	s_and_saveexec_b64 s[16:17], vcc
	s_cbranch_execz .LBB310_184
; %bb.181:                              ;   in Loop: Header=BB310_136 Depth=1
	v_bfe_u32 v17, v18, 24, 7
	v_cmp_ne_u32_e32 vcc, s29, v17
	v_mov_b32_e32 v39, 0x7f800001
	s_and_saveexec_b64 s[18:19], vcc
	s_cbranch_execz .LBB310_183
; %bb.182:                              ;   in Loop: Header=BB310_136 Depth=1
	v_and_b32_e32 v38, 7, v9
	v_ffbh_u32_e32 v18, v38
	v_min_u32_e32 v41, 32, v18
	v_subrev_u32_e32 v18, 28, v41
	v_lshlrev_b64 v[18:19], v18, v[9:10]
	v_lshrrev_b32_e32 v39, 3, v17
	v_sub_u32_e32 v19, 29, v41
	v_and_b32_e32 v18, 7, v18
	v_cmp_gt_u32_e32 vcc, 8, v17
	v_cndmask_b32_e32 v17, v39, v19, vcc
	v_cndmask_b32_e32 v18, v38, v18, vcc
	v_lshlrev_b32_e32 v9, 24, v9
	v_lshlrev_b32_e32 v18, 20, v18
	v_and_b32_e32 v9, 0x80000000, v9
	v_lshl_add_u32 v17, v17, 23, v31
	v_or3_b32 v39, v9, v17, v18
.LBB310_183:                            ;   in Loop: Header=BB310_136 Depth=1
	s_or_b64 exec, exec, s[18:19]
.LBB310_184:                            ;   in Loop: Header=BB310_136 Depth=1
	s_or_b64 exec, exec, s[16:17]
.LBB310_185:                            ;   in Loop: Header=BB310_136 Depth=1
	s_or_b64 exec, exec, s[0:1]
	s_waitcnt lgkmcnt(0)
	v_mul_f32_e32 v9, s31, v37
	v_bfe_u32 v17, v9, 16, 1
	v_add3_u32 v17, v17, v9, s30
	v_or_b32_e32 v18, 0x400000, v9
	v_cmp_u_f32_e64 s[0:1], v9, v9
	v_cndmask_b32_e64 v9, v17, v18, s[0:1]
	v_lshrrev_b32_e32 v18, 16, v9
	v_mul_f32_e32 v9, s31, v36
	v_bfe_u32 v17, v9, 16, 1
	v_add3_u32 v17, v17, v9, s30
	v_or_b32_e32 v19, 0x400000, v9
	v_cmp_u_f32_e64 s[0:1], v9, v9
	v_cndmask_b32_e64 v9, v17, v19, s[0:1]
	v_lshrrev_b32_e32 v19, 16, v9
	;; [unrolled: 7-line block ×7, first 2 shown]
	v_mul_f32_e32 v9, s31, v39
	v_bfe_u32 v17, v9, 16, 1
	v_add3_u32 v17, v17, v9, s30
	v_or_b32_e32 v33, 0x400000, v9
	v_cmp_u_f32_e64 s[0:1], v9, v9
	v_add_u32_e32 v38, v26, v21
	v_cndmask_b32_e64 v9, v17, v33, s[0:1]
	v_cmp_eq_u32_e32 vcc, s35, v20
	v_lshrrev_b32_e32 v33, 16, v9
	v_add_u32_e32 v45, 1, v38
	v_add_u32_e32 v44, 2, v38
	;; [unrolled: 1-line block ×7, first 2 shown]
	s_and_saveexec_b64 s[16:17], vcc
	s_cbranch_execz .LBB310_187
; %bb.186:                              ;   in Loop: Header=BB310_136 Depth=1
	v_cmp_gt_i32_e64 s[0:1], s11, v38
	v_cndmask_b32_e64 v37, 0, v37, s[0:1]
	v_cmp_gt_i32_e64 s[0:1], s11, v45
	v_cndmask_b32_e64 v36, 0, v36, s[0:1]
	v_cmp_gt_i32_e64 s[0:1], s11, v44
	v_cndmask_b32_e64 v35, 0, v35, s[0:1]
	v_cmp_gt_i32_e64 s[0:1], s11, v43
	v_cndmask_b32_e64 v32, 0, v32, s[0:1]
	v_cmp_gt_i32_e64 s[0:1], s11, v42
	v_cndmask_b32_e64 v19, 0, v19, s[0:1]
	v_cmp_gt_i32_e64 s[0:1], s11, v41
	v_cndmask_b32_e64 v18, 0, v18, s[0:1]
	v_cmp_gt_i32_e64 s[0:1], s11, v40
	v_cndmask_b32_e64 v34, 0, v34, s[0:1]
	v_cmp_gt_i32_e64 s[0:1], s11, v39
	v_cndmask_b32_e64 v33, 0, v33, s[0:1]
.LBB310_187:                            ;   in Loop: Header=BB310_136 Depth=1
	s_or_b64 exec, exec, s[16:17]
	global_load_dwordx2 v[15:16], v[15:16], off offset:512
	v_mov_b32_e32 v47, 0
	v_mov_b32_e32 v46, 0
	s_waitcnt vmcnt(0)
	v_cmp_ne_u16_sdwa s[0:1], v15, v10 src0_sel:BYTE_0 src1_sel:DWORD
	s_and_saveexec_b64 s[16:17], s[0:1]
	s_cbranch_execz .LBB310_193
; %bb.188:                              ;   in Loop: Header=BB310_136 Depth=1
	v_cmp_ne_u16_sdwa s[0:1], v15, s28 src0_sel:BYTE_0 src1_sel:DWORD
	v_bfrev_b32_e32 v46, 1
	s_and_saveexec_b64 s[18:19], s[0:1]
	s_cbranch_execz .LBB310_192
; %bb.189:                              ;   in Loop: Header=BB310_136 Depth=1
	v_and_b32_e32 v9, 0x7f, v15
	v_cmp_ne_u32_e64 s[0:1], s29, v9
	v_mov_b32_e32 v46, 0x7f800001
	s_and_saveexec_b64 s[20:21], s[0:1]
	s_cbranch_execz .LBB310_191
; %bb.190:                              ;   in Loop: Header=BB310_136 Depth=1
	v_and_b32_e32 v17, 7, v15
	v_ffbh_u32_e32 v17, v17
	v_min_u32_e32 v17, 32, v17
	v_lshrrev_b32_e32 v46, 3, v9
	v_subrev_u32_e32 v48, 28, v17
	v_sub_u32_e32 v17, 29, v17
	v_cmp_gt_u32_e64 s[0:1], 8, v9
	v_cndmask_b32_e64 v9, v46, v17, s[0:1]
	v_cndmask_b32_e64 v17, 0, v48, s[0:1]
	v_lshlrev_b64 v[48:49], v17, v[15:16]
	v_lshlrev_b32_e32 v46, 24, v15
	v_lshlrev_b32_e32 v17, 20, v48
	v_and_b32_e32 v17, 0x700000, v17
	v_and_b32_e32 v46, 0x80000000, v46
	v_lshl_add_u32 v9, v9, 23, v31
	v_or3_b32 v46, v46, v9, v17
.LBB310_191:                            ;   in Loop: Header=BB310_136 Depth=1
	s_or_b64 exec, exec, s[20:21]
.LBB310_192:                            ;   in Loop: Header=BB310_136 Depth=1
	s_or_b64 exec, exec, s[18:19]
.LBB310_193:                            ;   in Loop: Header=BB310_136 Depth=1
	s_or_b64 exec, exec, s[16:17]
	v_lshrrev_b16_e32 v9, 8, v15
	v_cmp_ne_u16_e64 s[0:1], 0, v9
	s_and_saveexec_b64 s[16:17], s[0:1]
	s_cbranch_execz .LBB310_199
; %bb.194:                              ;   in Loop: Header=BB310_136 Depth=1
	v_cmp_ne_u16_e64 s[0:1], s28, v9
	v_bfrev_b32_e32 v47, 1
	s_and_saveexec_b64 s[18:19], s[0:1]
	s_cbranch_execz .LBB310_198
; %bb.195:                              ;   in Loop: Header=BB310_136 Depth=1
	v_and_b32_e32 v17, 0x7f, v9
	v_cmp_ne_u32_e64 s[0:1], s29, v17
	v_mov_b32_e32 v47, 0x7f800001
	s_and_saveexec_b64 s[20:21], s[0:1]
	s_cbranch_execz .LBB310_197
; %bb.196:                              ;   in Loop: Header=BB310_136 Depth=1
	v_and_b32_e32 v49, 7, v9
	v_ffbh_u32_e32 v47, v49
	v_min_u32_e32 v51, 32, v47
	v_subrev_u32_e32 v47, 28, v51
	v_lshlrev_b64 v[47:48], v47, v[9:10]
	v_lshrrev_b32_e32 v50, 3, v17
	v_sub_u32_e32 v9, 29, v51
	v_and_b32_e32 v47, 7, v47
	v_cmp_gt_u32_e64 s[0:1], 8, v17
	v_cndmask_b32_e64 v9, v50, v9, s[0:1]
	v_cndmask_b32_e64 v17, v49, v47, s[0:1]
	v_lshlrev_b32_e32 v47, 16, v15
	v_lshlrev_b32_e32 v17, 20, v17
	v_and_b32_e32 v47, 0x80000000, v47
	v_lshl_add_u32 v9, v9, 23, v31
	v_or3_b32 v47, v47, v9, v17
.LBB310_197:                            ;   in Loop: Header=BB310_136 Depth=1
	s_or_b64 exec, exec, s[20:21]
.LBB310_198:                            ;   in Loop: Header=BB310_136 Depth=1
	s_or_b64 exec, exec, s[18:19]
.LBB310_199:                            ;   in Loop: Header=BB310_136 Depth=1
	s_or_b64 exec, exec, s[16:17]
	v_lshrrev_b32_e32 v9, 16, v15
	v_cmp_ne_u16_sdwa s[0:1], v9, v10 src0_sel:BYTE_0 src1_sel:DWORD
	v_mov_b32_e32 v49, 0
	v_mov_b32_e32 v48, 0
	s_and_saveexec_b64 s[16:17], s[0:1]
	s_cbranch_execz .LBB310_205
; %bb.200:                              ;   in Loop: Header=BB310_136 Depth=1
	v_cmp_ne_u16_sdwa s[0:1], v9, s28 src0_sel:BYTE_0 src1_sel:DWORD
	v_bfrev_b32_e32 v48, 1
	s_and_saveexec_b64 s[18:19], s[0:1]
	s_cbranch_execz .LBB310_204
; %bb.201:                              ;   in Loop: Header=BB310_136 Depth=1
	v_bfe_u32 v17, v15, 16, 7
	v_cmp_ne_u32_e64 s[0:1], s29, v17
	v_mov_b32_e32 v48, 0x7f800001
	s_and_saveexec_b64 s[20:21], s[0:1]
	s_cbranch_execz .LBB310_203
; %bb.202:                              ;   in Loop: Header=BB310_136 Depth=1
	v_and_b32_e32 v48, 7, v9
	v_ffbh_u32_e32 v50, v48
	v_min_u32_e32 v53, 32, v50
	v_subrev_u32_e32 v50, 28, v53
	v_lshlrev_b64 v[50:51], v50, v[9:10]
	v_lshrrev_b32_e32 v52, 3, v17
	v_sub_u32_e32 v51, 29, v53
	v_and_b32_e32 v50, 7, v50
	v_cmp_gt_u32_e64 s[0:1], 8, v17
	v_cndmask_b32_e64 v17, v52, v51, s[0:1]
	v_cndmask_b32_e64 v48, v48, v50, s[0:1]
	v_lshlrev_b32_e32 v9, 24, v9
	v_lshlrev_b32_e32 v48, 20, v48
	v_and_b32_e32 v9, 0x80000000, v9
	v_lshl_add_u32 v17, v17, 23, v31
	v_or3_b32 v48, v9, v17, v48
.LBB310_203:                            ;   in Loop: Header=BB310_136 Depth=1
	s_or_b64 exec, exec, s[20:21]
.LBB310_204:                            ;   in Loop: Header=BB310_136 Depth=1
	s_or_b64 exec, exec, s[18:19]
.LBB310_205:                            ;   in Loop: Header=BB310_136 Depth=1
	s_or_b64 exec, exec, s[16:17]
	v_cmp_lt_u32_e64 s[0:1], s5, v15
	s_and_saveexec_b64 s[16:17], s[0:1]
	s_cbranch_execz .LBB310_211
; %bb.206:                              ;   in Loop: Header=BB310_136 Depth=1
	v_lshrrev_b32_e32 v9, 24, v15
	v_cmp_ne_u32_e64 s[0:1], s28, v9
	v_bfrev_b32_e32 v49, 1
	s_and_saveexec_b64 s[18:19], s[0:1]
	s_cbranch_execz .LBB310_210
; %bb.207:                              ;   in Loop: Header=BB310_136 Depth=1
	v_bfe_u32 v17, v15, 24, 7
	v_cmp_ne_u32_e64 s[0:1], s29, v17
	v_mov_b32_e32 v49, 0x7f800001
	s_and_saveexec_b64 s[20:21], s[0:1]
	s_cbranch_execz .LBB310_209
; %bb.208:                              ;   in Loop: Header=BB310_136 Depth=1
	v_and_b32_e32 v51, 7, v9
	v_ffbh_u32_e32 v49, v51
	v_min_u32_e32 v53, 32, v49
	v_subrev_u32_e32 v49, 28, v53
	v_lshlrev_b64 v[49:50], v49, v[9:10]
	v_lshrrev_b32_e32 v52, 3, v17
	v_sub_u32_e32 v50, 29, v53
	v_and_b32_e32 v49, 7, v49
	v_cmp_gt_u32_e64 s[0:1], 8, v17
	v_cndmask_b32_e64 v17, v52, v50, s[0:1]
	v_cndmask_b32_e64 v49, v51, v49, s[0:1]
	v_lshlrev_b32_e32 v9, 24, v9
	v_lshlrev_b32_e32 v49, 20, v49
	v_and_b32_e32 v9, 0x80000000, v9
	v_lshl_add_u32 v17, v17, 23, v31
	v_or3_b32 v49, v9, v17, v49
.LBB310_209:                            ;   in Loop: Header=BB310_136 Depth=1
	s_or_b64 exec, exec, s[20:21]
.LBB310_210:                            ;   in Loop: Header=BB310_136 Depth=1
	s_or_b64 exec, exec, s[18:19]
.LBB310_211:                            ;   in Loop: Header=BB310_136 Depth=1
	s_or_b64 exec, exec, s[16:17]
	v_mov_b32_e32 v9, v16
	v_cmp_ne_u16_sdwa s[0:1], v16, v10 src0_sel:BYTE_0 src1_sel:DWORD
	v_mov_b32_e32 v51, 0
	v_mov_b32_e32 v50, 0
	s_and_saveexec_b64 s[16:17], s[0:1]
	s_cbranch_execz .LBB310_217
; %bb.212:                              ;   in Loop: Header=BB310_136 Depth=1
	v_cmp_ne_u16_sdwa s[0:1], v16, s28 src0_sel:BYTE_0 src1_sel:DWORD
	v_bfrev_b32_e32 v50, 1
	s_and_saveexec_b64 s[18:19], s[0:1]
	s_cbranch_execz .LBB310_216
; %bb.213:                              ;   in Loop: Header=BB310_136 Depth=1
	v_and_b32_e32 v17, 0x7f, v16
	v_cmp_ne_u32_e64 s[0:1], s29, v17
	v_mov_b32_e32 v50, 0x7f800001
	s_and_saveexec_b64 s[20:21], s[0:1]
	s_cbranch_execz .LBB310_215
; %bb.214:                              ;   in Loop: Header=BB310_136 Depth=1
	v_and_b32_e32 v50, 7, v16
	v_ffbh_u32_e32 v50, v50
	v_min_u32_e32 v50, 32, v50
	v_lshrrev_b32_e32 v52, 3, v17
	v_subrev_u32_e32 v53, 28, v50
	v_sub_u32_e32 v50, 29, v50
	v_cmp_gt_u32_e64 s[0:1], 8, v17
	v_cndmask_b32_e64 v17, v52, v50, s[0:1]
	v_cndmask_b32_e64 v50, 0, v53, s[0:1]
	v_lshlrev_b64 v[52:53], v50, v[9:10]
	v_lshl_add_u32 v17, v17, 23, v31
	v_lshlrev_b32_e32 v50, 20, v52
	v_lshlrev_b32_e32 v52, 24, v9
	v_and_b32_e32 v50, 0x700000, v50
	v_and_b32_e32 v52, 0x80000000, v52
	v_or3_b32 v50, v52, v17, v50
.LBB310_215:                            ;   in Loop: Header=BB310_136 Depth=1
	s_or_b64 exec, exec, s[20:21]
.LBB310_216:                            ;   in Loop: Header=BB310_136 Depth=1
	s_or_b64 exec, exec, s[18:19]
.LBB310_217:                            ;   in Loop: Header=BB310_136 Depth=1
	s_or_b64 exec, exec, s[16:17]
	v_lshrrev_b16_e32 v17, 8, v9
	v_cmp_ne_u16_e64 s[0:1], 0, v17
	s_and_saveexec_b64 s[16:17], s[0:1]
	s_cbranch_execz .LBB310_223
; %bb.218:                              ;   in Loop: Header=BB310_136 Depth=1
	v_cmp_ne_u16_e64 s[0:1], s28, v17
	v_bfrev_b32_e32 v51, 1
	s_and_saveexec_b64 s[18:19], s[0:1]
	s_cbranch_execz .LBB310_222
; %bb.219:                              ;   in Loop: Header=BB310_136 Depth=1
	v_and_b32_e32 v52, 0x7f, v17
	v_cmp_ne_u32_e64 s[0:1], s29, v52
	v_mov_b32_e32 v51, 0x7f800001
	s_and_saveexec_b64 s[20:21], s[0:1]
	s_cbranch_execz .LBB310_221
; %bb.220:                              ;   in Loop: Header=BB310_136 Depth=1
	v_and_b32_e32 v51, 7, v17
	v_ffbh_u32_e32 v53, v51
	v_min_u32_e32 v56, 32, v53
	v_subrev_u32_e32 v53, 28, v56
	v_lshlrev_b64 v[53:54], v53, v[17:18]
	v_lshrrev_b32_e32 v55, 3, v52
	v_sub_u32_e32 v17, 29, v56
	v_and_b32_e32 v53, 7, v53
	v_cmp_gt_u32_e64 s[0:1], 8, v52
	v_cndmask_b32_e64 v17, v55, v17, s[0:1]
	v_cndmask_b32_e64 v51, v51, v53, s[0:1]
	v_lshlrev_b32_e32 v9, 16, v9
	v_lshlrev_b32_e32 v51, 20, v51
	v_and_b32_e32 v9, 0x80000000, v9
	v_lshl_add_u32 v17, v17, 23, v31
	v_or3_b32 v51, v9, v17, v51
.LBB310_221:                            ;   in Loop: Header=BB310_136 Depth=1
	s_or_b64 exec, exec, s[20:21]
.LBB310_222:                            ;   in Loop: Header=BB310_136 Depth=1
	s_or_b64 exec, exec, s[18:19]
.LBB310_223:                            ;   in Loop: Header=BB310_136 Depth=1
	s_or_b64 exec, exec, s[16:17]
	v_lshrrev_b32_e32 v9, 16, v16
	v_cmp_ne_u16_sdwa s[0:1], v9, v10 src0_sel:BYTE_0 src1_sel:DWORD
	v_mov_b32_e32 v52, 0
	v_mov_b32_e32 v17, 0
	s_and_saveexec_b64 s[16:17], s[0:1]
	s_cbranch_execz .LBB310_229
; %bb.224:                              ;   in Loop: Header=BB310_136 Depth=1
	v_cmp_ne_u16_sdwa s[0:1], v9, s28 src0_sel:BYTE_0 src1_sel:DWORD
	v_bfrev_b32_e32 v17, 1
	s_and_saveexec_b64 s[18:19], s[0:1]
	s_cbranch_execz .LBB310_228
; %bb.225:                              ;   in Loop: Header=BB310_136 Depth=1
	v_bfe_u32 v53, v16, 16, 7
	v_cmp_ne_u32_e64 s[0:1], s29, v53
	v_mov_b32_e32 v17, 0x7f800001
	s_and_saveexec_b64 s[20:21], s[0:1]
	s_cbranch_execz .LBB310_227
; %bb.226:                              ;   in Loop: Header=BB310_136 Depth=1
	v_and_b32_e32 v17, 7, v9
	v_ffbh_u32_e32 v54, v17
	v_min_u32_e32 v57, 32, v54
	v_subrev_u32_e32 v54, 28, v57
	v_lshlrev_b64 v[54:55], v54, v[9:10]
	v_lshrrev_b32_e32 v56, 3, v53
	v_sub_u32_e32 v55, 29, v57
	v_and_b32_e32 v54, 7, v54
	v_cmp_gt_u32_e64 s[0:1], 8, v53
	v_cndmask_b32_e64 v53, v56, v55, s[0:1]
	v_cndmask_b32_e64 v17, v17, v54, s[0:1]
	v_lshlrev_b32_e32 v9, 24, v9
	v_lshlrev_b32_e32 v17, 20, v17
	v_and_b32_e32 v9, 0x80000000, v9
	v_lshl_add_u32 v53, v53, 23, v31
	v_or3_b32 v17, v9, v53, v17
.LBB310_227:                            ;   in Loop: Header=BB310_136 Depth=1
	s_or_b64 exec, exec, s[20:21]
.LBB310_228:                            ;   in Loop: Header=BB310_136 Depth=1
	s_or_b64 exec, exec, s[18:19]
.LBB310_229:                            ;   in Loop: Header=BB310_136 Depth=1
	s_or_b64 exec, exec, s[16:17]
	v_cmp_lt_u64_e64 s[0:1], s[4:5], v[15:16]
	s_and_saveexec_b64 s[16:17], s[0:1]
	s_cbranch_execz .LBB310_235
; %bb.230:                              ;   in Loop: Header=BB310_136 Depth=1
	v_lshrrev_b32_e32 v9, 24, v16
	v_cmp_ne_u32_e64 s[0:1], s28, v9
	v_bfrev_b32_e32 v52, 1
	s_and_saveexec_b64 s[18:19], s[0:1]
	s_cbranch_execz .LBB310_234
; %bb.231:                              ;   in Loop: Header=BB310_136 Depth=1
	v_bfe_u32 v15, v16, 24, 7
	v_cmp_ne_u32_e64 s[0:1], s29, v15
	v_mov_b32_e32 v52, 0x7f800001
	s_and_saveexec_b64 s[20:21], s[0:1]
	s_cbranch_execz .LBB310_233
; %bb.232:                              ;   in Loop: Header=BB310_136 Depth=1
	v_and_b32_e32 v16, 7, v9
	v_ffbh_u32_e32 v52, v16
	v_min_u32_e32 v55, 32, v52
	v_subrev_u32_e32 v52, 28, v55
	v_lshlrev_b64 v[52:53], v52, v[9:10]
	v_lshrrev_b32_e32 v54, 3, v15
	v_sub_u32_e32 v53, 29, v55
	v_and_b32_e32 v52, 7, v52
	v_cmp_gt_u32_e64 s[0:1], 8, v15
	v_cndmask_b32_e64 v15, v54, v53, s[0:1]
	v_cndmask_b32_e64 v16, v16, v52, s[0:1]
	v_lshlrev_b32_e32 v9, 24, v9
	v_lshlrev_b32_e32 v16, 20, v16
	v_and_b32_e32 v9, 0x80000000, v9
	v_lshl_add_u32 v15, v15, 23, v31
	v_or3_b32 v52, v9, v15, v16
.LBB310_233:                            ;   in Loop: Header=BB310_136 Depth=1
	s_or_b64 exec, exec, s[20:21]
.LBB310_234:                            ;   in Loop: Header=BB310_136 Depth=1
	s_or_b64 exec, exec, s[18:19]
.LBB310_235:                            ;   in Loop: Header=BB310_136 Depth=1
	s_or_b64 exec, exec, s[16:17]
	v_mul_f32_e32 v9, s31, v51
	v_bfe_u32 v15, v9, 16, 1
	v_add3_u32 v15, v15, v9, s30
	v_or_b32_e32 v16, 0x400000, v9
	v_cmp_u_f32_e64 s[0:1], v9, v9
	v_cndmask_b32_e64 v9, v15, v16, s[0:1]
	v_mul_f32_e32 v15, s31, v50
	v_bfe_u32 v16, v15, 16, 1
	v_add3_u32 v16, v16, v15, s30
	v_or_b32_e32 v50, 0x400000, v15
	v_cmp_u_f32_e64 s[0:1], v15, v15
	v_cndmask_b32_e64 v15, v16, v50, s[0:1]
	v_mul_f32_e32 v16, s31, v49
	v_bfe_u32 v49, v16, 16, 1
	v_add3_u32 v49, v49, v16, s30
	v_or_b32_e32 v50, 0x400000, v16
	v_cmp_u_f32_e64 s[0:1], v16, v16
	v_mul_f32_e32 v48, s31, v48
	v_cndmask_b32_e64 v16, v49, v50, s[0:1]
	v_bfe_u32 v49, v48, 16, 1
	v_add3_u32 v49, v49, v48, s30
	v_or_b32_e32 v50, 0x400000, v48
	v_cmp_u_f32_e64 s[0:1], v48, v48
	v_mul_f32_e32 v47, s31, v47
	v_cndmask_b32_e64 v48, v49, v50, s[0:1]
	;; [unrolled: 6-line block ×3, first 2 shown]
	v_bfe_u32 v49, v46, 16, 1
	v_add3_u32 v49, v49, v46, s30
	v_or_b32_e32 v50, 0x400000, v46
	v_cmp_u_f32_e64 s[0:1], v46, v46
	v_cndmask_b32_e64 v46, v49, v50, s[0:1]
	v_mul_f32_e32 v17, s31, v17
	v_lshrrev_b32_e32 v49, 16, v46
	v_bfe_u32 v46, v17, 16, 1
	v_add3_u32 v46, v46, v17, s30
	v_or_b32_e32 v50, 0x400000, v17
	v_cmp_u_f32_e64 s[0:1], v17, v17
	v_cndmask_b32_e64 v17, v46, v50, s[0:1]
	v_mul_f32_e32 v46, s31, v52
	v_bfe_u32 v50, v46, 16, 1
	v_add3_u32 v50, v50, v46, s30
	v_or_b32_e32 v51, 0x400000, v46
	v_cmp_u_f32_e64 s[0:1], v46, v46
	v_cndmask_b32_e64 v46, v50, v51, s[0:1]
	v_lshrrev_b32_e32 v9, 16, v9
	v_lshrrev_b32_e32 v15, 16, v15
	;; [unrolled: 1-line block ×7, first 2 shown]
	s_and_saveexec_b64 s[0:1], vcc
	s_cbranch_execz .LBB310_134
; %bb.236:                              ;   in Loop: Header=BB310_136 Depth=1
	v_cmp_gt_i32_e32 vcc, s11, v38
	v_cndmask_b32_e32 v49, 0, v49, vcc
	v_cmp_gt_i32_e32 vcc, s11, v45
	v_cndmask_b32_e32 v47, 0, v47, vcc
	;; [unrolled: 2-line block ×8, first 2 shown]
	s_branch .LBB310_134
.LBB310_237:
	s_or_b64 exec, exec, s[6:7]
.LBB310_238:
	s_or_b64 exec, exec, s[2:3]
	ds_bpermute_b32 v1, v23, v28
	ds_bpermute_b32 v2, v23, v27
	v_and_b32_e32 v3, 0x3c3, v0
	v_cmp_eq_u32_e32 vcc, 64, v3
	s_waitcnt lgkmcnt(0)
	v_add_f32_e32 v1, v28, v1
	v_add_f32_e32 v4, v27, v2
	ds_bpermute_b32 v2, v24, v1
	ds_bpermute_b32 v5, v24, v4
	s_waitcnt lgkmcnt(0)
	s_barrier
	v_add_f32_e32 v2, v1, v2
	v_add_f32_e32 v1, v4, v5
	s_and_saveexec_b64 s[0:1], vcc
; %bb.239:
	v_add_u32_e32 v4, 0x50, v22
	ds_write2_b32 v4, v2, v1 offset1:16
; %bb.240:
	s_or_b64 exec, exec, s[0:1]
	v_cmp_gt_u32_e32 vcc, 64, v0
	v_lshrrev_b32_e32 v0, 2, v0
	s_waitcnt lgkmcnt(0)
	s_barrier
	s_and_saveexec_b64 s[0:1], vcc
	s_cbranch_execz .LBB310_246
; %bb.241:
	v_mov_b32_e32 v4, 0x50
	v_cmp_eq_u32_e32 vcc, 0, v25
	v_lshl_add_u32 v4, v0, 2, v4
	s_and_saveexec_b64 s[2:3], vcc
	s_cbranch_execz .LBB310_243
; %bb.242:
	ds_read_b32 v5, v4
	s_waitcnt lgkmcnt(0)
	v_add_f32_e32 v2, v2, v5
.LBB310_243:
	s_or_b64 exec, exec, s[2:3]
	s_and_saveexec_b64 s[2:3], vcc
	s_cbranch_execz .LBB310_245
; %bb.244:
	ds_read_b32 v4, v4 offset:64
	s_waitcnt lgkmcnt(0)
	v_add_f32_e32 v1, v1, v4
.LBB310_245:
	s_or_b64 exec, exec, s[2:3]
.LBB310_246:
	s_or_b64 exec, exec, s[0:1]
	v_cmp_eq_u32_e32 vcc, 0, v3
	s_barrier
	s_and_saveexec_b64 s[0:1], vcc
	s_cbranch_execz .LBB310_248
; %bb.247:
	s_mul_i32 s0, s10, s23
	s_mul_i32 s0, s0, s9
	s_lshl_b32 s0, s0, 5
	s_ashr_i32 s1, s0, 31
	s_lshl_b64 s[0:1], s[0:1], 1
	s_add_u32 s2, s26, s0
	s_mul_i32 s0, s23, s24
	s_addc_u32 s3, s27, s1
	s_ashr_i32 s1, s0, 31
	s_lshl_b64 s[0:1], s[0:1], 1
	s_add_u32 s2, s2, s0
	s_addc_u32 s3, s3, s1
	s_lshl_b32 s0, s8, 5
	s_ashr_i32 s1, s0, 31
	s_lshl_b64 s[0:1], s[0:1], 1
	s_add_u32 s0, s2, s0
	v_bfe_u32 v3, v2, 16, 1
	s_movk_i32 s2, 0x7fff
	v_add3_u32 v3, v3, v2, s2
	v_or_b32_e32 v4, 0x400000, v2
	v_cmp_u_f32_e32 vcc, v2, v2
	s_addc_u32 s1, s3, s1
	v_cndmask_b32_e32 v2, v3, v4, vcc
	v_lshlrev_b32_e32 v0, 1, v0
	global_store_short_d16_hi v0, v2, s[0:1]
	v_bfe_u32 v2, v1, 16, 1
	v_add3_u32 v2, v2, v1, s2
	v_or_b32_e32 v3, 0x400000, v1
	v_cmp_u_f32_e32 vcc, v1, v1
	v_cndmask_b32_e32 v1, v2, v3, vcc
	global_store_short_d16_hi v0, v1, s[0:1] offset:32
.LBB310_248:
	s_endpgm
	.section	.rodata,"a",@progbits
	.p2align	6, 0x0
	.amdhsa_kernel _ZN4vllm25paged_attention_v1_kernelI14__hip_bfloat16hLi32ELi32ELi128ELNS_18Fp8KVCacheDataTypeE1ELb1EEEvPT_PKS3_PKT0_S9_ifPKiSB_iPKfiiiSD_SD_iiiii
		.amdhsa_group_segment_fixed_size 80
		.amdhsa_private_segment_fixed_size 0
		.amdhsa_kernarg_size 384
		.amdhsa_user_sgpr_count 6
		.amdhsa_user_sgpr_private_segment_buffer 1
		.amdhsa_user_sgpr_dispatch_ptr 0
		.amdhsa_user_sgpr_queue_ptr 0
		.amdhsa_user_sgpr_kernarg_segment_ptr 1
		.amdhsa_user_sgpr_dispatch_id 0
		.amdhsa_user_sgpr_flat_scratch_init 0
		.amdhsa_user_sgpr_private_segment_size 0
		.amdhsa_uses_dynamic_stack 0
		.amdhsa_system_sgpr_private_segment_wavefront_offset 0
		.amdhsa_system_sgpr_workgroup_id_x 1
		.amdhsa_system_sgpr_workgroup_id_y 1
		.amdhsa_system_sgpr_workgroup_id_z 1
		.amdhsa_system_sgpr_workgroup_info 0
		.amdhsa_system_vgpr_workitem_id 0
		.amdhsa_next_free_vgpr 58
		.amdhsa_next_free_sgpr 57
		.amdhsa_reserve_vcc 1
		.amdhsa_reserve_flat_scratch 0
		.amdhsa_float_round_mode_32 0
		.amdhsa_float_round_mode_16_64 0
		.amdhsa_float_denorm_mode_32 3
		.amdhsa_float_denorm_mode_16_64 3
		.amdhsa_dx10_clamp 1
		.amdhsa_ieee_mode 1
		.amdhsa_fp16_overflow 0
		.amdhsa_exception_fp_ieee_invalid_op 0
		.amdhsa_exception_fp_denorm_src 0
		.amdhsa_exception_fp_ieee_div_zero 0
		.amdhsa_exception_fp_ieee_overflow 0
		.amdhsa_exception_fp_ieee_underflow 0
		.amdhsa_exception_fp_ieee_inexact 0
		.amdhsa_exception_int_div_zero 0
	.end_amdhsa_kernel
	.section	.text._ZN4vllm25paged_attention_v1_kernelI14__hip_bfloat16hLi32ELi32ELi128ELNS_18Fp8KVCacheDataTypeE1ELb1EEEvPT_PKS3_PKT0_S9_ifPKiSB_iPKfiiiSD_SD_iiiii,"axG",@progbits,_ZN4vllm25paged_attention_v1_kernelI14__hip_bfloat16hLi32ELi32ELi128ELNS_18Fp8KVCacheDataTypeE1ELb1EEEvPT_PKS3_PKT0_S9_ifPKiSB_iPKfiiiSD_SD_iiiii,comdat
.Lfunc_end310:
	.size	_ZN4vllm25paged_attention_v1_kernelI14__hip_bfloat16hLi32ELi32ELi128ELNS_18Fp8KVCacheDataTypeE1ELb1EEEvPT_PKS3_PKT0_S9_ifPKiSB_iPKfiiiSD_SD_iiiii, .Lfunc_end310-_ZN4vllm25paged_attention_v1_kernelI14__hip_bfloat16hLi32ELi32ELi128ELNS_18Fp8KVCacheDataTypeE1ELb1EEEvPT_PKS3_PKT0_S9_ifPKiSB_iPKfiiiSD_SD_iiiii
                                        ; -- End function
	.set _ZN4vllm25paged_attention_v1_kernelI14__hip_bfloat16hLi32ELi32ELi128ELNS_18Fp8KVCacheDataTypeE1ELb1EEEvPT_PKS3_PKT0_S9_ifPKiSB_iPKfiiiSD_SD_iiiii.num_vgpr, 58
	.set _ZN4vllm25paged_attention_v1_kernelI14__hip_bfloat16hLi32ELi32ELi128ELNS_18Fp8KVCacheDataTypeE1ELb1EEEvPT_PKS3_PKT0_S9_ifPKiSB_iPKfiiiSD_SD_iiiii.num_agpr, 0
	.set _ZN4vllm25paged_attention_v1_kernelI14__hip_bfloat16hLi32ELi32ELi128ELNS_18Fp8KVCacheDataTypeE1ELb1EEEvPT_PKS3_PKT0_S9_ifPKiSB_iPKfiiiSD_SD_iiiii.numbered_sgpr, 57
	.set _ZN4vllm25paged_attention_v1_kernelI14__hip_bfloat16hLi32ELi32ELi128ELNS_18Fp8KVCacheDataTypeE1ELb1EEEvPT_PKS3_PKT0_S9_ifPKiSB_iPKfiiiSD_SD_iiiii.num_named_barrier, 0
	.set _ZN4vllm25paged_attention_v1_kernelI14__hip_bfloat16hLi32ELi32ELi128ELNS_18Fp8KVCacheDataTypeE1ELb1EEEvPT_PKS3_PKT0_S9_ifPKiSB_iPKfiiiSD_SD_iiiii.private_seg_size, 0
	.set _ZN4vllm25paged_attention_v1_kernelI14__hip_bfloat16hLi32ELi32ELi128ELNS_18Fp8KVCacheDataTypeE1ELb1EEEvPT_PKS3_PKT0_S9_ifPKiSB_iPKfiiiSD_SD_iiiii.uses_vcc, 1
	.set _ZN4vllm25paged_attention_v1_kernelI14__hip_bfloat16hLi32ELi32ELi128ELNS_18Fp8KVCacheDataTypeE1ELb1EEEvPT_PKS3_PKT0_S9_ifPKiSB_iPKfiiiSD_SD_iiiii.uses_flat_scratch, 0
	.set _ZN4vllm25paged_attention_v1_kernelI14__hip_bfloat16hLi32ELi32ELi128ELNS_18Fp8KVCacheDataTypeE1ELb1EEEvPT_PKS3_PKT0_S9_ifPKiSB_iPKfiiiSD_SD_iiiii.has_dyn_sized_stack, 0
	.set _ZN4vllm25paged_attention_v1_kernelI14__hip_bfloat16hLi32ELi32ELi128ELNS_18Fp8KVCacheDataTypeE1ELb1EEEvPT_PKS3_PKT0_S9_ifPKiSB_iPKfiiiSD_SD_iiiii.has_recursion, 0
	.set _ZN4vllm25paged_attention_v1_kernelI14__hip_bfloat16hLi32ELi32ELi128ELNS_18Fp8KVCacheDataTypeE1ELb1EEEvPT_PKS3_PKT0_S9_ifPKiSB_iPKfiiiSD_SD_iiiii.has_indirect_call, 0
	.section	.AMDGPU.csdata,"",@progbits
; Kernel info:
; codeLenInByte = 12056
; TotalNumSgprs: 61
; NumVgprs: 58
; ScratchSize: 0
; MemoryBound: 0
; FloatMode: 240
; IeeeMode: 1
; LDSByteSize: 80 bytes/workgroup (compile time only)
; SGPRBlocks: 7
; VGPRBlocks: 14
; NumSGPRsForWavesPerEU: 61
; NumVGPRsForWavesPerEU: 58
; Occupancy: 4
; WaveLimiterHint : 1
; COMPUTE_PGM_RSRC2:SCRATCH_EN: 0
; COMPUTE_PGM_RSRC2:USER_SGPR: 6
; COMPUTE_PGM_RSRC2:TRAP_HANDLER: 0
; COMPUTE_PGM_RSRC2:TGID_X_EN: 1
; COMPUTE_PGM_RSRC2:TGID_Y_EN: 1
; COMPUTE_PGM_RSRC2:TGID_Z_EN: 1
; COMPUTE_PGM_RSRC2:TIDIG_COMP_CNT: 0
	.section	.text._ZN4vllm25paged_attention_v1_kernelI14__hip_bfloat16hLi64ELi32ELi128ELNS_18Fp8KVCacheDataTypeE1ELb1EEEvPT_PKS3_PKT0_S9_ifPKiSB_iPKfiiiSD_SD_iiiii,"axG",@progbits,_ZN4vllm25paged_attention_v1_kernelI14__hip_bfloat16hLi64ELi32ELi128ELNS_18Fp8KVCacheDataTypeE1ELb1EEEvPT_PKS3_PKT0_S9_ifPKiSB_iPKfiiiSD_SD_iiiii,comdat
	.protected	_ZN4vllm25paged_attention_v1_kernelI14__hip_bfloat16hLi64ELi32ELi128ELNS_18Fp8KVCacheDataTypeE1ELb1EEEvPT_PKS3_PKT0_S9_ifPKiSB_iPKfiiiSD_SD_iiiii ; -- Begin function _ZN4vllm25paged_attention_v1_kernelI14__hip_bfloat16hLi64ELi32ELi128ELNS_18Fp8KVCacheDataTypeE1ELb1EEEvPT_PKS3_PKT0_S9_ifPKiSB_iPKfiiiSD_SD_iiiii
	.globl	_ZN4vllm25paged_attention_v1_kernelI14__hip_bfloat16hLi64ELi32ELi128ELNS_18Fp8KVCacheDataTypeE1ELb1EEEvPT_PKS3_PKT0_S9_ifPKiSB_iPKfiiiSD_SD_iiiii
	.p2align	8
	.type	_ZN4vllm25paged_attention_v1_kernelI14__hip_bfloat16hLi64ELi32ELi128ELNS_18Fp8KVCacheDataTypeE1ELb1EEEvPT_PKS3_PKT0_S9_ifPKiSB_iPKfiiiSD_SD_iiiii,@function
_ZN4vllm25paged_attention_v1_kernelI14__hip_bfloat16hLi64ELi32ELi128ELNS_18Fp8KVCacheDataTypeE1ELb1EEEvPT_PKS3_PKT0_S9_ifPKiSB_iPKfiiiSD_SD_iiiii: ; @_ZN4vllm25paged_attention_v1_kernelI14__hip_bfloat16hLi64ELi32ELi128ELNS_18Fp8KVCacheDataTypeE1ELb1EEEvPT_PKS3_PKT0_S9_ifPKiSB_iPKfiiiSD_SD_iiiii
; %bb.0:
	s_mov_b64 s[62:63], s[2:3]
	s_mov_b64 s[60:61], s[0:1]
	s_add_u32 s60, s60, s9
	s_addc_u32 s61, s61, 0
	buffer_store_dword v0, off, s[60:63], 0 offset:48 ; 4-byte Folded Spill
	s_load_dword s9, s[4:5], 0x80
	s_load_dwordx2 s[0:1], s[4:5], 0x30
	s_load_dwordx2 s[36:37], s[4:5], 0x20
	s_mov_b32 s10, s7
	s_ashr_i32 s11, s7, 31
	s_lshl_b64 s[2:3], s[10:11], 2
	s_waitcnt lgkmcnt(0)
	s_add_u32 s0, s0, s2
	s_addc_u32 s1, s1, s3
	s_abs_i32 s2, s36
	v_cvt_f32_u32_e32 v0, s2
	s_sub_i32 s11, 0, s2
	s_abs_i32 s7, s9
	s_xor_b32 s3, s9, s36
	v_rcp_iflag_f32_e32 v0, v0
	s_ashr_i32 s3, s3, 31
	s_mov_b32 s48, 0
	v_mul_f32_e32 v0, 0x4f7ffffe, v0
	v_cvt_u32_f32_e32 v0, v0
	v_readfirstlane_b32 s12, v0
	s_mul_i32 s11, s11, s12
	s_mul_hi_u32 s11, s12, s11
	s_add_i32 s12, s12, s11
	s_mul_hi_u32 s11, s7, s12
	s_mul_i32 s12, s11, s2
	s_sub_i32 s7, s7, s12
	s_add_i32 s12, s11, 1
	s_sub_i32 s13, s7, s2
	s_cmp_ge_u32 s7, s2
	s_cselect_b32 s11, s12, s11
	s_cselect_b32 s7, s13, s7
	s_add_i32 s12, s11, 1
	s_cmp_ge_u32 s7, s2
	s_cselect_b32 s2, s12, s11
	s_xor_b32 s2, s2, s3
	s_sub_i32 s14, s2, s3
	s_abs_i32 s11, s14
	v_cvt_f32_u32_e32 v0, s11
	s_load_dwordx2 s[2:3], s[4:5], 0x40
	s_sub_i32 s7, 0, s11
	s_abs_i32 s12, s6
	v_rcp_iflag_f32_e32 v0, v0
	v_mul_f32_e32 v0, 0x4f7ffffe, v0
	v_cvt_u32_f32_e32 v0, v0
	v_readfirstlane_b32 s13, v0
	s_mul_i32 s7, s7, s13
	s_mul_hi_u32 s7, s13, s7
	s_add_i32 s13, s13, s7
	s_waitcnt lgkmcnt(0)
	s_cmp_eq_u64 s[2:3], 0
	s_mul_hi_u32 s13, s12, s13
	s_cbranch_scc1 .LBB311_2
; %bb.1:
	s_ashr_i32 s7, s6, 31
	s_lshl_b64 s[16:17], s[6:7], 2
	s_add_u32 s2, s2, s16
	s_addc_u32 s3, s3, s17
	s_load_dword s48, s[2:3], 0x0
.LBB311_2:
	buffer_load_dword v1, off, s[60:63], 0 offset:48 ; 4-byte Folded Reload
	s_load_dword s33, s[0:1], 0x0
	s_load_dwordx4 s[16:19], s[4:5], 0x48
	s_ashr_i32 s2, s6, 31
	s_ashr_i32 s7, s14, 31
	s_lshl_b32 s24, s6, 6
	s_waitcnt vmcnt(0)
	v_and_b32_e32 v0, 1, v1
	v_cmp_gt_u32_e32 vcc, 16, v1
	v_lshlrev_b32_e32 v12, 3, v1
	s_and_saveexec_b64 s[0:1], vcc
	s_cbranch_execz .LBB311_4
; %bb.3:
	s_load_dwordx2 s[14:15], s[4:5], 0x8
	s_waitcnt lgkmcnt(0)
	s_mul_i32 s20, s16, s10
	s_ashr_i32 s21, s20, 31
	s_lshl_b64 s[20:21], s[20:21], 1
	buffer_load_dword v3, off, s[60:63], 0 offset:48 ; 4-byte Folded Reload
	s_add_u32 s3, s14, s20
	s_addc_u32 s16, s15, s21
	s_ashr_i32 s25, s24, 31
	s_lshl_b64 s[14:15], s[24:25], 1
	s_add_u32 s14, s3, s14
	s_addc_u32 s15, s16, s15
	global_load_dwordx2 v[1:2], v12, s[14:15]
	s_waitcnt vmcnt(1)
	v_lshlrev_b32_e32 v3, 2, v3
	v_and_b32_e32 v3, 0xff8, v3
	v_lshl_add_u32 v3, v0, 6, v3
	s_waitcnt vmcnt(0)
	ds_write_b64 v3, v[1:2]
.LBB311_4:
	s_or_b64 exec, exec, s[0:1]
	s_mul_i32 s1, s13, s11
	s_sub_i32 s1, s12, s1
	s_xor_b32 s0, s2, s7
	s_add_i32 s2, s13, 1
	s_sub_i32 s7, s1, s11
	s_load_dwordx4 s[20:23], s[4:5], 0x68
	s_load_dword s3, s[4:5], 0x78
	s_cmp_ge_u32 s1, s11
	s_cselect_b32 s2, s2, s13
	s_cselect_b32 s1, s7, s1
	s_add_i32 s7, s2, 1
	s_cmp_ge_u32 s1, s11
	s_cselect_b32 s1, s7, s2
	s_waitcnt lgkmcnt(0)
	s_abs_i32 s25, s23
	v_cvt_f32_u32_e32 v1, s25
	s_xor_b32 s1, s1, s0
	s_sub_i32 s2, s1, s0
	s_sub_i32 s0, 0, s25
	v_rcp_iflag_f32_e32 v1, v1
	s_add_i32 s11, s33, -1
	s_abs_i32 s7, s11
	v_mul_f32_e32 v1, 0x4f7ffffe, v1
	v_cvt_u32_f32_e32 v1, v1
	s_barrier
	v_readfirstlane_b32 s46, v1
	s_mul_i32 s0, s0, s46
	s_mul_hi_u32 s0, s46, s0
	s_add_i32 s46, s46, s0
	s_cmp_lt_i32 s3, 0
	s_mul_hi_u32 s16, s7, s46
	s_cbranch_scc0 .LBB311_6
; %bb.5:
	s_mul_i32 s0, s20, s36
	s_add_i32 s0, s2, s0
	s_mul_i32 s0, s0, s3
	s_sub_i32 s36, 1, s0
	s_mov_b64 s[0:1], 0
	s_branch .LBB311_7
.LBB311_6:
	s_mov_b64 s[0:1], -1
                                        ; implicit-def: $sgpr36
.LBB311_7:
	s_load_dwordx2 s[28:29], s[4:5], 0x28
	s_ashr_i32 s19, s11, 31
	s_andn2_b64 vcc, exec, s[0:1]
	s_ashr_i32 s23, s23, 31
	s_cbranch_vccnz .LBB311_9
; %bb.8:
	s_mul_i32 s0, s9, s20
	s_add_i32 s0, s0, s6
	s_mul_i32 s0, s0, s3
	s_add_i32 s36, s0, 1
.LBB311_9:
	s_load_dword s0, s[4:5], 0x38
	s_load_dwordx2 s[26:27], s[4:5], 0x0
	s_load_dwordx2 s[34:35], s[4:5], 0x18
	s_load_dword s11, s[4:5], 0x88
	s_load_dwordx4 s[12:15], s[4:5], 0x58
	buffer_load_dword v1, off, s[60:63], 0 offset:48 ; 4-byte Folded Reload
	s_mul_i32 s1, s16, s25
	s_waitcnt lgkmcnt(0)
	s_mul_i32 s30, s0, s10
	s_sub_i32 s1, s7, s1
	s_ashr_i32 s31, s30, 31
	s_xor_b32 s0, s19, s23
	s_add_i32 s3, s16, 1
	s_sub_i32 s6, s1, s25
	s_cmp_ge_u32 s1, s25
	s_cselect_b32 s3, s3, s16
	s_cselect_b32 s1, s6, s1
	s_add_i32 s6, s3, 1
	s_cmp_ge_u32 s1, s25
	s_cselect_b32 s1, s6, s3
	s_xor_b32 s1, s1, s0
	s_sub_i32 s16, s1, s0
	s_add_i32 s0, s33, 31
	s_ashr_i32 s1, s0, 31
	s_lshr_b32 s1, s1, 27
	s_add_i32 s0, s0, s1
	s_ashr_i32 s47, s0, 5
	v_mov_b32_e32 v3, 0xff7fffff
	s_mul_i32 s20, s2, s18
	v_mbcnt_lo_u32_b32 v5, -1, 0
	s_waitcnt vmcnt(0)
	v_lshrrev_b32_e32 v2, 6, v1
	v_cmp_gt_i32_e64 s[0:1], s47, v2
	v_lshrrev_b32_e32 v13, 4, v1
	v_lshlrev_b32_e32 v1, 5, v2
	buffer_store_dword v2, off, s[60:63], 0 ; 4-byte Folded Spill
	buffer_store_dword v1, off, s[60:63], 0 offset:80 ; 4-byte Folded Spill
	s_and_saveexec_b64 s[18:19], s[0:1]
	s_cbranch_execz .LBB311_213
; %bb.10:
	buffer_load_dword v2, off, s[60:63], 0 offset:48 ; 4-byte Folded Reload
	s_load_dwordx2 s[2:3], s[4:5], 0x10
	s_sub_i32 s49, s16, s21
	s_ashr_i32 s4, s20, 31
	v_cmp_eq_u32_e32 vcc, 0, v0
	buffer_store_dword v12, off, s[60:63], 0 offset:84 ; 4-byte Folded Spill
	s_waitcnt lgkmcnt(0)
	s_add_u32 s5, s2, s20
	s_addc_u32 s4, s3, s4
	s_abs_i32 s50, s22
	v_cvt_f32_u32_e32 v1, s50
	s_sub_i32 s2, 0, s50
	v_mov_b32_e32 v4, s4
	s_mov_b32 s51, s17
	v_rcp_iflag_f32_e32 v1, v1
	s_mov_b64 s[38:39], 0
	s_movk_i32 s52, 0x80
	s_movk_i32 s53, 0x7f
	v_mul_f32_e32 v1, 0x4f7ffffe, v1
	v_cvt_u32_f32_e32 v1, v1
	s_mov_b32 s54, 0xffffff
	s_movk_i32 s55, 0x7fff
	s_waitcnt vmcnt(1)
	v_bfe_u32 v6, v2, 1, 5
	v_lshlrev_b32_e32 v2, 2, v0
	v_lshlrev_b32_e32 v0, 6, v0
	buffer_store_dword v0, off, s[60:63], 0 offset:56 ; 4-byte Folded Spill
	v_mul_lo_u32 v0, s2, v1
	v_lshlrev_b32_e32 v3, 4, v6
	v_add_co_u32_e64 v3, s[4:5], s5, v3
	v_mul_hi_u32 v0, v1, v0
	v_addc_co_u32_e64 v4, s[4:5], 0, v4, s[4:5]
	v_cmp_neq_f32_e64 s[2:3], s48, 0
	v_add_u32_e32 v0, v1, v0
	buffer_store_dword v0, off, s[60:63], 0 offset:8 ; 4-byte Folded Spill
	v_add_co_u32_e64 v0, s[4:5], v3, v2
	v_addc_co_u32_e64 v1, s[4:5], 0, v4, s[4:5]
	buffer_store_dword v0, off, s[60:63], 0 offset:60 ; 4-byte Folded Spill
	s_nop 0
	buffer_store_dword v1, off, s[60:63], 0 offset:64 ; 4-byte Folded Spill
	buffer_store_dword v13, off, s[60:63], 0 offset:88 ; 4-byte Folded Spill
	buffer_load_dword v40, off, s[60:63], 0 ; 4-byte Folded Reload
	s_lshl_b64 s[4:5], s[30:31], 2
	s_add_u32 s4, s28, s4
	v_and_b32_e32 v0, 60, v13
	s_addc_u32 s5, s29, s5
	v_mov_b32_e32 v1, s5
	v_add_co_u32_e64 v19, s[4:5], s4, v0
	v_subrev_u32_e32 v0, s33, v6
	v_add_u32_e32 v0, 1, v0
	buffer_store_dword v0, off, s[60:63], 0 offset:76 ; 4-byte Folded Spill
	buffer_store_dword v6, off, s[60:63], 0 offset:72 ; 4-byte Folded Spill
	v_lshlrev_b32_e32 v0, 2, v6
	v_addc_co_u32_e64 v20, s[4:5], 0, v1, s[4:5]
	s_waitcnt vmcnt(2)
	v_lshl_or_b32 v0, v40, 7, v0
	v_add_u32_e32 v39, 0x90, v0
	v_mbcnt_hi_u32_b32 v0, -1, v5
	v_lshlrev_b32_e32 v34, 5, v40
	buffer_store_dword v0, off, s[60:63], 0 offset:68 ; 4-byte Folded Spill
	v_mov_b32_e32 v0, 0xff7fffff
	buffer_store_dword v0, off, s[60:63], 0 offset:52 ; 4-byte Folded Spill
	s_branch .LBB311_13
.LBB311_11:                             ;   in Loop: Header=BB311_13 Depth=1
	s_or_b64 exec, exec, s[40:41]
.LBB311_12:                             ;   in Loop: Header=BB311_13 Depth=1
	s_or_b64 exec, exec, s[6:7]
	v_add_co_u32_e64 v19, s[4:5], 8, v19
	v_add_u32_e32 v40, 2, v40
	v_addc_co_u32_e64 v20, s[4:5], 0, v20, s[4:5]
	v_cmp_le_i32_e64 s[4:5], s47, v40
	v_add_u32_e32 v34, 64, v34
	s_or_b64 s[38:39], s[4:5], s[38:39]
	v_add_u32_e32 v39, 0x100, v39
	s_andn2_b64 exec, exec, s[38:39]
	s_cbranch_execz .LBB311_212
.LBB311_13:                             ; =>This Inner Loop Header: Depth=1
	buffer_load_dword v3, off, s[60:63], 0 offset:8 ; 4-byte Folded Reload
	v_mul_hi_u32 v0, v34, s46
	s_waitcnt lgkmcnt(0)
	v_mul_lo_u32 v1, v0, s25
	v_add_u32_e32 v2, 1, v0
	v_sub_u32_e32 v1, v34, v1
	v_cmp_le_u32_e64 s[4:5], s25, v1
	v_cndmask_b32_e64 v0, v0, v2, s[4:5]
	v_subrev_u32_e32 v2, s25, v1
	v_cndmask_b32_e64 v1, v1, v2, s[4:5]
	v_add_u32_e32 v2, 1, v0
	v_cmp_le_u32_e64 s[4:5], s25, v1
	v_cndmask_b32_e64 v0, v0, v2, s[4:5]
	v_xor_b32_e32 v0, s23, v0
	v_subrev_u32_e32 v0, s23, v0
	v_add_u32_e32 v1, s36, v0
	v_sub_u32_e32 v2, 0, v1
	v_max_i32_e32 v2, v1, v2
	v_ashrrev_i32_e32 v1, 31, v1
	v_cmp_ge_i32_e64 s[6:7], s49, v0
	s_waitcnt vmcnt(0)
	v_mul_hi_u32 v3, v2, v3
	v_mul_lo_u32 v3, v3, s50
	v_sub_u32_e32 v2, v2, v3
	v_subrev_u32_e32 v3, s50, v2
	v_cmp_le_u32_e64 s[4:5], s50, v2
	v_cndmask_b32_e64 v2, v2, v3, s[4:5]
	v_subrev_u32_e32 v3, s50, v2
	v_cmp_le_u32_e64 s[4:5], s50, v2
	v_cndmask_b32_e64 v2, v2, v3, s[4:5]
	v_xor_b32_e32 v2, v2, v1
	v_sub_u32_e32 v1, v2, v1
	v_cmp_ne_u32_e64 s[4:5], 0, v1
	s_and_b64 s[4:5], s[4:5], s[6:7]
	s_and_saveexec_b64 s[6:7], s[4:5]
	s_xor_b64 s[4:5], exec, s[6:7]
	s_cbranch_execz .LBB311_17
; %bb.14:                               ;   in Loop: Header=BB311_13 Depth=1
	s_and_saveexec_b64 s[6:7], vcc
; %bb.15:                               ;   in Loop: Header=BB311_13 Depth=1
	v_mov_b32_e32 v0, 0xff7fffff
	ds_write_b32 v39, v0
; %bb.16:                               ;   in Loop: Header=BB311_13 Depth=1
	s_or_b64 exec, exec, s[6:7]
.LBB311_17:                             ;   in Loop: Header=BB311_13 Depth=1
	s_andn2_saveexec_b64 s[6:7], s[4:5]
	s_cbranch_execz .LBB311_12
; %bb.18:                               ;   in Loop: Header=BB311_13 Depth=1
	global_load_dword v0, v[19:20], off
	buffer_load_dword v1, off, s[60:63], 0 offset:60 ; 4-byte Folded Reload
	buffer_load_dword v2, off, s[60:63], 0 offset:64 ; 4-byte Folded Reload
	v_mov_b32_e32 v25, 0
	v_mov_b32_e32 v37, 0
	s_waitcnt vmcnt(0)
	v_mad_i64_i32 v[21:22], s[4:5], v0, s51, v[1:2]
	buffer_load_dword v0, off, s[60:63], 0 offset:56 ; 4-byte Folded Reload
	v_mov_b32_e32 v1, 0
	global_load_dword v23, v[21:22], off
	s_waitcnt vmcnt(1)
	ds_read_b128 v[13:16], v0
	ds_read_b128 v[5:8], v0 offset:16
	s_load_dword s56, s[12:13], 0x0
	s_waitcnt vmcnt(0)
	v_cmp_ne_u16_sdwa s[4:5], v23, v1 src0_sel:BYTE_0 src1_sel:DWORD
	ds_read_b128 v[9:12], v0 offset:32
	ds_read_b128 v[1:4], v0 offset:48
	s_and_saveexec_b64 s[40:41], s[4:5]
	s_cbranch_execz .LBB311_24
; %bb.19:                               ;   in Loop: Header=BB311_13 Depth=1
	v_cmp_ne_u16_sdwa s[4:5], v23, s52 src0_sel:BYTE_0 src1_sel:DWORD
	v_bfrev_b32_e32 v37, 1
	s_and_saveexec_b64 s[42:43], s[4:5]
	s_cbranch_execz .LBB311_23
; %bb.20:                               ;   in Loop: Header=BB311_13 Depth=1
	v_and_b32_e32 v0, 0x7f, v23
	v_cmp_ne_u32_e64 s[4:5], s53, v0
	v_mov_b32_e32 v37, 0x7f800001
	s_and_saveexec_b64 s[44:45], s[4:5]
	s_cbranch_execz .LBB311_22
; %bb.21:                               ;   in Loop: Header=BB311_13 Depth=1
	v_and_b32_e32 v24, 7, v23
	v_ffbh_u32_e32 v17, v24
	v_min_u32_e32 v28, 32, v17
	v_subrev_u32_e32 v17, 28, v28
	v_lshlrev_b64 v[17:18], v17, v[23:24]
	v_lshrrev_b32_e32 v27, 3, v0
	v_sub_u32_e32 v18, 29, v28
	v_and_b32_e32 v17, 7, v17
	v_cmp_gt_u32_e64 s[4:5], 8, v0
	v_cndmask_b32_e64 v0, v27, v18, s[4:5]
	v_cndmask_b32_e64 v17, v24, v17, s[4:5]
	v_lshlrev_b32_e32 v18, 24, v23
	v_bfrev_b32_e32 v24, 60
	v_lshlrev_b32_e32 v17, 20, v17
	v_and_b32_e32 v18, 0x80000000, v18
	v_lshl_add_u32 v0, v0, 23, v24
	v_or3_b32 v37, v18, v0, v17
.LBB311_22:                             ;   in Loop: Header=BB311_13 Depth=1
	s_or_b64 exec, exec, s[44:45]
.LBB311_23:                             ;   in Loop: Header=BB311_13 Depth=1
	s_or_b64 exec, exec, s[42:43]
.LBB311_24:                             ;   in Loop: Header=BB311_13 Depth=1
	s_or_b64 exec, exec, s[40:41]
	v_lshrrev_b16_e32 v24, 8, v23
	v_cmp_ne_u16_e64 s[4:5], 0, v24
	s_and_saveexec_b64 s[40:41], s[4:5]
	s_cbranch_execz .LBB311_30
; %bb.25:                               ;   in Loop: Header=BB311_13 Depth=1
	v_cmp_ne_u16_e64 s[4:5], s52, v24
	v_bfrev_b32_e32 v25, 1
	s_and_saveexec_b64 s[42:43], s[4:5]
	s_cbranch_execz .LBB311_29
; %bb.26:                               ;   in Loop: Header=BB311_13 Depth=1
	v_and_b32_e32 v0, 0x7f, v24
	v_cmp_ne_u32_e64 s[4:5], s53, v0
	v_mov_b32_e32 v25, 0x7f800001
	s_and_saveexec_b64 s[44:45], s[4:5]
	s_cbranch_execz .LBB311_28
; %bb.27:                               ;   in Loop: Header=BB311_13 Depth=1
	v_and_b32_e32 v27, 7, v24
	v_ffbh_u32_e32 v17, v27
	v_min_u32_e32 v29, 32, v17
	v_subrev_u32_e32 v17, 28, v29
	v_lshlrev_b64 v[17:18], v17, v[24:25]
	v_lshrrev_b32_e32 v28, 3, v0
	v_sub_u32_e32 v18, 29, v29
	v_and_b32_e32 v17, 7, v17
	v_cmp_gt_u32_e64 s[4:5], 8, v0
	v_cndmask_b32_e64 v0, v28, v18, s[4:5]
	v_cndmask_b32_e64 v17, v27, v17, s[4:5]
	v_lshlrev_b32_e32 v18, 16, v23
	v_bfrev_b32_e32 v24, 60
	v_lshlrev_b32_e32 v17, 20, v17
	v_and_b32_e32 v18, 0x80000000, v18
	v_lshl_add_u32 v0, v0, 23, v24
	v_or3_b32 v25, v18, v0, v17
.LBB311_28:                             ;   in Loop: Header=BB311_13 Depth=1
	s_or_b64 exec, exec, s[44:45]
.LBB311_29:                             ;   in Loop: Header=BB311_13 Depth=1
	s_or_b64 exec, exec, s[42:43]
.LBB311_30:                             ;   in Loop: Header=BB311_13 Depth=1
	s_or_b64 exec, exec, s[40:41]
	v_lshrrev_b32_e32 v24, 16, v23
	v_mov_b32_e32 v0, 0
	v_cmp_ne_u16_sdwa s[4:5], v24, v0 src0_sel:BYTE_0 src1_sel:DWORD
	v_mov_b32_e32 v36, 0
	v_mov_b32_e32 v26, 0
	s_and_saveexec_b64 s[40:41], s[4:5]
	s_cbranch_execz .LBB311_36
; %bb.31:                               ;   in Loop: Header=BB311_13 Depth=1
	v_cmp_ne_u16_sdwa s[4:5], v24, s52 src0_sel:BYTE_0 src1_sel:DWORD
	v_bfrev_b32_e32 v26, 1
	s_and_saveexec_b64 s[42:43], s[4:5]
	s_cbranch_execz .LBB311_35
; %bb.32:                               ;   in Loop: Header=BB311_13 Depth=1
	v_bfe_u32 v0, v23, 16, 7
	v_cmp_ne_u32_e64 s[4:5], s53, v0
	v_mov_b32_e32 v26, 0x7f800001
	s_and_saveexec_b64 s[44:45], s[4:5]
	s_cbranch_execz .LBB311_34
; %bb.33:                               ;   in Loop: Header=BB311_13 Depth=1
	v_and_b32_e32 v27, 7, v24
	v_ffbh_u32_e32 v17, v27
	v_min_u32_e32 v29, 32, v17
	v_subrev_u32_e32 v17, 28, v29
	v_lshlrev_b64 v[17:18], v17, v[24:25]
	v_lshrrev_b32_e32 v28, 3, v0
	v_sub_u32_e32 v18, 29, v29
	v_and_b32_e32 v17, 7, v17
	v_cmp_gt_u32_e64 s[4:5], 8, v0
	v_cndmask_b32_e64 v0, v28, v18, s[4:5]
	v_cndmask_b32_e64 v17, v27, v17, s[4:5]
	v_lshlrev_b32_e32 v18, 24, v24
	v_bfrev_b32_e32 v24, 60
	v_lshlrev_b32_e32 v17, 20, v17
	v_and_b32_e32 v18, 0x80000000, v18
	v_lshl_add_u32 v0, v0, 23, v24
	v_or3_b32 v26, v18, v0, v17
.LBB311_34:                             ;   in Loop: Header=BB311_13 Depth=1
	s_or_b64 exec, exec, s[44:45]
.LBB311_35:                             ;   in Loop: Header=BB311_13 Depth=1
	s_or_b64 exec, exec, s[42:43]
.LBB311_36:                             ;   in Loop: Header=BB311_13 Depth=1
	s_or_b64 exec, exec, s[40:41]
	v_cmp_lt_u32_e64 s[4:5], s54, v23
	s_and_saveexec_b64 s[40:41], s[4:5]
	s_cbranch_execz .LBB311_42
; %bb.37:                               ;   in Loop: Header=BB311_13 Depth=1
	v_lshrrev_b32_e32 v24, 24, v23
	v_cmp_ne_u32_e64 s[4:5], s52, v24
	v_bfrev_b32_e32 v36, 1
	s_and_saveexec_b64 s[42:43], s[4:5]
	s_cbranch_execz .LBB311_41
; %bb.38:                               ;   in Loop: Header=BB311_13 Depth=1
	v_bfe_u32 v0, v23, 24, 7
	v_cmp_ne_u32_e64 s[4:5], s53, v0
	v_mov_b32_e32 v36, 0x7f800001
	s_and_saveexec_b64 s[44:45], s[4:5]
	s_cbranch_execz .LBB311_40
; %bb.39:                               ;   in Loop: Header=BB311_13 Depth=1
	v_and_b32_e32 v23, 7, v24
	v_ffbh_u32_e32 v17, v23
	v_min_u32_e32 v28, 32, v17
	v_subrev_u32_e32 v17, 28, v28
	v_lshlrev_b64 v[17:18], v17, v[24:25]
	v_lshrrev_b32_e32 v27, 3, v0
	v_sub_u32_e32 v18, 29, v28
	v_and_b32_e32 v17, 7, v17
	v_cmp_gt_u32_e64 s[4:5], 8, v0
	v_cndmask_b32_e64 v0, v27, v18, s[4:5]
	v_cndmask_b32_e64 v17, v23, v17, s[4:5]
	v_lshlrev_b32_e32 v18, 24, v24
	v_bfrev_b32_e32 v23, 60
	v_lshlrev_b32_e32 v17, 20, v17
	v_and_b32_e32 v18, 0x80000000, v18
	v_lshl_add_u32 v0, v0, 23, v23
	v_or3_b32 v36, v18, v0, v17
.LBB311_40:                             ;   in Loop: Header=BB311_13 Depth=1
	s_or_b64 exec, exec, s[44:45]
.LBB311_41:                             ;   in Loop: Header=BB311_13 Depth=1
	s_or_b64 exec, exec, s[42:43]
.LBB311_42:                             ;   in Loop: Header=BB311_13 Depth=1
	s_or_b64 exec, exec, s[40:41]
	global_load_dword v23, v[21:22], off offset:8
	v_mov_b32_e32 v0, 0
	v_mov_b32_e32 v41, 0
	;; [unrolled: 1-line block ×3, first 2 shown]
	s_waitcnt vmcnt(0)
	v_cmp_ne_u16_sdwa s[4:5], v23, v0 src0_sel:BYTE_0 src1_sel:DWORD
	s_and_saveexec_b64 s[40:41], s[4:5]
	s_cbranch_execz .LBB311_48
; %bb.43:                               ;   in Loop: Header=BB311_13 Depth=1
	v_cmp_ne_u16_sdwa s[4:5], v23, s52 src0_sel:BYTE_0 src1_sel:DWORD
	v_bfrev_b32_e32 v52, 1
	s_and_saveexec_b64 s[42:43], s[4:5]
	s_cbranch_execz .LBB311_47
; %bb.44:                               ;   in Loop: Header=BB311_13 Depth=1
	v_and_b32_e32 v0, 0x7f, v23
	v_cmp_ne_u32_e64 s[4:5], s53, v0
	v_mov_b32_e32 v52, 0x7f800001
	s_and_saveexec_b64 s[44:45], s[4:5]
	s_cbranch_execz .LBB311_46
; %bb.45:                               ;   in Loop: Header=BB311_13 Depth=1
	v_and_b32_e32 v24, 7, v23
	v_ffbh_u32_e32 v17, v24
	v_min_u32_e32 v28, 32, v17
	v_subrev_u32_e32 v17, 28, v28
	v_lshlrev_b64 v[17:18], v17, v[23:24]
	v_lshrrev_b32_e32 v27, 3, v0
	v_sub_u32_e32 v18, 29, v28
	v_and_b32_e32 v17, 7, v17
	v_cmp_gt_u32_e64 s[4:5], 8, v0
	v_cndmask_b32_e64 v0, v27, v18, s[4:5]
	v_cndmask_b32_e64 v17, v24, v17, s[4:5]
	v_lshlrev_b32_e32 v18, 24, v23
	v_bfrev_b32_e32 v24, 60
	v_lshlrev_b32_e32 v17, 20, v17
	v_and_b32_e32 v18, 0x80000000, v18
	v_lshl_add_u32 v0, v0, 23, v24
	v_or3_b32 v52, v18, v0, v17
.LBB311_46:                             ;   in Loop: Header=BB311_13 Depth=1
	s_or_b64 exec, exec, s[44:45]
.LBB311_47:                             ;   in Loop: Header=BB311_13 Depth=1
	s_or_b64 exec, exec, s[42:43]
.LBB311_48:                             ;   in Loop: Header=BB311_13 Depth=1
	s_or_b64 exec, exec, s[40:41]
	v_lshrrev_b16_e32 v24, 8, v23
	v_cmp_ne_u16_e64 s[4:5], 0, v24
	s_and_saveexec_b64 s[40:41], s[4:5]
	s_cbranch_execz .LBB311_54
; %bb.49:                               ;   in Loop: Header=BB311_13 Depth=1
	v_cmp_ne_u16_e64 s[4:5], s52, v24
	v_bfrev_b32_e32 v41, 1
	s_and_saveexec_b64 s[42:43], s[4:5]
	s_cbranch_execz .LBB311_53
; %bb.50:                               ;   in Loop: Header=BB311_13 Depth=1
	v_and_b32_e32 v0, 0x7f, v24
	v_cmp_ne_u32_e64 s[4:5], s53, v0
	v_mov_b32_e32 v41, 0x7f800001
	s_and_saveexec_b64 s[44:45], s[4:5]
	s_cbranch_execz .LBB311_52
; %bb.51:                               ;   in Loop: Header=BB311_13 Depth=1
	v_and_b32_e32 v27, 7, v24
	v_ffbh_u32_e32 v17, v27
	v_min_u32_e32 v29, 32, v17
	v_subrev_u32_e32 v17, 28, v29
	v_lshlrev_b64 v[17:18], v17, v[24:25]
	v_lshrrev_b32_e32 v28, 3, v0
	v_sub_u32_e32 v18, 29, v29
	v_and_b32_e32 v17, 7, v17
	v_cmp_gt_u32_e64 s[4:5], 8, v0
	v_cndmask_b32_e64 v0, v28, v18, s[4:5]
	v_cndmask_b32_e64 v17, v27, v17, s[4:5]
	v_lshlrev_b32_e32 v18, 16, v23
	v_bfrev_b32_e32 v24, 60
	v_lshlrev_b32_e32 v17, 20, v17
	v_and_b32_e32 v18, 0x80000000, v18
	v_lshl_add_u32 v0, v0, 23, v24
	v_or3_b32 v41, v18, v0, v17
.LBB311_52:                             ;   in Loop: Header=BB311_13 Depth=1
	s_or_b64 exec, exec, s[44:45]
.LBB311_53:                             ;   in Loop: Header=BB311_13 Depth=1
	s_or_b64 exec, exec, s[42:43]
.LBB311_54:                             ;   in Loop: Header=BB311_13 Depth=1
	s_or_b64 exec, exec, s[40:41]
	v_lshrrev_b32_e32 v24, 16, v23
	v_mov_b32_e32 v0, 0
	v_cmp_ne_u16_sdwa s[4:5], v24, v0 src0_sel:BYTE_0 src1_sel:DWORD
	v_mov_b32_e32 v33, 0
	v_mov_b32_e32 v38, 0
	s_and_saveexec_b64 s[40:41], s[4:5]
	s_cbranch_execz .LBB311_60
; %bb.55:                               ;   in Loop: Header=BB311_13 Depth=1
	v_cmp_ne_u16_sdwa s[4:5], v24, s52 src0_sel:BYTE_0 src1_sel:DWORD
	v_bfrev_b32_e32 v38, 1
	s_and_saveexec_b64 s[42:43], s[4:5]
	s_cbranch_execz .LBB311_59
; %bb.56:                               ;   in Loop: Header=BB311_13 Depth=1
	v_bfe_u32 v0, v23, 16, 7
	v_cmp_ne_u32_e64 s[4:5], s53, v0
	v_mov_b32_e32 v38, 0x7f800001
	s_and_saveexec_b64 s[44:45], s[4:5]
	s_cbranch_execz .LBB311_58
; %bb.57:                               ;   in Loop: Header=BB311_13 Depth=1
	v_and_b32_e32 v27, 7, v24
	v_ffbh_u32_e32 v17, v27
	v_min_u32_e32 v29, 32, v17
	v_subrev_u32_e32 v17, 28, v29
	v_lshlrev_b64 v[17:18], v17, v[24:25]
	v_lshrrev_b32_e32 v28, 3, v0
	v_sub_u32_e32 v18, 29, v29
	v_and_b32_e32 v17, 7, v17
	v_cmp_gt_u32_e64 s[4:5], 8, v0
	v_cndmask_b32_e64 v0, v28, v18, s[4:5]
	v_cndmask_b32_e64 v17, v27, v17, s[4:5]
	v_lshlrev_b32_e32 v18, 24, v24
	v_bfrev_b32_e32 v24, 60
	v_lshlrev_b32_e32 v17, 20, v17
	v_and_b32_e32 v18, 0x80000000, v18
	v_lshl_add_u32 v0, v0, 23, v24
	v_or3_b32 v38, v18, v0, v17
.LBB311_58:                             ;   in Loop: Header=BB311_13 Depth=1
	s_or_b64 exec, exec, s[44:45]
.LBB311_59:                             ;   in Loop: Header=BB311_13 Depth=1
	s_or_b64 exec, exec, s[42:43]
.LBB311_60:                             ;   in Loop: Header=BB311_13 Depth=1
	s_or_b64 exec, exec, s[40:41]
	v_cmp_lt_u32_e64 s[4:5], s54, v23
	s_and_saveexec_b64 s[40:41], s[4:5]
	s_cbranch_execz .LBB311_66
; %bb.61:                               ;   in Loop: Header=BB311_13 Depth=1
	v_lshrrev_b32_e32 v24, 24, v23
	v_cmp_ne_u32_e64 s[4:5], s52, v24
	v_bfrev_b32_e32 v33, 1
	s_and_saveexec_b64 s[42:43], s[4:5]
	s_cbranch_execz .LBB311_65
; %bb.62:                               ;   in Loop: Header=BB311_13 Depth=1
	v_bfe_u32 v0, v23, 24, 7
	v_cmp_ne_u32_e64 s[4:5], s53, v0
	v_mov_b32_e32 v33, 0x7f800001
	s_and_saveexec_b64 s[44:45], s[4:5]
	s_cbranch_execz .LBB311_64
; %bb.63:                               ;   in Loop: Header=BB311_13 Depth=1
	v_and_b32_e32 v23, 7, v24
	v_ffbh_u32_e32 v17, v23
	v_min_u32_e32 v28, 32, v17
	v_subrev_u32_e32 v17, 28, v28
	v_lshlrev_b64 v[17:18], v17, v[24:25]
	v_lshrrev_b32_e32 v27, 3, v0
	v_sub_u32_e32 v18, 29, v28
	v_and_b32_e32 v17, 7, v17
	v_cmp_gt_u32_e64 s[4:5], 8, v0
	v_cndmask_b32_e64 v0, v27, v18, s[4:5]
	v_cndmask_b32_e64 v17, v23, v17, s[4:5]
	v_lshlrev_b32_e32 v18, 24, v24
	v_bfrev_b32_e32 v23, 60
	v_lshlrev_b32_e32 v17, 20, v17
	v_and_b32_e32 v18, 0x80000000, v18
	v_lshl_add_u32 v0, v0, 23, v23
	v_or3_b32 v33, v18, v0, v17
.LBB311_64:                             ;   in Loop: Header=BB311_13 Depth=1
	s_or_b64 exec, exec, s[44:45]
.LBB311_65:                             ;   in Loop: Header=BB311_13 Depth=1
	s_or_b64 exec, exec, s[42:43]
.LBB311_66:                             ;   in Loop: Header=BB311_13 Depth=1
	s_or_b64 exec, exec, s[40:41]
	global_load_dword v23, v[21:22], off offset:512
	v_mov_b32_e32 v0, 0
	v_mov_b32_e32 v62, 0
	;; [unrolled: 1-line block ×3, first 2 shown]
	s_waitcnt vmcnt(0)
	v_cmp_ne_u16_sdwa s[4:5], v23, v0 src0_sel:BYTE_0 src1_sel:DWORD
	s_and_saveexec_b64 s[40:41], s[4:5]
	s_cbranch_execz .LBB311_72
; %bb.67:                               ;   in Loop: Header=BB311_13 Depth=1
	v_cmp_ne_u16_sdwa s[4:5], v23, s52 src0_sel:BYTE_0 src1_sel:DWORD
	v_bfrev_b32_e32 v42, 1
	s_and_saveexec_b64 s[42:43], s[4:5]
	s_cbranch_execz .LBB311_71
; %bb.68:                               ;   in Loop: Header=BB311_13 Depth=1
	v_and_b32_e32 v0, 0x7f, v23
	v_cmp_ne_u32_e64 s[4:5], s53, v0
	v_mov_b32_e32 v42, 0x7f800001
	s_and_saveexec_b64 s[44:45], s[4:5]
	s_cbranch_execz .LBB311_70
; %bb.69:                               ;   in Loop: Header=BB311_13 Depth=1
	v_and_b32_e32 v24, 7, v23
	v_ffbh_u32_e32 v17, v24
	v_min_u32_e32 v28, 32, v17
	v_subrev_u32_e32 v17, 28, v28
	v_lshlrev_b64 v[17:18], v17, v[23:24]
	v_lshrrev_b32_e32 v27, 3, v0
	v_sub_u32_e32 v18, 29, v28
	v_and_b32_e32 v17, 7, v17
	v_cmp_gt_u32_e64 s[4:5], 8, v0
	v_cndmask_b32_e64 v0, v27, v18, s[4:5]
	v_cndmask_b32_e64 v17, v24, v17, s[4:5]
	v_lshlrev_b32_e32 v18, 24, v23
	v_bfrev_b32_e32 v24, 60
	v_lshlrev_b32_e32 v17, 20, v17
	v_and_b32_e32 v18, 0x80000000, v18
	v_lshl_add_u32 v0, v0, 23, v24
	v_or3_b32 v42, v18, v0, v17
.LBB311_70:                             ;   in Loop: Header=BB311_13 Depth=1
	s_or_b64 exec, exec, s[44:45]
.LBB311_71:                             ;   in Loop: Header=BB311_13 Depth=1
	s_or_b64 exec, exec, s[42:43]
.LBB311_72:                             ;   in Loop: Header=BB311_13 Depth=1
	s_or_b64 exec, exec, s[40:41]
	v_lshrrev_b16_e32 v24, 8, v23
	v_cmp_ne_u16_e64 s[4:5], 0, v24
	s_and_saveexec_b64 s[40:41], s[4:5]
	s_cbranch_execz .LBB311_78
; %bb.73:                               ;   in Loop: Header=BB311_13 Depth=1
	v_cmp_ne_u16_e64 s[4:5], s52, v24
	v_bfrev_b32_e32 v62, 1
	s_and_saveexec_b64 s[42:43], s[4:5]
	s_cbranch_execz .LBB311_77
; %bb.74:                               ;   in Loop: Header=BB311_13 Depth=1
	v_and_b32_e32 v0, 0x7f, v24
	v_cmp_ne_u32_e64 s[4:5], s53, v0
	v_mov_b32_e32 v62, 0x7f800001
	s_and_saveexec_b64 s[44:45], s[4:5]
	s_cbranch_execz .LBB311_76
; %bb.75:                               ;   in Loop: Header=BB311_13 Depth=1
	v_and_b32_e32 v27, 7, v24
	v_ffbh_u32_e32 v17, v27
	v_min_u32_e32 v29, 32, v17
	v_subrev_u32_e32 v17, 28, v29
	v_lshlrev_b64 v[17:18], v17, v[24:25]
	v_lshrrev_b32_e32 v28, 3, v0
	v_sub_u32_e32 v18, 29, v29
	v_and_b32_e32 v17, 7, v17
	v_cmp_gt_u32_e64 s[4:5], 8, v0
	v_cndmask_b32_e64 v0, v28, v18, s[4:5]
	v_cndmask_b32_e64 v17, v27, v17, s[4:5]
	v_lshlrev_b32_e32 v18, 16, v23
	v_bfrev_b32_e32 v24, 60
	v_lshlrev_b32_e32 v17, 20, v17
	v_and_b32_e32 v18, 0x80000000, v18
	v_lshl_add_u32 v0, v0, 23, v24
	v_or3_b32 v62, v18, v0, v17
.LBB311_76:                             ;   in Loop: Header=BB311_13 Depth=1
	s_or_b64 exec, exec, s[44:45]
.LBB311_77:                             ;   in Loop: Header=BB311_13 Depth=1
	s_or_b64 exec, exec, s[42:43]
.LBB311_78:                             ;   in Loop: Header=BB311_13 Depth=1
	s_or_b64 exec, exec, s[40:41]
	v_lshrrev_b32_e32 v24, 16, v23
	v_mov_b32_e32 v0, 0
	v_cmp_ne_u16_sdwa s[4:5], v24, v0 src0_sel:BYTE_0 src1_sel:DWORD
	v_mov_b32_e32 v61, 0
	v_mov_b32_e32 v63, 0
	s_and_saveexec_b64 s[40:41], s[4:5]
	s_cbranch_execz .LBB311_84
; %bb.79:                               ;   in Loop: Header=BB311_13 Depth=1
	v_cmp_ne_u16_sdwa s[4:5], v24, s52 src0_sel:BYTE_0 src1_sel:DWORD
	v_bfrev_b32_e32 v63, 1
	s_and_saveexec_b64 s[42:43], s[4:5]
	s_cbranch_execz .LBB311_83
; %bb.80:                               ;   in Loop: Header=BB311_13 Depth=1
	v_bfe_u32 v0, v23, 16, 7
	v_cmp_ne_u32_e64 s[4:5], s53, v0
	v_mov_b32_e32 v63, 0x7f800001
	s_and_saveexec_b64 s[44:45], s[4:5]
	s_cbranch_execz .LBB311_82
; %bb.81:                               ;   in Loop: Header=BB311_13 Depth=1
	v_and_b32_e32 v27, 7, v24
	v_ffbh_u32_e32 v17, v27
	v_min_u32_e32 v29, 32, v17
	v_subrev_u32_e32 v17, 28, v29
	v_lshlrev_b64 v[17:18], v17, v[24:25]
	v_lshrrev_b32_e32 v28, 3, v0
	v_sub_u32_e32 v18, 29, v29
	v_and_b32_e32 v17, 7, v17
	v_cmp_gt_u32_e64 s[4:5], 8, v0
	v_cndmask_b32_e64 v0, v28, v18, s[4:5]
	v_cndmask_b32_e64 v17, v27, v17, s[4:5]
	v_lshlrev_b32_e32 v18, 24, v24
	v_bfrev_b32_e32 v24, 60
	v_lshlrev_b32_e32 v17, 20, v17
	v_and_b32_e32 v18, 0x80000000, v18
	v_lshl_add_u32 v0, v0, 23, v24
	v_or3_b32 v63, v18, v0, v17
.LBB311_82:                             ;   in Loop: Header=BB311_13 Depth=1
	s_or_b64 exec, exec, s[44:45]
.LBB311_83:                             ;   in Loop: Header=BB311_13 Depth=1
	s_or_b64 exec, exec, s[42:43]
.LBB311_84:                             ;   in Loop: Header=BB311_13 Depth=1
	s_or_b64 exec, exec, s[40:41]
	v_cmp_lt_u32_e64 s[4:5], s54, v23
	s_and_saveexec_b64 s[40:41], s[4:5]
	s_cbranch_execz .LBB311_90
; %bb.85:                               ;   in Loop: Header=BB311_13 Depth=1
	v_lshrrev_b32_e32 v24, 24, v23
	v_cmp_ne_u32_e64 s[4:5], s52, v24
	v_bfrev_b32_e32 v61, 1
	s_and_saveexec_b64 s[42:43], s[4:5]
	s_cbranch_execz .LBB311_89
; %bb.86:                               ;   in Loop: Header=BB311_13 Depth=1
	v_bfe_u32 v0, v23, 24, 7
	v_cmp_ne_u32_e64 s[4:5], s53, v0
	v_mov_b32_e32 v61, 0x7f800001
	s_and_saveexec_b64 s[44:45], s[4:5]
	s_cbranch_execz .LBB311_88
; %bb.87:                               ;   in Loop: Header=BB311_13 Depth=1
	v_and_b32_e32 v23, 7, v24
	v_ffbh_u32_e32 v17, v23
	v_min_u32_e32 v28, 32, v17
	v_subrev_u32_e32 v17, 28, v28
	v_lshlrev_b64 v[17:18], v17, v[24:25]
	v_lshrrev_b32_e32 v27, 3, v0
	v_sub_u32_e32 v18, 29, v28
	v_and_b32_e32 v17, 7, v17
	v_cmp_gt_u32_e64 s[4:5], 8, v0
	v_cndmask_b32_e64 v0, v27, v18, s[4:5]
	v_cndmask_b32_e64 v17, v23, v17, s[4:5]
	v_lshlrev_b32_e32 v18, 24, v24
	v_bfrev_b32_e32 v23, 60
	v_lshlrev_b32_e32 v17, 20, v17
	v_and_b32_e32 v18, 0x80000000, v18
	v_lshl_add_u32 v0, v0, 23, v23
	v_or3_b32 v61, v18, v0, v17
.LBB311_88:                             ;   in Loop: Header=BB311_13 Depth=1
	s_or_b64 exec, exec, s[44:45]
.LBB311_89:                             ;   in Loop: Header=BB311_13 Depth=1
	s_or_b64 exec, exec, s[42:43]
.LBB311_90:                             ;   in Loop: Header=BB311_13 Depth=1
	s_or_b64 exec, exec, s[40:41]
	global_load_dword v23, v[21:22], off offset:520
	v_mov_b32_e32 v0, 0
	v_mov_b32_e32 v54, 0
	;; [unrolled: 1-line block ×3, first 2 shown]
	s_waitcnt vmcnt(0)
	v_cmp_ne_u16_sdwa s[4:5], v23, v0 src0_sel:BYTE_0 src1_sel:DWORD
	s_and_saveexec_b64 s[40:41], s[4:5]
	s_cbranch_execz .LBB311_96
; %bb.91:                               ;   in Loop: Header=BB311_13 Depth=1
	v_cmp_ne_u16_sdwa s[4:5], v23, s52 src0_sel:BYTE_0 src1_sel:DWORD
	v_bfrev_b32_e32 v53, 1
	s_and_saveexec_b64 s[42:43], s[4:5]
	s_cbranch_execz .LBB311_95
; %bb.92:                               ;   in Loop: Header=BB311_13 Depth=1
	v_and_b32_e32 v0, 0x7f, v23
	v_cmp_ne_u32_e64 s[4:5], s53, v0
	v_mov_b32_e32 v53, 0x7f800001
	s_and_saveexec_b64 s[44:45], s[4:5]
	s_cbranch_execz .LBB311_94
; %bb.93:                               ;   in Loop: Header=BB311_13 Depth=1
	v_and_b32_e32 v24, 7, v23
	v_ffbh_u32_e32 v17, v24
	v_min_u32_e32 v28, 32, v17
	v_subrev_u32_e32 v17, 28, v28
	v_lshlrev_b64 v[17:18], v17, v[23:24]
	v_lshrrev_b32_e32 v27, 3, v0
	v_sub_u32_e32 v18, 29, v28
	v_and_b32_e32 v17, 7, v17
	v_cmp_gt_u32_e64 s[4:5], 8, v0
	v_cndmask_b32_e64 v0, v27, v18, s[4:5]
	v_cndmask_b32_e64 v17, v24, v17, s[4:5]
	v_lshlrev_b32_e32 v18, 24, v23
	v_bfrev_b32_e32 v24, 60
	v_lshlrev_b32_e32 v17, 20, v17
	v_and_b32_e32 v18, 0x80000000, v18
	v_lshl_add_u32 v0, v0, 23, v24
	v_or3_b32 v53, v18, v0, v17
.LBB311_94:                             ;   in Loop: Header=BB311_13 Depth=1
	s_or_b64 exec, exec, s[44:45]
.LBB311_95:                             ;   in Loop: Header=BB311_13 Depth=1
	s_or_b64 exec, exec, s[42:43]
.LBB311_96:                             ;   in Loop: Header=BB311_13 Depth=1
	s_or_b64 exec, exec, s[40:41]
	v_lshrrev_b16_e32 v24, 8, v23
	v_cmp_ne_u16_e64 s[4:5], 0, v24
	s_and_saveexec_b64 s[40:41], s[4:5]
	s_cbranch_execz .LBB311_102
; %bb.97:                               ;   in Loop: Header=BB311_13 Depth=1
	v_cmp_ne_u16_e64 s[4:5], s52, v24
	v_bfrev_b32_e32 v54, 1
	s_and_saveexec_b64 s[42:43], s[4:5]
	s_cbranch_execz .LBB311_101
; %bb.98:                               ;   in Loop: Header=BB311_13 Depth=1
	v_and_b32_e32 v0, 0x7f, v24
	v_cmp_ne_u32_e64 s[4:5], s53, v0
	v_mov_b32_e32 v54, 0x7f800001
	s_and_saveexec_b64 s[44:45], s[4:5]
	s_cbranch_execz .LBB311_100
; %bb.99:                               ;   in Loop: Header=BB311_13 Depth=1
	v_and_b32_e32 v27, 7, v24
	v_ffbh_u32_e32 v17, v27
	v_min_u32_e32 v29, 32, v17
	v_subrev_u32_e32 v17, 28, v29
	v_lshlrev_b64 v[17:18], v17, v[24:25]
	v_lshrrev_b32_e32 v28, 3, v0
	v_sub_u32_e32 v18, 29, v29
	v_and_b32_e32 v17, 7, v17
	v_cmp_gt_u32_e64 s[4:5], 8, v0
	v_cndmask_b32_e64 v0, v28, v18, s[4:5]
	v_cndmask_b32_e64 v17, v27, v17, s[4:5]
	v_lshlrev_b32_e32 v18, 16, v23
	v_bfrev_b32_e32 v24, 60
	v_lshlrev_b32_e32 v17, 20, v17
	v_and_b32_e32 v18, 0x80000000, v18
	v_lshl_add_u32 v0, v0, 23, v24
	v_or3_b32 v54, v18, v0, v17
.LBB311_100:                            ;   in Loop: Header=BB311_13 Depth=1
	s_or_b64 exec, exec, s[44:45]
.LBB311_101:                            ;   in Loop: Header=BB311_13 Depth=1
	s_or_b64 exec, exec, s[42:43]
.LBB311_102:                            ;   in Loop: Header=BB311_13 Depth=1
	s_or_b64 exec, exec, s[40:41]
	v_lshrrev_b32_e32 v24, 16, v23
	v_mov_b32_e32 v0, 0
	v_cmp_ne_u16_sdwa s[4:5], v24, v0 src0_sel:BYTE_0 src1_sel:DWORD
	v_mov_b32_e32 v55, 0
	v_mov_b32_e32 v56, 0
	s_and_saveexec_b64 s[40:41], s[4:5]
	s_cbranch_execz .LBB311_108
; %bb.103:                              ;   in Loop: Header=BB311_13 Depth=1
	v_cmp_ne_u16_sdwa s[4:5], v24, s52 src0_sel:BYTE_0 src1_sel:DWORD
	v_bfrev_b32_e32 v56, 1
	s_and_saveexec_b64 s[42:43], s[4:5]
	s_cbranch_execz .LBB311_107
; %bb.104:                              ;   in Loop: Header=BB311_13 Depth=1
	v_bfe_u32 v0, v23, 16, 7
	v_cmp_ne_u32_e64 s[4:5], s53, v0
	v_mov_b32_e32 v56, 0x7f800001
	s_and_saveexec_b64 s[44:45], s[4:5]
	s_cbranch_execz .LBB311_106
; %bb.105:                              ;   in Loop: Header=BB311_13 Depth=1
	v_and_b32_e32 v27, 7, v24
	v_ffbh_u32_e32 v17, v27
	v_min_u32_e32 v29, 32, v17
	v_subrev_u32_e32 v17, 28, v29
	v_lshlrev_b64 v[17:18], v17, v[24:25]
	v_lshrrev_b32_e32 v28, 3, v0
	v_sub_u32_e32 v18, 29, v29
	v_and_b32_e32 v17, 7, v17
	v_cmp_gt_u32_e64 s[4:5], 8, v0
	v_cndmask_b32_e64 v0, v28, v18, s[4:5]
	v_cndmask_b32_e64 v17, v27, v17, s[4:5]
	v_lshlrev_b32_e32 v18, 24, v24
	v_bfrev_b32_e32 v24, 60
	v_lshlrev_b32_e32 v17, 20, v17
	v_and_b32_e32 v18, 0x80000000, v18
	v_lshl_add_u32 v0, v0, 23, v24
	v_or3_b32 v56, v18, v0, v17
.LBB311_106:                            ;   in Loop: Header=BB311_13 Depth=1
	s_or_b64 exec, exec, s[44:45]
.LBB311_107:                            ;   in Loop: Header=BB311_13 Depth=1
	s_or_b64 exec, exec, s[42:43]
.LBB311_108:                            ;   in Loop: Header=BB311_13 Depth=1
	s_or_b64 exec, exec, s[40:41]
	v_cmp_lt_u32_e64 s[4:5], s54, v23
	s_and_saveexec_b64 s[40:41], s[4:5]
	s_cbranch_execz .LBB311_114
; %bb.109:                              ;   in Loop: Header=BB311_13 Depth=1
	v_lshrrev_b32_e32 v24, 24, v23
	v_cmp_ne_u32_e64 s[4:5], s52, v24
	v_bfrev_b32_e32 v55, 1
	s_and_saveexec_b64 s[42:43], s[4:5]
	s_cbranch_execz .LBB311_113
; %bb.110:                              ;   in Loop: Header=BB311_13 Depth=1
	v_bfe_u32 v0, v23, 24, 7
	v_cmp_ne_u32_e64 s[4:5], s53, v0
	v_mov_b32_e32 v55, 0x7f800001
	s_and_saveexec_b64 s[44:45], s[4:5]
	s_cbranch_execz .LBB311_112
; %bb.111:                              ;   in Loop: Header=BB311_13 Depth=1
	v_and_b32_e32 v23, 7, v24
	v_ffbh_u32_e32 v17, v23
	v_min_u32_e32 v28, 32, v17
	v_subrev_u32_e32 v17, 28, v28
	v_lshlrev_b64 v[17:18], v17, v[24:25]
	v_lshrrev_b32_e32 v27, 3, v0
	v_sub_u32_e32 v18, 29, v28
	v_and_b32_e32 v17, 7, v17
	v_cmp_gt_u32_e64 s[4:5], 8, v0
	v_cndmask_b32_e64 v0, v27, v18, s[4:5]
	v_cndmask_b32_e64 v17, v23, v17, s[4:5]
	v_lshlrev_b32_e32 v18, 24, v24
	v_bfrev_b32_e32 v23, 60
	v_lshlrev_b32_e32 v17, 20, v17
	v_and_b32_e32 v18, 0x80000000, v18
	v_lshl_add_u32 v0, v0, 23, v23
	v_or3_b32 v55, v18, v0, v17
.LBB311_112:                            ;   in Loop: Header=BB311_13 Depth=1
	s_or_b64 exec, exec, s[44:45]
.LBB311_113:                            ;   in Loop: Header=BB311_13 Depth=1
	s_or_b64 exec, exec, s[42:43]
.LBB311_114:                            ;   in Loop: Header=BB311_13 Depth=1
	s_or_b64 exec, exec, s[40:41]
	global_load_dword v23, v[21:22], off offset:1024
	v_mov_b32_e32 v0, 0
	v_mov_b32_e32 v31, 0
	;; [unrolled: 1-line block ×3, first 2 shown]
	s_waitcnt vmcnt(0)
	v_cmp_ne_u16_sdwa s[4:5], v23, v0 src0_sel:BYTE_0 src1_sel:DWORD
	s_and_saveexec_b64 s[40:41], s[4:5]
	s_cbranch_execz .LBB311_120
; %bb.115:                              ;   in Loop: Header=BB311_13 Depth=1
	v_cmp_ne_u16_sdwa s[4:5], v23, s52 src0_sel:BYTE_0 src1_sel:DWORD
	v_bfrev_b32_e32 v57, 1
	s_and_saveexec_b64 s[42:43], s[4:5]
	s_cbranch_execz .LBB311_119
; %bb.116:                              ;   in Loop: Header=BB311_13 Depth=1
	v_and_b32_e32 v0, 0x7f, v23
	v_cmp_ne_u32_e64 s[4:5], s53, v0
	v_mov_b32_e32 v57, 0x7f800001
	s_and_saveexec_b64 s[44:45], s[4:5]
	s_cbranch_execz .LBB311_118
; %bb.117:                              ;   in Loop: Header=BB311_13 Depth=1
	v_and_b32_e32 v24, 7, v23
	v_lshrrev_b32_e32 v27, 3, v0
	v_cmp_gt_u32_e64 s[4:5], 8, v0
	v_ffbh_u32_e32 v0, v24
	v_min_u32_e32 v0, 32, v0
	v_subrev_u32_e32 v17, 28, v0
	v_lshlrev_b64 v[17:18], v17, v[23:24]
	v_sub_u32_e32 v0, 29, v0
	v_and_b32_e32 v17, 7, v17
	v_cndmask_b32_e64 v0, v27, v0, s[4:5]
	v_cndmask_b32_e64 v17, v24, v17, s[4:5]
	v_lshlrev_b32_e32 v18, 24, v23
	v_bfrev_b32_e32 v24, 60
	v_lshlrev_b32_e32 v17, 20, v17
	v_and_b32_e32 v18, 0x80000000, v18
	v_lshl_add_u32 v0, v0, 23, v24
	v_or3_b32 v57, v18, v0, v17
.LBB311_118:                            ;   in Loop: Header=BB311_13 Depth=1
	s_or_b64 exec, exec, s[44:45]
.LBB311_119:                            ;   in Loop: Header=BB311_13 Depth=1
	s_or_b64 exec, exec, s[42:43]
.LBB311_120:                            ;   in Loop: Header=BB311_13 Depth=1
	s_or_b64 exec, exec, s[40:41]
	v_lshrrev_b16_e32 v24, 8, v23
	v_cmp_ne_u16_e64 s[4:5], 0, v24
	s_and_saveexec_b64 s[40:41], s[4:5]
	s_cbranch_execz .LBB311_126
; %bb.121:                              ;   in Loop: Header=BB311_13 Depth=1
	v_cmp_ne_u16_e64 s[4:5], s52, v24
	v_bfrev_b32_e32 v31, 1
	s_and_saveexec_b64 s[42:43], s[4:5]
	s_cbranch_execz .LBB311_125
; %bb.122:                              ;   in Loop: Header=BB311_13 Depth=1
	v_and_b32_e32 v0, 0x7f, v24
	v_cmp_ne_u32_e64 s[4:5], s53, v0
	v_mov_b32_e32 v31, 0x7f800001
	s_and_saveexec_b64 s[44:45], s[4:5]
	s_cbranch_execz .LBB311_124
; %bb.123:                              ;   in Loop: Header=BB311_13 Depth=1
	v_and_b32_e32 v27, 7, v24
	v_lshrrev_b32_e32 v28, 3, v0
	v_cmp_gt_u32_e64 s[4:5], 8, v0
	v_ffbh_u32_e32 v0, v27
	v_min_u32_e32 v0, 32, v0
	v_subrev_u32_e32 v17, 28, v0
	v_lshlrev_b64 v[17:18], v17, v[24:25]
	v_sub_u32_e32 v0, 29, v0
	v_and_b32_e32 v17, 7, v17
	v_cndmask_b32_e64 v0, v28, v0, s[4:5]
	v_cndmask_b32_e64 v17, v27, v17, s[4:5]
	v_lshlrev_b32_e32 v18, 16, v23
	v_bfrev_b32_e32 v24, 60
	v_lshlrev_b32_e32 v17, 20, v17
	v_and_b32_e32 v18, 0x80000000, v18
	v_lshl_add_u32 v0, v0, 23, v24
	v_or3_b32 v31, v18, v0, v17
.LBB311_124:                            ;   in Loop: Header=BB311_13 Depth=1
	s_or_b64 exec, exec, s[44:45]
.LBB311_125:                            ;   in Loop: Header=BB311_13 Depth=1
	s_or_b64 exec, exec, s[42:43]
.LBB311_126:                            ;   in Loop: Header=BB311_13 Depth=1
	s_or_b64 exec, exec, s[40:41]
	v_lshrrev_b32_e32 v24, 16, v23
	v_mov_b32_e32 v0, 0
	v_cmp_ne_u16_sdwa s[4:5], v24, v0 src0_sel:BYTE_0 src1_sel:DWORD
	v_mov_b32_e32 v59, 0
	v_mov_b32_e32 v60, 0
	s_and_saveexec_b64 s[40:41], s[4:5]
	s_cbranch_execz .LBB311_132
; %bb.127:                              ;   in Loop: Header=BB311_13 Depth=1
	v_cmp_ne_u16_sdwa s[4:5], v24, s52 src0_sel:BYTE_0 src1_sel:DWORD
	v_bfrev_b32_e32 v60, 1
	s_and_saveexec_b64 s[42:43], s[4:5]
	s_cbranch_execz .LBB311_131
; %bb.128:                              ;   in Loop: Header=BB311_13 Depth=1
	v_bfe_u32 v0, v23, 16, 7
	v_cmp_ne_u32_e64 s[4:5], s53, v0
	v_mov_b32_e32 v60, 0x7f800001
	s_and_saveexec_b64 s[44:45], s[4:5]
	s_cbranch_execz .LBB311_130
; %bb.129:                              ;   in Loop: Header=BB311_13 Depth=1
	v_and_b32_e32 v27, 7, v24
	v_lshrrev_b32_e32 v28, 3, v0
	v_cmp_gt_u32_e64 s[4:5], 8, v0
	v_ffbh_u32_e32 v0, v27
	v_min_u32_e32 v0, 32, v0
	v_subrev_u32_e32 v17, 28, v0
	v_lshlrev_b64 v[17:18], v17, v[24:25]
	v_sub_u32_e32 v0, 29, v0
	v_and_b32_e32 v17, 7, v17
	v_cndmask_b32_e64 v0, v28, v0, s[4:5]
	v_cndmask_b32_e64 v17, v27, v17, s[4:5]
	v_lshlrev_b32_e32 v18, 24, v24
	v_bfrev_b32_e32 v24, 60
	v_lshlrev_b32_e32 v17, 20, v17
	v_and_b32_e32 v18, 0x80000000, v18
	v_lshl_add_u32 v0, v0, 23, v24
	v_or3_b32 v60, v18, v0, v17
.LBB311_130:                            ;   in Loop: Header=BB311_13 Depth=1
	s_or_b64 exec, exec, s[44:45]
.LBB311_131:                            ;   in Loop: Header=BB311_13 Depth=1
	s_or_b64 exec, exec, s[42:43]
.LBB311_132:                            ;   in Loop: Header=BB311_13 Depth=1
	s_or_b64 exec, exec, s[40:41]
	v_cmp_lt_u32_e64 s[4:5], s54, v23
	s_and_saveexec_b64 s[40:41], s[4:5]
	s_cbranch_execz .LBB311_138
; %bb.133:                              ;   in Loop: Header=BB311_13 Depth=1
	v_lshrrev_b32_e32 v24, 24, v23
	v_cmp_ne_u32_e64 s[4:5], s52, v24
	v_bfrev_b32_e32 v59, 1
	s_and_saveexec_b64 s[42:43], s[4:5]
	s_cbranch_execz .LBB311_137
; %bb.134:                              ;   in Loop: Header=BB311_13 Depth=1
	v_bfe_u32 v0, v23, 24, 7
	v_cmp_ne_u32_e64 s[4:5], s53, v0
	v_mov_b32_e32 v59, 0x7f800001
	s_and_saveexec_b64 s[44:45], s[4:5]
	s_cbranch_execz .LBB311_136
; %bb.135:                              ;   in Loop: Header=BB311_13 Depth=1
	v_and_b32_e32 v23, 7, v24
	v_lshrrev_b32_e32 v27, 3, v0
	v_cmp_gt_u32_e64 s[4:5], 8, v0
	v_ffbh_u32_e32 v0, v23
	v_min_u32_e32 v0, 32, v0
	v_subrev_u32_e32 v17, 28, v0
	v_lshlrev_b64 v[17:18], v17, v[24:25]
	v_sub_u32_e32 v0, 29, v0
	v_and_b32_e32 v17, 7, v17
	v_cndmask_b32_e64 v0, v27, v0, s[4:5]
	v_cndmask_b32_e64 v17, v23, v17, s[4:5]
	v_lshlrev_b32_e32 v18, 24, v24
	v_bfrev_b32_e32 v23, 60
	v_lshlrev_b32_e32 v17, 20, v17
	v_and_b32_e32 v18, 0x80000000, v18
	v_lshl_add_u32 v0, v0, 23, v23
	v_or3_b32 v59, v18, v0, v17
.LBB311_136:                            ;   in Loop: Header=BB311_13 Depth=1
	s_or_b64 exec, exec, s[44:45]
.LBB311_137:                            ;   in Loop: Header=BB311_13 Depth=1
	s_or_b64 exec, exec, s[42:43]
.LBB311_138:                            ;   in Loop: Header=BB311_13 Depth=1
	s_or_b64 exec, exec, s[40:41]
	global_load_dword v23, v[21:22], off offset:1032
	v_mov_b32_e32 v0, 0
	buffer_store_dword v0, off, s[60:63], 0 offset:4 ; 4-byte Folded Spill
	v_mov_b32_e32 v0, 0
	v_mov_b32_e32 v32, 0
	s_waitcnt vmcnt(1)
	v_cmp_ne_u16_sdwa s[4:5], v23, v0 src0_sel:BYTE_0 src1_sel:DWORD
	s_and_saveexec_b64 s[40:41], s[4:5]
	s_cbranch_execz .LBB311_144
; %bb.139:                              ;   in Loop: Header=BB311_13 Depth=1
	v_cmp_ne_u16_sdwa s[4:5], v23, s52 src0_sel:BYTE_0 src1_sel:DWORD
	v_bfrev_b32_e32 v32, 1
	s_and_saveexec_b64 s[42:43], s[4:5]
	s_cbranch_execz .LBB311_143
; %bb.140:                              ;   in Loop: Header=BB311_13 Depth=1
	v_and_b32_e32 v0, 0x7f, v23
	v_cmp_ne_u32_e64 s[4:5], s53, v0
	v_mov_b32_e32 v32, 0x7f800001
	s_and_saveexec_b64 s[44:45], s[4:5]
	s_cbranch_execz .LBB311_142
; %bb.141:                              ;   in Loop: Header=BB311_13 Depth=1
	v_and_b32_e32 v24, 7, v23
	v_lshrrev_b32_e32 v27, 3, v0
	v_cmp_gt_u32_e64 s[4:5], 8, v0
	v_ffbh_u32_e32 v0, v24
	v_min_u32_e32 v0, 32, v0
	v_subrev_u32_e32 v17, 28, v0
	v_lshlrev_b64 v[17:18], v17, v[23:24]
	v_sub_u32_e32 v0, 29, v0
	v_and_b32_e32 v17, 7, v17
	v_cndmask_b32_e64 v0, v27, v0, s[4:5]
	v_cndmask_b32_e64 v17, v24, v17, s[4:5]
	v_lshlrev_b32_e32 v18, 24, v23
	v_bfrev_b32_e32 v24, 60
	v_lshlrev_b32_e32 v17, 20, v17
	v_and_b32_e32 v18, 0x80000000, v18
	v_lshl_add_u32 v0, v0, 23, v24
	v_or3_b32 v32, v18, v0, v17
.LBB311_142:                            ;   in Loop: Header=BB311_13 Depth=1
	s_or_b64 exec, exec, s[44:45]
.LBB311_143:                            ;   in Loop: Header=BB311_13 Depth=1
	s_or_b64 exec, exec, s[42:43]
.LBB311_144:                            ;   in Loop: Header=BB311_13 Depth=1
	s_or_b64 exec, exec, s[40:41]
	v_lshrrev_b16_e32 v24, 8, v23
	v_cmp_ne_u16_e64 s[4:5], 0, v24
	s_and_saveexec_b64 s[40:41], s[4:5]
	s_cbranch_execz .LBB311_150
; %bb.145:                              ;   in Loop: Header=BB311_13 Depth=1
	v_cmp_ne_u16_e64 s[4:5], s52, v24
	v_bfrev_b32_e32 v0, 1
	buffer_store_dword v0, off, s[60:63], 0 offset:4 ; 4-byte Folded Spill
	s_and_saveexec_b64 s[42:43], s[4:5]
	s_cbranch_execz .LBB311_149
; %bb.146:                              ;   in Loop: Header=BB311_13 Depth=1
	v_and_b32_e32 v0, 0x7f, v24
	v_cmp_ne_u32_e64 s[4:5], s53, v0
	v_mov_b32_e32 v17, 0x7f800001
	buffer_store_dword v17, off, s[60:63], 0 offset:4 ; 4-byte Folded Spill
	s_and_saveexec_b64 s[44:45], s[4:5]
	s_cbranch_execz .LBB311_148
; %bb.147:                              ;   in Loop: Header=BB311_13 Depth=1
	v_and_b32_e32 v27, 7, v24
	v_lshrrev_b32_e32 v28, 3, v0
	v_cmp_gt_u32_e64 s[4:5], 8, v0
	v_ffbh_u32_e32 v0, v27
	v_min_u32_e32 v0, 32, v0
	v_subrev_u32_e32 v17, 28, v0
	v_lshlrev_b64 v[17:18], v17, v[24:25]
	v_sub_u32_e32 v0, 29, v0
	v_and_b32_e32 v17, 7, v17
	v_cndmask_b32_e64 v0, v28, v0, s[4:5]
	v_cndmask_b32_e64 v17, v27, v17, s[4:5]
	v_lshlrev_b32_e32 v18, 16, v23
	v_bfrev_b32_e32 v24, 60
	v_lshlrev_b32_e32 v17, 20, v17
	v_and_b32_e32 v18, 0x80000000, v18
	v_lshl_add_u32 v0, v0, 23, v24
	v_or3_b32 v0, v18, v0, v17
	buffer_store_dword v0, off, s[60:63], 0 offset:4 ; 4-byte Folded Spill
.LBB311_148:                            ;   in Loop: Header=BB311_13 Depth=1
	s_or_b64 exec, exec, s[44:45]
.LBB311_149:                            ;   in Loop: Header=BB311_13 Depth=1
	s_or_b64 exec, exec, s[42:43]
.LBB311_150:                            ;   in Loop: Header=BB311_13 Depth=1
	s_or_b64 exec, exec, s[40:41]
	v_lshrrev_b32_e32 v24, 16, v23
	v_mov_b32_e32 v0, 0
	v_cmp_ne_u16_sdwa s[4:5], v24, v0 src0_sel:BYTE_0 src1_sel:DWORD
	v_mov_b32_e32 v58, 0
	v_mov_b32_e32 v28, 0
	s_and_saveexec_b64 s[40:41], s[4:5]
	s_cbranch_execz .LBB311_156
; %bb.151:                              ;   in Loop: Header=BB311_13 Depth=1
	v_cmp_ne_u16_sdwa s[4:5], v24, s52 src0_sel:BYTE_0 src1_sel:DWORD
	v_bfrev_b32_e32 v28, 1
	s_and_saveexec_b64 s[42:43], s[4:5]
	s_cbranch_execz .LBB311_155
; %bb.152:                              ;   in Loop: Header=BB311_13 Depth=1
	v_bfe_u32 v0, v23, 16, 7
	v_cmp_ne_u32_e64 s[4:5], s53, v0
	v_mov_b32_e32 v28, 0x7f800001
	s_and_saveexec_b64 s[44:45], s[4:5]
	s_cbranch_execz .LBB311_154
; %bb.153:                              ;   in Loop: Header=BB311_13 Depth=1
	v_and_b32_e32 v27, 7, v24
	v_lshrrev_b32_e32 v28, 3, v0
	v_cmp_gt_u32_e64 s[4:5], 8, v0
	v_ffbh_u32_e32 v0, v27
	v_min_u32_e32 v0, 32, v0
	v_subrev_u32_e32 v17, 28, v0
	v_lshlrev_b64 v[17:18], v17, v[24:25]
	v_sub_u32_e32 v0, 29, v0
	v_and_b32_e32 v17, 7, v17
	v_cndmask_b32_e64 v0, v28, v0, s[4:5]
	v_cndmask_b32_e64 v17, v27, v17, s[4:5]
	v_lshlrev_b32_e32 v18, 24, v24
	v_bfrev_b32_e32 v24, 60
	v_lshlrev_b32_e32 v17, 20, v17
	v_and_b32_e32 v18, 0x80000000, v18
	v_lshl_add_u32 v0, v0, 23, v24
	v_or3_b32 v28, v18, v0, v17
.LBB311_154:                            ;   in Loop: Header=BB311_13 Depth=1
	s_or_b64 exec, exec, s[44:45]
.LBB311_155:                            ;   in Loop: Header=BB311_13 Depth=1
	s_or_b64 exec, exec, s[42:43]
.LBB311_156:                            ;   in Loop: Header=BB311_13 Depth=1
	s_or_b64 exec, exec, s[40:41]
	v_cmp_lt_u32_e64 s[4:5], s54, v23
	s_and_saveexec_b64 s[40:41], s[4:5]
	s_cbranch_execz .LBB311_162
; %bb.157:                              ;   in Loop: Header=BB311_13 Depth=1
	v_lshrrev_b32_e32 v24, 24, v23
	v_cmp_ne_u32_e64 s[4:5], s52, v24
	v_bfrev_b32_e32 v58, 1
	s_and_saveexec_b64 s[42:43], s[4:5]
	s_cbranch_execz .LBB311_161
; %bb.158:                              ;   in Loop: Header=BB311_13 Depth=1
	v_bfe_u32 v0, v23, 24, 7
	v_cmp_ne_u32_e64 s[4:5], s53, v0
	v_mov_b32_e32 v58, 0x7f800001
	s_and_saveexec_b64 s[44:45], s[4:5]
	s_cbranch_execz .LBB311_160
; %bb.159:                              ;   in Loop: Header=BB311_13 Depth=1
	v_and_b32_e32 v23, 7, v24
	v_lshrrev_b32_e32 v27, 3, v0
	v_cmp_gt_u32_e64 s[4:5], 8, v0
	v_ffbh_u32_e32 v0, v23
	v_min_u32_e32 v0, 32, v0
	v_subrev_u32_e32 v17, 28, v0
	v_lshlrev_b64 v[17:18], v17, v[24:25]
	v_sub_u32_e32 v0, 29, v0
	v_and_b32_e32 v17, 7, v17
	v_cndmask_b32_e64 v0, v27, v0, s[4:5]
	v_cndmask_b32_e64 v17, v23, v17, s[4:5]
	v_lshlrev_b32_e32 v18, 24, v24
	v_bfrev_b32_e32 v23, 60
	v_lshlrev_b32_e32 v17, 20, v17
	v_and_b32_e32 v18, 0x80000000, v18
	v_lshl_add_u32 v0, v0, 23, v23
	v_or3_b32 v58, v18, v0, v17
.LBB311_160:                            ;   in Loop: Header=BB311_13 Depth=1
	s_or_b64 exec, exec, s[44:45]
.LBB311_161:                            ;   in Loop: Header=BB311_13 Depth=1
	s_or_b64 exec, exec, s[42:43]
.LBB311_162:                            ;   in Loop: Header=BB311_13 Depth=1
	s_or_b64 exec, exec, s[40:41]
	global_load_dword v23, v[21:22], off offset:1536
	v_mov_b32_e32 v0, 0
	v_mov_b32_e32 v29, 0
	;; [unrolled: 1-line block ×3, first 2 shown]
	s_waitcnt vmcnt(0)
	v_cmp_ne_u16_sdwa s[4:5], v23, v0 src0_sel:BYTE_0 src1_sel:DWORD
	s_and_saveexec_b64 s[40:41], s[4:5]
	s_cbranch_execz .LBB311_168
; %bb.163:                              ;   in Loop: Header=BB311_13 Depth=1
	v_cmp_ne_u16_sdwa s[4:5], v23, s52 src0_sel:BYTE_0 src1_sel:DWORD
	v_bfrev_b32_e32 v27, 1
	s_and_saveexec_b64 s[42:43], s[4:5]
	s_cbranch_execz .LBB311_167
; %bb.164:                              ;   in Loop: Header=BB311_13 Depth=1
	v_and_b32_e32 v0, 0x7f, v23
	v_cmp_ne_u32_e64 s[4:5], s53, v0
	v_mov_b32_e32 v27, 0x7f800001
	s_and_saveexec_b64 s[44:45], s[4:5]
	s_cbranch_execz .LBB311_166
; %bb.165:                              ;   in Loop: Header=BB311_13 Depth=1
	v_and_b32_e32 v24, 7, v23
	v_lshrrev_b32_e32 v27, 3, v0
	v_cmp_gt_u32_e64 s[4:5], 8, v0
	v_ffbh_u32_e32 v0, v24
	v_min_u32_e32 v0, 32, v0
	v_subrev_u32_e32 v17, 28, v0
	v_lshlrev_b64 v[17:18], v17, v[23:24]
	v_sub_u32_e32 v0, 29, v0
	v_and_b32_e32 v17, 7, v17
	v_cndmask_b32_e64 v0, v27, v0, s[4:5]
	v_cndmask_b32_e64 v17, v24, v17, s[4:5]
	v_lshlrev_b32_e32 v18, 24, v23
	v_bfrev_b32_e32 v24, 60
	v_lshlrev_b32_e32 v17, 20, v17
	v_and_b32_e32 v18, 0x80000000, v18
	v_lshl_add_u32 v0, v0, 23, v24
	v_or3_b32 v27, v18, v0, v17
.LBB311_166:                            ;   in Loop: Header=BB311_13 Depth=1
	s_or_b64 exec, exec, s[44:45]
.LBB311_167:                            ;   in Loop: Header=BB311_13 Depth=1
	s_or_b64 exec, exec, s[42:43]
.LBB311_168:                            ;   in Loop: Header=BB311_13 Depth=1
	s_or_b64 exec, exec, s[40:41]
	v_lshrrev_b16_e32 v24, 8, v23
	v_cmp_ne_u16_e64 s[4:5], 0, v24
	s_and_saveexec_b64 s[40:41], s[4:5]
	s_cbranch_execz .LBB311_174
; %bb.169:                              ;   in Loop: Header=BB311_13 Depth=1
	v_cmp_ne_u16_e64 s[4:5], s52, v24
	v_bfrev_b32_e32 v29, 1
	s_and_saveexec_b64 s[42:43], s[4:5]
	s_cbranch_execz .LBB311_173
; %bb.170:                              ;   in Loop: Header=BB311_13 Depth=1
	v_and_b32_e32 v0, 0x7f, v24
	v_cmp_ne_u32_e64 s[4:5], s53, v0
	v_mov_b32_e32 v29, 0x7f800001
	s_and_saveexec_b64 s[44:45], s[4:5]
	s_cbranch_execz .LBB311_172
; %bb.171:                              ;   in Loop: Header=BB311_13 Depth=1
	v_and_b32_e32 v29, 7, v24
	v_lshrrev_b32_e32 v30, 3, v0
	v_cmp_gt_u32_e64 s[4:5], 8, v0
	v_ffbh_u32_e32 v0, v29
	v_min_u32_e32 v0, 32, v0
	v_subrev_u32_e32 v17, 28, v0
	v_lshlrev_b64 v[17:18], v17, v[24:25]
	v_sub_u32_e32 v0, 29, v0
	v_and_b32_e32 v17, 7, v17
	v_cndmask_b32_e64 v0, v30, v0, s[4:5]
	v_cndmask_b32_e64 v17, v29, v17, s[4:5]
	v_lshlrev_b32_e32 v18, 16, v23
	v_bfrev_b32_e32 v24, 60
	v_lshlrev_b32_e32 v17, 20, v17
	v_and_b32_e32 v18, 0x80000000, v18
	v_lshl_add_u32 v0, v0, 23, v24
	v_or3_b32 v29, v18, v0, v17
.LBB311_172:                            ;   in Loop: Header=BB311_13 Depth=1
	s_or_b64 exec, exec, s[44:45]
.LBB311_173:                            ;   in Loop: Header=BB311_13 Depth=1
	s_or_b64 exec, exec, s[42:43]
.LBB311_174:                            ;   in Loop: Header=BB311_13 Depth=1
	s_or_b64 exec, exec, s[40:41]
	v_lshrrev_b32_e32 v24, 16, v23
	v_mov_b32_e32 v0, 0
	v_mov_b32_e32 v30, 0
	;; [unrolled: 1-line block ×3, first 2 shown]
	v_cmp_ne_u16_sdwa s[4:5], v24, v0 src0_sel:BYTE_0 src1_sel:DWORD
	s_mov_b64 s[40:41], exec
	s_and_b64 s[4:5], s[40:41], s[4:5]
	buffer_store_dword v57, off, s[60:63], 0 offset:24 ; 4-byte Folded Spill
	buffer_store_dword v31, off, s[60:63], 0 offset:28 ; 4-byte Folded Spill
	v_mov_b32_e32 v57, v32
	s_mov_b64 exec, s[4:5]
	s_cbranch_execz .LBB311_180
; %bb.175:                              ;   in Loop: Header=BB311_13 Depth=1
	v_cmp_ne_u16_sdwa s[4:5], v24, s52 src0_sel:BYTE_0 src1_sel:DWORD
	v_bfrev_b32_e32 v35, 1
	s_and_saveexec_b64 s[42:43], s[4:5]
	s_cbranch_execz .LBB311_179
; %bb.176:                              ;   in Loop: Header=BB311_13 Depth=1
	v_bfe_u32 v0, v23, 16, 7
	v_cmp_ne_u32_e64 s[4:5], s53, v0
	v_mov_b32_e32 v35, 0x7f800001
	s_and_saveexec_b64 s[44:45], s[4:5]
	s_cbranch_execz .LBB311_178
; %bb.177:                              ;   in Loop: Header=BB311_13 Depth=1
	v_and_b32_e32 v31, 7, v24
	v_lshrrev_b32_e32 v32, 3, v0
	v_cmp_gt_u32_e64 s[4:5], 8, v0
	v_ffbh_u32_e32 v0, v31
	v_min_u32_e32 v0, 32, v0
	v_subrev_u32_e32 v17, 28, v0
	v_lshlrev_b64 v[17:18], v17, v[24:25]
	v_sub_u32_e32 v0, 29, v0
	v_and_b32_e32 v17, 7, v17
	v_cndmask_b32_e64 v0, v32, v0, s[4:5]
	v_cndmask_b32_e64 v17, v31, v17, s[4:5]
	v_lshlrev_b32_e32 v18, 24, v24
	v_bfrev_b32_e32 v24, 60
	v_lshlrev_b32_e32 v17, 20, v17
	v_and_b32_e32 v18, 0x80000000, v18
	v_lshl_add_u32 v0, v0, 23, v24
	v_or3_b32 v35, v18, v0, v17
.LBB311_178:                            ;   in Loop: Header=BB311_13 Depth=1
	s_or_b64 exec, exec, s[44:45]
.LBB311_179:                            ;   in Loop: Header=BB311_13 Depth=1
	s_or_b64 exec, exec, s[42:43]
.LBB311_180:                            ;   in Loop: Header=BB311_13 Depth=1
	s_or_b64 exec, exec, s[40:41]
	v_cmp_lt_u32_e64 s[4:5], s54, v23
	s_and_saveexec_b64 s[40:41], s[4:5]
	s_cbranch_execz .LBB311_186
; %bb.181:                              ;   in Loop: Header=BB311_13 Depth=1
	v_lshrrev_b32_e32 v24, 24, v23
	v_cmp_ne_u32_e64 s[4:5], s52, v24
	v_bfrev_b32_e32 v30, 1
	s_and_saveexec_b64 s[42:43], s[4:5]
	s_cbranch_execz .LBB311_185
; %bb.182:                              ;   in Loop: Header=BB311_13 Depth=1
	v_bfe_u32 v0, v23, 24, 7
	v_cmp_ne_u32_e64 s[4:5], s53, v0
	v_mov_b32_e32 v30, 0x7f800001
	s_and_saveexec_b64 s[44:45], s[4:5]
	s_cbranch_execz .LBB311_184
; %bb.183:                              ;   in Loop: Header=BB311_13 Depth=1
	v_and_b32_e32 v23, 7, v24
	v_lshrrev_b32_e32 v30, 3, v0
	v_cmp_gt_u32_e64 s[4:5], 8, v0
	v_ffbh_u32_e32 v0, v23
	v_min_u32_e32 v0, 32, v0
	v_subrev_u32_e32 v17, 28, v0
	v_lshlrev_b64 v[17:18], v17, v[24:25]
	v_sub_u32_e32 v0, 29, v0
	v_and_b32_e32 v17, 7, v17
	v_cndmask_b32_e64 v0, v30, v0, s[4:5]
	v_cndmask_b32_e64 v17, v23, v17, s[4:5]
	v_lshlrev_b32_e32 v18, 24, v24
	v_bfrev_b32_e32 v23, 60
	v_lshlrev_b32_e32 v17, 20, v17
	v_and_b32_e32 v18, 0x80000000, v18
	v_lshl_add_u32 v0, v0, 23, v23
	v_or3_b32 v30, v18, v0, v17
.LBB311_184:                            ;   in Loop: Header=BB311_13 Depth=1
	s_or_b64 exec, exec, s[44:45]
.LBB311_185:                            ;   in Loop: Header=BB311_13 Depth=1
	s_or_b64 exec, exec, s[42:43]
.LBB311_186:                            ;   in Loop: Header=BB311_13 Depth=1
	s_or_b64 exec, exec, s[40:41]
	global_load_dword v21, v[21:22], off offset:1544
	v_mov_b32_e32 v0, 0
	v_mov_b32_e32 v44, 0
	v_mov_b32_e32 v43, 0
	s_waitcnt vmcnt(0)
	v_cmp_ne_u16_sdwa s[4:5], v21, v0 src0_sel:BYTE_0 src1_sel:DWORD
	s_and_saveexec_b64 s[40:41], s[4:5]
	s_cbranch_execz .LBB311_192
; %bb.187:                              ;   in Loop: Header=BB311_13 Depth=1
	v_cmp_ne_u16_sdwa s[4:5], v21, s52 src0_sel:BYTE_0 src1_sel:DWORD
	v_bfrev_b32_e32 v43, 1
	s_and_saveexec_b64 s[42:43], s[4:5]
	s_cbranch_execz .LBB311_191
; %bb.188:                              ;   in Loop: Header=BB311_13 Depth=1
	v_and_b32_e32 v0, 0x7f, v21
	v_cmp_ne_u32_e64 s[4:5], s53, v0
	v_mov_b32_e32 v43, 0x7f800001
	s_and_saveexec_b64 s[44:45], s[4:5]
	s_cbranch_execz .LBB311_190
; %bb.189:                              ;   in Loop: Header=BB311_13 Depth=1
	v_and_b32_e32 v22, 7, v21
	v_lshrrev_b32_e32 v23, 3, v0
	v_cmp_gt_u32_e64 s[4:5], 8, v0
	v_ffbh_u32_e32 v0, v22
	v_min_u32_e32 v0, 32, v0
	v_subrev_u32_e32 v17, 28, v0
	v_lshlrev_b64 v[17:18], v17, v[21:22]
	v_sub_u32_e32 v0, 29, v0
	v_and_b32_e32 v17, 7, v17
	v_cndmask_b32_e64 v0, v23, v0, s[4:5]
	v_cndmask_b32_e64 v17, v22, v17, s[4:5]
	v_lshlrev_b32_e32 v18, 24, v21
	v_bfrev_b32_e32 v22, 60
	v_lshlrev_b32_e32 v17, 20, v17
	v_and_b32_e32 v18, 0x80000000, v18
	v_lshl_add_u32 v0, v0, 23, v22
	v_or3_b32 v43, v18, v0, v17
.LBB311_190:                            ;   in Loop: Header=BB311_13 Depth=1
	s_or_b64 exec, exec, s[44:45]
.LBB311_191:                            ;   in Loop: Header=BB311_13 Depth=1
	s_or_b64 exec, exec, s[42:43]
.LBB311_192:                            ;   in Loop: Header=BB311_13 Depth=1
	s_or_b64 exec, exec, s[40:41]
	v_lshrrev_b16_e32 v22, 8, v21
	v_cmp_ne_u16_e64 s[4:5], 0, v22
	s_and_saveexec_b64 s[40:41], s[4:5]
	s_cbranch_execz .LBB311_198
; %bb.193:                              ;   in Loop: Header=BB311_13 Depth=1
	v_cmp_ne_u16_e64 s[4:5], s52, v22
	v_bfrev_b32_e32 v44, 1
	s_and_saveexec_b64 s[42:43], s[4:5]
	s_cbranch_execz .LBB311_197
; %bb.194:                              ;   in Loop: Header=BB311_13 Depth=1
	v_and_b32_e32 v0, 0x7f, v22
	v_cmp_ne_u32_e64 s[4:5], s53, v0
	v_mov_b32_e32 v44, 0x7f800001
	s_and_saveexec_b64 s[44:45], s[4:5]
	s_cbranch_execz .LBB311_196
; %bb.195:                              ;   in Loop: Header=BB311_13 Depth=1
	v_and_b32_e32 v23, 7, v22
	v_lshrrev_b32_e32 v24, 3, v0
	v_cmp_gt_u32_e64 s[4:5], 8, v0
	v_ffbh_u32_e32 v0, v23
	v_min_u32_e32 v0, 32, v0
	v_subrev_u32_e32 v17, 28, v0
	v_lshlrev_b64 v[17:18], v17, v[22:23]
	v_sub_u32_e32 v0, 29, v0
	v_and_b32_e32 v17, 7, v17
	v_cndmask_b32_e64 v0, v24, v0, s[4:5]
	v_cndmask_b32_e64 v17, v23, v17, s[4:5]
	v_lshlrev_b32_e32 v18, 16, v21
	v_bfrev_b32_e32 v22, 60
	v_lshlrev_b32_e32 v17, 20, v17
	v_and_b32_e32 v18, 0x80000000, v18
	v_lshl_add_u32 v0, v0, 23, v22
	v_or3_b32 v44, v18, v0, v17
.LBB311_196:                            ;   in Loop: Header=BB311_13 Depth=1
	s_or_b64 exec, exec, s[44:45]
.LBB311_197:                            ;   in Loop: Header=BB311_13 Depth=1
	s_or_b64 exec, exec, s[42:43]
.LBB311_198:                            ;   in Loop: Header=BB311_13 Depth=1
	s_or_b64 exec, exec, s[40:41]
	v_lshrrev_b32_e32 v22, 16, v21
	v_mov_b32_e32 v0, 0
	v_cmp_ne_u16_sdwa s[4:5], v22, v0 src0_sel:BYTE_0 src1_sel:DWORD
	v_mov_b32_e32 v23, 0
	v_mov_b32_e32 v24, 0
	s_and_saveexec_b64 s[40:41], s[4:5]
	s_cbranch_execz .LBB311_204
; %bb.199:                              ;   in Loop: Header=BB311_13 Depth=1
	v_cmp_ne_u16_sdwa s[4:5], v22, s52 src0_sel:BYTE_0 src1_sel:DWORD
	v_bfrev_b32_e32 v24, 1
	s_and_saveexec_b64 s[42:43], s[4:5]
	s_cbranch_execz .LBB311_203
; %bb.200:                              ;   in Loop: Header=BB311_13 Depth=1
	v_bfe_u32 v0, v21, 16, 7
	v_cmp_ne_u32_e64 s[4:5], s53, v0
	v_mov_b32_e32 v24, 0x7f800001
	s_and_saveexec_b64 s[44:45], s[4:5]
	s_cbranch_execz .LBB311_202
; %bb.201:                              ;   in Loop: Header=BB311_13 Depth=1
	v_and_b32_e32 v24, 7, v22
	v_lshrrev_b32_e32 v31, 3, v0
	v_cmp_gt_u32_e64 s[4:5], 8, v0
	v_ffbh_u32_e32 v0, v24
	v_min_u32_e32 v0, 32, v0
	v_subrev_u32_e32 v17, 28, v0
	v_lshlrev_b64 v[17:18], v17, v[22:23]
	v_sub_u32_e32 v0, 29, v0
	v_and_b32_e32 v17, 7, v17
	v_cndmask_b32_e64 v0, v31, v0, s[4:5]
	v_cndmask_b32_e64 v17, v24, v17, s[4:5]
	v_lshlrev_b32_e32 v18, 24, v22
	v_bfrev_b32_e32 v22, 60
	v_lshlrev_b32_e32 v17, 20, v17
	v_and_b32_e32 v18, 0x80000000, v18
	v_lshl_add_u32 v0, v0, 23, v22
	v_or3_b32 v24, v18, v0, v17
.LBB311_202:                            ;   in Loop: Header=BB311_13 Depth=1
	s_or_b64 exec, exec, s[44:45]
.LBB311_203:                            ;   in Loop: Header=BB311_13 Depth=1
	s_or_b64 exec, exec, s[42:43]
.LBB311_204:                            ;   in Loop: Header=BB311_13 Depth=1
	s_or_b64 exec, exec, s[40:41]
	buffer_store_dword v26, off, s[60:63], 0 offset:20 ; 4-byte Folded Spill
	v_mov_b32_e32 v26, v38
	buffer_store_dword v36, off, s[60:63], 0 offset:12 ; 4-byte Folded Spill
	v_mov_b32_e32 v36, v33
	v_cmp_lt_u32_e64 s[4:5], s54, v21
	s_and_saveexec_b64 s[40:41], s[4:5]
	s_cbranch_execz .LBB311_210
; %bb.205:                              ;   in Loop: Header=BB311_13 Depth=1
	v_lshrrev_b32_e32 v22, 24, v21
	v_cmp_ne_u32_e64 s[4:5], s52, v22
	v_bfrev_b32_e32 v23, 1
	s_and_saveexec_b64 s[42:43], s[4:5]
	s_cbranch_execz .LBB311_209
; %bb.206:                              ;   in Loop: Header=BB311_13 Depth=1
	v_bfe_u32 v0, v21, 24, 7
	v_cmp_ne_u32_e64 s[4:5], s53, v0
	v_mov_b32_e32 v23, 0x7f800001
	s_and_saveexec_b64 s[44:45], s[4:5]
	s_cbranch_execz .LBB311_208
; %bb.207:                              ;   in Loop: Header=BB311_13 Depth=1
	v_and_b32_e32 v21, 7, v22
	v_lshrrev_b32_e32 v23, 3, v0
	v_cmp_gt_u32_e64 s[4:5], 8, v0
	v_ffbh_u32_e32 v0, v21
	v_min_u32_e32 v0, 32, v0
	v_subrev_u32_e32 v17, 28, v0
	v_lshlrev_b64 v[17:18], v17, v[22:23]
	v_sub_u32_e32 v0, 29, v0
	v_and_b32_e32 v17, 7, v17
	v_cndmask_b32_e64 v0, v23, v0, s[4:5]
	v_cndmask_b32_e64 v17, v21, v17, s[4:5]
	v_lshlrev_b32_e32 v18, 24, v22
	v_bfrev_b32_e32 v21, 60
	v_lshlrev_b32_e32 v17, 20, v17
	v_and_b32_e32 v18, 0x80000000, v18
	v_lshl_add_u32 v0, v0, 23, v21
	v_or3_b32 v23, v18, v0, v17
.LBB311_208:                            ;   in Loop: Header=BB311_13 Depth=1
	s_or_b64 exec, exec, s[44:45]
.LBB311_209:                            ;   in Loop: Header=BB311_13 Depth=1
	s_or_b64 exec, exec, s[42:43]
.LBB311_210:                            ;   in Loop: Header=BB311_13 Depth=1
	s_or_b64 exec, exec, s[40:41]
	s_waitcnt lgkmcnt(0)
	v_lshlrev_b32_e32 v0, 16, v7
	buffer_store_dword v0, off, s[60:63], 0 offset:36 ; 4-byte Folded Spill
	v_lshlrev_b32_e32 v0, 16, v8
	buffer_store_dword v0, off, s[60:63], 0 offset:32 ; 4-byte Folded Spill
	v_lshlrev_b32_e32 v0, 16, v4
	buffer_store_dword v0, off, s[60:63], 0 offset:40 ; 4-byte Folded Spill
	v_and_b32_e32 v0, 0xffff0000, v4
	buffer_store_dword v0, off, s[60:63], 0 offset:44 ; 4-byte Folded Spill
	buffer_load_dword v0, off, s[60:63], 0 offset:4 ; 4-byte Folded Reload
	v_lshlrev_b32_e32 v31, 16, v16
	v_and_b32_e32 v49, 0xffff0000, v16
	v_and_b32_e32 v32, 0xffff0000, v7
	;; [unrolled: 1-line block ×3, first 2 shown]
	v_lshlrev_b32_e32 v7, 16, v9
	v_lshlrev_b32_e32 v16, 16, v10
	v_and_b32_e32 v33, 0xffff0000, v9
	v_and_b32_e32 v8, 0xffff0000, v10
	v_lshlrev_b32_e32 v9, 16, v1
	v_lshlrev_b32_e32 v21, 16, v2
	;; [unrolled: 1-line block ×3, first 2 shown]
	v_and_b32_e32 v10, 0xffff0000, v1
	v_and_b32_e32 v1, 0xffff0000, v2
	;; [unrolled: 1-line block ×3, first 2 shown]
	v_mul_f32_e32 v3, s56, v52
	v_bfe_u32 v4, v3, 16, 1
	v_lshlrev_b32_e32 v47, 16, v13
	v_lshlrev_b32_e32 v45, 16, v14
	;; [unrolled: 1-line block ×3, first 2 shown]
	v_and_b32_e32 v50, 0xffff0000, v13
	v_and_b32_e32 v46, 0xffff0000, v14
	;; [unrolled: 1-line block ×3, first 2 shown]
	v_lshlrev_b32_e32 v14, 16, v11
	v_lshlrev_b32_e32 v13, 16, v12
	v_and_b32_e32 v15, 0xffff0000, v11
	v_and_b32_e32 v11, 0xffff0000, v12
	v_add3_u32 v4, v4, v3, s55
	v_or_b32_e32 v12, 0x400000, v3
	v_cmp_u_f32_e64 s[4:5], v3, v3
	v_cndmask_b32_e64 v3, v4, v12, s[4:5]
	v_mul_f32_e32 v4, s56, v37
	v_bfe_u32 v12, v4, 16, 1
	v_add3_u32 v12, v12, v4, s55
	v_or_b32_e32 v52, 0x400000, v4
	v_cmp_u_f32_e64 s[4:5], v4, v4
	v_cndmask_b32_e64 v4, v12, v52, s[4:5]
	v_and_b32_e32 v3, 0xffff0000, v3
	v_mul_f32_e32 v3, v48, v3
	v_and_b32_e32 v4, 0xffff0000, v4
	v_fmac_f32_e32 v3, v47, v4
	v_mul_f32_e32 v4, s56, v41
	v_bfe_u32 v12, v4, 16, 1
	v_add3_u32 v12, v12, v4, s55
	v_or_b32_e32 v47, 0x400000, v4
	v_cmp_u_f32_e64 s[4:5], v4, v4
	v_cndmask_b32_e64 v4, v12, v47, s[4:5]
	v_mul_f32_e32 v12, s56, v25
	v_bfe_u32 v47, v12, 16, 1
	v_add3_u32 v47, v47, v12, s55
	v_or_b32_e32 v48, 0x400000, v12
	v_cmp_u_f32_e64 s[4:5], v12, v12
	v_cndmask_b32_e64 v12, v47, v48, s[4:5]
	v_and_b32_e32 v4, 0xffff0000, v4
	v_mul_f32_e32 v4, v51, v4
	v_and_b32_e32 v12, 0xffff0000, v12
	v_fmac_f32_e32 v4, v50, v12
	v_mul_f32_e32 v12, s56, v44
	v_bfe_u32 v44, v12, 16, 1
	v_add3_u32 v44, v44, v12, s55
	v_or_b32_e32 v47, 0x400000, v12
	v_cmp_u_f32_e64 s[4:5], v12, v12
	v_mul_f32_e32 v43, s56, v43
	v_cndmask_b32_e64 v12, v44, v47, s[4:5]
	v_bfe_u32 v44, v43, 16, 1
	v_add3_u32 v44, v44, v43, s55
	v_or_b32_e32 v47, 0x400000, v43
	v_cmp_u_f32_e64 s[4:5], v43, v43
	v_mul_f32_e32 v35, s56, v35
	v_cndmask_b32_e64 v43, v44, v47, s[4:5]
	;; [unrolled: 6-line block ×6, first 2 shown]
	v_bfe_u32 v44, v28, 16, 1
	v_add3_u32 v44, v44, v28, s55
	v_or_b32_e32 v47, 0x400000, v28
	v_cmp_u_f32_e64 s[4:5], v28, v28
	v_cndmask_b32_e64 v28, v44, v47, s[4:5]
	v_mul_f32_e32 v44, s56, v58
	v_bfe_u32 v47, v44, 16, 1
	v_add3_u32 v47, v47, v44, s55
	v_or_b32_e32 v48, 0x400000, v44
	v_cmp_u_f32_e64 s[4:5], v44, v44
	v_cndmask_b32_e64 v44, v47, v48, s[4:5]
	s_waitcnt vmcnt(0)
	v_mul_f32_e32 v47, s56, v0
	buffer_load_dword v0, off, s[60:63], 0 offset:28 ; 4-byte Folded Reload
	v_bfe_u32 v48, v47, 16, 1
	v_add3_u32 v48, v48, v47, s55
	v_or_b32_e32 v50, 0x400000, v47
	v_cmp_u_f32_e64 s[4:5], v47, v47
	v_cndmask_b32_e64 v47, v48, v50, s[4:5]
	v_mul_f32_e32 v48, s56, v57
	v_bfe_u32 v50, v48, 16, 1
	v_add3_u32 v50, v50, v48, s55
	v_or_b32_e32 v51, 0x400000, v48
	v_cmp_u_f32_e64 s[4:5], v48, v48
	v_cndmask_b32_e64 v48, v50, v51, s[4:5]
	v_mul_f32_e32 v50, s56, v60
	v_bfe_u32 v51, v50, 16, 1
	v_add3_u32 v51, v51, v50, s55
	v_or_b32_e32 v52, 0x400000, v50
	v_cmp_u_f32_e64 s[4:5], v50, v50
	v_mul_f32_e32 v50, s56, v59
	v_cndmask_b32_e64 v60, v51, v52, s[4:5]
	v_bfe_u32 v51, v50, 16, 1
	v_add3_u32 v51, v51, v50, s55
	v_or_b32_e32 v52, 0x400000, v50
	v_cmp_u_f32_e64 s[4:5], v50, v50
	v_cndmask_b32_e64 v59, v51, v52, s[4:5]
	v_lshlrev_b32_e32 v18, 16, v5
	v_and_b32_e32 v5, 0xffff0000, v5
	v_lshlrev_b32_e32 v17, 16, v6
	v_and_b32_e32 v6, 0xffff0000, v6
	v_mul_f32_e32 v24, s56, v24
	v_mul_f32_e32 v23, s56, v23
	s_waitcnt vmcnt(0)
	v_mul_f32_e32 v50, s56, v0
	buffer_load_dword v0, off, s[60:63], 0 offset:24 ; 4-byte Folded Reload
	v_bfe_u32 v51, v50, 16, 1
	v_add3_u32 v51, v51, v50, s55
	v_or_b32_e32 v52, 0x400000, v50
	v_cmp_u_f32_e64 s[4:5], v50, v50
	v_cndmask_b32_e64 v58, v51, v52, s[4:5]
	s_waitcnt vmcnt(0)
	v_mul_f32_e32 v50, s56, v0
	buffer_load_dword v0, off, s[60:63], 0 offset:20 ; 4-byte Folded Reload
	v_bfe_u32 v51, v50, 16, 1
	v_add3_u32 v51, v51, v50, s55
	v_or_b32_e32 v52, 0x400000, v50
	v_cmp_u_f32_e64 s[4:5], v50, v50
	v_mul_f32_e32 v50, s56, v56
	v_cndmask_b32_e64 v57, v51, v52, s[4:5]
	v_bfe_u32 v51, v50, 16, 1
	v_add3_u32 v51, v51, v50, s55
	v_or_b32_e32 v52, 0x400000, v50
	v_cmp_u_f32_e64 s[4:5], v50, v50
	v_mul_f32_e32 v50, s56, v55
	v_cndmask_b32_e64 v56, v51, v52, s[4:5]
	;; [unrolled: 6-line block ×7, first 2 shown]
	v_bfe_u32 v61, v50, 16, 1
	v_add3_u32 v61, v61, v50, s55
	v_or_b32_e32 v62, 0x400000, v50
	v_cmp_u_f32_e64 s[4:5], v50, v50
	v_cndmask_b32_e64 v50, v61, v62, s[4:5]
	v_mul_f32_e32 v61, s56, v42
	v_bfe_u32 v62, v61, 16, 1
	v_add3_u32 v62, v62, v61, s55
	v_or_b32_e32 v63, 0x400000, v61
	v_cmp_u_f32_e64 s[4:5], v61, v61
	v_cndmask_b32_e64 v61, v62, v63, s[4:5]
	v_mul_f32_e32 v62, s56, v26
	v_bfe_u32 v63, v62, 16, 1
	v_add3_u32 v63, v63, v62, s55
	v_or_b32_e32 v25, 0x400000, v62
	v_cmp_u_f32_e64 s[4:5], v62, v62
	v_mul_f32_e32 v62, s56, v36
	v_cndmask_b32_e64 v25, v63, v25, s[4:5]
	v_bfe_u32 v63, v62, 16, 1
	v_add3_u32 v63, v63, v62, s55
	v_or_b32_e32 v37, 0x400000, v62
	v_cmp_u_f32_e64 s[4:5], v62, v62
	buffer_load_dword v36, off, s[60:63], 0 offset:68 ; 4-byte Folded Reload
	v_and_b32_e32 v25, 0xffff0000, v25
	v_mul_f32_e32 v31, v31, v25
	v_and_b32_e32 v25, 0xffff0000, v50
	v_fmac_f32_e32 v4, v5, v25
	buffer_load_dword v5, off, s[60:63], 0 offset:36 ; 4-byte Folded Reload
	v_cndmask_b32_e64 v37, v63, v37, s[4:5]
	v_and_b32_e32 v37, 0xffff0000, v37
	s_waitcnt vmcnt(2)
	v_mul_f32_e32 v62, s56, v0
	buffer_load_dword v0, off, s[60:63], 0 offset:12 ; 4-byte Folded Reload
	v_bfe_u32 v63, v62, 16, 1
	v_add3_u32 v63, v63, v62, s55
	v_or_b32_e32 v26, 0x400000, v62
	v_cmp_u_f32_e64 s[4:5], v62, v62
	v_cndmask_b32_e64 v26, v63, v26, s[4:5]
	v_and_b32_e32 v26, 0xffff0000, v26
	v_fmac_f32_e32 v31, v45, v26
	v_mul_f32_e32 v45, v49, v37
	s_waitcnt vmcnt(0)
	v_mul_f32_e32 v62, s56, v0
	v_bfe_u32 v63, v62, 16, 1
	v_add3_u32 v63, v63, v62, s55
	v_or_b32_e32 v0, 0x400000, v62
	v_cmp_u_f32_e64 s[4:5], v62, v62
	v_cndmask_b32_e64 v0, v63, v0, s[4:5]
	v_and_b32_e32 v0, 0xffff0000, v0
	v_fmac_f32_e32 v45, v46, v0
	v_and_b32_e32 v0, 0xffff0000, v61
	v_fmac_f32_e32 v3, v18, v0
	;; [unrolled: 2-line block ×4, first 2 shown]
	buffer_load_dword v5, off, s[60:63], 0 offset:32 ; 4-byte Folded Reload
	v_and_b32_e32 v18, 0xffff0000, v51
	v_and_b32_e32 v17, 0xffff0000, v54
	v_fmac_f32_e32 v45, v6, v18
	v_fmac_f32_e32 v4, v32, v17
	v_and_b32_e32 v0, 0xffff0000, v56
	v_and_b32_e32 v17, 0xffff0000, v55
	v_fmac_f32_e32 v45, v38, v17
	v_and_b32_e32 v17, 0xffff0000, v58
	v_fmac_f32_e32 v4, v33, v17
	v_bfe_u32 v62, v24, 16, 1
	v_add3_u32 v62, v62, v24, s55
	v_or_b32_e32 v63, 0x400000, v24
	v_cmp_u_f32_e64 s[4:5], v24, v24
	v_cndmask_b32_e64 v24, v62, v63, s[4:5]
	v_bfe_u32 v62, v23, 16, 1
	v_add3_u32 v62, v62, v23, s55
	v_or_b32_e32 v63, 0x400000, v23
	v_cmp_u_f32_e64 s[4:5], v23, v23
	v_cndmask_b32_e64 v62, v62, v63, s[4:5]
	v_and_b32_e32 v23, 64, v36
	v_add_u32_e32 v23, 64, v23
	v_xor_b32_e32 v63, 1, v36
	v_cmp_lt_i32_e64 s[4:5], v63, v23
	v_cndmask_b32_e64 v23, v36, v63, s[4:5]
	v_lshlrev_b32_e32 v23, 2, v23
	s_waitcnt vmcnt(0)
	v_fmac_f32_e32 v31, v5, v0
	v_and_b32_e32 v5, 0xffff0000, v59
	v_fmac_f32_e32 v45, v8, v5
	v_and_b32_e32 v5, 0xffff0000, v47
	;; [unrolled: 2-line block ×5, first 2 shown]
	v_fmac_f32_e32 v45, v1, v5
	buffer_load_dword v1, off, s[60:63], 0 offset:40 ; 4-byte Folded Reload
	v_and_b32_e32 v0, 0xffff0000, v57
	v_fmac_f32_e32 v3, v7, v0
	v_and_b32_e32 v0, 0xffff0000, v60
	v_fmac_f32_e32 v31, v16, v0
	;; [unrolled: 2-line block ×7, first 2 shown]
	v_and_b32_e32 v0, 0xffff0000, v24
	v_and_b32_e32 v5, 0xffff0000, v12
	v_fmac_f32_e32 v4, v2, v5
	v_and_b32_e32 v2, 0xffff0000, v62
	s_waitcnt vmcnt(0)
	v_fmac_f32_e32 v31, v1, v0
	buffer_load_dword v0, off, s[60:63], 0 offset:44 ; 4-byte Folded Reload
	s_waitcnt vmcnt(0)
	v_fmac_f32_e32 v45, v0, v2
	v_add_f32_e32 v0, v3, v4
	v_add_f32_e32 v0, v0, v31
	;; [unrolled: 1-line block ×3, first 2 shown]
	ds_bpermute_b32 v1, v23, v0
	s_and_saveexec_b64 s[40:41], vcc
	s_cbranch_execz .LBB311_11
; %bb.211:                              ;   in Loop: Header=BB311_13 Depth=1
	buffer_load_dword v2, off, s[60:63], 0 offset:76 ; 4-byte Folded Reload
	buffer_load_dword v3, off, s[60:63], 0 offset:72 ; 4-byte Folded Reload
	s_waitcnt lgkmcnt(0)
	v_add_f32_e32 v0, v0, v1
	s_waitcnt vmcnt(1)
	v_add_u32_e32 v2, v2, v34
	v_cvt_f32_i32_e32 v2, v2
	v_mul_f32_e32 v1, s48, v2
	buffer_load_dword v2, off, s[60:63], 0 offset:52 ; 4-byte Folded Reload
	s_waitcnt vmcnt(1)
	v_add_u32_e32 v3, v3, v34
	v_cndmask_b32_e64 v1, 0, v1, s[2:3]
	v_fmac_f32_e32 v1, s37, v0
	v_cmp_gt_i32_e64 s[4:5], s33, v3
	v_cndmask_b32_e64 v0, 0, v1, s[4:5]
	ds_write_b32 v39, v0
	s_waitcnt vmcnt(0)
	v_max_f32_e32 v0, v2, v2
	v_max_f32_e32 v0, v0, v1
	v_cndmask_b32_e64 v2, v2, v0, s[4:5]
	buffer_store_dword v2, off, s[60:63], 0 offset:52 ; 4-byte Folded Spill
	s_branch .LBB311_11
.LBB311_212:
	s_or_b64 exec, exec, s[38:39]
	buffer_load_dword v12, off, s[60:63], 0 offset:84 ; 4-byte Folded Reload
	buffer_load_dword v13, off, s[60:63], 0 offset:88 ; 4-byte Folded Reload
	;; [unrolled: 1-line block ×3, first 2 shown]
	v_mbcnt_lo_u32_b32 v5, -1, 0
.LBB311_213:
	s_or_b64 exec, exec, s[18:19]
	v_mbcnt_hi_u32_b32 v0, -1, v5
	v_and_b32_e32 v7, 64, v0
	v_add_u32_e32 v8, 64, v7
	s_waitcnt lgkmcnt(0)
	v_xor_b32_e32 v1, 32, v0
	v_cmp_lt_i32_e32 vcc, v1, v8
	v_cndmask_b32_e32 v1, v0, v1, vcc
	v_lshlrev_b32_e32 v1, 2, v1
	s_waitcnt vmcnt(0)
	ds_bpermute_b32 v2, v1, v3
	v_xor_b32_e32 v4, 16, v0
	v_max_f32_e32 v3, v3, v3
	v_cmp_lt_i32_e32 vcc, v4, v8
	v_xor_b32_e32 v5, 8, v0
	s_waitcnt lgkmcnt(0)
	v_max_f32_e32 v2, v2, v2
	v_max_f32_e32 v3, v3, v2
	v_cndmask_b32_e32 v2, v0, v4, vcc
	v_lshlrev_b32_e32 v2, 2, v2
	ds_bpermute_b32 v4, v2, v3
	v_cmp_lt_i32_e32 vcc, v5, v8
	v_xor_b32_e32 v6, 4, v0
	v_xor_b32_e32 v9, 2, v0
	s_waitcnt lgkmcnt(0)
	v_max_f32_e32 v4, v4, v4
	v_max_f32_e32 v4, v3, v4
	v_cndmask_b32_e32 v3, v0, v5, vcc
	v_lshlrev_b32_e32 v3, 2, v3
	ds_bpermute_b32 v5, v3, v4
	v_cmp_lt_i32_e32 vcc, v6, v8
	s_waitcnt lgkmcnt(0)
	v_max_f32_e32 v5, v5, v5
	v_max_f32_e32 v5, v4, v5
	v_cndmask_b32_e32 v4, v0, v6, vcc
	v_lshlrev_b32_e32 v4, 2, v4
	ds_bpermute_b32 v6, v4, v5
	v_cmp_lt_i32_e32 vcc, v9, v8
	s_waitcnt lgkmcnt(0)
	v_max_f32_e32 v6, v6, v6
	v_max_f32_e32 v6, v5, v6
	v_cndmask_b32_e32 v5, v0, v9, vcc
	v_lshlrev_b32_e32 v15, 2, v5
	buffer_load_dword v5, off, s[60:63], 0 offset:48 ; 4-byte Folded Reload
	ds_bpermute_b32 v9, v15, v6
	s_waitcnt vmcnt(0)
	v_and_b32_e32 v14, 63, v5
	buffer_load_dword v5, off, s[60:63], 0  ; 4-byte Folded Reload
	v_cmp_eq_u32_e32 vcc, 0, v14
	s_waitcnt vmcnt(0)
	v_lshlrev_b32_e32 v5, 2, v5
	s_and_saveexec_b64 s[2:3], vcc
	s_cbranch_execz .LBB311_215
; %bb.214:
	s_waitcnt lgkmcnt(0)
	v_max_f32_e32 v9, v9, v9
	v_max_f32_e32 v6, v6, v6
	;; [unrolled: 1-line block ×3, first 2 shown]
	ds_write_b32 v5, v6 offset:128
.LBB311_215:
	s_or_b64 exec, exec, s[2:3]
	v_cmp_gt_u32_e64 s[2:3], 2, v14
	s_waitcnt lgkmcnt(0)
	v_mov_b32_e32 v9, 0xff7fffff
	v_lshlrev_b32_e32 v6, 2, v14
	s_barrier
	s_and_saveexec_b64 s[4:5], s[2:3]
; %bb.216:
	ds_read_b32 v9, v6 offset:128
; %bb.217:
	s_or_b64 exec, exec, s[4:5]
	v_xor_b32_e32 v10, 1, v0
	v_cmp_lt_i32_e64 s[4:5], v10, v8
	v_cndmask_b32_e64 v8, v0, v10, s[4:5]
	v_lshlrev_b32_e32 v16, 2, v8
	s_waitcnt lgkmcnt(0)
	ds_bpermute_b32 v8, v16, v9
	v_max_f32_e32 v9, v9, v9
	v_lshlrev_b32_e32 v7, 2, v7
	s_lshl_b32 s4, s47, 5
	s_min_i32 s37, s4, s33
	s_waitcnt lgkmcnt(0)
	v_max_f32_e32 v8, v8, v8
	v_max_f32_e32 v8, v9, v8
	ds_bpermute_b32 v8, v7, v8
	buffer_load_dword v7, off, s[60:63], 0 offset:48 ; 4-byte Folded Reload
	s_waitcnt vmcnt(0)
	v_cmp_gt_i32_e64 s[4:5], s37, v7
	v_mov_b32_e32 v7, 0
	s_and_saveexec_b64 s[12:13], s[4:5]
	s_cbranch_execz .LBB311_221
; %bb.218:
	buffer_load_dword v10, off, s[60:63], 0 offset:48 ; 4-byte Folded Reload
	v_mov_b32_e32 v7, 0x90
	s_mov_b64 s[18:19], 0
	s_waitcnt vmcnt(0)
	v_lshl_add_u32 v9, v10, 2, v7
	v_mov_b32_e32 v7, 0
.LBB311_219:                            ; =>This Inner Loop Header: Depth=1
	ds_read_b32 v11, v9
	v_add_u32_e32 v10, 0x80, v10
	v_cmp_le_i32_e64 s[6:7], s37, v10
	s_or_b64 s[18:19], s[6:7], s[18:19]
	s_waitcnt lgkmcnt(0)
	v_sub_f32_e32 v11, v11, v8
	v_mul_f32_e32 v11, 0x3fb8aa3b, v11
	v_exp_f32_e32 v11, v11
	ds_write_b32 v9, v11
	v_add_f32_e32 v7, v7, v11
	v_add_u32_e32 v9, 0x200, v9
	s_andn2_b64 exec, exec, s[18:19]
	s_cbranch_execnz .LBB311_219
; %bb.220:
	s_or_b64 exec, exec, s[18:19]
.LBB311_221:
	s_or_b64 exec, exec, s[12:13]
	ds_bpermute_b32 v1, v1, v7
	s_waitcnt lgkmcnt(0)
	v_add_f32_e32 v1, v7, v1
	ds_bpermute_b32 v2, v2, v1
	s_waitcnt lgkmcnt(0)
	v_add_f32_e32 v1, v1, v2
	;; [unrolled: 3-line block ×6, first 2 shown]
	s_and_saveexec_b64 s[6:7], vcc
; %bb.222:
	ds_write_b32 v5, v1 offset:136
; %bb.223:
	s_or_b64 exec, exec, s[6:7]
	s_waitcnt lgkmcnt(0)
	s_barrier
	s_and_saveexec_b64 s[6:7], s[2:3]
; %bb.224:
	ds_read_b32 v1, v6 offset:136
; %bb.225:
	s_or_b64 exec, exec, s[6:7]
	s_waitcnt lgkmcnt(0)
	ds_bpermute_b32 v2, v16, v1
	v_lshlrev_b32_e32 v0, 2, v0
	v_and_b32_e32 v0, 0x100, v0
	s_waitcnt lgkmcnt(0)
	v_add_f32_e32 v1, v1, v2
	ds_bpermute_b32 v0, v0, v1
	s_and_saveexec_b64 s[2:3], s[4:5]
	s_cbranch_execz .LBB311_228
; %bb.226:
	s_waitcnt lgkmcnt(0)
	v_add_f32_e32 v1, 0x358637bd, v0
	v_div_scale_f32 v0, s[4:5], v1, v1, 1.0
	v_div_scale_f32 v2, vcc, 1.0, v1, 1.0
	s_mov_b64 s[4:5], 0
	v_rcp_f32_e32 v3, v0
	v_fma_f32 v4, -v0, v3, 1.0
	v_fmac_f32_e32 v3, v4, v3
	v_mul_f32_e32 v4, v2, v3
	v_fma_f32 v5, -v0, v4, v2
	v_fmac_f32_e32 v4, v5, v3
	v_fma_f32 v0, -v0, v4, v2
	v_div_fmas_f32 v2, v0, v3, v4
	buffer_load_dword v3, off, s[60:63], 0 offset:48 ; 4-byte Folded Reload
	v_mov_b32_e32 v0, 0x90
	v_div_fixup_f32 v1, v2, v1, 1.0
	s_waitcnt vmcnt(0)
	v_lshl_add_u32 v0, v3, 2, v0
	v_mov_b32_e32 v2, v3
.LBB311_227:                            ; =>This Inner Loop Header: Depth=1
	ds_read_b32 v3, v0
	v_add_u32_e32 v2, 0x80, v2
	v_cmp_le_i32_e32 vcc, s37, v2
	s_or_b64 s[4:5], vcc, s[4:5]
	s_waitcnt lgkmcnt(0)
	v_mul_f32_e32 v3, v1, v3
	ds_write_b32 v0, v3
	v_add_u32_e32 v0, 0x200, v0
	s_andn2_b64 exec, exec, s[4:5]
	s_cbranch_execnz .LBB311_227
.LBB311_228:
	s_or_b64 exec, exec, s[2:3]
	s_waitcnt lgkmcnt(0)
	s_barrier
	buffer_load_dword v0, off, s[60:63], 0 offset:48 ; 4-byte Folded Reload
	v_mov_b32_e32 v31, 0
	v_mov_b32_e32 v32, 0
	;; [unrolled: 1-line block ×4, first 2 shown]
	s_waitcnt vmcnt(0)
	v_and_b32_e32 v11, 3, v0
	s_and_saveexec_b64 s[2:3], s[0:1]
	s_cbranch_execz .LBB311_434
; %bb.229:
	s_sub_i32 s37, s16, s21
	s_ashr_i32 s0, s20, 31
	s_add_u32 s1, s34, s20
	v_and_b32_e32 v1, 24, v12
	buffer_store_dword v16, off, s[60:63], 0 offset:28 ; 4-byte Folded Spill
	buffer_store_dword v15, off, s[60:63], 0 offset:24 ; 4-byte Folded Spill
	;; [unrolled: 1-line block ×3, first 2 shown]
	s_addc_u32 s0, s35, s0
	buffer_store_dword v1, off, s[60:63], 0 offset:8 ; 4-byte Folded Spill
	v_and_b32_e32 v1, 0x1f8, v12
	v_mov_b32_e32 v4, s0
	v_add_co_u32_e32 v5, vcc, s1, v1
	v_addc_co_u32_e32 v6, vcc, 0, v4, vcc
	s_abs_i32 s22, s22
	buffer_store_dword v5, off, s[60:63], 0 offset:12 ; 4-byte Folded Spill
	s_nop 0
	buffer_store_dword v6, off, s[60:63], 0 offset:16 ; 4-byte Folded Spill
	s_sub_i32 s6, 0, s22
	s_add_i32 s35, s47, -1
	s_lshl_b64 s[0:1], s[30:31], 2
	buffer_load_dword v1, off, s[60:63], 0  ; 4-byte Folded Reload
	v_and_b32_e32 v3, 60, v13
	s_add_u32 s0, s28, s0
	v_add_co_u32_e32 v13, vcc, s0, v3
	buffer_load_dword v3, off, s[60:63], 0 offset:80 ; 4-byte Folded Reload
	v_cvt_f32_u32_e32 v0, s22
	s_addc_u32 s1, s29, s1
	s_mov_b32 s4, -1
	s_mov_b32 s34, s17
	v_rcp_iflag_f32_e32 v0, v0
	s_mov_b32 s5, 0xffffff
	v_mov_b32_e32 v10, 0
	s_movk_i32 s28, 0x80
	v_mul_f32_e32 v0, 0x4f7ffffe, v0
	v_cvt_u32_f32_e32 v0, v0
	s_movk_i32 s29, 0x7f
	s_movk_i32 s30, 0x7fff
	v_mov_b32_e32 v29, 0
	v_mul_lo_u32 v2, s6, v0
	s_mov_b64 s[6:7], 0
	v_mov_b32_e32 v30, 0
	v_mov_b32_e32 v32, 0
	v_mul_hi_u32 v2, v0, v2
	v_mov_b32_e32 v31, 0
	buffer_store_dword v11, off, s[60:63], 0 offset:32 ; 4-byte Folded Spill
	v_add_u32_e32 v0, v0, v2
	buffer_store_dword v0, off, s[60:63], 0 offset:4 ; 4-byte Folded Spill
	v_mov_b32_e32 v0, s1
	v_addc_co_u32_e32 v14, vcc, 0, v0, vcc
	v_lshlrev_b32_e32 v0, 5, v11
	s_waitcnt vmcnt(3)
	v_lshl_or_b32 v0, v1, 7, v0
	v_add_u32_e32 v28, 0x90, v0
	s_branch .LBB311_232
.LBB311_230:                            ;   in Loop: Header=BB311_232 Depth=1
	s_or_b64 exec, exec, s[0:1]
	v_bfe_u32 v11, v5, 16, 1
	v_add3_u32 v11, v11, v5, s30
	v_or_b32_e32 v12, 0x400000, v5
	v_cmp_u_f32_e32 vcc, v5, v5
	v_cndmask_b32_e32 v5, v11, v12, vcc
	v_bfe_u32 v11, v6, 16, 1
	v_add3_u32 v11, v11, v6, s30
	v_or_b32_e32 v12, 0x400000, v6
	v_cmp_u_f32_e32 vcc, v6, v6
	v_cndmask_b32_e32 v6, v11, v12, vcc
	;; [unrolled: 5-line block ×4, first 2 shown]
	v_bfe_u32 v11, v1, 16, 1
	v_add3_u32 v11, v11, v1, s30
	v_or_b32_e32 v12, 0x400000, v1
	v_cmp_u_f32_e32 vcc, v1, v1
	v_bfe_u32 v1, v2, 16, 1
	v_cndmask_b32_e32 v11, v11, v12, vcc
	v_add3_u32 v1, v1, v2, s30
	v_or_b32_e32 v12, 0x400000, v2
	v_cmp_u_f32_e32 vcc, v2, v2
	v_cndmask_b32_e32 v12, v1, v12, vcc
	v_bfe_u32 v1, v3, 16, 1
	v_add3_u32 v1, v1, v3, s30
	v_or_b32_e32 v2, 0x400000, v3
	v_cmp_u_f32_e32 vcc, v3, v3
	v_cndmask_b32_e32 v22, v1, v2, vcc
	v_bfe_u32 v1, v4, 16, 1
	v_add3_u32 v1, v1, v4, s30
	v_or_b32_e32 v2, 0x400000, v4
	v_cmp_u_f32_e32 vcc, v4, v4
	v_cndmask_b32_e32 v4, v1, v2, vcc
	v_and_b32_e32 v1, 0xffff0000, v6
	v_lshlrev_b32_e32 v2, 16, v62
	v_mul_f32_e32 v2, v1, v2
	v_bfe_u32 v3, v2, 16, 1
	v_add3_u32 v3, v3, v2, s30
	v_or_b32_e32 v6, 0x400000, v2
	v_cmp_u_f32_e32 vcc, v2, v2
	v_and_b32_e32 v5, 0xffff0000, v5
	v_lshlrev_b32_e32 v2, 16, v63
	v_mul_f32_e32 v2, v5, v2
	v_cndmask_b32_e32 v24, v3, v6, vcc
	v_bfe_u32 v3, v2, 16, 1
	v_add3_u32 v3, v3, v2, s30
	v_or_b32_e32 v6, 0x400000, v2
	v_cmp_u_f32_e32 vcc, v2, v2
	v_cndmask_b32_e32 v25, v3, v6, vcc
	v_and_b32_e32 v2, 0xffff0000, v8
	v_lshlrev_b32_e32 v3, 16, v59
	v_mul_f32_e32 v3, v2, v3
	v_bfe_u32 v6, v3, 16, 1
	v_add3_u32 v6, v6, v3, s30
	v_or_b32_e32 v8, 0x400000, v3
	v_cmp_u_f32_e32 vcc, v3, v3
	v_cndmask_b32_e32 v26, v6, v8, vcc
	v_and_b32_e32 v6, 0xffff0000, v7
	v_lshlrev_b32_e32 v3, 16, v60
	v_mul_f32_e32 v3, v6, v3
	;; [unrolled: 8-line block ×4, first 2 shown]
	v_bfe_u32 v11, v8, 16, 1
	v_add3_u32 v11, v11, v8, s30
	v_or_b32_e32 v18, 0x400000, v8
	v_cmp_u_f32_e32 vcc, v8, v8
	v_and_b32_e32 v4, 0xffff0000, v4
	v_lshlrev_b32_e32 v8, 16, v61
	v_mul_f32_e32 v8, v4, v8
	v_cndmask_b32_e32 v11, v11, v18, vcc
	v_bfe_u32 v18, v8, 16, 1
	v_add3_u32 v18, v18, v8, s30
	v_or_b32_e32 v19, 0x400000, v8
	v_cmp_u_f32_e32 vcc, v8, v8
	v_cndmask_b32_e32 v18, v18, v19, vcc
	v_and_b32_e32 v8, 0xffff0000, v22
	v_lshlrev_b32_e32 v19, 16, v58
	v_mul_f32_e32 v19, v8, v19
	v_bfe_u32 v22, v19, 16, 1
	v_add3_u32 v22, v22, v19, s30
	v_or_b32_e32 v42, 0x400000, v19
	v_cmp_u_f32_e32 vcc, v19, v19
	v_cndmask_b32_e32 v19, v22, v42, vcc
	v_and_b32_e32 v22, 0xffff0000, v25
	v_and_b32_e32 v24, 0xffff0000, v24
	v_add_f32_e32 v22, v22, v24
	v_and_b32_e32 v24, 0xffff0000, v33
	v_and_b32_e32 v25, 0xffff0000, v26
	v_add_f32_e32 v24, v24, v25
	;; [unrolled: 3-line block ×3, first 2 shown]
	v_add_f32_e32 v11, v11, v12
	v_and_b32_e32 v12, 0xffff0000, v19
	v_and_b32_e32 v18, 0xffff0000, v18
	v_add_f32_e32 v11, v11, v22
	v_add_f32_e32 v12, v12, v18
	;; [unrolled: 1-line block ×4, first 2 shown]
	v_lshlrev_b32_e32 v11, 16, v56
	v_mul_f32_e32 v11, v1, v11
	v_bfe_u32 v12, v11, 16, 1
	v_add3_u32 v12, v12, v11, s30
	v_or_b32_e32 v18, 0x400000, v11
	v_cmp_u_f32_e32 vcc, v11, v11
	v_cndmask_b32_e32 v11, v12, v18, vcc
	v_lshlrev_b32_e32 v12, 16, v57
	v_mul_f32_e32 v12, v5, v12
	v_bfe_u32 v18, v12, 16, 1
	v_add3_u32 v18, v18, v12, s30
	v_or_b32_e32 v19, 0x400000, v12
	v_cmp_u_f32_e32 vcc, v12, v12
	v_cndmask_b32_e32 v12, v18, v19, vcc
	;; [unrolled: 7-line block ×7, first 2 shown]
	v_lshlrev_b32_e32 v26, 16, v52
	v_and_b32_e32 v12, 0xffff0000, v12
	v_and_b32_e32 v11, 0xffff0000, v11
	v_mul_f32_e32 v26, v8, v26
	v_add_f32_e32 v11, v12, v11
	v_and_b32_e32 v12, 0xffff0000, v19
	v_and_b32_e32 v18, 0xffff0000, v18
	v_bfe_u32 v33, v26, 16, 1
	v_add_f32_e32 v12, v12, v18
	v_add3_u32 v33, v33, v26, s30
	v_or_b32_e32 v42, 0x400000, v26
	v_cmp_u_f32_e32 vcc, v26, v26
	v_add_f32_e32 v11, v12, v11
	v_and_b32_e32 v12, 0xffff0000, v24
	v_and_b32_e32 v18, 0xffff0000, v22
	v_cndmask_b32_e32 v26, v33, v42, vcc
	v_add_f32_e32 v12, v12, v18
	v_add_f32_e32 v11, v12, v11
	v_and_b32_e32 v12, 0xffff0000, v26
	v_and_b32_e32 v18, 0xffff0000, v25
	v_add_f32_e32 v12, v12, v18
	v_add_f32_e32 v11, v12, v11
	;; [unrolled: 1-line block ×3, first 2 shown]
	v_lshlrev_b32_e32 v11, 16, v40
	v_mul_f32_e32 v11, v1, v11
	v_bfe_u32 v12, v11, 16, 1
	v_add3_u32 v12, v12, v11, s30
	v_or_b32_e32 v18, 0x400000, v11
	v_cmp_u_f32_e32 vcc, v11, v11
	v_cndmask_b32_e32 v11, v12, v18, vcc
	v_lshlrev_b32_e32 v12, 16, v41
	v_mul_f32_e32 v12, v5, v12
	v_bfe_u32 v18, v12, 16, 1
	v_add3_u32 v18, v18, v12, s30
	v_or_b32_e32 v19, 0x400000, v12
	v_cmp_u_f32_e32 vcc, v12, v12
	v_cndmask_b32_e32 v12, v18, v19, vcc
	;; [unrolled: 7-line block ×7, first 2 shown]
	v_lshlrev_b32_e32 v26, 16, v36
	v_and_b32_e32 v12, 0xffff0000, v12
	v_and_b32_e32 v11, 0xffff0000, v11
	v_mul_f32_e32 v26, v8, v26
	v_add_f32_e32 v11, v12, v11
	v_and_b32_e32 v12, 0xffff0000, v19
	v_and_b32_e32 v18, 0xffff0000, v18
	v_bfe_u32 v33, v26, 16, 1
	v_add_f32_e32 v12, v12, v18
	v_add3_u32 v33, v33, v26, s30
	v_or_b32_e32 v34, 0x400000, v26
	v_cmp_u_f32_e32 vcc, v26, v26
	v_add_f32_e32 v11, v12, v11
	v_and_b32_e32 v12, 0xffff0000, v24
	v_and_b32_e32 v18, 0xffff0000, v22
	v_cndmask_b32_e32 v26, v33, v34, vcc
	v_add_f32_e32 v12, v12, v18
	v_add_f32_e32 v11, v12, v11
	v_and_b32_e32 v12, 0xffff0000, v26
	v_and_b32_e32 v18, 0xffff0000, v25
	v_add_f32_e32 v12, v12, v18
	v_add_f32_e32 v11, v12, v11
	;; [unrolled: 1-line block ×3, first 2 shown]
	v_lshlrev_b32_e32 v11, 16, v23
	v_mul_f32_e32 v5, v5, v11
	v_bfe_u32 v11, v5, 16, 1
	v_add3_u32 v11, v11, v5, s30
	v_or_b32_e32 v12, 0x400000, v5
	v_cmp_u_f32_e32 vcc, v5, v5
	v_cndmask_b32_e32 v5, v11, v12, vcc
	v_lshlrev_b32_e32 v11, 16, v21
	v_mul_f32_e32 v1, v1, v11
	v_bfe_u32 v11, v1, 16, 1
	v_add3_u32 v11, v11, v1, s30
	v_or_b32_e32 v12, 0x400000, v1
	v_cmp_u_f32_e32 vcc, v1, v1
	v_cndmask_b32_e32 v1, v11, v12, vcc
	v_lshlrev_b32_e32 v11, 16, v20
	v_mul_f32_e32 v6, v6, v11
	v_bfe_u32 v11, v6, 16, 1
	v_add3_u32 v11, v11, v6, s30
	v_or_b32_e32 v12, 0x400000, v6
	v_cmp_u_f32_e32 vcc, v6, v6
	v_cndmask_b32_e32 v6, v11, v12, vcc
	v_lshlrev_b32_e32 v11, 16, v16
	v_mul_f32_e32 v2, v2, v11
	v_bfe_u32 v11, v2, 16, 1
	v_add3_u32 v11, v11, v2, s30
	v_or_b32_e32 v12, 0x400000, v2
	v_cmp_u_f32_e32 vcc, v2, v2
	v_cndmask_b32_e32 v2, v11, v12, vcc
	v_lshlrev_b32_e32 v11, 16, v15
	v_mul_f32_e32 v7, v7, v11
	v_lshlrev_b32_e32 v9, 16, v9
	v_bfe_u32 v11, v7, 16, 1
	v_mul_f32_e32 v3, v3, v9
	v_lshlrev_b32_e32 v0, 16, v0
	v_add3_u32 v11, v11, v7, s30
	v_or_b32_e32 v12, 0x400000, v7
	v_cmp_u_f32_e32 vcc, v7, v7
	v_bfe_u32 v9, v3, 16, 1
	v_mul_f32_e32 v0, v8, v0
	v_cndmask_b32_e32 v7, v11, v12, vcc
	v_add3_u32 v9, v9, v3, s30
	v_or_b32_e32 v11, 0x400000, v3
	v_cmp_u_f32_e32 vcc, v3, v3
	v_bfe_u32 v8, v0, 16, 1
	v_cndmask_b32_e32 v3, v9, v11, vcc
	v_add3_u32 v8, v8, v0, s30
	v_or_b32_e32 v9, 0x400000, v0
	v_cmp_u_f32_e32 vcc, v0, v0
	v_cndmask_b32_e32 v0, v8, v9, vcc
	v_lshlrev_b32_e32 v8, 16, v17
	v_and_b32_e32 v1, 0xffff0000, v1
	v_and_b32_e32 v5, 0xffff0000, v5
	v_mul_f32_e32 v4, v4, v8
	v_add_f32_e32 v1, v5, v1
	v_and_b32_e32 v2, 0xffff0000, v2
	v_and_b32_e32 v5, 0xffff0000, v6
	v_bfe_u32 v8, v4, 16, 1
	v_add_f32_e32 v2, v5, v2
	v_add3_u32 v8, v8, v4, s30
	v_or_b32_e32 v9, 0x400000, v4
	v_cmp_u_f32_e32 vcc, v4, v4
	v_add_f32_e32 v1, v2, v1
	v_and_b32_e32 v2, 0xffff0000, v3
	v_and_b32_e32 v3, 0xffff0000, v7
	v_cndmask_b32_e32 v4, v8, v9, vcc
	v_add_f32_e32 v2, v3, v2
	v_add_f32_e32 v1, v2, v1
	v_and_b32_e32 v2, 0xffff0000, v4
	v_and_b32_e32 v0, 0xffff0000, v0
	v_add_f32_e32 v0, v0, v2
	v_add_f32_e32 v0, v0, v1
	;; [unrolled: 1-line block ×3, first 2 shown]
.LBB311_231:                            ;   in Loop: Header=BB311_232 Depth=1
	s_or_b64 exec, exec, s[12:13]
	buffer_load_dword v0, off, s[60:63], 0  ; 4-byte Folded Reload
	v_add_co_u32_e32 v13, vcc, 8, v13
	v_addc_co_u32_e32 v14, vcc, 0, v14, vcc
	v_mov_b32_e32 v3, v27
	v_add_u32_e32 v3, 64, v3
	v_add_u32_e32 v28, 0x100, v28
	s_waitcnt vmcnt(0)
	v_add_u32_e32 v0, 2, v0
	v_cmp_le_i32_e32 vcc, s47, v0
	s_or_b64 s[6:7], vcc, s[6:7]
	buffer_store_dword v0, off, s[60:63], 0 ; 4-byte Folded Spill
	s_andn2_b64 exec, exec, s[6:7]
	s_cbranch_execz .LBB311_433
.LBB311_232:                            ; =>This Inner Loop Header: Depth=1
	s_waitcnt vmcnt(2)
	v_mul_hi_u32 v0, v3, s46
	v_mov_b32_e32 v27, v3
	v_mul_lo_u32 v1, v0, s25
	v_add_u32_e32 v2, 1, v0
	v_sub_u32_e32 v1, v3, v1
	buffer_load_dword v3, off, s[60:63], 0 offset:4 ; 4-byte Folded Reload
	v_cmp_le_u32_e32 vcc, s25, v1
	v_cndmask_b32_e32 v0, v0, v2, vcc
	v_subrev_u32_e32 v2, s25, v1
	v_cndmask_b32_e32 v1, v1, v2, vcc
	v_add_u32_e32 v2, 1, v0
	v_cmp_le_u32_e32 vcc, s25, v1
	v_cndmask_b32_e32 v0, v0, v2, vcc
	v_xor_b32_e32 v0, s23, v0
	v_subrev_u32_e32 v0, s23, v0
	v_add_u32_e32 v1, s36, v0
	v_sub_u32_e32 v2, 0, v1
	v_max_i32_e32 v2, v1, v2
	v_ashrrev_i32_e32 v1, 31, v1
	v_cmp_lt_i32_e64 s[0:1], s37, v0
	s_waitcnt vmcnt(0)
	v_mul_hi_u32 v3, v2, v3
	v_mul_lo_u32 v3, v3, s22
	v_sub_u32_e32 v2, v2, v3
	v_subrev_u32_e32 v3, s22, v2
	v_cmp_le_u32_e32 vcc, s22, v2
	v_cndmask_b32_e32 v2, v2, v3, vcc
	v_subrev_u32_e32 v3, s22, v2
	v_cmp_le_u32_e32 vcc, s22, v2
	v_cndmask_b32_e32 v2, v2, v3, vcc
	v_xor_b32_e32 v2, v2, v1
	v_sub_u32_e32 v1, v2, v1
	v_cmp_eq_u32_e32 vcc, 0, v1
	s_or_b64 s[0:1], vcc, s[0:1]
	s_and_saveexec_b64 s[12:13], s[0:1]
	s_cbranch_execz .LBB311_231
; %bb.233:                              ;   in Loop: Header=BB311_232 Depth=1
	global_load_dword v0, v[13:14], off
	buffer_load_dword v1, off, s[60:63], 0 offset:12 ; 4-byte Folded Reload
	buffer_load_dword v2, off, s[60:63], 0 offset:16 ; 4-byte Folded Reload
	v_mov_b32_e32 v23, 0
	s_waitcnt vmcnt(0)
	v_mad_i64_i32 v[15:16], s[0:1], v0, s34, v[1:2]
	v_mov_b32_e32 v0, 0
	global_load_dwordx2 v[17:18], v[15:16], off
	ds_read2_b64 v[5:8], v28 offset1:1
	ds_read2_b64 v[1:4], v28 offset0:2 offset1:3
	s_load_dword s31, s[14:15], 0x0
	s_waitcnt vmcnt(0)
	v_cmp_ne_u16_sdwa s[16:17], v17, v10 src0_sel:BYTE_0 src1_sel:DWORD
	s_and_saveexec_b64 s[0:1], s[16:17]
	s_cbranch_execz .LBB311_239
; %bb.234:                              ;   in Loop: Header=BB311_232 Depth=1
	v_cmp_ne_u16_sdwa s[18:19], v17, s28 src0_sel:BYTE_0 src1_sel:DWORD
	v_bfrev_b32_e32 v0, 1
	s_and_saveexec_b64 s[16:17], s[18:19]
	s_cbranch_execz .LBB311_238
; %bb.235:                              ;   in Loop: Header=BB311_232 Depth=1
	v_and_b32_e32 v9, 0x7f, v17
	v_cmp_ne_u32_e32 vcc, s29, v9
	v_mov_b32_e32 v0, 0x7f800001
	s_and_saveexec_b64 s[18:19], vcc
	s_cbranch_execz .LBB311_237
; %bb.236:                              ;   in Loop: Header=BB311_232 Depth=1
	v_and_b32_e32 v0, 7, v17
	v_ffbh_u32_e32 v0, v0
	v_min_u32_e32 v0, 32, v0
	v_subrev_u32_e32 v12, 28, v0
	v_cmp_gt_u32_e32 vcc, 8, v9
	v_lshrrev_b32_e32 v11, 3, v9
	v_sub_u32_e32 v0, 29, v0
	v_cndmask_b32_e32 v9, 0, v12, vcc
	v_cndmask_b32_e32 v0, v11, v0, vcc
	v_lshlrev_b64 v[11:12], v9, v[17:18]
	v_bfrev_b32_e32 v12, 60
	v_lshlrev_b32_e32 v9, 20, v11
	v_lshlrev_b32_e32 v11, 24, v17
	v_and_b32_e32 v9, 0x700000, v9
	v_and_b32_e32 v11, 0x80000000, v11
	v_lshl_add_u32 v0, v0, 23, v12
	v_or3_b32 v0, v11, v0, v9
.LBB311_237:                            ;   in Loop: Header=BB311_232 Depth=1
	s_or_b64 exec, exec, s[18:19]
.LBB311_238:                            ;   in Loop: Header=BB311_232 Depth=1
	s_or_b64 exec, exec, s[16:17]
.LBB311_239:                            ;   in Loop: Header=BB311_232 Depth=1
	s_or_b64 exec, exec, s[0:1]
	v_lshrrev_b16_e32 v9, 8, v17
	v_cmp_ne_u16_e32 vcc, 0, v9
	s_and_saveexec_b64 s[0:1], vcc
	s_cbranch_execz .LBB311_245
; %bb.240:                              ;   in Loop: Header=BB311_232 Depth=1
	v_cmp_ne_u16_e32 vcc, s28, v9
	v_bfrev_b32_e32 v23, 1
	s_and_saveexec_b64 s[16:17], vcc
	s_cbranch_execz .LBB311_244
; %bb.241:                              ;   in Loop: Header=BB311_232 Depth=1
	v_and_b32_e32 v11, 0x7f, v9
	v_cmp_ne_u32_e32 vcc, s29, v11
	v_mov_b32_e32 v23, 0x7f800001
	s_and_saveexec_b64 s[18:19], vcc
	s_cbranch_execz .LBB311_243
; %bb.242:                              ;   in Loop: Header=BB311_232 Depth=1
	v_and_b32_e32 v12, 7, v9
	v_ffbh_u32_e32 v19, v12
	v_min_u32_e32 v22, 32, v19
	v_subrev_u32_e32 v19, 28, v22
	v_lshlrev_b64 v[19:20], v19, v[9:10]
	v_lshrrev_b32_e32 v21, 3, v11
	v_sub_u32_e32 v9, 29, v22
	v_and_b32_e32 v19, 7, v19
	v_cmp_gt_u32_e32 vcc, 8, v11
	v_cndmask_b32_e32 v9, v21, v9, vcc
	v_cndmask_b32_e32 v11, v12, v19, vcc
	v_lshlrev_b32_e32 v12, 16, v17
	v_bfrev_b32_e32 v19, 60
	v_lshlrev_b32_e32 v11, 20, v11
	v_and_b32_e32 v12, 0x80000000, v12
	v_lshl_add_u32 v9, v9, 23, v19
	v_or3_b32 v23, v12, v9, v11
.LBB311_243:                            ;   in Loop: Header=BB311_232 Depth=1
	s_or_b64 exec, exec, s[18:19]
.LBB311_244:                            ;   in Loop: Header=BB311_232 Depth=1
	s_or_b64 exec, exec, s[16:17]
.LBB311_245:                            ;   in Loop: Header=BB311_232 Depth=1
	s_or_b64 exec, exec, s[0:1]
	v_lshrrev_b32_e32 v9, 16, v17
	v_cmp_ne_u16_sdwa s[16:17], v9, v10 src0_sel:BYTE_0 src1_sel:DWORD
	v_mov_b32_e32 v21, 0
	v_mov_b32_e32 v20, 0
	s_and_saveexec_b64 s[0:1], s[16:17]
	s_cbranch_execz .LBB311_251
; %bb.246:                              ;   in Loop: Header=BB311_232 Depth=1
	v_cmp_ne_u16_sdwa s[18:19], v9, s28 src0_sel:BYTE_0 src1_sel:DWORD
	v_bfrev_b32_e32 v20, 1
	s_and_saveexec_b64 s[16:17], s[18:19]
	s_cbranch_execz .LBB311_250
; %bb.247:                              ;   in Loop: Header=BB311_232 Depth=1
	v_bfe_u32 v11, v17, 16, 7
	v_cmp_ne_u32_e32 vcc, s29, v11
	v_mov_b32_e32 v20, 0x7f800001
	s_and_saveexec_b64 s[18:19], vcc
	s_cbranch_execz .LBB311_249
; %bb.248:                              ;   in Loop: Header=BB311_232 Depth=1
	v_and_b32_e32 v12, 7, v9
	v_ffbh_u32_e32 v19, v12
	v_min_u32_e32 v24, 32, v19
	v_subrev_u32_e32 v19, 28, v24
	v_lshlrev_b64 v[19:20], v19, v[9:10]
	v_lshrrev_b32_e32 v22, 3, v11
	v_sub_u32_e32 v20, 29, v24
	v_and_b32_e32 v19, 7, v19
	v_cmp_gt_u32_e32 vcc, 8, v11
	v_cndmask_b32_e32 v11, v22, v20, vcc
	v_cndmask_b32_e32 v12, v12, v19, vcc
	v_lshlrev_b32_e32 v9, 24, v9
	v_bfrev_b32_e32 v19, 60
	v_lshlrev_b32_e32 v12, 20, v12
	v_and_b32_e32 v9, 0x80000000, v9
	v_lshl_add_u32 v11, v11, 23, v19
	v_or3_b32 v20, v9, v11, v12
.LBB311_249:                            ;   in Loop: Header=BB311_232 Depth=1
	s_or_b64 exec, exec, s[18:19]
.LBB311_250:                            ;   in Loop: Header=BB311_232 Depth=1
	s_or_b64 exec, exec, s[16:17]
.LBB311_251:                            ;   in Loop: Header=BB311_232 Depth=1
	s_or_b64 exec, exec, s[0:1]
	v_cmp_lt_u32_e32 vcc, s5, v17
	s_and_saveexec_b64 s[0:1], vcc
	s_cbranch_execz .LBB311_257
; %bb.252:                              ;   in Loop: Header=BB311_232 Depth=1
	v_lshrrev_b32_e32 v9, 24, v17
	v_cmp_ne_u32_e32 vcc, s28, v9
	v_bfrev_b32_e32 v21, 1
	s_and_saveexec_b64 s[16:17], vcc
	s_cbranch_execz .LBB311_256
; %bb.253:                              ;   in Loop: Header=BB311_232 Depth=1
	v_bfe_u32 v11, v17, 24, 7
	v_cmp_ne_u32_e32 vcc, s29, v11
	v_mov_b32_e32 v21, 0x7f800001
	s_and_saveexec_b64 s[18:19], vcc
	s_cbranch_execz .LBB311_255
; %bb.254:                              ;   in Loop: Header=BB311_232 Depth=1
	v_and_b32_e32 v12, 7, v9
	v_ffbh_u32_e32 v21, v12
	v_min_u32_e32 v24, 32, v21
	v_subrev_u32_e32 v21, 28, v24
	v_lshlrev_b64 v[21:22], v21, v[9:10]
	v_lshrrev_b32_e32 v19, 3, v11
	v_sub_u32_e32 v22, 29, v24
	v_and_b32_e32 v21, 7, v21
	v_cmp_gt_u32_e32 vcc, 8, v11
	v_cndmask_b32_e32 v11, v19, v22, vcc
	v_cndmask_b32_e32 v12, v12, v21, vcc
	v_lshlrev_b32_e32 v9, 24, v9
	v_bfrev_b32_e32 v19, 60
	v_lshlrev_b32_e32 v12, 20, v12
	v_and_b32_e32 v9, 0x80000000, v9
	v_lshl_add_u32 v11, v11, 23, v19
	v_or3_b32 v21, v9, v11, v12
.LBB311_255:                            ;   in Loop: Header=BB311_232 Depth=1
	s_or_b64 exec, exec, s[18:19]
.LBB311_256:                            ;   in Loop: Header=BB311_232 Depth=1
	s_or_b64 exec, exec, s[16:17]
.LBB311_257:                            ;   in Loop: Header=BB311_232 Depth=1
	s_or_b64 exec, exec, s[0:1]
	v_mov_b32_e32 v9, v18
	v_cmp_ne_u16_sdwa s[16:17], v18, v10 src0_sel:BYTE_0 src1_sel:DWORD
	v_mov_b32_e32 v24, 0
	v_mov_b32_e32 v22, 0
	s_and_saveexec_b64 s[0:1], s[16:17]
	s_cbranch_execz .LBB311_263
; %bb.258:                              ;   in Loop: Header=BB311_232 Depth=1
	v_cmp_ne_u16_sdwa s[18:19], v18, s28 src0_sel:BYTE_0 src1_sel:DWORD
	v_bfrev_b32_e32 v22, 1
	s_and_saveexec_b64 s[16:17], s[18:19]
	s_cbranch_execz .LBB311_262
; %bb.259:                              ;   in Loop: Header=BB311_232 Depth=1
	v_and_b32_e32 v11, 0x7f, v18
	v_cmp_ne_u32_e32 vcc, s29, v11
	v_mov_b32_e32 v22, 0x7f800001
	s_and_saveexec_b64 s[18:19], vcc
	s_cbranch_execz .LBB311_261
; %bb.260:                              ;   in Loop: Header=BB311_232 Depth=1
	v_and_b32_e32 v12, 7, v18
	v_ffbh_u32_e32 v12, v12
	v_min_u32_e32 v12, 32, v12
	v_subrev_u32_e32 v22, 28, v12
	v_cmp_gt_u32_e32 vcc, 8, v11
	v_lshrrev_b32_e32 v19, 3, v11
	v_sub_u32_e32 v12, 29, v12
	v_cndmask_b32_e32 v11, 0, v22, vcc
	v_cndmask_b32_e32 v19, v19, v12, vcc
	v_lshlrev_b64 v[11:12], v11, v[9:10]
	v_lshlrev_b32_e32 v12, 24, v9
	v_lshlrev_b32_e32 v11, 20, v11
	v_bfrev_b32_e32 v22, 60
	v_and_b32_e32 v11, 0x700000, v11
	v_and_b32_e32 v12, 0x80000000, v12
	v_lshl_add_u32 v19, v19, 23, v22
	v_or3_b32 v22, v12, v19, v11
.LBB311_261:                            ;   in Loop: Header=BB311_232 Depth=1
	s_or_b64 exec, exec, s[18:19]
.LBB311_262:                            ;   in Loop: Header=BB311_232 Depth=1
	s_or_b64 exec, exec, s[16:17]
.LBB311_263:                            ;   in Loop: Header=BB311_232 Depth=1
	s_or_b64 exec, exec, s[0:1]
	v_lshrrev_b16_e32 v19, 8, v9
	v_cmp_ne_u16_e32 vcc, 0, v19
	s_and_saveexec_b64 s[0:1], vcc
	s_cbranch_execz .LBB311_269
; %bb.264:                              ;   in Loop: Header=BB311_232 Depth=1
	v_cmp_ne_u16_e32 vcc, s28, v19
	v_bfrev_b32_e32 v24, 1
	s_and_saveexec_b64 s[16:17], vcc
	s_cbranch_execz .LBB311_268
; %bb.265:                              ;   in Loop: Header=BB311_232 Depth=1
	v_and_b32_e32 v11, 0x7f, v19
	v_cmp_ne_u32_e32 vcc, s29, v11
	v_mov_b32_e32 v24, 0x7f800001
	s_and_saveexec_b64 s[18:19], vcc
	s_cbranch_execz .LBB311_267
; %bb.266:                              ;   in Loop: Header=BB311_232 Depth=1
	v_and_b32_e32 v12, 7, v19
	v_ffbh_u32_e32 v25, v12
	v_min_u32_e32 v25, 32, v25
	v_subrev_u32_e32 v26, 28, v25
	v_lshlrev_b64 v[34:35], v26, v[19:20]
	v_lshrrev_b32_e32 v24, 3, v11
	v_sub_u32_e32 v19, 29, v25
	v_and_b32_e32 v25, 7, v34
	v_cmp_gt_u32_e32 vcc, 8, v11
	v_cndmask_b32_e32 v11, v24, v19, vcc
	v_cndmask_b32_e32 v12, v12, v25, vcc
	v_lshlrev_b32_e32 v9, 16, v9
	v_bfrev_b32_e32 v19, 60
	v_lshlrev_b32_e32 v12, 20, v12
	v_and_b32_e32 v9, 0x80000000, v9
	v_lshl_add_u32 v11, v11, 23, v19
	v_or3_b32 v24, v9, v11, v12
.LBB311_267:                            ;   in Loop: Header=BB311_232 Depth=1
	s_or_b64 exec, exec, s[18:19]
.LBB311_268:                            ;   in Loop: Header=BB311_232 Depth=1
	s_or_b64 exec, exec, s[16:17]
.LBB311_269:                            ;   in Loop: Header=BB311_232 Depth=1
	s_or_b64 exec, exec, s[0:1]
	v_lshrrev_b32_e32 v9, 16, v18
	v_cmp_ne_u16_sdwa s[16:17], v9, v10 src0_sel:BYTE_0 src1_sel:DWORD
	v_mov_b32_e32 v19, 0
	v_mov_b32_e32 v11, 0
	s_and_saveexec_b64 s[0:1], s[16:17]
	s_cbranch_execz .LBB311_275
; %bb.270:                              ;   in Loop: Header=BB311_232 Depth=1
	v_cmp_ne_u16_sdwa s[18:19], v9, s28 src0_sel:BYTE_0 src1_sel:DWORD
	v_bfrev_b32_e32 v11, 1
	s_and_saveexec_b64 s[16:17], s[18:19]
	s_cbranch_execz .LBB311_274
; %bb.271:                              ;   in Loop: Header=BB311_232 Depth=1
	v_bfe_u32 v12, v18, 16, 7
	v_cmp_ne_u32_e32 vcc, s29, v12
	v_mov_b32_e32 v11, 0x7f800001
	s_and_saveexec_b64 s[18:19], vcc
	s_cbranch_execz .LBB311_273
; %bb.272:                              ;   in Loop: Header=BB311_232 Depth=1
	v_and_b32_e32 v11, 7, v9
	v_ffbh_u32_e32 v26, v11
	v_min_u32_e32 v26, 32, v26
	v_subrev_u32_e32 v34, 28, v26
	v_lshlrev_b64 v[34:35], v34, v[9:10]
	v_lshrrev_b32_e32 v25, 3, v12
	v_sub_u32_e32 v26, 29, v26
	v_and_b32_e32 v34, 7, v34
	v_cmp_gt_u32_e32 vcc, 8, v12
	v_cndmask_b32_e32 v12, v25, v26, vcc
	v_cndmask_b32_e32 v11, v11, v34, vcc
	v_lshlrev_b32_e32 v9, 24, v9
	v_bfrev_b32_e32 v25, 60
	v_lshlrev_b32_e32 v11, 20, v11
	v_and_b32_e32 v9, 0x80000000, v9
	v_lshl_add_u32 v12, v12, 23, v25
	v_or3_b32 v11, v9, v12, v11
.LBB311_273:                            ;   in Loop: Header=BB311_232 Depth=1
	s_or_b64 exec, exec, s[18:19]
.LBB311_274:                            ;   in Loop: Header=BB311_232 Depth=1
	s_or_b64 exec, exec, s[16:17]
.LBB311_275:                            ;   in Loop: Header=BB311_232 Depth=1
	s_or_b64 exec, exec, s[0:1]
	v_cmp_lt_u64_e32 vcc, s[4:5], v[17:18]
	s_and_saveexec_b64 s[0:1], vcc
	s_cbranch_execz .LBB311_281
; %bb.276:                              ;   in Loop: Header=BB311_232 Depth=1
	v_lshrrev_b32_e32 v9, 24, v18
	v_cmp_ne_u32_e32 vcc, s28, v9
	v_bfrev_b32_e32 v19, 1
	s_and_saveexec_b64 s[16:17], vcc
	s_cbranch_execz .LBB311_280
; %bb.277:                              ;   in Loop: Header=BB311_232 Depth=1
	v_bfe_u32 v12, v18, 24, 7
	v_cmp_ne_u32_e32 vcc, s29, v12
	v_mov_b32_e32 v19, 0x7f800001
	s_and_saveexec_b64 s[18:19], vcc
	s_cbranch_execz .LBB311_279
; %bb.278:                              ;   in Loop: Header=BB311_232 Depth=1
	v_and_b32_e32 v19, 7, v9
	v_ffbh_u32_e32 v17, v19
	v_min_u32_e32 v26, 32, v17
	v_subrev_u32_e32 v17, 28, v26
	v_lshlrev_b64 v[17:18], v17, v[9:10]
	v_lshrrev_b32_e32 v25, 3, v12
	v_sub_u32_e32 v18, 29, v26
	v_and_b32_e32 v17, 7, v17
	v_cmp_gt_u32_e32 vcc, 8, v12
	v_cndmask_b32_e32 v12, v25, v18, vcc
	v_cndmask_b32_e32 v17, v19, v17, vcc
	v_lshlrev_b32_e32 v9, 24, v9
	v_bfrev_b32_e32 v18, 60
	v_lshlrev_b32_e32 v17, 20, v17
	v_and_b32_e32 v9, 0x80000000, v9
	v_lshl_add_u32 v12, v12, 23, v18
	v_or3_b32 v19, v9, v12, v17
.LBB311_279:                            ;   in Loop: Header=BB311_232 Depth=1
	s_or_b64 exec, exec, s[18:19]
.LBB311_280:                            ;   in Loop: Header=BB311_232 Depth=1
	s_or_b64 exec, exec, s[16:17]
.LBB311_281:                            ;   in Loop: Header=BB311_232 Depth=1
	s_or_b64 exec, exec, s[0:1]
	buffer_load_dword v9, off, s[60:63], 0 offset:8 ; 4-byte Folded Reload
	s_waitcnt lgkmcnt(0)
	v_mul_f32_e32 v0, s31, v0
	s_waitcnt vmcnt(0)
	v_add_u32_e32 v42, v9, v27
	buffer_load_dword v9, off, s[60:63], 0  ; 4-byte Folded Reload
	v_add_u32_e32 v49, 1, v42
	v_add_u32_e32 v48, 2, v42
	;; [unrolled: 1-line block ×7, first 2 shown]
	s_waitcnt vmcnt(0)
	v_cmp_eq_u32_e32 vcc, s35, v9
	v_mul_f32_e32 v9, s31, v24
	v_bfe_u32 v12, v9, 16, 1
	v_add3_u32 v12, v12, v9, s30
	v_or_b32_e32 v17, 0x400000, v9
	v_cmp_u_f32_e64 s[0:1], v9, v9
	v_cndmask_b32_e64 v9, v12, v17, s[0:1]
	v_lshrrev_b32_e32 v34, 16, v9
	v_mul_f32_e32 v9, s31, v22
	v_bfe_u32 v12, v9, 16, 1
	v_add3_u32 v12, v12, v9, s30
	v_or_b32_e32 v17, 0x400000, v9
	v_cmp_u_f32_e64 s[0:1], v9, v9
	v_cndmask_b32_e64 v9, v12, v17, s[0:1]
	v_lshrrev_b32_e32 v35, 16, v9
	;; [unrolled: 7-line block ×5, first 2 shown]
	v_bfe_u32 v9, v0, 16, 1
	v_add3_u32 v9, v9, v0, s30
	v_or_b32_e32 v12, 0x400000, v0
	v_cmp_u_f32_e64 s[0:1], v0, v0
	v_cndmask_b32_e64 v0, v9, v12, s[0:1]
	v_lshrrev_b32_e32 v41, 16, v0
	v_mul_f32_e32 v0, s31, v11
	v_bfe_u32 v9, v0, 16, 1
	v_add3_u32 v9, v9, v0, s30
	v_or_b32_e32 v11, 0x400000, v0
	v_cmp_u_f32_e64 s[0:1], v0, v0
	v_cndmask_b32_e64 v0, v9, v11, s[0:1]
	v_lshrrev_b32_e32 v36, 16, v0
	v_mul_f32_e32 v0, s31, v19
	v_bfe_u32 v9, v0, 16, 1
	v_add3_u32 v9, v9, v0, s30
	v_or_b32_e32 v11, 0x400000, v0
	v_cmp_u_f32_e64 s[0:1], v0, v0
	v_cndmask_b32_e64 v0, v9, v11, s[0:1]
	v_lshrrev_b32_e32 v39, 16, v0
	s_and_saveexec_b64 s[16:17], vcc
	s_cbranch_execz .LBB311_283
; %bb.282:                              ;   in Loop: Header=BB311_232 Depth=1
	v_cmp_gt_i32_e64 s[0:1], s33, v42
	v_cndmask_b32_e64 v41, 0, v41, s[0:1]
	v_cmp_gt_i32_e64 s[0:1], s33, v49
	v_cndmask_b32_e64 v40, 0, v40, s[0:1]
	;; [unrolled: 2-line block ×8, first 2 shown]
.LBB311_283:                            ;   in Loop: Header=BB311_232 Depth=1
	s_or_b64 exec, exec, s[16:17]
	global_load_dwordx2 v[17:18], v[15:16], off offset:512
	v_mov_b32_e32 v23, 0
	v_mov_b32_e32 v0, 0
	s_waitcnt vmcnt(0)
	v_cmp_ne_u16_sdwa s[0:1], v17, v10 src0_sel:BYTE_0 src1_sel:DWORD
	s_and_saveexec_b64 s[16:17], s[0:1]
	s_cbranch_execz .LBB311_289
; %bb.284:                              ;   in Loop: Header=BB311_232 Depth=1
	v_cmp_ne_u16_sdwa s[0:1], v17, s28 src0_sel:BYTE_0 src1_sel:DWORD
	v_bfrev_b32_e32 v0, 1
	s_and_saveexec_b64 s[18:19], s[0:1]
	s_cbranch_execz .LBB311_288
; %bb.285:                              ;   in Loop: Header=BB311_232 Depth=1
	v_and_b32_e32 v9, 0x7f, v17
	v_cmp_ne_u32_e64 s[0:1], s29, v9
	v_mov_b32_e32 v0, 0x7f800001
	s_and_saveexec_b64 s[20:21], s[0:1]
	s_cbranch_execz .LBB311_287
; %bb.286:                              ;   in Loop: Header=BB311_232 Depth=1
	v_and_b32_e32 v0, 7, v17
	v_ffbh_u32_e32 v0, v0
	v_min_u32_e32 v0, 32, v0
	v_subrev_u32_e32 v12, 28, v0
	v_cmp_gt_u32_e64 s[0:1], 8, v9
	v_lshrrev_b32_e32 v11, 3, v9
	v_sub_u32_e32 v0, 29, v0
	v_cndmask_b32_e64 v9, 0, v12, s[0:1]
	v_cndmask_b32_e64 v0, v11, v0, s[0:1]
	v_lshlrev_b64 v[11:12], v9, v[17:18]
	v_bfrev_b32_e32 v12, 60
	v_lshlrev_b32_e32 v9, 20, v11
	v_lshlrev_b32_e32 v11, 24, v17
	v_and_b32_e32 v9, 0x700000, v9
	v_and_b32_e32 v11, 0x80000000, v11
	v_lshl_add_u32 v0, v0, 23, v12
	v_or3_b32 v0, v11, v0, v9
.LBB311_287:                            ;   in Loop: Header=BB311_232 Depth=1
	s_or_b64 exec, exec, s[20:21]
.LBB311_288:                            ;   in Loop: Header=BB311_232 Depth=1
	s_or_b64 exec, exec, s[18:19]
.LBB311_289:                            ;   in Loop: Header=BB311_232 Depth=1
	s_or_b64 exec, exec, s[16:17]
	v_lshrrev_b16_e32 v9, 8, v17
	v_cmp_ne_u16_e64 s[0:1], 0, v9
	s_and_saveexec_b64 s[16:17], s[0:1]
	s_cbranch_execz .LBB311_295
; %bb.290:                              ;   in Loop: Header=BB311_232 Depth=1
	v_cmp_ne_u16_e64 s[0:1], s28, v9
	v_bfrev_b32_e32 v23, 1
	s_and_saveexec_b64 s[18:19], s[0:1]
	s_cbranch_execz .LBB311_294
; %bb.291:                              ;   in Loop: Header=BB311_232 Depth=1
	v_and_b32_e32 v11, 0x7f, v9
	v_cmp_ne_u32_e64 s[0:1], s29, v11
	v_mov_b32_e32 v23, 0x7f800001
	s_and_saveexec_b64 s[20:21], s[0:1]
	s_cbranch_execz .LBB311_293
; %bb.292:                              ;   in Loop: Header=BB311_232 Depth=1
	v_and_b32_e32 v12, 7, v9
	v_ffbh_u32_e32 v19, v12
	v_min_u32_e32 v22, 32, v19
	v_subrev_u32_e32 v19, 28, v22
	v_lshlrev_b64 v[19:20], v19, v[9:10]
	v_lshrrev_b32_e32 v21, 3, v11
	v_sub_u32_e32 v9, 29, v22
	v_and_b32_e32 v19, 7, v19
	v_cmp_gt_u32_e64 s[0:1], 8, v11
	v_cndmask_b32_e64 v9, v21, v9, s[0:1]
	v_cndmask_b32_e64 v11, v12, v19, s[0:1]
	v_lshlrev_b32_e32 v12, 16, v17
	v_bfrev_b32_e32 v19, 60
	v_lshlrev_b32_e32 v11, 20, v11
	v_and_b32_e32 v12, 0x80000000, v12
	v_lshl_add_u32 v9, v9, 23, v19
	v_or3_b32 v23, v12, v9, v11
.LBB311_293:                            ;   in Loop: Header=BB311_232 Depth=1
	s_or_b64 exec, exec, s[20:21]
.LBB311_294:                            ;   in Loop: Header=BB311_232 Depth=1
	s_or_b64 exec, exec, s[18:19]
.LBB311_295:                            ;   in Loop: Header=BB311_232 Depth=1
	s_or_b64 exec, exec, s[16:17]
	v_lshrrev_b32_e32 v9, 16, v17
	v_cmp_ne_u16_sdwa s[0:1], v9, v10 src0_sel:BYTE_0 src1_sel:DWORD
	v_mov_b32_e32 v21, 0
	v_mov_b32_e32 v20, 0
	s_and_saveexec_b64 s[16:17], s[0:1]
	s_cbranch_execz .LBB311_301
; %bb.296:                              ;   in Loop: Header=BB311_232 Depth=1
	v_cmp_ne_u16_sdwa s[0:1], v9, s28 src0_sel:BYTE_0 src1_sel:DWORD
	v_bfrev_b32_e32 v20, 1
	s_and_saveexec_b64 s[18:19], s[0:1]
	s_cbranch_execz .LBB311_300
; %bb.297:                              ;   in Loop: Header=BB311_232 Depth=1
	v_bfe_u32 v11, v17, 16, 7
	v_cmp_ne_u32_e64 s[0:1], s29, v11
	v_mov_b32_e32 v20, 0x7f800001
	s_and_saveexec_b64 s[20:21], s[0:1]
	s_cbranch_execz .LBB311_299
; %bb.298:                              ;   in Loop: Header=BB311_232 Depth=1
	v_and_b32_e32 v12, 7, v9
	v_ffbh_u32_e32 v19, v12
	v_min_u32_e32 v24, 32, v19
	v_subrev_u32_e32 v19, 28, v24
	v_lshlrev_b64 v[19:20], v19, v[9:10]
	v_lshrrev_b32_e32 v22, 3, v11
	v_sub_u32_e32 v20, 29, v24
	v_and_b32_e32 v19, 7, v19
	v_cmp_gt_u32_e64 s[0:1], 8, v11
	v_cndmask_b32_e64 v11, v22, v20, s[0:1]
	v_cndmask_b32_e64 v12, v12, v19, s[0:1]
	v_lshlrev_b32_e32 v9, 24, v9
	v_bfrev_b32_e32 v19, 60
	v_lshlrev_b32_e32 v12, 20, v12
	v_and_b32_e32 v9, 0x80000000, v9
	v_lshl_add_u32 v11, v11, 23, v19
	v_or3_b32 v20, v9, v11, v12
.LBB311_299:                            ;   in Loop: Header=BB311_232 Depth=1
	s_or_b64 exec, exec, s[20:21]
.LBB311_300:                            ;   in Loop: Header=BB311_232 Depth=1
	s_or_b64 exec, exec, s[18:19]
.LBB311_301:                            ;   in Loop: Header=BB311_232 Depth=1
	s_or_b64 exec, exec, s[16:17]
	v_cmp_lt_u32_e64 s[0:1], s5, v17
	s_and_saveexec_b64 s[16:17], s[0:1]
	s_cbranch_execz .LBB311_307
; %bb.302:                              ;   in Loop: Header=BB311_232 Depth=1
	v_lshrrev_b32_e32 v9, 24, v17
	v_cmp_ne_u32_e64 s[0:1], s28, v9
	v_bfrev_b32_e32 v21, 1
	s_and_saveexec_b64 s[18:19], s[0:1]
	s_cbranch_execz .LBB311_306
; %bb.303:                              ;   in Loop: Header=BB311_232 Depth=1
	v_bfe_u32 v11, v17, 24, 7
	v_cmp_ne_u32_e64 s[0:1], s29, v11
	v_mov_b32_e32 v21, 0x7f800001
	s_and_saveexec_b64 s[20:21], s[0:1]
	s_cbranch_execz .LBB311_305
; %bb.304:                              ;   in Loop: Header=BB311_232 Depth=1
	v_and_b32_e32 v12, 7, v9
	v_ffbh_u32_e32 v21, v12
	v_min_u32_e32 v24, 32, v21
	v_subrev_u32_e32 v21, 28, v24
	v_lshlrev_b64 v[21:22], v21, v[9:10]
	v_lshrrev_b32_e32 v19, 3, v11
	v_sub_u32_e32 v22, 29, v24
	v_and_b32_e32 v21, 7, v21
	v_cmp_gt_u32_e64 s[0:1], 8, v11
	v_cndmask_b32_e64 v11, v19, v22, s[0:1]
	v_cndmask_b32_e64 v12, v12, v21, s[0:1]
	v_lshlrev_b32_e32 v9, 24, v9
	v_bfrev_b32_e32 v19, 60
	v_lshlrev_b32_e32 v12, 20, v12
	v_and_b32_e32 v9, 0x80000000, v9
	v_lshl_add_u32 v11, v11, 23, v19
	v_or3_b32 v21, v9, v11, v12
.LBB311_305:                            ;   in Loop: Header=BB311_232 Depth=1
	s_or_b64 exec, exec, s[20:21]
.LBB311_306:                            ;   in Loop: Header=BB311_232 Depth=1
	s_or_b64 exec, exec, s[18:19]
.LBB311_307:                            ;   in Loop: Header=BB311_232 Depth=1
	s_or_b64 exec, exec, s[16:17]
	v_mov_b32_e32 v9, v18
	v_cmp_ne_u16_sdwa s[0:1], v18, v10 src0_sel:BYTE_0 src1_sel:DWORD
	v_mov_b32_e32 v24, 0
	v_mov_b32_e32 v22, 0
	s_and_saveexec_b64 s[16:17], s[0:1]
	s_cbranch_execz .LBB311_313
; %bb.308:                              ;   in Loop: Header=BB311_232 Depth=1
	v_cmp_ne_u16_sdwa s[0:1], v18, s28 src0_sel:BYTE_0 src1_sel:DWORD
	v_bfrev_b32_e32 v22, 1
	s_and_saveexec_b64 s[18:19], s[0:1]
	s_cbranch_execz .LBB311_312
; %bb.309:                              ;   in Loop: Header=BB311_232 Depth=1
	v_and_b32_e32 v11, 0x7f, v18
	v_cmp_ne_u32_e64 s[0:1], s29, v11
	v_mov_b32_e32 v22, 0x7f800001
	s_and_saveexec_b64 s[20:21], s[0:1]
	s_cbranch_execz .LBB311_311
; %bb.310:                              ;   in Loop: Header=BB311_232 Depth=1
	v_and_b32_e32 v12, 7, v18
	v_ffbh_u32_e32 v12, v12
	v_min_u32_e32 v12, 32, v12
	v_subrev_u32_e32 v22, 28, v12
	v_cmp_gt_u32_e64 s[0:1], 8, v11
	v_lshrrev_b32_e32 v19, 3, v11
	v_sub_u32_e32 v12, 29, v12
	v_cndmask_b32_e64 v11, 0, v22, s[0:1]
	v_cndmask_b32_e64 v19, v19, v12, s[0:1]
	v_lshlrev_b64 v[11:12], v11, v[9:10]
	v_lshlrev_b32_e32 v12, 24, v9
	v_lshlrev_b32_e32 v11, 20, v11
	v_bfrev_b32_e32 v22, 60
	v_and_b32_e32 v11, 0x700000, v11
	v_and_b32_e32 v12, 0x80000000, v12
	v_lshl_add_u32 v19, v19, 23, v22
	v_or3_b32 v22, v12, v19, v11
.LBB311_311:                            ;   in Loop: Header=BB311_232 Depth=1
	s_or_b64 exec, exec, s[20:21]
.LBB311_312:                            ;   in Loop: Header=BB311_232 Depth=1
	s_or_b64 exec, exec, s[18:19]
.LBB311_313:                            ;   in Loop: Header=BB311_232 Depth=1
	s_or_b64 exec, exec, s[16:17]
	v_lshrrev_b16_e32 v19, 8, v9
	v_cmp_ne_u16_e64 s[0:1], 0, v19
	s_and_saveexec_b64 s[16:17], s[0:1]
	s_cbranch_execz .LBB311_319
; %bb.314:                              ;   in Loop: Header=BB311_232 Depth=1
	v_cmp_ne_u16_e64 s[0:1], s28, v19
	v_bfrev_b32_e32 v24, 1
	s_and_saveexec_b64 s[18:19], s[0:1]
	s_cbranch_execz .LBB311_318
; %bb.315:                              ;   in Loop: Header=BB311_232 Depth=1
	v_and_b32_e32 v11, 0x7f, v19
	v_cmp_ne_u32_e64 s[0:1], s29, v11
	v_mov_b32_e32 v24, 0x7f800001
	s_and_saveexec_b64 s[20:21], s[0:1]
	s_cbranch_execz .LBB311_317
; %bb.316:                              ;   in Loop: Header=BB311_232 Depth=1
	v_and_b32_e32 v12, 7, v19
	v_ffbh_u32_e32 v25, v12
	v_min_u32_e32 v25, 32, v25
	v_subrev_u32_e32 v26, 28, v25
	v_lshlrev_b64 v[50:51], v26, v[19:20]
	v_lshrrev_b32_e32 v24, 3, v11
	v_sub_u32_e32 v19, 29, v25
	v_and_b32_e32 v25, 7, v50
	v_cmp_gt_u32_e64 s[0:1], 8, v11
	v_cndmask_b32_e64 v11, v24, v19, s[0:1]
	v_cndmask_b32_e64 v12, v12, v25, s[0:1]
	v_lshlrev_b32_e32 v9, 16, v9
	v_bfrev_b32_e32 v19, 60
	v_lshlrev_b32_e32 v12, 20, v12
	v_and_b32_e32 v9, 0x80000000, v9
	v_lshl_add_u32 v11, v11, 23, v19
	v_or3_b32 v24, v9, v11, v12
.LBB311_317:                            ;   in Loop: Header=BB311_232 Depth=1
	s_or_b64 exec, exec, s[20:21]
.LBB311_318:                            ;   in Loop: Header=BB311_232 Depth=1
	s_or_b64 exec, exec, s[18:19]
.LBB311_319:                            ;   in Loop: Header=BB311_232 Depth=1
	s_or_b64 exec, exec, s[16:17]
	v_lshrrev_b32_e32 v9, 16, v18
	v_cmp_ne_u16_sdwa s[0:1], v9, v10 src0_sel:BYTE_0 src1_sel:DWORD
	v_mov_b32_e32 v19, 0
	v_mov_b32_e32 v11, 0
	s_and_saveexec_b64 s[16:17], s[0:1]
	s_cbranch_execz .LBB311_325
; %bb.320:                              ;   in Loop: Header=BB311_232 Depth=1
	v_cmp_ne_u16_sdwa s[0:1], v9, s28 src0_sel:BYTE_0 src1_sel:DWORD
	v_bfrev_b32_e32 v11, 1
	s_and_saveexec_b64 s[18:19], s[0:1]
	s_cbranch_execz .LBB311_324
; %bb.321:                              ;   in Loop: Header=BB311_232 Depth=1
	v_bfe_u32 v12, v18, 16, 7
	v_cmp_ne_u32_e64 s[0:1], s29, v12
	v_mov_b32_e32 v11, 0x7f800001
	s_and_saveexec_b64 s[20:21], s[0:1]
	s_cbranch_execz .LBB311_323
; %bb.322:                              ;   in Loop: Header=BB311_232 Depth=1
	v_and_b32_e32 v11, 7, v9
	v_ffbh_u32_e32 v26, v11
	v_min_u32_e32 v26, 32, v26
	v_subrev_u32_e32 v50, 28, v26
	v_lshlrev_b64 v[50:51], v50, v[9:10]
	v_lshrrev_b32_e32 v25, 3, v12
	v_sub_u32_e32 v26, 29, v26
	v_and_b32_e32 v50, 7, v50
	v_cmp_gt_u32_e64 s[0:1], 8, v12
	v_cndmask_b32_e64 v12, v25, v26, s[0:1]
	v_cndmask_b32_e64 v11, v11, v50, s[0:1]
	v_lshlrev_b32_e32 v9, 24, v9
	v_bfrev_b32_e32 v25, 60
	v_lshlrev_b32_e32 v11, 20, v11
	v_and_b32_e32 v9, 0x80000000, v9
	v_lshl_add_u32 v12, v12, 23, v25
	v_or3_b32 v11, v9, v12, v11
.LBB311_323:                            ;   in Loop: Header=BB311_232 Depth=1
	s_or_b64 exec, exec, s[20:21]
.LBB311_324:                            ;   in Loop: Header=BB311_232 Depth=1
	s_or_b64 exec, exec, s[18:19]
.LBB311_325:                            ;   in Loop: Header=BB311_232 Depth=1
	s_or_b64 exec, exec, s[16:17]
	v_cmp_lt_u64_e64 s[0:1], s[4:5], v[17:18]
	s_and_saveexec_b64 s[16:17], s[0:1]
	s_cbranch_execz .LBB311_331
; %bb.326:                              ;   in Loop: Header=BB311_232 Depth=1
	v_lshrrev_b32_e32 v9, 24, v18
	v_cmp_ne_u32_e64 s[0:1], s28, v9
	v_bfrev_b32_e32 v19, 1
	s_and_saveexec_b64 s[18:19], s[0:1]
	s_cbranch_execz .LBB311_330
; %bb.327:                              ;   in Loop: Header=BB311_232 Depth=1
	v_bfe_u32 v12, v18, 24, 7
	v_cmp_ne_u32_e64 s[0:1], s29, v12
	v_mov_b32_e32 v19, 0x7f800001
	s_and_saveexec_b64 s[20:21], s[0:1]
	s_cbranch_execz .LBB311_329
; %bb.328:                              ;   in Loop: Header=BB311_232 Depth=1
	v_and_b32_e32 v19, 7, v9
	v_ffbh_u32_e32 v17, v19
	v_min_u32_e32 v26, 32, v17
	v_subrev_u32_e32 v17, 28, v26
	v_lshlrev_b64 v[17:18], v17, v[9:10]
	v_lshrrev_b32_e32 v25, 3, v12
	v_sub_u32_e32 v18, 29, v26
	v_and_b32_e32 v17, 7, v17
	v_cmp_gt_u32_e64 s[0:1], 8, v12
	v_cndmask_b32_e64 v12, v25, v18, s[0:1]
	v_cndmask_b32_e64 v17, v19, v17, s[0:1]
	v_lshlrev_b32_e32 v9, 24, v9
	v_bfrev_b32_e32 v18, 60
	v_lshlrev_b32_e32 v17, 20, v17
	v_and_b32_e32 v9, 0x80000000, v9
	v_lshl_add_u32 v12, v12, 23, v18
	v_or3_b32 v19, v9, v12, v17
.LBB311_329:                            ;   in Loop: Header=BB311_232 Depth=1
	s_or_b64 exec, exec, s[20:21]
.LBB311_330:                            ;   in Loop: Header=BB311_232 Depth=1
	s_or_b64 exec, exec, s[18:19]
.LBB311_331:                            ;   in Loop: Header=BB311_232 Depth=1
	s_or_b64 exec, exec, s[16:17]
	v_mul_f32_e32 v9, s31, v24
	v_bfe_u32 v12, v9, 16, 1
	v_add3_u32 v12, v12, v9, s30
	v_or_b32_e32 v17, 0x400000, v9
	v_cmp_u_f32_e64 s[0:1], v9, v9
	v_cndmask_b32_e64 v9, v12, v17, s[0:1]
	v_lshrrev_b32_e32 v50, 16, v9
	v_mul_f32_e32 v9, s31, v22
	v_bfe_u32 v12, v9, 16, 1
	v_add3_u32 v12, v12, v9, s30
	v_or_b32_e32 v17, 0x400000, v9
	v_cmp_u_f32_e64 s[0:1], v9, v9
	v_cndmask_b32_e64 v9, v12, v17, s[0:1]
	v_lshrrev_b32_e32 v51, 16, v9
	;; [unrolled: 7-line block ×4, first 2 shown]
	v_mul_f32_e32 v9, s31, v23
	v_bfe_u32 v12, v9, 16, 1
	v_add3_u32 v12, v12, v9, s30
	v_or_b32_e32 v17, 0x400000, v9
	v_cmp_u_f32_e64 s[0:1], v9, v9
	v_cndmask_b32_e64 v9, v12, v17, s[0:1]
	v_mul_f32_e32 v0, s31, v0
	v_lshrrev_b32_e32 v56, 16, v9
	v_bfe_u32 v9, v0, 16, 1
	v_add3_u32 v9, v9, v0, s30
	v_or_b32_e32 v12, 0x400000, v0
	v_cmp_u_f32_e64 s[0:1], v0, v0
	v_cndmask_b32_e64 v0, v9, v12, s[0:1]
	v_lshrrev_b32_e32 v57, 16, v0
	v_mul_f32_e32 v0, s31, v11
	v_bfe_u32 v9, v0, 16, 1
	v_add3_u32 v9, v9, v0, s30
	v_or_b32_e32 v11, 0x400000, v0
	v_cmp_u_f32_e64 s[0:1], v0, v0
	v_cndmask_b32_e64 v0, v9, v11, s[0:1]
	v_lshrrev_b32_e32 v52, 16, v0
	v_mul_f32_e32 v0, s31, v19
	v_bfe_u32 v9, v0, 16, 1
	v_add3_u32 v9, v9, v0, s30
	v_or_b32_e32 v11, 0x400000, v0
	v_cmp_u_f32_e64 s[0:1], v0, v0
	v_cndmask_b32_e64 v0, v9, v11, s[0:1]
	v_lshrrev_b32_e32 v55, 16, v0
	s_and_saveexec_b64 s[16:17], vcc
	s_cbranch_execz .LBB311_333
; %bb.332:                              ;   in Loop: Header=BB311_232 Depth=1
	v_cmp_gt_i32_e64 s[0:1], s33, v42
	v_cndmask_b32_e64 v57, 0, v57, s[0:1]
	v_cmp_gt_i32_e64 s[0:1], s33, v49
	v_cndmask_b32_e64 v56, 0, v56, s[0:1]
	;; [unrolled: 2-line block ×8, first 2 shown]
.LBB311_333:                            ;   in Loop: Header=BB311_232 Depth=1
	s_or_b64 exec, exec, s[16:17]
	global_load_dwordx2 v[17:18], v[15:16], off offset:1024
	v_mov_b32_e32 v23, 0
	v_mov_b32_e32 v0, 0
	s_waitcnt vmcnt(0)
	v_cmp_ne_u16_sdwa s[0:1], v17, v10 src0_sel:BYTE_0 src1_sel:DWORD
	s_and_saveexec_b64 s[16:17], s[0:1]
	s_cbranch_execz .LBB311_339
; %bb.334:                              ;   in Loop: Header=BB311_232 Depth=1
	v_cmp_ne_u16_sdwa s[0:1], v17, s28 src0_sel:BYTE_0 src1_sel:DWORD
	v_bfrev_b32_e32 v0, 1
	s_and_saveexec_b64 s[18:19], s[0:1]
	s_cbranch_execz .LBB311_338
; %bb.335:                              ;   in Loop: Header=BB311_232 Depth=1
	v_and_b32_e32 v9, 0x7f, v17
	v_cmp_ne_u32_e64 s[0:1], s29, v9
	v_mov_b32_e32 v0, 0x7f800001
	s_and_saveexec_b64 s[20:21], s[0:1]
	s_cbranch_execz .LBB311_337
; %bb.336:                              ;   in Loop: Header=BB311_232 Depth=1
	v_and_b32_e32 v0, 7, v17
	v_ffbh_u32_e32 v0, v0
	v_min_u32_e32 v0, 32, v0
	v_subrev_u32_e32 v12, 28, v0
	v_cmp_gt_u32_e64 s[0:1], 8, v9
	v_lshrrev_b32_e32 v11, 3, v9
	v_sub_u32_e32 v0, 29, v0
	v_cndmask_b32_e64 v9, 0, v12, s[0:1]
	v_cndmask_b32_e64 v0, v11, v0, s[0:1]
	v_lshlrev_b64 v[11:12], v9, v[17:18]
	v_bfrev_b32_e32 v12, 60
	v_lshlrev_b32_e32 v9, 20, v11
	v_lshlrev_b32_e32 v11, 24, v17
	v_and_b32_e32 v9, 0x700000, v9
	v_and_b32_e32 v11, 0x80000000, v11
	v_lshl_add_u32 v0, v0, 23, v12
	v_or3_b32 v0, v11, v0, v9
.LBB311_337:                            ;   in Loop: Header=BB311_232 Depth=1
	s_or_b64 exec, exec, s[20:21]
.LBB311_338:                            ;   in Loop: Header=BB311_232 Depth=1
	s_or_b64 exec, exec, s[18:19]
.LBB311_339:                            ;   in Loop: Header=BB311_232 Depth=1
	s_or_b64 exec, exec, s[16:17]
	v_lshrrev_b16_e32 v9, 8, v17
	v_cmp_ne_u16_e64 s[0:1], 0, v9
	s_and_saveexec_b64 s[16:17], s[0:1]
	s_cbranch_execz .LBB311_345
; %bb.340:                              ;   in Loop: Header=BB311_232 Depth=1
	v_cmp_ne_u16_e64 s[0:1], s28, v9
	v_bfrev_b32_e32 v23, 1
	s_and_saveexec_b64 s[18:19], s[0:1]
	s_cbranch_execz .LBB311_344
; %bb.341:                              ;   in Loop: Header=BB311_232 Depth=1
	v_and_b32_e32 v11, 0x7f, v9
	v_cmp_ne_u32_e64 s[0:1], s29, v11
	v_mov_b32_e32 v23, 0x7f800001
	s_and_saveexec_b64 s[20:21], s[0:1]
	s_cbranch_execz .LBB311_343
; %bb.342:                              ;   in Loop: Header=BB311_232 Depth=1
	v_and_b32_e32 v19, 7, v9
	v_lshrrev_b32_e32 v20, 3, v11
	v_cmp_gt_u32_e64 s[0:1], 8, v11
	v_ffbh_u32_e32 v11, v19
	v_min_u32_e32 v21, 32, v11
	v_subrev_u32_e32 v11, 28, v21
	v_lshlrev_b64 v[11:12], v11, v[9:10]
	v_sub_u32_e32 v9, 29, v21
	v_and_b32_e32 v11, 7, v11
	v_cndmask_b32_e64 v9, v20, v9, s[0:1]
	v_cndmask_b32_e64 v11, v19, v11, s[0:1]
	v_lshlrev_b32_e32 v12, 16, v17
	v_bfrev_b32_e32 v19, 60
	v_lshlrev_b32_e32 v11, 20, v11
	v_and_b32_e32 v12, 0x80000000, v12
	v_lshl_add_u32 v9, v9, 23, v19
	v_or3_b32 v23, v12, v9, v11
.LBB311_343:                            ;   in Loop: Header=BB311_232 Depth=1
	s_or_b64 exec, exec, s[20:21]
.LBB311_344:                            ;   in Loop: Header=BB311_232 Depth=1
	s_or_b64 exec, exec, s[18:19]
.LBB311_345:                            ;   in Loop: Header=BB311_232 Depth=1
	s_or_b64 exec, exec, s[16:17]
	v_lshrrev_b32_e32 v9, 16, v17
	v_cmp_ne_u16_sdwa s[0:1], v9, v10 src0_sel:BYTE_0 src1_sel:DWORD
	v_mov_b32_e32 v20, 0
	v_mov_b32_e32 v58, 0
	s_and_saveexec_b64 s[16:17], s[0:1]
	s_cbranch_execz .LBB311_351
; %bb.346:                              ;   in Loop: Header=BB311_232 Depth=1
	v_cmp_ne_u16_sdwa s[0:1], v9, s28 src0_sel:BYTE_0 src1_sel:DWORD
	v_bfrev_b32_e32 v58, 1
	s_and_saveexec_b64 s[18:19], s[0:1]
	s_cbranch_execz .LBB311_350
; %bb.347:                              ;   in Loop: Header=BB311_232 Depth=1
	v_bfe_u32 v11, v17, 16, 7
	v_cmp_ne_u32_e64 s[0:1], s29, v11
	v_mov_b32_e32 v58, 0x7f800001
	s_and_saveexec_b64 s[20:21], s[0:1]
	s_cbranch_execz .LBB311_349
; %bb.348:                              ;   in Loop: Header=BB311_232 Depth=1
	v_and_b32_e32 v19, 7, v9
	v_lshrrev_b32_e32 v21, 3, v11
	v_cmp_gt_u32_e64 s[0:1], 8, v11
	v_ffbh_u32_e32 v11, v19
	v_min_u32_e32 v22, 32, v11
	v_subrev_u32_e32 v11, 28, v22
	v_lshlrev_b64 v[11:12], v11, v[9:10]
	v_sub_u32_e32 v12, 29, v22
	v_and_b32_e32 v11, 7, v11
	v_cndmask_b32_e64 v12, v21, v12, s[0:1]
	v_cndmask_b32_e64 v11, v19, v11, s[0:1]
	v_lshlrev_b32_e32 v9, 24, v9
	v_bfrev_b32_e32 v19, 60
	v_lshlrev_b32_e32 v11, 20, v11
	v_and_b32_e32 v9, 0x80000000, v9
	v_lshl_add_u32 v12, v12, 23, v19
	v_or3_b32 v58, v9, v12, v11
.LBB311_349:                            ;   in Loop: Header=BB311_232 Depth=1
	s_or_b64 exec, exec, s[20:21]
.LBB311_350:                            ;   in Loop: Header=BB311_232 Depth=1
	s_or_b64 exec, exec, s[18:19]
.LBB311_351:                            ;   in Loop: Header=BB311_232 Depth=1
	s_or_b64 exec, exec, s[16:17]
	v_cmp_lt_u32_e64 s[0:1], s5, v17
	s_and_saveexec_b64 s[16:17], s[0:1]
	s_cbranch_execz .LBB311_357
; %bb.352:                              ;   in Loop: Header=BB311_232 Depth=1
	v_lshrrev_b32_e32 v9, 24, v17
	v_cmp_ne_u32_e64 s[0:1], s28, v9
	v_bfrev_b32_e32 v20, 1
	s_and_saveexec_b64 s[18:19], s[0:1]
	s_cbranch_execz .LBB311_356
; %bb.353:                              ;   in Loop: Header=BB311_232 Depth=1
	v_bfe_u32 v11, v17, 24, 7
	v_cmp_ne_u32_e64 s[0:1], s29, v11
	v_mov_b32_e32 v20, 0x7f800001
	s_and_saveexec_b64 s[20:21], s[0:1]
	s_cbranch_execz .LBB311_355
; %bb.354:                              ;   in Loop: Header=BB311_232 Depth=1
	v_and_b32_e32 v19, 7, v9
	v_lshrrev_b32_e32 v20, 3, v11
	v_cmp_gt_u32_e64 s[0:1], 8, v11
	v_ffbh_u32_e32 v11, v19
	v_min_u32_e32 v21, 32, v11
	v_subrev_u32_e32 v11, 28, v21
	v_lshlrev_b64 v[11:12], v11, v[9:10]
	v_sub_u32_e32 v12, 29, v21
	v_and_b32_e32 v11, 7, v11
	v_cndmask_b32_e64 v12, v20, v12, s[0:1]
	v_cndmask_b32_e64 v11, v19, v11, s[0:1]
	v_lshlrev_b32_e32 v9, 24, v9
	v_bfrev_b32_e32 v19, 60
	v_lshlrev_b32_e32 v11, 20, v11
	v_and_b32_e32 v9, 0x80000000, v9
	v_lshl_add_u32 v12, v12, 23, v19
	v_or3_b32 v20, v9, v12, v11
.LBB311_355:                            ;   in Loop: Header=BB311_232 Depth=1
	s_or_b64 exec, exec, s[20:21]
.LBB311_356:                            ;   in Loop: Header=BB311_232 Depth=1
	s_or_b64 exec, exec, s[18:19]
.LBB311_357:                            ;   in Loop: Header=BB311_232 Depth=1
	s_or_b64 exec, exec, s[16:17]
	v_mov_b32_e32 v9, v18
	v_cmp_ne_u16_sdwa s[0:1], v18, v10 src0_sel:BYTE_0 src1_sel:DWORD
	v_mov_b32_e32 v22, 0
	v_mov_b32_e32 v21, 0
	s_and_saveexec_b64 s[16:17], s[0:1]
	s_cbranch_execz .LBB311_363
; %bb.358:                              ;   in Loop: Header=BB311_232 Depth=1
	v_cmp_ne_u16_sdwa s[0:1], v18, s28 src0_sel:BYTE_0 src1_sel:DWORD
	v_bfrev_b32_e32 v21, 1
	s_and_saveexec_b64 s[18:19], s[0:1]
	s_cbranch_execz .LBB311_362
; %bb.359:                              ;   in Loop: Header=BB311_232 Depth=1
	v_and_b32_e32 v11, 0x7f, v18
	v_cmp_ne_u32_e64 s[0:1], s29, v11
	v_mov_b32_e32 v21, 0x7f800001
	s_and_saveexec_b64 s[20:21], s[0:1]
	s_cbranch_execz .LBB311_361
; %bb.360:                              ;   in Loop: Header=BB311_232 Depth=1
	v_and_b32_e32 v12, 7, v18
	v_lshrrev_b32_e32 v19, 3, v11
	v_cmp_gt_u32_e64 s[0:1], 8, v11
	v_ffbh_u32_e32 v11, v12
	v_min_u32_e32 v11, 32, v11
	v_subrev_u32_e32 v12, 28, v11
	v_sub_u32_e32 v11, 29, v11
	v_cndmask_b32_e64 v19, v19, v11, s[0:1]
	v_cndmask_b32_e64 v11, 0, v12, s[0:1]
	v_lshlrev_b64 v[11:12], v11, v[9:10]
	v_lshlrev_b32_e32 v12, 24, v9
	v_lshlrev_b32_e32 v11, 20, v11
	v_bfrev_b32_e32 v21, 60
	v_and_b32_e32 v11, 0x700000, v11
	v_and_b32_e32 v12, 0x80000000, v12
	v_lshl_add_u32 v19, v19, 23, v21
	v_or3_b32 v21, v12, v19, v11
.LBB311_361:                            ;   in Loop: Header=BB311_232 Depth=1
	s_or_b64 exec, exec, s[20:21]
.LBB311_362:                            ;   in Loop: Header=BB311_232 Depth=1
	s_or_b64 exec, exec, s[18:19]
.LBB311_363:                            ;   in Loop: Header=BB311_232 Depth=1
	s_or_b64 exec, exec, s[16:17]
	v_lshrrev_b16_e32 v19, 8, v9
	v_cmp_ne_u16_e64 s[0:1], 0, v19
	s_and_saveexec_b64 s[16:17], s[0:1]
	s_cbranch_execz .LBB311_369
; %bb.364:                              ;   in Loop: Header=BB311_232 Depth=1
	v_cmp_ne_u16_e64 s[0:1], s28, v19
	v_bfrev_b32_e32 v22, 1
	s_and_saveexec_b64 s[18:19], s[0:1]
	s_cbranch_execz .LBB311_368
; %bb.365:                              ;   in Loop: Header=BB311_232 Depth=1
	v_and_b32_e32 v11, 0x7f, v19
	v_cmp_ne_u32_e64 s[0:1], s29, v11
	v_mov_b32_e32 v22, 0x7f800001
	s_and_saveexec_b64 s[20:21], s[0:1]
	s_cbranch_execz .LBB311_367
; %bb.366:                              ;   in Loop: Header=BB311_232 Depth=1
	v_and_b32_e32 v22, 7, v19
	v_lshrrev_b32_e32 v24, 3, v11
	v_cmp_gt_u32_e64 s[0:1], 8, v11
	v_ffbh_u32_e32 v11, v22
	v_min_u32_e32 v25, 32, v11
	v_subrev_u32_e32 v11, 28, v25
	v_lshlrev_b64 v[11:12], v11, v[19:20]
	v_sub_u32_e32 v12, 29, v25
	v_and_b32_e32 v11, 7, v11
	v_cndmask_b32_e64 v12, v24, v12, s[0:1]
	v_cndmask_b32_e64 v11, v22, v11, s[0:1]
	v_lshlrev_b32_e32 v9, 16, v9
	v_bfrev_b32_e32 v19, 60
	v_lshlrev_b32_e32 v11, 20, v11
	v_and_b32_e32 v9, 0x80000000, v9
	v_lshl_add_u32 v12, v12, 23, v19
	v_or3_b32 v22, v9, v12, v11
.LBB311_367:                            ;   in Loop: Header=BB311_232 Depth=1
	s_or_b64 exec, exec, s[20:21]
.LBB311_368:                            ;   in Loop: Header=BB311_232 Depth=1
	s_or_b64 exec, exec, s[18:19]
.LBB311_369:                            ;   in Loop: Header=BB311_232 Depth=1
	s_or_b64 exec, exec, s[16:17]
	v_lshrrev_b32_e32 v9, 16, v18
	v_cmp_ne_u16_sdwa s[0:1], v9, v10 src0_sel:BYTE_0 src1_sel:DWORD
	v_mov_b32_e32 v24, 0
	v_mov_b32_e32 v61, 0
	s_and_saveexec_b64 s[16:17], s[0:1]
	s_cbranch_execz .LBB311_375
; %bb.370:                              ;   in Loop: Header=BB311_232 Depth=1
	v_cmp_ne_u16_sdwa s[0:1], v9, s28 src0_sel:BYTE_0 src1_sel:DWORD
	v_bfrev_b32_e32 v61, 1
	s_and_saveexec_b64 s[18:19], s[0:1]
	s_cbranch_execz .LBB311_374
; %bb.371:                              ;   in Loop: Header=BB311_232 Depth=1
	v_bfe_u32 v11, v18, 16, 7
	v_cmp_ne_u32_e64 s[0:1], s29, v11
	v_mov_b32_e32 v61, 0x7f800001
	s_and_saveexec_b64 s[20:21], s[0:1]
	s_cbranch_execz .LBB311_373
; %bb.372:                              ;   in Loop: Header=BB311_232 Depth=1
	v_and_b32_e32 v19, 7, v9
	v_lshrrev_b32_e32 v25, 3, v11
	v_cmp_gt_u32_e64 s[0:1], 8, v11
	v_ffbh_u32_e32 v11, v19
	v_min_u32_e32 v26, 32, v11
	v_subrev_u32_e32 v11, 28, v26
	v_lshlrev_b64 v[11:12], v11, v[9:10]
	v_sub_u32_e32 v12, 29, v26
	v_and_b32_e32 v11, 7, v11
	v_cndmask_b32_e64 v12, v25, v12, s[0:1]
	v_cndmask_b32_e64 v11, v19, v11, s[0:1]
	v_lshlrev_b32_e32 v9, 24, v9
	v_bfrev_b32_e32 v19, 60
	v_lshlrev_b32_e32 v11, 20, v11
	v_and_b32_e32 v9, 0x80000000, v9
	v_lshl_add_u32 v12, v12, 23, v19
	v_or3_b32 v61, v9, v12, v11
.LBB311_373:                            ;   in Loop: Header=BB311_232 Depth=1
	s_or_b64 exec, exec, s[20:21]
.LBB311_374:                            ;   in Loop: Header=BB311_232 Depth=1
	s_or_b64 exec, exec, s[18:19]
.LBB311_375:                            ;   in Loop: Header=BB311_232 Depth=1
	s_or_b64 exec, exec, s[16:17]
	v_cmp_lt_u64_e64 s[0:1], s[4:5], v[17:18]
	s_and_saveexec_b64 s[16:17], s[0:1]
	s_cbranch_execz .LBB311_381
; %bb.376:                              ;   in Loop: Header=BB311_232 Depth=1
	v_lshrrev_b32_e32 v9, 24, v18
	v_cmp_ne_u32_e64 s[0:1], s28, v9
	v_bfrev_b32_e32 v24, 1
	s_and_saveexec_b64 s[18:19], s[0:1]
	s_cbranch_execz .LBB311_380
; %bb.377:                              ;   in Loop: Header=BB311_232 Depth=1
	v_bfe_u32 v11, v18, 24, 7
	v_cmp_ne_u32_e64 s[0:1], s29, v11
	v_mov_b32_e32 v24, 0x7f800001
	s_and_saveexec_b64 s[20:21], s[0:1]
	s_cbranch_execz .LBB311_379
; %bb.378:                              ;   in Loop: Header=BB311_232 Depth=1
	v_and_b32_e32 v17, 7, v9
	v_lshrrev_b32_e32 v18, 3, v11
	v_cmp_gt_u32_e64 s[0:1], 8, v11
	v_ffbh_u32_e32 v11, v17
	v_min_u32_e32 v19, 32, v11
	v_subrev_u32_e32 v11, 28, v19
	v_lshlrev_b64 v[11:12], v11, v[9:10]
	v_sub_u32_e32 v12, 29, v19
	v_and_b32_e32 v11, 7, v11
	v_cndmask_b32_e64 v12, v18, v12, s[0:1]
	v_cndmask_b32_e64 v11, v17, v11, s[0:1]
	v_lshlrev_b32_e32 v9, 24, v9
	v_bfrev_b32_e32 v17, 60
	v_lshlrev_b32_e32 v11, 20, v11
	v_and_b32_e32 v9, 0x80000000, v9
	v_lshl_add_u32 v12, v12, 23, v17
	v_or3_b32 v24, v9, v12, v11
.LBB311_379:                            ;   in Loop: Header=BB311_232 Depth=1
	s_or_b64 exec, exec, s[20:21]
.LBB311_380:                            ;   in Loop: Header=BB311_232 Depth=1
	s_or_b64 exec, exec, s[18:19]
.LBB311_381:                            ;   in Loop: Header=BB311_232 Depth=1
	s_or_b64 exec, exec, s[16:17]
	v_mul_f32_e32 v9, s31, v22
	v_bfe_u32 v11, v9, 16, 1
	v_add3_u32 v11, v11, v9, s30
	v_or_b32_e32 v12, 0x400000, v9
	v_cmp_u_f32_e64 s[0:1], v9, v9
	v_cndmask_b32_e64 v9, v11, v12, s[0:1]
	v_lshrrev_b32_e32 v18, 16, v9
	v_mul_f32_e32 v9, s31, v21
	v_bfe_u32 v11, v9, 16, 1
	v_add3_u32 v11, v11, v9, s30
	v_or_b32_e32 v12, 0x400000, v9
	v_cmp_u_f32_e64 s[0:1], v9, v9
	v_cndmask_b32_e64 v9, v11, v12, s[0:1]
	v_lshrrev_b32_e32 v19, 16, v9
	v_mul_f32_e32 v9, s31, v20
	v_bfe_u32 v11, v9, 16, 1
	v_add3_u32 v11, v11, v9, s30
	v_or_b32_e32 v12, 0x400000, v9
	v_cmp_u_f32_e64 s[0:1], v9, v9
	v_cndmask_b32_e64 v9, v11, v12, s[0:1]
	v_lshrrev_b32_e32 v59, 16, v9
	v_mul_f32_e32 v9, s31, v58
	v_bfe_u32 v11, v9, 16, 1
	v_add3_u32 v11, v11, v9, s30
	v_or_b32_e32 v12, 0x400000, v9
	v_cmp_u_f32_e64 s[0:1], v9, v9
	v_cndmask_b32_e64 v9, v11, v12, s[0:1]
	v_lshrrev_b32_e32 v60, 16, v9
	v_mul_f32_e32 v9, s31, v23
	v_bfe_u32 v11, v9, 16, 1
	v_add3_u32 v11, v11, v9, s30
	v_or_b32_e32 v12, 0x400000, v9
	v_cmp_u_f32_e64 s[0:1], v9, v9
	v_cndmask_b32_e64 v9, v11, v12, s[0:1]
	v_mul_f32_e32 v0, s31, v0
	v_lshrrev_b32_e32 v62, 16, v9
	v_bfe_u32 v9, v0, 16, 1
	v_add3_u32 v9, v9, v0, s30
	v_or_b32_e32 v11, 0x400000, v0
	v_cmp_u_f32_e64 s[0:1], v0, v0
	v_cndmask_b32_e64 v0, v9, v11, s[0:1]
	v_lshrrev_b32_e32 v63, 16, v0
	v_mul_f32_e32 v0, s31, v61
	v_bfe_u32 v9, v0, 16, 1
	v_add3_u32 v9, v9, v0, s30
	v_or_b32_e32 v11, 0x400000, v0
	v_cmp_u_f32_e64 s[0:1], v0, v0
	v_cndmask_b32_e64 v0, v9, v11, s[0:1]
	v_lshrrev_b32_e32 v58, 16, v0
	v_mul_f32_e32 v0, s31, v24
	v_bfe_u32 v9, v0, 16, 1
	v_add3_u32 v9, v9, v0, s30
	v_or_b32_e32 v11, 0x400000, v0
	v_cmp_u_f32_e64 s[0:1], v0, v0
	v_cndmask_b32_e64 v0, v9, v11, s[0:1]
	v_lshrrev_b32_e32 v61, 16, v0
	s_and_saveexec_b64 s[16:17], vcc
	s_cbranch_execz .LBB311_383
; %bb.382:                              ;   in Loop: Header=BB311_232 Depth=1
	v_cmp_gt_i32_e64 s[0:1], s33, v42
	v_cndmask_b32_e64 v63, 0, v63, s[0:1]
	v_cmp_gt_i32_e64 s[0:1], s33, v49
	v_cndmask_b32_e64 v62, 0, v62, s[0:1]
	;; [unrolled: 2-line block ×8, first 2 shown]
.LBB311_383:                            ;   in Loop: Header=BB311_232 Depth=1
	s_or_b64 exec, exec, s[16:17]
	global_load_dwordx2 v[15:16], v[15:16], off offset:1536
	v_mov_b32_e32 v23, 0
	v_mov_b32_e32 v0, 0
	s_waitcnt vmcnt(0)
	v_cmp_ne_u16_sdwa s[0:1], v15, v10 src0_sel:BYTE_0 src1_sel:DWORD
	s_and_saveexec_b64 s[16:17], s[0:1]
	s_cbranch_execz .LBB311_389
; %bb.384:                              ;   in Loop: Header=BB311_232 Depth=1
	v_cmp_ne_u16_sdwa s[0:1], v15, s28 src0_sel:BYTE_0 src1_sel:DWORD
	v_bfrev_b32_e32 v0, 1
	s_and_saveexec_b64 s[18:19], s[0:1]
	s_cbranch_execz .LBB311_388
; %bb.385:                              ;   in Loop: Header=BB311_232 Depth=1
	v_and_b32_e32 v9, 0x7f, v15
	v_cmp_ne_u32_e64 s[0:1], s29, v9
	v_mov_b32_e32 v0, 0x7f800001
	s_and_saveexec_b64 s[20:21], s[0:1]
	s_cbranch_execz .LBB311_387
; %bb.386:                              ;   in Loop: Header=BB311_232 Depth=1
	v_and_b32_e32 v0, 7, v15
	v_ffbh_u32_e32 v0, v0
	v_min_u32_e32 v0, 32, v0
	v_lshrrev_b32_e32 v11, 3, v9
	v_cmp_gt_u32_e64 s[0:1], 8, v9
	v_subrev_u32_e32 v9, 28, v0
	v_sub_u32_e32 v0, 29, v0
	v_cndmask_b32_e64 v9, 0, v9, s[0:1]
	v_cndmask_b32_e64 v0, v11, v0, s[0:1]
	v_lshlrev_b64 v[11:12], v9, v[15:16]
	v_bfrev_b32_e32 v12, 60
	v_lshlrev_b32_e32 v9, 20, v11
	v_lshlrev_b32_e32 v11, 24, v15
	v_and_b32_e32 v9, 0x700000, v9
	v_and_b32_e32 v11, 0x80000000, v11
	v_lshl_add_u32 v0, v0, 23, v12
	v_or3_b32 v0, v11, v0, v9
.LBB311_387:                            ;   in Loop: Header=BB311_232 Depth=1
	s_or_b64 exec, exec, s[20:21]
.LBB311_388:                            ;   in Loop: Header=BB311_232 Depth=1
	s_or_b64 exec, exec, s[18:19]
.LBB311_389:                            ;   in Loop: Header=BB311_232 Depth=1
	s_or_b64 exec, exec, s[16:17]
	v_lshrrev_b16_e32 v9, 8, v15
	v_cmp_ne_u16_e64 s[0:1], 0, v9
	s_and_saveexec_b64 s[16:17], s[0:1]
	s_cbranch_execz .LBB311_395
; %bb.390:                              ;   in Loop: Header=BB311_232 Depth=1
	v_cmp_ne_u16_e64 s[0:1], s28, v9
	v_bfrev_b32_e32 v23, 1
	s_and_saveexec_b64 s[18:19], s[0:1]
	s_cbranch_execz .LBB311_394
; %bb.391:                              ;   in Loop: Header=BB311_232 Depth=1
	v_and_b32_e32 v11, 0x7f, v9
	v_cmp_ne_u32_e64 s[0:1], s29, v11
	v_mov_b32_e32 v23, 0x7f800001
	s_and_saveexec_b64 s[20:21], s[0:1]
	s_cbranch_execz .LBB311_393
; %bb.392:                              ;   in Loop: Header=BB311_232 Depth=1
	v_and_b32_e32 v17, 7, v9
	v_lshrrev_b32_e32 v20, 3, v11
	v_cmp_gt_u32_e64 s[0:1], 8, v11
	v_ffbh_u32_e32 v11, v17
	v_min_u32_e32 v21, 32, v11
	v_subrev_u32_e32 v11, 28, v21
	v_lshlrev_b64 v[11:12], v11, v[9:10]
	v_sub_u32_e32 v9, 29, v21
	v_and_b32_e32 v11, 7, v11
	v_cndmask_b32_e64 v9, v20, v9, s[0:1]
	v_cndmask_b32_e64 v11, v17, v11, s[0:1]
	v_lshlrev_b32_e32 v12, 16, v15
	v_bfrev_b32_e32 v17, 60
	v_lshlrev_b32_e32 v11, 20, v11
	v_and_b32_e32 v12, 0x80000000, v12
	v_lshl_add_u32 v9, v9, 23, v17
	v_or3_b32 v23, v12, v9, v11
.LBB311_393:                            ;   in Loop: Header=BB311_232 Depth=1
	s_or_b64 exec, exec, s[20:21]
.LBB311_394:                            ;   in Loop: Header=BB311_232 Depth=1
	s_or_b64 exec, exec, s[18:19]
.LBB311_395:                            ;   in Loop: Header=BB311_232 Depth=1
	s_or_b64 exec, exec, s[16:17]
	v_lshrrev_b32_e32 v9, 16, v15
	v_cmp_ne_u16_sdwa s[0:1], v9, v10 src0_sel:BYTE_0 src1_sel:DWORD
	v_mov_b32_e32 v21, 0
	v_mov_b32_e32 v20, 0
	s_and_saveexec_b64 s[16:17], s[0:1]
	s_cbranch_execz .LBB311_401
; %bb.396:                              ;   in Loop: Header=BB311_232 Depth=1
	v_cmp_ne_u16_sdwa s[0:1], v9, s28 src0_sel:BYTE_0 src1_sel:DWORD
	v_bfrev_b32_e32 v20, 1
	s_and_saveexec_b64 s[18:19], s[0:1]
	s_cbranch_execz .LBB311_400
; %bb.397:                              ;   in Loop: Header=BB311_232 Depth=1
	v_bfe_u32 v11, v15, 16, 7
	v_cmp_ne_u32_e64 s[0:1], s29, v11
	v_mov_b32_e32 v20, 0x7f800001
	s_and_saveexec_b64 s[20:21], s[0:1]
	s_cbranch_execz .LBB311_399
; %bb.398:                              ;   in Loop: Header=BB311_232 Depth=1
	v_and_b32_e32 v17, 7, v9
	v_lshrrev_b32_e32 v20, 3, v11
	v_cmp_gt_u32_e64 s[0:1], 8, v11
	v_ffbh_u32_e32 v11, v17
	v_min_u32_e32 v22, 32, v11
	v_subrev_u32_e32 v11, 28, v22
	v_lshlrev_b64 v[11:12], v11, v[9:10]
	v_sub_u32_e32 v12, 29, v22
	v_and_b32_e32 v11, 7, v11
	v_cndmask_b32_e64 v12, v20, v12, s[0:1]
	v_cndmask_b32_e64 v11, v17, v11, s[0:1]
	v_lshlrev_b32_e32 v9, 24, v9
	v_bfrev_b32_e32 v17, 60
	v_lshlrev_b32_e32 v11, 20, v11
	v_and_b32_e32 v9, 0x80000000, v9
	v_lshl_add_u32 v12, v12, 23, v17
	v_or3_b32 v20, v9, v12, v11
.LBB311_399:                            ;   in Loop: Header=BB311_232 Depth=1
	s_or_b64 exec, exec, s[20:21]
.LBB311_400:                            ;   in Loop: Header=BB311_232 Depth=1
	s_or_b64 exec, exec, s[18:19]
.LBB311_401:                            ;   in Loop: Header=BB311_232 Depth=1
	s_or_b64 exec, exec, s[16:17]
	v_cmp_lt_u32_e64 s[0:1], s5, v15
	s_and_saveexec_b64 s[16:17], s[0:1]
	s_cbranch_execz .LBB311_407
; %bb.402:                              ;   in Loop: Header=BB311_232 Depth=1
	v_lshrrev_b32_e32 v9, 24, v15
	v_cmp_ne_u32_e64 s[0:1], s28, v9
	v_bfrev_b32_e32 v21, 1
	s_and_saveexec_b64 s[18:19], s[0:1]
	s_cbranch_execz .LBB311_406
; %bb.403:                              ;   in Loop: Header=BB311_232 Depth=1
	v_bfe_u32 v11, v15, 24, 7
	v_cmp_ne_u32_e64 s[0:1], s29, v11
	v_mov_b32_e32 v21, 0x7f800001
	s_and_saveexec_b64 s[20:21], s[0:1]
	s_cbranch_execz .LBB311_405
; %bb.404:                              ;   in Loop: Header=BB311_232 Depth=1
	v_and_b32_e32 v17, 7, v9
	v_lshrrev_b32_e32 v21, 3, v11
	v_cmp_gt_u32_e64 s[0:1], 8, v11
	v_ffbh_u32_e32 v11, v17
	v_min_u32_e32 v22, 32, v11
	v_subrev_u32_e32 v11, 28, v22
	v_lshlrev_b64 v[11:12], v11, v[9:10]
	v_sub_u32_e32 v12, 29, v22
	v_and_b32_e32 v11, 7, v11
	v_cndmask_b32_e64 v12, v21, v12, s[0:1]
	v_cndmask_b32_e64 v11, v17, v11, s[0:1]
	v_lshlrev_b32_e32 v9, 24, v9
	v_bfrev_b32_e32 v17, 60
	v_lshlrev_b32_e32 v11, 20, v11
	v_and_b32_e32 v9, 0x80000000, v9
	v_lshl_add_u32 v12, v12, 23, v17
	v_or3_b32 v21, v9, v12, v11
.LBB311_405:                            ;   in Loop: Header=BB311_232 Depth=1
	s_or_b64 exec, exec, s[20:21]
.LBB311_406:                            ;   in Loop: Header=BB311_232 Depth=1
	s_or_b64 exec, exec, s[18:19]
.LBB311_407:                            ;   in Loop: Header=BB311_232 Depth=1
	s_or_b64 exec, exec, s[16:17]
	v_mov_b32_e32 v9, v16
	v_cmp_ne_u16_sdwa s[0:1], v16, v10 src0_sel:BYTE_0 src1_sel:DWORD
	v_mov_b32_e32 v24, 0
	v_mov_b32_e32 v22, 0
	s_and_saveexec_b64 s[16:17], s[0:1]
	s_cbranch_execz .LBB311_413
; %bb.408:                              ;   in Loop: Header=BB311_232 Depth=1
	v_cmp_ne_u16_sdwa s[0:1], v16, s28 src0_sel:BYTE_0 src1_sel:DWORD
	v_bfrev_b32_e32 v22, 1
	s_and_saveexec_b64 s[18:19], s[0:1]
	s_cbranch_execz .LBB311_412
; %bb.409:                              ;   in Loop: Header=BB311_232 Depth=1
	v_and_b32_e32 v11, 0x7f, v16
	v_cmp_ne_u32_e64 s[0:1], s29, v11
	v_mov_b32_e32 v22, 0x7f800001
	s_and_saveexec_b64 s[20:21], s[0:1]
	s_cbranch_execz .LBB311_411
; %bb.410:                              ;   in Loop: Header=BB311_232 Depth=1
	v_and_b32_e32 v12, 7, v16
	v_lshrrev_b32_e32 v17, 3, v11
	v_cmp_gt_u32_e64 s[0:1], 8, v11
	v_ffbh_u32_e32 v11, v12
	v_min_u32_e32 v11, 32, v11
	v_subrev_u32_e32 v12, 28, v11
	v_sub_u32_e32 v11, 29, v11
	v_cndmask_b32_e64 v17, v17, v11, s[0:1]
	v_cndmask_b32_e64 v11, 0, v12, s[0:1]
	v_lshlrev_b64 v[11:12], v11, v[9:10]
	v_lshlrev_b32_e32 v12, 24, v9
	v_lshlrev_b32_e32 v11, 20, v11
	v_bfrev_b32_e32 v22, 60
	v_and_b32_e32 v11, 0x700000, v11
	v_and_b32_e32 v12, 0x80000000, v12
	v_lshl_add_u32 v17, v17, 23, v22
	v_or3_b32 v22, v12, v17, v11
.LBB311_411:                            ;   in Loop: Header=BB311_232 Depth=1
	s_or_b64 exec, exec, s[20:21]
.LBB311_412:                            ;   in Loop: Header=BB311_232 Depth=1
	s_or_b64 exec, exec, s[18:19]
.LBB311_413:                            ;   in Loop: Header=BB311_232 Depth=1
	s_or_b64 exec, exec, s[16:17]
	v_lshrrev_b16_e32 v17, 8, v9
	v_cmp_ne_u16_e64 s[0:1], 0, v17
	s_and_saveexec_b64 s[16:17], s[0:1]
	s_cbranch_execz .LBB311_419
; %bb.414:                              ;   in Loop: Header=BB311_232 Depth=1
	v_cmp_ne_u16_e64 s[0:1], s28, v17
	v_bfrev_b32_e32 v24, 1
	s_and_saveexec_b64 s[18:19], s[0:1]
	s_cbranch_execz .LBB311_418
; %bb.415:                              ;   in Loop: Header=BB311_232 Depth=1
	v_and_b32_e32 v11, 0x7f, v17
	v_cmp_ne_u32_e64 s[0:1], s29, v11
	v_mov_b32_e32 v24, 0x7f800001
	s_and_saveexec_b64 s[20:21], s[0:1]
	s_cbranch_execz .LBB311_417
; %bb.416:                              ;   in Loop: Header=BB311_232 Depth=1
	v_and_b32_e32 v24, 7, v17
	v_lshrrev_b32_e32 v25, 3, v11
	v_cmp_gt_u32_e64 s[0:1], 8, v11
	v_ffbh_u32_e32 v11, v24
	v_min_u32_e32 v26, 32, v11
	v_subrev_u32_e32 v11, 28, v26
	v_lshlrev_b64 v[11:12], v11, v[17:18]
	v_sub_u32_e32 v12, 29, v26
	v_and_b32_e32 v11, 7, v11
	v_cndmask_b32_e64 v12, v25, v12, s[0:1]
	v_cndmask_b32_e64 v11, v24, v11, s[0:1]
	v_lshlrev_b32_e32 v9, 16, v9
	v_bfrev_b32_e32 v17, 60
	v_lshlrev_b32_e32 v11, 20, v11
	v_and_b32_e32 v9, 0x80000000, v9
	v_lshl_add_u32 v12, v12, 23, v17
	v_or3_b32 v24, v9, v12, v11
.LBB311_417:                            ;   in Loop: Header=BB311_232 Depth=1
	s_or_b64 exec, exec, s[20:21]
.LBB311_418:                            ;   in Loop: Header=BB311_232 Depth=1
	s_or_b64 exec, exec, s[18:19]
.LBB311_419:                            ;   in Loop: Header=BB311_232 Depth=1
	s_or_b64 exec, exec, s[16:17]
	v_lshrrev_b32_e32 v9, 16, v16
	v_cmp_ne_u16_sdwa s[0:1], v9, v10 src0_sel:BYTE_0 src1_sel:DWORD
	v_mov_b32_e32 v17, 0
	v_mov_b32_e32 v11, 0
	s_and_saveexec_b64 s[16:17], s[0:1]
	s_cbranch_execz .LBB311_425
; %bb.420:                              ;   in Loop: Header=BB311_232 Depth=1
	v_cmp_ne_u16_sdwa s[0:1], v9, s28 src0_sel:BYTE_0 src1_sel:DWORD
	v_bfrev_b32_e32 v11, 1
	s_and_saveexec_b64 s[18:19], s[0:1]
	s_cbranch_execz .LBB311_424
; %bb.421:                              ;   in Loop: Header=BB311_232 Depth=1
	v_bfe_u32 v12, v16, 16, 7
	v_cmp_ne_u32_e64 s[0:1], s29, v12
	v_mov_b32_e32 v11, 0x7f800001
	s_and_saveexec_b64 s[20:21], s[0:1]
	s_cbranch_execz .LBB311_423
; %bb.422:                              ;   in Loop: Header=BB311_232 Depth=1
	v_and_b32_e32 v25, 7, v9
	v_ffbh_u32_e32 v11, v25
	v_min_u32_e32 v33, 32, v11
	v_subrev_u32_e32 v11, 28, v33
	v_lshrrev_b32_e32 v26, 3, v12
	v_cmp_gt_u32_e64 s[0:1], 8, v12
	v_lshlrev_b64 v[11:12], v11, v[9:10]
	v_sub_u32_e32 v12, 29, v33
	v_and_b32_e32 v11, 7, v11
	v_cndmask_b32_e64 v12, v26, v12, s[0:1]
	v_cndmask_b32_e64 v11, v25, v11, s[0:1]
	v_lshlrev_b32_e32 v9, 24, v9
	v_bfrev_b32_e32 v25, 60
	v_lshlrev_b32_e32 v11, 20, v11
	v_and_b32_e32 v9, 0x80000000, v9
	v_lshl_add_u32 v12, v12, 23, v25
	v_or3_b32 v11, v9, v12, v11
.LBB311_423:                            ;   in Loop: Header=BB311_232 Depth=1
	s_or_b64 exec, exec, s[20:21]
.LBB311_424:                            ;   in Loop: Header=BB311_232 Depth=1
	s_or_b64 exec, exec, s[18:19]
.LBB311_425:                            ;   in Loop: Header=BB311_232 Depth=1
	s_or_b64 exec, exec, s[16:17]
	v_cmp_lt_u64_e64 s[0:1], s[4:5], v[15:16]
	s_and_saveexec_b64 s[16:17], s[0:1]
	s_cbranch_execz .LBB311_431
; %bb.426:                              ;   in Loop: Header=BB311_232 Depth=1
	v_lshrrev_b32_e32 v9, 24, v16
	v_cmp_ne_u32_e64 s[0:1], s28, v9
	v_bfrev_b32_e32 v17, 1
	s_and_saveexec_b64 s[18:19], s[0:1]
	s_cbranch_execz .LBB311_430
; %bb.427:                              ;   in Loop: Header=BB311_232 Depth=1
	v_bfe_u32 v12, v16, 24, 7
	v_cmp_ne_u32_e64 s[0:1], s29, v12
	v_mov_b32_e32 v17, 0x7f800001
	s_and_saveexec_b64 s[20:21], s[0:1]
	s_cbranch_execz .LBB311_429
; %bb.428:                              ;   in Loop: Header=BB311_232 Depth=1
	v_and_b32_e32 v17, 7, v9
	v_lshrrev_b32_e32 v25, 3, v12
	v_cmp_gt_u32_e64 s[0:1], 8, v12
	v_ffbh_u32_e32 v12, v17
	v_min_u32_e32 v12, 32, v12
	v_subrev_u32_e32 v15, 28, v12
	v_lshlrev_b64 v[15:16], v15, v[9:10]
	v_sub_u32_e32 v12, 29, v12
	v_and_b32_e32 v15, 7, v15
	v_cndmask_b32_e64 v12, v25, v12, s[0:1]
	v_cndmask_b32_e64 v15, v17, v15, s[0:1]
	v_lshlrev_b32_e32 v9, 24, v9
	v_bfrev_b32_e32 v16, 60
	v_lshlrev_b32_e32 v15, 20, v15
	v_and_b32_e32 v9, 0x80000000, v9
	v_lshl_add_u32 v12, v12, 23, v16
	v_or3_b32 v17, v9, v12, v15
.LBB311_429:                            ;   in Loop: Header=BB311_232 Depth=1
	s_or_b64 exec, exec, s[20:21]
.LBB311_430:                            ;   in Loop: Header=BB311_232 Depth=1
	s_or_b64 exec, exec, s[18:19]
.LBB311_431:                            ;   in Loop: Header=BB311_232 Depth=1
	s_or_b64 exec, exec, s[16:17]
	v_mul_f32_e32 v9, s31, v24
	v_bfe_u32 v12, v9, 16, 1
	v_add3_u32 v12, v12, v9, s30
	v_or_b32_e32 v15, 0x400000, v9
	v_cmp_u_f32_e64 s[0:1], v9, v9
	v_cndmask_b32_e64 v9, v12, v15, s[0:1]
	v_mul_f32_e32 v12, s31, v22
	v_bfe_u32 v15, v12, 16, 1
	v_add3_u32 v15, v15, v12, s30
	v_or_b32_e32 v16, 0x400000, v12
	v_cmp_u_f32_e64 s[0:1], v12, v12
	v_cndmask_b32_e64 v12, v15, v16, s[0:1]
	v_lshrrev_b32_e32 v15, 16, v12
	v_mul_f32_e32 v12, s31, v21
	v_bfe_u32 v16, v12, 16, 1
	v_add3_u32 v16, v16, v12, s30
	v_or_b32_e32 v21, 0x400000, v12
	v_cmp_u_f32_e64 s[0:1], v12, v12
	v_cndmask_b32_e64 v12, v16, v21, s[0:1]
	v_lshrrev_b32_e32 v16, 16, v12
	;; [unrolled: 7-line block ×3, first 2 shown]
	v_mul_f32_e32 v12, s31, v23
	v_bfe_u32 v21, v12, 16, 1
	v_add3_u32 v21, v21, v12, s30
	v_or_b32_e32 v22, 0x400000, v12
	v_cmp_u_f32_e64 s[0:1], v12, v12
	v_cndmask_b32_e64 v12, v21, v22, s[0:1]
	v_mul_f32_e32 v0, s31, v0
	v_lshrrev_b32_e32 v21, 16, v12
	v_bfe_u32 v12, v0, 16, 1
	v_add3_u32 v12, v12, v0, s30
	v_or_b32_e32 v22, 0x400000, v0
	v_cmp_u_f32_e64 s[0:1], v0, v0
	v_cndmask_b32_e64 v0, v12, v22, s[0:1]
	v_lshrrev_b32_e32 v23, 16, v0
	v_mul_f32_e32 v0, s31, v11
	v_bfe_u32 v11, v0, 16, 1
	v_add3_u32 v11, v11, v0, s30
	v_or_b32_e32 v12, 0x400000, v0
	v_cmp_u_f32_e64 s[0:1], v0, v0
	v_cndmask_b32_e64 v0, v11, v12, s[0:1]
	v_mul_f32_e32 v11, s31, v17
	v_bfe_u32 v12, v11, 16, 1
	v_add3_u32 v12, v12, v11, s30
	v_or_b32_e32 v17, 0x400000, v11
	v_cmp_u_f32_e64 s[0:1], v11, v11
	v_cndmask_b32_e64 v11, v12, v17, s[0:1]
	v_lshrrev_b32_e32 v9, 16, v9
	v_lshrrev_b32_e32 v0, 16, v0
	;; [unrolled: 1-line block ×3, first 2 shown]
	s_and_saveexec_b64 s[0:1], vcc
	s_cbranch_execz .LBB311_230
; %bb.432:                              ;   in Loop: Header=BB311_232 Depth=1
	v_cmp_gt_i32_e32 vcc, s33, v42
	v_cndmask_b32_e32 v23, 0, v23, vcc
	v_cmp_gt_i32_e32 vcc, s33, v49
	v_cndmask_b32_e32 v21, 0, v21, vcc
	;; [unrolled: 2-line block ×8, first 2 shown]
	s_branch .LBB311_230
.LBB311_433:
	s_or_b64 exec, exec, s[6:7]
	buffer_load_dword v14, off, s[60:63], 0 offset:20 ; 4-byte Folded Reload
	buffer_load_dword v15, off, s[60:63], 0 offset:24 ; 4-byte Folded Reload
	buffer_load_dword v16, off, s[60:63], 0 offset:28 ; 4-byte Folded Reload
	buffer_load_dword v11, off, s[60:63], 0 offset:32 ; 4-byte Folded Reload
.LBB311_434:
	s_or_b64 exec, exec, s[2:3]
	s_waitcnt vmcnt(2)
	ds_bpermute_b32 v0, v15, v31
	ds_bpermute_b32 v3, v15, v29
	s_waitcnt vmcnt(0) lgkmcnt(0)
	s_barrier
	v_add_f32_e32 v0, v31, v0
	ds_bpermute_b32 v4, v16, v0
	v_add_f32_e32 v8, v29, v3
	ds_bpermute_b32 v1, v15, v32
	ds_bpermute_b32 v2, v15, v30
	ds_bpermute_b32 v9, v16, v8
	s_waitcnt lgkmcnt(3)
	v_add_f32_e32 v3, v0, v4
	buffer_load_dword v4, off, s[60:63], 0 offset:48 ; 4-byte Folded Reload
	s_waitcnt lgkmcnt(2)
	v_add_f32_e32 v1, v32, v1
	ds_bpermute_b32 v5, v16, v1
	s_waitcnt lgkmcnt(2)
	v_add_f32_e32 v6, v30, v2
	ds_bpermute_b32 v7, v16, v6
	s_waitcnt lgkmcnt(2)
	v_add_f32_e32 v0, v8, v9
	s_waitcnt lgkmcnt(1)
	v_add_f32_e32 v2, v1, v5
	;; [unrolled: 2-line block ×3, first 2 shown]
	s_waitcnt vmcnt(0)
	v_and_b32_e32 v5, 0x3c3, v4
	v_cmp_eq_u32_e32 vcc, 64, v5
	s_and_saveexec_b64 s[0:1], vcc
	s_cbranch_execz .LBB311_436
; %bb.435:
	v_add_u32_e32 v4, 0x90, v14
	ds_write2_b32 v4, v3, v2 offset1:16
	ds_write2_b32 v4, v1, v0 offset0:32 offset1:48
.LBB311_436:
	s_or_b64 exec, exec, s[0:1]
	buffer_load_dword v4, off, s[60:63], 0 offset:48 ; 4-byte Folded Reload
	s_waitcnt vmcnt(0) lgkmcnt(0)
	s_barrier
	v_cmp_gt_u32_e32 vcc, 64, v4
	v_lshrrev_b32_e32 v4, 2, v4
	s_and_saveexec_b64 s[0:1], vcc
	s_cbranch_execz .LBB311_443
; %bb.437:
	v_mov_b32_e32 v6, 0x90
	v_cmp_eq_u32_e32 vcc, 0, v11
	v_lshl_add_u32 v6, v4, 2, v6
	s_and_saveexec_b64 s[2:3], vcc
	s_cbranch_execnz .LBB311_446
; %bb.438:
	s_or_b64 exec, exec, s[2:3]
	s_and_saveexec_b64 s[2:3], vcc
	s_cbranch_execnz .LBB311_447
.LBB311_439:
	s_or_b64 exec, exec, s[2:3]
	s_and_saveexec_b64 s[2:3], vcc
	s_cbranch_execnz .LBB311_448
.LBB311_440:
	s_or_b64 exec, exec, s[2:3]
	s_and_saveexec_b64 s[2:3], vcc
	s_cbranch_execz .LBB311_442
.LBB311_441:
	ds_read_b32 v6, v6 offset:192
	s_waitcnt lgkmcnt(0)
	v_add_f32_e32 v0, v0, v6
.LBB311_442:
	s_or_b64 exec, exec, s[2:3]
.LBB311_443:
	s_or_b64 exec, exec, s[0:1]
	v_cmp_eq_u32_e32 vcc, 0, v5
	s_barrier
	s_and_saveexec_b64 s[0:1], vcc
	s_cbranch_execz .LBB311_445
; %bb.444:
	s_mul_i32 s0, s10, s11
	s_mul_i32 s0, s0, s9
	s_lshl_b32 s0, s0, 6
	s_ashr_i32 s1, s0, 31
	s_lshl_b64 s[0:1], s[0:1], 1
	s_add_u32 s2, s26, s0
	s_mul_i32 s0, s11, s24
	s_addc_u32 s3, s27, s1
	s_ashr_i32 s1, s0, 31
	s_lshl_b64 s[0:1], s[0:1], 1
	s_add_u32 s2, s2, s0
	s_addc_u32 s3, s3, s1
	s_lshl_b32 s0, s8, 6
	s_ashr_i32 s1, s0, 31
	s_lshl_b64 s[0:1], s[0:1], 1
	s_add_u32 s0, s2, s0
	v_bfe_u32 v5, v3, 16, 1
	s_movk_i32 s2, 0x7fff
	v_add3_u32 v5, v5, v3, s2
	v_or_b32_e32 v6, 0x400000, v3
	v_cmp_u_f32_e32 vcc, v3, v3
	s_addc_u32 s1, s3, s1
	v_lshlrev_b32_e32 v4, 1, v4
	v_cndmask_b32_e32 v3, v5, v6, vcc
	global_store_short_d16_hi v4, v3, s[0:1]
	v_bfe_u32 v3, v2, 16, 1
	v_add3_u32 v3, v3, v2, s2
	v_or_b32_e32 v5, 0x400000, v2
	v_cmp_u_f32_e32 vcc, v2, v2
	v_cndmask_b32_e32 v2, v3, v5, vcc
	global_store_short_d16_hi v4, v2, s[0:1] offset:32
	v_bfe_u32 v2, v1, 16, 1
	v_add3_u32 v2, v2, v1, s2
	v_or_b32_e32 v3, 0x400000, v1
	v_cmp_u_f32_e32 vcc, v1, v1
	v_cndmask_b32_e32 v1, v2, v3, vcc
	global_store_short_d16_hi v4, v1, s[0:1] offset:64
	;; [unrolled: 6-line block ×3, first 2 shown]
.LBB311_445:
	s_endpgm
.LBB311_446:
	ds_read_b32 v7, v6
	s_waitcnt lgkmcnt(0)
	v_add_f32_e32 v3, v3, v7
	s_or_b64 exec, exec, s[2:3]
	s_and_saveexec_b64 s[2:3], vcc
	s_cbranch_execz .LBB311_439
.LBB311_447:
	ds_read_b32 v7, v6 offset:64
	s_waitcnt lgkmcnt(0)
	v_add_f32_e32 v2, v2, v7
	s_or_b64 exec, exec, s[2:3]
	s_and_saveexec_b64 s[2:3], vcc
	s_cbranch_execz .LBB311_440
.LBB311_448:
	ds_read_b32 v7, v6 offset:128
	s_waitcnt lgkmcnt(0)
	v_add_f32_e32 v1, v1, v7
	s_or_b64 exec, exec, s[2:3]
	s_and_saveexec_b64 s[2:3], vcc
	s_cbranch_execnz .LBB311_441
	s_branch .LBB311_442
	.section	.rodata,"a",@progbits
	.p2align	6, 0x0
	.amdhsa_kernel _ZN4vllm25paged_attention_v1_kernelI14__hip_bfloat16hLi64ELi32ELi128ELNS_18Fp8KVCacheDataTypeE1ELb1EEEvPT_PKS3_PKT0_S9_ifPKiSB_iPKfiiiSD_SD_iiiii
		.amdhsa_group_segment_fixed_size 144
		.amdhsa_private_segment_fixed_size 96
		.amdhsa_kernarg_size 384
		.amdhsa_user_sgpr_count 6
		.amdhsa_user_sgpr_private_segment_buffer 1
		.amdhsa_user_sgpr_dispatch_ptr 0
		.amdhsa_user_sgpr_queue_ptr 0
		.amdhsa_user_sgpr_kernarg_segment_ptr 1
		.amdhsa_user_sgpr_dispatch_id 0
		.amdhsa_user_sgpr_flat_scratch_init 0
		.amdhsa_user_sgpr_private_segment_size 0
		.amdhsa_uses_dynamic_stack 0
		.amdhsa_system_sgpr_private_segment_wavefront_offset 1
		.amdhsa_system_sgpr_workgroup_id_x 1
		.amdhsa_system_sgpr_workgroup_id_y 1
		.amdhsa_system_sgpr_workgroup_id_z 1
		.amdhsa_system_sgpr_workgroup_info 0
		.amdhsa_system_vgpr_workitem_id 0
		.amdhsa_next_free_vgpr 64
		.amdhsa_next_free_sgpr 64
		.amdhsa_reserve_vcc 1
		.amdhsa_reserve_flat_scratch 0
		.amdhsa_float_round_mode_32 0
		.amdhsa_float_round_mode_16_64 0
		.amdhsa_float_denorm_mode_32 3
		.amdhsa_float_denorm_mode_16_64 3
		.amdhsa_dx10_clamp 1
		.amdhsa_ieee_mode 1
		.amdhsa_fp16_overflow 0
		.amdhsa_exception_fp_ieee_invalid_op 0
		.amdhsa_exception_fp_denorm_src 0
		.amdhsa_exception_fp_ieee_div_zero 0
		.amdhsa_exception_fp_ieee_overflow 0
		.amdhsa_exception_fp_ieee_underflow 0
		.amdhsa_exception_fp_ieee_inexact 0
		.amdhsa_exception_int_div_zero 0
	.end_amdhsa_kernel
	.section	.text._ZN4vllm25paged_attention_v1_kernelI14__hip_bfloat16hLi64ELi32ELi128ELNS_18Fp8KVCacheDataTypeE1ELb1EEEvPT_PKS3_PKT0_S9_ifPKiSB_iPKfiiiSD_SD_iiiii,"axG",@progbits,_ZN4vllm25paged_attention_v1_kernelI14__hip_bfloat16hLi64ELi32ELi128ELNS_18Fp8KVCacheDataTypeE1ELb1EEEvPT_PKS3_PKT0_S9_ifPKiSB_iPKfiiiSD_SD_iiiii,comdat
.Lfunc_end311:
	.size	_ZN4vllm25paged_attention_v1_kernelI14__hip_bfloat16hLi64ELi32ELi128ELNS_18Fp8KVCacheDataTypeE1ELb1EEEvPT_PKS3_PKT0_S9_ifPKiSB_iPKfiiiSD_SD_iiiii, .Lfunc_end311-_ZN4vllm25paged_attention_v1_kernelI14__hip_bfloat16hLi64ELi32ELi128ELNS_18Fp8KVCacheDataTypeE1ELb1EEEvPT_PKS3_PKT0_S9_ifPKiSB_iPKfiiiSD_SD_iiiii
                                        ; -- End function
	.set _ZN4vllm25paged_attention_v1_kernelI14__hip_bfloat16hLi64ELi32ELi128ELNS_18Fp8KVCacheDataTypeE1ELb1EEEvPT_PKS3_PKT0_S9_ifPKiSB_iPKfiiiSD_SD_iiiii.num_vgpr, 64
	.set _ZN4vllm25paged_attention_v1_kernelI14__hip_bfloat16hLi64ELi32ELi128ELNS_18Fp8KVCacheDataTypeE1ELb1EEEvPT_PKS3_PKT0_S9_ifPKiSB_iPKfiiiSD_SD_iiiii.num_agpr, 0
	.set _ZN4vllm25paged_attention_v1_kernelI14__hip_bfloat16hLi64ELi32ELi128ELNS_18Fp8KVCacheDataTypeE1ELb1EEEvPT_PKS3_PKT0_S9_ifPKiSB_iPKfiiiSD_SD_iiiii.numbered_sgpr, 64
	.set _ZN4vllm25paged_attention_v1_kernelI14__hip_bfloat16hLi64ELi32ELi128ELNS_18Fp8KVCacheDataTypeE1ELb1EEEvPT_PKS3_PKT0_S9_ifPKiSB_iPKfiiiSD_SD_iiiii.num_named_barrier, 0
	.set _ZN4vllm25paged_attention_v1_kernelI14__hip_bfloat16hLi64ELi32ELi128ELNS_18Fp8KVCacheDataTypeE1ELb1EEEvPT_PKS3_PKT0_S9_ifPKiSB_iPKfiiiSD_SD_iiiii.private_seg_size, 96
	.set _ZN4vllm25paged_attention_v1_kernelI14__hip_bfloat16hLi64ELi32ELi128ELNS_18Fp8KVCacheDataTypeE1ELb1EEEvPT_PKS3_PKT0_S9_ifPKiSB_iPKfiiiSD_SD_iiiii.uses_vcc, 1
	.set _ZN4vllm25paged_attention_v1_kernelI14__hip_bfloat16hLi64ELi32ELi128ELNS_18Fp8KVCacheDataTypeE1ELb1EEEvPT_PKS3_PKT0_S9_ifPKiSB_iPKfiiiSD_SD_iiiii.uses_flat_scratch, 0
	.set _ZN4vllm25paged_attention_v1_kernelI14__hip_bfloat16hLi64ELi32ELi128ELNS_18Fp8KVCacheDataTypeE1ELb1EEEvPT_PKS3_PKT0_S9_ifPKiSB_iPKfiiiSD_SD_iiiii.has_dyn_sized_stack, 0
	.set _ZN4vllm25paged_attention_v1_kernelI14__hip_bfloat16hLi64ELi32ELi128ELNS_18Fp8KVCacheDataTypeE1ELb1EEEvPT_PKS3_PKT0_S9_ifPKiSB_iPKfiiiSD_SD_iiiii.has_recursion, 0
	.set _ZN4vllm25paged_attention_v1_kernelI14__hip_bfloat16hLi64ELi32ELi128ELNS_18Fp8KVCacheDataTypeE1ELb1EEEvPT_PKS3_PKT0_S9_ifPKiSB_iPKfiiiSD_SD_iiiii.has_indirect_call, 0
	.section	.AMDGPU.csdata,"",@progbits
; Kernel info:
; codeLenInByte = 22172
; TotalNumSgprs: 68
; NumVgprs: 64
; ScratchSize: 96
; MemoryBound: 0
; FloatMode: 240
; IeeeMode: 1
; LDSByteSize: 144 bytes/workgroup (compile time only)
; SGPRBlocks: 8
; VGPRBlocks: 15
; NumSGPRsForWavesPerEU: 68
; NumVGPRsForWavesPerEU: 64
; Occupancy: 4
; WaveLimiterHint : 1
; COMPUTE_PGM_RSRC2:SCRATCH_EN: 1
; COMPUTE_PGM_RSRC2:USER_SGPR: 6
; COMPUTE_PGM_RSRC2:TRAP_HANDLER: 0
; COMPUTE_PGM_RSRC2:TGID_X_EN: 1
; COMPUTE_PGM_RSRC2:TGID_Y_EN: 1
; COMPUTE_PGM_RSRC2:TGID_Z_EN: 1
; COMPUTE_PGM_RSRC2:TIDIG_COMP_CNT: 0
	.section	.text._ZN4vllm25paged_attention_v1_kernelI14__hip_bfloat16hLi80ELi32ELi128ELNS_18Fp8KVCacheDataTypeE1ELb1EEEvPT_PKS3_PKT0_S9_ifPKiSB_iPKfiiiSD_SD_iiiii,"axG",@progbits,_ZN4vllm25paged_attention_v1_kernelI14__hip_bfloat16hLi80ELi32ELi128ELNS_18Fp8KVCacheDataTypeE1ELb1EEEvPT_PKS3_PKT0_S9_ifPKiSB_iPKfiiiSD_SD_iiiii,comdat
	.protected	_ZN4vllm25paged_attention_v1_kernelI14__hip_bfloat16hLi80ELi32ELi128ELNS_18Fp8KVCacheDataTypeE1ELb1EEEvPT_PKS3_PKT0_S9_ifPKiSB_iPKfiiiSD_SD_iiiii ; -- Begin function _ZN4vllm25paged_attention_v1_kernelI14__hip_bfloat16hLi80ELi32ELi128ELNS_18Fp8KVCacheDataTypeE1ELb1EEEvPT_PKS3_PKT0_S9_ifPKiSB_iPKfiiiSD_SD_iiiii
	.globl	_ZN4vllm25paged_attention_v1_kernelI14__hip_bfloat16hLi80ELi32ELi128ELNS_18Fp8KVCacheDataTypeE1ELb1EEEvPT_PKS3_PKT0_S9_ifPKiSB_iPKfiiiSD_SD_iiiii
	.p2align	8
	.type	_ZN4vllm25paged_attention_v1_kernelI14__hip_bfloat16hLi80ELi32ELi128ELNS_18Fp8KVCacheDataTypeE1ELb1EEEvPT_PKS3_PKT0_S9_ifPKiSB_iPKfiiiSD_SD_iiiii,@function
_ZN4vllm25paged_attention_v1_kernelI14__hip_bfloat16hLi80ELi32ELi128ELNS_18Fp8KVCacheDataTypeE1ELb1EEEvPT_PKS3_PKT0_S9_ifPKiSB_iPKfiiiSD_SD_iiiii: ; @_ZN4vllm25paged_attention_v1_kernelI14__hip_bfloat16hLi80ELi32ELi128ELNS_18Fp8KVCacheDataTypeE1ELb1EEEvPT_PKS3_PKT0_S9_ifPKiSB_iPKfiiiSD_SD_iiiii
; %bb.0:
	s_mov_b64 s[62:63], s[2:3]
	s_mov_b64 s[60:61], s[0:1]
	s_add_u32 s60, s60, s9
	s_addc_u32 s61, s61, 0
	buffer_store_dword v0, off, s[60:63], 0 offset:140 ; 4-byte Folded Spill
	s_load_dword s9, s[4:5], 0x80
	s_load_dwordx2 s[0:1], s[4:5], 0x30
	s_load_dwordx2 s[36:37], s[4:5], 0x20
	s_mov_b32 s10, s7
	s_ashr_i32 s11, s7, 31
	s_lshl_b64 s[2:3], s[10:11], 2
	s_waitcnt lgkmcnt(0)
	s_add_u32 s0, s0, s2
	s_addc_u32 s1, s1, s3
	s_abs_i32 s2, s36
	v_cvt_f32_u32_e32 v0, s2
	s_sub_i32 s11, 0, s2
	s_abs_i32 s7, s9
	s_xor_b32 s3, s9, s36
	v_rcp_iflag_f32_e32 v0, v0
	s_ashr_i32 s3, s3, 31
	s_mov_b32 s48, 0
	v_mul_f32_e32 v0, 0x4f7ffffe, v0
	v_cvt_u32_f32_e32 v0, v0
	v_readfirstlane_b32 s12, v0
	s_mul_i32 s11, s11, s12
	s_mul_hi_u32 s11, s12, s11
	s_add_i32 s12, s12, s11
	s_mul_hi_u32 s11, s7, s12
	s_mul_i32 s12, s11, s2
	s_sub_i32 s7, s7, s12
	s_add_i32 s12, s11, 1
	s_sub_i32 s13, s7, s2
	s_cmp_ge_u32 s7, s2
	s_cselect_b32 s11, s12, s11
	s_cselect_b32 s7, s13, s7
	s_add_i32 s12, s11, 1
	s_cmp_ge_u32 s7, s2
	s_cselect_b32 s2, s12, s11
	s_xor_b32 s2, s2, s3
	s_sub_i32 s14, s2, s3
	s_abs_i32 s11, s14
	v_cvt_f32_u32_e32 v0, s11
	s_load_dwordx2 s[2:3], s[4:5], 0x40
	s_sub_i32 s7, 0, s11
	s_abs_i32 s12, s6
	v_rcp_iflag_f32_e32 v0, v0
	v_mul_f32_e32 v0, 0x4f7ffffe, v0
	v_cvt_u32_f32_e32 v0, v0
	v_readfirstlane_b32 s13, v0
	s_mul_i32 s7, s7, s13
	s_mul_hi_u32 s7, s13, s7
	s_add_i32 s13, s13, s7
	s_waitcnt lgkmcnt(0)
	s_cmp_eq_u64 s[2:3], 0
	s_mul_hi_u32 s13, s12, s13
	s_cbranch_scc1 .LBB312_2
; %bb.1:
	s_ashr_i32 s7, s6, 31
	s_lshl_b64 s[16:17], s[6:7], 2
	s_add_u32 s2, s2, s16
	s_addc_u32 s3, s3, s17
	s_load_dword s48, s[2:3], 0x0
.LBB312_2:
	buffer_load_dword v1, off, s[60:63], 0 offset:140 ; 4-byte Folded Reload
	s_load_dword s33, s[0:1], 0x0
	s_load_dwordx4 s[16:19], s[4:5], 0x48
	s_ashr_i32 s2, s6, 31
	s_ashr_i32 s7, s14, 31
	s_movk_i32 s3, 0x50
	s_mul_i32 s24, s6, 0x50
	s_waitcnt vmcnt(0)
	v_and_b32_e32 v0, 1, v1
	v_cmp_gt_u32_e32 vcc, 20, v1
	v_lshlrev_b32_e32 v12, 3, v1
	s_and_saveexec_b64 s[0:1], vcc
	s_cbranch_execz .LBB312_4
; %bb.3:
	s_load_dwordx2 s[14:15], s[4:5], 0x8
	s_waitcnt lgkmcnt(0)
	s_mul_i32 s20, s16, s10
	s_ashr_i32 s21, s20, 31
	s_lshl_b64 s[20:21], s[20:21], 1
	buffer_load_dword v3, off, s[60:63], 0 offset:140 ; 4-byte Folded Reload
	s_add_u32 s16, s14, s20
	s_addc_u32 s19, s15, s21
	s_ashr_i32 s25, s24, 31
	s_lshl_b64 s[14:15], s[24:25], 1
	s_add_u32 s14, s16, s14
	s_addc_u32 s15, s19, s15
	global_load_dwordx2 v[1:2], v12, s[14:15]
	s_waitcnt vmcnt(1)
	v_lshlrev_b32_e32 v3, 2, v3
	v_and_b32_e32 v3, 0xff8, v3
	v_mad_u32_u24 v3, v0, s3, v3
	s_waitcnt vmcnt(0)
	ds_write_b64 v3, v[1:2]
.LBB312_4:
	s_or_b64 exec, exec, s[0:1]
	s_mul_i32 s1, s13, s11
	s_sub_i32 s1, s12, s1
	s_xor_b32 s0, s2, s7
	s_add_i32 s2, s13, 1
	s_sub_i32 s7, s1, s11
	s_load_dwordx4 s[20:23], s[4:5], 0x68
	s_load_dword s3, s[4:5], 0x78
	s_cmp_ge_u32 s1, s11
	s_cselect_b32 s2, s2, s13
	s_cselect_b32 s1, s7, s1
	s_add_i32 s7, s2, 1
	s_cmp_ge_u32 s1, s11
	s_cselect_b32 s1, s7, s2
	s_waitcnt lgkmcnt(0)
	s_abs_i32 s25, s23
	v_cvt_f32_u32_e32 v1, s25
	s_xor_b32 s1, s1, s0
	s_sub_i32 s2, s1, s0
	s_sub_i32 s0, 0, s25
	v_rcp_iflag_f32_e32 v1, v1
	s_add_i32 s11, s33, -1
	s_abs_i32 s7, s11
	v_mul_f32_e32 v1, 0x4f7ffffe, v1
	v_cvt_u32_f32_e32 v1, v1
	s_barrier
	v_readfirstlane_b32 s46, v1
	s_mul_i32 s0, s0, s46
	s_mul_hi_u32 s0, s46, s0
	s_add_i32 s46, s46, s0
	s_cmp_lt_i32 s3, 0
	s_mul_hi_u32 s16, s7, s46
	s_cbranch_scc0 .LBB312_6
; %bb.5:
	s_mul_i32 s0, s20, s36
	s_add_i32 s0, s2, s0
	s_mul_i32 s0, s0, s3
	s_sub_i32 s36, 1, s0
	s_mov_b64 s[0:1], 0
	s_branch .LBB312_7
.LBB312_6:
	s_mov_b64 s[0:1], -1
                                        ; implicit-def: $sgpr36
.LBB312_7:
	s_load_dwordx2 s[28:29], s[4:5], 0x28
	s_ashr_i32 s19, s11, 31
	s_andn2_b64 vcc, exec, s[0:1]
	s_ashr_i32 s23, s23, 31
	s_cbranch_vccnz .LBB312_9
; %bb.8:
	s_mul_i32 s0, s9, s20
	s_add_i32 s0, s0, s6
	s_mul_i32 s0, s0, s3
	s_add_i32 s36, s0, 1
.LBB312_9:
	s_load_dword s0, s[4:5], 0x38
	s_load_dwordx2 s[26:27], s[4:5], 0x0
	s_load_dwordx2 s[34:35], s[4:5], 0x18
	s_load_dword s11, s[4:5], 0x88
	s_load_dwordx4 s[12:15], s[4:5], 0x58
	buffer_load_dword v1, off, s[60:63], 0 offset:140 ; 4-byte Folded Reload
	s_mul_i32 s1, s16, s25
	s_waitcnt lgkmcnt(0)
	s_mul_i32 s30, s0, s10
	s_sub_i32 s1, s7, s1
	s_ashr_i32 s31, s30, 31
	s_xor_b32 s0, s19, s23
	s_add_i32 s3, s16, 1
	s_sub_i32 s6, s1, s25
	s_cmp_ge_u32 s1, s25
	s_cselect_b32 s3, s3, s16
	s_cselect_b32 s1, s6, s1
	s_add_i32 s6, s3, 1
	s_cmp_ge_u32 s1, s25
	s_cselect_b32 s1, s6, s3
	s_xor_b32 s1, s1, s0
	s_sub_i32 s16, s1, s0
	s_add_i32 s0, s33, 31
	s_ashr_i32 s1, s0, 31
	s_lshr_b32 s1, s1, 27
	s_add_i32 s0, s0, s1
	s_ashr_i32 s47, s0, 5
	v_mov_b32_e32 v3, 0xff7fffff
	s_mul_i32 s20, s2, s18
	v_mbcnt_lo_u32_b32 v5, -1, 0
	s_waitcnt vmcnt(0)
	v_lshrrev_b32_e32 v2, 6, v1
	v_cmp_gt_i32_e64 s[0:1], s47, v2
	v_lshrrev_b32_e32 v13, 4, v1
	v_lshlrev_b32_e32 v1, 5, v2
	buffer_store_dword v2, off, s[60:63], 0 ; 4-byte Folded Spill
	buffer_store_dword v1, off, s[60:63], 0 offset:172 ; 4-byte Folded Spill
	s_and_saveexec_b64 s[18:19], s[0:1]
	s_cbranch_execz .LBB312_261
; %bb.10:
	buffer_load_dword v2, off, s[60:63], 0 offset:140 ; 4-byte Folded Reload
	s_load_dwordx2 s[2:3], s[4:5], 0x10
	s_sub_i32 s49, s16, s21
	s_ashr_i32 s4, s20, 31
	v_cmp_eq_u32_e32 vcc, 0, v0
	buffer_store_dword v12, off, s[60:63], 0 offset:176 ; 4-byte Folded Spill
	s_waitcnt lgkmcnt(0)
	s_add_u32 s5, s2, s20
	s_addc_u32 s4, s3, s4
	s_abs_i32 s50, s22
	v_cvt_f32_u32_e32 v1, s50
	s_sub_i32 s2, 0, s50
	v_mov_b32_e32 v4, s4
	s_mov_b32 s51, s17
	v_rcp_iflag_f32_e32 v1, v1
	s_mov_b64 s[38:39], 0
	s_movk_i32 s52, 0x80
	s_movk_i32 s53, 0x7f
	v_mul_f32_e32 v1, 0x4f7ffffe, v1
	v_cvt_u32_f32_e32 v1, v1
	s_mov_b32 s54, 0xffffff
	s_movk_i32 s55, 0x7fff
	s_waitcnt vmcnt(1)
	v_bfe_u32 v6, v2, 1, 5
	v_lshlrev_b32_e32 v2, 2, v0
	v_mul_u32_u24_e32 v0, 0x50, v0
	buffer_store_dword v0, off, s[60:63], 0 offset:148 ; 4-byte Folded Spill
	v_mul_lo_u32 v0, s2, v1
	v_lshlrev_b32_e32 v3, 4, v6
	v_add_co_u32_e64 v3, s[4:5], s5, v3
	v_mul_hi_u32 v0, v1, v0
	v_addc_co_u32_e64 v4, s[4:5], 0, v4, s[4:5]
	v_cmp_neq_f32_e64 s[2:3], s48, 0
	v_add_u32_e32 v0, v1, v0
	buffer_store_dword v0, off, s[60:63], 0 offset:28 ; 4-byte Folded Spill
	v_add_co_u32_e64 v0, s[4:5], v3, v2
	v_addc_co_u32_e64 v1, s[4:5], 0, v4, s[4:5]
	buffer_store_dword v0, off, s[60:63], 0 offset:152 ; 4-byte Folded Spill
	s_nop 0
	buffer_store_dword v1, off, s[60:63], 0 offset:156 ; 4-byte Folded Spill
	buffer_store_dword v13, off, s[60:63], 0 offset:180 ; 4-byte Folded Spill
	buffer_load_dword v44, off, s[60:63], 0 ; 4-byte Folded Reload
	s_lshl_b64 s[4:5], s[30:31], 2
	s_add_u32 s4, s28, s4
	v_and_b32_e32 v0, 60, v13
	s_addc_u32 s5, s29, s5
	v_mov_b32_e32 v1, s5
	v_add_co_u32_e64 v23, s[4:5], s4, v0
	v_subrev_u32_e32 v0, s33, v6
	v_add_u32_e32 v0, 1, v0
	buffer_store_dword v0, off, s[60:63], 0 offset:168 ; 4-byte Folded Spill
	buffer_store_dword v6, off, s[60:63], 0 offset:164 ; 4-byte Folded Spill
	v_lshlrev_b32_e32 v0, 2, v6
	v_addc_co_u32_e64 v24, s[4:5], 0, v1, s[4:5]
	s_waitcnt vmcnt(2)
	v_lshl_or_b32 v0, v44, 7, v0
	v_add_u32_e32 v52, 0xb0, v0
	v_mbcnt_hi_u32_b32 v0, -1, v5
	v_lshlrev_b32_e32 v38, 5, v44
	buffer_store_dword v0, off, s[60:63], 0 offset:160 ; 4-byte Folded Spill
	v_mov_b32_e32 v0, 0xff7fffff
	buffer_store_dword v0, off, s[60:63], 0 offset:144 ; 4-byte Folded Spill
	s_branch .LBB312_13
.LBB312_11:                             ;   in Loop: Header=BB312_13 Depth=1
	s_or_b64 exec, exec, s[40:41]
.LBB312_12:                             ;   in Loop: Header=BB312_13 Depth=1
	s_or_b64 exec, exec, s[6:7]
	v_add_co_u32_e64 v23, s[4:5], 8, v23
	v_add_u32_e32 v44, 2, v44
	v_addc_co_u32_e64 v24, s[4:5], 0, v24, s[4:5]
	v_cmp_le_i32_e64 s[4:5], s47, v44
	v_add_u32_e32 v38, 64, v38
	s_or_b64 s[38:39], s[4:5], s[38:39]
	v_add_u32_e32 v52, 0x100, v52
	s_andn2_b64 exec, exec, s[38:39]
	s_cbranch_execz .LBB312_260
.LBB312_13:                             ; =>This Inner Loop Header: Depth=1
	buffer_load_dword v3, off, s[60:63], 0 offset:28 ; 4-byte Folded Reload
	v_mul_hi_u32 v0, v38, s46
	s_waitcnt lgkmcnt(0)
	v_mul_lo_u32 v1, v0, s25
	v_add_u32_e32 v2, 1, v0
	v_sub_u32_e32 v1, v38, v1
	v_cmp_le_u32_e64 s[4:5], s25, v1
	v_cndmask_b32_e64 v0, v0, v2, s[4:5]
	v_subrev_u32_e32 v2, s25, v1
	v_cndmask_b32_e64 v1, v1, v2, s[4:5]
	v_add_u32_e32 v2, 1, v0
	v_cmp_le_u32_e64 s[4:5], s25, v1
	v_cndmask_b32_e64 v0, v0, v2, s[4:5]
	v_xor_b32_e32 v0, s23, v0
	v_subrev_u32_e32 v0, s23, v0
	v_add_u32_e32 v1, s36, v0
	v_sub_u32_e32 v2, 0, v1
	v_max_i32_e32 v2, v1, v2
	v_ashrrev_i32_e32 v1, 31, v1
	v_cmp_ge_i32_e64 s[6:7], s49, v0
	s_waitcnt vmcnt(0)
	v_mul_hi_u32 v3, v2, v3
	v_mul_lo_u32 v3, v3, s50
	v_sub_u32_e32 v2, v2, v3
	v_subrev_u32_e32 v3, s50, v2
	v_cmp_le_u32_e64 s[4:5], s50, v2
	v_cndmask_b32_e64 v2, v2, v3, s[4:5]
	v_subrev_u32_e32 v3, s50, v2
	v_cmp_le_u32_e64 s[4:5], s50, v2
	v_cndmask_b32_e64 v2, v2, v3, s[4:5]
	v_xor_b32_e32 v2, v2, v1
	v_sub_u32_e32 v1, v2, v1
	v_cmp_ne_u32_e64 s[4:5], 0, v1
	s_and_b64 s[4:5], s[4:5], s[6:7]
	s_and_saveexec_b64 s[6:7], s[4:5]
	s_xor_b64 s[4:5], exec, s[6:7]
	s_cbranch_execz .LBB312_17
; %bb.14:                               ;   in Loop: Header=BB312_13 Depth=1
	s_and_saveexec_b64 s[6:7], vcc
; %bb.15:                               ;   in Loop: Header=BB312_13 Depth=1
	v_mov_b32_e32 v0, 0xff7fffff
	ds_write_b32 v52, v0
; %bb.16:                               ;   in Loop: Header=BB312_13 Depth=1
	s_or_b64 exec, exec, s[6:7]
.LBB312_17:                             ;   in Loop: Header=BB312_13 Depth=1
	s_andn2_saveexec_b64 s[6:7], s[4:5]
	s_cbranch_execz .LBB312_12
; %bb.18:                               ;   in Loop: Header=BB312_13 Depth=1
	global_load_dword v0, v[23:24], off
	buffer_load_dword v1, off, s[60:63], 0 offset:152 ; 4-byte Folded Reload
	buffer_load_dword v2, off, s[60:63], 0 offset:156 ; 4-byte Folded Reload
	v_mov_b32_e32 v37, 0
	v_mov_b32_e32 v34, 0
	s_waitcnt vmcnt(0)
	v_mad_i64_i32 v[25:26], s[4:5], v0, s51, v[1:2]
	buffer_load_dword v0, off, s[60:63], 0 offset:148 ; 4-byte Folded Reload
	v_mov_b32_e32 v1, 0
	global_load_dword v27, v[25:26], off
	s_waitcnt vmcnt(1)
	ds_read_b128 v[17:20], v0
	ds_read_b128 v[9:12], v0 offset:16
	s_load_dword s56, s[12:13], 0x0
	s_waitcnt vmcnt(0)
	v_cmp_ne_u16_sdwa s[4:5], v27, v1 src0_sel:BYTE_0 src1_sel:DWORD
	ds_read_b128 v[13:16], v0 offset:32
	ds_read_b128 v[46:49], v0 offset:48
	;; [unrolled: 1-line block ×3, first 2 shown]
	s_waitcnt lgkmcnt(0)
	buffer_store_dword v0, off, s[60:63], 0 offset:36 ; 4-byte Folded Spill
	s_nop 0
	buffer_store_dword v1, off, s[60:63], 0 offset:40 ; 4-byte Folded Spill
	buffer_store_dword v2, off, s[60:63], 0 offset:44 ; 4-byte Folded Spill
	;; [unrolled: 1-line block ×3, first 2 shown]
	s_and_saveexec_b64 s[40:41], s[4:5]
	s_cbranch_execz .LBB312_24
; %bb.19:                               ;   in Loop: Header=BB312_13 Depth=1
	v_cmp_ne_u16_sdwa s[4:5], v27, s52 src0_sel:BYTE_0 src1_sel:DWORD
	v_bfrev_b32_e32 v34, 1
	s_and_saveexec_b64 s[42:43], s[4:5]
	s_cbranch_execz .LBB312_23
; %bb.20:                               ;   in Loop: Header=BB312_13 Depth=1
	v_and_b32_e32 v0, 0x7f, v27
	v_cmp_ne_u32_e64 s[4:5], s53, v0
	v_mov_b32_e32 v34, 0x7f800001
	s_and_saveexec_b64 s[44:45], s[4:5]
	s_cbranch_execz .LBB312_22
; %bb.21:                               ;   in Loop: Header=BB312_13 Depth=1
	v_and_b32_e32 v28, 7, v27
	v_ffbh_u32_e32 v21, v28
	v_min_u32_e32 v30, 32, v21
	v_subrev_u32_e32 v21, 28, v30
	v_lshlrev_b64 v[21:22], v21, v[27:28]
	v_lshrrev_b32_e32 v29, 3, v0
	v_sub_u32_e32 v22, 29, v30
	v_and_b32_e32 v21, 7, v21
	v_cmp_gt_u32_e64 s[4:5], 8, v0
	v_cndmask_b32_e64 v0, v29, v22, s[4:5]
	v_cndmask_b32_e64 v21, v28, v21, s[4:5]
	v_lshlrev_b32_e32 v22, 24, v27
	v_bfrev_b32_e32 v28, 60
	v_lshlrev_b32_e32 v21, 20, v21
	v_and_b32_e32 v22, 0x80000000, v22
	v_lshl_add_u32 v0, v0, 23, v28
	v_or3_b32 v34, v22, v0, v21
.LBB312_22:                             ;   in Loop: Header=BB312_13 Depth=1
	s_or_b64 exec, exec, s[44:45]
.LBB312_23:                             ;   in Loop: Header=BB312_13 Depth=1
	s_or_b64 exec, exec, s[42:43]
.LBB312_24:                             ;   in Loop: Header=BB312_13 Depth=1
	s_or_b64 exec, exec, s[40:41]
	v_lshrrev_b16_e32 v28, 8, v27
	v_cmp_ne_u16_e64 s[4:5], 0, v28
	s_and_saveexec_b64 s[40:41], s[4:5]
	s_cbranch_execz .LBB312_30
; %bb.25:                               ;   in Loop: Header=BB312_13 Depth=1
	v_cmp_ne_u16_e64 s[4:5], s52, v28
	v_bfrev_b32_e32 v37, 1
	s_and_saveexec_b64 s[42:43], s[4:5]
	s_cbranch_execz .LBB312_29
; %bb.26:                               ;   in Loop: Header=BB312_13 Depth=1
	v_and_b32_e32 v0, 0x7f, v28
	v_cmp_ne_u32_e64 s[4:5], s53, v0
	v_mov_b32_e32 v37, 0x7f800001
	s_and_saveexec_b64 s[44:45], s[4:5]
	s_cbranch_execz .LBB312_28
; %bb.27:                               ;   in Loop: Header=BB312_13 Depth=1
	v_and_b32_e32 v29, 7, v28
	v_ffbh_u32_e32 v21, v29
	v_min_u32_e32 v31, 32, v21
	v_subrev_u32_e32 v21, 28, v31
	v_lshlrev_b64 v[21:22], v21, v[28:29]
	v_lshrrev_b32_e32 v30, 3, v0
	v_sub_u32_e32 v22, 29, v31
	v_and_b32_e32 v21, 7, v21
	v_cmp_gt_u32_e64 s[4:5], 8, v0
	v_cndmask_b32_e64 v0, v30, v22, s[4:5]
	v_cndmask_b32_e64 v21, v29, v21, s[4:5]
	v_lshlrev_b32_e32 v22, 16, v27
	v_bfrev_b32_e32 v28, 60
	v_lshlrev_b32_e32 v21, 20, v21
	v_and_b32_e32 v22, 0x80000000, v22
	v_lshl_add_u32 v0, v0, 23, v28
	v_or3_b32 v37, v22, v0, v21
.LBB312_28:                             ;   in Loop: Header=BB312_13 Depth=1
	s_or_b64 exec, exec, s[44:45]
.LBB312_29:                             ;   in Loop: Header=BB312_13 Depth=1
	s_or_b64 exec, exec, s[42:43]
.LBB312_30:                             ;   in Loop: Header=BB312_13 Depth=1
	s_or_b64 exec, exec, s[40:41]
	v_lshrrev_b32_e32 v28, 16, v27
	v_mov_b32_e32 v0, 0
	v_cmp_ne_u16_sdwa s[4:5], v28, v0 src0_sel:BYTE_0 src1_sel:DWORD
	v_mov_b32_e32 v32, 0
	v_mov_b32_e32 v39, 0
	s_and_saveexec_b64 s[40:41], s[4:5]
	s_cbranch_execz .LBB312_36
; %bb.31:                               ;   in Loop: Header=BB312_13 Depth=1
	v_cmp_ne_u16_sdwa s[4:5], v28, s52 src0_sel:BYTE_0 src1_sel:DWORD
	v_bfrev_b32_e32 v39, 1
	s_and_saveexec_b64 s[42:43], s[4:5]
	s_cbranch_execz .LBB312_35
; %bb.32:                               ;   in Loop: Header=BB312_13 Depth=1
	v_bfe_u32 v0, v27, 16, 7
	v_cmp_ne_u32_e64 s[4:5], s53, v0
	v_mov_b32_e32 v39, 0x7f800001
	s_and_saveexec_b64 s[44:45], s[4:5]
	s_cbranch_execz .LBB312_34
; %bb.33:                               ;   in Loop: Header=BB312_13 Depth=1
	v_and_b32_e32 v29, 7, v28
	v_ffbh_u32_e32 v21, v29
	v_min_u32_e32 v31, 32, v21
	v_subrev_u32_e32 v21, 28, v31
	v_lshlrev_b64 v[21:22], v21, v[28:29]
	v_lshrrev_b32_e32 v30, 3, v0
	v_sub_u32_e32 v22, 29, v31
	v_and_b32_e32 v21, 7, v21
	v_cmp_gt_u32_e64 s[4:5], 8, v0
	v_cndmask_b32_e64 v0, v30, v22, s[4:5]
	v_cndmask_b32_e64 v21, v29, v21, s[4:5]
	v_lshlrev_b32_e32 v22, 24, v28
	v_bfrev_b32_e32 v28, 60
	v_lshlrev_b32_e32 v21, 20, v21
	v_and_b32_e32 v22, 0x80000000, v22
	v_lshl_add_u32 v0, v0, 23, v28
	v_or3_b32 v39, v22, v0, v21
.LBB312_34:                             ;   in Loop: Header=BB312_13 Depth=1
	s_or_b64 exec, exec, s[44:45]
.LBB312_35:                             ;   in Loop: Header=BB312_13 Depth=1
	s_or_b64 exec, exec, s[42:43]
.LBB312_36:                             ;   in Loop: Header=BB312_13 Depth=1
	s_or_b64 exec, exec, s[40:41]
	v_cmp_lt_u32_e64 s[4:5], s54, v27
	s_and_saveexec_b64 s[40:41], s[4:5]
	s_cbranch_execz .LBB312_42
; %bb.37:                               ;   in Loop: Header=BB312_13 Depth=1
	v_lshrrev_b32_e32 v28, 24, v27
	v_cmp_ne_u32_e64 s[4:5], s52, v28
	v_bfrev_b32_e32 v32, 1
	s_and_saveexec_b64 s[42:43], s[4:5]
	s_cbranch_execz .LBB312_41
; %bb.38:                               ;   in Loop: Header=BB312_13 Depth=1
	v_bfe_u32 v0, v27, 24, 7
	v_cmp_ne_u32_e64 s[4:5], s53, v0
	v_mov_b32_e32 v32, 0x7f800001
	s_and_saveexec_b64 s[44:45], s[4:5]
	s_cbranch_execz .LBB312_40
; %bb.39:                               ;   in Loop: Header=BB312_13 Depth=1
	v_and_b32_e32 v27, 7, v28
	v_ffbh_u32_e32 v21, v27
	v_min_u32_e32 v30, 32, v21
	v_lshrrev_b32_e32 v29, 3, v0
	v_subrev_u32_e32 v21, 28, v30
	v_lshlrev_b64 v[21:22], v21, v[28:29]
	v_sub_u32_e32 v22, 29, v30
	v_and_b32_e32 v21, 7, v21
	v_cmp_gt_u32_e64 s[4:5], 8, v0
	v_cndmask_b32_e64 v0, v29, v22, s[4:5]
	v_cndmask_b32_e64 v21, v27, v21, s[4:5]
	v_lshlrev_b32_e32 v22, 24, v28
	v_bfrev_b32_e32 v27, 60
	v_lshlrev_b32_e32 v21, 20, v21
	v_and_b32_e32 v22, 0x80000000, v22
	v_lshl_add_u32 v0, v0, 23, v27
	v_or3_b32 v32, v22, v0, v21
.LBB312_40:                             ;   in Loop: Header=BB312_13 Depth=1
	s_or_b64 exec, exec, s[44:45]
.LBB312_41:                             ;   in Loop: Header=BB312_13 Depth=1
	s_or_b64 exec, exec, s[42:43]
.LBB312_42:                             ;   in Loop: Header=BB312_13 Depth=1
	s_or_b64 exec, exec, s[40:41]
	global_load_dword v27, v[25:26], off offset:8
	v_mov_b32_e32 v0, 0
	v_mov_b32_e32 v40, 0
	;; [unrolled: 1-line block ×3, first 2 shown]
	s_waitcnt vmcnt(0)
	v_cmp_ne_u16_sdwa s[4:5], v27, v0 src0_sel:BYTE_0 src1_sel:DWORD
	s_and_saveexec_b64 s[40:41], s[4:5]
	s_cbranch_execz .LBB312_48
; %bb.43:                               ;   in Loop: Header=BB312_13 Depth=1
	v_cmp_ne_u16_sdwa s[4:5], v27, s52 src0_sel:BYTE_0 src1_sel:DWORD
	v_bfrev_b32_e32 v41, 1
	s_and_saveexec_b64 s[42:43], s[4:5]
	s_cbranch_execz .LBB312_47
; %bb.44:                               ;   in Loop: Header=BB312_13 Depth=1
	v_and_b32_e32 v0, 0x7f, v27
	v_cmp_ne_u32_e64 s[4:5], s53, v0
	v_mov_b32_e32 v41, 0x7f800001
	s_and_saveexec_b64 s[44:45], s[4:5]
	s_cbranch_execz .LBB312_46
; %bb.45:                               ;   in Loop: Header=BB312_13 Depth=1
	v_and_b32_e32 v28, 7, v27
	v_ffbh_u32_e32 v21, v28
	v_min_u32_e32 v30, 32, v21
	v_subrev_u32_e32 v21, 28, v30
	v_lshlrev_b64 v[21:22], v21, v[27:28]
	v_lshrrev_b32_e32 v29, 3, v0
	v_sub_u32_e32 v22, 29, v30
	v_and_b32_e32 v21, 7, v21
	v_cmp_gt_u32_e64 s[4:5], 8, v0
	v_cndmask_b32_e64 v0, v29, v22, s[4:5]
	v_cndmask_b32_e64 v21, v28, v21, s[4:5]
	v_lshlrev_b32_e32 v22, 24, v27
	v_bfrev_b32_e32 v28, 60
	v_lshlrev_b32_e32 v21, 20, v21
	v_and_b32_e32 v22, 0x80000000, v22
	v_lshl_add_u32 v0, v0, 23, v28
	v_or3_b32 v41, v22, v0, v21
.LBB312_46:                             ;   in Loop: Header=BB312_13 Depth=1
	s_or_b64 exec, exec, s[44:45]
.LBB312_47:                             ;   in Loop: Header=BB312_13 Depth=1
	s_or_b64 exec, exec, s[42:43]
.LBB312_48:                             ;   in Loop: Header=BB312_13 Depth=1
	s_or_b64 exec, exec, s[40:41]
	v_lshrrev_b16_e32 v28, 8, v27
	v_cmp_ne_u16_e64 s[4:5], 0, v28
	s_and_saveexec_b64 s[40:41], s[4:5]
	s_cbranch_execz .LBB312_54
; %bb.49:                               ;   in Loop: Header=BB312_13 Depth=1
	v_cmp_ne_u16_e64 s[4:5], s52, v28
	v_bfrev_b32_e32 v40, 1
	s_and_saveexec_b64 s[42:43], s[4:5]
	s_cbranch_execz .LBB312_53
; %bb.50:                               ;   in Loop: Header=BB312_13 Depth=1
	v_and_b32_e32 v0, 0x7f, v28
	v_cmp_ne_u32_e64 s[4:5], s53, v0
	v_mov_b32_e32 v40, 0x7f800001
	s_and_saveexec_b64 s[44:45], s[4:5]
	s_cbranch_execz .LBB312_52
; %bb.51:                               ;   in Loop: Header=BB312_13 Depth=1
	v_and_b32_e32 v29, 7, v28
	v_ffbh_u32_e32 v21, v29
	v_min_u32_e32 v31, 32, v21
	v_subrev_u32_e32 v21, 28, v31
	v_lshlrev_b64 v[21:22], v21, v[28:29]
	v_lshrrev_b32_e32 v30, 3, v0
	v_sub_u32_e32 v22, 29, v31
	v_and_b32_e32 v21, 7, v21
	v_cmp_gt_u32_e64 s[4:5], 8, v0
	v_cndmask_b32_e64 v0, v30, v22, s[4:5]
	v_cndmask_b32_e64 v21, v29, v21, s[4:5]
	v_lshlrev_b32_e32 v22, 16, v27
	v_bfrev_b32_e32 v28, 60
	v_lshlrev_b32_e32 v21, 20, v21
	v_and_b32_e32 v22, 0x80000000, v22
	v_lshl_add_u32 v0, v0, 23, v28
	v_or3_b32 v40, v22, v0, v21
.LBB312_52:                             ;   in Loop: Header=BB312_13 Depth=1
	s_or_b64 exec, exec, s[44:45]
.LBB312_53:                             ;   in Loop: Header=BB312_13 Depth=1
	s_or_b64 exec, exec, s[42:43]
.LBB312_54:                             ;   in Loop: Header=BB312_13 Depth=1
	s_or_b64 exec, exec, s[40:41]
	v_lshrrev_b32_e32 v28, 16, v27
	v_mov_b32_e32 v0, 0
	v_cmp_ne_u16_sdwa s[4:5], v28, v0 src0_sel:BYTE_0 src1_sel:DWORD
	v_mov_b32_e32 v43, 0
	v_mov_b32_e32 v54, 0
	s_and_saveexec_b64 s[40:41], s[4:5]
	s_cbranch_execz .LBB312_60
; %bb.55:                               ;   in Loop: Header=BB312_13 Depth=1
	v_cmp_ne_u16_sdwa s[4:5], v28, s52 src0_sel:BYTE_0 src1_sel:DWORD
	v_bfrev_b32_e32 v54, 1
	s_and_saveexec_b64 s[42:43], s[4:5]
	s_cbranch_execz .LBB312_59
; %bb.56:                               ;   in Loop: Header=BB312_13 Depth=1
	v_bfe_u32 v0, v27, 16, 7
	v_cmp_ne_u32_e64 s[4:5], s53, v0
	v_mov_b32_e32 v54, 0x7f800001
	s_and_saveexec_b64 s[44:45], s[4:5]
	s_cbranch_execz .LBB312_58
; %bb.57:                               ;   in Loop: Header=BB312_13 Depth=1
	v_and_b32_e32 v29, 7, v28
	v_ffbh_u32_e32 v21, v29
	v_min_u32_e32 v31, 32, v21
	v_subrev_u32_e32 v21, 28, v31
	v_lshlrev_b64 v[21:22], v21, v[28:29]
	v_lshrrev_b32_e32 v30, 3, v0
	v_sub_u32_e32 v22, 29, v31
	v_and_b32_e32 v21, 7, v21
	v_cmp_gt_u32_e64 s[4:5], 8, v0
	v_cndmask_b32_e64 v0, v30, v22, s[4:5]
	v_cndmask_b32_e64 v21, v29, v21, s[4:5]
	v_lshlrev_b32_e32 v22, 24, v28
	v_bfrev_b32_e32 v28, 60
	v_lshlrev_b32_e32 v21, 20, v21
	v_and_b32_e32 v22, 0x80000000, v22
	v_lshl_add_u32 v0, v0, 23, v28
	v_or3_b32 v54, v22, v0, v21
.LBB312_58:                             ;   in Loop: Header=BB312_13 Depth=1
	s_or_b64 exec, exec, s[44:45]
.LBB312_59:                             ;   in Loop: Header=BB312_13 Depth=1
	s_or_b64 exec, exec, s[42:43]
.LBB312_60:                             ;   in Loop: Header=BB312_13 Depth=1
	s_or_b64 exec, exec, s[40:41]
	v_cmp_lt_u32_e64 s[4:5], s54, v27
	s_and_saveexec_b64 s[40:41], s[4:5]
	s_cbranch_execz .LBB312_66
; %bb.61:                               ;   in Loop: Header=BB312_13 Depth=1
	v_lshrrev_b32_e32 v28, 24, v27
	v_cmp_ne_u32_e64 s[4:5], s52, v28
	v_bfrev_b32_e32 v43, 1
	s_and_saveexec_b64 s[42:43], s[4:5]
	s_cbranch_execz .LBB312_65
; %bb.62:                               ;   in Loop: Header=BB312_13 Depth=1
	v_bfe_u32 v0, v27, 24, 7
	v_cmp_ne_u32_e64 s[4:5], s53, v0
	v_mov_b32_e32 v43, 0x7f800001
	s_and_saveexec_b64 s[44:45], s[4:5]
	s_cbranch_execz .LBB312_64
; %bb.63:                               ;   in Loop: Header=BB312_13 Depth=1
	v_and_b32_e32 v27, 7, v28
	v_ffbh_u32_e32 v21, v27
	v_min_u32_e32 v30, 32, v21
	v_lshrrev_b32_e32 v29, 3, v0
	v_subrev_u32_e32 v21, 28, v30
	v_lshlrev_b64 v[21:22], v21, v[28:29]
	v_sub_u32_e32 v22, 29, v30
	v_and_b32_e32 v21, 7, v21
	v_cmp_gt_u32_e64 s[4:5], 8, v0
	v_cndmask_b32_e64 v0, v29, v22, s[4:5]
	v_cndmask_b32_e64 v21, v27, v21, s[4:5]
	v_lshlrev_b32_e32 v22, 24, v28
	v_bfrev_b32_e32 v27, 60
	v_lshlrev_b32_e32 v21, 20, v21
	v_and_b32_e32 v22, 0x80000000, v22
	v_lshl_add_u32 v0, v0, 23, v27
	v_or3_b32 v43, v22, v0, v21
.LBB312_64:                             ;   in Loop: Header=BB312_13 Depth=1
	s_or_b64 exec, exec, s[44:45]
.LBB312_65:                             ;   in Loop: Header=BB312_13 Depth=1
	s_or_b64 exec, exec, s[42:43]
.LBB312_66:                             ;   in Loop: Header=BB312_13 Depth=1
	s_or_b64 exec, exec, s[40:41]
	global_load_dword v27, v[25:26], off offset:512
	v_mov_b32_e32 v0, 0
	v_mov_b32_e32 v56, 0
	;; [unrolled: 1-line block ×3, first 2 shown]
	s_waitcnt vmcnt(0)
	v_cmp_ne_u16_sdwa s[4:5], v27, v0 src0_sel:BYTE_0 src1_sel:DWORD
	s_and_saveexec_b64 s[40:41], s[4:5]
	s_cbranch_execz .LBB312_72
; %bb.67:                               ;   in Loop: Header=BB312_13 Depth=1
	v_cmp_ne_u16_sdwa s[4:5], v27, s52 src0_sel:BYTE_0 src1_sel:DWORD
	v_bfrev_b32_e32 v57, 1
	s_and_saveexec_b64 s[42:43], s[4:5]
	s_cbranch_execz .LBB312_71
; %bb.68:                               ;   in Loop: Header=BB312_13 Depth=1
	v_and_b32_e32 v0, 0x7f, v27
	v_cmp_ne_u32_e64 s[4:5], s53, v0
	v_mov_b32_e32 v57, 0x7f800001
	s_and_saveexec_b64 s[44:45], s[4:5]
	s_cbranch_execz .LBB312_70
; %bb.69:                               ;   in Loop: Header=BB312_13 Depth=1
	v_and_b32_e32 v28, 7, v27
	v_ffbh_u32_e32 v21, v28
	v_min_u32_e32 v30, 32, v21
	v_subrev_u32_e32 v21, 28, v30
	v_lshlrev_b64 v[21:22], v21, v[27:28]
	v_lshrrev_b32_e32 v29, 3, v0
	v_sub_u32_e32 v22, 29, v30
	v_and_b32_e32 v21, 7, v21
	v_cmp_gt_u32_e64 s[4:5], 8, v0
	v_cndmask_b32_e64 v0, v29, v22, s[4:5]
	v_cndmask_b32_e64 v21, v28, v21, s[4:5]
	v_lshlrev_b32_e32 v22, 24, v27
	v_bfrev_b32_e32 v28, 60
	v_lshlrev_b32_e32 v21, 20, v21
	v_and_b32_e32 v22, 0x80000000, v22
	v_lshl_add_u32 v0, v0, 23, v28
	v_or3_b32 v57, v22, v0, v21
.LBB312_70:                             ;   in Loop: Header=BB312_13 Depth=1
	s_or_b64 exec, exec, s[44:45]
.LBB312_71:                             ;   in Loop: Header=BB312_13 Depth=1
	s_or_b64 exec, exec, s[42:43]
.LBB312_72:                             ;   in Loop: Header=BB312_13 Depth=1
	s_or_b64 exec, exec, s[40:41]
	v_lshrrev_b16_e32 v28, 8, v27
	v_cmp_ne_u16_e64 s[4:5], 0, v28
	s_and_saveexec_b64 s[40:41], s[4:5]
	s_cbranch_execz .LBB312_78
; %bb.73:                               ;   in Loop: Header=BB312_13 Depth=1
	v_cmp_ne_u16_e64 s[4:5], s52, v28
	v_bfrev_b32_e32 v56, 1
	s_and_saveexec_b64 s[42:43], s[4:5]
	s_cbranch_execz .LBB312_77
; %bb.74:                               ;   in Loop: Header=BB312_13 Depth=1
	v_and_b32_e32 v0, 0x7f, v28
	v_cmp_ne_u32_e64 s[4:5], s53, v0
	v_mov_b32_e32 v56, 0x7f800001
	s_and_saveexec_b64 s[44:45], s[4:5]
	s_cbranch_execz .LBB312_76
; %bb.75:                               ;   in Loop: Header=BB312_13 Depth=1
	v_and_b32_e32 v29, 7, v28
	v_ffbh_u32_e32 v21, v29
	v_min_u32_e32 v31, 32, v21
	v_subrev_u32_e32 v21, 28, v31
	v_lshlrev_b64 v[21:22], v21, v[28:29]
	v_lshrrev_b32_e32 v30, 3, v0
	v_sub_u32_e32 v22, 29, v31
	v_and_b32_e32 v21, 7, v21
	v_cmp_gt_u32_e64 s[4:5], 8, v0
	v_cndmask_b32_e64 v0, v30, v22, s[4:5]
	v_cndmask_b32_e64 v21, v29, v21, s[4:5]
	v_lshlrev_b32_e32 v22, 16, v27
	v_bfrev_b32_e32 v28, 60
	v_lshlrev_b32_e32 v21, 20, v21
	v_and_b32_e32 v22, 0x80000000, v22
	v_lshl_add_u32 v0, v0, 23, v28
	v_or3_b32 v56, v22, v0, v21
.LBB312_76:                             ;   in Loop: Header=BB312_13 Depth=1
	s_or_b64 exec, exec, s[44:45]
.LBB312_77:                             ;   in Loop: Header=BB312_13 Depth=1
	s_or_b64 exec, exec, s[42:43]
.LBB312_78:                             ;   in Loop: Header=BB312_13 Depth=1
	s_or_b64 exec, exec, s[40:41]
	v_lshrrev_b32_e32 v28, 16, v27
	v_mov_b32_e32 v0, 0
	v_cmp_ne_u16_sdwa s[4:5], v28, v0 src0_sel:BYTE_0 src1_sel:DWORD
	v_mov_b32_e32 v58, 0
	v_mov_b32_e32 v7, 0
	s_and_saveexec_b64 s[40:41], s[4:5]
	s_cbranch_execz .LBB312_84
; %bb.79:                               ;   in Loop: Header=BB312_13 Depth=1
	v_cmp_ne_u16_sdwa s[4:5], v28, s52 src0_sel:BYTE_0 src1_sel:DWORD
	v_bfrev_b32_e32 v7, 1
	s_and_saveexec_b64 s[42:43], s[4:5]
	s_cbranch_execz .LBB312_83
; %bb.80:                               ;   in Loop: Header=BB312_13 Depth=1
	v_bfe_u32 v0, v27, 16, 7
	v_cmp_ne_u32_e64 s[4:5], s53, v0
	v_mov_b32_e32 v7, 0x7f800001
	s_and_saveexec_b64 s[44:45], s[4:5]
	s_cbranch_execz .LBB312_82
; %bb.81:                               ;   in Loop: Header=BB312_13 Depth=1
	v_and_b32_e32 v29, 7, v28
	v_ffbh_u32_e32 v21, v29
	v_min_u32_e32 v31, 32, v21
	v_subrev_u32_e32 v21, 28, v31
	v_lshlrev_b64 v[21:22], v21, v[28:29]
	v_lshrrev_b32_e32 v30, 3, v0
	v_sub_u32_e32 v22, 29, v31
	v_and_b32_e32 v21, 7, v21
	v_cmp_gt_u32_e64 s[4:5], 8, v0
	v_cndmask_b32_e64 v0, v30, v22, s[4:5]
	v_cndmask_b32_e64 v21, v29, v21, s[4:5]
	v_lshlrev_b32_e32 v22, 24, v28
	v_bfrev_b32_e32 v28, 60
	v_lshlrev_b32_e32 v21, 20, v21
	v_and_b32_e32 v22, 0x80000000, v22
	v_lshl_add_u32 v0, v0, 23, v28
	v_or3_b32 v7, v22, v0, v21
.LBB312_82:                             ;   in Loop: Header=BB312_13 Depth=1
	s_or_b64 exec, exec, s[44:45]
.LBB312_83:                             ;   in Loop: Header=BB312_13 Depth=1
	s_or_b64 exec, exec, s[42:43]
.LBB312_84:                             ;   in Loop: Header=BB312_13 Depth=1
	s_or_b64 exec, exec, s[40:41]
	v_cmp_lt_u32_e64 s[4:5], s54, v27
	s_and_saveexec_b64 s[40:41], s[4:5]
	s_cbranch_execz .LBB312_90
; %bb.85:                               ;   in Loop: Header=BB312_13 Depth=1
	v_lshrrev_b32_e32 v28, 24, v27
	v_cmp_ne_u32_e64 s[4:5], s52, v28
	v_bfrev_b32_e32 v58, 1
	s_and_saveexec_b64 s[42:43], s[4:5]
	s_cbranch_execz .LBB312_89
; %bb.86:                               ;   in Loop: Header=BB312_13 Depth=1
	v_bfe_u32 v0, v27, 24, 7
	v_cmp_ne_u32_e64 s[4:5], s53, v0
	v_mov_b32_e32 v58, 0x7f800001
	s_and_saveexec_b64 s[44:45], s[4:5]
	s_cbranch_execz .LBB312_88
; %bb.87:                               ;   in Loop: Header=BB312_13 Depth=1
	v_and_b32_e32 v27, 7, v28
	v_ffbh_u32_e32 v21, v27
	v_min_u32_e32 v30, 32, v21
	v_lshrrev_b32_e32 v29, 3, v0
	v_subrev_u32_e32 v21, 28, v30
	v_lshlrev_b64 v[21:22], v21, v[28:29]
	v_sub_u32_e32 v22, 29, v30
	v_and_b32_e32 v21, 7, v21
	v_cmp_gt_u32_e64 s[4:5], 8, v0
	v_cndmask_b32_e64 v0, v29, v22, s[4:5]
	v_cndmask_b32_e64 v21, v27, v21, s[4:5]
	v_lshlrev_b32_e32 v22, 24, v28
	v_bfrev_b32_e32 v27, 60
	v_lshlrev_b32_e32 v21, 20, v21
	v_and_b32_e32 v22, 0x80000000, v22
	v_lshl_add_u32 v0, v0, 23, v27
	v_or3_b32 v58, v22, v0, v21
.LBB312_88:                             ;   in Loop: Header=BB312_13 Depth=1
	s_or_b64 exec, exec, s[44:45]
.LBB312_89:                             ;   in Loop: Header=BB312_13 Depth=1
	s_or_b64 exec, exec, s[42:43]
.LBB312_90:                             ;   in Loop: Header=BB312_13 Depth=1
	s_or_b64 exec, exec, s[40:41]
	global_load_dword v27, v[25:26], off offset:520
	v_mov_b32_e32 v0, 0
	v_mov_b32_e32 v31, 0
	;; [unrolled: 1-line block ×3, first 2 shown]
	s_waitcnt vmcnt(0)
	v_cmp_ne_u16_sdwa s[4:5], v27, v0 src0_sel:BYTE_0 src1_sel:DWORD
	s_and_saveexec_b64 s[40:41], s[4:5]
	s_cbranch_execz .LBB312_96
; %bb.91:                               ;   in Loop: Header=BB312_13 Depth=1
	v_cmp_ne_u16_sdwa s[4:5], v27, s52 src0_sel:BYTE_0 src1_sel:DWORD
	v_bfrev_b32_e32 v4, 1
	s_and_saveexec_b64 s[42:43], s[4:5]
	s_cbranch_execz .LBB312_95
; %bb.92:                               ;   in Loop: Header=BB312_13 Depth=1
	v_and_b32_e32 v0, 0x7f, v27
	v_cmp_ne_u32_e64 s[4:5], s53, v0
	v_mov_b32_e32 v4, 0x7f800001
	s_and_saveexec_b64 s[44:45], s[4:5]
	s_cbranch_execz .LBB312_94
; %bb.93:                               ;   in Loop: Header=BB312_13 Depth=1
	v_and_b32_e32 v28, 7, v27
	v_lshrrev_b32_e32 v29, 3, v0
	v_cmp_gt_u32_e64 s[4:5], 8, v0
	v_ffbh_u32_e32 v0, v28
	v_min_u32_e32 v0, 32, v0
	v_subrev_u32_e32 v21, 28, v0
	v_lshlrev_b64 v[21:22], v21, v[27:28]
	v_sub_u32_e32 v0, 29, v0
	v_and_b32_e32 v21, 7, v21
	v_cndmask_b32_e64 v0, v29, v0, s[4:5]
	v_cndmask_b32_e64 v21, v28, v21, s[4:5]
	v_lshlrev_b32_e32 v22, 24, v27
	v_bfrev_b32_e32 v28, 60
	v_lshlrev_b32_e32 v21, 20, v21
	v_and_b32_e32 v22, 0x80000000, v22
	v_lshl_add_u32 v0, v0, 23, v28
	v_or3_b32 v4, v22, v0, v21
.LBB312_94:                             ;   in Loop: Header=BB312_13 Depth=1
	s_or_b64 exec, exec, s[44:45]
.LBB312_95:                             ;   in Loop: Header=BB312_13 Depth=1
	s_or_b64 exec, exec, s[42:43]
.LBB312_96:                             ;   in Loop: Header=BB312_13 Depth=1
	s_or_b64 exec, exec, s[40:41]
	v_lshrrev_b16_e32 v28, 8, v27
	v_cmp_ne_u16_e64 s[4:5], 0, v28
	s_and_saveexec_b64 s[40:41], s[4:5]
	s_cbranch_execz .LBB312_102
; %bb.97:                               ;   in Loop: Header=BB312_13 Depth=1
	v_cmp_ne_u16_e64 s[4:5], s52, v28
	v_bfrev_b32_e32 v31, 1
	s_and_saveexec_b64 s[42:43], s[4:5]
	s_cbranch_execz .LBB312_101
; %bb.98:                               ;   in Loop: Header=BB312_13 Depth=1
	v_and_b32_e32 v0, 0x7f, v28
	v_cmp_ne_u32_e64 s[4:5], s53, v0
	v_mov_b32_e32 v31, 0x7f800001
	s_and_saveexec_b64 s[44:45], s[4:5]
	s_cbranch_execz .LBB312_100
; %bb.99:                               ;   in Loop: Header=BB312_13 Depth=1
	v_and_b32_e32 v29, 7, v28
	v_lshrrev_b32_e32 v30, 3, v0
	v_cmp_gt_u32_e64 s[4:5], 8, v0
	v_ffbh_u32_e32 v0, v29
	v_min_u32_e32 v0, 32, v0
	v_subrev_u32_e32 v21, 28, v0
	v_lshlrev_b64 v[21:22], v21, v[28:29]
	v_sub_u32_e32 v0, 29, v0
	v_and_b32_e32 v21, 7, v21
	v_cndmask_b32_e64 v0, v30, v0, s[4:5]
	v_cndmask_b32_e64 v21, v29, v21, s[4:5]
	v_lshlrev_b32_e32 v22, 16, v27
	v_bfrev_b32_e32 v28, 60
	v_lshlrev_b32_e32 v21, 20, v21
	v_and_b32_e32 v22, 0x80000000, v22
	v_lshl_add_u32 v0, v0, 23, v28
	v_or3_b32 v31, v22, v0, v21
.LBB312_100:                            ;   in Loop: Header=BB312_13 Depth=1
	s_or_b64 exec, exec, s[44:45]
.LBB312_101:                            ;   in Loop: Header=BB312_13 Depth=1
	s_or_b64 exec, exec, s[42:43]
.LBB312_102:                            ;   in Loop: Header=BB312_13 Depth=1
	s_or_b64 exec, exec, s[40:41]
	v_lshrrev_b32_e32 v28, 16, v27
	v_mov_b32_e32 v0, 0
	v_cmp_ne_u16_sdwa s[4:5], v28, v0 src0_sel:BYTE_0 src1_sel:DWORD
	v_mov_b32_e32 v33, 0
	v_mov_b32_e32 v8, 0
	s_and_saveexec_b64 s[40:41], s[4:5]
	s_cbranch_execz .LBB312_108
; %bb.103:                              ;   in Loop: Header=BB312_13 Depth=1
	v_cmp_ne_u16_sdwa s[4:5], v28, s52 src0_sel:BYTE_0 src1_sel:DWORD
	v_bfrev_b32_e32 v8, 1
	s_and_saveexec_b64 s[42:43], s[4:5]
	s_cbranch_execz .LBB312_107
; %bb.104:                              ;   in Loop: Header=BB312_13 Depth=1
	v_bfe_u32 v0, v27, 16, 7
	v_cmp_ne_u32_e64 s[4:5], s53, v0
	v_mov_b32_e32 v8, 0x7f800001
	s_and_saveexec_b64 s[44:45], s[4:5]
	s_cbranch_execz .LBB312_106
; %bb.105:                              ;   in Loop: Header=BB312_13 Depth=1
	v_and_b32_e32 v29, 7, v28
	v_lshrrev_b32_e32 v30, 3, v0
	v_cmp_gt_u32_e64 s[4:5], 8, v0
	v_ffbh_u32_e32 v0, v29
	v_min_u32_e32 v0, 32, v0
	v_subrev_u32_e32 v21, 28, v0
	v_lshlrev_b64 v[21:22], v21, v[28:29]
	v_sub_u32_e32 v0, 29, v0
	v_and_b32_e32 v21, 7, v21
	v_cndmask_b32_e64 v0, v30, v0, s[4:5]
	v_cndmask_b32_e64 v21, v29, v21, s[4:5]
	v_lshlrev_b32_e32 v22, 24, v28
	v_bfrev_b32_e32 v28, 60
	v_lshlrev_b32_e32 v21, 20, v21
	v_and_b32_e32 v22, 0x80000000, v22
	v_lshl_add_u32 v0, v0, 23, v28
	v_or3_b32 v8, v22, v0, v21
.LBB312_106:                            ;   in Loop: Header=BB312_13 Depth=1
	s_or_b64 exec, exec, s[44:45]
.LBB312_107:                            ;   in Loop: Header=BB312_13 Depth=1
	s_or_b64 exec, exec, s[42:43]
.LBB312_108:                            ;   in Loop: Header=BB312_13 Depth=1
	s_or_b64 exec, exec, s[40:41]
	v_cmp_lt_u32_e64 s[4:5], s54, v27
	s_and_saveexec_b64 s[40:41], s[4:5]
	s_cbranch_execz .LBB312_114
; %bb.109:                              ;   in Loop: Header=BB312_13 Depth=1
	v_lshrrev_b32_e32 v28, 24, v27
	v_cmp_ne_u32_e64 s[4:5], s52, v28
	v_bfrev_b32_e32 v33, 1
	s_and_saveexec_b64 s[42:43], s[4:5]
	s_cbranch_execz .LBB312_113
; %bb.110:                              ;   in Loop: Header=BB312_13 Depth=1
	v_bfe_u32 v0, v27, 24, 7
	v_cmp_ne_u32_e64 s[4:5], s53, v0
	v_mov_b32_e32 v33, 0x7f800001
	s_and_saveexec_b64 s[44:45], s[4:5]
	s_cbranch_execz .LBB312_112
; %bb.111:                              ;   in Loop: Header=BB312_13 Depth=1
	v_and_b32_e32 v27, 7, v28
	v_lshrrev_b32_e32 v29, 3, v0
	v_cmp_gt_u32_e64 s[4:5], 8, v0
	v_ffbh_u32_e32 v0, v27
	v_min_u32_e32 v0, 32, v0
	v_subrev_u32_e32 v21, 28, v0
	v_lshlrev_b64 v[21:22], v21, v[28:29]
	v_sub_u32_e32 v0, 29, v0
	v_and_b32_e32 v21, 7, v21
	v_cndmask_b32_e64 v0, v29, v0, s[4:5]
	v_cndmask_b32_e64 v21, v27, v21, s[4:5]
	v_lshlrev_b32_e32 v22, 24, v28
	v_bfrev_b32_e32 v27, 60
	v_lshlrev_b32_e32 v21, 20, v21
	v_and_b32_e32 v22, 0x80000000, v22
	v_lshl_add_u32 v0, v0, 23, v27
	v_or3_b32 v33, v22, v0, v21
.LBB312_112:                            ;   in Loop: Header=BB312_13 Depth=1
	s_or_b64 exec, exec, s[44:45]
.LBB312_113:                            ;   in Loop: Header=BB312_13 Depth=1
	s_or_b64 exec, exec, s[42:43]
.LBB312_114:                            ;   in Loop: Header=BB312_13 Depth=1
	s_or_b64 exec, exec, s[40:41]
	global_load_dword v27, v[25:26], off offset:1024
	v_mov_b32_e32 v0, 0
	v_mov_b32_e32 v53, 0
	;; [unrolled: 1-line block ×3, first 2 shown]
	s_waitcnt vmcnt(0)
	v_cmp_ne_u16_sdwa s[4:5], v27, v0 src0_sel:BYTE_0 src1_sel:DWORD
	s_and_saveexec_b64 s[40:41], s[4:5]
	s_cbranch_execz .LBB312_120
; %bb.115:                              ;   in Loop: Header=BB312_13 Depth=1
	v_cmp_ne_u16_sdwa s[4:5], v27, s52 src0_sel:BYTE_0 src1_sel:DWORD
	v_bfrev_b32_e32 v51, 1
	s_and_saveexec_b64 s[42:43], s[4:5]
	s_cbranch_execz .LBB312_119
; %bb.116:                              ;   in Loop: Header=BB312_13 Depth=1
	v_and_b32_e32 v0, 0x7f, v27
	v_cmp_ne_u32_e64 s[4:5], s53, v0
	v_mov_b32_e32 v51, 0x7f800001
	s_and_saveexec_b64 s[44:45], s[4:5]
	s_cbranch_execz .LBB312_118
; %bb.117:                              ;   in Loop: Header=BB312_13 Depth=1
	v_and_b32_e32 v28, 7, v27
	v_lshrrev_b32_e32 v29, 3, v0
	v_cmp_gt_u32_e64 s[4:5], 8, v0
	v_ffbh_u32_e32 v0, v28
	v_min_u32_e32 v0, 32, v0
	v_subrev_u32_e32 v21, 28, v0
	v_lshlrev_b64 v[21:22], v21, v[27:28]
	v_sub_u32_e32 v0, 29, v0
	v_and_b32_e32 v21, 7, v21
	v_cndmask_b32_e64 v0, v29, v0, s[4:5]
	v_cndmask_b32_e64 v21, v28, v21, s[4:5]
	v_lshlrev_b32_e32 v22, 24, v27
	v_bfrev_b32_e32 v28, 60
	v_lshlrev_b32_e32 v21, 20, v21
	v_and_b32_e32 v22, 0x80000000, v22
	v_lshl_add_u32 v0, v0, 23, v28
	v_or3_b32 v51, v22, v0, v21
.LBB312_118:                            ;   in Loop: Header=BB312_13 Depth=1
	s_or_b64 exec, exec, s[44:45]
.LBB312_119:                            ;   in Loop: Header=BB312_13 Depth=1
	s_or_b64 exec, exec, s[42:43]
.LBB312_120:                            ;   in Loop: Header=BB312_13 Depth=1
	s_or_b64 exec, exec, s[40:41]
	v_lshrrev_b16_e32 v28, 8, v27
	v_cmp_ne_u16_e64 s[4:5], 0, v28
	s_and_saveexec_b64 s[40:41], s[4:5]
	s_cbranch_execz .LBB312_126
; %bb.121:                              ;   in Loop: Header=BB312_13 Depth=1
	v_cmp_ne_u16_e64 s[4:5], s52, v28
	v_bfrev_b32_e32 v53, 1
	s_and_saveexec_b64 s[42:43], s[4:5]
	s_cbranch_execz .LBB312_125
; %bb.122:                              ;   in Loop: Header=BB312_13 Depth=1
	v_and_b32_e32 v0, 0x7f, v28
	v_cmp_ne_u32_e64 s[4:5], s53, v0
	v_mov_b32_e32 v53, 0x7f800001
	s_and_saveexec_b64 s[44:45], s[4:5]
	s_cbranch_execz .LBB312_124
; %bb.123:                              ;   in Loop: Header=BB312_13 Depth=1
	v_and_b32_e32 v29, 7, v28
	v_lshrrev_b32_e32 v30, 3, v0
	v_cmp_gt_u32_e64 s[4:5], 8, v0
	v_ffbh_u32_e32 v0, v29
	v_min_u32_e32 v0, 32, v0
	v_subrev_u32_e32 v21, 28, v0
	v_lshlrev_b64 v[21:22], v21, v[28:29]
	v_sub_u32_e32 v0, 29, v0
	v_and_b32_e32 v21, 7, v21
	v_cndmask_b32_e64 v0, v30, v0, s[4:5]
	v_cndmask_b32_e64 v21, v29, v21, s[4:5]
	v_lshlrev_b32_e32 v22, 16, v27
	v_bfrev_b32_e32 v28, 60
	v_lshlrev_b32_e32 v21, 20, v21
	v_and_b32_e32 v22, 0x80000000, v22
	v_lshl_add_u32 v0, v0, 23, v28
	v_or3_b32 v53, v22, v0, v21
.LBB312_124:                            ;   in Loop: Header=BB312_13 Depth=1
	s_or_b64 exec, exec, s[44:45]
.LBB312_125:                            ;   in Loop: Header=BB312_13 Depth=1
	s_or_b64 exec, exec, s[42:43]
.LBB312_126:                            ;   in Loop: Header=BB312_13 Depth=1
	s_or_b64 exec, exec, s[40:41]
	v_lshrrev_b32_e32 v28, 16, v27
	v_mov_b32_e32 v0, 0
	v_cmp_ne_u16_sdwa s[4:5], v28, v0 src0_sel:BYTE_0 src1_sel:DWORD
	v_mov_b32_e32 v55, 0
	v_mov_b32_e32 v59, 0
	s_and_saveexec_b64 s[40:41], s[4:5]
	s_cbranch_execz .LBB312_132
; %bb.127:                              ;   in Loop: Header=BB312_13 Depth=1
	v_cmp_ne_u16_sdwa s[4:5], v28, s52 src0_sel:BYTE_0 src1_sel:DWORD
	v_bfrev_b32_e32 v59, 1
	s_and_saveexec_b64 s[42:43], s[4:5]
	s_cbranch_execz .LBB312_131
; %bb.128:                              ;   in Loop: Header=BB312_13 Depth=1
	v_bfe_u32 v0, v27, 16, 7
	v_cmp_ne_u32_e64 s[4:5], s53, v0
	v_mov_b32_e32 v59, 0x7f800001
	s_and_saveexec_b64 s[44:45], s[4:5]
	s_cbranch_execz .LBB312_130
; %bb.129:                              ;   in Loop: Header=BB312_13 Depth=1
	v_and_b32_e32 v29, 7, v28
	v_lshrrev_b32_e32 v30, 3, v0
	v_cmp_gt_u32_e64 s[4:5], 8, v0
	v_ffbh_u32_e32 v0, v29
	v_min_u32_e32 v0, 32, v0
	v_subrev_u32_e32 v21, 28, v0
	v_lshlrev_b64 v[21:22], v21, v[28:29]
	v_sub_u32_e32 v0, 29, v0
	v_and_b32_e32 v21, 7, v21
	v_cndmask_b32_e64 v0, v30, v0, s[4:5]
	v_cndmask_b32_e64 v21, v29, v21, s[4:5]
	v_lshlrev_b32_e32 v22, 24, v28
	v_bfrev_b32_e32 v28, 60
	v_lshlrev_b32_e32 v21, 20, v21
	v_and_b32_e32 v22, 0x80000000, v22
	v_lshl_add_u32 v0, v0, 23, v28
	v_or3_b32 v59, v22, v0, v21
.LBB312_130:                            ;   in Loop: Header=BB312_13 Depth=1
	s_or_b64 exec, exec, s[44:45]
.LBB312_131:                            ;   in Loop: Header=BB312_13 Depth=1
	s_or_b64 exec, exec, s[42:43]
.LBB312_132:                            ;   in Loop: Header=BB312_13 Depth=1
	s_or_b64 exec, exec, s[40:41]
	v_cmp_lt_u32_e64 s[4:5], s54, v27
	s_and_saveexec_b64 s[40:41], s[4:5]
	s_cbranch_execz .LBB312_138
; %bb.133:                              ;   in Loop: Header=BB312_13 Depth=1
	v_lshrrev_b32_e32 v28, 24, v27
	v_cmp_ne_u32_e64 s[4:5], s52, v28
	v_bfrev_b32_e32 v55, 1
	s_and_saveexec_b64 s[42:43], s[4:5]
	s_cbranch_execz .LBB312_137
; %bb.134:                              ;   in Loop: Header=BB312_13 Depth=1
	v_bfe_u32 v0, v27, 24, 7
	v_cmp_ne_u32_e64 s[4:5], s53, v0
	v_mov_b32_e32 v55, 0x7f800001
	s_and_saveexec_b64 s[44:45], s[4:5]
	s_cbranch_execz .LBB312_136
; %bb.135:                              ;   in Loop: Header=BB312_13 Depth=1
	v_and_b32_e32 v27, 7, v28
	v_lshrrev_b32_e32 v29, 3, v0
	v_cmp_gt_u32_e64 s[4:5], 8, v0
	v_ffbh_u32_e32 v0, v27
	v_min_u32_e32 v0, 32, v0
	v_subrev_u32_e32 v21, 28, v0
	v_lshlrev_b64 v[21:22], v21, v[28:29]
	v_sub_u32_e32 v0, 29, v0
	v_and_b32_e32 v21, 7, v21
	v_cndmask_b32_e64 v0, v29, v0, s[4:5]
	v_cndmask_b32_e64 v21, v27, v21, s[4:5]
	v_lshlrev_b32_e32 v22, 24, v28
	v_bfrev_b32_e32 v27, 60
	v_lshlrev_b32_e32 v21, 20, v21
	v_and_b32_e32 v22, 0x80000000, v22
	v_lshl_add_u32 v0, v0, 23, v27
	v_or3_b32 v55, v22, v0, v21
.LBB312_136:                            ;   in Loop: Header=BB312_13 Depth=1
	s_or_b64 exec, exec, s[44:45]
.LBB312_137:                            ;   in Loop: Header=BB312_13 Depth=1
	s_or_b64 exec, exec, s[42:43]
.LBB312_138:                            ;   in Loop: Header=BB312_13 Depth=1
	s_or_b64 exec, exec, s[40:41]
	global_load_dword v27, v[25:26], off offset:1032
	v_mov_b32_e32 v0, 0
	v_mov_b32_e32 v61, 0
	;; [unrolled: 1-line block ×3, first 2 shown]
	s_waitcnt vmcnt(0)
	v_cmp_ne_u16_sdwa s[4:5], v27, v0 src0_sel:BYTE_0 src1_sel:DWORD
	s_and_saveexec_b64 s[40:41], s[4:5]
	s_cbranch_execz .LBB312_144
; %bb.139:                              ;   in Loop: Header=BB312_13 Depth=1
	v_cmp_ne_u16_sdwa s[4:5], v27, s52 src0_sel:BYTE_0 src1_sel:DWORD
	v_bfrev_b32_e32 v60, 1
	s_and_saveexec_b64 s[42:43], s[4:5]
	s_cbranch_execz .LBB312_143
; %bb.140:                              ;   in Loop: Header=BB312_13 Depth=1
	v_and_b32_e32 v0, 0x7f, v27
	v_cmp_ne_u32_e64 s[4:5], s53, v0
	v_mov_b32_e32 v60, 0x7f800001
	s_and_saveexec_b64 s[44:45], s[4:5]
	s_cbranch_execz .LBB312_142
; %bb.141:                              ;   in Loop: Header=BB312_13 Depth=1
	v_and_b32_e32 v28, 7, v27
	v_lshrrev_b32_e32 v29, 3, v0
	v_cmp_gt_u32_e64 s[4:5], 8, v0
	v_ffbh_u32_e32 v0, v28
	v_min_u32_e32 v0, 32, v0
	v_subrev_u32_e32 v21, 28, v0
	v_lshlrev_b64 v[21:22], v21, v[27:28]
	v_sub_u32_e32 v0, 29, v0
	v_and_b32_e32 v21, 7, v21
	v_cndmask_b32_e64 v0, v29, v0, s[4:5]
	v_cndmask_b32_e64 v21, v28, v21, s[4:5]
	v_lshlrev_b32_e32 v22, 24, v27
	v_bfrev_b32_e32 v28, 60
	v_lshlrev_b32_e32 v21, 20, v21
	v_and_b32_e32 v22, 0x80000000, v22
	v_lshl_add_u32 v0, v0, 23, v28
	v_or3_b32 v60, v22, v0, v21
.LBB312_142:                            ;   in Loop: Header=BB312_13 Depth=1
	s_or_b64 exec, exec, s[44:45]
.LBB312_143:                            ;   in Loop: Header=BB312_13 Depth=1
	s_or_b64 exec, exec, s[42:43]
.LBB312_144:                            ;   in Loop: Header=BB312_13 Depth=1
	s_or_b64 exec, exec, s[40:41]
	v_lshrrev_b16_e32 v28, 8, v27
	v_cmp_ne_u16_e64 s[4:5], 0, v28
	s_and_saveexec_b64 s[40:41], s[4:5]
	s_cbranch_execz .LBB312_150
; %bb.145:                              ;   in Loop: Header=BB312_13 Depth=1
	v_cmp_ne_u16_e64 s[4:5], s52, v28
	v_bfrev_b32_e32 v61, 1
	s_and_saveexec_b64 s[42:43], s[4:5]
	s_cbranch_execz .LBB312_149
; %bb.146:                              ;   in Loop: Header=BB312_13 Depth=1
	v_and_b32_e32 v0, 0x7f, v28
	v_cmp_ne_u32_e64 s[4:5], s53, v0
	v_mov_b32_e32 v61, 0x7f800001
	s_and_saveexec_b64 s[44:45], s[4:5]
	s_cbranch_execz .LBB312_148
; %bb.147:                              ;   in Loop: Header=BB312_13 Depth=1
	v_and_b32_e32 v29, 7, v28
	v_lshrrev_b32_e32 v30, 3, v0
	v_cmp_gt_u32_e64 s[4:5], 8, v0
	v_ffbh_u32_e32 v0, v29
	v_min_u32_e32 v0, 32, v0
	v_subrev_u32_e32 v21, 28, v0
	v_lshlrev_b64 v[21:22], v21, v[28:29]
	v_sub_u32_e32 v0, 29, v0
	v_and_b32_e32 v21, 7, v21
	v_cndmask_b32_e64 v0, v30, v0, s[4:5]
	v_cndmask_b32_e64 v21, v29, v21, s[4:5]
	v_lshlrev_b32_e32 v22, 16, v27
	v_bfrev_b32_e32 v28, 60
	v_lshlrev_b32_e32 v21, 20, v21
	v_and_b32_e32 v22, 0x80000000, v22
	v_lshl_add_u32 v0, v0, 23, v28
	v_or3_b32 v61, v22, v0, v21
.LBB312_148:                            ;   in Loop: Header=BB312_13 Depth=1
	s_or_b64 exec, exec, s[44:45]
.LBB312_149:                            ;   in Loop: Header=BB312_13 Depth=1
	s_or_b64 exec, exec, s[42:43]
.LBB312_150:                            ;   in Loop: Header=BB312_13 Depth=1
	s_or_b64 exec, exec, s[40:41]
	v_lshrrev_b32_e32 v28, 16, v27
	v_mov_b32_e32 v0, 0
	v_cmp_ne_u16_sdwa s[4:5], v28, v0 src0_sel:BYTE_0 src1_sel:DWORD
	v_mov_b32_e32 v62, 0
	v_mov_b32_e32 v1, 0
	s_and_saveexec_b64 s[40:41], s[4:5]
	s_cbranch_execz .LBB312_156
; %bb.151:                              ;   in Loop: Header=BB312_13 Depth=1
	v_cmp_ne_u16_sdwa s[4:5], v28, s52 src0_sel:BYTE_0 src1_sel:DWORD
	v_bfrev_b32_e32 v1, 1
	s_and_saveexec_b64 s[42:43], s[4:5]
	s_cbranch_execz .LBB312_155
; %bb.152:                              ;   in Loop: Header=BB312_13 Depth=1
	v_bfe_u32 v0, v27, 16, 7
	v_cmp_ne_u32_e64 s[4:5], s53, v0
	v_mov_b32_e32 v1, 0x7f800001
	s_and_saveexec_b64 s[44:45], s[4:5]
	s_cbranch_execz .LBB312_154
; %bb.153:                              ;   in Loop: Header=BB312_13 Depth=1
	v_and_b32_e32 v29, 7, v28
	v_lshrrev_b32_e32 v30, 3, v0
	v_cmp_gt_u32_e64 s[4:5], 8, v0
	v_ffbh_u32_e32 v0, v29
	v_min_u32_e32 v0, 32, v0
	v_subrev_u32_e32 v21, 28, v0
	v_lshlrev_b64 v[21:22], v21, v[28:29]
	v_sub_u32_e32 v0, 29, v0
	v_and_b32_e32 v21, 7, v21
	v_cndmask_b32_e64 v0, v30, v0, s[4:5]
	v_cndmask_b32_e64 v21, v29, v21, s[4:5]
	v_lshlrev_b32_e32 v22, 24, v28
	v_bfrev_b32_e32 v28, 60
	v_lshlrev_b32_e32 v21, 20, v21
	v_and_b32_e32 v22, 0x80000000, v22
	v_lshl_add_u32 v0, v0, 23, v28
	v_or3_b32 v1, v22, v0, v21
.LBB312_154:                            ;   in Loop: Header=BB312_13 Depth=1
	s_or_b64 exec, exec, s[44:45]
.LBB312_155:                            ;   in Loop: Header=BB312_13 Depth=1
	s_or_b64 exec, exec, s[42:43]
.LBB312_156:                            ;   in Loop: Header=BB312_13 Depth=1
	s_or_b64 exec, exec, s[40:41]
	v_cmp_lt_u32_e64 s[4:5], s54, v27
	s_and_saveexec_b64 s[40:41], s[4:5]
	s_cbranch_execz .LBB312_162
; %bb.157:                              ;   in Loop: Header=BB312_13 Depth=1
	v_lshrrev_b32_e32 v28, 24, v27
	v_cmp_ne_u32_e64 s[4:5], s52, v28
	v_bfrev_b32_e32 v62, 1
	s_and_saveexec_b64 s[42:43], s[4:5]
	s_cbranch_execz .LBB312_161
; %bb.158:                              ;   in Loop: Header=BB312_13 Depth=1
	v_bfe_u32 v0, v27, 24, 7
	v_cmp_ne_u32_e64 s[4:5], s53, v0
	v_mov_b32_e32 v62, 0x7f800001
	s_and_saveexec_b64 s[44:45], s[4:5]
	s_cbranch_execz .LBB312_160
; %bb.159:                              ;   in Loop: Header=BB312_13 Depth=1
	v_and_b32_e32 v27, 7, v28
	v_lshrrev_b32_e32 v29, 3, v0
	v_cmp_gt_u32_e64 s[4:5], 8, v0
	v_ffbh_u32_e32 v0, v27
	v_min_u32_e32 v0, 32, v0
	v_subrev_u32_e32 v21, 28, v0
	v_lshlrev_b64 v[21:22], v21, v[28:29]
	v_sub_u32_e32 v0, 29, v0
	v_and_b32_e32 v21, 7, v21
	v_cndmask_b32_e64 v0, v29, v0, s[4:5]
	v_cndmask_b32_e64 v21, v27, v21, s[4:5]
	v_lshlrev_b32_e32 v22, 24, v28
	v_bfrev_b32_e32 v27, 60
	v_lshlrev_b32_e32 v21, 20, v21
	v_and_b32_e32 v22, 0x80000000, v22
	v_lshl_add_u32 v0, v0, 23, v27
	v_or3_b32 v62, v22, v0, v21
.LBB312_160:                            ;   in Loop: Header=BB312_13 Depth=1
	s_or_b64 exec, exec, s[44:45]
.LBB312_161:                            ;   in Loop: Header=BB312_13 Depth=1
	s_or_b64 exec, exec, s[42:43]
.LBB312_162:                            ;   in Loop: Header=BB312_13 Depth=1
	s_or_b64 exec, exec, s[40:41]
	global_load_dword v27, v[25:26], off offset:1536
	v_mov_b32_e32 v0, 0
	v_mov_b32_e32 v3, 0
	;; [unrolled: 1-line block ×3, first 2 shown]
	s_waitcnt vmcnt(0)
	v_cmp_ne_u16_sdwa s[4:5], v27, v0 src0_sel:BYTE_0 src1_sel:DWORD
	s_and_saveexec_b64 s[40:41], s[4:5]
	s_cbranch_execz .LBB312_168
; %bb.163:                              ;   in Loop: Header=BB312_13 Depth=1
	v_cmp_ne_u16_sdwa s[4:5], v27, s52 src0_sel:BYTE_0 src1_sel:DWORD
	v_bfrev_b32_e32 v2, 1
	s_and_saveexec_b64 s[42:43], s[4:5]
	s_cbranch_execz .LBB312_167
; %bb.164:                              ;   in Loop: Header=BB312_13 Depth=1
	v_and_b32_e32 v0, 0x7f, v27
	v_cmp_ne_u32_e64 s[4:5], s53, v0
	v_mov_b32_e32 v2, 0x7f800001
	s_and_saveexec_b64 s[44:45], s[4:5]
	s_cbranch_execz .LBB312_166
; %bb.165:                              ;   in Loop: Header=BB312_13 Depth=1
	v_and_b32_e32 v21, 7, v27
	v_lshrrev_b32_e32 v30, 3, v0
	v_cmp_gt_u32_e64 s[4:5], 8, v0
	v_ffbh_u32_e32 v0, v21
	v_min_u32_e32 v0, 32, v0
	v_subrev_u32_e32 v28, 28, v0
	v_lshlrev_b64 v[28:29], v28, v[27:28]
	v_sub_u32_e32 v0, 29, v0
	v_and_b32_e32 v28, 7, v28
	v_cndmask_b32_e64 v0, v30, v0, s[4:5]
	v_cndmask_b32_e64 v21, v21, v28, s[4:5]
	v_lshlrev_b32_e32 v28, 24, v27
	v_bfrev_b32_e32 v22, 60
	v_lshlrev_b32_e32 v21, 20, v21
	v_and_b32_e32 v28, 0x80000000, v28
	v_lshl_add_u32 v0, v0, 23, v22
	v_or3_b32 v2, v28, v0, v21
.LBB312_166:                            ;   in Loop: Header=BB312_13 Depth=1
	s_or_b64 exec, exec, s[44:45]
.LBB312_167:                            ;   in Loop: Header=BB312_13 Depth=1
	s_or_b64 exec, exec, s[42:43]
.LBB312_168:                            ;   in Loop: Header=BB312_13 Depth=1
	s_or_b64 exec, exec, s[40:41]
	v_lshrrev_b16_e32 v28, 8, v27
	v_cmp_ne_u16_e64 s[4:5], 0, v28
	s_and_saveexec_b64 s[40:41], s[4:5]
	s_cbranch_execz .LBB312_174
; %bb.169:                              ;   in Loop: Header=BB312_13 Depth=1
	v_cmp_ne_u16_e64 s[4:5], s52, v28
	v_bfrev_b32_e32 v3, 1
	s_and_saveexec_b64 s[42:43], s[4:5]
	s_cbranch_execz .LBB312_173
; %bb.170:                              ;   in Loop: Header=BB312_13 Depth=1
	v_and_b32_e32 v0, 0x7f, v28
	v_cmp_ne_u32_e64 s[4:5], s53, v0
	v_mov_b32_e32 v3, 0x7f800001
	s_and_saveexec_b64 s[44:45], s[4:5]
	s_cbranch_execz .LBB312_172
; %bb.171:                              ;   in Loop: Header=BB312_13 Depth=1
	v_and_b32_e32 v22, 7, v28
	v_lshrrev_b32_e32 v30, 3, v0
	v_cmp_gt_u32_e64 s[4:5], 8, v0
	v_ffbh_u32_e32 v0, v22
	v_min_u32_e32 v0, 32, v0
	v_subrev_u32_e32 v29, 28, v0
	v_lshlrev_b64 v[28:29], v29, v[28:29]
	v_sub_u32_e32 v0, 29, v0
	v_and_b32_e32 v28, 7, v28
	v_cndmask_b32_e64 v0, v30, v0, s[4:5]
	v_cndmask_b32_e64 v22, v22, v28, s[4:5]
	v_lshlrev_b32_e32 v28, 16, v27
	v_bfrev_b32_e32 v21, 60
	v_lshlrev_b32_e32 v22, 20, v22
	v_and_b32_e32 v28, 0x80000000, v28
	v_lshl_add_u32 v0, v0, 23, v21
	v_or3_b32 v3, v28, v0, v22
.LBB312_172:                            ;   in Loop: Header=BB312_13 Depth=1
	s_or_b64 exec, exec, s[44:45]
.LBB312_173:                            ;   in Loop: Header=BB312_13 Depth=1
	s_or_b64 exec, exec, s[42:43]
.LBB312_174:                            ;   in Loop: Header=BB312_13 Depth=1
	s_or_b64 exec, exec, s[40:41]
	v_lshrrev_b32_e32 v28, 16, v27
	v_mov_b32_e32 v0, 0
	v_cmp_ne_u16_sdwa s[4:5], v28, v0 src0_sel:BYTE_0 src1_sel:DWORD
	v_mov_b32_e32 v0, 0
	buffer_store_dword v0, off, s[60:63], 0 offset:4 ; 4-byte Folded Spill
	v_mov_b32_e32 v0, 0
	buffer_store_dword v0, off, s[60:63], 0 offset:8 ; 4-byte Folded Spill
	s_and_saveexec_b64 s[40:41], s[4:5]
	s_cbranch_execz .LBB312_180
; %bb.175:                              ;   in Loop: Header=BB312_13 Depth=1
	v_cmp_ne_u16_sdwa s[4:5], v28, s52 src0_sel:BYTE_0 src1_sel:DWORD
	v_bfrev_b32_e32 v0, 1
	buffer_store_dword v0, off, s[60:63], 0 offset:8 ; 4-byte Folded Spill
	s_and_saveexec_b64 s[42:43], s[4:5]
	s_cbranch_execz .LBB312_179
; %bb.176:                              ;   in Loop: Header=BB312_13 Depth=1
	v_bfe_u32 v29, v27, 16, 7
	v_cmp_ne_u32_e64 s[4:5], s53, v29
	v_mov_b32_e32 v0, 0x7f800001
	buffer_store_dword v0, off, s[60:63], 0 offset:8 ; 4-byte Folded Spill
	s_and_saveexec_b64 s[44:45], s[4:5]
	s_cbranch_execz .LBB312_178
; %bb.177:                              ;   in Loop: Header=BB312_13 Depth=1
	v_and_b32_e32 v35, 7, v28
	v_lshrrev_b32_e32 v36, 3, v29
	v_cmp_gt_u32_e64 s[4:5], 8, v29
	v_ffbh_u32_e32 v29, v35
	v_mov_b32_e32 v0, v37
	v_min_u32_e32 v37, 32, v29
	v_subrev_u32_e32 v29, 28, v37
	v_lshlrev_b64 v[29:30], v29, v[28:29]
	v_sub_u32_e32 v30, 29, v37
	v_and_b32_e32 v29, 7, v29
	v_cndmask_b32_e64 v30, v36, v30, s[4:5]
	v_cndmask_b32_e64 v29, v35, v29, s[4:5]
	v_lshlrev_b32_e32 v28, 24, v28
	v_bfrev_b32_e32 v21, 60
	v_lshlrev_b32_e32 v29, 20, v29
	v_and_b32_e32 v28, 0x80000000, v28
	v_lshl_add_u32 v30, v30, 23, v21
	v_mov_b32_e32 v37, v0
	v_or3_b32 v0, v28, v30, v29
	buffer_store_dword v0, off, s[60:63], 0 offset:8 ; 4-byte Folded Spill
.LBB312_178:                            ;   in Loop: Header=BB312_13 Depth=1
	s_or_b64 exec, exec, s[44:45]
.LBB312_179:                            ;   in Loop: Header=BB312_13 Depth=1
	s_or_b64 exec, exec, s[42:43]
.LBB312_180:                            ;   in Loop: Header=BB312_13 Depth=1
	s_or_b64 exec, exec, s[40:41]
	v_cmp_lt_u32_e64 s[4:5], s54, v27
	s_and_saveexec_b64 s[40:41], s[4:5]
	s_cbranch_execz .LBB312_186
; %bb.181:                              ;   in Loop: Header=BB312_13 Depth=1
	v_lshrrev_b32_e32 v28, 24, v27
	v_cmp_ne_u32_e64 s[4:5], s52, v28
	v_bfrev_b32_e32 v0, 1
	buffer_store_dword v0, off, s[60:63], 0 offset:4 ; 4-byte Folded Spill
	s_and_saveexec_b64 s[42:43], s[4:5]
	s_cbranch_execz .LBB312_185
; %bb.182:                              ;   in Loop: Header=BB312_13 Depth=1
	v_bfe_u32 v27, v27, 24, 7
	v_cmp_ne_u32_e64 s[4:5], s53, v27
	v_mov_b32_e32 v0, 0x7f800001
	buffer_store_dword v0, off, s[60:63], 0 offset:4 ; 4-byte Folded Spill
	s_and_saveexec_b64 s[44:45], s[4:5]
	s_cbranch_execz .LBB312_184
; %bb.183:                              ;   in Loop: Header=BB312_13 Depth=1
	v_and_b32_e32 v0, 7, v28
	v_lshrrev_b32_e32 v35, 3, v27
	v_cmp_gt_u32_e64 s[4:5], 8, v27
	v_ffbh_u32_e32 v27, v0
	v_min_u32_e32 v27, 32, v27
	v_subrev_u32_e32 v29, 28, v27
	v_lshlrev_b64 v[29:30], v29, v[28:29]
	v_sub_u32_e32 v27, 29, v27
	v_and_b32_e32 v29, 7, v29
	v_cndmask_b32_e64 v27, v35, v27, s[4:5]
	v_cndmask_b32_e64 v0, v0, v29, s[4:5]
	v_lshlrev_b32_e32 v28, 24, v28
	v_bfrev_b32_e32 v21, 60
	v_lshlrev_b32_e32 v0, 20, v0
	v_and_b32_e32 v28, 0x80000000, v28
	v_lshl_add_u32 v27, v27, 23, v21
	v_or3_b32 v0, v28, v27, v0
	buffer_store_dword v0, off, s[60:63], 0 offset:4 ; 4-byte Folded Spill
.LBB312_184:                            ;   in Loop: Header=BB312_13 Depth=1
	s_or_b64 exec, exec, s[44:45]
.LBB312_185:                            ;   in Loop: Header=BB312_13 Depth=1
	s_or_b64 exec, exec, s[42:43]
.LBB312_186:                            ;   in Loop: Header=BB312_13 Depth=1
	s_or_b64 exec, exec, s[40:41]
	global_load_dword v27, v[25:26], off offset:1544
	v_mov_b32_e32 v0, 0
	v_mov_b32_e32 v21, 0
	buffer_store_dword v0, off, s[60:63], 0 offset:16 ; 4-byte Folded Spill
	v_mov_b32_e32 v0, 0
	buffer_store_dword v0, off, s[60:63], 0 offset:12 ; 4-byte Folded Spill
	s_waitcnt vmcnt(2)
	v_cmp_ne_u16_sdwa s[4:5], v27, v21 src0_sel:BYTE_0 src1_sel:DWORD
	s_and_saveexec_b64 s[40:41], s[4:5]
	s_cbranch_execz .LBB312_192
; %bb.187:                              ;   in Loop: Header=BB312_13 Depth=1
	v_cmp_ne_u16_sdwa s[4:5], v27, s52 src0_sel:BYTE_0 src1_sel:DWORD
	v_bfrev_b32_e32 v0, 1
	buffer_store_dword v0, off, s[60:63], 0 offset:12 ; 4-byte Folded Spill
	s_and_saveexec_b64 s[42:43], s[4:5]
	s_cbranch_execz .LBB312_191
; %bb.188:                              ;   in Loop: Header=BB312_13 Depth=1
	v_and_b32_e32 v28, 0x7f, v27
	v_cmp_ne_u32_e64 s[4:5], s53, v28
	v_mov_b32_e32 v0, 0x7f800001
	buffer_store_dword v0, off, s[60:63], 0 offset:12 ; 4-byte Folded Spill
	s_and_saveexec_b64 s[44:45], s[4:5]
	s_cbranch_execz .LBB312_190
; %bb.189:                              ;   in Loop: Header=BB312_13 Depth=1
	v_and_b32_e32 v30, 7, v27
	v_lshrrev_b32_e32 v35, 3, v28
	v_cmp_gt_u32_e64 s[4:5], 8, v28
	v_ffbh_u32_e32 v28, v30
	v_mov_b32_e32 v0, v37
	v_min_u32_e32 v37, 32, v28
	v_subrev_u32_e32 v28, 28, v37
	v_lshlrev_b64 v[28:29], v28, v[27:28]
	v_sub_u32_e32 v29, 29, v37
	v_and_b32_e32 v28, 7, v28
	v_cndmask_b32_e64 v29, v35, v29, s[4:5]
	v_cndmask_b32_e64 v28, v30, v28, s[4:5]
	v_lshlrev_b32_e32 v30, 24, v27
	v_bfrev_b32_e32 v21, 60
	v_lshlrev_b32_e32 v28, 20, v28
	v_and_b32_e32 v30, 0x80000000, v30
	v_lshl_add_u32 v29, v29, 23, v21
	v_mov_b32_e32 v37, v0
	v_or3_b32 v0, v30, v29, v28
	buffer_store_dword v0, off, s[60:63], 0 offset:12 ; 4-byte Folded Spill
.LBB312_190:                            ;   in Loop: Header=BB312_13 Depth=1
	s_or_b64 exec, exec, s[44:45]
.LBB312_191:                            ;   in Loop: Header=BB312_13 Depth=1
	s_or_b64 exec, exec, s[42:43]
.LBB312_192:                            ;   in Loop: Header=BB312_13 Depth=1
	s_or_b64 exec, exec, s[40:41]
	v_lshrrev_b16_e32 v28, 8, v27
	v_cmp_ne_u16_e64 s[4:5], 0, v28
	s_and_saveexec_b64 s[40:41], s[4:5]
	s_cbranch_execz .LBB312_198
; %bb.193:                              ;   in Loop: Header=BB312_13 Depth=1
	v_cmp_ne_u16_e64 s[4:5], s52, v28
	v_bfrev_b32_e32 v0, 1
	buffer_store_dword v0, off, s[60:63], 0 offset:16 ; 4-byte Folded Spill
	s_and_saveexec_b64 s[42:43], s[4:5]
	s_cbranch_execz .LBB312_197
; %bb.194:                              ;   in Loop: Header=BB312_13 Depth=1
	v_and_b32_e32 v29, 0x7f, v28
	v_cmp_ne_u32_e64 s[4:5], s53, v29
	v_mov_b32_e32 v0, 0x7f800001
	buffer_store_dword v0, off, s[60:63], 0 offset:16 ; 4-byte Folded Spill
	s_and_saveexec_b64 s[44:45], s[4:5]
	s_cbranch_execz .LBB312_196
; %bb.195:                              ;   in Loop: Header=BB312_13 Depth=1
	v_and_b32_e32 v30, 7, v28
	v_lshrrev_b32_e32 v35, 3, v29
	v_cmp_gt_u32_e64 s[4:5], 8, v29
	v_ffbh_u32_e32 v29, v30
	v_min_u32_e32 v36, 32, v29
	v_subrev_u32_e32 v29, 28, v36
	v_lshlrev_b64 v[28:29], v29, v[28:29]
	v_sub_u32_e32 v29, 29, v36
	v_and_b32_e32 v28, 7, v28
	v_cndmask_b32_e64 v29, v35, v29, s[4:5]
	v_cndmask_b32_e64 v28, v30, v28, s[4:5]
	v_lshlrev_b32_e32 v30, 16, v27
	v_bfrev_b32_e32 v21, 60
	v_lshlrev_b32_e32 v28, 20, v28
	v_and_b32_e32 v30, 0x80000000, v30
	v_lshl_add_u32 v29, v29, 23, v21
	v_or3_b32 v0, v30, v29, v28
	buffer_store_dword v0, off, s[60:63], 0 offset:16 ; 4-byte Folded Spill
.LBB312_196:                            ;   in Loop: Header=BB312_13 Depth=1
	s_or_b64 exec, exec, s[44:45]
.LBB312_197:                            ;   in Loop: Header=BB312_13 Depth=1
	s_or_b64 exec, exec, s[42:43]
.LBB312_198:                            ;   in Loop: Header=BB312_13 Depth=1
	s_or_b64 exec, exec, s[40:41]
	v_mov_b32_e32 v0, 0
	v_lshrrev_b32_e32 v28, 16, v27
	v_mov_b32_e32 v21, 0
	buffer_store_dword v0, off, s[60:63], 0 offset:20 ; 4-byte Folded Spill
	v_mov_b32_e32 v0, 0
	v_cmp_ne_u16_sdwa s[4:5], v28, v21 src0_sel:BYTE_0 src1_sel:DWORD
	buffer_store_dword v0, off, s[60:63], 0 offset:24 ; 4-byte Folded Spill
	s_mov_b64 s[40:41], exec
	s_and_b64 s[4:5], s[40:41], s[4:5]
	buffer_store_dword v1, off, s[60:63], 0 offset:88 ; 4-byte Folded Spill
	buffer_store_dword v2, off, s[60:63], 0 offset:92 ; 4-byte Folded Spill
	;; [unrolled: 1-line block ×3, first 2 shown]
	s_mov_b64 exec, s[4:5]
	s_cbranch_execz .LBB312_204
; %bb.199:                              ;   in Loop: Header=BB312_13 Depth=1
	v_cmp_ne_u16_sdwa s[4:5], v28, s52 src0_sel:BYTE_0 src1_sel:DWORD
	v_bfrev_b32_e32 v0, 1
	s_and_saveexec_b64 s[42:43], s[4:5]
	s_cbranch_execz .LBB312_203
; %bb.200:                              ;   in Loop: Header=BB312_13 Depth=1
	v_bfe_u32 v29, v27, 16, 7
	v_cmp_ne_u32_e64 s[4:5], s53, v29
	v_mov_b32_e32 v0, 0x7f800001
	s_and_saveexec_b64 s[44:45], s[4:5]
	s_cbranch_execz .LBB312_202
; %bb.201:                              ;   in Loop: Header=BB312_13 Depth=1
	v_and_b32_e32 v35, 7, v28
	v_lshrrev_b32_e32 v45, 3, v29
	v_cmp_gt_u32_e64 s[4:5], 8, v29
	v_ffbh_u32_e32 v29, v35
	v_mov_b32_e32 v0, v46
	v_mov_b32_e32 v1, v47
	;; [unrolled: 1-line block ×4, first 2 shown]
	v_min_u32_e32 v46, 32, v29
	v_subrev_u32_e32 v29, 28, v46
	v_lshlrev_b64 v[29:30], v29, v[28:29]
	v_sub_u32_e32 v30, 29, v46
	v_and_b32_e32 v29, 7, v29
	v_cndmask_b32_e64 v30, v45, v30, s[4:5]
	v_cndmask_b32_e64 v29, v35, v29, s[4:5]
	v_lshlrev_b32_e32 v28, 24, v28
	v_bfrev_b32_e32 v21, 60
	v_mov_b32_e32 v49, v3
	v_lshlrev_b32_e32 v29, 20, v29
	v_and_b32_e32 v28, 0x80000000, v28
	v_lshl_add_u32 v30, v30, 23, v21
	v_mov_b32_e32 v48, v2
	v_mov_b32_e32 v47, v1
	;; [unrolled: 1-line block ×3, first 2 shown]
	v_or3_b32 v0, v28, v30, v29
.LBB312_202:                            ;   in Loop: Header=BB312_13 Depth=1
	s_or_b64 exec, exec, s[44:45]
.LBB312_203:                            ;   in Loop: Header=BB312_13 Depth=1
	s_or_b64 exec, exec, s[42:43]
	buffer_store_dword v0, off, s[60:63], 0 offset:24 ; 4-byte Folded Spill
.LBB312_204:                            ;   in Loop: Header=BB312_13 Depth=1
	s_or_b64 exec, exec, s[40:41]
	v_cmp_lt_u32_e64 s[4:5], s54, v27
	s_and_saveexec_b64 s[40:41], s[4:5]
	s_cbranch_execz .LBB312_210
; %bb.205:                              ;   in Loop: Header=BB312_13 Depth=1
	v_lshrrev_b32_e32 v28, 24, v27
	v_cmp_ne_u32_e64 s[4:5], s52, v28
	v_bfrev_b32_e32 v0, 1
	buffer_store_dword v0, off, s[60:63], 0 offset:20 ; 4-byte Folded Spill
	s_and_saveexec_b64 s[42:43], s[4:5]
	s_cbranch_execz .LBB312_209
; %bb.206:                              ;   in Loop: Header=BB312_13 Depth=1
	v_bfe_u32 v27, v27, 24, 7
	v_cmp_ne_u32_e64 s[4:5], s53, v27
	v_mov_b32_e32 v0, 0x7f800001
	buffer_store_dword v0, off, s[60:63], 0 offset:20 ; 4-byte Folded Spill
	s_and_saveexec_b64 s[44:45], s[4:5]
	s_cbranch_execz .LBB312_208
; %bb.207:                              ;   in Loop: Header=BB312_13 Depth=1
	v_and_b32_e32 v35, 7, v28
	v_lshrrev_b32_e32 v42, 3, v27
	v_cmp_gt_u32_e64 s[4:5], 8, v27
	v_ffbh_u32_e32 v27, v35
	v_min_u32_e32 v27, 32, v27
	v_subrev_u32_e32 v29, 28, v27
	v_lshlrev_b64 v[29:30], v29, v[28:29]
	v_sub_u32_e32 v27, 29, v27
	v_and_b32_e32 v29, 7, v29
	v_cndmask_b32_e64 v27, v42, v27, s[4:5]
	v_cndmask_b32_e64 v29, v35, v29, s[4:5]
	v_lshlrev_b32_e32 v28, 24, v28
	v_bfrev_b32_e32 v21, 60
	v_lshlrev_b32_e32 v29, 20, v29
	v_and_b32_e32 v28, 0x80000000, v28
	v_lshl_add_u32 v27, v27, 23, v21
	v_or3_b32 v0, v28, v27, v29
	buffer_store_dword v0, off, s[60:63], 0 offset:20 ; 4-byte Folded Spill
.LBB312_208:                            ;   in Loop: Header=BB312_13 Depth=1
	s_or_b64 exec, exec, s[44:45]
.LBB312_209:                            ;   in Loop: Header=BB312_13 Depth=1
	s_or_b64 exec, exec, s[42:43]
.LBB312_210:                            ;   in Loop: Header=BB312_13 Depth=1
	s_or_b64 exec, exec, s[40:41]
	global_load_dword v27, v[25:26], off offset:2048
	v_mov_b32_e32 v21, 0
	v_mov_b32_e32 v2, 0
	;; [unrolled: 1-line block ×3, first 2 shown]
	s_waitcnt vmcnt(0)
	v_cmp_ne_u16_sdwa s[4:5], v27, v21 src0_sel:BYTE_0 src1_sel:DWORD
	s_and_saveexec_b64 s[40:41], s[4:5]
	s_cbranch_execz .LBB312_216
; %bb.211:                              ;   in Loop: Header=BB312_13 Depth=1
	v_cmp_ne_u16_sdwa s[4:5], v27, s52 src0_sel:BYTE_0 src1_sel:DWORD
	v_bfrev_b32_e32 v0, 1
	s_and_saveexec_b64 s[42:43], s[4:5]
	s_cbranch_execz .LBB312_215
; %bb.212:                              ;   in Loop: Header=BB312_13 Depth=1
	v_and_b32_e32 v28, 0x7f, v27
	v_cmp_ne_u32_e64 s[4:5], s53, v28
	v_mov_b32_e32 v0, 0x7f800001
	s_and_saveexec_b64 s[44:45], s[4:5]
	s_cbranch_execz .LBB312_214
; %bb.213:                              ;   in Loop: Header=BB312_13 Depth=1
	v_and_b32_e32 v30, 7, v27
	v_lshrrev_b32_e32 v35, 3, v28
	v_cmp_gt_u32_e64 s[4:5], 8, v28
	v_ffbh_u32_e32 v28, v30
	v_mov_b32_e32 v0, v46
	v_mov_b32_e32 v1, v47
	;; [unrolled: 1-line block ×4, first 2 shown]
	v_min_u32_e32 v46, 32, v28
	v_subrev_u32_e32 v28, 28, v46
	v_lshlrev_b64 v[28:29], v28, v[27:28]
	v_sub_u32_e32 v29, 29, v46
	v_and_b32_e32 v28, 7, v28
	v_cndmask_b32_e64 v29, v35, v29, s[4:5]
	v_cndmask_b32_e64 v28, v30, v28, s[4:5]
	v_lshlrev_b32_e32 v30, 24, v27
	v_bfrev_b32_e32 v21, 60
	v_mov_b32_e32 v49, v3
	v_lshlrev_b32_e32 v28, 20, v28
	v_and_b32_e32 v30, 0x80000000, v30
	v_lshl_add_u32 v29, v29, 23, v21
	v_mov_b32_e32 v48, v2
	v_mov_b32_e32 v47, v1
	;; [unrolled: 1-line block ×4, first 2 shown]
	v_or3_b32 v0, v30, v29, v28
.LBB312_214:                            ;   in Loop: Header=BB312_13 Depth=1
	s_or_b64 exec, exec, s[44:45]
.LBB312_215:                            ;   in Loop: Header=BB312_13 Depth=1
	s_or_b64 exec, exec, s[42:43]
.LBB312_216:                            ;   in Loop: Header=BB312_13 Depth=1
	s_or_b64 exec, exec, s[40:41]
	v_lshrrev_b16_e32 v28, 8, v27
	v_cmp_ne_u16_e64 s[4:5], 0, v28
	s_mov_b64 s[40:41], exec
	s_and_b64 s[4:5], s[40:41], s[4:5]
	buffer_store_dword v4, off, s[60:63], 0 offset:52 ; 4-byte Folded Spill
	s_mov_b64 exec, s[4:5]
	s_cbranch_execz .LBB312_222
; %bb.217:                              ;   in Loop: Header=BB312_13 Depth=1
	v_cmp_ne_u16_e64 s[4:5], s52, v28
	v_bfrev_b32_e32 v2, 1
	s_and_saveexec_b64 s[42:43], s[4:5]
	s_cbranch_execz .LBB312_221
; %bb.218:                              ;   in Loop: Header=BB312_13 Depth=1
	v_and_b32_e32 v29, 0x7f, v28
	v_cmp_ne_u32_e64 s[4:5], s53, v29
	v_mov_b32_e32 v2, 0x7f800001
	s_and_saveexec_b64 s[44:45], s[4:5]
	s_cbranch_execz .LBB312_220
; %bb.219:                              ;   in Loop: Header=BB312_13 Depth=1
	v_and_b32_e32 v30, 7, v28
	v_lshrrev_b32_e32 v35, 3, v29
	v_cmp_gt_u32_e64 s[4:5], 8, v29
	v_ffbh_u32_e32 v29, v30
	v_mov_b32_e32 v3, v46
	v_mov_b32_e32 v4, v47
	;; [unrolled: 1-line block ×4, first 2 shown]
	v_min_u32_e32 v47, 32, v29
	v_subrev_u32_e32 v29, 28, v47
	v_lshlrev_b64 v[28:29], v29, v[28:29]
	v_sub_u32_e32 v29, 29, v47
	v_and_b32_e32 v28, 7, v28
	v_cndmask_b32_e64 v29, v35, v29, s[4:5]
	v_cndmask_b32_e64 v28, v30, v28, s[4:5]
	v_lshlrev_b32_e32 v30, 16, v27
	v_bfrev_b32_e32 v21, 60
	v_mov_b32_e32 v49, v6
	v_lshlrev_b32_e32 v28, 20, v28
	v_and_b32_e32 v30, 0x80000000, v30
	v_lshl_add_u32 v29, v29, 23, v21
	v_mov_b32_e32 v48, v5
	v_mov_b32_e32 v47, v4
	;; [unrolled: 1-line block ×3, first 2 shown]
	v_or3_b32 v2, v30, v29, v28
.LBB312_220:                            ;   in Loop: Header=BB312_13 Depth=1
	s_or_b64 exec, exec, s[44:45]
.LBB312_221:                            ;   in Loop: Header=BB312_13 Depth=1
	s_or_b64 exec, exec, s[42:43]
.LBB312_222:                            ;   in Loop: Header=BB312_13 Depth=1
	s_or_b64 exec, exec, s[40:41]
	v_lshrrev_b32_e32 v28, 16, v27
	v_mov_b32_e32 v21, 0
	v_cmp_ne_u16_sdwa s[4:5], v28, v21 src0_sel:BYTE_0 src1_sel:DWORD
	v_mov_b32_e32 v5, 0
	v_mov_b32_e32 v6, 0
	s_and_saveexec_b64 s[40:41], s[4:5]
	s_cbranch_execz .LBB312_228
; %bb.223:                              ;   in Loop: Header=BB312_13 Depth=1
	v_cmp_ne_u16_sdwa s[4:5], v28, s52 src0_sel:BYTE_0 src1_sel:DWORD
	v_bfrev_b32_e32 v6, 1
	s_and_saveexec_b64 s[42:43], s[4:5]
	s_cbranch_execz .LBB312_227
; %bb.224:                              ;   in Loop: Header=BB312_13 Depth=1
	v_bfe_u32 v29, v27, 16, 7
	v_cmp_ne_u32_e64 s[4:5], s53, v29
	v_mov_b32_e32 v6, 0x7f800001
	s_and_saveexec_b64 s[44:45], s[4:5]
	s_cbranch_execz .LBB312_226
; %bb.225:                              ;   in Loop: Header=BB312_13 Depth=1
	v_and_b32_e32 v35, 7, v28
	v_mov_b32_e32 v45, v46
	v_mov_b32_e32 v46, v47
	;; [unrolled: 1-line block ×4, first 2 shown]
	v_lshrrev_b32_e32 v49, 3, v29
	v_cmp_gt_u32_e64 s[4:5], 8, v29
	v_ffbh_u32_e32 v29, v35
	v_min_u32_e32 v50, 32, v29
	v_subrev_u32_e32 v29, 28, v50
	v_lshlrev_b64 v[29:30], v29, v[28:29]
	v_sub_u32_e32 v30, 29, v50
	v_and_b32_e32 v29, 7, v29
	v_cndmask_b32_e64 v30, v49, v30, s[4:5]
	v_cndmask_b32_e64 v29, v35, v29, s[4:5]
	v_lshlrev_b32_e32 v28, 24, v28
	v_bfrev_b32_e32 v21, 60
	v_mov_b32_e32 v49, v48
	v_lshlrev_b32_e32 v29, 20, v29
	v_and_b32_e32 v28, 0x80000000, v28
	v_lshl_add_u32 v30, v30, 23, v21
	v_mov_b32_e32 v48, v47
	v_mov_b32_e32 v47, v46
	;; [unrolled: 1-line block ×3, first 2 shown]
	v_or3_b32 v6, v28, v30, v29
.LBB312_226:                            ;   in Loop: Header=BB312_13 Depth=1
	s_or_b64 exec, exec, s[44:45]
.LBB312_227:                            ;   in Loop: Header=BB312_13 Depth=1
	s_or_b64 exec, exec, s[42:43]
.LBB312_228:                            ;   in Loop: Header=BB312_13 Depth=1
	s_or_b64 exec, exec, s[40:41]
	v_cmp_lt_u32_e64 s[4:5], s54, v27
	s_mov_b64 s[40:41], exec
	s_and_b64 s[4:5], s[40:41], s[4:5]
	buffer_store_dword v51, off, s[60:63], 0 offset:56 ; 4-byte Folded Spill
	buffer_store_dword v53, off, s[60:63], 0 offset:60 ; 4-byte Folded Spill
	;; [unrolled: 1-line block ×7, first 2 shown]
	s_mov_b64 exec, s[4:5]
	s_cbranch_execz .LBB312_234
; %bb.229:                              ;   in Loop: Header=BB312_13 Depth=1
	v_lshrrev_b32_e32 v28, 24, v27
	v_cmp_ne_u32_e64 s[4:5], s52, v28
	v_bfrev_b32_e32 v5, 1
	s_and_saveexec_b64 s[42:43], s[4:5]
	s_cbranch_execz .LBB312_233
; %bb.230:                              ;   in Loop: Header=BB312_13 Depth=1
	v_bfe_u32 v27, v27, 24, 7
	v_cmp_ne_u32_e64 s[4:5], s53, v27
	v_mov_b32_e32 v5, 0x7f800001
	s_and_saveexec_b64 s[44:45], s[4:5]
	s_cbranch_execz .LBB312_232
; %bb.231:                              ;   in Loop: Header=BB312_13 Depth=1
	v_and_b32_e32 v35, 7, v28
	v_mov_b32_e32 v62, v49
	v_mov_b32_e32 v61, v48
	;; [unrolled: 1-line block ×4, first 2 shown]
	v_lshrrev_b32_e32 v48, 3, v27
	v_cmp_gt_u32_e64 s[4:5], 8, v27
	v_ffbh_u32_e32 v27, v35
	v_min_u32_e32 v27, 32, v27
	v_subrev_u32_e32 v29, 28, v27
	v_lshlrev_b64 v[29:30], v29, v[28:29]
	v_sub_u32_e32 v27, 29, v27
	v_and_b32_e32 v29, 7, v29
	v_cndmask_b32_e64 v27, v48, v27, s[4:5]
	v_cndmask_b32_e64 v29, v35, v29, s[4:5]
	v_lshlrev_b32_e32 v28, 24, v28
	v_bfrev_b32_e32 v21, 60
	v_mov_b32_e32 v46, v59
	v_lshlrev_b32_e32 v29, 20, v29
	v_and_b32_e32 v28, 0x80000000, v28
	v_lshl_add_u32 v27, v27, 23, v21
	v_mov_b32_e32 v47, v60
	v_mov_b32_e32 v48, v61
	v_mov_b32_e32 v49, v62
	v_or3_b32 v5, v28, v27, v29
.LBB312_232:                            ;   in Loop: Header=BB312_13 Depth=1
	s_or_b64 exec, exec, s[44:45]
.LBB312_233:                            ;   in Loop: Header=BB312_13 Depth=1
	s_or_b64 exec, exec, s[42:43]
.LBB312_234:                            ;   in Loop: Header=BB312_13 Depth=1
	s_or_b64 exec, exec, s[40:41]
	global_load_dword v25, v[25:26], off offset:2056
	v_mov_b32_e32 v21, 0
	v_mov_b32_e32 v55, 0
	;; [unrolled: 1-line block ×3, first 2 shown]
	s_waitcnt vmcnt(0)
	v_cmp_ne_u16_sdwa s[4:5], v25, v21 src0_sel:BYTE_0 src1_sel:DWORD
	s_and_saveexec_b64 s[40:41], s[4:5]
	s_cbranch_execz .LBB312_240
; %bb.235:                              ;   in Loop: Header=BB312_13 Depth=1
	v_cmp_ne_u16_sdwa s[4:5], v25, s52 src0_sel:BYTE_0 src1_sel:DWORD
	v_bfrev_b32_e32 v53, 1
	s_and_saveexec_b64 s[42:43], s[4:5]
	s_cbranch_execz .LBB312_239
; %bb.236:                              ;   in Loop: Header=BB312_13 Depth=1
	v_and_b32_e32 v26, 0x7f, v25
	v_cmp_ne_u32_e64 s[4:5], s53, v26
	v_mov_b32_e32 v53, 0x7f800001
	s_and_saveexec_b64 s[44:45], s[4:5]
	s_cbranch_execz .LBB312_238
; %bb.237:                              ;   in Loop: Header=BB312_13 Depth=1
	v_and_b32_e32 v28, 7, v25
	v_lshrrev_b32_e32 v29, 3, v26
	v_cmp_gt_u32_e64 s[4:5], 8, v26
	v_ffbh_u32_e32 v26, v28
	v_min_u32_e32 v30, 32, v26
	v_subrev_u32_e32 v26, 28, v30
	v_lshlrev_b64 v[26:27], v26, v[25:26]
	v_sub_u32_e32 v27, 29, v30
	v_and_b32_e32 v26, 7, v26
	v_cndmask_b32_e64 v27, v29, v27, s[4:5]
	v_cndmask_b32_e64 v26, v28, v26, s[4:5]
	v_lshlrev_b32_e32 v28, 24, v25
	v_bfrev_b32_e32 v21, 60
	v_lshlrev_b32_e32 v26, 20, v26
	v_and_b32_e32 v28, 0x80000000, v28
	v_lshl_add_u32 v27, v27, 23, v21
	v_or3_b32 v53, v28, v27, v26
.LBB312_238:                            ;   in Loop: Header=BB312_13 Depth=1
	s_or_b64 exec, exec, s[44:45]
.LBB312_239:                            ;   in Loop: Header=BB312_13 Depth=1
	s_or_b64 exec, exec, s[42:43]
.LBB312_240:                            ;   in Loop: Header=BB312_13 Depth=1
	s_or_b64 exec, exec, s[40:41]
	v_lshrrev_b16_e32 v26, 8, v25
	v_cmp_ne_u16_e64 s[4:5], 0, v26
	s_and_saveexec_b64 s[40:41], s[4:5]
	s_cbranch_execz .LBB312_246
; %bb.241:                              ;   in Loop: Header=BB312_13 Depth=1
	v_cmp_ne_u16_e64 s[4:5], s52, v26
	v_bfrev_b32_e32 v55, 1
	s_and_saveexec_b64 s[42:43], s[4:5]
	s_cbranch_execz .LBB312_245
; %bb.242:                              ;   in Loop: Header=BB312_13 Depth=1
	v_and_b32_e32 v27, 0x7f, v26
	v_cmp_ne_u32_e64 s[4:5], s53, v27
	v_mov_b32_e32 v55, 0x7f800001
	s_and_saveexec_b64 s[44:45], s[4:5]
	s_cbranch_execz .LBB312_244
; %bb.243:                              ;   in Loop: Header=BB312_13 Depth=1
	v_and_b32_e32 v28, 7, v26
	v_lshrrev_b32_e32 v29, 3, v27
	v_cmp_gt_u32_e64 s[4:5], 8, v27
	v_ffbh_u32_e32 v27, v28
	v_min_u32_e32 v30, 32, v27
	v_subrev_u32_e32 v27, 28, v30
	v_lshlrev_b64 v[26:27], v27, v[26:27]
	v_sub_u32_e32 v27, 29, v30
	v_and_b32_e32 v26, 7, v26
	v_cndmask_b32_e64 v27, v29, v27, s[4:5]
	v_cndmask_b32_e64 v26, v28, v26, s[4:5]
	v_lshlrev_b32_e32 v28, 16, v25
	v_bfrev_b32_e32 v21, 60
	v_lshlrev_b32_e32 v26, 20, v26
	v_and_b32_e32 v28, 0x80000000, v28
	v_lshl_add_u32 v27, v27, 23, v21
	v_or3_b32 v55, v28, v27, v26
.LBB312_244:                            ;   in Loop: Header=BB312_13 Depth=1
	s_or_b64 exec, exec, s[44:45]
.LBB312_245:                            ;   in Loop: Header=BB312_13 Depth=1
	s_or_b64 exec, exec, s[42:43]
.LBB312_246:                            ;   in Loop: Header=BB312_13 Depth=1
	s_or_b64 exec, exec, s[40:41]
	v_lshrrev_b32_e32 v26, 16, v25
	v_mov_b32_e32 v21, 0
	v_cmp_ne_u16_sdwa s[4:5], v26, v21 src0_sel:BYTE_0 src1_sel:DWORD
	v_mov_b32_e32 v51, 0
	v_mov_b32_e32 v28, 0
	s_and_saveexec_b64 s[40:41], s[4:5]
	s_cbranch_execz .LBB312_252
; %bb.247:                              ;   in Loop: Header=BB312_13 Depth=1
	v_cmp_ne_u16_sdwa s[4:5], v26, s52 src0_sel:BYTE_0 src1_sel:DWORD
	v_bfrev_b32_e32 v28, 1
	s_and_saveexec_b64 s[42:43], s[4:5]
	s_cbranch_execz .LBB312_251
; %bb.248:                              ;   in Loop: Header=BB312_13 Depth=1
	v_bfe_u32 v29, v25, 16, 7
	v_cmp_ne_u32_e64 s[4:5], s53, v29
	v_mov_b32_e32 v28, 0x7f800001
	s_and_saveexec_b64 s[44:45], s[4:5]
	s_cbranch_execz .LBB312_250
; %bb.249:                              ;   in Loop: Header=BB312_13 Depth=1
	v_and_b32_e32 v30, 7, v26
	v_ffbh_u32_e32 v28, v30
	v_min_u32_e32 v50, 32, v28
	v_subrev_u32_e32 v28, 28, v50
	v_lshrrev_b32_e32 v35, 3, v29
	v_cmp_gt_u32_e64 s[4:5], 8, v29
	v_lshlrev_b64 v[28:29], v28, v[26:27]
	v_sub_u32_e32 v29, 29, v50
	v_and_b32_e32 v28, 7, v28
	v_cndmask_b32_e64 v29, v35, v29, s[4:5]
	v_cndmask_b32_e64 v28, v30, v28, s[4:5]
	v_lshlrev_b32_e32 v26, 24, v26
	v_bfrev_b32_e32 v21, 60
	v_lshlrev_b32_e32 v28, 20, v28
	v_and_b32_e32 v26, 0x80000000, v26
	v_lshl_add_u32 v29, v29, 23, v21
	v_or3_b32 v28, v26, v29, v28
.LBB312_250:                            ;   in Loop: Header=BB312_13 Depth=1
	s_or_b64 exec, exec, s[44:45]
.LBB312_251:                            ;   in Loop: Header=BB312_13 Depth=1
	s_or_b64 exec, exec, s[42:43]
.LBB312_252:                            ;   in Loop: Header=BB312_13 Depth=1
	s_or_b64 exec, exec, s[40:41]
	v_mov_b32_e32 v50, v0
	v_mov_b32_e32 v45, v57
	;; [unrolled: 1-line block ×6, first 2 shown]
	v_cmp_lt_u32_e64 s[4:5], s54, v25
	buffer_store_dword v33, off, s[60:63], 0 offset:100 ; 4-byte Folded Spill
	buffer_store_dword v31, off, s[60:63], 0 offset:32 ; 4-byte Folded Spill
	s_and_saveexec_b64 s[40:41], s[4:5]
	s_cbranch_execz .LBB312_258
; %bb.253:                              ;   in Loop: Header=BB312_13 Depth=1
	v_lshrrev_b32_e32 v26, 24, v25
	v_cmp_ne_u32_e64 s[4:5], s52, v26
	v_bfrev_b32_e32 v51, 1
	s_and_saveexec_b64 s[42:43], s[4:5]
	s_cbranch_execz .LBB312_257
; %bb.254:                              ;   in Loop: Header=BB312_13 Depth=1
	v_bfe_u32 v25, v25, 24, 7
	v_cmp_ne_u32_e64 s[4:5], s53, v25
	v_mov_b32_e32 v51, 0x7f800001
	s_and_saveexec_b64 s[44:45], s[4:5]
	s_cbranch_execz .LBB312_256
; %bb.255:                              ;   in Loop: Header=BB312_13 Depth=1
	v_and_b32_e32 v27, 7, v26
	v_lshrrev_b32_e32 v35, 3, v25
	v_cmp_gt_u32_e64 s[4:5], 8, v25
	v_ffbh_u32_e32 v25, v27
	v_min_u32_e32 v25, 32, v25
	v_subrev_u32_e32 v29, 28, v25
	v_lshlrev_b64 v[29:30], v29, v[26:27]
	v_sub_u32_e32 v25, 29, v25
	v_and_b32_e32 v29, 7, v29
	v_cndmask_b32_e64 v25, v35, v25, s[4:5]
	v_cndmask_b32_e64 v27, v27, v29, s[4:5]
	v_lshlrev_b32_e32 v26, 24, v26
	v_bfrev_b32_e32 v21, 60
	v_lshlrev_b32_e32 v27, 20, v27
	v_and_b32_e32 v26, 0x80000000, v26
	v_lshl_add_u32 v25, v25, 23, v21
	v_or3_b32 v51, v26, v25, v27
.LBB312_256:                            ;   in Loop: Header=BB312_13 Depth=1
	s_or_b64 exec, exec, s[44:45]
.LBB312_257:                            ;   in Loop: Header=BB312_13 Depth=1
	s_or_b64 exec, exec, s[42:43]
.LBB312_258:                            ;   in Loop: Header=BB312_13 Depth=1
	s_or_b64 exec, exec, s[40:41]
	v_lshlrev_b32_e32 v3, 16, v49
	buffer_store_dword v3, off, s[60:63], 0 offset:128 ; 4-byte Folded Spill
	v_and_b32_e32 v3, 0xffff0000, v49
	buffer_store_dword v3, off, s[60:63], 0 offset:136 ; 4-byte Folded Spill
	v_lshlrev_b32_e32 v63, 16, v17
	v_lshlrev_b32_e32 v57, 16, v18
	v_lshlrev_b32_e32 v32, 16, v19
	v_lshlrev_b32_e32 v56, 16, v20
	v_and_b32_e32 v31, 0xffff0000, v17
	v_and_b32_e32 v33, 0xffff0000, v18
	v_and_b32_e32 v34, 0xffff0000, v19
	v_and_b32_e32 v39, 0xffff0000, v20
	v_lshlrev_b32_e32 v62, 16, v9
	v_lshlrev_b32_e32 v35, 16, v10
	v_lshlrev_b32_e32 v29, 16, v11
	v_lshlrev_b32_e32 v59, 16, v12
	v_and_b32_e32 v61, 0xffff0000, v9
	v_and_b32_e32 v30, 0xffff0000, v10
	v_and_b32_e32 v60, 0xffff0000, v11
	v_and_b32_e32 v1, 0xffff0000, v12
	;; [unrolled: 8-line block ×3, first 2 shown]
	v_lshlrev_b32_e32 v17, 16, v46
	v_lshlrev_b32_e32 v15, 16, v47
	;; [unrolled: 1-line block ×3, first 2 shown]
	v_and_b32_e32 v19, 0xffff0000, v46
	v_and_b32_e32 v16, 0xffff0000, v47
	;; [unrolled: 1-line block ×3, first 2 shown]
	buffer_load_dword v46, off, s[60:63], 0 offset:36 ; 4-byte Folded Reload
	buffer_load_dword v47, off, s[60:63], 0 offset:40 ; 4-byte Folded Reload
	;; [unrolled: 1-line block ×5, first 2 shown]
	s_waitcnt vmcnt(4)
	v_lshlrev_b32_e32 v3, 16, v46
	buffer_store_dword v3, off, s[60:63], 0 offset:124 ; 4-byte Folded Spill
	s_waitcnt vmcnt(4)
	v_lshlrev_b32_e32 v3, 16, v47
	buffer_store_dword v3, off, s[60:63], 0 offset:116 ; 4-byte Folded Spill
	;; [unrolled: 3-line block ×4, first 2 shown]
	v_and_b32_e32 v3, 0xffff0000, v46
	buffer_store_dword v3, off, s[60:63], 0 offset:132 ; 4-byte Folded Spill
	v_and_b32_e32 v3, 0xffff0000, v47
	buffer_store_dword v3, off, s[60:63], 0 offset:120 ; 4-byte Folded Spill
	;; [unrolled: 2-line block ×4, first 2 shown]
	v_mul_f32_e32 v3, s56, v41
	v_bfe_u32 v4, v3, 16, 1
	v_add3_u32 v4, v4, v3, s55
	v_or_b32_e32 v21, 0x400000, v3
	v_cmp_u_f32_e64 s[4:5], v3, v3
	v_cndmask_b32_e64 v3, v4, v21, s[4:5]
	v_mul_f32_e32 v4, s56, v22
	v_bfe_u32 v21, v4, 16, 1
	v_add3_u32 v21, v21, v4, s55
	v_or_b32_e32 v22, 0x400000, v4
	v_cmp_u_f32_e64 s[4:5], v4, v4
	v_cndmask_b32_e64 v4, v21, v22, s[4:5]
	v_and_b32_e32 v3, 0xffff0000, v3
	v_mul_f32_e32 v3, v32, v3
	v_and_b32_e32 v4, 0xffff0000, v4
	v_fmac_f32_e32 v3, v63, v4
	v_mul_f32_e32 v4, s56, v40
	v_bfe_u32 v21, v4, 16, 1
	v_add3_u32 v21, v21, v4, s55
	v_or_b32_e32 v22, 0x400000, v4
	v_cmp_u_f32_e64 s[4:5], v4, v4
	v_cndmask_b32_e64 v4, v21, v22, s[4:5]
	v_mul_f32_e32 v21, s56, v37
	v_bfe_u32 v22, v21, 16, 1
	v_add3_u32 v22, v22, v21, s55
	v_or_b32_e32 v32, 0x400000, v21
	v_cmp_u_f32_e64 s[4:5], v21, v21
	v_cndmask_b32_e64 v21, v22, v32, s[4:5]
	v_and_b32_e32 v4, 0xffff0000, v4
	v_mul_f32_e32 v4, v34, v4
	v_and_b32_e32 v21, 0xffff0000, v21
	v_fmac_f32_e32 v4, v31, v21
	v_mul_f32_e32 v21, s56, v54
	v_bfe_u32 v22, v21, 16, 1
	v_add3_u32 v22, v22, v21, s55
	v_or_b32_e32 v31, 0x400000, v21
	v_cmp_u_f32_e64 s[4:5], v21, v21
	v_cndmask_b32_e64 v21, v22, v31, s[4:5]
	v_mul_f32_e32 v22, s56, v0
	buffer_load_dword v0, off, s[60:63], 0 offset:52 ; 4-byte Folded Reload
	v_bfe_u32 v31, v22, 16, 1
	v_add3_u32 v31, v31, v22, s55
	v_or_b32_e32 v32, 0x400000, v22
	v_cmp_u_f32_e64 s[4:5], v22, v22
	v_cndmask_b32_e64 v22, v31, v32, s[4:5]
	v_and_b32_e32 v21, 0xffff0000, v21
	v_mul_f32_e32 v56, v56, v21
	v_and_b32_e32 v21, 0xffff0000, v22
	v_fmac_f32_e32 v56, v57, v21
	v_mul_f32_e32 v21, s56, v43
	v_bfe_u32 v22, v21, 16, 1
	v_add3_u32 v22, v22, v21, s55
	v_or_b32_e32 v31, 0x400000, v21
	v_cmp_u_f32_e64 s[4:5], v21, v21
	v_cndmask_b32_e64 v21, v22, v31, s[4:5]
	v_mul_f32_e32 v22, s56, v36
	v_bfe_u32 v31, v22, 16, 1
	v_add3_u32 v31, v31, v22, s55
	v_or_b32_e32 v32, 0x400000, v22
	v_cmp_u_f32_e64 s[4:5], v22, v22
	v_cndmask_b32_e64 v22, v31, v32, s[4:5]
	v_and_b32_e32 v21, 0xffff0000, v21
	v_mul_f32_e32 v57, v39, v21
	v_and_b32_e32 v21, 0xffff0000, v22
	v_fmac_f32_e32 v57, v33, v21
	v_mul_f32_e32 v21, s56, v45
	v_bfe_u32 v22, v21, 16, 1
	v_add3_u32 v22, v22, v21, s55
	v_or_b32_e32 v31, 0x400000, v21
	v_cmp_u_f32_e64 s[4:5], v21, v21
	v_cndmask_b32_e64 v21, v22, v31, s[4:5]
	v_and_b32_e32 v21, 0xffff0000, v21
	v_fmac_f32_e32 v3, v62, v21
	v_mul_f32_e32 v21, s56, v42
	v_bfe_u32 v22, v21, 16, 1
	v_add3_u32 v22, v22, v21, s55
	v_or_b32_e32 v31, 0x400000, v21
	v_cmp_u_f32_e64 s[4:5], v21, v21
	v_cndmask_b32_e64 v21, v22, v31, s[4:5]
	;; [unrolled: 8-line block ×4, first 2 shown]
	v_and_b32_e32 v21, 0xffff0000, v21
	v_fmac_f32_e32 v57, v30, v21
	buffer_load_dword v40, off, s[60:63], 0 offset:160 ; 4-byte Folded Reload
	s_waitcnt vmcnt(1)
	v_mul_f32_e32 v21, s56, v0
	buffer_load_dword v0, off, s[60:63], 0 offset:24 ; 4-byte Folded Reload
	v_bfe_u32 v22, v21, 16, 1
	v_add3_u32 v22, v22, v21, s55
	v_or_b32_e32 v30, 0x400000, v21
	v_cmp_u_f32_e64 s[4:5], v21, v21
	v_cndmask_b32_e64 v21, v22, v30, s[4:5]
	v_and_b32_e32 v21, 0xffff0000, v21
	v_fmac_f32_e32 v3, v29, v21
	v_mul_f32_e32 v21, s56, v55
	v_bfe_u32 v22, v21, 16, 1
	v_add3_u32 v22, v22, v21, s55
	v_or_b32_e32 v29, 0x400000, v21
	v_cmp_u_f32_e64 s[4:5], v21, v21
	v_mul_f32_e32 v21, s56, v53
	v_cndmask_b32_e64 v55, v22, v29, s[4:5]
	v_bfe_u32 v22, v21, 16, 1
	v_add3_u32 v22, v22, v21, s55
	v_or_b32_e32 v29, 0x400000, v21
	v_cmp_u_f32_e64 s[4:5], v21, v21
	v_mul_f32_e32 v21, s56, v6
	v_cndmask_b32_e64 v53, v22, v29, s[4:5]
	;; [unrolled: 6-line block ×5, first 2 shown]
	v_bfe_u32 v22, v21, 16, 1
	v_add3_u32 v22, v22, v21, s55
	v_or_b32_e32 v29, 0x400000, v21
	v_cmp_u_f32_e64 s[4:5], v21, v21
	v_cndmask_b32_e64 v46, v22, v29, s[4:5]
	buffer_load_dword v2, off, s[60:63], 0 offset:96 ; 4-byte Folded Reload
	v_and_b32_e32 v5, 0xffff0000, v48
	s_waitcnt vmcnt(1)
	v_mul_f32_e32 v21, s56, v0
	buffer_load_dword v0, off, s[60:63], 0 offset:20 ; 4-byte Folded Reload
	v_bfe_u32 v22, v21, 16, 1
	v_add3_u32 v22, v22, v21, s55
	v_or_b32_e32 v29, 0x400000, v21
	v_cmp_u_f32_e64 s[4:5], v21, v21
	v_cndmask_b32_e64 v45, v22, v29, s[4:5]
	s_waitcnt vmcnt(0)
	v_mul_f32_e32 v21, s56, v0
	buffer_load_dword v0, off, s[60:63], 0 offset:16 ; 4-byte Folded Reload
	v_bfe_u32 v22, v21, 16, 1
	v_add3_u32 v22, v22, v21, s55
	v_or_b32_e32 v29, 0x400000, v21
	v_cmp_u_f32_e64 s[4:5], v21, v21
	v_cndmask_b32_e64 v42, v22, v29, s[4:5]
	;; [unrolled: 8-line block ×5, first 2 shown]
	s_waitcnt vmcnt(0)
	v_mul_f32_e32 v0, s56, v0
	v_bfe_u32 v21, v0, 16, 1
	v_add3_u32 v21, v21, v0, s55
	v_or_b32_e32 v22, 0x400000, v0
	v_cmp_u_f32_e64 s[4:5], v0, v0
	v_cndmask_b32_e64 v0, v21, v22, s[4:5]
	v_mul_f32_e32 v21, s56, v2
	buffer_load_dword v2, off, s[60:63], 0 offset:92 ; 4-byte Folded Reload
	v_bfe_u32 v22, v21, 16, 1
	v_add3_u32 v22, v22, v21, s55
	v_or_b32_e32 v29, 0x400000, v21
	v_cmp_u_f32_e64 s[4:5], v21, v21
	v_cndmask_b32_e64 v22, v22, v29, s[4:5]
	v_and_b32_e32 v0, 0xffff0000, v0
	s_waitcnt vmcnt(0)
	v_mul_f32_e32 v21, s56, v2
	buffer_load_dword v2, off, s[60:63], 0 offset:88 ; 4-byte Folded Reload
	v_bfe_u32 v29, v21, 16, 1
	v_add3_u32 v29, v29, v21, s55
	v_or_b32_e32 v30, 0x400000, v21
	v_cmp_u_f32_e64 s[4:5], v21, v21
	v_cndmask_b32_e64 v21, v29, v30, s[4:5]
	s_waitcnt vmcnt(0)
	v_mul_f32_e32 v29, s56, v2
	buffer_load_dword v2, off, s[60:63], 0 offset:84 ; 4-byte Folded Reload
	v_bfe_u32 v30, v29, 16, 1
	v_add3_u32 v30, v30, v29, s55
	v_or_b32_e32 v31, 0x400000, v29
	v_cmp_u_f32_e64 s[4:5], v29, v29
	v_cndmask_b32_e64 v39, v30, v31, s[4:5]
	s_waitcnt vmcnt(0)
	v_mul_f32_e32 v29, s56, v2
	buffer_load_dword v2, off, s[60:63], 0 offset:80 ; 4-byte Folded Reload
	v_bfe_u32 v30, v29, 16, 1
	v_add3_u32 v30, v30, v29, s55
	v_or_b32_e32 v31, 0x400000, v29
	v_cmp_u_f32_e64 s[4:5], v29, v29
	v_cndmask_b32_e64 v34, v30, v31, s[4:5]
	s_waitcnt vmcnt(0)
	v_mul_f32_e32 v29, s56, v2
	buffer_load_dword v2, off, s[60:63], 0 offset:76 ; 4-byte Folded Reload
	v_bfe_u32 v30, v29, 16, 1
	v_add3_u32 v30, v30, v29, s55
	v_or_b32_e32 v31, 0x400000, v29
	v_cmp_u_f32_e64 s[4:5], v29, v29
	v_cndmask_b32_e64 v33, v30, v31, s[4:5]
	s_waitcnt vmcnt(0)
	v_mul_f32_e32 v29, s56, v2
	buffer_load_dword v2, off, s[60:63], 0 offset:72 ; 4-byte Folded Reload
	v_bfe_u32 v30, v29, 16, 1
	v_add3_u32 v30, v30, v29, s55
	v_or_b32_e32 v31, 0x400000, v29
	v_cmp_u_f32_e64 s[4:5], v29, v29
	v_cndmask_b32_e64 v31, v30, v31, s[4:5]
	s_waitcnt vmcnt(0)
	v_mul_f32_e32 v29, s56, v2
	buffer_load_dword v2, off, s[60:63], 0 offset:68 ; 4-byte Folded Reload
	v_bfe_u32 v30, v29, 16, 1
	v_add3_u32 v30, v30, v29, s55
	v_or_b32_e32 v32, 0x400000, v29
	v_cmp_u_f32_e64 s[4:5], v29, v29
	v_cndmask_b32_e64 v32, v30, v32, s[4:5]
	s_waitcnt vmcnt(0)
	v_mul_f32_e32 v29, s56, v2
	buffer_load_dword v2, off, s[60:63], 0 offset:60 ; 4-byte Folded Reload
	v_bfe_u32 v30, v29, 16, 1
	v_add3_u32 v30, v30, v29, s55
	v_or_b32_e32 v35, 0x400000, v29
	v_cmp_u_f32_e64 s[4:5], v29, v29
	v_cndmask_b32_e64 v63, v30, v35, s[4:5]
	s_waitcnt vmcnt(0)
	v_mul_f32_e32 v29, s56, v2
	buffer_load_dword v2, off, s[60:63], 0 offset:56 ; 4-byte Folded Reload
	v_bfe_u32 v30, v29, 16, 1
	v_add3_u32 v30, v30, v29, s55
	v_or_b32_e32 v35, 0x400000, v29
	v_cmp_u_f32_e64 s[4:5], v29, v29
	v_cndmask_b32_e64 v62, v30, v35, s[4:5]
	s_waitcnt vmcnt(0)
	v_mul_f32_e32 v29, s56, v2
	buffer_load_dword v2, off, s[60:63], 0 offset:100 ; 4-byte Folded Reload
	v_bfe_u32 v30, v29, 16, 1
	v_add3_u32 v30, v30, v29, s55
	v_or_b32_e32 v35, 0x400000, v29
	v_cmp_u_f32_e64 s[4:5], v29, v29
	v_mul_f32_e32 v29, s56, v8
	v_cndmask_b32_e64 v61, v30, v35, s[4:5]
	v_bfe_u32 v30, v29, 16, 1
	v_add3_u32 v30, v30, v29, s55
	v_or_b32_e32 v35, 0x400000, v29
	v_cmp_u_f32_e64 s[4:5], v29, v29
	v_cndmask_b32_e64 v29, v30, v35, s[4:5]
	v_and_b32_e32 v29, 0xffff0000, v29
	v_fmac_f32_e32 v56, v59, v29
	v_and_b32_e32 v29, 0xffff0000, v61
	v_fmac_f32_e32 v3, v9, v29
	v_and_b32_e32 v29, 0xffff0000, v32
	v_and_b32_e32 v9, 0xffff0000, v31
	v_fmac_f32_e32 v56, v12, v29
	v_fmac_f32_e32 v3, v25, v9
	v_and_b32_e32 v9, 0xffff0000, v39
	v_and_b32_e32 v25, 0xffff0000, v34
	v_fmac_f32_e32 v56, v18, v9
	v_and_b32_e32 v9, 0xffff0000, v21
	v_fmac_f32_e32 v3, v17, v9
	;; [unrolled: 2-line block ×3, first 2 shown]
	v_and_b32_e32 v29, 0xffff0000, v33
	v_and_b32_e32 v18, 0xffff0000, v22
	;; [unrolled: 1-line block ×3, first 2 shown]
	s_waitcnt vmcnt(0)
	v_mul_f32_e32 v30, s56, v2
	v_bfe_u32 v35, v30, 16, 1
	v_add3_u32 v35, v35, v30, s55
	v_or_b32_e32 v41, 0x400000, v30
	v_cmp_u_f32_e64 s[4:5], v30, v30
	v_cndmask_b32_e64 v30, v35, v41, s[4:5]
	v_and_b32_e32 v30, 0xffff0000, v30
	v_fmac_f32_e32 v57, v1, v30
	buffer_load_dword v1, off, s[60:63], 0 offset:128 ; 4-byte Folded Reload
	v_mul_f32_e32 v35, s56, v27
	v_bfe_u32 v41, v35, 16, 1
	v_add3_u32 v41, v41, v35, s55
	v_or_b32_e32 v27, 0x400000, v35
	v_cmp_u_f32_e64 s[4:5], v35, v35
	v_cndmask_b32_e64 v41, v41, v27, s[4:5]
	v_and_b32_e32 v41, 0xffff0000, v41
	v_fmac_f32_e32 v4, v60, v41
	v_and_b32_e32 v30, 0xffff0000, v62
	v_fmac_f32_e32 v4, v10, v30
	;; [unrolled: 2-line block ×3, first 2 shown]
	v_fmac_f32_e32 v57, v20, v25
	v_fmac_f32_e32 v57, v16, v0
	v_and_b32_e32 v0, 0xffff0000, v37
	v_fmac_f32_e32 v3, v13, v0
	v_and_b32_e32 v0, 0xffff0000, v45
	v_fmac_f32_e32 v4, v26, v29
	v_fmac_f32_e32 v4, v19, v18
	;; [unrolled: 1-line block ×3, first 2 shown]
	v_and_b32_e32 v9, 0xffff0000, v42
	v_mul_f32_e32 v27, s56, v28
	v_bfe_u32 v28, v27, 16, 1
	v_add3_u32 v28, v28, v27, s55
	v_or_b32_e32 v35, 0x400000, v27
	v_cmp_u_f32_e64 s[4:5], v27, v27
	v_cndmask_b32_e64 v28, v28, v35, s[4:5]
	v_mul_f32_e32 v27, s56, v51
	v_bfe_u32 v35, v27, 16, 1
	v_add3_u32 v35, v35, v27, s55
	v_or_b32_e32 v51, 0x400000, v27
	v_cmp_u_f32_e64 s[4:5], v27, v27
	v_cndmask_b32_e64 v35, v35, v51, s[4:5]
	v_and_b32_e32 v27, 64, v40
	v_add_u32_e32 v27, 64, v27
	v_xor_b32_e32 v51, 1, v40
	v_and_b32_e32 v2, 0xffff0000, v35
	v_cmp_lt_i32_e64 s[4:5], v51, v27
	v_cndmask_b32_e64 v27, v40, v51, s[4:5]
	v_lshlrev_b32_e32 v27, 2, v27
	s_waitcnt vmcnt(0)
	v_fmac_f32_e32 v56, v1, v0
	buffer_load_dword v0, off, s[60:63], 0 offset:136 ; 4-byte Folded Reload
	buffer_load_dword v1, off, s[60:63], 0 offset:124 ; 4-byte Folded Reload
	s_waitcnt vmcnt(1)
	v_fmac_f32_e32 v57, v0, v9
	v_and_b32_e32 v0, 0xffff0000, v46
	s_waitcnt vmcnt(0)
	v_fmac_f32_e32 v3, v1, v0
	buffer_load_dword v0, off, s[60:63], 0 offset:132 ; 4-byte Folded Reload
	buffer_load_dword v1, off, s[60:63], 0 offset:116 ; 4-byte Folded Reload
	v_and_b32_e32 v9, 0xffff0000, v47
	s_waitcnt vmcnt(1)
	v_fmac_f32_e32 v4, v0, v9
	v_and_b32_e32 v0, 0xffff0000, v49
	s_waitcnt vmcnt(0)
	v_fmac_f32_e32 v56, v1, v0
	buffer_load_dword v0, off, s[60:63], 0 offset:120 ; 4-byte Folded Reload
	buffer_load_dword v1, off, s[60:63], 0 offset:108 ; 4-byte Folded Reload
	s_waitcnt vmcnt(1)
	v_fmac_f32_e32 v57, v0, v5
	v_and_b32_e32 v0, 0xffff0000, v53
	s_waitcnt vmcnt(0)
	v_fmac_f32_e32 v3, v1, v0
	buffer_load_dword v0, off, s[60:63], 0 offset:112 ; 4-byte Folded Reload
	buffer_load_dword v1, off, s[60:63], 0 offset:104 ; 4-byte Folded Reload
	v_and_b32_e32 v5, 0xffff0000, v55
	s_waitcnt vmcnt(1)
	v_fmac_f32_e32 v4, v0, v5
	v_and_b32_e32 v0, 0xffff0000, v28
	s_waitcnt vmcnt(0)
	v_fmac_f32_e32 v56, v1, v0
	buffer_load_dword v0, off, s[60:63], 0 offset:36 ; 4-byte Folded Reload
	s_waitcnt vmcnt(0)
	v_fmac_f32_e32 v57, v0, v2
	v_add_f32_e32 v0, v3, v4
	v_add_f32_e32 v0, v0, v56
	;; [unrolled: 1-line block ×3, first 2 shown]
	ds_bpermute_b32 v1, v27, v0
	s_and_saveexec_b64 s[40:41], vcc
	s_cbranch_execz .LBB312_11
; %bb.259:                              ;   in Loop: Header=BB312_13 Depth=1
	buffer_load_dword v2, off, s[60:63], 0 offset:168 ; 4-byte Folded Reload
	buffer_load_dword v3, off, s[60:63], 0 offset:164 ; 4-byte Folded Reload
	s_waitcnt lgkmcnt(0)
	v_add_f32_e32 v0, v0, v1
	s_waitcnt vmcnt(1)
	v_add_u32_e32 v2, v2, v38
	v_cvt_f32_i32_e32 v2, v2
	v_mul_f32_e32 v1, s48, v2
	buffer_load_dword v2, off, s[60:63], 0 offset:144 ; 4-byte Folded Reload
	s_waitcnt vmcnt(1)
	v_add_u32_e32 v3, v3, v38
	v_cndmask_b32_e64 v1, 0, v1, s[2:3]
	v_fmac_f32_e32 v1, s37, v0
	v_cmp_gt_i32_e64 s[4:5], s33, v3
	v_cndmask_b32_e64 v0, 0, v1, s[4:5]
	ds_write_b32 v52, v0
	s_waitcnt vmcnt(0)
	v_max_f32_e32 v0, v2, v2
	v_max_f32_e32 v0, v0, v1
	v_cndmask_b32_e64 v2, v2, v0, s[4:5]
	buffer_store_dword v2, off, s[60:63], 0 offset:144 ; 4-byte Folded Spill
	s_branch .LBB312_11
.LBB312_260:
	s_or_b64 exec, exec, s[38:39]
	buffer_load_dword v12, off, s[60:63], 0 offset:176 ; 4-byte Folded Reload
	buffer_load_dword v13, off, s[60:63], 0 offset:180 ; 4-byte Folded Reload
	;; [unrolled: 1-line block ×3, first 2 shown]
	v_mbcnt_lo_u32_b32 v5, -1, 0
.LBB312_261:
	s_or_b64 exec, exec, s[18:19]
	v_mbcnt_hi_u32_b32 v0, -1, v5
	v_and_b32_e32 v7, 64, v0
	v_add_u32_e32 v8, 64, v7
	s_waitcnt lgkmcnt(0)
	v_xor_b32_e32 v1, 32, v0
	v_cmp_lt_i32_e32 vcc, v1, v8
	v_cndmask_b32_e32 v1, v0, v1, vcc
	v_lshlrev_b32_e32 v1, 2, v1
	s_waitcnt vmcnt(0)
	ds_bpermute_b32 v2, v1, v3
	v_xor_b32_e32 v4, 16, v0
	v_max_f32_e32 v3, v3, v3
	v_cmp_lt_i32_e32 vcc, v4, v8
	v_xor_b32_e32 v5, 8, v0
	s_waitcnt lgkmcnt(0)
	v_max_f32_e32 v2, v2, v2
	v_max_f32_e32 v3, v3, v2
	v_cndmask_b32_e32 v2, v0, v4, vcc
	v_lshlrev_b32_e32 v2, 2, v2
	ds_bpermute_b32 v4, v2, v3
	v_cmp_lt_i32_e32 vcc, v5, v8
	v_xor_b32_e32 v6, 4, v0
	v_xor_b32_e32 v9, 2, v0
	s_waitcnt lgkmcnt(0)
	v_max_f32_e32 v4, v4, v4
	v_max_f32_e32 v4, v3, v4
	v_cndmask_b32_e32 v3, v0, v5, vcc
	v_lshlrev_b32_e32 v3, 2, v3
	ds_bpermute_b32 v5, v3, v4
	v_cmp_lt_i32_e32 vcc, v6, v8
	s_waitcnt lgkmcnt(0)
	v_max_f32_e32 v5, v5, v5
	v_max_f32_e32 v5, v4, v5
	v_cndmask_b32_e32 v4, v0, v6, vcc
	v_lshlrev_b32_e32 v4, 2, v4
	ds_bpermute_b32 v6, v4, v5
	v_cmp_lt_i32_e32 vcc, v9, v8
	s_waitcnt lgkmcnt(0)
	v_max_f32_e32 v6, v6, v6
	v_max_f32_e32 v6, v5, v6
	v_cndmask_b32_e32 v5, v0, v9, vcc
	v_lshlrev_b32_e32 v15, 2, v5
	buffer_load_dword v5, off, s[60:63], 0 offset:140 ; 4-byte Folded Reload
	ds_bpermute_b32 v9, v15, v6
	s_waitcnt vmcnt(0)
	v_and_b32_e32 v14, 63, v5
	buffer_load_dword v5, off, s[60:63], 0  ; 4-byte Folded Reload
	v_cmp_eq_u32_e32 vcc, 0, v14
	s_waitcnt vmcnt(0)
	v_lshlrev_b32_e32 v5, 2, v5
	s_and_saveexec_b64 s[2:3], vcc
	s_cbranch_execz .LBB312_263
; %bb.262:
	s_waitcnt lgkmcnt(0)
	v_max_f32_e32 v9, v9, v9
	v_max_f32_e32 v6, v6, v6
	;; [unrolled: 1-line block ×3, first 2 shown]
	ds_write_b32 v5, v6 offset:160
.LBB312_263:
	s_or_b64 exec, exec, s[2:3]
	v_cmp_gt_u32_e64 s[2:3], 2, v14
	s_waitcnt lgkmcnt(0)
	v_mov_b32_e32 v9, 0xff7fffff
	v_lshlrev_b32_e32 v6, 2, v14
	s_barrier
	s_and_saveexec_b64 s[4:5], s[2:3]
; %bb.264:
	ds_read_b32 v9, v6 offset:160
; %bb.265:
	s_or_b64 exec, exec, s[4:5]
	v_xor_b32_e32 v10, 1, v0
	v_cmp_lt_i32_e64 s[4:5], v10, v8
	v_cndmask_b32_e64 v8, v0, v10, s[4:5]
	v_lshlrev_b32_e32 v16, 2, v8
	s_waitcnt lgkmcnt(0)
	ds_bpermute_b32 v8, v16, v9
	v_max_f32_e32 v9, v9, v9
	v_lshlrev_b32_e32 v7, 2, v7
	s_lshl_b32 s4, s47, 5
	s_min_i32 s37, s4, s33
	s_waitcnt lgkmcnt(0)
	v_max_f32_e32 v8, v8, v8
	v_max_f32_e32 v8, v9, v8
	ds_bpermute_b32 v8, v7, v8
	buffer_load_dword v7, off, s[60:63], 0 offset:140 ; 4-byte Folded Reload
	s_waitcnt vmcnt(0)
	v_cmp_gt_i32_e64 s[4:5], s37, v7
	v_mov_b32_e32 v7, 0
	s_and_saveexec_b64 s[12:13], s[4:5]
	s_cbranch_execz .LBB312_269
; %bb.266:
	buffer_load_dword v10, off, s[60:63], 0 offset:140 ; 4-byte Folded Reload
	v_mov_b32_e32 v7, 0xb0
	s_mov_b64 s[18:19], 0
	s_waitcnt vmcnt(0)
	v_lshl_add_u32 v9, v10, 2, v7
	v_mov_b32_e32 v7, 0
.LBB312_267:                            ; =>This Inner Loop Header: Depth=1
	ds_read_b32 v11, v9
	v_add_u32_e32 v10, 0x80, v10
	v_cmp_le_i32_e64 s[6:7], s37, v10
	s_or_b64 s[18:19], s[6:7], s[18:19]
	s_waitcnt lgkmcnt(0)
	v_sub_f32_e32 v11, v11, v8
	v_mul_f32_e32 v11, 0x3fb8aa3b, v11
	v_exp_f32_e32 v11, v11
	ds_write_b32 v9, v11
	v_add_f32_e32 v7, v7, v11
	v_add_u32_e32 v9, 0x200, v9
	s_andn2_b64 exec, exec, s[18:19]
	s_cbranch_execnz .LBB312_267
; %bb.268:
	s_or_b64 exec, exec, s[18:19]
.LBB312_269:
	s_or_b64 exec, exec, s[12:13]
	ds_bpermute_b32 v1, v1, v7
	s_waitcnt lgkmcnt(0)
	v_add_f32_e32 v1, v7, v1
	ds_bpermute_b32 v2, v2, v1
	s_waitcnt lgkmcnt(0)
	v_add_f32_e32 v1, v1, v2
	;; [unrolled: 3-line block ×6, first 2 shown]
	s_and_saveexec_b64 s[6:7], vcc
; %bb.270:
	ds_write_b32 v5, v1 offset:168
; %bb.271:
	s_or_b64 exec, exec, s[6:7]
	s_waitcnt lgkmcnt(0)
	s_barrier
	s_and_saveexec_b64 s[6:7], s[2:3]
; %bb.272:
	ds_read_b32 v1, v6 offset:168
; %bb.273:
	s_or_b64 exec, exec, s[6:7]
	s_waitcnt lgkmcnt(0)
	ds_bpermute_b32 v2, v16, v1
	v_lshlrev_b32_e32 v0, 2, v0
	v_and_b32_e32 v0, 0x100, v0
	s_waitcnt lgkmcnt(0)
	v_add_f32_e32 v1, v1, v2
	ds_bpermute_b32 v0, v0, v1
	s_and_saveexec_b64 s[2:3], s[4:5]
	s_cbranch_execz .LBB312_276
; %bb.274:
	s_waitcnt lgkmcnt(0)
	v_add_f32_e32 v1, 0x358637bd, v0
	v_div_scale_f32 v0, s[4:5], v1, v1, 1.0
	v_div_scale_f32 v2, vcc, 1.0, v1, 1.0
	s_mov_b64 s[4:5], 0
	v_rcp_f32_e32 v3, v0
	v_fma_f32 v4, -v0, v3, 1.0
	v_fmac_f32_e32 v3, v4, v3
	v_mul_f32_e32 v4, v2, v3
	v_fma_f32 v5, -v0, v4, v2
	v_fmac_f32_e32 v4, v5, v3
	v_fma_f32 v0, -v0, v4, v2
	v_div_fmas_f32 v2, v0, v3, v4
	buffer_load_dword v3, off, s[60:63], 0 offset:140 ; 4-byte Folded Reload
	v_mov_b32_e32 v0, 0xb0
	v_div_fixup_f32 v1, v2, v1, 1.0
	s_waitcnt vmcnt(0)
	v_lshl_add_u32 v0, v3, 2, v0
	v_mov_b32_e32 v2, v3
.LBB312_275:                            ; =>This Inner Loop Header: Depth=1
	ds_read_b32 v3, v0
	v_add_u32_e32 v2, 0x80, v2
	v_cmp_le_i32_e32 vcc, s37, v2
	s_or_b64 s[4:5], vcc, s[4:5]
	s_waitcnt lgkmcnt(0)
	v_mul_f32_e32 v3, v1, v3
	ds_write_b32 v0, v3
	v_add_u32_e32 v0, 0x200, v0
	s_andn2_b64 exec, exec, s[4:5]
	s_cbranch_execnz .LBB312_275
.LBB312_276:
	s_or_b64 exec, exec, s[2:3]
	s_waitcnt lgkmcnt(0)
	s_barrier
	buffer_load_dword v0, off, s[60:63], 0 offset:140 ; 4-byte Folded Reload
	v_mov_b32_e32 v42, 0
	v_mov_b32_e32 v51, 0
	;; [unrolled: 1-line block ×5, first 2 shown]
	s_waitcnt vmcnt(0)
	v_and_b32_e32 v11, 3, v0
	s_and_saveexec_b64 s[2:3], s[0:1]
	s_cbranch_execz .LBB312_532
; %bb.277:
	s_sub_i32 s37, s16, s21
	s_ashr_i32 s0, s20, 31
	s_add_u32 s1, s34, s20
	buffer_store_dword v16, off, s[60:63], 0 offset:76 ; 4-byte Folded Spill
	buffer_store_dword v15, off, s[60:63], 0 offset:72 ; 4-byte Folded Spill
	;; [unrolled: 1-line block ×3, first 2 shown]
	s_addc_u32 s0, s35, s0
	s_abs_i32 s22, s22
	v_and_b32_e32 v1, 0x1f8, v12
	s_sub_i32 s6, 0, s22
	s_add_i32 s35, s47, -1
	v_mov_b32_e32 v4, s0
	v_add_co_u32_e32 v35, vcc, s1, v1
	s_lshl_b64 s[0:1], s[30:31], 2
	buffer_load_dword v1, off, s[60:63], 0  ; 4-byte Folded Reload
	v_and_b32_e32 v3, 60, v13
	v_addc_co_u32_e32 v36, vcc, 0, v4, vcc
	s_add_u32 s0, s28, s0
	v_add_co_u32_e32 v13, vcc, s0, v3
	buffer_load_dword v3, off, s[60:63], 0 offset:172 ; 4-byte Folded Reload
	v_cvt_f32_u32_e32 v0, s22
	s_addc_u32 s1, s29, s1
	s_mov_b32 s4, -1
	v_and_b32_e32 v41, 24, v12
	v_rcp_iflag_f32_e32 v0, v0
	s_mov_b32 s34, s17
	s_mov_b32 s5, 0xffffff
	v_mov_b32_e32 v10, 0
	v_mul_f32_e32 v0, 0x4f7ffffe, v0
	v_cvt_u32_f32_e32 v0, v0
	s_movk_i32 s28, 0x80
	s_movk_i32 s29, 0x7f
	;; [unrolled: 1-line block ×3, first 2 shown]
	v_mul_lo_u32 v2, s6, v0
	s_mov_b64 s[6:7], 0
	v_bfrev_b32_e32 v53, 60
	v_mov_b32_e32 v37, 0
	v_mul_hi_u32 v2, v0, v2
	v_mov_b32_e32 v39, 0
	v_mov_b32_e32 v40, 0
	v_mov_b32_e32 v51, 0
	v_add_u32_e32 v52, v0, v2
	v_mov_b32_e32 v0, s1
	v_addc_co_u32_e32 v14, vcc, 0, v0, vcc
	v_lshlrev_b32_e32 v0, 5, v11
	v_mov_b32_e32 v42, 0
	buffer_store_dword v11, off, s[60:63], 0 offset:80 ; 4-byte Folded Spill
	buffer_store_dword v35, off, s[60:63], 0 offset:60 ; 4-byte Folded Spill
	s_nop 0
	buffer_store_dword v36, off, s[60:63], 0 offset:64 ; 4-byte Folded Spill
	s_waitcnt vmcnt(4)
	v_lshl_or_b32 v0, v1, 7, v0
	v_add_u32_e32 v32, 0xb0, v0
	s_branch .LBB312_280
.LBB312_278:                            ;   in Loop: Header=BB312_280 Depth=1
	s_or_b64 exec, exec, s[0:1]
	v_bfe_u32 v29, v5, 16, 1
	v_add3_u32 v29, v29, v5, s30
	v_or_b32_e32 v30, 0x400000, v5
	v_cmp_u_f32_e32 vcc, v5, v5
	v_cndmask_b32_e32 v5, v29, v30, vcc
	v_bfe_u32 v29, v6, 16, 1
	v_add3_u32 v29, v29, v6, s30
	v_or_b32_e32 v30, 0x400000, v6
	v_cmp_u_f32_e32 vcc, v6, v6
	v_cndmask_b32_e32 v6, v29, v30, vcc
	;; [unrolled: 5-line block ×4, first 2 shown]
	v_bfe_u32 v29, v1, 16, 1
	v_add3_u32 v29, v29, v1, s30
	v_or_b32_e32 v30, 0x400000, v1
	v_cmp_u_f32_e32 vcc, v1, v1
	v_bfe_u32 v1, v2, 16, 1
	v_cndmask_b32_e32 v29, v29, v30, vcc
	v_add3_u32 v1, v1, v2, s30
	v_or_b32_e32 v30, 0x400000, v2
	v_cmp_u_f32_e32 vcc, v2, v2
	v_cndmask_b32_e32 v30, v1, v30, vcc
	v_bfe_u32 v1, v3, 16, 1
	v_add3_u32 v1, v1, v3, s30
	v_or_b32_e32 v2, 0x400000, v3
	v_cmp_u_f32_e32 vcc, v3, v3
	v_cndmask_b32_e32 v33, v1, v2, vcc
	v_bfe_u32 v1, v4, 16, 1
	v_add3_u32 v1, v1, v4, s30
	v_or_b32_e32 v2, 0x400000, v4
	v_cmp_u_f32_e32 vcc, v4, v4
	v_cndmask_b32_e32 v34, v1, v2, vcc
	v_and_b32_e32 v1, 0xffff0000, v6
	v_lshlrev_b32_e32 v2, 16, v31
	v_mul_f32_e32 v2, v1, v2
	v_bfe_u32 v3, v2, 16, 1
	v_add3_u32 v3, v3, v2, s30
	v_or_b32_e32 v4, 0x400000, v2
	v_cmp_u_f32_e32 vcc, v2, v2
	v_cndmask_b32_e32 v31, v3, v4, vcc
	v_and_b32_e32 v4, 0xffff0000, v5
	v_lshlrev_b32_e32 v2, 16, v12
	v_mul_f32_e32 v2, v4, v2
	;; [unrolled: 8-line block ×7, first 2 shown]
	v_bfe_u32 v27, v8, 16, 1
	v_add3_u32 v27, v27, v8, s30
	v_or_b32_e32 v29, 0x400000, v8
	v_cmp_u_f32_e32 vcc, v8, v8
	v_and_b32_e32 v8, 0xffff0000, v33
	v_lshlrev_b32_e32 v0, 16, v0
	v_mul_f32_e32 v0, v8, v0
	v_cndmask_b32_e32 v27, v27, v29, vcc
	v_bfe_u32 v29, v0, 16, 1
	v_add3_u32 v29, v29, v0, s30
	v_or_b32_e32 v30, 0x400000, v0
	v_cmp_u_f32_e32 vcc, v0, v0
	v_cndmask_b32_e32 v0, v29, v30, vcc
	v_and_b32_e32 v12, 0xffff0000, v12
	v_and_b32_e32 v29, 0xffff0000, v31
	;; [unrolled: 1-line block ×4, first 2 shown]
	v_add_f32_e32 v12, v12, v29
	v_add_f32_e32 v11, v22, v11
	v_add_f32_e32 v11, v11, v12
	v_and_b32_e32 v12, 0xffff0000, v18
	v_and_b32_e32 v18, 0xffff0000, v19
	v_add_f32_e32 v12, v12, v18
	v_add_f32_e32 v11, v12, v11
	v_and_b32_e32 v0, 0xffff0000, v0
	v_and_b32_e32 v12, 0xffff0000, v27
	v_add_f32_e32 v0, v0, v12
	v_add_f32_e32 v0, v0, v11
	;; [unrolled: 1-line block ×3, first 2 shown]
	v_lshlrev_b32_e32 v0, 16, v20
	v_mul_f32_e32 v0, v1, v0
	v_bfe_u32 v11, v0, 16, 1
	v_add3_u32 v11, v11, v0, s30
	v_or_b32_e32 v12, 0x400000, v0
	v_cmp_u_f32_e32 vcc, v0, v0
	v_cndmask_b32_e32 v0, v11, v12, vcc
	v_lshlrev_b32_e32 v11, 16, v21
	v_mul_f32_e32 v11, v4, v11
	v_bfe_u32 v12, v11, 16, 1
	v_add3_u32 v12, v12, v11, s30
	v_or_b32_e32 v18, 0x400000, v11
	v_cmp_u_f32_e32 vcc, v11, v11
	v_cndmask_b32_e32 v11, v12, v18, vcc
	;; [unrolled: 7-line block ×7, first 2 shown]
	v_lshlrev_b32_e32 v22, 16, v61
	v_and_b32_e32 v11, 0xffff0000, v11
	v_and_b32_e32 v0, 0xffff0000, v0
	v_mul_f32_e32 v22, v8, v22
	v_add_f32_e32 v0, v11, v0
	v_and_b32_e32 v11, 0xffff0000, v18
	v_and_b32_e32 v12, 0xffff0000, v12
	v_bfe_u32 v23, v22, 16, 1
	v_add_f32_e32 v11, v11, v12
	v_add3_u32 v23, v23, v22, s30
	v_or_b32_e32 v27, 0x400000, v22
	v_cmp_u_f32_e32 vcc, v22, v22
	v_add_f32_e32 v0, v11, v0
	v_and_b32_e32 v11, 0xffff0000, v20
	v_and_b32_e32 v12, 0xffff0000, v19
	v_cndmask_b32_e32 v22, v23, v27, vcc
	v_add_f32_e32 v11, v11, v12
	v_add_f32_e32 v0, v11, v0
	v_and_b32_e32 v11, 0xffff0000, v22
	v_and_b32_e32 v12, 0xffff0000, v21
	v_add_f32_e32 v11, v11, v12
	v_add_f32_e32 v0, v11, v0
	;; [unrolled: 1-line block ×3, first 2 shown]
	v_lshlrev_b32_e32 v0, 16, v57
	v_mul_f32_e32 v0, v1, v0
	v_bfe_u32 v11, v0, 16, 1
	v_add3_u32 v11, v11, v0, s30
	v_or_b32_e32 v12, 0x400000, v0
	v_cmp_u_f32_e32 vcc, v0, v0
	v_cndmask_b32_e32 v0, v11, v12, vcc
	v_lshlrev_b32_e32 v11, 16, v58
	v_mul_f32_e32 v11, v4, v11
	v_bfe_u32 v12, v11, 16, 1
	v_add3_u32 v12, v12, v11, s30
	v_or_b32_e32 v18, 0x400000, v11
	v_cmp_u_f32_e32 vcc, v11, v11
	v_cndmask_b32_e32 v11, v12, v18, vcc
	;; [unrolled: 7-line block ×4, first 2 shown]
	buffer_load_dword v19, off, s[60:63], 0 offset:36 ; 4-byte Folded Reload
	v_and_b32_e32 v11, 0xffff0000, v11
	v_and_b32_e32 v0, 0xffff0000, v0
	v_add_f32_e32 v0, v11, v0
	v_and_b32_e32 v11, 0xffff0000, v18
	v_and_b32_e32 v12, 0xffff0000, v12
	v_add_f32_e32 v11, v11, v12
	v_add_f32_e32 v0, v11, v0
	s_waitcnt vmcnt(0)
	v_lshlrev_b32_e32 v19, 16, v19
	v_mul_f32_e32 v19, v3, v19
	v_bfe_u32 v20, v19, 16, 1
	v_add3_u32 v20, v20, v19, s30
	v_or_b32_e32 v21, 0x400000, v19
	v_cmp_u_f32_e32 vcc, v19, v19
	v_cndmask_b32_e32 v19, v20, v21, vcc
	buffer_load_dword v20, off, s[60:63], 0 offset:52 ; 4-byte Folded Reload
	v_and_b32_e32 v12, 0xffff0000, v19
	s_waitcnt vmcnt(0)
	v_lshlrev_b32_e32 v20, 16, v20
	v_mul_f32_e32 v20, v7, v20
	v_bfe_u32 v21, v20, 16, 1
	v_add3_u32 v21, v21, v20, s30
	v_or_b32_e32 v22, 0x400000, v20
	v_cmp_u_f32_e32 vcc, v20, v20
	v_cndmask_b32_e32 v20, v21, v22, vcc
	v_lshlrev_b32_e32 v21, 16, v56
	v_mul_f32_e32 v21, v5, v21
	v_bfe_u32 v22, v21, 16, 1
	v_add3_u32 v22, v22, v21, s30
	v_or_b32_e32 v23, 0x400000, v21
	v_cmp_u_f32_e32 vcc, v21, v21
	v_cndmask_b32_e32 v21, v22, v23, vcc
	buffer_load_dword v22, off, s[60:63], 0 offset:56 ; 4-byte Folded Reload
	v_and_b32_e32 v11, 0xffff0000, v20
	v_add_f32_e32 v11, v11, v12
	v_add_f32_e32 v0, v11, v0
	v_and_b32_e32 v12, 0xffff0000, v21
	s_waitcnt vmcnt(0)
	v_lshlrev_b32_e32 v22, 16, v22
	v_mul_f32_e32 v22, v8, v22
	v_bfe_u32 v23, v22, 16, 1
	v_add3_u32 v23, v23, v22, s30
	v_or_b32_e32 v27, 0x400000, v22
	v_cmp_u_f32_e32 vcc, v22, v22
	v_cndmask_b32_e32 v22, v23, v27, vcc
	v_and_b32_e32 v11, 0xffff0000, v22
	v_add_f32_e32 v11, v11, v12
	v_add_f32_e32 v0, v11, v0
	;; [unrolled: 1-line block ×3, first 2 shown]
	buffer_load_dword v0, off, s[60:63], 0 offset:28 ; 4-byte Folded Reload
	s_waitcnt vmcnt(0)
	v_lshlrev_b32_e32 v0, 16, v0
	v_mul_f32_e32 v0, v1, v0
	v_bfe_u32 v11, v0, 16, 1
	v_add3_u32 v11, v11, v0, s30
	v_or_b32_e32 v12, 0x400000, v0
	v_cmp_u_f32_e32 vcc, v0, v0
	v_cndmask_b32_e32 v0, v11, v12, vcc
	buffer_load_dword v11, off, s[60:63], 0 offset:32 ; 4-byte Folded Reload
	v_and_b32_e32 v0, 0xffff0000, v0
	s_waitcnt vmcnt(0)
	v_lshlrev_b32_e32 v11, 16, v11
	v_mul_f32_e32 v11, v4, v11
	v_bfe_u32 v12, v11, 16, 1
	v_add3_u32 v12, v12, v11, s30
	v_or_b32_e32 v18, 0x400000, v11
	v_cmp_u_f32_e32 vcc, v11, v11
	v_cndmask_b32_e32 v11, v12, v18, vcc
	buffer_load_dword v12, off, s[60:63], 0 offset:16 ; 4-byte Folded Reload
	v_and_b32_e32 v11, 0xffff0000, v11
	v_add_f32_e32 v0, v11, v0
	s_waitcnt vmcnt(0)
	v_lshlrev_b32_e32 v12, 16, v12
	v_mul_f32_e32 v12, v2, v12
	v_bfe_u32 v18, v12, 16, 1
	v_add3_u32 v18, v18, v12, s30
	v_or_b32_e32 v19, 0x400000, v12
	v_cmp_u_f32_e32 vcc, v12, v12
	v_cndmask_b32_e32 v12, v18, v19, vcc
	buffer_load_dword v18, off, s[60:63], 0 offset:20 ; 4-byte Folded Reload
	v_and_b32_e32 v12, 0xffff0000, v12
	s_waitcnt vmcnt(0)
	v_lshlrev_b32_e32 v18, 16, v18
	v_mul_f32_e32 v18, v6, v18
	v_bfe_u32 v19, v18, 16, 1
	v_add3_u32 v19, v19, v18, s30
	v_or_b32_e32 v20, 0x400000, v18
	v_cmp_u_f32_e32 vcc, v18, v18
	v_cndmask_b32_e32 v18, v19, v20, vcc
	buffer_load_dword v19, off, s[60:63], 0 offset:4 ; 4-byte Folded Reload
	v_and_b32_e32 v11, 0xffff0000, v18
	v_add_f32_e32 v11, v11, v12
	v_add_f32_e32 v0, v11, v0
	s_waitcnt vmcnt(0)
	v_lshlrev_b32_e32 v19, 16, v19
	v_mul_f32_e32 v19, v3, v19
	v_bfe_u32 v20, v19, 16, 1
	v_add3_u32 v20, v20, v19, s30
	v_or_b32_e32 v21, 0x400000, v19
	v_cmp_u_f32_e32 vcc, v19, v19
	v_cndmask_b32_e32 v19, v20, v21, vcc
	buffer_load_dword v20, off, s[60:63], 0 offset:8 ; 4-byte Folded Reload
	v_and_b32_e32 v12, 0xffff0000, v19
	s_waitcnt vmcnt(0)
	v_lshlrev_b32_e32 v20, 16, v20
	v_mul_f32_e32 v20, v7, v20
	v_bfe_u32 v21, v20, 16, 1
	v_add3_u32 v21, v21, v20, s30
	v_or_b32_e32 v22, 0x400000, v20
	v_cmp_u_f32_e32 vcc, v20, v20
	v_cndmask_b32_e32 v20, v21, v22, vcc
	buffer_load_dword v21, off, s[60:63], 0 offset:24 ; 4-byte Folded Reload
	v_and_b32_e32 v11, 0xffff0000, v20
	v_add_f32_e32 v11, v11, v12
	v_add_f32_e32 v0, v11, v0
	s_waitcnt vmcnt(0)
	v_lshlrev_b32_e32 v21, 16, v21
	v_mul_f32_e32 v21, v5, v21
	v_bfe_u32 v22, v21, 16, 1
	v_add3_u32 v22, v22, v21, s30
	v_or_b32_e32 v23, 0x400000, v21
	v_cmp_u_f32_e32 vcc, v21, v21
	v_cndmask_b32_e32 v21, v22, v23, vcc
	buffer_load_dword v22, off, s[60:63], 0 offset:12 ; 4-byte Folded Reload
	v_and_b32_e32 v12, 0xffff0000, v21
	s_waitcnt vmcnt(0)
	v_lshlrev_b32_e32 v22, 16, v22
	v_mul_f32_e32 v22, v8, v22
	v_bfe_u32 v23, v22, 16, 1
	v_add3_u32 v23, v23, v22, s30
	v_or_b32_e32 v27, 0x400000, v22
	v_cmp_u_f32_e32 vcc, v22, v22
	v_cndmask_b32_e32 v22, v23, v27, vcc
	v_and_b32_e32 v11, 0xffff0000, v22
	v_add_f32_e32 v11, v11, v12
	v_add_f32_e32 v0, v11, v0
	;; [unrolled: 1-line block ×3, first 2 shown]
	v_lshlrev_b32_e32 v0, 16, v28
	v_mul_f32_e32 v0, v4, v0
	v_bfe_u32 v4, v0, 16, 1
	v_add3_u32 v4, v4, v0, s30
	v_or_b32_e32 v11, 0x400000, v0
	v_cmp_u_f32_e32 vcc, v0, v0
	v_cndmask_b32_e32 v0, v4, v11, vcc
	v_lshlrev_b32_e32 v4, 16, v25
	v_mul_f32_e32 v1, v1, v4
	v_bfe_u32 v4, v1, 16, 1
	v_add3_u32 v4, v4, v1, s30
	v_or_b32_e32 v11, 0x400000, v1
	v_cmp_u_f32_e32 vcc, v1, v1
	v_cndmask_b32_e32 v1, v4, v11, vcc
	;; [unrolled: 7-line block ×7, first 2 shown]
	v_lshlrev_b32_e32 v8, 16, v24
	v_and_b32_e32 v1, 0xffff0000, v1
	v_and_b32_e32 v0, 0xffff0000, v0
	v_mul_f32_e32 v5, v5, v8
	v_add_f32_e32 v0, v0, v1
	v_and_b32_e32 v1, 0xffff0000, v2
	v_and_b32_e32 v2, 0xffff0000, v4
	v_bfe_u32 v8, v5, 16, 1
	v_add_f32_e32 v1, v2, v1
	v_add3_u32 v8, v8, v5, s30
	v_or_b32_e32 v9, 0x400000, v5
	v_cmp_u_f32_e32 vcc, v5, v5
	v_add_f32_e32 v0, v1, v0
	v_and_b32_e32 v1, 0xffff0000, v3
	v_and_b32_e32 v2, 0xffff0000, v6
	v_cndmask_b32_e32 v5, v8, v9, vcc
	v_add_f32_e32 v1, v2, v1
	v_add_f32_e32 v0, v1, v0
	v_and_b32_e32 v1, 0xffff0000, v5
	v_and_b32_e32 v2, 0xffff0000, v7
	v_add_f32_e32 v1, v2, v1
	v_add_f32_e32 v0, v1, v0
	v_add_f32_e32 v37, v37, v0
.LBB312_279:                            ;   in Loop: Header=BB312_280 Depth=1
	s_or_b64 exec, exec, s[12:13]
	buffer_load_dword v0, off, s[60:63], 0  ; 4-byte Folded Reload
	v_add_co_u32_e32 v13, vcc, 8, v13
	v_addc_co_u32_e32 v14, vcc, 0, v14, vcc
	v_mov_b32_e32 v3, v38
	v_add_u32_e32 v3, 64, v3
	v_add_u32_e32 v32, 0x100, v32
	s_waitcnt vmcnt(0)
	v_add_u32_e32 v0, 2, v0
	v_cmp_le_i32_e32 vcc, s47, v0
	s_or_b64 s[6:7], vcc, s[6:7]
	buffer_store_dword v0, off, s[60:63], 0 ; 4-byte Folded Spill
	s_andn2_b64 exec, exec, s[6:7]
	s_cbranch_execz .LBB312_531
.LBB312_280:                            ; =>This Inner Loop Header: Depth=1
	s_waitcnt vmcnt(3)
	v_mul_hi_u32 v0, v3, s46
	v_mov_b32_e32 v38, v3
	v_mul_lo_u32 v1, v0, s25
	v_add_u32_e32 v2, 1, v0
	v_sub_u32_e32 v1, v3, v1
	v_cmp_le_u32_e32 vcc, s25, v1
	v_cndmask_b32_e32 v0, v0, v2, vcc
	v_subrev_u32_e32 v2, s25, v1
	v_cndmask_b32_e32 v1, v1, v2, vcc
	v_add_u32_e32 v2, 1, v0
	v_cmp_le_u32_e32 vcc, s25, v1
	v_cndmask_b32_e32 v0, v0, v2, vcc
	v_xor_b32_e32 v0, s23, v0
	v_subrev_u32_e32 v0, s23, v0
	v_add_u32_e32 v1, s36, v0
	v_sub_u32_e32 v2, 0, v1
	v_max_i32_e32 v2, v1, v2
	v_mul_hi_u32 v3, v2, v52
	v_ashrrev_i32_e32 v1, 31, v1
	v_cmp_lt_i32_e64 s[0:1], s37, v0
	v_mul_lo_u32 v3, v3, s22
	v_sub_u32_e32 v2, v2, v3
	v_subrev_u32_e32 v3, s22, v2
	v_cmp_le_u32_e32 vcc, s22, v2
	v_cndmask_b32_e32 v2, v2, v3, vcc
	v_subrev_u32_e32 v3, s22, v2
	v_cmp_le_u32_e32 vcc, s22, v2
	v_cndmask_b32_e32 v2, v2, v3, vcc
	v_xor_b32_e32 v2, v2, v1
	v_sub_u32_e32 v1, v2, v1
	v_cmp_eq_u32_e32 vcc, 0, v1
	s_or_b64 s[0:1], vcc, s[0:1]
	s_and_saveexec_b64 s[12:13], s[0:1]
	s_cbranch_execz .LBB312_279
; %bb.281:                              ;   in Loop: Header=BB312_280 Depth=1
	global_load_dword v0, v[13:14], off
	v_mov_b32_e32 v11, 0
	s_waitcnt vmcnt(0)
	v_mad_i64_i32 v[15:16], s[0:1], v0, s34, v[35:36]
	v_mov_b32_e32 v0, 0
	global_load_dwordx2 v[17:18], v[15:16], off
	ds_read2_b64 v[5:8], v32 offset1:1
	ds_read2_b64 v[1:4], v32 offset0:2 offset1:3
	s_load_dword s31, s[14:15], 0x0
	s_waitcnt vmcnt(0)
	v_cmp_ne_u16_sdwa s[16:17], v17, v10 src0_sel:BYTE_0 src1_sel:DWORD
	s_and_saveexec_b64 s[0:1], s[16:17]
	s_cbranch_execz .LBB312_287
; %bb.282:                              ;   in Loop: Header=BB312_280 Depth=1
	v_cmp_ne_u16_sdwa s[18:19], v17, s28 src0_sel:BYTE_0 src1_sel:DWORD
	v_bfrev_b32_e32 v0, 1
	s_and_saveexec_b64 s[16:17], s[18:19]
	s_cbranch_execz .LBB312_286
; %bb.283:                              ;   in Loop: Header=BB312_280 Depth=1
	v_and_b32_e32 v9, 0x7f, v17
	v_cmp_ne_u32_e32 vcc, s29, v9
	v_mov_b32_e32 v0, 0x7f800001
	s_and_saveexec_b64 s[18:19], vcc
	s_cbranch_execz .LBB312_285
; %bb.284:                              ;   in Loop: Header=BB312_280 Depth=1
	v_and_b32_e32 v0, 7, v17
	v_ffbh_u32_e32 v0, v0
	v_min_u32_e32 v0, 32, v0
	v_subrev_u32_e32 v19, 28, v0
	v_cmp_gt_u32_e32 vcc, 8, v9
	v_lshrrev_b32_e32 v12, 3, v9
	v_cndmask_b32_e32 v9, 0, v19, vcc
	v_lshlrev_b64 v[19:20], v9, v[17:18]
	v_sub_u32_e32 v0, 29, v0
	v_cndmask_b32_e32 v0, v12, v0, vcc
	v_lshlrev_b32_e32 v9, 20, v19
	v_lshlrev_b32_e32 v12, 24, v17
	v_and_b32_e32 v9, 0x700000, v9
	v_and_b32_e32 v12, 0x80000000, v12
	v_lshl_add_u32 v0, v0, 23, v53
	v_or3_b32 v0, v12, v0, v9
.LBB312_285:                            ;   in Loop: Header=BB312_280 Depth=1
	s_or_b64 exec, exec, s[18:19]
.LBB312_286:                            ;   in Loop: Header=BB312_280 Depth=1
	s_or_b64 exec, exec, s[16:17]
.LBB312_287:                            ;   in Loop: Header=BB312_280 Depth=1
	s_or_b64 exec, exec, s[0:1]
	v_lshrrev_b16_e32 v9, 8, v17
	v_cmp_ne_u16_e32 vcc, 0, v9
	s_and_saveexec_b64 s[0:1], vcc
	s_cbranch_execz .LBB312_293
; %bb.288:                              ;   in Loop: Header=BB312_280 Depth=1
	v_cmp_ne_u16_e32 vcc, s28, v9
	v_bfrev_b32_e32 v11, 1
	s_and_saveexec_b64 s[16:17], vcc
	s_cbranch_execz .LBB312_292
; %bb.289:                              ;   in Loop: Header=BB312_280 Depth=1
	v_and_b32_e32 v12, 0x7f, v9
	v_cmp_ne_u32_e32 vcc, s29, v12
	v_mov_b32_e32 v11, 0x7f800001
	s_and_saveexec_b64 s[18:19], vcc
	s_cbranch_execz .LBB312_291
; %bb.290:                              ;   in Loop: Header=BB312_280 Depth=1
	v_and_b32_e32 v11, 7, v9
	v_ffbh_u32_e32 v19, v11
	v_min_u32_e32 v22, 32, v19
	v_subrev_u32_e32 v19, 28, v22
	v_lshlrev_b64 v[19:20], v19, v[9:10]
	v_lshrrev_b32_e32 v21, 3, v12
	v_sub_u32_e32 v9, 29, v22
	v_and_b32_e32 v19, 7, v19
	v_cmp_gt_u32_e32 vcc, 8, v12
	v_cndmask_b32_e32 v9, v21, v9, vcc
	v_cndmask_b32_e32 v11, v11, v19, vcc
	v_lshlrev_b32_e32 v12, 16, v17
	v_lshlrev_b32_e32 v11, 20, v11
	v_and_b32_e32 v12, 0x80000000, v12
	v_lshl_add_u32 v9, v9, 23, v53
	v_or3_b32 v11, v12, v9, v11
.LBB312_291:                            ;   in Loop: Header=BB312_280 Depth=1
	s_or_b64 exec, exec, s[18:19]
.LBB312_292:                            ;   in Loop: Header=BB312_280 Depth=1
	s_or_b64 exec, exec, s[16:17]
.LBB312_293:                            ;   in Loop: Header=BB312_280 Depth=1
	s_or_b64 exec, exec, s[0:1]
	v_lshrrev_b32_e32 v9, 16, v17
	v_cmp_ne_u16_sdwa s[16:17], v9, v10 src0_sel:BYTE_0 src1_sel:DWORD
	v_mov_b32_e32 v20, 0
	v_mov_b32_e32 v12, 0
	s_and_saveexec_b64 s[0:1], s[16:17]
	s_cbranch_execz .LBB312_299
; %bb.294:                              ;   in Loop: Header=BB312_280 Depth=1
	v_cmp_ne_u16_sdwa s[18:19], v9, s28 src0_sel:BYTE_0 src1_sel:DWORD
	v_bfrev_b32_e32 v12, 1
	s_and_saveexec_b64 s[16:17], s[18:19]
	s_cbranch_execz .LBB312_298
; %bb.295:                              ;   in Loop: Header=BB312_280 Depth=1
	v_bfe_u32 v19, v17, 16, 7
	v_cmp_ne_u32_e32 vcc, s29, v19
	v_mov_b32_e32 v12, 0x7f800001
	s_and_saveexec_b64 s[18:19], vcc
	s_cbranch_execz .LBB312_297
; %bb.296:                              ;   in Loop: Header=BB312_280 Depth=1
	v_and_b32_e32 v12, 7, v9
	v_ffbh_u32_e32 v21, v12
	v_min_u32_e32 v24, 32, v21
	v_subrev_u32_e32 v21, 28, v24
	v_lshlrev_b64 v[21:22], v21, v[9:10]
	v_lshrrev_b32_e32 v23, 3, v19
	v_sub_u32_e32 v22, 29, v24
	v_and_b32_e32 v21, 7, v21
	v_cmp_gt_u32_e32 vcc, 8, v19
	v_cndmask_b32_e32 v19, v23, v22, vcc
	v_cndmask_b32_e32 v12, v12, v21, vcc
	v_lshlrev_b32_e32 v9, 24, v9
	v_lshlrev_b32_e32 v12, 20, v12
	v_and_b32_e32 v9, 0x80000000, v9
	v_lshl_add_u32 v19, v19, 23, v53
	v_or3_b32 v12, v9, v19, v12
.LBB312_297:                            ;   in Loop: Header=BB312_280 Depth=1
	s_or_b64 exec, exec, s[18:19]
.LBB312_298:                            ;   in Loop: Header=BB312_280 Depth=1
	s_or_b64 exec, exec, s[16:17]
.LBB312_299:                            ;   in Loop: Header=BB312_280 Depth=1
	s_or_b64 exec, exec, s[0:1]
	v_cmp_lt_u32_e32 vcc, s5, v17
	s_and_saveexec_b64 s[0:1], vcc
	s_cbranch_execz .LBB312_305
; %bb.300:                              ;   in Loop: Header=BB312_280 Depth=1
	v_lshrrev_b32_e32 v9, 24, v17
	v_cmp_ne_u32_e32 vcc, s28, v9
	v_bfrev_b32_e32 v20, 1
	s_and_saveexec_b64 s[16:17], vcc
	s_cbranch_execz .LBB312_304
; %bb.301:                              ;   in Loop: Header=BB312_280 Depth=1
	v_bfe_u32 v19, v17, 24, 7
	v_cmp_ne_u32_e32 vcc, s29, v19
	v_mov_b32_e32 v20, 0x7f800001
	s_and_saveexec_b64 s[18:19], vcc
	s_cbranch_execz .LBB312_303
; %bb.302:                              ;   in Loop: Header=BB312_280 Depth=1
	v_and_b32_e32 v22, 7, v9
	v_ffbh_u32_e32 v20, v22
	v_min_u32_e32 v24, 32, v20
	v_subrev_u32_e32 v20, 28, v24
	v_lshlrev_b64 v[20:21], v20, v[9:10]
	v_lshrrev_b32_e32 v23, 3, v19
	v_sub_u32_e32 v21, 29, v24
	v_and_b32_e32 v20, 7, v20
	v_cmp_gt_u32_e32 vcc, 8, v19
	v_cndmask_b32_e32 v19, v23, v21, vcc
	v_cndmask_b32_e32 v20, v22, v20, vcc
	v_lshlrev_b32_e32 v9, 24, v9
	v_lshlrev_b32_e32 v20, 20, v20
	v_and_b32_e32 v9, 0x80000000, v9
	v_lshl_add_u32 v19, v19, 23, v53
	v_or3_b32 v20, v9, v19, v20
.LBB312_303:                            ;   in Loop: Header=BB312_280 Depth=1
	s_or_b64 exec, exec, s[18:19]
.LBB312_304:                            ;   in Loop: Header=BB312_280 Depth=1
	s_or_b64 exec, exec, s[16:17]
.LBB312_305:                            ;   in Loop: Header=BB312_280 Depth=1
	s_or_b64 exec, exec, s[0:1]
	v_mov_b32_e32 v9, v18
	v_cmp_ne_u16_sdwa s[16:17], v18, v10 src0_sel:BYTE_0 src1_sel:DWORD
	v_mov_b32_e32 v22, 0
	v_mov_b32_e32 v21, 0
	s_and_saveexec_b64 s[0:1], s[16:17]
	s_cbranch_execz .LBB312_311
; %bb.306:                              ;   in Loop: Header=BB312_280 Depth=1
	v_cmp_ne_u16_sdwa s[18:19], v18, s28 src0_sel:BYTE_0 src1_sel:DWORD
	v_bfrev_b32_e32 v21, 1
	s_and_saveexec_b64 s[16:17], s[18:19]
	s_cbranch_execz .LBB312_310
; %bb.307:                              ;   in Loop: Header=BB312_280 Depth=1
	v_and_b32_e32 v19, 0x7f, v18
	v_cmp_ne_u32_e32 vcc, s29, v19
	v_mov_b32_e32 v21, 0x7f800001
	s_and_saveexec_b64 s[18:19], vcc
	s_cbranch_execz .LBB312_309
; %bb.308:                              ;   in Loop: Header=BB312_280 Depth=1
	v_and_b32_e32 v21, 7, v18
	v_ffbh_u32_e32 v21, v21
	v_min_u32_e32 v21, 32, v21
	v_lshrrev_b32_e32 v23, 3, v19
	v_subrev_u32_e32 v24, 28, v21
	v_sub_u32_e32 v21, 29, v21
	v_cmp_gt_u32_e32 vcc, 8, v19
	v_cndmask_b32_e32 v19, v23, v21, vcc
	v_cndmask_b32_e32 v21, 0, v24, vcc
	v_lshlrev_b64 v[23:24], v21, v[9:10]
	v_lshl_add_u32 v19, v19, 23, v53
	v_lshlrev_b32_e32 v21, 20, v23
	v_lshlrev_b32_e32 v23, 24, v9
	v_and_b32_e32 v21, 0x700000, v21
	v_and_b32_e32 v23, 0x80000000, v23
	v_or3_b32 v21, v23, v19, v21
.LBB312_309:                            ;   in Loop: Header=BB312_280 Depth=1
	s_or_b64 exec, exec, s[18:19]
.LBB312_310:                            ;   in Loop: Header=BB312_280 Depth=1
	s_or_b64 exec, exec, s[16:17]
.LBB312_311:                            ;   in Loop: Header=BB312_280 Depth=1
	s_or_b64 exec, exec, s[0:1]
	v_lshrrev_b16_e32 v19, 8, v9
	v_cmp_ne_u16_e32 vcc, 0, v19
	s_and_saveexec_b64 s[0:1], vcc
	s_cbranch_execz .LBB312_317
; %bb.312:                              ;   in Loop: Header=BB312_280 Depth=1
	v_cmp_ne_u16_e32 vcc, s28, v19
	v_bfrev_b32_e32 v22, 1
	s_and_saveexec_b64 s[16:17], vcc
	s_cbranch_execz .LBB312_316
; %bb.313:                              ;   in Loop: Header=BB312_280 Depth=1
	v_and_b32_e32 v23, 0x7f, v19
	v_cmp_ne_u32_e32 vcc, s29, v23
	v_mov_b32_e32 v22, 0x7f800001
	s_and_saveexec_b64 s[18:19], vcc
	s_cbranch_execz .LBB312_315
; %bb.314:                              ;   in Loop: Header=BB312_280 Depth=1
	v_and_b32_e32 v22, 7, v19
	v_ffbh_u32_e32 v24, v22
	v_min_u32_e32 v27, 32, v24
	v_subrev_u32_e32 v24, 28, v27
	v_lshlrev_b64 v[24:25], v24, v[19:20]
	v_lshrrev_b32_e32 v26, 3, v23
	v_sub_u32_e32 v19, 29, v27
	v_and_b32_e32 v24, 7, v24
	v_cmp_gt_u32_e32 vcc, 8, v23
	v_cndmask_b32_e32 v19, v26, v19, vcc
	v_cndmask_b32_e32 v22, v22, v24, vcc
	v_lshlrev_b32_e32 v9, 16, v9
	v_lshlrev_b32_e32 v22, 20, v22
	v_and_b32_e32 v9, 0x80000000, v9
	v_lshl_add_u32 v19, v19, 23, v53
	v_or3_b32 v22, v9, v19, v22
.LBB312_315:                            ;   in Loop: Header=BB312_280 Depth=1
	s_or_b64 exec, exec, s[18:19]
.LBB312_316:                            ;   in Loop: Header=BB312_280 Depth=1
	s_or_b64 exec, exec, s[16:17]
.LBB312_317:                            ;   in Loop: Header=BB312_280 Depth=1
	s_or_b64 exec, exec, s[0:1]
	v_lshrrev_b32_e32 v9, 16, v18
	v_cmp_ne_u16_sdwa s[16:17], v9, v10 src0_sel:BYTE_0 src1_sel:DWORD
	v_mov_b32_e32 v19, 0
	v_mov_b32_e32 v23, 0
	s_and_saveexec_b64 s[0:1], s[16:17]
	s_cbranch_execz .LBB312_323
; %bb.318:                              ;   in Loop: Header=BB312_280 Depth=1
	v_cmp_ne_u16_sdwa s[18:19], v9, s28 src0_sel:BYTE_0 src1_sel:DWORD
	v_bfrev_b32_e32 v23, 1
	s_and_saveexec_b64 s[16:17], s[18:19]
	s_cbranch_execz .LBB312_322
; %bb.319:                              ;   in Loop: Header=BB312_280 Depth=1
	v_bfe_u32 v24, v18, 16, 7
	v_cmp_ne_u32_e32 vcc, s29, v24
	v_mov_b32_e32 v23, 0x7f800001
	s_and_saveexec_b64 s[18:19], vcc
	s_cbranch_execz .LBB312_321
; %bb.320:                              ;   in Loop: Header=BB312_280 Depth=1
	v_and_b32_e32 v23, 7, v9
	v_ffbh_u32_e32 v25, v23
	v_min_u32_e32 v28, 32, v25
	v_subrev_u32_e32 v25, 28, v28
	v_lshlrev_b64 v[25:26], v25, v[9:10]
	v_lshrrev_b32_e32 v27, 3, v24
	v_sub_u32_e32 v26, 29, v28
	v_and_b32_e32 v25, 7, v25
	v_cmp_gt_u32_e32 vcc, 8, v24
	v_cndmask_b32_e32 v24, v27, v26, vcc
	v_cndmask_b32_e32 v23, v23, v25, vcc
	v_lshlrev_b32_e32 v9, 24, v9
	v_lshlrev_b32_e32 v23, 20, v23
	v_and_b32_e32 v9, 0x80000000, v9
	v_lshl_add_u32 v24, v24, 23, v53
	v_or3_b32 v23, v9, v24, v23
.LBB312_321:                            ;   in Loop: Header=BB312_280 Depth=1
	s_or_b64 exec, exec, s[18:19]
.LBB312_322:                            ;   in Loop: Header=BB312_280 Depth=1
	s_or_b64 exec, exec, s[16:17]
.LBB312_323:                            ;   in Loop: Header=BB312_280 Depth=1
	s_or_b64 exec, exec, s[0:1]
	v_cmp_lt_u64_e32 vcc, s[4:5], v[17:18]
	s_and_saveexec_b64 s[0:1], vcc
	s_cbranch_execz .LBB312_329
; %bb.324:                              ;   in Loop: Header=BB312_280 Depth=1
	v_lshrrev_b32_e32 v9, 24, v18
	v_cmp_ne_u32_e32 vcc, s28, v9
	v_bfrev_b32_e32 v19, 1
	s_and_saveexec_b64 s[16:17], vcc
	s_cbranch_execz .LBB312_328
; %bb.325:                              ;   in Loop: Header=BB312_280 Depth=1
	v_bfe_u32 v17, v18, 24, 7
	v_cmp_ne_u32_e32 vcc, s29, v17
	v_mov_b32_e32 v19, 0x7f800001
	s_and_saveexec_b64 s[18:19], vcc
	s_cbranch_execz .LBB312_327
; %bb.326:                              ;   in Loop: Header=BB312_280 Depth=1
	v_and_b32_e32 v24, 7, v9
	v_ffbh_u32_e32 v18, v24
	v_min_u32_e32 v26, 32, v18
	v_subrev_u32_e32 v18, 28, v26
	v_lshlrev_b64 v[18:19], v18, v[9:10]
	v_lshrrev_b32_e32 v25, 3, v17
	v_sub_u32_e32 v19, 29, v26
	v_and_b32_e32 v18, 7, v18
	v_cmp_gt_u32_e32 vcc, 8, v17
	v_cndmask_b32_e32 v17, v25, v19, vcc
	v_cndmask_b32_e32 v18, v24, v18, vcc
	v_lshlrev_b32_e32 v9, 24, v9
	v_lshlrev_b32_e32 v18, 20, v18
	v_and_b32_e32 v9, 0x80000000, v9
	v_lshl_add_u32 v17, v17, 23, v53
	v_or3_b32 v19, v9, v17, v18
.LBB312_327:                            ;   in Loop: Header=BB312_280 Depth=1
	s_or_b64 exec, exec, s[18:19]
.LBB312_328:                            ;   in Loop: Header=BB312_280 Depth=1
	s_or_b64 exec, exec, s[16:17]
.LBB312_329:                            ;   in Loop: Header=BB312_280 Depth=1
	s_or_b64 exec, exec, s[0:1]
	buffer_load_dword v9, off, s[60:63], 0  ; 4-byte Folded Reload
	s_waitcnt lgkmcnt(0)
	v_mul_f32_e32 v0, s31, v0
	v_add_u32_e32 v43, v41, v38
	v_add_u32_e32 v50, 1, v43
	;; [unrolled: 1-line block ×8, first 2 shown]
	s_waitcnt vmcnt(0)
	v_cmp_eq_u32_e32 vcc, s35, v9
	v_mul_f32_e32 v9, s31, v22
	v_bfe_u32 v17, v9, 16, 1
	v_add3_u32 v17, v17, v9, s30
	v_or_b32_e32 v18, 0x400000, v9
	v_cmp_u_f32_e64 s[0:1], v9, v9
	v_cndmask_b32_e64 v9, v17, v18, s[0:1]
	v_lshrrev_b32_e32 v9, 16, v9
	buffer_store_dword v9, off, s[60:63], 0 offset:4 ; 4-byte Folded Spill
	v_mul_f32_e32 v9, s31, v21
	v_bfe_u32 v17, v9, 16, 1
	v_add3_u32 v17, v17, v9, s30
	v_or_b32_e32 v18, 0x400000, v9
	v_cmp_u_f32_e64 s[0:1], v9, v9
	v_cndmask_b32_e64 v9, v17, v18, s[0:1]
	v_lshrrev_b32_e32 v9, 16, v9
	buffer_store_dword v9, off, s[60:63], 0 offset:8 ; 4-byte Folded Spill
	;; [unrolled: 8-line block ×5, first 2 shown]
	v_bfe_u32 v9, v0, 16, 1
	v_add3_u32 v9, v9, v0, s30
	v_or_b32_e32 v11, 0x400000, v0
	v_cmp_u_f32_e64 s[0:1], v0, v0
	v_cndmask_b32_e64 v0, v9, v11, s[0:1]
	v_lshrrev_b32_e32 v0, 16, v0
	buffer_store_dword v0, off, s[60:63], 0 offset:32 ; 4-byte Folded Spill
	v_mul_f32_e32 v0, s31, v23
	v_bfe_u32 v9, v0, 16, 1
	v_add3_u32 v9, v9, v0, s30
	v_or_b32_e32 v11, 0x400000, v0
	v_cmp_u_f32_e64 s[0:1], v0, v0
	v_cndmask_b32_e64 v0, v9, v11, s[0:1]
	v_lshrrev_b32_e32 v0, 16, v0
	buffer_store_dword v0, off, s[60:63], 0 offset:12 ; 4-byte Folded Spill
	v_mul_f32_e32 v0, s31, v19
	v_bfe_u32 v9, v0, 16, 1
	v_add3_u32 v9, v9, v0, s30
	v_or_b32_e32 v11, 0x400000, v0
	v_cmp_u_f32_e64 s[0:1], v0, v0
	v_cndmask_b32_e64 v0, v9, v11, s[0:1]
	v_lshrrev_b32_e32 v0, 16, v0
	buffer_store_dword v0, off, s[60:63], 0 offset:24 ; 4-byte Folded Spill
	s_and_saveexec_b64 s[16:17], vcc
	s_cbranch_execz .LBB312_331
; %bb.330:                              ;   in Loop: Header=BB312_280 Depth=1
	buffer_load_dword v0, off, s[60:63], 0 offset:32 ; 4-byte Folded Reload
	v_cmp_gt_i32_e64 s[0:1], s33, v43
	s_waitcnt vmcnt(0)
	v_cndmask_b32_e64 v0, 0, v0, s[0:1]
	buffer_store_dword v0, off, s[60:63], 0 offset:32 ; 4-byte Folded Spill
	buffer_load_dword v0, off, s[60:63], 0 offset:28 ; 4-byte Folded Reload
	v_cmp_gt_i32_e64 s[0:1], s33, v50
	s_waitcnt vmcnt(0)
	v_cndmask_b32_e64 v0, 0, v0, s[0:1]
	buffer_store_dword v0, off, s[60:63], 0 offset:28 ; 4-byte Folded Spill
	;; [unrolled: 5-line block ×8, first 2 shown]
.LBB312_331:                            ;   in Loop: Header=BB312_280 Depth=1
	s_or_b64 exec, exec, s[16:17]
	global_load_dwordx2 v[17:18], v[15:16], off offset:512
	v_mov_b32_e32 v11, 0
	v_mov_b32_e32 v0, 0
	s_waitcnt vmcnt(0)
	v_cmp_ne_u16_sdwa s[0:1], v17, v10 src0_sel:BYTE_0 src1_sel:DWORD
	s_and_saveexec_b64 s[16:17], s[0:1]
	s_cbranch_execz .LBB312_337
; %bb.332:                              ;   in Loop: Header=BB312_280 Depth=1
	v_cmp_ne_u16_sdwa s[0:1], v17, s28 src0_sel:BYTE_0 src1_sel:DWORD
	v_bfrev_b32_e32 v0, 1
	s_and_saveexec_b64 s[18:19], s[0:1]
	s_cbranch_execz .LBB312_336
; %bb.333:                              ;   in Loop: Header=BB312_280 Depth=1
	v_and_b32_e32 v9, 0x7f, v17
	v_cmp_ne_u32_e64 s[0:1], s29, v9
	v_mov_b32_e32 v0, 0x7f800001
	s_and_saveexec_b64 s[20:21], s[0:1]
	s_cbranch_execz .LBB312_335
; %bb.334:                              ;   in Loop: Header=BB312_280 Depth=1
	v_and_b32_e32 v0, 7, v17
	v_ffbh_u32_e32 v0, v0
	v_min_u32_e32 v0, 32, v0
	v_subrev_u32_e32 v19, 28, v0
	v_cmp_gt_u32_e64 s[0:1], 8, v9
	v_lshrrev_b32_e32 v12, 3, v9
	v_cndmask_b32_e64 v9, 0, v19, s[0:1]
	v_lshlrev_b64 v[19:20], v9, v[17:18]
	v_sub_u32_e32 v0, 29, v0
	v_cndmask_b32_e64 v0, v12, v0, s[0:1]
	v_lshlrev_b32_e32 v9, 20, v19
	v_lshlrev_b32_e32 v12, 24, v17
	v_and_b32_e32 v9, 0x700000, v9
	v_and_b32_e32 v12, 0x80000000, v12
	v_lshl_add_u32 v0, v0, 23, v53
	v_or3_b32 v0, v12, v0, v9
.LBB312_335:                            ;   in Loop: Header=BB312_280 Depth=1
	s_or_b64 exec, exec, s[20:21]
.LBB312_336:                            ;   in Loop: Header=BB312_280 Depth=1
	s_or_b64 exec, exec, s[18:19]
.LBB312_337:                            ;   in Loop: Header=BB312_280 Depth=1
	s_or_b64 exec, exec, s[16:17]
	v_lshrrev_b16_e32 v9, 8, v17
	v_cmp_ne_u16_e64 s[0:1], 0, v9
	s_and_saveexec_b64 s[16:17], s[0:1]
	s_cbranch_execz .LBB312_343
; %bb.338:                              ;   in Loop: Header=BB312_280 Depth=1
	v_cmp_ne_u16_e64 s[0:1], s28, v9
	v_bfrev_b32_e32 v11, 1
	s_and_saveexec_b64 s[18:19], s[0:1]
	s_cbranch_execz .LBB312_342
; %bb.339:                              ;   in Loop: Header=BB312_280 Depth=1
	v_and_b32_e32 v12, 0x7f, v9
	v_cmp_ne_u32_e64 s[0:1], s29, v12
	v_mov_b32_e32 v11, 0x7f800001
	s_and_saveexec_b64 s[20:21], s[0:1]
	s_cbranch_execz .LBB312_341
; %bb.340:                              ;   in Loop: Header=BB312_280 Depth=1
	v_and_b32_e32 v11, 7, v9
	v_ffbh_u32_e32 v19, v11
	v_min_u32_e32 v22, 32, v19
	v_subrev_u32_e32 v19, 28, v22
	v_lshlrev_b64 v[19:20], v19, v[9:10]
	v_lshrrev_b32_e32 v21, 3, v12
	v_sub_u32_e32 v9, 29, v22
	v_and_b32_e32 v19, 7, v19
	v_cmp_gt_u32_e64 s[0:1], 8, v12
	v_cndmask_b32_e64 v9, v21, v9, s[0:1]
	v_cndmask_b32_e64 v11, v11, v19, s[0:1]
	v_lshlrev_b32_e32 v12, 16, v17
	v_lshlrev_b32_e32 v11, 20, v11
	v_and_b32_e32 v12, 0x80000000, v12
	v_lshl_add_u32 v9, v9, 23, v53
	v_or3_b32 v11, v12, v9, v11
.LBB312_341:                            ;   in Loop: Header=BB312_280 Depth=1
	s_or_b64 exec, exec, s[20:21]
.LBB312_342:                            ;   in Loop: Header=BB312_280 Depth=1
	s_or_b64 exec, exec, s[18:19]
.LBB312_343:                            ;   in Loop: Header=BB312_280 Depth=1
	s_or_b64 exec, exec, s[16:17]
	v_lshrrev_b32_e32 v9, 16, v17
	v_cmp_ne_u16_sdwa s[0:1], v9, v10 src0_sel:BYTE_0 src1_sel:DWORD
	v_mov_b32_e32 v20, 0
	v_mov_b32_e32 v12, 0
	s_and_saveexec_b64 s[16:17], s[0:1]
	s_cbranch_execz .LBB312_349
; %bb.344:                              ;   in Loop: Header=BB312_280 Depth=1
	v_cmp_ne_u16_sdwa s[0:1], v9, s28 src0_sel:BYTE_0 src1_sel:DWORD
	v_bfrev_b32_e32 v12, 1
	s_and_saveexec_b64 s[18:19], s[0:1]
	s_cbranch_execz .LBB312_348
; %bb.345:                              ;   in Loop: Header=BB312_280 Depth=1
	v_bfe_u32 v19, v17, 16, 7
	v_cmp_ne_u32_e64 s[0:1], s29, v19
	v_mov_b32_e32 v12, 0x7f800001
	s_and_saveexec_b64 s[20:21], s[0:1]
	s_cbranch_execz .LBB312_347
; %bb.346:                              ;   in Loop: Header=BB312_280 Depth=1
	v_and_b32_e32 v12, 7, v9
	v_ffbh_u32_e32 v21, v12
	v_min_u32_e32 v24, 32, v21
	v_subrev_u32_e32 v21, 28, v24
	v_lshlrev_b64 v[21:22], v21, v[9:10]
	v_lshrrev_b32_e32 v23, 3, v19
	v_sub_u32_e32 v22, 29, v24
	v_and_b32_e32 v21, 7, v21
	v_cmp_gt_u32_e64 s[0:1], 8, v19
	v_cndmask_b32_e64 v19, v23, v22, s[0:1]
	v_cndmask_b32_e64 v12, v12, v21, s[0:1]
	v_lshlrev_b32_e32 v9, 24, v9
	v_lshlrev_b32_e32 v12, 20, v12
	v_and_b32_e32 v9, 0x80000000, v9
	v_lshl_add_u32 v19, v19, 23, v53
	v_or3_b32 v12, v9, v19, v12
.LBB312_347:                            ;   in Loop: Header=BB312_280 Depth=1
	s_or_b64 exec, exec, s[20:21]
.LBB312_348:                            ;   in Loop: Header=BB312_280 Depth=1
	s_or_b64 exec, exec, s[18:19]
.LBB312_349:                            ;   in Loop: Header=BB312_280 Depth=1
	s_or_b64 exec, exec, s[16:17]
	v_cmp_lt_u32_e64 s[0:1], s5, v17
	s_and_saveexec_b64 s[16:17], s[0:1]
	s_cbranch_execz .LBB312_355
; %bb.350:                              ;   in Loop: Header=BB312_280 Depth=1
	v_lshrrev_b32_e32 v9, 24, v17
	v_cmp_ne_u32_e64 s[0:1], s28, v9
	v_bfrev_b32_e32 v20, 1
	s_and_saveexec_b64 s[18:19], s[0:1]
	s_cbranch_execz .LBB312_354
; %bb.351:                              ;   in Loop: Header=BB312_280 Depth=1
	v_bfe_u32 v19, v17, 24, 7
	v_cmp_ne_u32_e64 s[0:1], s29, v19
	v_mov_b32_e32 v20, 0x7f800001
	s_and_saveexec_b64 s[20:21], s[0:1]
	s_cbranch_execz .LBB312_353
; %bb.352:                              ;   in Loop: Header=BB312_280 Depth=1
	v_and_b32_e32 v22, 7, v9
	v_ffbh_u32_e32 v20, v22
	v_min_u32_e32 v24, 32, v20
	v_subrev_u32_e32 v20, 28, v24
	v_lshlrev_b64 v[20:21], v20, v[9:10]
	v_lshrrev_b32_e32 v23, 3, v19
	v_sub_u32_e32 v21, 29, v24
	v_and_b32_e32 v20, 7, v20
	v_cmp_gt_u32_e64 s[0:1], 8, v19
	v_cndmask_b32_e64 v19, v23, v21, s[0:1]
	v_cndmask_b32_e64 v20, v22, v20, s[0:1]
	v_lshlrev_b32_e32 v9, 24, v9
	v_lshlrev_b32_e32 v20, 20, v20
	v_and_b32_e32 v9, 0x80000000, v9
	v_lshl_add_u32 v19, v19, 23, v53
	v_or3_b32 v20, v9, v19, v20
.LBB312_353:                            ;   in Loop: Header=BB312_280 Depth=1
	s_or_b64 exec, exec, s[20:21]
.LBB312_354:                            ;   in Loop: Header=BB312_280 Depth=1
	s_or_b64 exec, exec, s[18:19]
.LBB312_355:                            ;   in Loop: Header=BB312_280 Depth=1
	s_or_b64 exec, exec, s[16:17]
	v_mov_b32_e32 v9, v18
	v_cmp_ne_u16_sdwa s[0:1], v18, v10 src0_sel:BYTE_0 src1_sel:DWORD
	v_mov_b32_e32 v22, 0
	v_mov_b32_e32 v21, 0
	s_and_saveexec_b64 s[16:17], s[0:1]
	s_cbranch_execz .LBB312_361
; %bb.356:                              ;   in Loop: Header=BB312_280 Depth=1
	v_cmp_ne_u16_sdwa s[0:1], v18, s28 src0_sel:BYTE_0 src1_sel:DWORD
	v_bfrev_b32_e32 v21, 1
	s_and_saveexec_b64 s[18:19], s[0:1]
	s_cbranch_execz .LBB312_360
; %bb.357:                              ;   in Loop: Header=BB312_280 Depth=1
	v_and_b32_e32 v19, 0x7f, v18
	v_cmp_ne_u32_e64 s[0:1], s29, v19
	v_mov_b32_e32 v21, 0x7f800001
	s_and_saveexec_b64 s[20:21], s[0:1]
	s_cbranch_execz .LBB312_359
; %bb.358:                              ;   in Loop: Header=BB312_280 Depth=1
	v_and_b32_e32 v21, 7, v18
	v_ffbh_u32_e32 v21, v21
	v_min_u32_e32 v21, 32, v21
	v_lshrrev_b32_e32 v23, 3, v19
	v_subrev_u32_e32 v24, 28, v21
	v_sub_u32_e32 v21, 29, v21
	v_cmp_gt_u32_e64 s[0:1], 8, v19
	v_cndmask_b32_e64 v19, v23, v21, s[0:1]
	v_cndmask_b32_e64 v21, 0, v24, s[0:1]
	v_lshlrev_b64 v[23:24], v21, v[9:10]
	v_lshl_add_u32 v19, v19, 23, v53
	v_lshlrev_b32_e32 v21, 20, v23
	v_lshlrev_b32_e32 v23, 24, v9
	v_and_b32_e32 v21, 0x700000, v21
	v_and_b32_e32 v23, 0x80000000, v23
	v_or3_b32 v21, v23, v19, v21
.LBB312_359:                            ;   in Loop: Header=BB312_280 Depth=1
	s_or_b64 exec, exec, s[20:21]
.LBB312_360:                            ;   in Loop: Header=BB312_280 Depth=1
	s_or_b64 exec, exec, s[18:19]
.LBB312_361:                            ;   in Loop: Header=BB312_280 Depth=1
	s_or_b64 exec, exec, s[16:17]
	v_lshrrev_b16_e32 v19, 8, v9
	v_cmp_ne_u16_e64 s[0:1], 0, v19
	s_and_saveexec_b64 s[16:17], s[0:1]
	s_cbranch_execz .LBB312_367
; %bb.362:                              ;   in Loop: Header=BB312_280 Depth=1
	v_cmp_ne_u16_e64 s[0:1], s28, v19
	v_bfrev_b32_e32 v22, 1
	s_and_saveexec_b64 s[18:19], s[0:1]
	s_cbranch_execz .LBB312_366
; %bb.363:                              ;   in Loop: Header=BB312_280 Depth=1
	v_and_b32_e32 v23, 0x7f, v19
	v_cmp_ne_u32_e64 s[0:1], s29, v23
	v_mov_b32_e32 v22, 0x7f800001
	s_and_saveexec_b64 s[20:21], s[0:1]
	s_cbranch_execz .LBB312_365
; %bb.364:                              ;   in Loop: Header=BB312_280 Depth=1
	v_and_b32_e32 v22, 7, v19
	v_ffbh_u32_e32 v24, v22
	v_min_u32_e32 v27, 32, v24
	v_subrev_u32_e32 v24, 28, v27
	v_lshlrev_b64 v[24:25], v24, v[19:20]
	v_lshrrev_b32_e32 v26, 3, v23
	v_sub_u32_e32 v19, 29, v27
	v_and_b32_e32 v24, 7, v24
	v_cmp_gt_u32_e64 s[0:1], 8, v23
	v_cndmask_b32_e64 v19, v26, v19, s[0:1]
	v_cndmask_b32_e64 v22, v22, v24, s[0:1]
	v_lshlrev_b32_e32 v9, 16, v9
	v_lshlrev_b32_e32 v22, 20, v22
	v_and_b32_e32 v9, 0x80000000, v9
	v_lshl_add_u32 v19, v19, 23, v53
	v_or3_b32 v22, v9, v19, v22
.LBB312_365:                            ;   in Loop: Header=BB312_280 Depth=1
	s_or_b64 exec, exec, s[20:21]
.LBB312_366:                            ;   in Loop: Header=BB312_280 Depth=1
	s_or_b64 exec, exec, s[18:19]
.LBB312_367:                            ;   in Loop: Header=BB312_280 Depth=1
	s_or_b64 exec, exec, s[16:17]
	v_lshrrev_b32_e32 v9, 16, v18
	v_cmp_ne_u16_sdwa s[0:1], v9, v10 src0_sel:BYTE_0 src1_sel:DWORD
	v_mov_b32_e32 v19, 0
	v_mov_b32_e32 v23, 0
	s_and_saveexec_b64 s[16:17], s[0:1]
	s_cbranch_execz .LBB312_373
; %bb.368:                              ;   in Loop: Header=BB312_280 Depth=1
	v_cmp_ne_u16_sdwa s[0:1], v9, s28 src0_sel:BYTE_0 src1_sel:DWORD
	v_bfrev_b32_e32 v23, 1
	s_and_saveexec_b64 s[18:19], s[0:1]
	s_cbranch_execz .LBB312_372
; %bb.369:                              ;   in Loop: Header=BB312_280 Depth=1
	v_bfe_u32 v24, v18, 16, 7
	v_cmp_ne_u32_e64 s[0:1], s29, v24
	v_mov_b32_e32 v23, 0x7f800001
	s_and_saveexec_b64 s[20:21], s[0:1]
	s_cbranch_execz .LBB312_371
; %bb.370:                              ;   in Loop: Header=BB312_280 Depth=1
	v_and_b32_e32 v23, 7, v9
	v_ffbh_u32_e32 v25, v23
	v_min_u32_e32 v28, 32, v25
	v_subrev_u32_e32 v25, 28, v28
	v_lshlrev_b64 v[25:26], v25, v[9:10]
	v_lshrrev_b32_e32 v27, 3, v24
	v_sub_u32_e32 v26, 29, v28
	v_and_b32_e32 v25, 7, v25
	v_cmp_gt_u32_e64 s[0:1], 8, v24
	v_cndmask_b32_e64 v24, v27, v26, s[0:1]
	v_cndmask_b32_e64 v23, v23, v25, s[0:1]
	v_lshlrev_b32_e32 v9, 24, v9
	v_lshlrev_b32_e32 v23, 20, v23
	v_and_b32_e32 v9, 0x80000000, v9
	v_lshl_add_u32 v24, v24, 23, v53
	v_or3_b32 v23, v9, v24, v23
.LBB312_371:                            ;   in Loop: Header=BB312_280 Depth=1
	s_or_b64 exec, exec, s[20:21]
.LBB312_372:                            ;   in Loop: Header=BB312_280 Depth=1
	s_or_b64 exec, exec, s[18:19]
.LBB312_373:                            ;   in Loop: Header=BB312_280 Depth=1
	s_or_b64 exec, exec, s[16:17]
	v_cmp_lt_u64_e64 s[0:1], s[4:5], v[17:18]
	s_and_saveexec_b64 s[16:17], s[0:1]
	s_cbranch_execz .LBB312_379
; %bb.374:                              ;   in Loop: Header=BB312_280 Depth=1
	v_lshrrev_b32_e32 v9, 24, v18
	v_cmp_ne_u32_e64 s[0:1], s28, v9
	v_bfrev_b32_e32 v19, 1
	s_and_saveexec_b64 s[18:19], s[0:1]
	s_cbranch_execz .LBB312_378
; %bb.375:                              ;   in Loop: Header=BB312_280 Depth=1
	v_bfe_u32 v17, v18, 24, 7
	v_cmp_ne_u32_e64 s[0:1], s29, v17
	v_mov_b32_e32 v19, 0x7f800001
	s_and_saveexec_b64 s[20:21], s[0:1]
	s_cbranch_execz .LBB312_377
; %bb.376:                              ;   in Loop: Header=BB312_280 Depth=1
	v_and_b32_e32 v24, 7, v9
	v_ffbh_u32_e32 v18, v24
	v_min_u32_e32 v26, 32, v18
	v_subrev_u32_e32 v18, 28, v26
	v_lshlrev_b64 v[18:19], v18, v[9:10]
	v_lshrrev_b32_e32 v25, 3, v17
	v_sub_u32_e32 v19, 29, v26
	v_and_b32_e32 v18, 7, v18
	v_cmp_gt_u32_e64 s[0:1], 8, v17
	v_cndmask_b32_e64 v17, v25, v19, s[0:1]
	v_cndmask_b32_e64 v18, v24, v18, s[0:1]
	v_lshlrev_b32_e32 v9, 24, v9
	v_lshlrev_b32_e32 v18, 20, v18
	v_and_b32_e32 v9, 0x80000000, v9
	v_lshl_add_u32 v17, v17, 23, v53
	v_or3_b32 v19, v9, v17, v18
.LBB312_377:                            ;   in Loop: Header=BB312_280 Depth=1
	s_or_b64 exec, exec, s[20:21]
.LBB312_378:                            ;   in Loop: Header=BB312_280 Depth=1
	s_or_b64 exec, exec, s[18:19]
.LBB312_379:                            ;   in Loop: Header=BB312_280 Depth=1
	s_or_b64 exec, exec, s[16:17]
	v_mul_f32_e32 v9, s31, v22
	v_bfe_u32 v17, v9, 16, 1
	v_add3_u32 v17, v17, v9, s30
	v_or_b32_e32 v18, 0x400000, v9
	v_cmp_u_f32_e64 s[0:1], v9, v9
	v_cndmask_b32_e64 v9, v17, v18, s[0:1]
	v_lshrrev_b32_e32 v9, 16, v9
	buffer_store_dword v9, off, s[60:63], 0 offset:36 ; 4-byte Folded Spill
	v_mul_f32_e32 v9, s31, v21
	v_bfe_u32 v17, v9, 16, 1
	v_add3_u32 v17, v17, v9, s30
	v_or_b32_e32 v18, 0x400000, v9
	v_cmp_u_f32_e64 s[0:1], v9, v9
	v_cndmask_b32_e64 v9, v17, v18, s[0:1]
	v_lshrrev_b32_e32 v9, 16, v9
	buffer_store_dword v9, off, s[60:63], 0 offset:52 ; 4-byte Folded Spill
	v_mul_f32_e32 v9, s31, v20
	v_bfe_u32 v17, v9, 16, 1
	v_add3_u32 v17, v17, v9, s30
	v_or_b32_e32 v18, 0x400000, v9
	v_cmp_u_f32_e64 s[0:1], v9, v9
	v_cndmask_b32_e64 v9, v17, v18, s[0:1]
	v_lshrrev_b32_e32 v54, 16, v9
	v_mul_f32_e32 v9, s31, v12
	v_bfe_u32 v12, v9, 16, 1
	v_add3_u32 v12, v12, v9, s30
	v_or_b32_e32 v17, 0x400000, v9
	v_cmp_u_f32_e64 s[0:1], v9, v9
	v_cndmask_b32_e64 v9, v12, v17, s[0:1]
	v_lshrrev_b32_e32 v55, 16, v9
	v_mul_f32_e32 v9, s31, v11
	v_bfe_u32 v11, v9, 16, 1
	v_add3_u32 v11, v11, v9, s30
	v_or_b32_e32 v12, 0x400000, v9
	v_cmp_u_f32_e64 s[0:1], v9, v9
	v_cndmask_b32_e64 v9, v11, v12, s[0:1]
	v_mul_f32_e32 v0, s31, v0
	v_lshrrev_b32_e32 v57, 16, v9
	v_bfe_u32 v9, v0, 16, 1
	v_add3_u32 v9, v9, v0, s30
	v_or_b32_e32 v11, 0x400000, v0
	v_cmp_u_f32_e64 s[0:1], v0, v0
	v_cndmask_b32_e64 v0, v9, v11, s[0:1]
	v_lshrrev_b32_e32 v58, 16, v0
	v_mul_f32_e32 v0, s31, v23
	v_bfe_u32 v9, v0, 16, 1
	v_add3_u32 v9, v9, v0, s30
	v_or_b32_e32 v11, 0x400000, v0
	v_cmp_u_f32_e64 s[0:1], v0, v0
	v_cndmask_b32_e64 v0, v9, v11, s[0:1]
	v_lshrrev_b32_e32 v0, 16, v0
	buffer_store_dword v0, off, s[60:63], 0 offset:56 ; 4-byte Folded Spill
	v_mul_f32_e32 v0, s31, v19
	v_bfe_u32 v9, v0, 16, 1
	v_add3_u32 v9, v9, v0, s30
	v_or_b32_e32 v11, 0x400000, v0
	v_cmp_u_f32_e64 s[0:1], v0, v0
	v_cndmask_b32_e64 v0, v9, v11, s[0:1]
	v_lshrrev_b32_e32 v56, 16, v0
	s_and_saveexec_b64 s[16:17], vcc
	s_cbranch_execz .LBB312_381
; %bb.380:                              ;   in Loop: Header=BB312_280 Depth=1
	buffer_load_dword v0, off, s[60:63], 0 offset:52 ; 4-byte Folded Reload
	v_cmp_gt_i32_e64 s[0:1], s33, v43
	v_cndmask_b32_e64 v58, 0, v58, s[0:1]
	v_cmp_gt_i32_e64 s[0:1], s33, v50
	v_cndmask_b32_e64 v57, 0, v57, s[0:1]
	;; [unrolled: 2-line block ×4, first 2 shown]
	v_cmp_gt_i32_e64 s[0:1], s33, v47
	s_waitcnt vmcnt(0)
	v_cndmask_b32_e64 v0, 0, v0, s[0:1]
	buffer_store_dword v0, off, s[60:63], 0 offset:52 ; 4-byte Folded Spill
	buffer_load_dword v0, off, s[60:63], 0 offset:36 ; 4-byte Folded Reload
	v_cmp_gt_i32_e64 s[0:1], s33, v46
	s_waitcnt vmcnt(0)
	v_cndmask_b32_e64 v0, 0, v0, s[0:1]
	buffer_store_dword v0, off, s[60:63], 0 offset:36 ; 4-byte Folded Spill
	buffer_load_dword v0, off, s[60:63], 0 offset:56 ; 4-byte Folded Reload
	v_cmp_gt_i32_e64 s[0:1], s33, v45
	s_waitcnt vmcnt(0)
	v_cndmask_b32_e64 v0, 0, v0, s[0:1]
	v_cmp_gt_i32_e64 s[0:1], s33, v44
	v_cndmask_b32_e64 v56, 0, v56, s[0:1]
	buffer_store_dword v0, off, s[60:63], 0 offset:56 ; 4-byte Folded Spill
.LBB312_381:                            ;   in Loop: Header=BB312_280 Depth=1
	s_or_b64 exec, exec, s[16:17]
	global_load_dwordx2 v[17:18], v[15:16], off offset:1024
	v_mov_b32_e32 v11, 0
	v_mov_b32_e32 v0, 0
	s_waitcnt vmcnt(0)
	v_cmp_ne_u16_sdwa s[0:1], v17, v10 src0_sel:BYTE_0 src1_sel:DWORD
	s_and_saveexec_b64 s[16:17], s[0:1]
	s_cbranch_execz .LBB312_387
; %bb.382:                              ;   in Loop: Header=BB312_280 Depth=1
	v_cmp_ne_u16_sdwa s[0:1], v17, s28 src0_sel:BYTE_0 src1_sel:DWORD
	v_bfrev_b32_e32 v0, 1
	s_and_saveexec_b64 s[18:19], s[0:1]
	s_cbranch_execz .LBB312_386
; %bb.383:                              ;   in Loop: Header=BB312_280 Depth=1
	v_and_b32_e32 v9, 0x7f, v17
	v_cmp_ne_u32_e64 s[0:1], s29, v9
	v_mov_b32_e32 v0, 0x7f800001
	s_and_saveexec_b64 s[20:21], s[0:1]
	s_cbranch_execz .LBB312_385
; %bb.384:                              ;   in Loop: Header=BB312_280 Depth=1
	v_and_b32_e32 v0, 7, v17
	v_ffbh_u32_e32 v0, v0
	v_min_u32_e32 v0, 32, v0
	v_subrev_u32_e32 v19, 28, v0
	v_cmp_gt_u32_e64 s[0:1], 8, v9
	v_lshrrev_b32_e32 v12, 3, v9
	v_cndmask_b32_e64 v9, 0, v19, s[0:1]
	v_lshlrev_b64 v[19:20], v9, v[17:18]
	v_sub_u32_e32 v0, 29, v0
	v_cndmask_b32_e64 v0, v12, v0, s[0:1]
	v_lshlrev_b32_e32 v9, 20, v19
	v_lshlrev_b32_e32 v12, 24, v17
	v_and_b32_e32 v9, 0x700000, v9
	v_and_b32_e32 v12, 0x80000000, v12
	v_lshl_add_u32 v0, v0, 23, v53
	v_or3_b32 v0, v12, v0, v9
.LBB312_385:                            ;   in Loop: Header=BB312_280 Depth=1
	s_or_b64 exec, exec, s[20:21]
.LBB312_386:                            ;   in Loop: Header=BB312_280 Depth=1
	s_or_b64 exec, exec, s[18:19]
.LBB312_387:                            ;   in Loop: Header=BB312_280 Depth=1
	s_or_b64 exec, exec, s[16:17]
	v_lshrrev_b16_e32 v9, 8, v17
	v_cmp_ne_u16_e64 s[0:1], 0, v9
	s_and_saveexec_b64 s[16:17], s[0:1]
	s_cbranch_execz .LBB312_393
; %bb.388:                              ;   in Loop: Header=BB312_280 Depth=1
	v_cmp_ne_u16_e64 s[0:1], s28, v9
	v_bfrev_b32_e32 v11, 1
	s_and_saveexec_b64 s[18:19], s[0:1]
	s_cbranch_execz .LBB312_392
; %bb.389:                              ;   in Loop: Header=BB312_280 Depth=1
	v_and_b32_e32 v12, 0x7f, v9
	v_cmp_ne_u32_e64 s[0:1], s29, v12
	v_mov_b32_e32 v11, 0x7f800001
	s_and_saveexec_b64 s[20:21], s[0:1]
	s_cbranch_execz .LBB312_391
; %bb.390:                              ;   in Loop: Header=BB312_280 Depth=1
	v_and_b32_e32 v19, 7, v9
	v_ffbh_u32_e32 v11, v19
	v_min_u32_e32 v21, 32, v11
	v_subrev_u32_e32 v11, 28, v21
	v_lshrrev_b32_e32 v20, 3, v12
	v_cmp_gt_u32_e64 s[0:1], 8, v12
	v_lshlrev_b64 v[11:12], v11, v[9:10]
	v_sub_u32_e32 v9, 29, v21
	v_and_b32_e32 v11, 7, v11
	v_cndmask_b32_e64 v9, v20, v9, s[0:1]
	v_cndmask_b32_e64 v11, v19, v11, s[0:1]
	v_lshlrev_b32_e32 v12, 16, v17
	v_lshlrev_b32_e32 v11, 20, v11
	v_and_b32_e32 v12, 0x80000000, v12
	v_lshl_add_u32 v9, v9, 23, v53
	v_or3_b32 v11, v12, v9, v11
.LBB312_391:                            ;   in Loop: Header=BB312_280 Depth=1
	s_or_b64 exec, exec, s[20:21]
.LBB312_392:                            ;   in Loop: Header=BB312_280 Depth=1
	s_or_b64 exec, exec, s[18:19]
.LBB312_393:                            ;   in Loop: Header=BB312_280 Depth=1
	s_or_b64 exec, exec, s[16:17]
	v_lshrrev_b32_e32 v9, 16, v17
	v_cmp_ne_u16_sdwa s[0:1], v9, v10 src0_sel:BYTE_0 src1_sel:DWORD
	v_mov_b32_e32 v20, 0
	v_mov_b32_e32 v12, 0
	s_and_saveexec_b64 s[16:17], s[0:1]
	s_cbranch_execz .LBB312_399
; %bb.394:                              ;   in Loop: Header=BB312_280 Depth=1
	v_cmp_ne_u16_sdwa s[0:1], v9, s28 src0_sel:BYTE_0 src1_sel:DWORD
	v_bfrev_b32_e32 v12, 1
	s_and_saveexec_b64 s[18:19], s[0:1]
	s_cbranch_execz .LBB312_398
; %bb.395:                              ;   in Loop: Header=BB312_280 Depth=1
	v_bfe_u32 v19, v17, 16, 7
	v_cmp_ne_u32_e64 s[0:1], s29, v19
	v_mov_b32_e32 v12, 0x7f800001
	s_and_saveexec_b64 s[20:21], s[0:1]
	s_cbranch_execz .LBB312_397
; %bb.396:                              ;   in Loop: Header=BB312_280 Depth=1
	v_and_b32_e32 v12, 7, v9
	v_lshrrev_b32_e32 v23, 3, v19
	v_cmp_gt_u32_e64 s[0:1], 8, v19
	v_ffbh_u32_e32 v19, v12
	v_min_u32_e32 v19, 32, v19
	v_subrev_u32_e32 v21, 28, v19
	v_lshlrev_b64 v[21:22], v21, v[9:10]
	v_sub_u32_e32 v19, 29, v19
	v_and_b32_e32 v21, 7, v21
	v_cndmask_b32_e64 v19, v23, v19, s[0:1]
	v_cndmask_b32_e64 v12, v12, v21, s[0:1]
	v_lshlrev_b32_e32 v9, 24, v9
	v_lshlrev_b32_e32 v12, 20, v12
	v_and_b32_e32 v9, 0x80000000, v9
	v_lshl_add_u32 v19, v19, 23, v53
	v_or3_b32 v12, v9, v19, v12
.LBB312_397:                            ;   in Loop: Header=BB312_280 Depth=1
	s_or_b64 exec, exec, s[20:21]
.LBB312_398:                            ;   in Loop: Header=BB312_280 Depth=1
	s_or_b64 exec, exec, s[18:19]
.LBB312_399:                            ;   in Loop: Header=BB312_280 Depth=1
	s_or_b64 exec, exec, s[16:17]
	v_cmp_lt_u32_e64 s[0:1], s5, v17
	s_and_saveexec_b64 s[16:17], s[0:1]
	s_cbranch_execz .LBB312_405
; %bb.400:                              ;   in Loop: Header=BB312_280 Depth=1
	v_lshrrev_b32_e32 v9, 24, v17
	v_cmp_ne_u32_e64 s[0:1], s28, v9
	v_bfrev_b32_e32 v20, 1
	s_and_saveexec_b64 s[18:19], s[0:1]
	s_cbranch_execz .LBB312_404
; %bb.401:                              ;   in Loop: Header=BB312_280 Depth=1
	v_bfe_u32 v19, v17, 24, 7
	v_cmp_ne_u32_e64 s[0:1], s29, v19
	v_mov_b32_e32 v20, 0x7f800001
	s_and_saveexec_b64 s[20:21], s[0:1]
	s_cbranch_execz .LBB312_403
; %bb.402:                              ;   in Loop: Header=BB312_280 Depth=1
	v_and_b32_e32 v21, 7, v9
	v_lshrrev_b32_e32 v22, 3, v19
	v_cmp_gt_u32_e64 s[0:1], 8, v19
	v_ffbh_u32_e32 v19, v21
	v_min_u32_e32 v23, 32, v19
	v_subrev_u32_e32 v19, 28, v23
	v_lshlrev_b64 v[19:20], v19, v[9:10]
	v_sub_u32_e32 v20, 29, v23
	v_and_b32_e32 v19, 7, v19
	v_cndmask_b32_e64 v20, v22, v20, s[0:1]
	v_cndmask_b32_e64 v19, v21, v19, s[0:1]
	v_lshlrev_b32_e32 v9, 24, v9
	v_lshlrev_b32_e32 v19, 20, v19
	v_and_b32_e32 v9, 0x80000000, v9
	v_lshl_add_u32 v20, v20, 23, v53
	v_or3_b32 v20, v9, v20, v19
.LBB312_403:                            ;   in Loop: Header=BB312_280 Depth=1
	s_or_b64 exec, exec, s[20:21]
.LBB312_404:                            ;   in Loop: Header=BB312_280 Depth=1
	s_or_b64 exec, exec, s[18:19]
.LBB312_405:                            ;   in Loop: Header=BB312_280 Depth=1
	s_or_b64 exec, exec, s[16:17]
	v_mov_b32_e32 v9, v18
	v_cmp_ne_u16_sdwa s[0:1], v18, v10 src0_sel:BYTE_0 src1_sel:DWORD
	v_mov_b32_e32 v22, 0
	v_mov_b32_e32 v21, 0
	s_and_saveexec_b64 s[16:17], s[0:1]
	s_cbranch_execz .LBB312_411
; %bb.406:                              ;   in Loop: Header=BB312_280 Depth=1
	v_cmp_ne_u16_sdwa s[0:1], v18, s28 src0_sel:BYTE_0 src1_sel:DWORD
	v_bfrev_b32_e32 v21, 1
	s_and_saveexec_b64 s[18:19], s[0:1]
	s_cbranch_execz .LBB312_410
; %bb.407:                              ;   in Loop: Header=BB312_280 Depth=1
	v_and_b32_e32 v19, 0x7f, v18
	v_cmp_ne_u32_e64 s[0:1], s29, v19
	v_mov_b32_e32 v21, 0x7f800001
	s_and_saveexec_b64 s[20:21], s[0:1]
	s_cbranch_execz .LBB312_409
; %bb.408:                              ;   in Loop: Header=BB312_280 Depth=1
	v_and_b32_e32 v21, 7, v18
	v_lshrrev_b32_e32 v23, 3, v19
	v_cmp_gt_u32_e64 s[0:1], 8, v19
	v_ffbh_u32_e32 v19, v21
	v_min_u32_e32 v19, 32, v19
	v_subrev_u32_e32 v21, 28, v19
	v_sub_u32_e32 v19, 29, v19
	v_cndmask_b32_e64 v21, 0, v21, s[0:1]
	v_cndmask_b32_e64 v19, v23, v19, s[0:1]
	v_lshlrev_b64 v[23:24], v21, v[9:10]
	v_lshl_add_u32 v19, v19, 23, v53
	v_lshlrev_b32_e32 v21, 20, v23
	v_lshlrev_b32_e32 v23, 24, v9
	v_and_b32_e32 v21, 0x700000, v21
	v_and_b32_e32 v23, 0x80000000, v23
	v_or3_b32 v21, v23, v19, v21
.LBB312_409:                            ;   in Loop: Header=BB312_280 Depth=1
	s_or_b64 exec, exec, s[20:21]
.LBB312_410:                            ;   in Loop: Header=BB312_280 Depth=1
	s_or_b64 exec, exec, s[18:19]
.LBB312_411:                            ;   in Loop: Header=BB312_280 Depth=1
	s_or_b64 exec, exec, s[16:17]
	v_lshrrev_b16_e32 v19, 8, v9
	v_cmp_ne_u16_e64 s[0:1], 0, v19
	s_and_saveexec_b64 s[16:17], s[0:1]
	s_cbranch_execz .LBB312_417
; %bb.412:                              ;   in Loop: Header=BB312_280 Depth=1
	v_cmp_ne_u16_e64 s[0:1], s28, v19
	v_bfrev_b32_e32 v22, 1
	s_and_saveexec_b64 s[18:19], s[0:1]
	s_cbranch_execz .LBB312_416
; %bb.413:                              ;   in Loop: Header=BB312_280 Depth=1
	v_and_b32_e32 v23, 0x7f, v19
	v_cmp_ne_u32_e64 s[0:1], s29, v23
	v_mov_b32_e32 v22, 0x7f800001
	s_and_saveexec_b64 s[20:21], s[0:1]
	s_cbranch_execz .LBB312_415
; %bb.414:                              ;   in Loop: Header=BB312_280 Depth=1
	v_and_b32_e32 v24, 7, v19
	v_ffbh_u32_e32 v22, v24
	v_min_u32_e32 v26, 32, v22
	v_subrev_u32_e32 v22, 28, v26
	v_lshrrev_b32_e32 v25, 3, v23
	v_cmp_gt_u32_e64 s[0:1], 8, v23
	v_lshlrev_b64 v[22:23], v22, v[19:20]
	v_sub_u32_e32 v19, 29, v26
	v_and_b32_e32 v22, 7, v22
	v_cndmask_b32_e64 v19, v25, v19, s[0:1]
	v_cndmask_b32_e64 v22, v24, v22, s[0:1]
	v_lshlrev_b32_e32 v9, 16, v9
	v_lshlrev_b32_e32 v22, 20, v22
	v_and_b32_e32 v9, 0x80000000, v9
	v_lshl_add_u32 v19, v19, 23, v53
	v_or3_b32 v22, v9, v19, v22
.LBB312_415:                            ;   in Loop: Header=BB312_280 Depth=1
	s_or_b64 exec, exec, s[20:21]
.LBB312_416:                            ;   in Loop: Header=BB312_280 Depth=1
	s_or_b64 exec, exec, s[18:19]
.LBB312_417:                            ;   in Loop: Header=BB312_280 Depth=1
	s_or_b64 exec, exec, s[16:17]
	v_lshrrev_b32_e32 v9, 16, v18
	v_cmp_ne_u16_sdwa s[0:1], v9, v10 src0_sel:BYTE_0 src1_sel:DWORD
	v_mov_b32_e32 v19, 0
	v_mov_b32_e32 v23, 0
	s_and_saveexec_b64 s[16:17], s[0:1]
	s_cbranch_execz .LBB312_423
; %bb.418:                              ;   in Loop: Header=BB312_280 Depth=1
	v_cmp_ne_u16_sdwa s[0:1], v9, s28 src0_sel:BYTE_0 src1_sel:DWORD
	v_bfrev_b32_e32 v23, 1
	s_and_saveexec_b64 s[18:19], s[0:1]
	s_cbranch_execz .LBB312_422
; %bb.419:                              ;   in Loop: Header=BB312_280 Depth=1
	v_bfe_u32 v24, v18, 16, 7
	v_cmp_ne_u32_e64 s[0:1], s29, v24
	v_mov_b32_e32 v23, 0x7f800001
	s_and_saveexec_b64 s[20:21], s[0:1]
	s_cbranch_execz .LBB312_421
; %bb.420:                              ;   in Loop: Header=BB312_280 Depth=1
	v_and_b32_e32 v25, 7, v9
	v_ffbh_u32_e32 v23, v25
	v_min_u32_e32 v27, 32, v23
	v_subrev_u32_e32 v23, 28, v27
	v_lshrrev_b32_e32 v26, 3, v24
	v_cmp_gt_u32_e64 s[0:1], 8, v24
	v_lshlrev_b64 v[23:24], v23, v[9:10]
	v_sub_u32_e32 v24, 29, v27
	v_and_b32_e32 v23, 7, v23
	v_cndmask_b32_e64 v24, v26, v24, s[0:1]
	v_cndmask_b32_e64 v23, v25, v23, s[0:1]
	v_lshlrev_b32_e32 v9, 24, v9
	v_lshlrev_b32_e32 v23, 20, v23
	v_and_b32_e32 v9, 0x80000000, v9
	v_lshl_add_u32 v24, v24, 23, v53
	v_or3_b32 v23, v9, v24, v23
.LBB312_421:                            ;   in Loop: Header=BB312_280 Depth=1
	s_or_b64 exec, exec, s[20:21]
.LBB312_422:                            ;   in Loop: Header=BB312_280 Depth=1
	s_or_b64 exec, exec, s[18:19]
.LBB312_423:                            ;   in Loop: Header=BB312_280 Depth=1
	s_or_b64 exec, exec, s[16:17]
	v_cmp_lt_u64_e64 s[0:1], s[4:5], v[17:18]
	s_and_saveexec_b64 s[16:17], s[0:1]
	s_cbranch_execz .LBB312_429
; %bb.424:                              ;   in Loop: Header=BB312_280 Depth=1
	v_lshrrev_b32_e32 v9, 24, v18
	v_cmp_ne_u32_e64 s[0:1], s28, v9
	v_bfrev_b32_e32 v19, 1
	s_and_saveexec_b64 s[18:19], s[0:1]
	s_cbranch_execz .LBB312_428
; %bb.425:                              ;   in Loop: Header=BB312_280 Depth=1
	v_bfe_u32 v17, v18, 24, 7
	v_cmp_ne_u32_e64 s[0:1], s29, v17
	v_mov_b32_e32 v19, 0x7f800001
	s_and_saveexec_b64 s[20:21], s[0:1]
	s_cbranch_execz .LBB312_427
; %bb.426:                              ;   in Loop: Header=BB312_280 Depth=1
	v_and_b32_e32 v19, 7, v9
	v_lshrrev_b32_e32 v24, 3, v17
	v_cmp_gt_u32_e64 s[0:1], 8, v17
	v_ffbh_u32_e32 v17, v19
	v_min_u32_e32 v25, 32, v17
	v_subrev_u32_e32 v17, 28, v25
	v_lshlrev_b64 v[17:18], v17, v[9:10]
	v_sub_u32_e32 v18, 29, v25
	v_and_b32_e32 v17, 7, v17
	v_cndmask_b32_e64 v18, v24, v18, s[0:1]
	v_cndmask_b32_e64 v17, v19, v17, s[0:1]
	v_lshlrev_b32_e32 v9, 24, v9
	v_lshlrev_b32_e32 v17, 20, v17
	v_and_b32_e32 v9, 0x80000000, v9
	v_lshl_add_u32 v18, v18, 23, v53
	v_or3_b32 v19, v9, v18, v17
.LBB312_427:                            ;   in Loop: Header=BB312_280 Depth=1
	s_or_b64 exec, exec, s[20:21]
.LBB312_428:                            ;   in Loop: Header=BB312_280 Depth=1
	s_or_b64 exec, exec, s[18:19]
.LBB312_429:                            ;   in Loop: Header=BB312_280 Depth=1
	s_or_b64 exec, exec, s[16:17]
	v_mul_f32_e32 v9, s31, v22
	v_bfe_u32 v17, v9, 16, 1
	v_add3_u32 v17, v17, v9, s30
	v_or_b32_e32 v18, 0x400000, v9
	v_cmp_u_f32_e64 s[0:1], v9, v9
	v_cndmask_b32_e64 v9, v17, v18, s[0:1]
	v_lshrrev_b32_e32 v59, 16, v9
	v_mul_f32_e32 v9, s31, v21
	v_bfe_u32 v17, v9, 16, 1
	v_add3_u32 v17, v17, v9, s30
	v_or_b32_e32 v18, 0x400000, v9
	v_cmp_u_f32_e64 s[0:1], v9, v9
	v_cndmask_b32_e64 v9, v17, v18, s[0:1]
	v_lshrrev_b32_e32 v60, 16, v9
	;; [unrolled: 7-line block ×4, first 2 shown]
	v_mul_f32_e32 v9, s31, v11
	v_bfe_u32 v11, v9, 16, 1
	v_add3_u32 v11, v11, v9, s30
	v_or_b32_e32 v12, 0x400000, v9
	v_cmp_u_f32_e64 s[0:1], v9, v9
	v_cndmask_b32_e64 v9, v11, v12, s[0:1]
	v_mul_f32_e32 v0, s31, v0
	v_lshrrev_b32_e32 v20, 16, v9
	v_bfe_u32 v9, v0, 16, 1
	v_add3_u32 v9, v9, v0, s30
	v_or_b32_e32 v11, 0x400000, v0
	v_cmp_u_f32_e64 s[0:1], v0, v0
	v_cndmask_b32_e64 v0, v9, v11, s[0:1]
	v_lshrrev_b32_e32 v21, 16, v0
	v_mul_f32_e32 v0, s31, v23
	v_bfe_u32 v9, v0, 16, 1
	v_add3_u32 v9, v9, v0, s30
	v_or_b32_e32 v11, 0x400000, v0
	v_cmp_u_f32_e64 s[0:1], v0, v0
	v_cndmask_b32_e64 v0, v9, v11, s[0:1]
	v_lshrrev_b32_e32 v61, 16, v0
	v_mul_f32_e32 v0, s31, v19
	v_bfe_u32 v9, v0, 16, 1
	v_add3_u32 v9, v9, v0, s30
	v_or_b32_e32 v11, 0x400000, v0
	v_cmp_u_f32_e64 s[0:1], v0, v0
	v_cndmask_b32_e64 v0, v9, v11, s[0:1]
	v_lshrrev_b32_e32 v23, 16, v0
	s_and_saveexec_b64 s[16:17], vcc
	s_cbranch_execz .LBB312_431
; %bb.430:                              ;   in Loop: Header=BB312_280 Depth=1
	v_cmp_gt_i32_e64 s[0:1], s33, v43
	v_cndmask_b32_e64 v21, 0, v21, s[0:1]
	v_cmp_gt_i32_e64 s[0:1], s33, v50
	v_cndmask_b32_e64 v20, 0, v20, s[0:1]
	;; [unrolled: 2-line block ×8, first 2 shown]
.LBB312_431:                            ;   in Loop: Header=BB312_280 Depth=1
	s_or_b64 exec, exec, s[16:17]
	global_load_dwordx2 v[17:18], v[15:16], off offset:1536
	v_mov_b32_e32 v12, 0
	v_mov_b32_e32 v0, 0
	s_waitcnt vmcnt(0)
	v_cmp_ne_u16_sdwa s[0:1], v17, v10 src0_sel:BYTE_0 src1_sel:DWORD
	s_and_saveexec_b64 s[16:17], s[0:1]
	s_cbranch_execz .LBB312_437
; %bb.432:                              ;   in Loop: Header=BB312_280 Depth=1
	v_cmp_ne_u16_sdwa s[0:1], v17, s28 src0_sel:BYTE_0 src1_sel:DWORD
	v_bfrev_b32_e32 v0, 1
	s_and_saveexec_b64 s[18:19], s[0:1]
	s_cbranch_execz .LBB312_436
; %bb.433:                              ;   in Loop: Header=BB312_280 Depth=1
	v_and_b32_e32 v9, 0x7f, v17
	v_cmp_ne_u32_e64 s[0:1], s29, v9
	v_mov_b32_e32 v0, 0x7f800001
	s_and_saveexec_b64 s[20:21], s[0:1]
	s_cbranch_execz .LBB312_435
; %bb.434:                              ;   in Loop: Header=BB312_280 Depth=1
	v_and_b32_e32 v0, 7, v17
	v_ffbh_u32_e32 v0, v0
	v_min_u32_e32 v0, 32, v0
	v_lshrrev_b32_e32 v11, 3, v9
	v_cmp_gt_u32_e64 s[0:1], 8, v9
	v_subrev_u32_e32 v9, 28, v0
	v_cndmask_b32_e64 v9, 0, v9, s[0:1]
	v_lshlrev_b64 v[24:25], v9, v[17:18]
	v_sub_u32_e32 v0, 29, v0
	v_cndmask_b32_e64 v0, v11, v0, s[0:1]
	v_lshlrev_b32_e32 v9, 20, v24
	v_lshlrev_b32_e32 v11, 24, v17
	v_and_b32_e32 v9, 0x700000, v9
	v_and_b32_e32 v11, 0x80000000, v11
	v_lshl_add_u32 v0, v0, 23, v53
	v_or3_b32 v0, v11, v0, v9
.LBB312_435:                            ;   in Loop: Header=BB312_280 Depth=1
	s_or_b64 exec, exec, s[20:21]
.LBB312_436:                            ;   in Loop: Header=BB312_280 Depth=1
	s_or_b64 exec, exec, s[18:19]
.LBB312_437:                            ;   in Loop: Header=BB312_280 Depth=1
	s_or_b64 exec, exec, s[16:17]
	v_lshrrev_b16_e32 v9, 8, v17
	v_cmp_ne_u16_e64 s[0:1], 0, v9
	s_and_saveexec_b64 s[16:17], s[0:1]
	s_cbranch_execz .LBB312_443
; %bb.438:                              ;   in Loop: Header=BB312_280 Depth=1
	v_cmp_ne_u16_e64 s[0:1], s28, v9
	v_bfrev_b32_e32 v12, 1
	s_and_saveexec_b64 s[18:19], s[0:1]
	s_cbranch_execz .LBB312_442
; %bb.439:                              ;   in Loop: Header=BB312_280 Depth=1
	v_and_b32_e32 v11, 0x7f, v9
	v_cmp_ne_u32_e64 s[0:1], s29, v11
	v_mov_b32_e32 v12, 0x7f800001
	s_and_saveexec_b64 s[20:21], s[0:1]
	s_cbranch_execz .LBB312_441
; %bb.440:                              ;   in Loop: Header=BB312_280 Depth=1
	v_and_b32_e32 v19, 7, v9
	v_lshrrev_b32_e32 v22, 3, v11
	v_cmp_gt_u32_e64 s[0:1], 8, v11
	v_ffbh_u32_e32 v11, v19
	v_min_u32_e32 v24, 32, v11
	v_subrev_u32_e32 v11, 28, v24
	v_lshlrev_b64 v[11:12], v11, v[9:10]
	v_sub_u32_e32 v9, 29, v24
	v_and_b32_e32 v11, 7, v11
	v_cndmask_b32_e64 v9, v22, v9, s[0:1]
	v_cndmask_b32_e64 v11, v19, v11, s[0:1]
	v_lshlrev_b32_e32 v12, 16, v17
	v_lshlrev_b32_e32 v11, 20, v11
	v_and_b32_e32 v12, 0x80000000, v12
	v_lshl_add_u32 v9, v9, 23, v53
	v_or3_b32 v12, v12, v9, v11
.LBB312_441:                            ;   in Loop: Header=BB312_280 Depth=1
	s_or_b64 exec, exec, s[20:21]
.LBB312_442:                            ;   in Loop: Header=BB312_280 Depth=1
	s_or_b64 exec, exec, s[18:19]
.LBB312_443:                            ;   in Loop: Header=BB312_280 Depth=1
	s_or_b64 exec, exec, s[16:17]
	v_lshrrev_b32_e32 v9, 16, v17
	v_cmp_ne_u16_sdwa s[0:1], v9, v10 src0_sel:BYTE_0 src1_sel:DWORD
	v_mov_b32_e32 v11, 0
	v_mov_b32_e32 v22, 0
	s_and_saveexec_b64 s[16:17], s[0:1]
	s_cbranch_execz .LBB312_449
; %bb.444:                              ;   in Loop: Header=BB312_280 Depth=1
	v_cmp_ne_u16_sdwa s[0:1], v9, s28 src0_sel:BYTE_0 src1_sel:DWORD
	v_bfrev_b32_e32 v22, 1
	s_and_saveexec_b64 s[18:19], s[0:1]
	s_cbranch_execz .LBB312_448
; %bb.445:                              ;   in Loop: Header=BB312_280 Depth=1
	v_bfe_u32 v19, v17, 16, 7
	v_cmp_ne_u32_e64 s[0:1], s29, v19
	v_mov_b32_e32 v22, 0x7f800001
	s_and_saveexec_b64 s[20:21], s[0:1]
	s_cbranch_execz .LBB312_447
; %bb.446:                              ;   in Loop: Header=BB312_280 Depth=1
	v_and_b32_e32 v22, 7, v9
	v_lshrrev_b32_e32 v26, 3, v19
	v_cmp_gt_u32_e64 s[0:1], 8, v19
	v_ffbh_u32_e32 v19, v22
	v_min_u32_e32 v19, 32, v19
	v_subrev_u32_e32 v24, 28, v19
	v_lshlrev_b64 v[24:25], v24, v[9:10]
	v_sub_u32_e32 v19, 29, v19
	v_and_b32_e32 v24, 7, v24
	v_cndmask_b32_e64 v19, v26, v19, s[0:1]
	v_cndmask_b32_e64 v22, v22, v24, s[0:1]
	v_lshlrev_b32_e32 v9, 24, v9
	v_lshlrev_b32_e32 v22, 20, v22
	v_and_b32_e32 v9, 0x80000000, v9
	v_lshl_add_u32 v19, v19, 23, v53
	v_or3_b32 v22, v9, v19, v22
.LBB312_447:                            ;   in Loop: Header=BB312_280 Depth=1
	s_or_b64 exec, exec, s[20:21]
.LBB312_448:                            ;   in Loop: Header=BB312_280 Depth=1
	s_or_b64 exec, exec, s[18:19]
.LBB312_449:                            ;   in Loop: Header=BB312_280 Depth=1
	s_or_b64 exec, exec, s[16:17]
	v_cmp_lt_u32_e64 s[0:1], s5, v17
	s_and_saveexec_b64 s[16:17], s[0:1]
	s_cbranch_execz .LBB312_455
; %bb.450:                              ;   in Loop: Header=BB312_280 Depth=1
	v_lshrrev_b32_e32 v9, 24, v17
	v_cmp_ne_u32_e64 s[0:1], s28, v9
	v_bfrev_b32_e32 v11, 1
	s_and_saveexec_b64 s[18:19], s[0:1]
	s_cbranch_execz .LBB312_454
; %bb.451:                              ;   in Loop: Header=BB312_280 Depth=1
	v_bfe_u32 v19, v17, 24, 7
	v_cmp_ne_u32_e64 s[0:1], s29, v19
	v_mov_b32_e32 v11, 0x7f800001
	s_and_saveexec_b64 s[20:21], s[0:1]
	s_cbranch_execz .LBB312_453
; %bb.452:                              ;   in Loop: Header=BB312_280 Depth=1
	v_and_b32_e32 v11, 7, v9
	v_lshrrev_b32_e32 v26, 3, v19
	v_cmp_gt_u32_e64 s[0:1], 8, v19
	v_ffbh_u32_e32 v19, v11
	v_min_u32_e32 v19, 32, v19
	v_subrev_u32_e32 v24, 28, v19
	v_lshlrev_b64 v[24:25], v24, v[9:10]
	v_sub_u32_e32 v19, 29, v19
	v_and_b32_e32 v24, 7, v24
	v_cndmask_b32_e64 v19, v26, v19, s[0:1]
	v_cndmask_b32_e64 v11, v11, v24, s[0:1]
	v_lshlrev_b32_e32 v9, 24, v9
	v_lshlrev_b32_e32 v11, 20, v11
	v_and_b32_e32 v9, 0x80000000, v9
	v_lshl_add_u32 v19, v19, 23, v53
	v_or3_b32 v11, v9, v19, v11
.LBB312_453:                            ;   in Loop: Header=BB312_280 Depth=1
	s_or_b64 exec, exec, s[20:21]
.LBB312_454:                            ;   in Loop: Header=BB312_280 Depth=1
	s_or_b64 exec, exec, s[18:19]
.LBB312_455:                            ;   in Loop: Header=BB312_280 Depth=1
	s_or_b64 exec, exec, s[16:17]
	v_mov_b32_e32 v9, v18
	v_cmp_ne_u16_sdwa s[0:1], v18, v10 src0_sel:BYTE_0 src1_sel:DWORD
	v_mov_b32_e32 v25, 0
	v_mov_b32_e32 v24, 0
	s_and_saveexec_b64 s[16:17], s[0:1]
	s_cbranch_execz .LBB312_461
; %bb.456:                              ;   in Loop: Header=BB312_280 Depth=1
	v_cmp_ne_u16_sdwa s[0:1], v18, s28 src0_sel:BYTE_0 src1_sel:DWORD
	v_bfrev_b32_e32 v24, 1
	s_and_saveexec_b64 s[18:19], s[0:1]
	s_cbranch_execz .LBB312_460
; %bb.457:                              ;   in Loop: Header=BB312_280 Depth=1
	v_and_b32_e32 v19, 0x7f, v18
	v_cmp_ne_u32_e64 s[0:1], s29, v19
	v_mov_b32_e32 v24, 0x7f800001
	s_and_saveexec_b64 s[20:21], s[0:1]
	s_cbranch_execz .LBB312_459
; %bb.458:                              ;   in Loop: Header=BB312_280 Depth=1
	v_and_b32_e32 v24, 7, v18
	v_lshrrev_b32_e32 v26, 3, v19
	v_cmp_gt_u32_e64 s[0:1], 8, v19
	v_ffbh_u32_e32 v19, v24
	v_min_u32_e32 v19, 32, v19
	v_subrev_u32_e32 v24, 28, v19
	v_sub_u32_e32 v19, 29, v19
	v_cndmask_b32_e64 v24, 0, v24, s[0:1]
	v_cndmask_b32_e64 v19, v26, v19, s[0:1]
	v_lshlrev_b64 v[26:27], v24, v[9:10]
	v_lshl_add_u32 v19, v19, 23, v53
	v_lshlrev_b32_e32 v24, 20, v26
	v_lshlrev_b32_e32 v26, 24, v9
	v_and_b32_e32 v24, 0x700000, v24
	v_and_b32_e32 v26, 0x80000000, v26
	v_or3_b32 v24, v26, v19, v24
.LBB312_459:                            ;   in Loop: Header=BB312_280 Depth=1
	s_or_b64 exec, exec, s[20:21]
.LBB312_460:                            ;   in Loop: Header=BB312_280 Depth=1
	s_or_b64 exec, exec, s[18:19]
.LBB312_461:                            ;   in Loop: Header=BB312_280 Depth=1
	s_or_b64 exec, exec, s[16:17]
	v_lshrrev_b16_e32 v19, 8, v9
	v_cmp_ne_u16_e64 s[0:1], 0, v19
	s_and_saveexec_b64 s[16:17], s[0:1]
	s_cbranch_execz .LBB312_467
; %bb.462:                              ;   in Loop: Header=BB312_280 Depth=1
	v_cmp_ne_u16_e64 s[0:1], s28, v19
	v_bfrev_b32_e32 v25, 1
	s_and_saveexec_b64 s[18:19], s[0:1]
	s_cbranch_execz .LBB312_466
; %bb.463:                              ;   in Loop: Header=BB312_280 Depth=1
	v_and_b32_e32 v26, 0x7f, v19
	v_cmp_ne_u32_e64 s[0:1], s29, v26
	v_mov_b32_e32 v25, 0x7f800001
	s_and_saveexec_b64 s[20:21], s[0:1]
	s_cbranch_execz .LBB312_465
; %bb.464:                              ;   in Loop: Header=BB312_280 Depth=1
	v_and_b32_e32 v27, 7, v19
	v_ffbh_u32_e32 v25, v27
	v_min_u32_e32 v29, 32, v25
	v_subrev_u32_e32 v25, 28, v29
	v_lshrrev_b32_e32 v28, 3, v26
	v_cmp_gt_u32_e64 s[0:1], 8, v26
	v_lshlrev_b64 v[25:26], v25, v[19:20]
	v_sub_u32_e32 v19, 29, v29
	v_and_b32_e32 v25, 7, v25
	v_cndmask_b32_e64 v19, v28, v19, s[0:1]
	v_cndmask_b32_e64 v25, v27, v25, s[0:1]
	v_lshlrev_b32_e32 v9, 16, v9
	v_lshlrev_b32_e32 v25, 20, v25
	v_and_b32_e32 v9, 0x80000000, v9
	v_lshl_add_u32 v19, v19, 23, v53
	v_or3_b32 v25, v9, v19, v25
.LBB312_465:                            ;   in Loop: Header=BB312_280 Depth=1
	s_or_b64 exec, exec, s[20:21]
.LBB312_466:                            ;   in Loop: Header=BB312_280 Depth=1
	s_or_b64 exec, exec, s[18:19]
.LBB312_467:                            ;   in Loop: Header=BB312_280 Depth=1
	s_or_b64 exec, exec, s[16:17]
	v_lshrrev_b32_e32 v9, 16, v18
	v_cmp_ne_u16_sdwa s[0:1], v9, v10 src0_sel:BYTE_0 src1_sel:DWORD
	v_mov_b32_e32 v26, 0
	v_mov_b32_e32 v27, 0
	s_and_saveexec_b64 s[16:17], s[0:1]
	s_cbranch_execz .LBB312_473
; %bb.468:                              ;   in Loop: Header=BB312_280 Depth=1
	v_cmp_ne_u16_sdwa s[0:1], v9, s28 src0_sel:BYTE_0 src1_sel:DWORD
	v_bfrev_b32_e32 v27, 1
	s_and_saveexec_b64 s[18:19], s[0:1]
	s_cbranch_execz .LBB312_472
; %bb.469:                              ;   in Loop: Header=BB312_280 Depth=1
	v_bfe_u32 v19, v18, 16, 7
	v_cmp_ne_u32_e64 s[0:1], s29, v19
	v_mov_b32_e32 v27, 0x7f800001
	s_and_saveexec_b64 s[20:21], s[0:1]
	s_cbranch_execz .LBB312_471
; %bb.470:                              ;   in Loop: Header=BB312_280 Depth=1
	v_and_b32_e32 v29, 7, v9
	v_lshrrev_b32_e32 v30, 3, v19
	v_cmp_gt_u32_e64 s[0:1], 8, v19
	v_ffbh_u32_e32 v19, v29
	v_min_u32_e32 v19, 32, v19
	v_subrev_u32_e32 v27, 28, v19
	v_lshlrev_b64 v[27:28], v27, v[9:10]
	v_sub_u32_e32 v19, 29, v19
	v_and_b32_e32 v27, 7, v27
	v_cndmask_b32_e64 v19, v30, v19, s[0:1]
	v_cndmask_b32_e64 v27, v29, v27, s[0:1]
	v_lshlrev_b32_e32 v9, 24, v9
	v_lshlrev_b32_e32 v27, 20, v27
	v_and_b32_e32 v9, 0x80000000, v9
	v_lshl_add_u32 v19, v19, 23, v53
	v_or3_b32 v27, v9, v19, v27
.LBB312_471:                            ;   in Loop: Header=BB312_280 Depth=1
	s_or_b64 exec, exec, s[20:21]
.LBB312_472:                            ;   in Loop: Header=BB312_280 Depth=1
	s_or_b64 exec, exec, s[18:19]
.LBB312_473:                            ;   in Loop: Header=BB312_280 Depth=1
	s_or_b64 exec, exec, s[16:17]
	v_cmp_lt_u64_e64 s[0:1], s[4:5], v[17:18]
	s_and_saveexec_b64 s[16:17], s[0:1]
	s_cbranch_execz .LBB312_479
; %bb.474:                              ;   in Loop: Header=BB312_280 Depth=1
	v_lshrrev_b32_e32 v9, 24, v18
	v_cmp_ne_u32_e64 s[0:1], s28, v9
	v_bfrev_b32_e32 v26, 1
	s_and_saveexec_b64 s[18:19], s[0:1]
	s_cbranch_execz .LBB312_478
; %bb.475:                              ;   in Loop: Header=BB312_280 Depth=1
	v_bfe_u32 v17, v18, 24, 7
	v_cmp_ne_u32_e64 s[0:1], s29, v17
	v_mov_b32_e32 v26, 0x7f800001
	s_and_saveexec_b64 s[20:21], s[0:1]
	s_cbranch_execz .LBB312_477
; %bb.476:                              ;   in Loop: Header=BB312_280 Depth=1
	v_and_b32_e32 v19, 7, v9
	v_lshrrev_b32_e32 v26, 3, v17
	v_cmp_gt_u32_e64 s[0:1], 8, v17
	v_ffbh_u32_e32 v17, v19
	v_min_u32_e32 v28, 32, v17
	v_subrev_u32_e32 v17, 28, v28
	v_lshlrev_b64 v[17:18], v17, v[9:10]
	v_sub_u32_e32 v18, 29, v28
	v_and_b32_e32 v17, 7, v17
	v_cndmask_b32_e64 v18, v26, v18, s[0:1]
	v_cndmask_b32_e64 v17, v19, v17, s[0:1]
	v_lshlrev_b32_e32 v9, 24, v9
	v_lshlrev_b32_e32 v17, 20, v17
	v_and_b32_e32 v9, 0x80000000, v9
	v_lshl_add_u32 v18, v18, 23, v53
	v_or3_b32 v26, v9, v18, v17
.LBB312_477:                            ;   in Loop: Header=BB312_280 Depth=1
	s_or_b64 exec, exec, s[20:21]
.LBB312_478:                            ;   in Loop: Header=BB312_280 Depth=1
	s_or_b64 exec, exec, s[18:19]
.LBB312_479:                            ;   in Loop: Header=BB312_280 Depth=1
	s_or_b64 exec, exec, s[16:17]
	v_mul_f32_e32 v9, s31, v25
	v_bfe_u32 v17, v9, 16, 1
	v_add3_u32 v17, v17, v9, s30
	v_or_b32_e32 v18, 0x400000, v9
	v_cmp_u_f32_e64 s[0:1], v9, v9
	v_cndmask_b32_e64 v9, v17, v18, s[0:1]
	v_lshrrev_b32_e32 v19, 16, v9
	v_mul_f32_e32 v9, s31, v24
	v_bfe_u32 v17, v9, 16, 1
	v_add3_u32 v17, v17, v9, s30
	v_or_b32_e32 v18, 0x400000, v9
	v_cmp_u_f32_e64 s[0:1], v9, v9
	v_cndmask_b32_e64 v9, v17, v18, s[0:1]
	v_lshrrev_b32_e32 v18, 16, v9
	;; [unrolled: 7-line block ×4, first 2 shown]
	v_mul_f32_e32 v9, s31, v12
	v_bfe_u32 v12, v9, 16, 1
	v_add3_u32 v12, v12, v9, s30
	v_or_b32_e32 v17, 0x400000, v9
	v_cmp_u_f32_e64 s[0:1], v9, v9
	v_cndmask_b32_e64 v9, v12, v17, s[0:1]
	v_mul_f32_e32 v0, s31, v0
	v_lshrrev_b32_e32 v31, 16, v9
	v_bfe_u32 v9, v0, 16, 1
	v_add3_u32 v9, v9, v0, s30
	v_or_b32_e32 v12, 0x400000, v0
	v_cmp_u_f32_e64 s[0:1], v0, v0
	v_cndmask_b32_e64 v0, v9, v12, s[0:1]
	v_lshrrev_b32_e32 v12, 16, v0
	v_mul_f32_e32 v0, s31, v27
	v_bfe_u32 v9, v0, 16, 1
	v_add3_u32 v9, v9, v0, s30
	v_or_b32_e32 v17, 0x400000, v0
	v_cmp_u_f32_e64 s[0:1], v0, v0
	v_cndmask_b32_e64 v0, v9, v17, s[0:1]
	v_mul_f32_e32 v9, s31, v26
	v_bfe_u32 v17, v9, 16, 1
	v_add3_u32 v17, v17, v9, s30
	v_or_b32_e32 v24, 0x400000, v9
	v_cmp_u_f32_e64 s[0:1], v9, v9
	v_cndmask_b32_e64 v9, v17, v24, s[0:1]
	v_lshrrev_b32_e32 v0, 16, v0
	v_lshrrev_b32_e32 v27, 16, v9
	s_and_saveexec_b64 s[16:17], vcc
	s_cbranch_execz .LBB312_481
; %bb.480:                              ;   in Loop: Header=BB312_280 Depth=1
	v_cmp_gt_i32_e64 s[0:1], s33, v43
	v_cndmask_b32_e64 v12, 0, v12, s[0:1]
	v_cmp_gt_i32_e64 s[0:1], s33, v50
	v_cndmask_b32_e64 v31, 0, v31, s[0:1]
	;; [unrolled: 2-line block ×8, first 2 shown]
.LBB312_481:                            ;   in Loop: Header=BB312_280 Depth=1
	s_or_b64 exec, exec, s[16:17]
	global_load_dwordx2 v[15:16], v[15:16], off offset:2048
	v_mov_b32_e32 v25, 0
	v_mov_b32_e32 v24, 0
	s_waitcnt vmcnt(0)
	v_cmp_ne_u16_sdwa s[0:1], v15, v10 src0_sel:BYTE_0 src1_sel:DWORD
	s_and_saveexec_b64 s[16:17], s[0:1]
	s_cbranch_execz .LBB312_487
; %bb.482:                              ;   in Loop: Header=BB312_280 Depth=1
	v_cmp_ne_u16_sdwa s[0:1], v15, s28 src0_sel:BYTE_0 src1_sel:DWORD
	v_bfrev_b32_e32 v24, 1
	s_and_saveexec_b64 s[18:19], s[0:1]
	s_cbranch_execz .LBB312_486
; %bb.483:                              ;   in Loop: Header=BB312_280 Depth=1
	v_and_b32_e32 v9, 0x7f, v15
	v_cmp_ne_u32_e64 s[0:1], s29, v9
	v_mov_b32_e32 v24, 0x7f800001
	s_and_saveexec_b64 s[20:21], s[0:1]
	s_cbranch_execz .LBB312_485
; %bb.484:                              ;   in Loop: Header=BB312_280 Depth=1
	v_and_b32_e32 v17, 7, v15
	v_lshrrev_b32_e32 v24, 3, v9
	v_cmp_gt_u32_e64 s[0:1], 8, v9
	v_ffbh_u32_e32 v9, v17
	v_min_u32_e32 v9, 32, v9
	v_subrev_u32_e32 v17, 28, v9
	v_cndmask_b32_e64 v17, 0, v17, s[0:1]
	v_lshlrev_b64 v[28:29], v17, v[15:16]
	v_sub_u32_e32 v9, 29, v9
	v_cndmask_b32_e64 v9, v24, v9, s[0:1]
	v_lshlrev_b32_e32 v17, 20, v28
	v_lshlrev_b32_e32 v24, 24, v15
	v_and_b32_e32 v17, 0x700000, v17
	v_and_b32_e32 v24, 0x80000000, v24
	v_lshl_add_u32 v9, v9, 23, v53
	v_or3_b32 v24, v24, v9, v17
.LBB312_485:                            ;   in Loop: Header=BB312_280 Depth=1
	s_or_b64 exec, exec, s[20:21]
.LBB312_486:                            ;   in Loop: Header=BB312_280 Depth=1
	s_or_b64 exec, exec, s[18:19]
.LBB312_487:                            ;   in Loop: Header=BB312_280 Depth=1
	s_or_b64 exec, exec, s[16:17]
	v_lshrrev_b16_e32 v9, 8, v15
	v_cmp_ne_u16_e64 s[0:1], 0, v9
	s_and_saveexec_b64 s[16:17], s[0:1]
	s_cbranch_execz .LBB312_493
; %bb.488:                              ;   in Loop: Header=BB312_280 Depth=1
	v_cmp_ne_u16_e64 s[0:1], s28, v9
	v_bfrev_b32_e32 v25, 1
	s_and_saveexec_b64 s[18:19], s[0:1]
	s_cbranch_execz .LBB312_492
; %bb.489:                              ;   in Loop: Header=BB312_280 Depth=1
	v_and_b32_e32 v17, 0x7f, v9
	v_cmp_ne_u32_e64 s[0:1], s29, v17
	v_mov_b32_e32 v25, 0x7f800001
	s_and_saveexec_b64 s[20:21], s[0:1]
	s_cbranch_execz .LBB312_491
; %bb.490:                              ;   in Loop: Header=BB312_280 Depth=1
	v_and_b32_e32 v28, 7, v9
	v_lshrrev_b32_e32 v29, 3, v17
	v_cmp_gt_u32_e64 s[0:1], 8, v17
	v_ffbh_u32_e32 v17, v28
	v_min_u32_e32 v17, 32, v17
	v_subrev_u32_e32 v25, 28, v17
	v_lshlrev_b64 v[25:26], v25, v[9:10]
	v_sub_u32_e32 v9, 29, v17
	v_and_b32_e32 v17, 7, v25
	v_cndmask_b32_e64 v9, v29, v9, s[0:1]
	v_cndmask_b32_e64 v17, v28, v17, s[0:1]
	v_lshlrev_b32_e32 v25, 16, v15
	v_lshlrev_b32_e32 v17, 20, v17
	v_and_b32_e32 v25, 0x80000000, v25
	v_lshl_add_u32 v9, v9, 23, v53
	v_or3_b32 v25, v25, v9, v17
.LBB312_491:                            ;   in Loop: Header=BB312_280 Depth=1
	s_or_b64 exec, exec, s[20:21]
.LBB312_492:                            ;   in Loop: Header=BB312_280 Depth=1
	s_or_b64 exec, exec, s[18:19]
.LBB312_493:                            ;   in Loop: Header=BB312_280 Depth=1
	s_or_b64 exec, exec, s[16:17]
	v_lshrrev_b32_e32 v9, 16, v15
	v_cmp_ne_u16_sdwa s[0:1], v9, v10 src0_sel:BYTE_0 src1_sel:DWORD
	v_mov_b32_e32 v28, 0
	v_mov_b32_e32 v26, 0
	s_and_saveexec_b64 s[16:17], s[0:1]
	s_cbranch_execz .LBB312_499
; %bb.494:                              ;   in Loop: Header=BB312_280 Depth=1
	v_cmp_ne_u16_sdwa s[0:1], v9, s28 src0_sel:BYTE_0 src1_sel:DWORD
	v_bfrev_b32_e32 v26, 1
	s_and_saveexec_b64 s[18:19], s[0:1]
	s_cbranch_execz .LBB312_498
; %bb.495:                              ;   in Loop: Header=BB312_280 Depth=1
	v_bfe_u32 v17, v15, 16, 7
	v_cmp_ne_u32_e64 s[0:1], s29, v17
	v_mov_b32_e32 v26, 0x7f800001
	s_and_saveexec_b64 s[20:21], s[0:1]
	s_cbranch_execz .LBB312_497
; %bb.496:                              ;   in Loop: Header=BB312_280 Depth=1
	v_and_b32_e32 v26, 7, v9
	v_lshrrev_b32_e32 v33, 3, v17
	v_cmp_gt_u32_e64 s[0:1], 8, v17
	v_ffbh_u32_e32 v17, v26
	v_min_u32_e32 v17, 32, v17
	v_subrev_u32_e32 v29, 28, v17
	v_lshlrev_b64 v[29:30], v29, v[9:10]
	v_sub_u32_e32 v17, 29, v17
	v_and_b32_e32 v29, 7, v29
	v_cndmask_b32_e64 v17, v33, v17, s[0:1]
	v_cndmask_b32_e64 v26, v26, v29, s[0:1]
	v_lshlrev_b32_e32 v9, 24, v9
	v_lshlrev_b32_e32 v26, 20, v26
	v_and_b32_e32 v9, 0x80000000, v9
	v_lshl_add_u32 v17, v17, 23, v53
	v_or3_b32 v26, v9, v17, v26
.LBB312_497:                            ;   in Loop: Header=BB312_280 Depth=1
	s_or_b64 exec, exec, s[20:21]
.LBB312_498:                            ;   in Loop: Header=BB312_280 Depth=1
	s_or_b64 exec, exec, s[18:19]
.LBB312_499:                            ;   in Loop: Header=BB312_280 Depth=1
	s_or_b64 exec, exec, s[16:17]
	v_cmp_lt_u32_e64 s[0:1], s5, v15
	s_and_saveexec_b64 s[16:17], s[0:1]
	s_cbranch_execz .LBB312_505
; %bb.500:                              ;   in Loop: Header=BB312_280 Depth=1
	v_lshrrev_b32_e32 v9, 24, v15
	v_cmp_ne_u32_e64 s[0:1], s28, v9
	v_bfrev_b32_e32 v28, 1
	s_and_saveexec_b64 s[18:19], s[0:1]
	s_cbranch_execz .LBB312_504
; %bb.501:                              ;   in Loop: Header=BB312_280 Depth=1
	v_bfe_u32 v17, v15, 24, 7
	v_cmp_ne_u32_e64 s[0:1], s29, v17
	v_mov_b32_e32 v28, 0x7f800001
	s_and_saveexec_b64 s[20:21], s[0:1]
	s_cbranch_execz .LBB312_503
; %bb.502:                              ;   in Loop: Header=BB312_280 Depth=1
	v_and_b32_e32 v30, 7, v9
	v_lshrrev_b32_e32 v33, 3, v17
	v_cmp_gt_u32_e64 s[0:1], 8, v17
	v_ffbh_u32_e32 v17, v30
	v_min_u32_e32 v17, 32, v17
	v_subrev_u32_e32 v28, 28, v17
	v_lshlrev_b64 v[28:29], v28, v[9:10]
	v_sub_u32_e32 v17, 29, v17
	v_and_b32_e32 v28, 7, v28
	v_cndmask_b32_e64 v17, v33, v17, s[0:1]
	v_cndmask_b32_e64 v28, v30, v28, s[0:1]
	v_lshlrev_b32_e32 v9, 24, v9
	v_lshlrev_b32_e32 v28, 20, v28
	v_and_b32_e32 v9, 0x80000000, v9
	v_lshl_add_u32 v17, v17, 23, v53
	v_or3_b32 v28, v9, v17, v28
.LBB312_503:                            ;   in Loop: Header=BB312_280 Depth=1
	s_or_b64 exec, exec, s[20:21]
.LBB312_504:                            ;   in Loop: Header=BB312_280 Depth=1
	s_or_b64 exec, exec, s[18:19]
.LBB312_505:                            ;   in Loop: Header=BB312_280 Depth=1
	s_or_b64 exec, exec, s[16:17]
	v_mov_b32_e32 v9, v16
	v_cmp_ne_u16_sdwa s[0:1], v16, v10 src0_sel:BYTE_0 src1_sel:DWORD
	v_mov_b32_e32 v34, 0
	v_mov_b32_e32 v33, 0
	s_and_saveexec_b64 s[16:17], s[0:1]
	s_cbranch_execz .LBB312_511
; %bb.506:                              ;   in Loop: Header=BB312_280 Depth=1
	v_cmp_ne_u16_sdwa s[0:1], v16, s28 src0_sel:BYTE_0 src1_sel:DWORD
	v_bfrev_b32_e32 v33, 1
	s_and_saveexec_b64 s[18:19], s[0:1]
	s_cbranch_execz .LBB312_510
; %bb.507:                              ;   in Loop: Header=BB312_280 Depth=1
	v_and_b32_e32 v17, 0x7f, v16
	v_cmp_ne_u32_e64 s[0:1], s29, v17
	v_mov_b32_e32 v33, 0x7f800001
	s_and_saveexec_b64 s[20:21], s[0:1]
	s_cbranch_execz .LBB312_509
; %bb.508:                              ;   in Loop: Header=BB312_280 Depth=1
	v_and_b32_e32 v29, 7, v16
	v_lshrrev_b32_e32 v30, 3, v17
	v_cmp_gt_u32_e64 s[0:1], 8, v17
	v_ffbh_u32_e32 v17, v29
	v_min_u32_e32 v17, 32, v17
	v_subrev_u32_e32 v29, 28, v17
	v_sub_u32_e32 v17, 29, v17
	v_cndmask_b32_e64 v29, 0, v29, s[0:1]
	v_cndmask_b32_e64 v17, v30, v17, s[0:1]
	v_lshlrev_b64 v[29:30], v29, v[9:10]
	v_lshlrev_b32_e32 v30, 24, v9
	v_lshlrev_b32_e32 v29, 20, v29
	v_and_b32_e32 v29, 0x700000, v29
	v_and_b32_e32 v30, 0x80000000, v30
	v_lshl_add_u32 v17, v17, 23, v53
	v_or3_b32 v33, v30, v17, v29
.LBB312_509:                            ;   in Loop: Header=BB312_280 Depth=1
	s_or_b64 exec, exec, s[20:21]
.LBB312_510:                            ;   in Loop: Header=BB312_280 Depth=1
	s_or_b64 exec, exec, s[18:19]
.LBB312_511:                            ;   in Loop: Header=BB312_280 Depth=1
	s_or_b64 exec, exec, s[16:17]
	v_lshrrev_b16_e32 v17, 8, v9
	v_cmp_ne_u16_e64 s[0:1], 0, v17
	s_and_saveexec_b64 s[16:17], s[0:1]
	s_cbranch_execz .LBB312_517
; %bb.512:                              ;   in Loop: Header=BB312_280 Depth=1
	v_cmp_ne_u16_e64 s[0:1], s28, v17
	v_bfrev_b32_e32 v34, 1
	s_and_saveexec_b64 s[18:19], s[0:1]
	s_cbranch_execz .LBB312_516
; %bb.513:                              ;   in Loop: Header=BB312_280 Depth=1
	v_and_b32_e32 v29, 0x7f, v17
	v_cmp_ne_u32_e64 s[0:1], s29, v29
	v_mov_b32_e32 v34, 0x7f800001
	s_and_saveexec_b64 s[20:21], s[0:1]
	s_cbranch_execz .LBB312_515
; %bb.514:                              ;   in Loop: Header=BB312_280 Depth=1
	v_and_b32_e32 v34, 7, v17
	v_lshrrev_b32_e32 v35, 3, v29
	v_cmp_gt_u32_e64 s[0:1], 8, v29
	v_ffbh_u32_e32 v29, v34
	v_min_u32_e32 v36, 32, v29
	v_subrev_u32_e32 v29, 28, v36
	v_lshlrev_b64 v[29:30], v29, v[17:18]
	v_sub_u32_e32 v17, 29, v36
	v_cndmask_b32_e64 v17, v35, v17, s[0:1]
	buffer_load_dword v35, off, s[60:63], 0 offset:60 ; 4-byte Folded Reload
	buffer_load_dword v36, off, s[60:63], 0 offset:64 ; 4-byte Folded Reload
	v_and_b32_e32 v29, 7, v29
	v_cndmask_b32_e64 v29, v34, v29, s[0:1]
	v_lshlrev_b32_e32 v9, 16, v9
	v_lshlrev_b32_e32 v29, 20, v29
	v_and_b32_e32 v9, 0x80000000, v9
	v_lshl_add_u32 v17, v17, 23, v53
	v_or3_b32 v34, v9, v17, v29
.LBB312_515:                            ;   in Loop: Header=BB312_280 Depth=1
	s_or_b64 exec, exec, s[20:21]
.LBB312_516:                            ;   in Loop: Header=BB312_280 Depth=1
	s_or_b64 exec, exec, s[18:19]
.LBB312_517:                            ;   in Loop: Header=BB312_280 Depth=1
	s_or_b64 exec, exec, s[16:17]
	v_lshrrev_b32_e32 v9, 16, v16
	v_cmp_ne_u16_sdwa s[0:1], v9, v10 src0_sel:BYTE_0 src1_sel:DWORD
	v_mov_b32_e32 v29, 0
	v_mov_b32_e32 v17, 0
	s_and_saveexec_b64 s[16:17], s[0:1]
	s_cbranch_execz .LBB312_523
; %bb.518:                              ;   in Loop: Header=BB312_280 Depth=1
	v_cmp_ne_u16_sdwa s[0:1], v9, s28 src0_sel:BYTE_0 src1_sel:DWORD
	v_bfrev_b32_e32 v17, 1
	s_and_saveexec_b64 s[18:19], s[0:1]
	s_cbranch_execz .LBB312_522
; %bb.519:                              ;   in Loop: Header=BB312_280 Depth=1
	v_bfe_u32 v30, v16, 16, 7
	v_cmp_ne_u32_e64 s[0:1], s29, v30
	v_mov_b32_e32 v17, 0x7f800001
	s_and_saveexec_b64 s[20:21], s[0:1]
	s_cbranch_execz .LBB312_521
; %bb.520:                              ;   in Loop: Header=BB312_280 Depth=1
	v_and_b32_e32 v17, 7, v9
	v_mov_b32_e32 v53, v52
	v_mov_b32_e32 v52, v51
	;; [unrolled: 1-line block ×7, first 2 shown]
	v_lshrrev_b32_e32 v37, 3, v30
	v_cmp_gt_u32_e64 s[0:1], 8, v30
	v_ffbh_u32_e32 v30, v17
	v_min_u32_e32 v30, 32, v30
	s_waitcnt vmcnt(1)
	v_subrev_u32_e32 v35, 28, v30
	s_waitcnt vmcnt(0)
	v_lshlrev_b64 v[35:36], v35, v[9:10]
	v_sub_u32_e32 v30, 29, v30
	v_and_b32_e32 v35, 7, v35
	v_cndmask_b32_e64 v17, v17, v35, s[0:1]
	buffer_load_dword v35, off, s[60:63], 0 offset:60 ; 4-byte Folded Reload
	buffer_load_dword v36, off, s[60:63], 0 offset:64 ; 4-byte Folded Reload
	v_cndmask_b32_e64 v30, v37, v30, s[0:1]
	v_mov_b32_e32 v37, v39
	v_mov_b32_e32 v39, v40
	;; [unrolled: 1-line block ×7, first 2 shown]
	v_bfrev_b32_e32 v53, 60
	v_lshlrev_b32_e32 v9, 24, v9
	v_lshlrev_b32_e32 v17, 20, v17
	v_and_b32_e32 v9, 0x80000000, v9
	v_lshl_add_u32 v30, v30, 23, v53
	v_or3_b32 v17, v9, v30, v17
.LBB312_521:                            ;   in Loop: Header=BB312_280 Depth=1
	s_or_b64 exec, exec, s[20:21]
.LBB312_522:                            ;   in Loop: Header=BB312_280 Depth=1
	s_or_b64 exec, exec, s[18:19]
.LBB312_523:                            ;   in Loop: Header=BB312_280 Depth=1
	s_or_b64 exec, exec, s[16:17]
	v_cmp_lt_u64_e64 s[0:1], s[4:5], v[15:16]
	s_and_saveexec_b64 s[16:17], s[0:1]
	s_cbranch_execz .LBB312_529
; %bb.524:                              ;   in Loop: Header=BB312_280 Depth=1
	v_lshrrev_b32_e32 v9, 24, v16
	v_cmp_ne_u32_e64 s[0:1], s28, v9
	v_bfrev_b32_e32 v29, 1
	s_and_saveexec_b64 s[18:19], s[0:1]
	s_cbranch_execz .LBB312_528
; %bb.525:                              ;   in Loop: Header=BB312_280 Depth=1
	v_bfe_u32 v15, v16, 24, 7
	v_cmp_ne_u32_e64 s[0:1], s29, v15
	v_mov_b32_e32 v29, 0x7f800001
	s_and_saveexec_b64 s[20:21], s[0:1]
	s_cbranch_execz .LBB312_527
; %bb.526:                              ;   in Loop: Header=BB312_280 Depth=1
	v_and_b32_e32 v29, 7, v9
	v_lshrrev_b32_e32 v30, 3, v15
	v_cmp_gt_u32_e64 s[0:1], 8, v15
	v_ffbh_u32_e32 v15, v29
	s_waitcnt vmcnt(1)
	v_min_u32_e32 v35, 32, v15
	v_subrev_u32_e32 v15, 28, v35
	v_lshlrev_b64 v[15:16], v15, v[9:10]
	v_sub_u32_e32 v16, 29, v35
	buffer_load_dword v35, off, s[60:63], 0 offset:60 ; 4-byte Folded Reload
	buffer_load_dword v36, off, s[60:63], 0 offset:64 ; 4-byte Folded Reload
	v_and_b32_e32 v15, 7, v15
	v_cndmask_b32_e64 v16, v30, v16, s[0:1]
	v_cndmask_b32_e64 v15, v29, v15, s[0:1]
	v_lshlrev_b32_e32 v9, 24, v9
	v_lshlrev_b32_e32 v15, 20, v15
	v_and_b32_e32 v9, 0x80000000, v9
	v_lshl_add_u32 v16, v16, 23, v53
	v_or3_b32 v29, v9, v16, v15
.LBB312_527:                            ;   in Loop: Header=BB312_280 Depth=1
	s_or_b64 exec, exec, s[20:21]
.LBB312_528:                            ;   in Loop: Header=BB312_280 Depth=1
	s_or_b64 exec, exec, s[18:19]
.LBB312_529:                            ;   in Loop: Header=BB312_280 Depth=1
	s_or_b64 exec, exec, s[16:17]
	v_mul_f32_e32 v9, s31, v34
	v_bfe_u32 v15, v9, 16, 1
	v_add3_u32 v15, v15, v9, s30
	v_or_b32_e32 v16, 0x400000, v9
	v_cmp_u_f32_e64 s[0:1], v9, v9
	v_cndmask_b32_e64 v9, v15, v16, s[0:1]
	v_mul_f32_e32 v15, s31, v33
	v_bfe_u32 v16, v15, 16, 1
	v_add3_u32 v16, v16, v15, s30
	v_or_b32_e32 v30, 0x400000, v15
	v_cmp_u_f32_e64 s[0:1], v15, v15
	v_cndmask_b32_e64 v15, v16, v30, s[0:1]
	v_mul_f32_e32 v16, s31, v28
	v_bfe_u32 v28, v16, 16, 1
	v_add3_u32 v28, v28, v16, s30
	v_or_b32_e32 v30, 0x400000, v16
	v_cmp_u_f32_e64 s[0:1], v16, v16
	v_mul_f32_e32 v26, s31, v26
	v_cndmask_b32_e64 v16, v28, v30, s[0:1]
	v_bfe_u32 v28, v26, 16, 1
	v_add3_u32 v28, v28, v26, s30
	v_or_b32_e32 v30, 0x400000, v26
	v_cmp_u_f32_e64 s[0:1], v26, v26
	v_mul_f32_e32 v25, s31, v25
	v_cndmask_b32_e64 v26, v28, v30, s[0:1]
	;; [unrolled: 6-line block ×3, first 2 shown]
	v_bfe_u32 v28, v24, 16, 1
	v_add3_u32 v28, v28, v24, s30
	v_or_b32_e32 v30, 0x400000, v24
	v_cmp_u_f32_e64 s[0:1], v24, v24
	v_cndmask_b32_e64 v24, v28, v30, s[0:1]
	v_mul_f32_e32 v17, s31, v17
	v_lshrrev_b32_e32 v28, 16, v24
	v_bfe_u32 v24, v17, 16, 1
	v_add3_u32 v24, v24, v17, s30
	v_or_b32_e32 v30, 0x400000, v17
	v_cmp_u_f32_e64 s[0:1], v17, v17
	v_cndmask_b32_e64 v17, v24, v30, s[0:1]
	v_mul_f32_e32 v24, s31, v29
	v_bfe_u32 v29, v24, 16, 1
	v_add3_u32 v29, v29, v24, s30
	v_or_b32_e32 v30, 0x400000, v24
	v_cmp_u_f32_e64 s[0:1], v24, v24
	v_cndmask_b32_e64 v24, v29, v30, s[0:1]
	v_lshrrev_b32_e32 v9, 16, v9
	v_lshrrev_b32_e32 v15, 16, v15
	;; [unrolled: 1-line block ×7, first 2 shown]
	s_and_saveexec_b64 s[0:1], vcc
	s_cbranch_execz .LBB312_278
; %bb.530:                              ;   in Loop: Header=BB312_280 Depth=1
	v_cmp_gt_i32_e32 vcc, s33, v43
	v_cndmask_b32_e32 v28, 0, v28, vcc
	v_cmp_gt_i32_e32 vcc, s33, v50
	v_cndmask_b32_e32 v25, 0, v25, vcc
	;; [unrolled: 2-line block ×8, first 2 shown]
	s_branch .LBB312_278
.LBB312_531:
	s_or_b64 exec, exec, s[6:7]
	buffer_load_dword v14, off, s[60:63], 0 offset:68 ; 4-byte Folded Reload
	buffer_load_dword v15, off, s[60:63], 0 offset:72 ; 4-byte Folded Reload
	;; [unrolled: 1-line block ×4, first 2 shown]
.LBB312_532:
	s_or_b64 exec, exec, s[2:3]
	s_waitcnt vmcnt(2)
	ds_bpermute_b32 v1, v15, v51
	ds_bpermute_b32 v3, v15, v39
	s_waitcnt vmcnt(0) lgkmcnt(0)
	s_barrier
	v_add_f32_e32 v1, v51, v1
	ds_bpermute_b32 v5, v16, v1
	v_add_f32_e32 v8, v39, v3
	ds_bpermute_b32 v0, v15, v42
	ds_bpermute_b32 v6, v15, v37
	;; [unrolled: 1-line block ×3, first 2 shown]
	s_waitcnt lgkmcnt(3)
	v_add_f32_e32 v3, v1, v5
	buffer_load_dword v5, off, s[60:63], 0 offset:140 ; 4-byte Folded Reload
	s_waitcnt lgkmcnt(2)
	v_add_f32_e32 v0, v42, v0
	s_waitcnt lgkmcnt(1)
	v_add_f32_e32 v6, v37, v6
	ds_bpermute_b32 v4, v16, v0
	s_waitcnt lgkmcnt(1)
	v_add_f32_e32 v2, v40, v2
	ds_bpermute_b32 v10, v16, v6
	ds_bpermute_b32 v7, v16, v2
	ds_bpermute_b32 v9, v16, v8
	s_waitcnt lgkmcnt(3)
	v_add_f32_e32 v4, v0, v4
	s_waitcnt lgkmcnt(2)
	v_add_f32_e32 v0, v6, v10
	;; [unrolled: 2-line block ×4, first 2 shown]
	s_waitcnt vmcnt(0)
	v_and_b32_e32 v6, 0x3c3, v5
	v_cmp_eq_u32_e32 vcc, 64, v6
	s_and_saveexec_b64 s[0:1], vcc
	s_cbranch_execz .LBB312_534
; %bb.533:
	v_add_u32_e32 v5, 0xb0, v14
	ds_write2_b32 v5, v4, v3 offset1:16
	ds_write2_b32 v5, v2, v1 offset0:32 offset1:48
	ds_write_b32 v5, v0 offset:256
.LBB312_534:
	s_or_b64 exec, exec, s[0:1]
	buffer_load_dword v5, off, s[60:63], 0 offset:140 ; 4-byte Folded Reload
	s_waitcnt vmcnt(0) lgkmcnt(0)
	s_barrier
	v_cmp_gt_u32_e32 vcc, 64, v5
	v_lshrrev_b32_e32 v5, 2, v5
	s_and_saveexec_b64 s[0:1], vcc
	s_cbranch_execz .LBB312_542
; %bb.535:
	v_mov_b32_e32 v7, 0xb0
	v_cmp_eq_u32_e32 vcc, 0, v11
	v_lshl_add_u32 v7, v5, 2, v7
	s_and_saveexec_b64 s[2:3], vcc
	s_cbranch_execnz .LBB312_545
; %bb.536:
	s_or_b64 exec, exec, s[2:3]
	s_and_saveexec_b64 s[2:3], vcc
	s_cbranch_execnz .LBB312_546
.LBB312_537:
	s_or_b64 exec, exec, s[2:3]
	s_and_saveexec_b64 s[2:3], vcc
	s_cbranch_execnz .LBB312_547
.LBB312_538:
	s_or_b64 exec, exec, s[2:3]
	s_and_saveexec_b64 s[2:3], vcc
	s_cbranch_execnz .LBB312_548
.LBB312_539:
	s_or_b64 exec, exec, s[2:3]
	s_and_saveexec_b64 s[2:3], vcc
	s_cbranch_execz .LBB312_541
.LBB312_540:
	ds_read_b32 v7, v7 offset:256
	s_waitcnt lgkmcnt(0)
	v_add_f32_e32 v0, v0, v7
.LBB312_541:
	s_or_b64 exec, exec, s[2:3]
.LBB312_542:
	s_or_b64 exec, exec, s[0:1]
	v_cmp_eq_u32_e32 vcc, 0, v6
	s_barrier
	s_and_saveexec_b64 s[0:1], vcc
	s_cbranch_execz .LBB312_544
; %bb.543:
	s_mul_i32 s0, s10, s11
	s_mul_i32 s0, s0, s9
	s_mulk_i32 s0, 0x50
	s_ashr_i32 s1, s0, 31
	s_lshl_b64 s[0:1], s[0:1], 1
	s_add_u32 s2, s26, s0
	s_mul_i32 s0, s11, s24
	s_addc_u32 s3, s27, s1
	s_ashr_i32 s1, s0, 31
	s_lshl_b64 s[0:1], s[0:1], 1
	s_add_u32 s2, s2, s0
	s_mul_i32 s0, s8, 0x50
	s_addc_u32 s3, s3, s1
	s_ashr_i32 s1, s0, 31
	s_lshl_b64 s[0:1], s[0:1], 1
	s_add_u32 s0, s2, s0
	v_bfe_u32 v6, v4, 16, 1
	s_movk_i32 s2, 0x7fff
	v_add3_u32 v6, v6, v4, s2
	v_or_b32_e32 v7, 0x400000, v4
	v_cmp_u_f32_e32 vcc, v4, v4
	s_addc_u32 s1, s3, s1
	v_lshlrev_b32_e32 v5, 1, v5
	v_cndmask_b32_e32 v4, v6, v7, vcc
	global_store_short_d16_hi v5, v4, s[0:1]
	v_bfe_u32 v4, v3, 16, 1
	v_add3_u32 v4, v4, v3, s2
	v_or_b32_e32 v6, 0x400000, v3
	v_cmp_u_f32_e32 vcc, v3, v3
	v_cndmask_b32_e32 v3, v4, v6, vcc
	global_store_short_d16_hi v5, v3, s[0:1] offset:32
	v_bfe_u32 v3, v2, 16, 1
	v_add3_u32 v3, v3, v2, s2
	v_or_b32_e32 v4, 0x400000, v2
	v_cmp_u_f32_e32 vcc, v2, v2
	v_cndmask_b32_e32 v2, v3, v4, vcc
	global_store_short_d16_hi v5, v2, s[0:1] offset:64
	;; [unrolled: 6-line block ×4, first 2 shown]
.LBB312_544:
	s_endpgm
.LBB312_545:
	ds_read_b32 v8, v7
	s_waitcnt lgkmcnt(0)
	v_add_f32_e32 v4, v4, v8
	s_or_b64 exec, exec, s[2:3]
	s_and_saveexec_b64 s[2:3], vcc
	s_cbranch_execz .LBB312_537
.LBB312_546:
	ds_read_b32 v8, v7 offset:64
	s_waitcnt lgkmcnt(0)
	v_add_f32_e32 v3, v3, v8
	s_or_b64 exec, exec, s[2:3]
	s_and_saveexec_b64 s[2:3], vcc
	s_cbranch_execz .LBB312_538
.LBB312_547:
	ds_read_b32 v8, v7 offset:128
	s_waitcnt lgkmcnt(0)
	v_add_f32_e32 v2, v2, v8
	s_or_b64 exec, exec, s[2:3]
	s_and_saveexec_b64 s[2:3], vcc
	s_cbranch_execz .LBB312_539
.LBB312_548:
	ds_read_b32 v8, v7 offset:192
	s_waitcnt lgkmcnt(0)
	v_add_f32_e32 v1, v1, v8
	s_or_b64 exec, exec, s[2:3]
	s_and_saveexec_b64 s[2:3], vcc
	s_cbranch_execnz .LBB312_540
	s_branch .LBB312_541
	.section	.rodata,"a",@progbits
	.p2align	6, 0x0
	.amdhsa_kernel _ZN4vllm25paged_attention_v1_kernelI14__hip_bfloat16hLi80ELi32ELi128ELNS_18Fp8KVCacheDataTypeE1ELb1EEEvPT_PKS3_PKT0_S9_ifPKiSB_iPKfiiiSD_SD_iiiii
		.amdhsa_group_segment_fixed_size 176
		.amdhsa_private_segment_fixed_size 188
		.amdhsa_kernarg_size 384
		.amdhsa_user_sgpr_count 6
		.amdhsa_user_sgpr_private_segment_buffer 1
		.amdhsa_user_sgpr_dispatch_ptr 0
		.amdhsa_user_sgpr_queue_ptr 0
		.amdhsa_user_sgpr_kernarg_segment_ptr 1
		.amdhsa_user_sgpr_dispatch_id 0
		.amdhsa_user_sgpr_flat_scratch_init 0
		.amdhsa_user_sgpr_private_segment_size 0
		.amdhsa_uses_dynamic_stack 0
		.amdhsa_system_sgpr_private_segment_wavefront_offset 1
		.amdhsa_system_sgpr_workgroup_id_x 1
		.amdhsa_system_sgpr_workgroup_id_y 1
		.amdhsa_system_sgpr_workgroup_id_z 1
		.amdhsa_system_sgpr_workgroup_info 0
		.amdhsa_system_vgpr_workitem_id 0
		.amdhsa_next_free_vgpr 64
		.amdhsa_next_free_sgpr 64
		.amdhsa_reserve_vcc 1
		.amdhsa_reserve_flat_scratch 0
		.amdhsa_float_round_mode_32 0
		.amdhsa_float_round_mode_16_64 0
		.amdhsa_float_denorm_mode_32 3
		.amdhsa_float_denorm_mode_16_64 3
		.amdhsa_dx10_clamp 1
		.amdhsa_ieee_mode 1
		.amdhsa_fp16_overflow 0
		.amdhsa_exception_fp_ieee_invalid_op 0
		.amdhsa_exception_fp_denorm_src 0
		.amdhsa_exception_fp_ieee_div_zero 0
		.amdhsa_exception_fp_ieee_overflow 0
		.amdhsa_exception_fp_ieee_underflow 0
		.amdhsa_exception_fp_ieee_inexact 0
		.amdhsa_exception_int_div_zero 0
	.end_amdhsa_kernel
	.section	.text._ZN4vllm25paged_attention_v1_kernelI14__hip_bfloat16hLi80ELi32ELi128ELNS_18Fp8KVCacheDataTypeE1ELb1EEEvPT_PKS3_PKT0_S9_ifPKiSB_iPKfiiiSD_SD_iiiii,"axG",@progbits,_ZN4vllm25paged_attention_v1_kernelI14__hip_bfloat16hLi80ELi32ELi128ELNS_18Fp8KVCacheDataTypeE1ELb1EEEvPT_PKS3_PKT0_S9_ifPKiSB_iPKfiiiSD_SD_iiiii,comdat
.Lfunc_end312:
	.size	_ZN4vllm25paged_attention_v1_kernelI14__hip_bfloat16hLi80ELi32ELi128ELNS_18Fp8KVCacheDataTypeE1ELb1EEEvPT_PKS3_PKT0_S9_ifPKiSB_iPKfiiiSD_SD_iiiii, .Lfunc_end312-_ZN4vllm25paged_attention_v1_kernelI14__hip_bfloat16hLi80ELi32ELi128ELNS_18Fp8KVCacheDataTypeE1ELb1EEEvPT_PKS3_PKT0_S9_ifPKiSB_iPKfiiiSD_SD_iiiii
                                        ; -- End function
	.set _ZN4vllm25paged_attention_v1_kernelI14__hip_bfloat16hLi80ELi32ELi128ELNS_18Fp8KVCacheDataTypeE1ELb1EEEvPT_PKS3_PKT0_S9_ifPKiSB_iPKfiiiSD_SD_iiiii.num_vgpr, 64
	.set _ZN4vllm25paged_attention_v1_kernelI14__hip_bfloat16hLi80ELi32ELi128ELNS_18Fp8KVCacheDataTypeE1ELb1EEEvPT_PKS3_PKT0_S9_ifPKiSB_iPKfiiiSD_SD_iiiii.num_agpr, 0
	.set _ZN4vllm25paged_attention_v1_kernelI14__hip_bfloat16hLi80ELi32ELi128ELNS_18Fp8KVCacheDataTypeE1ELb1EEEvPT_PKS3_PKT0_S9_ifPKiSB_iPKfiiiSD_SD_iiiii.numbered_sgpr, 64
	.set _ZN4vllm25paged_attention_v1_kernelI14__hip_bfloat16hLi80ELi32ELi128ELNS_18Fp8KVCacheDataTypeE1ELb1EEEvPT_PKS3_PKT0_S9_ifPKiSB_iPKfiiiSD_SD_iiiii.num_named_barrier, 0
	.set _ZN4vllm25paged_attention_v1_kernelI14__hip_bfloat16hLi80ELi32ELi128ELNS_18Fp8KVCacheDataTypeE1ELb1EEEvPT_PKS3_PKT0_S9_ifPKiSB_iPKfiiiSD_SD_iiiii.private_seg_size, 188
	.set _ZN4vllm25paged_attention_v1_kernelI14__hip_bfloat16hLi80ELi32ELi128ELNS_18Fp8KVCacheDataTypeE1ELb1EEEvPT_PKS3_PKT0_S9_ifPKiSB_iPKfiiiSD_SD_iiiii.uses_vcc, 1
	.set _ZN4vllm25paged_attention_v1_kernelI14__hip_bfloat16hLi80ELi32ELi128ELNS_18Fp8KVCacheDataTypeE1ELb1EEEvPT_PKS3_PKT0_S9_ifPKiSB_iPKfiiiSD_SD_iiiii.uses_flat_scratch, 0
	.set _ZN4vllm25paged_attention_v1_kernelI14__hip_bfloat16hLi80ELi32ELi128ELNS_18Fp8KVCacheDataTypeE1ELb1EEEvPT_PKS3_PKT0_S9_ifPKiSB_iPKfiiiSD_SD_iiiii.has_dyn_sized_stack, 0
	.set _ZN4vllm25paged_attention_v1_kernelI14__hip_bfloat16hLi80ELi32ELi128ELNS_18Fp8KVCacheDataTypeE1ELb1EEEvPT_PKS3_PKT0_S9_ifPKiSB_iPKfiiiSD_SD_iiiii.has_recursion, 0
	.set _ZN4vllm25paged_attention_v1_kernelI14__hip_bfloat16hLi80ELi32ELi128ELNS_18Fp8KVCacheDataTypeE1ELb1EEEvPT_PKS3_PKT0_S9_ifPKiSB_iPKfiiiSD_SD_iiiii.has_indirect_call, 0
	.section	.AMDGPU.csdata,"",@progbits
; Kernel info:
; codeLenInByte = 27892
; TotalNumSgprs: 68
; NumVgprs: 64
; ScratchSize: 188
; MemoryBound: 0
; FloatMode: 240
; IeeeMode: 1
; LDSByteSize: 176 bytes/workgroup (compile time only)
; SGPRBlocks: 8
; VGPRBlocks: 15
; NumSGPRsForWavesPerEU: 68
; NumVGPRsForWavesPerEU: 64
; Occupancy: 4
; WaveLimiterHint : 1
; COMPUTE_PGM_RSRC2:SCRATCH_EN: 1
; COMPUTE_PGM_RSRC2:USER_SGPR: 6
; COMPUTE_PGM_RSRC2:TRAP_HANDLER: 0
; COMPUTE_PGM_RSRC2:TGID_X_EN: 1
; COMPUTE_PGM_RSRC2:TGID_Y_EN: 1
; COMPUTE_PGM_RSRC2:TGID_Z_EN: 1
; COMPUTE_PGM_RSRC2:TIDIG_COMP_CNT: 0
	.section	.text._ZN4vllm25paged_attention_v1_kernelI14__hip_bfloat16hLi96ELi32ELi128ELNS_18Fp8KVCacheDataTypeE1ELb1EEEvPT_PKS3_PKT0_S9_ifPKiSB_iPKfiiiSD_SD_iiiii,"axG",@progbits,_ZN4vllm25paged_attention_v1_kernelI14__hip_bfloat16hLi96ELi32ELi128ELNS_18Fp8KVCacheDataTypeE1ELb1EEEvPT_PKS3_PKT0_S9_ifPKiSB_iPKfiiiSD_SD_iiiii,comdat
	.protected	_ZN4vllm25paged_attention_v1_kernelI14__hip_bfloat16hLi96ELi32ELi128ELNS_18Fp8KVCacheDataTypeE1ELb1EEEvPT_PKS3_PKT0_S9_ifPKiSB_iPKfiiiSD_SD_iiiii ; -- Begin function _ZN4vllm25paged_attention_v1_kernelI14__hip_bfloat16hLi96ELi32ELi128ELNS_18Fp8KVCacheDataTypeE1ELb1EEEvPT_PKS3_PKT0_S9_ifPKiSB_iPKfiiiSD_SD_iiiii
	.globl	_ZN4vllm25paged_attention_v1_kernelI14__hip_bfloat16hLi96ELi32ELi128ELNS_18Fp8KVCacheDataTypeE1ELb1EEEvPT_PKS3_PKT0_S9_ifPKiSB_iPKfiiiSD_SD_iiiii
	.p2align	8
	.type	_ZN4vllm25paged_attention_v1_kernelI14__hip_bfloat16hLi96ELi32ELi128ELNS_18Fp8KVCacheDataTypeE1ELb1EEEvPT_PKS3_PKT0_S9_ifPKiSB_iPKfiiiSD_SD_iiiii,@function
_ZN4vllm25paged_attention_v1_kernelI14__hip_bfloat16hLi96ELi32ELi128ELNS_18Fp8KVCacheDataTypeE1ELb1EEEvPT_PKS3_PKT0_S9_ifPKiSB_iPKfiiiSD_SD_iiiii: ; @_ZN4vllm25paged_attention_v1_kernelI14__hip_bfloat16hLi96ELi32ELi128ELNS_18Fp8KVCacheDataTypeE1ELb1EEEvPT_PKS3_PKT0_S9_ifPKiSB_iPKfiiiSD_SD_iiiii
; %bb.0:
	s_mov_b64 s[62:63], s[2:3]
	s_mov_b64 s[60:61], s[0:1]
	s_add_u32 s60, s60, s9
	s_addc_u32 s61, s61, 0
	buffer_store_dword v0, off, s[60:63], 0 offset:240 ; 4-byte Folded Spill
	s_load_dword s9, s[4:5], 0x80
	s_load_dwordx2 s[0:1], s[4:5], 0x30
	s_load_dwordx2 s[36:37], s[4:5], 0x20
	s_mov_b32 s10, s7
	s_ashr_i32 s11, s7, 31
	s_lshl_b64 s[2:3], s[10:11], 2
	s_waitcnt lgkmcnt(0)
	s_add_u32 s0, s0, s2
	s_addc_u32 s1, s1, s3
	s_abs_i32 s2, s36
	v_cvt_f32_u32_e32 v0, s2
	s_sub_i32 s11, 0, s2
	s_abs_i32 s7, s9
	s_xor_b32 s3, s9, s36
	v_rcp_iflag_f32_e32 v0, v0
	s_ashr_i32 s3, s3, 31
	s_mov_b32 s48, 0
	v_mul_f32_e32 v0, 0x4f7ffffe, v0
	v_cvt_u32_f32_e32 v0, v0
	v_readfirstlane_b32 s12, v0
	s_mul_i32 s11, s11, s12
	s_mul_hi_u32 s11, s12, s11
	s_add_i32 s12, s12, s11
	s_mul_hi_u32 s11, s7, s12
	s_mul_i32 s12, s11, s2
	s_sub_i32 s7, s7, s12
	s_add_i32 s12, s11, 1
	s_sub_i32 s13, s7, s2
	s_cmp_ge_u32 s7, s2
	s_cselect_b32 s11, s12, s11
	s_cselect_b32 s7, s13, s7
	s_add_i32 s12, s11, 1
	s_cmp_ge_u32 s7, s2
	s_cselect_b32 s2, s12, s11
	s_xor_b32 s2, s2, s3
	s_sub_i32 s14, s2, s3
	s_abs_i32 s11, s14
	v_cvt_f32_u32_e32 v0, s11
	s_load_dwordx2 s[2:3], s[4:5], 0x40
	s_sub_i32 s7, 0, s11
	s_abs_i32 s12, s6
	v_rcp_iflag_f32_e32 v0, v0
	v_mul_f32_e32 v0, 0x4f7ffffe, v0
	v_cvt_u32_f32_e32 v0, v0
	v_readfirstlane_b32 s13, v0
	s_mul_i32 s7, s7, s13
	s_mul_hi_u32 s7, s13, s7
	s_add_i32 s13, s13, s7
	s_waitcnt lgkmcnt(0)
	s_cmp_eq_u64 s[2:3], 0
	s_mul_hi_u32 s13, s12, s13
	s_cbranch_scc1 .LBB313_2
; %bb.1:
	s_ashr_i32 s7, s6, 31
	s_lshl_b64 s[16:17], s[6:7], 2
	s_add_u32 s2, s2, s16
	s_addc_u32 s3, s3, s17
	s_load_dword s48, s[2:3], 0x0
.LBB313_2:
	buffer_load_dword v1, off, s[60:63], 0 offset:240 ; 4-byte Folded Reload
	s_load_dword s33, s[0:1], 0x0
	s_load_dwordx4 s[16:19], s[4:5], 0x48
	s_ashr_i32 s2, s6, 31
	s_ashr_i32 s7, s14, 31
	s_movk_i32 s3, 0x60
	s_mul_i32 s24, s6, 0x60
	s_waitcnt vmcnt(0)
	v_and_b32_e32 v0, 1, v1
	v_cmp_gt_u32_e32 vcc, 24, v1
	v_lshlrev_b32_e32 v12, 3, v1
	s_and_saveexec_b64 s[0:1], vcc
	s_cbranch_execz .LBB313_4
; %bb.3:
	s_load_dwordx2 s[14:15], s[4:5], 0x8
	s_waitcnt lgkmcnt(0)
	s_mul_i32 s20, s16, s10
	s_ashr_i32 s21, s20, 31
	s_lshl_b64 s[20:21], s[20:21], 1
	buffer_load_dword v3, off, s[60:63], 0 offset:240 ; 4-byte Folded Reload
	s_add_u32 s16, s14, s20
	s_addc_u32 s19, s15, s21
	s_ashr_i32 s25, s24, 31
	s_lshl_b64 s[14:15], s[24:25], 1
	s_add_u32 s14, s16, s14
	s_addc_u32 s15, s19, s15
	global_load_dwordx2 v[1:2], v12, s[14:15]
	s_waitcnt vmcnt(1)
	v_lshlrev_b32_e32 v3, 2, v3
	v_and_b32_e32 v3, 0xff8, v3
	v_mad_u32_u24 v3, v0, s3, v3
	s_waitcnt vmcnt(0)
	ds_write_b64 v3, v[1:2]
.LBB313_4:
	s_or_b64 exec, exec, s[0:1]
	s_mul_i32 s1, s13, s11
	s_sub_i32 s1, s12, s1
	s_xor_b32 s0, s2, s7
	s_add_i32 s2, s13, 1
	s_sub_i32 s7, s1, s11
	s_load_dwordx4 s[20:23], s[4:5], 0x68
	s_load_dword s3, s[4:5], 0x78
	s_cmp_ge_u32 s1, s11
	s_cselect_b32 s2, s2, s13
	s_cselect_b32 s1, s7, s1
	s_add_i32 s7, s2, 1
	s_cmp_ge_u32 s1, s11
	s_cselect_b32 s1, s7, s2
	s_waitcnt lgkmcnt(0)
	s_abs_i32 s25, s23
	v_cvt_f32_u32_e32 v1, s25
	s_xor_b32 s1, s1, s0
	s_sub_i32 s2, s1, s0
	s_sub_i32 s0, 0, s25
	v_rcp_iflag_f32_e32 v1, v1
	s_add_i32 s11, s33, -1
	s_abs_i32 s7, s11
	v_mul_f32_e32 v1, 0x4f7ffffe, v1
	v_cvt_u32_f32_e32 v1, v1
	s_barrier
	v_readfirstlane_b32 s46, v1
	s_mul_i32 s0, s0, s46
	s_mul_hi_u32 s0, s46, s0
	s_add_i32 s46, s46, s0
	s_cmp_lt_i32 s3, 0
	s_mul_hi_u32 s16, s7, s46
	s_cbranch_scc0 .LBB313_6
; %bb.5:
	s_mul_i32 s0, s20, s36
	s_add_i32 s0, s2, s0
	s_mul_i32 s0, s0, s3
	s_sub_i32 s36, 1, s0
	s_mov_b64 s[0:1], 0
	s_branch .LBB313_7
.LBB313_6:
	s_mov_b64 s[0:1], -1
                                        ; implicit-def: $sgpr36
.LBB313_7:
	s_load_dwordx2 s[28:29], s[4:5], 0x28
	s_ashr_i32 s19, s11, 31
	s_andn2_b64 vcc, exec, s[0:1]
	s_ashr_i32 s23, s23, 31
	s_cbranch_vccnz .LBB313_9
; %bb.8:
	s_mul_i32 s0, s9, s20
	s_add_i32 s0, s0, s6
	s_mul_i32 s0, s0, s3
	s_add_i32 s36, s0, 1
.LBB313_9:
	s_load_dword s0, s[4:5], 0x38
	s_load_dwordx2 s[26:27], s[4:5], 0x0
	s_load_dwordx2 s[34:35], s[4:5], 0x18
	s_load_dword s11, s[4:5], 0x88
	s_load_dwordx4 s[12:15], s[4:5], 0x58
	buffer_load_dword v1, off, s[60:63], 0 offset:240 ; 4-byte Folded Reload
	s_mul_i32 s1, s16, s25
	s_waitcnt lgkmcnt(0)
	s_mul_i32 s30, s0, s10
	s_sub_i32 s1, s7, s1
	s_ashr_i32 s31, s30, 31
	s_xor_b32 s0, s19, s23
	s_add_i32 s3, s16, 1
	s_sub_i32 s6, s1, s25
	s_cmp_ge_u32 s1, s25
	s_cselect_b32 s3, s3, s16
	s_cselect_b32 s1, s6, s1
	s_add_i32 s6, s3, 1
	s_cmp_ge_u32 s1, s25
	s_cselect_b32 s1, s6, s3
	s_xor_b32 s1, s1, s0
	s_sub_i32 s16, s1, s0
	s_add_i32 s0, s33, 31
	s_ashr_i32 s1, s0, 31
	s_lshr_b32 s1, s1, 27
	s_add_i32 s0, s0, s1
	s_ashr_i32 s47, s0, 5
	v_mov_b32_e32 v3, 0xff7fffff
	s_mul_i32 s20, s2, s18
	v_mbcnt_lo_u32_b32 v5, -1, 0
	s_waitcnt vmcnt(0)
	v_lshrrev_b32_e32 v2, 6, v1
	v_cmp_gt_i32_e64 s[0:1], s47, v2
	v_lshrrev_b32_e32 v13, 4, v1
	v_lshlrev_b32_e32 v1, 5, v2
	buffer_store_dword v2, off, s[60:63], 0 ; 4-byte Folded Spill
	buffer_store_dword v1, off, s[60:63], 0 offset:4 ; 4-byte Folded Spill
	s_and_saveexec_b64 s[18:19], s[0:1]
	s_cbranch_execz .LBB313_309
; %bb.10:
	buffer_load_dword v2, off, s[60:63], 0 offset:240 ; 4-byte Folded Reload
	s_load_dwordx2 s[2:3], s[4:5], 0x10
	s_sub_i32 s49, s16, s21
	s_ashr_i32 s4, s20, 31
	v_cmp_eq_u32_e32 vcc, 0, v0
	buffer_store_dword v12, off, s[60:63], 0 offset:272 ; 4-byte Folded Spill
	s_waitcnt lgkmcnt(0)
	s_add_u32 s5, s2, s20
	s_addc_u32 s4, s3, s4
	s_abs_i32 s50, s22
	v_cvt_f32_u32_e32 v1, s50
	s_sub_i32 s2, 0, s50
	v_mov_b32_e32 v4, s4
	s_mov_b32 s51, s17
	v_rcp_iflag_f32_e32 v1, v1
	s_mov_b64 s[38:39], 0
	s_movk_i32 s52, 0x80
	s_movk_i32 s53, 0x7f
	v_mul_f32_e32 v1, 0x4f7ffffe, v1
	v_cvt_u32_f32_e32 v1, v1
	s_mov_b32 s54, 0xffffff
	s_movk_i32 s55, 0x7fff
	s_waitcnt vmcnt(1)
	v_bfe_u32 v6, v2, 1, 5
	v_lshlrev_b32_e32 v2, 2, v0
	v_mul_u32_u24_e32 v0, 0x60, v0
	buffer_store_dword v0, off, s[60:63], 0 offset:248 ; 4-byte Folded Spill
	v_mul_lo_u32 v0, s2, v1
	v_lshlrev_b32_e32 v3, 4, v6
	v_add_co_u32_e64 v3, s[4:5], s5, v3
	v_mul_hi_u32 v0, v1, v0
	v_addc_co_u32_e64 v4, s[4:5], 0, v4, s[4:5]
	v_cmp_neq_f32_e64 s[2:3], s48, 0
	v_add_u32_e32 v0, v1, v0
	buffer_store_dword v0, off, s[60:63], 0 offset:8 ; 4-byte Folded Spill
	v_add_co_u32_e64 v0, s[4:5], v3, v2
	v_addc_co_u32_e64 v1, s[4:5], 0, v4, s[4:5]
	buffer_store_dword v0, off, s[60:63], 0 offset:252 ; 4-byte Folded Spill
	s_nop 0
	buffer_store_dword v1, off, s[60:63], 0 offset:256 ; 4-byte Folded Spill
	buffer_store_dword v13, off, s[60:63], 0 offset:276 ; 4-byte Folded Spill
	buffer_load_dword v48, off, s[60:63], 0 ; 4-byte Folded Reload
	s_lshl_b64 s[4:5], s[30:31], 2
	s_add_u32 s4, s28, s4
	v_and_b32_e32 v0, 60, v13
	s_addc_u32 s5, s29, s5
	v_mov_b32_e32 v1, s5
	v_add_co_u32_e64 v27, s[4:5], s4, v0
	v_subrev_u32_e32 v0, s33, v6
	v_add_u32_e32 v0, 1, v0
	buffer_store_dword v0, off, s[60:63], 0 offset:268 ; 4-byte Folded Spill
	buffer_store_dword v6, off, s[60:63], 0 offset:264 ; 4-byte Folded Spill
	v_lshlrev_b32_e32 v0, 2, v6
	v_addc_co_u32_e64 v28, s[4:5], 0, v1, s[4:5]
	s_waitcnt vmcnt(2)
	v_lshl_or_b32 v0, v48, 7, v0
	v_add_u32_e32 v44, 0xd0, v0
	v_mbcnt_hi_u32_b32 v0, -1, v5
	v_lshlrev_b32_e32 v42, 5, v48
	buffer_store_dword v0, off, s[60:63], 0 offset:260 ; 4-byte Folded Spill
	v_mov_b32_e32 v0, 0xff7fffff
	buffer_store_dword v0, off, s[60:63], 0 offset:244 ; 4-byte Folded Spill
	s_branch .LBB313_13
.LBB313_11:                             ;   in Loop: Header=BB313_13 Depth=1
	s_or_b64 exec, exec, s[40:41]
.LBB313_12:                             ;   in Loop: Header=BB313_13 Depth=1
	s_or_b64 exec, exec, s[6:7]
	v_add_co_u32_e64 v27, s[4:5], 8, v27
	v_add_u32_e32 v48, 2, v48
	v_addc_co_u32_e64 v28, s[4:5], 0, v28, s[4:5]
	v_cmp_le_i32_e64 s[4:5], s47, v48
	v_add_u32_e32 v42, 64, v42
	s_or_b64 s[38:39], s[4:5], s[38:39]
	v_add_u32_e32 v44, 0x100, v44
	s_andn2_b64 exec, exec, s[38:39]
	s_cbranch_execz .LBB313_308
.LBB313_13:                             ; =>This Inner Loop Header: Depth=1
	buffer_load_dword v3, off, s[60:63], 0 offset:8 ; 4-byte Folded Reload
	v_mul_hi_u32 v0, v42, s46
	s_waitcnt lgkmcnt(0)
	v_mul_lo_u32 v1, v0, s25
	v_add_u32_e32 v2, 1, v0
	v_sub_u32_e32 v1, v42, v1
	v_cmp_le_u32_e64 s[4:5], s25, v1
	v_cndmask_b32_e64 v0, v0, v2, s[4:5]
	v_subrev_u32_e32 v2, s25, v1
	v_cndmask_b32_e64 v1, v1, v2, s[4:5]
	v_add_u32_e32 v2, 1, v0
	v_cmp_le_u32_e64 s[4:5], s25, v1
	v_cndmask_b32_e64 v0, v0, v2, s[4:5]
	v_xor_b32_e32 v0, s23, v0
	v_subrev_u32_e32 v0, s23, v0
	v_add_u32_e32 v1, s36, v0
	v_sub_u32_e32 v2, 0, v1
	v_max_i32_e32 v2, v1, v2
	v_ashrrev_i32_e32 v1, 31, v1
	v_cmp_ge_i32_e64 s[6:7], s49, v0
	s_waitcnt vmcnt(0)
	v_mul_hi_u32 v3, v2, v3
	v_mul_lo_u32 v3, v3, s50
	v_sub_u32_e32 v2, v2, v3
	v_subrev_u32_e32 v3, s50, v2
	v_cmp_le_u32_e64 s[4:5], s50, v2
	v_cndmask_b32_e64 v2, v2, v3, s[4:5]
	v_subrev_u32_e32 v3, s50, v2
	v_cmp_le_u32_e64 s[4:5], s50, v2
	v_cndmask_b32_e64 v2, v2, v3, s[4:5]
	v_xor_b32_e32 v2, v2, v1
	v_sub_u32_e32 v1, v2, v1
	v_cmp_ne_u32_e64 s[4:5], 0, v1
	s_and_b64 s[4:5], s[4:5], s[6:7]
	s_and_saveexec_b64 s[6:7], s[4:5]
	s_xor_b64 s[4:5], exec, s[6:7]
	s_cbranch_execz .LBB313_17
; %bb.14:                               ;   in Loop: Header=BB313_13 Depth=1
	s_and_saveexec_b64 s[6:7], vcc
; %bb.15:                               ;   in Loop: Header=BB313_13 Depth=1
	v_mov_b32_e32 v0, 0xff7fffff
	ds_write_b32 v44, v0
; %bb.16:                               ;   in Loop: Header=BB313_13 Depth=1
	s_or_b64 exec, exec, s[6:7]
.LBB313_17:                             ;   in Loop: Header=BB313_13 Depth=1
	s_andn2_saveexec_b64 s[6:7], s[4:5]
	s_cbranch_execz .LBB313_12
; %bb.18:                               ;   in Loop: Header=BB313_13 Depth=1
	global_load_dword v0, v[27:28], off
	buffer_load_dword v1, off, s[60:63], 0 offset:252 ; 4-byte Folded Reload
	buffer_load_dword v2, off, s[60:63], 0 offset:256 ; 4-byte Folded Reload
	v_mov_b32_e32 v6, 0
	v_mov_b32_e32 v63, 0
	s_waitcnt vmcnt(0)
	v_mad_i64_i32 v[29:30], s[4:5], v0, s51, v[1:2]
	buffer_load_dword v0, off, s[60:63], 0 offset:248 ; 4-byte Folded Reload
	global_load_dword v31, v[29:30], off
	s_waitcnt vmcnt(1)
	ds_read_b128 v[49:52], v0
	ds_read_b128 v[1:4], v0 offset:16
	s_waitcnt lgkmcnt(0)
	buffer_store_dword v1, off, s[60:63], 0 offset:80 ; 4-byte Folded Spill
	s_nop 0
	buffer_store_dword v2, off, s[60:63], 0 offset:84 ; 4-byte Folded Spill
	buffer_store_dword v3, off, s[60:63], 0 offset:88 ; 4-byte Folded Spill
	;; [unrolled: 1-line block ×3, first 2 shown]
	v_mov_b32_e32 v1, 0
	s_waitcnt vmcnt(4)
	v_cmp_ne_u16_sdwa s[4:5], v31, v1 src0_sel:BYTE_0 src1_sel:DWORD
	ds_read_b128 v[1:4], v0 offset:32
	s_load_dword s56, s[12:13], 0x0
	s_waitcnt lgkmcnt(0)
	buffer_store_dword v1, off, s[60:63], 0 offset:60 ; 4-byte Folded Spill
	s_nop 0
	buffer_store_dword v2, off, s[60:63], 0 offset:64 ; 4-byte Folded Spill
	buffer_store_dword v3, off, s[60:63], 0 offset:68 ; 4-byte Folded Spill
	buffer_store_dword v4, off, s[60:63], 0 offset:72 ; 4-byte Folded Spill
	ds_read_b128 v[1:4], v0 offset:48
	s_waitcnt lgkmcnt(0)
	buffer_store_dword v1, off, s[60:63], 0 offset:44 ; 4-byte Folded Spill
	s_nop 0
	buffer_store_dword v2, off, s[60:63], 0 offset:48 ; 4-byte Folded Spill
	buffer_store_dword v3, off, s[60:63], 0 offset:52 ; 4-byte Folded Spill
	buffer_store_dword v4, off, s[60:63], 0 offset:56 ; 4-byte Folded Spill
	ds_read_b128 v[1:4], v0 offset:64
	;; [unrolled: 7-line block ×3, first 2 shown]
	s_waitcnt lgkmcnt(0)
	buffer_store_dword v32, off, s[60:63], 0 offset:12 ; 4-byte Folded Spill
	s_nop 0
	buffer_store_dword v33, off, s[60:63], 0 offset:16 ; 4-byte Folded Spill
	buffer_store_dword v34, off, s[60:63], 0 offset:20 ; 4-byte Folded Spill
	;; [unrolled: 1-line block ×3, first 2 shown]
	s_and_saveexec_b64 s[40:41], s[4:5]
	s_cbranch_execz .LBB313_24
; %bb.19:                               ;   in Loop: Header=BB313_13 Depth=1
	v_cmp_ne_u16_sdwa s[4:5], v31, s52 src0_sel:BYTE_0 src1_sel:DWORD
	v_bfrev_b32_e32 v63, 1
	s_and_saveexec_b64 s[42:43], s[4:5]
	s_cbranch_execz .LBB313_23
; %bb.20:                               ;   in Loop: Header=BB313_13 Depth=1
	v_and_b32_e32 v0, 0x7f, v31
	v_cmp_ne_u32_e64 s[4:5], s53, v0
	v_mov_b32_e32 v63, 0x7f800001
	s_and_saveexec_b64 s[44:45], s[4:5]
	s_cbranch_execz .LBB313_22
; %bb.21:                               ;   in Loop: Header=BB313_13 Depth=1
	v_and_b32_e32 v32, 7, v31
	v_ffbh_u32_e32 v25, v32
	v_min_u32_e32 v34, 32, v25
	v_subrev_u32_e32 v25, 28, v34
	v_lshlrev_b64 v[25:26], v25, v[31:32]
	v_lshrrev_b32_e32 v33, 3, v0
	v_sub_u32_e32 v26, 29, v34
	v_and_b32_e32 v25, 7, v25
	v_cmp_gt_u32_e64 s[4:5], 8, v0
	v_cndmask_b32_e64 v0, v33, v26, s[4:5]
	v_cndmask_b32_e64 v25, v32, v25, s[4:5]
	v_lshlrev_b32_e32 v26, 24, v31
	v_bfrev_b32_e32 v5, 60
	v_lshlrev_b32_e32 v25, 20, v25
	v_and_b32_e32 v26, 0x80000000, v26
	v_lshl_add_u32 v0, v0, 23, v5
	v_or3_b32 v63, v26, v0, v25
.LBB313_22:                             ;   in Loop: Header=BB313_13 Depth=1
	s_or_b64 exec, exec, s[44:45]
.LBB313_23:                             ;   in Loop: Header=BB313_13 Depth=1
	s_or_b64 exec, exec, s[42:43]
.LBB313_24:                             ;   in Loop: Header=BB313_13 Depth=1
	s_or_b64 exec, exec, s[40:41]
	v_lshrrev_b16_e32 v32, 8, v31
	v_cmp_ne_u16_e64 s[4:5], 0, v32
	s_and_saveexec_b64 s[40:41], s[4:5]
	s_cbranch_execz .LBB313_30
; %bb.25:                               ;   in Loop: Header=BB313_13 Depth=1
	v_cmp_ne_u16_e64 s[4:5], s52, v32
	v_bfrev_b32_e32 v6, 1
	s_and_saveexec_b64 s[42:43], s[4:5]
	s_cbranch_execz .LBB313_29
; %bb.26:                               ;   in Loop: Header=BB313_13 Depth=1
	v_and_b32_e32 v0, 0x7f, v32
	v_cmp_ne_u32_e64 s[4:5], s53, v0
	v_mov_b32_e32 v6, 0x7f800001
	s_and_saveexec_b64 s[44:45], s[4:5]
	s_cbranch_execz .LBB313_28
; %bb.27:                               ;   in Loop: Header=BB313_13 Depth=1
	v_and_b32_e32 v33, 7, v32
	v_ffbh_u32_e32 v25, v33
	v_min_u32_e32 v35, 32, v25
	v_subrev_u32_e32 v25, 28, v35
	v_lshlrev_b64 v[25:26], v25, v[32:33]
	v_lshrrev_b32_e32 v34, 3, v0
	v_sub_u32_e32 v26, 29, v35
	v_and_b32_e32 v25, 7, v25
	v_cmp_gt_u32_e64 s[4:5], 8, v0
	v_cndmask_b32_e64 v0, v34, v26, s[4:5]
	v_cndmask_b32_e64 v25, v33, v25, s[4:5]
	v_lshlrev_b32_e32 v26, 16, v31
	v_bfrev_b32_e32 v5, 60
	v_lshlrev_b32_e32 v25, 20, v25
	v_and_b32_e32 v26, 0x80000000, v26
	v_lshl_add_u32 v0, v0, 23, v5
	v_or3_b32 v6, v26, v0, v25
.LBB313_28:                             ;   in Loop: Header=BB313_13 Depth=1
	s_or_b64 exec, exec, s[44:45]
.LBB313_29:                             ;   in Loop: Header=BB313_13 Depth=1
	s_or_b64 exec, exec, s[42:43]
.LBB313_30:                             ;   in Loop: Header=BB313_13 Depth=1
	s_or_b64 exec, exec, s[40:41]
	v_lshrrev_b32_e32 v32, 16, v31
	v_mov_b32_e32 v0, 0
	v_cmp_ne_u16_sdwa s[4:5], v32, v0 src0_sel:BYTE_0 src1_sel:DWORD
	v_mov_b32_e32 v8, 0
	v_mov_b32_e32 v39, 0
	s_and_saveexec_b64 s[40:41], s[4:5]
	s_cbranch_execz .LBB313_36
; %bb.31:                               ;   in Loop: Header=BB313_13 Depth=1
	v_cmp_ne_u16_sdwa s[4:5], v32, s52 src0_sel:BYTE_0 src1_sel:DWORD
	v_bfrev_b32_e32 v39, 1
	s_and_saveexec_b64 s[42:43], s[4:5]
	s_cbranch_execz .LBB313_35
; %bb.32:                               ;   in Loop: Header=BB313_13 Depth=1
	v_bfe_u32 v0, v31, 16, 7
	v_cmp_ne_u32_e64 s[4:5], s53, v0
	v_mov_b32_e32 v39, 0x7f800001
	s_and_saveexec_b64 s[44:45], s[4:5]
	s_cbranch_execz .LBB313_34
; %bb.33:                               ;   in Loop: Header=BB313_13 Depth=1
	v_and_b32_e32 v33, 7, v32
	v_ffbh_u32_e32 v25, v33
	v_min_u32_e32 v35, 32, v25
	v_subrev_u32_e32 v25, 28, v35
	v_lshlrev_b64 v[25:26], v25, v[32:33]
	v_lshrrev_b32_e32 v34, 3, v0
	v_sub_u32_e32 v26, 29, v35
	v_and_b32_e32 v25, 7, v25
	v_cmp_gt_u32_e64 s[4:5], 8, v0
	v_cndmask_b32_e64 v0, v34, v26, s[4:5]
	v_cndmask_b32_e64 v25, v33, v25, s[4:5]
	v_lshlrev_b32_e32 v26, 24, v32
	v_bfrev_b32_e32 v5, 60
	v_lshlrev_b32_e32 v25, 20, v25
	v_and_b32_e32 v26, 0x80000000, v26
	v_lshl_add_u32 v0, v0, 23, v5
	v_or3_b32 v39, v26, v0, v25
.LBB313_34:                             ;   in Loop: Header=BB313_13 Depth=1
	s_or_b64 exec, exec, s[44:45]
.LBB313_35:                             ;   in Loop: Header=BB313_13 Depth=1
	s_or_b64 exec, exec, s[42:43]
.LBB313_36:                             ;   in Loop: Header=BB313_13 Depth=1
	s_or_b64 exec, exec, s[40:41]
	v_cmp_lt_u32_e64 s[4:5], s54, v31
	s_and_saveexec_b64 s[40:41], s[4:5]
	s_cbranch_execz .LBB313_42
; %bb.37:                               ;   in Loop: Header=BB313_13 Depth=1
	v_lshrrev_b32_e32 v32, 24, v31
	v_cmp_ne_u32_e64 s[4:5], s52, v32
	v_bfrev_b32_e32 v8, 1
	s_and_saveexec_b64 s[42:43], s[4:5]
	s_cbranch_execz .LBB313_41
; %bb.38:                               ;   in Loop: Header=BB313_13 Depth=1
	v_bfe_u32 v0, v31, 24, 7
	v_cmp_ne_u32_e64 s[4:5], s53, v0
	v_mov_b32_e32 v8, 0x7f800001
	s_and_saveexec_b64 s[44:45], s[4:5]
	s_cbranch_execz .LBB313_40
; %bb.39:                               ;   in Loop: Header=BB313_13 Depth=1
	v_and_b32_e32 v31, 7, v32
	v_ffbh_u32_e32 v25, v31
	v_min_u32_e32 v34, 32, v25
	v_lshrrev_b32_e32 v33, 3, v0
	v_subrev_u32_e32 v25, 28, v34
	v_lshlrev_b64 v[25:26], v25, v[32:33]
	v_sub_u32_e32 v26, 29, v34
	v_and_b32_e32 v25, 7, v25
	v_cmp_gt_u32_e64 s[4:5], 8, v0
	v_cndmask_b32_e64 v0, v33, v26, s[4:5]
	v_cndmask_b32_e64 v25, v31, v25, s[4:5]
	v_lshlrev_b32_e32 v26, 24, v32
	v_bfrev_b32_e32 v5, 60
	v_lshlrev_b32_e32 v25, 20, v25
	v_and_b32_e32 v26, 0x80000000, v26
	v_lshl_add_u32 v0, v0, 23, v5
	v_or3_b32 v8, v26, v0, v25
.LBB313_40:                             ;   in Loop: Header=BB313_13 Depth=1
	s_or_b64 exec, exec, s[44:45]
.LBB313_41:                             ;   in Loop: Header=BB313_13 Depth=1
	s_or_b64 exec, exec, s[42:43]
.LBB313_42:                             ;   in Loop: Header=BB313_13 Depth=1
	s_or_b64 exec, exec, s[40:41]
	global_load_dword v31, v[29:30], off offset:8
	v_mov_b32_e32 v0, 0
	v_mov_b32_e32 v40, 0
	;; [unrolled: 1-line block ×3, first 2 shown]
	s_waitcnt vmcnt(0)
	v_cmp_ne_u16_sdwa s[4:5], v31, v0 src0_sel:BYTE_0 src1_sel:DWORD
	s_and_saveexec_b64 s[40:41], s[4:5]
	s_cbranch_execz .LBB313_48
; %bb.43:                               ;   in Loop: Header=BB313_13 Depth=1
	v_cmp_ne_u16_sdwa s[4:5], v31, s52 src0_sel:BYTE_0 src1_sel:DWORD
	v_bfrev_b32_e32 v62, 1
	s_and_saveexec_b64 s[42:43], s[4:5]
	s_cbranch_execz .LBB313_47
; %bb.44:                               ;   in Loop: Header=BB313_13 Depth=1
	v_and_b32_e32 v0, 0x7f, v31
	v_cmp_ne_u32_e64 s[4:5], s53, v0
	v_mov_b32_e32 v62, 0x7f800001
	s_and_saveexec_b64 s[44:45], s[4:5]
	s_cbranch_execz .LBB313_46
; %bb.45:                               ;   in Loop: Header=BB313_13 Depth=1
	v_and_b32_e32 v32, 7, v31
	v_ffbh_u32_e32 v25, v32
	v_min_u32_e32 v34, 32, v25
	v_subrev_u32_e32 v25, 28, v34
	v_lshlrev_b64 v[25:26], v25, v[31:32]
	v_lshrrev_b32_e32 v33, 3, v0
	v_sub_u32_e32 v26, 29, v34
	v_and_b32_e32 v25, 7, v25
	v_cmp_gt_u32_e64 s[4:5], 8, v0
	v_cndmask_b32_e64 v0, v33, v26, s[4:5]
	v_cndmask_b32_e64 v25, v32, v25, s[4:5]
	v_lshlrev_b32_e32 v26, 24, v31
	v_bfrev_b32_e32 v5, 60
	v_lshlrev_b32_e32 v25, 20, v25
	v_and_b32_e32 v26, 0x80000000, v26
	v_lshl_add_u32 v0, v0, 23, v5
	v_or3_b32 v62, v26, v0, v25
.LBB313_46:                             ;   in Loop: Header=BB313_13 Depth=1
	s_or_b64 exec, exec, s[44:45]
.LBB313_47:                             ;   in Loop: Header=BB313_13 Depth=1
	s_or_b64 exec, exec, s[42:43]
.LBB313_48:                             ;   in Loop: Header=BB313_13 Depth=1
	s_or_b64 exec, exec, s[40:41]
	v_lshrrev_b16_e32 v32, 8, v31
	v_cmp_ne_u16_e64 s[4:5], 0, v32
	s_and_saveexec_b64 s[40:41], s[4:5]
	s_cbranch_execz .LBB313_54
; %bb.49:                               ;   in Loop: Header=BB313_13 Depth=1
	v_cmp_ne_u16_e64 s[4:5], s52, v32
	v_bfrev_b32_e32 v40, 1
	s_and_saveexec_b64 s[42:43], s[4:5]
	s_cbranch_execz .LBB313_53
; %bb.50:                               ;   in Loop: Header=BB313_13 Depth=1
	v_and_b32_e32 v0, 0x7f, v32
	v_cmp_ne_u32_e64 s[4:5], s53, v0
	v_mov_b32_e32 v40, 0x7f800001
	s_and_saveexec_b64 s[44:45], s[4:5]
	s_cbranch_execz .LBB313_52
; %bb.51:                               ;   in Loop: Header=BB313_13 Depth=1
	v_and_b32_e32 v33, 7, v32
	v_ffbh_u32_e32 v25, v33
	v_min_u32_e32 v35, 32, v25
	v_subrev_u32_e32 v25, 28, v35
	v_lshlrev_b64 v[25:26], v25, v[32:33]
	v_lshrrev_b32_e32 v34, 3, v0
	v_sub_u32_e32 v26, 29, v35
	v_and_b32_e32 v25, 7, v25
	v_cmp_gt_u32_e64 s[4:5], 8, v0
	v_cndmask_b32_e64 v0, v34, v26, s[4:5]
	v_cndmask_b32_e64 v25, v33, v25, s[4:5]
	v_lshlrev_b32_e32 v26, 16, v31
	v_bfrev_b32_e32 v5, 60
	v_lshlrev_b32_e32 v25, 20, v25
	v_and_b32_e32 v26, 0x80000000, v26
	v_lshl_add_u32 v0, v0, 23, v5
	v_or3_b32 v40, v26, v0, v25
.LBB313_52:                             ;   in Loop: Header=BB313_13 Depth=1
	s_or_b64 exec, exec, s[44:45]
.LBB313_53:                             ;   in Loop: Header=BB313_13 Depth=1
	s_or_b64 exec, exec, s[42:43]
.LBB313_54:                             ;   in Loop: Header=BB313_13 Depth=1
	s_or_b64 exec, exec, s[40:41]
	v_lshrrev_b32_e32 v32, 16, v31
	v_mov_b32_e32 v0, 0
	v_cmp_ne_u16_sdwa s[4:5], v32, v0 src0_sel:BYTE_0 src1_sel:DWORD
	v_mov_b32_e32 v1, 0
	v_mov_b32_e32 v2, 0
	s_and_saveexec_b64 s[40:41], s[4:5]
	s_cbranch_execz .LBB313_60
; %bb.55:                               ;   in Loop: Header=BB313_13 Depth=1
	v_cmp_ne_u16_sdwa s[4:5], v32, s52 src0_sel:BYTE_0 src1_sel:DWORD
	v_bfrev_b32_e32 v2, 1
	s_and_saveexec_b64 s[42:43], s[4:5]
	s_cbranch_execz .LBB313_59
; %bb.56:                               ;   in Loop: Header=BB313_13 Depth=1
	v_bfe_u32 v0, v31, 16, 7
	v_cmp_ne_u32_e64 s[4:5], s53, v0
	v_mov_b32_e32 v2, 0x7f800001
	s_and_saveexec_b64 s[44:45], s[4:5]
	s_cbranch_execz .LBB313_58
; %bb.57:                               ;   in Loop: Header=BB313_13 Depth=1
	v_and_b32_e32 v33, 7, v32
	v_ffbh_u32_e32 v25, v33
	v_min_u32_e32 v35, 32, v25
	v_subrev_u32_e32 v25, 28, v35
	v_lshlrev_b64 v[25:26], v25, v[32:33]
	v_lshrrev_b32_e32 v34, 3, v0
	v_sub_u32_e32 v26, 29, v35
	v_and_b32_e32 v25, 7, v25
	v_cmp_gt_u32_e64 s[4:5], 8, v0
	v_cndmask_b32_e64 v0, v34, v26, s[4:5]
	v_cndmask_b32_e64 v25, v33, v25, s[4:5]
	v_lshlrev_b32_e32 v26, 24, v32
	v_bfrev_b32_e32 v5, 60
	v_lshlrev_b32_e32 v25, 20, v25
	v_and_b32_e32 v26, 0x80000000, v26
	v_lshl_add_u32 v0, v0, 23, v5
	v_or3_b32 v2, v26, v0, v25
.LBB313_58:                             ;   in Loop: Header=BB313_13 Depth=1
	s_or_b64 exec, exec, s[44:45]
.LBB313_59:                             ;   in Loop: Header=BB313_13 Depth=1
	s_or_b64 exec, exec, s[42:43]
.LBB313_60:                             ;   in Loop: Header=BB313_13 Depth=1
	s_or_b64 exec, exec, s[40:41]
	v_cmp_lt_u32_e64 s[4:5], s54, v31
	s_and_saveexec_b64 s[40:41], s[4:5]
	s_cbranch_execz .LBB313_66
; %bb.61:                               ;   in Loop: Header=BB313_13 Depth=1
	v_lshrrev_b32_e32 v32, 24, v31
	v_cmp_ne_u32_e64 s[4:5], s52, v32
	v_bfrev_b32_e32 v1, 1
	s_and_saveexec_b64 s[42:43], s[4:5]
	s_cbranch_execz .LBB313_65
; %bb.62:                               ;   in Loop: Header=BB313_13 Depth=1
	v_bfe_u32 v0, v31, 24, 7
	v_cmp_ne_u32_e64 s[4:5], s53, v0
	v_mov_b32_e32 v1, 0x7f800001
	s_and_saveexec_b64 s[44:45], s[4:5]
	s_cbranch_execz .LBB313_64
; %bb.63:                               ;   in Loop: Header=BB313_13 Depth=1
	v_and_b32_e32 v31, 7, v32
	v_ffbh_u32_e32 v25, v31
	v_min_u32_e32 v34, 32, v25
	v_lshrrev_b32_e32 v33, 3, v0
	v_subrev_u32_e32 v25, 28, v34
	v_lshlrev_b64 v[25:26], v25, v[32:33]
	v_sub_u32_e32 v26, 29, v34
	v_and_b32_e32 v25, 7, v25
	v_cmp_gt_u32_e64 s[4:5], 8, v0
	v_cndmask_b32_e64 v0, v33, v26, s[4:5]
	v_cndmask_b32_e64 v25, v31, v25, s[4:5]
	v_lshlrev_b32_e32 v26, 24, v32
	v_bfrev_b32_e32 v5, 60
	v_lshlrev_b32_e32 v25, 20, v25
	v_and_b32_e32 v26, 0x80000000, v26
	v_lshl_add_u32 v0, v0, 23, v5
	v_or3_b32 v1, v26, v0, v25
.LBB313_64:                             ;   in Loop: Header=BB313_13 Depth=1
	s_or_b64 exec, exec, s[44:45]
.LBB313_65:                             ;   in Loop: Header=BB313_13 Depth=1
	s_or_b64 exec, exec, s[42:43]
.LBB313_66:                             ;   in Loop: Header=BB313_13 Depth=1
	s_or_b64 exec, exec, s[40:41]
	global_load_dword v31, v[29:30], off offset:512
	v_mov_b32_e32 v0, 0
	v_mov_b32_e32 v3, 0
	;; [unrolled: 1-line block ×3, first 2 shown]
	s_waitcnt vmcnt(0)
	v_cmp_ne_u16_sdwa s[4:5], v31, v0 src0_sel:BYTE_0 src1_sel:DWORD
	s_and_saveexec_b64 s[40:41], s[4:5]
	s_cbranch_execz .LBB313_72
; %bb.67:                               ;   in Loop: Header=BB313_13 Depth=1
	v_cmp_ne_u16_sdwa s[4:5], v31, s52 src0_sel:BYTE_0 src1_sel:DWORD
	v_bfrev_b32_e32 v4, 1
	s_and_saveexec_b64 s[42:43], s[4:5]
	s_cbranch_execz .LBB313_71
; %bb.68:                               ;   in Loop: Header=BB313_13 Depth=1
	v_and_b32_e32 v0, 0x7f, v31
	v_cmp_ne_u32_e64 s[4:5], s53, v0
	v_mov_b32_e32 v4, 0x7f800001
	s_and_saveexec_b64 s[44:45], s[4:5]
	s_cbranch_execz .LBB313_70
; %bb.69:                               ;   in Loop: Header=BB313_13 Depth=1
	v_and_b32_e32 v32, 7, v31
	v_lshrrev_b32_e32 v33, 3, v0
	v_cmp_gt_u32_e64 s[4:5], 8, v0
	v_ffbh_u32_e32 v0, v32
	v_min_u32_e32 v0, 32, v0
	v_subrev_u32_e32 v25, 28, v0
	v_lshlrev_b64 v[25:26], v25, v[31:32]
	v_sub_u32_e32 v0, 29, v0
	v_and_b32_e32 v25, 7, v25
	v_cndmask_b32_e64 v0, v33, v0, s[4:5]
	v_cndmask_b32_e64 v25, v32, v25, s[4:5]
	v_lshlrev_b32_e32 v26, 24, v31
	v_bfrev_b32_e32 v5, 60
	v_lshlrev_b32_e32 v25, 20, v25
	v_and_b32_e32 v26, 0x80000000, v26
	v_lshl_add_u32 v0, v0, 23, v5
	v_or3_b32 v4, v26, v0, v25
.LBB313_70:                             ;   in Loop: Header=BB313_13 Depth=1
	s_or_b64 exec, exec, s[44:45]
.LBB313_71:                             ;   in Loop: Header=BB313_13 Depth=1
	s_or_b64 exec, exec, s[42:43]
.LBB313_72:                             ;   in Loop: Header=BB313_13 Depth=1
	s_or_b64 exec, exec, s[40:41]
	v_lshrrev_b16_e32 v32, 8, v31
	v_cmp_ne_u16_e64 s[4:5], 0, v32
	s_and_saveexec_b64 s[40:41], s[4:5]
	s_cbranch_execz .LBB313_78
; %bb.73:                               ;   in Loop: Header=BB313_13 Depth=1
	v_cmp_ne_u16_e64 s[4:5], s52, v32
	v_bfrev_b32_e32 v3, 1
	s_and_saveexec_b64 s[42:43], s[4:5]
	s_cbranch_execz .LBB313_77
; %bb.74:                               ;   in Loop: Header=BB313_13 Depth=1
	v_and_b32_e32 v0, 0x7f, v32
	v_cmp_ne_u32_e64 s[4:5], s53, v0
	v_mov_b32_e32 v3, 0x7f800001
	s_and_saveexec_b64 s[44:45], s[4:5]
	s_cbranch_execz .LBB313_76
; %bb.75:                               ;   in Loop: Header=BB313_13 Depth=1
	v_and_b32_e32 v33, 7, v32
	v_lshrrev_b32_e32 v34, 3, v0
	v_cmp_gt_u32_e64 s[4:5], 8, v0
	v_ffbh_u32_e32 v0, v33
	v_min_u32_e32 v0, 32, v0
	v_subrev_u32_e32 v25, 28, v0
	v_lshlrev_b64 v[25:26], v25, v[32:33]
	v_sub_u32_e32 v0, 29, v0
	v_and_b32_e32 v25, 7, v25
	v_cndmask_b32_e64 v0, v34, v0, s[4:5]
	v_cndmask_b32_e64 v25, v33, v25, s[4:5]
	v_lshlrev_b32_e32 v26, 16, v31
	v_bfrev_b32_e32 v5, 60
	v_lshlrev_b32_e32 v25, 20, v25
	v_and_b32_e32 v26, 0x80000000, v26
	v_lshl_add_u32 v0, v0, 23, v5
	v_or3_b32 v3, v26, v0, v25
.LBB313_76:                             ;   in Loop: Header=BB313_13 Depth=1
	s_or_b64 exec, exec, s[44:45]
.LBB313_77:                             ;   in Loop: Header=BB313_13 Depth=1
	s_or_b64 exec, exec, s[42:43]
.LBB313_78:                             ;   in Loop: Header=BB313_13 Depth=1
	s_or_b64 exec, exec, s[40:41]
	v_lshrrev_b32_e32 v32, 16, v31
	v_mov_b32_e32 v0, 0
	v_cmp_ne_u16_sdwa s[4:5], v32, v0 src0_sel:BYTE_0 src1_sel:DWORD
	v_mov_b32_e32 v9, 0
	v_mov_b32_e32 v10, 0
	s_and_saveexec_b64 s[40:41], s[4:5]
	s_cbranch_execz .LBB313_84
; %bb.79:                               ;   in Loop: Header=BB313_13 Depth=1
	v_cmp_ne_u16_sdwa s[4:5], v32, s52 src0_sel:BYTE_0 src1_sel:DWORD
	v_bfrev_b32_e32 v10, 1
	s_and_saveexec_b64 s[42:43], s[4:5]
	s_cbranch_execz .LBB313_83
; %bb.80:                               ;   in Loop: Header=BB313_13 Depth=1
	v_bfe_u32 v0, v31, 16, 7
	v_cmp_ne_u32_e64 s[4:5], s53, v0
	v_mov_b32_e32 v10, 0x7f800001
	s_and_saveexec_b64 s[44:45], s[4:5]
	s_cbranch_execz .LBB313_82
; %bb.81:                               ;   in Loop: Header=BB313_13 Depth=1
	v_and_b32_e32 v33, 7, v32
	v_lshrrev_b32_e32 v34, 3, v0
	v_cmp_gt_u32_e64 s[4:5], 8, v0
	v_ffbh_u32_e32 v0, v33
	v_min_u32_e32 v0, 32, v0
	v_subrev_u32_e32 v25, 28, v0
	v_lshlrev_b64 v[25:26], v25, v[32:33]
	v_sub_u32_e32 v0, 29, v0
	v_and_b32_e32 v25, 7, v25
	v_cndmask_b32_e64 v0, v34, v0, s[4:5]
	v_cndmask_b32_e64 v25, v33, v25, s[4:5]
	v_lshlrev_b32_e32 v26, 24, v32
	v_bfrev_b32_e32 v5, 60
	v_lshlrev_b32_e32 v25, 20, v25
	v_and_b32_e32 v26, 0x80000000, v26
	v_lshl_add_u32 v0, v0, 23, v5
	v_or3_b32 v10, v26, v0, v25
.LBB313_82:                             ;   in Loop: Header=BB313_13 Depth=1
	s_or_b64 exec, exec, s[44:45]
.LBB313_83:                             ;   in Loop: Header=BB313_13 Depth=1
	s_or_b64 exec, exec, s[42:43]
.LBB313_84:                             ;   in Loop: Header=BB313_13 Depth=1
	s_or_b64 exec, exec, s[40:41]
	v_cmp_lt_u32_e64 s[4:5], s54, v31
	s_and_saveexec_b64 s[40:41], s[4:5]
	s_cbranch_execz .LBB313_90
; %bb.85:                               ;   in Loop: Header=BB313_13 Depth=1
	v_lshrrev_b32_e32 v32, 24, v31
	v_cmp_ne_u32_e64 s[4:5], s52, v32
	v_bfrev_b32_e32 v9, 1
	s_and_saveexec_b64 s[42:43], s[4:5]
	s_cbranch_execz .LBB313_89
; %bb.86:                               ;   in Loop: Header=BB313_13 Depth=1
	v_bfe_u32 v0, v31, 24, 7
	v_cmp_ne_u32_e64 s[4:5], s53, v0
	v_mov_b32_e32 v9, 0x7f800001
	s_and_saveexec_b64 s[44:45], s[4:5]
	s_cbranch_execz .LBB313_88
; %bb.87:                               ;   in Loop: Header=BB313_13 Depth=1
	v_and_b32_e32 v31, 7, v32
	v_lshrrev_b32_e32 v33, 3, v0
	v_cmp_gt_u32_e64 s[4:5], 8, v0
	v_ffbh_u32_e32 v0, v31
	v_min_u32_e32 v0, 32, v0
	v_subrev_u32_e32 v25, 28, v0
	v_lshlrev_b64 v[25:26], v25, v[32:33]
	v_sub_u32_e32 v0, 29, v0
	v_and_b32_e32 v25, 7, v25
	v_cndmask_b32_e64 v0, v33, v0, s[4:5]
	v_cndmask_b32_e64 v25, v31, v25, s[4:5]
	v_lshlrev_b32_e32 v26, 24, v32
	v_bfrev_b32_e32 v5, 60
	v_lshlrev_b32_e32 v25, 20, v25
	v_and_b32_e32 v26, 0x80000000, v26
	v_lshl_add_u32 v0, v0, 23, v5
	v_or3_b32 v9, v26, v0, v25
.LBB313_88:                             ;   in Loop: Header=BB313_13 Depth=1
	s_or_b64 exec, exec, s[44:45]
.LBB313_89:                             ;   in Loop: Header=BB313_13 Depth=1
	s_or_b64 exec, exec, s[42:43]
.LBB313_90:                             ;   in Loop: Header=BB313_13 Depth=1
	s_or_b64 exec, exec, s[40:41]
	global_load_dword v31, v[29:30], off offset:520
	v_mov_b32_e32 v0, 0
	v_mov_b32_e32 v11, 0
	v_mov_b32_e32 v12, 0
	s_waitcnt vmcnt(0)
	v_cmp_ne_u16_sdwa s[4:5], v31, v0 src0_sel:BYTE_0 src1_sel:DWORD
	s_and_saveexec_b64 s[40:41], s[4:5]
	s_cbranch_execz .LBB313_96
; %bb.91:                               ;   in Loop: Header=BB313_13 Depth=1
	v_cmp_ne_u16_sdwa s[4:5], v31, s52 src0_sel:BYTE_0 src1_sel:DWORD
	v_bfrev_b32_e32 v12, 1
	s_and_saveexec_b64 s[42:43], s[4:5]
	s_cbranch_execz .LBB313_95
; %bb.92:                               ;   in Loop: Header=BB313_13 Depth=1
	v_and_b32_e32 v0, 0x7f, v31
	v_cmp_ne_u32_e64 s[4:5], s53, v0
	v_mov_b32_e32 v12, 0x7f800001
	s_and_saveexec_b64 s[44:45], s[4:5]
	s_cbranch_execz .LBB313_94
; %bb.93:                               ;   in Loop: Header=BB313_13 Depth=1
	v_and_b32_e32 v32, 7, v31
	v_lshrrev_b32_e32 v33, 3, v0
	v_cmp_gt_u32_e64 s[4:5], 8, v0
	v_ffbh_u32_e32 v0, v32
	v_min_u32_e32 v0, 32, v0
	v_subrev_u32_e32 v25, 28, v0
	v_lshlrev_b64 v[25:26], v25, v[31:32]
	v_sub_u32_e32 v0, 29, v0
	v_and_b32_e32 v25, 7, v25
	v_cndmask_b32_e64 v0, v33, v0, s[4:5]
	v_cndmask_b32_e64 v25, v32, v25, s[4:5]
	v_lshlrev_b32_e32 v26, 24, v31
	v_bfrev_b32_e32 v5, 60
	v_lshlrev_b32_e32 v25, 20, v25
	v_and_b32_e32 v26, 0x80000000, v26
	v_lshl_add_u32 v0, v0, 23, v5
	v_or3_b32 v12, v26, v0, v25
.LBB313_94:                             ;   in Loop: Header=BB313_13 Depth=1
	s_or_b64 exec, exec, s[44:45]
.LBB313_95:                             ;   in Loop: Header=BB313_13 Depth=1
	s_or_b64 exec, exec, s[42:43]
.LBB313_96:                             ;   in Loop: Header=BB313_13 Depth=1
	s_or_b64 exec, exec, s[40:41]
	v_lshrrev_b16_e32 v32, 8, v31
	v_cmp_ne_u16_e64 s[4:5], 0, v32
	s_and_saveexec_b64 s[40:41], s[4:5]
	s_cbranch_execz .LBB313_102
; %bb.97:                               ;   in Loop: Header=BB313_13 Depth=1
	v_cmp_ne_u16_e64 s[4:5], s52, v32
	v_bfrev_b32_e32 v11, 1
	s_and_saveexec_b64 s[42:43], s[4:5]
	s_cbranch_execz .LBB313_101
; %bb.98:                               ;   in Loop: Header=BB313_13 Depth=1
	v_and_b32_e32 v0, 0x7f, v32
	v_cmp_ne_u32_e64 s[4:5], s53, v0
	v_mov_b32_e32 v11, 0x7f800001
	s_and_saveexec_b64 s[44:45], s[4:5]
	s_cbranch_execz .LBB313_100
; %bb.99:                               ;   in Loop: Header=BB313_13 Depth=1
	v_and_b32_e32 v33, 7, v32
	v_lshrrev_b32_e32 v34, 3, v0
	v_cmp_gt_u32_e64 s[4:5], 8, v0
	v_ffbh_u32_e32 v0, v33
	v_min_u32_e32 v0, 32, v0
	v_subrev_u32_e32 v25, 28, v0
	v_lshlrev_b64 v[25:26], v25, v[32:33]
	v_sub_u32_e32 v0, 29, v0
	v_and_b32_e32 v25, 7, v25
	v_cndmask_b32_e64 v0, v34, v0, s[4:5]
	v_cndmask_b32_e64 v25, v33, v25, s[4:5]
	v_lshlrev_b32_e32 v26, 16, v31
	v_bfrev_b32_e32 v5, 60
	v_lshlrev_b32_e32 v25, 20, v25
	v_and_b32_e32 v26, 0x80000000, v26
	v_lshl_add_u32 v0, v0, 23, v5
	v_or3_b32 v11, v26, v0, v25
.LBB313_100:                            ;   in Loop: Header=BB313_13 Depth=1
	s_or_b64 exec, exec, s[44:45]
.LBB313_101:                            ;   in Loop: Header=BB313_13 Depth=1
	s_or_b64 exec, exec, s[42:43]
.LBB313_102:                            ;   in Loop: Header=BB313_13 Depth=1
	s_or_b64 exec, exec, s[40:41]
	v_lshrrev_b32_e32 v32, 16, v31
	v_mov_b32_e32 v0, 0
	v_cmp_ne_u16_sdwa s[4:5], v32, v0 src0_sel:BYTE_0 src1_sel:DWORD
	v_mov_b32_e32 v13, 0
	v_mov_b32_e32 v14, 0
	s_and_saveexec_b64 s[40:41], s[4:5]
	s_cbranch_execz .LBB313_108
; %bb.103:                              ;   in Loop: Header=BB313_13 Depth=1
	v_cmp_ne_u16_sdwa s[4:5], v32, s52 src0_sel:BYTE_0 src1_sel:DWORD
	v_bfrev_b32_e32 v14, 1
	s_and_saveexec_b64 s[42:43], s[4:5]
	s_cbranch_execz .LBB313_107
; %bb.104:                              ;   in Loop: Header=BB313_13 Depth=1
	v_bfe_u32 v0, v31, 16, 7
	v_cmp_ne_u32_e64 s[4:5], s53, v0
	v_mov_b32_e32 v14, 0x7f800001
	s_and_saveexec_b64 s[44:45], s[4:5]
	s_cbranch_execz .LBB313_106
; %bb.105:                              ;   in Loop: Header=BB313_13 Depth=1
	v_and_b32_e32 v33, 7, v32
	v_lshrrev_b32_e32 v34, 3, v0
	v_cmp_gt_u32_e64 s[4:5], 8, v0
	v_ffbh_u32_e32 v0, v33
	v_min_u32_e32 v0, 32, v0
	v_subrev_u32_e32 v25, 28, v0
	v_lshlrev_b64 v[25:26], v25, v[32:33]
	v_sub_u32_e32 v0, 29, v0
	v_and_b32_e32 v25, 7, v25
	v_cndmask_b32_e64 v0, v34, v0, s[4:5]
	v_cndmask_b32_e64 v25, v33, v25, s[4:5]
	v_lshlrev_b32_e32 v26, 24, v32
	v_bfrev_b32_e32 v5, 60
	v_lshlrev_b32_e32 v25, 20, v25
	v_and_b32_e32 v26, 0x80000000, v26
	v_lshl_add_u32 v0, v0, 23, v5
	v_or3_b32 v14, v26, v0, v25
.LBB313_106:                            ;   in Loop: Header=BB313_13 Depth=1
	s_or_b64 exec, exec, s[44:45]
.LBB313_107:                            ;   in Loop: Header=BB313_13 Depth=1
	s_or_b64 exec, exec, s[42:43]
.LBB313_108:                            ;   in Loop: Header=BB313_13 Depth=1
	s_or_b64 exec, exec, s[40:41]
	v_cmp_lt_u32_e64 s[4:5], s54, v31
	s_and_saveexec_b64 s[40:41], s[4:5]
	s_cbranch_execz .LBB313_114
; %bb.109:                              ;   in Loop: Header=BB313_13 Depth=1
	v_lshrrev_b32_e32 v32, 24, v31
	v_cmp_ne_u32_e64 s[4:5], s52, v32
	v_bfrev_b32_e32 v13, 1
	s_and_saveexec_b64 s[42:43], s[4:5]
	s_cbranch_execz .LBB313_113
; %bb.110:                              ;   in Loop: Header=BB313_13 Depth=1
	v_bfe_u32 v0, v31, 24, 7
	v_cmp_ne_u32_e64 s[4:5], s53, v0
	v_mov_b32_e32 v13, 0x7f800001
	s_and_saveexec_b64 s[44:45], s[4:5]
	s_cbranch_execz .LBB313_112
; %bb.111:                              ;   in Loop: Header=BB313_13 Depth=1
	v_and_b32_e32 v31, 7, v32
	v_lshrrev_b32_e32 v33, 3, v0
	v_cmp_gt_u32_e64 s[4:5], 8, v0
	v_ffbh_u32_e32 v0, v31
	v_min_u32_e32 v0, 32, v0
	v_subrev_u32_e32 v25, 28, v0
	v_lshlrev_b64 v[25:26], v25, v[32:33]
	v_sub_u32_e32 v0, 29, v0
	v_and_b32_e32 v25, 7, v25
	v_cndmask_b32_e64 v0, v33, v0, s[4:5]
	v_cndmask_b32_e64 v25, v31, v25, s[4:5]
	v_lshlrev_b32_e32 v26, 24, v32
	v_bfrev_b32_e32 v5, 60
	v_lshlrev_b32_e32 v25, 20, v25
	v_and_b32_e32 v26, 0x80000000, v26
	v_lshl_add_u32 v0, v0, 23, v5
	v_or3_b32 v13, v26, v0, v25
.LBB313_112:                            ;   in Loop: Header=BB313_13 Depth=1
	s_or_b64 exec, exec, s[44:45]
.LBB313_113:                            ;   in Loop: Header=BB313_13 Depth=1
	s_or_b64 exec, exec, s[42:43]
.LBB313_114:                            ;   in Loop: Header=BB313_13 Depth=1
	s_or_b64 exec, exec, s[40:41]
	global_load_dword v31, v[29:30], off offset:1024
	v_mov_b32_e32 v0, 0
	v_mov_b32_e32 v16, 0
	;; [unrolled: 1-line block ×3, first 2 shown]
	s_waitcnt vmcnt(0)
	v_cmp_ne_u16_sdwa s[4:5], v31, v0 src0_sel:BYTE_0 src1_sel:DWORD
	s_and_saveexec_b64 s[40:41], s[4:5]
	s_cbranch_execz .LBB313_120
; %bb.115:                              ;   in Loop: Header=BB313_13 Depth=1
	v_cmp_ne_u16_sdwa s[4:5], v31, s52 src0_sel:BYTE_0 src1_sel:DWORD
	v_bfrev_b32_e32 v17, 1
	s_and_saveexec_b64 s[42:43], s[4:5]
	s_cbranch_execz .LBB313_119
; %bb.116:                              ;   in Loop: Header=BB313_13 Depth=1
	v_and_b32_e32 v0, 0x7f, v31
	v_cmp_ne_u32_e64 s[4:5], s53, v0
	v_mov_b32_e32 v17, 0x7f800001
	s_and_saveexec_b64 s[44:45], s[4:5]
	s_cbranch_execz .LBB313_118
; %bb.117:                              ;   in Loop: Header=BB313_13 Depth=1
	v_and_b32_e32 v32, 7, v31
	v_lshrrev_b32_e32 v33, 3, v0
	v_cmp_gt_u32_e64 s[4:5], 8, v0
	v_ffbh_u32_e32 v0, v32
	v_min_u32_e32 v0, 32, v0
	v_subrev_u32_e32 v25, 28, v0
	v_lshlrev_b64 v[25:26], v25, v[31:32]
	v_sub_u32_e32 v0, 29, v0
	v_and_b32_e32 v25, 7, v25
	v_cndmask_b32_e64 v0, v33, v0, s[4:5]
	v_cndmask_b32_e64 v25, v32, v25, s[4:5]
	v_lshlrev_b32_e32 v26, 24, v31
	v_bfrev_b32_e32 v5, 60
	v_lshlrev_b32_e32 v25, 20, v25
	v_and_b32_e32 v26, 0x80000000, v26
	v_lshl_add_u32 v0, v0, 23, v5
	v_or3_b32 v17, v26, v0, v25
.LBB313_118:                            ;   in Loop: Header=BB313_13 Depth=1
	s_or_b64 exec, exec, s[44:45]
.LBB313_119:                            ;   in Loop: Header=BB313_13 Depth=1
	s_or_b64 exec, exec, s[42:43]
.LBB313_120:                            ;   in Loop: Header=BB313_13 Depth=1
	s_or_b64 exec, exec, s[40:41]
	v_lshrrev_b16_e32 v32, 8, v31
	v_cmp_ne_u16_e64 s[4:5], 0, v32
	s_and_saveexec_b64 s[40:41], s[4:5]
	s_cbranch_execz .LBB313_126
; %bb.121:                              ;   in Loop: Header=BB313_13 Depth=1
	v_cmp_ne_u16_e64 s[4:5], s52, v32
	v_bfrev_b32_e32 v16, 1
	s_and_saveexec_b64 s[42:43], s[4:5]
	s_cbranch_execz .LBB313_125
; %bb.122:                              ;   in Loop: Header=BB313_13 Depth=1
	v_and_b32_e32 v0, 0x7f, v32
	v_cmp_ne_u32_e64 s[4:5], s53, v0
	v_mov_b32_e32 v16, 0x7f800001
	s_and_saveexec_b64 s[44:45], s[4:5]
	s_cbranch_execz .LBB313_124
; %bb.123:                              ;   in Loop: Header=BB313_13 Depth=1
	v_and_b32_e32 v33, 7, v32
	v_lshrrev_b32_e32 v34, 3, v0
	v_cmp_gt_u32_e64 s[4:5], 8, v0
	v_ffbh_u32_e32 v0, v33
	v_min_u32_e32 v0, 32, v0
	v_subrev_u32_e32 v25, 28, v0
	v_lshlrev_b64 v[25:26], v25, v[32:33]
	v_sub_u32_e32 v0, 29, v0
	v_and_b32_e32 v25, 7, v25
	v_cndmask_b32_e64 v0, v34, v0, s[4:5]
	v_cndmask_b32_e64 v25, v33, v25, s[4:5]
	v_lshlrev_b32_e32 v26, 16, v31
	v_bfrev_b32_e32 v5, 60
	v_lshlrev_b32_e32 v25, 20, v25
	v_and_b32_e32 v26, 0x80000000, v26
	v_lshl_add_u32 v0, v0, 23, v5
	v_or3_b32 v16, v26, v0, v25
.LBB313_124:                            ;   in Loop: Header=BB313_13 Depth=1
	s_or_b64 exec, exec, s[44:45]
.LBB313_125:                            ;   in Loop: Header=BB313_13 Depth=1
	s_or_b64 exec, exec, s[42:43]
.LBB313_126:                            ;   in Loop: Header=BB313_13 Depth=1
	s_or_b64 exec, exec, s[40:41]
	v_lshrrev_b32_e32 v32, 16, v31
	v_mov_b32_e32 v0, 0
	v_cmp_ne_u16_sdwa s[4:5], v32, v0 src0_sel:BYTE_0 src1_sel:DWORD
	v_mov_b32_e32 v18, 0
	v_mov_b32_e32 v19, 0
	s_and_saveexec_b64 s[40:41], s[4:5]
	s_cbranch_execz .LBB313_132
; %bb.127:                              ;   in Loop: Header=BB313_13 Depth=1
	v_cmp_ne_u16_sdwa s[4:5], v32, s52 src0_sel:BYTE_0 src1_sel:DWORD
	v_bfrev_b32_e32 v19, 1
	s_and_saveexec_b64 s[42:43], s[4:5]
	s_cbranch_execz .LBB313_131
; %bb.128:                              ;   in Loop: Header=BB313_13 Depth=1
	v_bfe_u32 v0, v31, 16, 7
	v_cmp_ne_u32_e64 s[4:5], s53, v0
	v_mov_b32_e32 v19, 0x7f800001
	s_and_saveexec_b64 s[44:45], s[4:5]
	s_cbranch_execz .LBB313_130
; %bb.129:                              ;   in Loop: Header=BB313_13 Depth=1
	v_and_b32_e32 v33, 7, v32
	v_lshrrev_b32_e32 v34, 3, v0
	v_cmp_gt_u32_e64 s[4:5], 8, v0
	v_ffbh_u32_e32 v0, v33
	v_min_u32_e32 v0, 32, v0
	v_subrev_u32_e32 v25, 28, v0
	v_lshlrev_b64 v[25:26], v25, v[32:33]
	v_sub_u32_e32 v0, 29, v0
	v_and_b32_e32 v25, 7, v25
	v_cndmask_b32_e64 v0, v34, v0, s[4:5]
	v_cndmask_b32_e64 v25, v33, v25, s[4:5]
	v_lshlrev_b32_e32 v26, 24, v32
	v_bfrev_b32_e32 v5, 60
	v_lshlrev_b32_e32 v25, 20, v25
	v_and_b32_e32 v26, 0x80000000, v26
	v_lshl_add_u32 v0, v0, 23, v5
	v_or3_b32 v19, v26, v0, v25
.LBB313_130:                            ;   in Loop: Header=BB313_13 Depth=1
	s_or_b64 exec, exec, s[44:45]
.LBB313_131:                            ;   in Loop: Header=BB313_13 Depth=1
	s_or_b64 exec, exec, s[42:43]
.LBB313_132:                            ;   in Loop: Header=BB313_13 Depth=1
	s_or_b64 exec, exec, s[40:41]
	v_cmp_lt_u32_e64 s[4:5], s54, v31
	s_and_saveexec_b64 s[40:41], s[4:5]
	s_cbranch_execz .LBB313_138
; %bb.133:                              ;   in Loop: Header=BB313_13 Depth=1
	v_lshrrev_b32_e32 v32, 24, v31
	v_cmp_ne_u32_e64 s[4:5], s52, v32
	v_bfrev_b32_e32 v18, 1
	s_and_saveexec_b64 s[42:43], s[4:5]
	s_cbranch_execz .LBB313_137
; %bb.134:                              ;   in Loop: Header=BB313_13 Depth=1
	v_bfe_u32 v0, v31, 24, 7
	v_cmp_ne_u32_e64 s[4:5], s53, v0
	v_mov_b32_e32 v18, 0x7f800001
	s_and_saveexec_b64 s[44:45], s[4:5]
	s_cbranch_execz .LBB313_136
; %bb.135:                              ;   in Loop: Header=BB313_13 Depth=1
	v_and_b32_e32 v31, 7, v32
	v_lshrrev_b32_e32 v33, 3, v0
	v_cmp_gt_u32_e64 s[4:5], 8, v0
	v_ffbh_u32_e32 v0, v31
	v_min_u32_e32 v0, 32, v0
	v_subrev_u32_e32 v25, 28, v0
	v_lshlrev_b64 v[25:26], v25, v[32:33]
	v_sub_u32_e32 v0, 29, v0
	v_and_b32_e32 v25, 7, v25
	v_cndmask_b32_e64 v0, v33, v0, s[4:5]
	v_cndmask_b32_e64 v25, v31, v25, s[4:5]
	v_lshlrev_b32_e32 v26, 24, v32
	v_bfrev_b32_e32 v5, 60
	v_lshlrev_b32_e32 v25, 20, v25
	v_and_b32_e32 v26, 0x80000000, v26
	v_lshl_add_u32 v0, v0, 23, v5
	v_or3_b32 v18, v26, v0, v25
.LBB313_136:                            ;   in Loop: Header=BB313_13 Depth=1
	s_or_b64 exec, exec, s[44:45]
.LBB313_137:                            ;   in Loop: Header=BB313_13 Depth=1
	s_or_b64 exec, exec, s[42:43]
.LBB313_138:                            ;   in Loop: Header=BB313_13 Depth=1
	s_or_b64 exec, exec, s[40:41]
	global_load_dword v31, v[29:30], off offset:1032
	v_mov_b32_e32 v0, 0
	v_mov_b32_e32 v15, 0
	;; [unrolled: 1-line block ×3, first 2 shown]
	s_waitcnt vmcnt(0)
	v_cmp_ne_u16_sdwa s[4:5], v31, v0 src0_sel:BYTE_0 src1_sel:DWORD
	s_and_saveexec_b64 s[40:41], s[4:5]
	s_cbranch_execz .LBB313_144
; %bb.139:                              ;   in Loop: Header=BB313_13 Depth=1
	v_cmp_ne_u16_sdwa s[4:5], v31, s52 src0_sel:BYTE_0 src1_sel:DWORD
	v_bfrev_b32_e32 v22, 1
	s_and_saveexec_b64 s[42:43], s[4:5]
	s_cbranch_execz .LBB313_143
; %bb.140:                              ;   in Loop: Header=BB313_13 Depth=1
	v_and_b32_e32 v0, 0x7f, v31
	v_cmp_ne_u32_e64 s[4:5], s53, v0
	v_mov_b32_e32 v22, 0x7f800001
	s_and_saveexec_b64 s[44:45], s[4:5]
	s_cbranch_execz .LBB313_142
; %bb.141:                              ;   in Loop: Header=BB313_13 Depth=1
	v_and_b32_e32 v32, 7, v31
	v_lshrrev_b32_e32 v33, 3, v0
	v_cmp_gt_u32_e64 s[4:5], 8, v0
	v_ffbh_u32_e32 v0, v32
	v_min_u32_e32 v0, 32, v0
	v_subrev_u32_e32 v25, 28, v0
	v_lshlrev_b64 v[25:26], v25, v[31:32]
	v_sub_u32_e32 v0, 29, v0
	v_and_b32_e32 v25, 7, v25
	v_cndmask_b32_e64 v0, v33, v0, s[4:5]
	v_cndmask_b32_e64 v25, v32, v25, s[4:5]
	v_lshlrev_b32_e32 v26, 24, v31
	v_bfrev_b32_e32 v5, 60
	v_lshlrev_b32_e32 v25, 20, v25
	v_and_b32_e32 v26, 0x80000000, v26
	v_lshl_add_u32 v0, v0, 23, v5
	v_or3_b32 v22, v26, v0, v25
.LBB313_142:                            ;   in Loop: Header=BB313_13 Depth=1
	s_or_b64 exec, exec, s[44:45]
.LBB313_143:                            ;   in Loop: Header=BB313_13 Depth=1
	s_or_b64 exec, exec, s[42:43]
.LBB313_144:                            ;   in Loop: Header=BB313_13 Depth=1
	s_or_b64 exec, exec, s[40:41]
	v_lshrrev_b16_e32 v32, 8, v31
	v_cmp_ne_u16_e64 s[4:5], 0, v32
	s_and_saveexec_b64 s[40:41], s[4:5]
	s_cbranch_execz .LBB313_150
; %bb.145:                              ;   in Loop: Header=BB313_13 Depth=1
	v_cmp_ne_u16_e64 s[4:5], s52, v32
	v_bfrev_b32_e32 v15, 1
	s_and_saveexec_b64 s[42:43], s[4:5]
	s_cbranch_execz .LBB313_149
; %bb.146:                              ;   in Loop: Header=BB313_13 Depth=1
	v_and_b32_e32 v0, 0x7f, v32
	v_cmp_ne_u32_e64 s[4:5], s53, v0
	v_mov_b32_e32 v15, 0x7f800001
	s_and_saveexec_b64 s[44:45], s[4:5]
	s_cbranch_execz .LBB313_148
; %bb.147:                              ;   in Loop: Header=BB313_13 Depth=1
	v_and_b32_e32 v33, 7, v32
	v_lshrrev_b32_e32 v34, 3, v0
	v_cmp_gt_u32_e64 s[4:5], 8, v0
	v_ffbh_u32_e32 v0, v33
	v_min_u32_e32 v0, 32, v0
	v_subrev_u32_e32 v25, 28, v0
	v_lshlrev_b64 v[25:26], v25, v[32:33]
	v_sub_u32_e32 v0, 29, v0
	v_and_b32_e32 v25, 7, v25
	v_cndmask_b32_e64 v0, v34, v0, s[4:5]
	v_cndmask_b32_e64 v25, v33, v25, s[4:5]
	v_lshlrev_b32_e32 v26, 16, v31
	v_bfrev_b32_e32 v5, 60
	v_lshlrev_b32_e32 v25, 20, v25
	v_and_b32_e32 v26, 0x80000000, v26
	v_lshl_add_u32 v0, v0, 23, v5
	v_or3_b32 v15, v26, v0, v25
.LBB313_148:                            ;   in Loop: Header=BB313_13 Depth=1
	s_or_b64 exec, exec, s[44:45]
.LBB313_149:                            ;   in Loop: Header=BB313_13 Depth=1
	s_or_b64 exec, exec, s[42:43]
.LBB313_150:                            ;   in Loop: Header=BB313_13 Depth=1
	s_or_b64 exec, exec, s[40:41]
	v_lshrrev_b32_e32 v32, 16, v31
	v_mov_b32_e32 v0, 0
	v_cmp_ne_u16_sdwa s[4:5], v32, v0 src0_sel:BYTE_0 src1_sel:DWORD
	v_mov_b32_e32 v20, 0
	v_mov_b32_e32 v21, 0
	s_and_saveexec_b64 s[40:41], s[4:5]
	s_cbranch_execz .LBB313_156
; %bb.151:                              ;   in Loop: Header=BB313_13 Depth=1
	v_cmp_ne_u16_sdwa s[4:5], v32, s52 src0_sel:BYTE_0 src1_sel:DWORD
	v_bfrev_b32_e32 v21, 1
	s_and_saveexec_b64 s[42:43], s[4:5]
	s_cbranch_execz .LBB313_155
; %bb.152:                              ;   in Loop: Header=BB313_13 Depth=1
	v_bfe_u32 v0, v31, 16, 7
	v_cmp_ne_u32_e64 s[4:5], s53, v0
	v_mov_b32_e32 v21, 0x7f800001
	s_and_saveexec_b64 s[44:45], s[4:5]
	s_cbranch_execz .LBB313_154
; %bb.153:                              ;   in Loop: Header=BB313_13 Depth=1
	v_and_b32_e32 v33, 7, v32
	v_lshrrev_b32_e32 v34, 3, v0
	v_cmp_gt_u32_e64 s[4:5], 8, v0
	v_ffbh_u32_e32 v0, v33
	v_min_u32_e32 v0, 32, v0
	v_subrev_u32_e32 v25, 28, v0
	v_lshlrev_b64 v[25:26], v25, v[32:33]
	v_sub_u32_e32 v0, 29, v0
	v_and_b32_e32 v25, 7, v25
	v_cndmask_b32_e64 v0, v34, v0, s[4:5]
	v_cndmask_b32_e64 v25, v33, v25, s[4:5]
	v_lshlrev_b32_e32 v26, 24, v32
	v_bfrev_b32_e32 v5, 60
	v_lshlrev_b32_e32 v25, 20, v25
	v_and_b32_e32 v26, 0x80000000, v26
	v_lshl_add_u32 v0, v0, 23, v5
	v_or3_b32 v21, v26, v0, v25
.LBB313_154:                            ;   in Loop: Header=BB313_13 Depth=1
	s_or_b64 exec, exec, s[44:45]
.LBB313_155:                            ;   in Loop: Header=BB313_13 Depth=1
	s_or_b64 exec, exec, s[42:43]
.LBB313_156:                            ;   in Loop: Header=BB313_13 Depth=1
	s_or_b64 exec, exec, s[40:41]
	v_cmp_lt_u32_e64 s[4:5], s54, v31
	s_and_saveexec_b64 s[40:41], s[4:5]
	s_cbranch_execz .LBB313_162
; %bb.157:                              ;   in Loop: Header=BB313_13 Depth=1
	v_lshrrev_b32_e32 v32, 24, v31
	v_cmp_ne_u32_e64 s[4:5], s52, v32
	v_bfrev_b32_e32 v20, 1
	s_and_saveexec_b64 s[42:43], s[4:5]
	s_cbranch_execz .LBB313_161
; %bb.158:                              ;   in Loop: Header=BB313_13 Depth=1
	v_bfe_u32 v0, v31, 24, 7
	v_cmp_ne_u32_e64 s[4:5], s53, v0
	v_mov_b32_e32 v20, 0x7f800001
	s_and_saveexec_b64 s[44:45], s[4:5]
	s_cbranch_execz .LBB313_160
; %bb.159:                              ;   in Loop: Header=BB313_13 Depth=1
	v_and_b32_e32 v31, 7, v32
	v_lshrrev_b32_e32 v33, 3, v0
	v_cmp_gt_u32_e64 s[4:5], 8, v0
	v_ffbh_u32_e32 v0, v31
	v_min_u32_e32 v0, 32, v0
	v_subrev_u32_e32 v25, 28, v0
	v_lshlrev_b64 v[25:26], v25, v[32:33]
	v_sub_u32_e32 v0, 29, v0
	v_and_b32_e32 v25, 7, v25
	v_cndmask_b32_e64 v0, v33, v0, s[4:5]
	v_cndmask_b32_e64 v25, v31, v25, s[4:5]
	v_lshlrev_b32_e32 v26, 24, v32
	v_bfrev_b32_e32 v5, 60
	v_lshlrev_b32_e32 v25, 20, v25
	v_and_b32_e32 v26, 0x80000000, v26
	v_lshl_add_u32 v0, v0, 23, v5
	v_or3_b32 v20, v26, v0, v25
.LBB313_160:                            ;   in Loop: Header=BB313_13 Depth=1
	s_or_b64 exec, exec, s[44:45]
.LBB313_161:                            ;   in Loop: Header=BB313_13 Depth=1
	s_or_b64 exec, exec, s[42:43]
.LBB313_162:                            ;   in Loop: Header=BB313_13 Depth=1
	s_or_b64 exec, exec, s[40:41]
	global_load_dword v31, v[29:30], off offset:1536
	v_mov_b32_e32 v0, 0
	v_mov_b32_e32 v43, 0
	;; [unrolled: 1-line block ×3, first 2 shown]
	s_waitcnt vmcnt(0)
	v_cmp_ne_u16_sdwa s[4:5], v31, v0 src0_sel:BYTE_0 src1_sel:DWORD
	s_and_saveexec_b64 s[40:41], s[4:5]
	s_cbranch_execz .LBB313_168
; %bb.163:                              ;   in Loop: Header=BB313_13 Depth=1
	v_cmp_ne_u16_sdwa s[4:5], v31, s52 src0_sel:BYTE_0 src1_sel:DWORD
	v_bfrev_b32_e32 v23, 1
	s_and_saveexec_b64 s[42:43], s[4:5]
	s_cbranch_execz .LBB313_167
; %bb.164:                              ;   in Loop: Header=BB313_13 Depth=1
	v_and_b32_e32 v0, 0x7f, v31
	v_cmp_ne_u32_e64 s[4:5], s53, v0
	v_mov_b32_e32 v23, 0x7f800001
	s_and_saveexec_b64 s[44:45], s[4:5]
	s_cbranch_execz .LBB313_166
; %bb.165:                              ;   in Loop: Header=BB313_13 Depth=1
	v_and_b32_e32 v32, 7, v31
	v_lshrrev_b32_e32 v33, 3, v0
	v_cmp_gt_u32_e64 s[4:5], 8, v0
	v_ffbh_u32_e32 v0, v32
	v_min_u32_e32 v0, 32, v0
	v_subrev_u32_e32 v25, 28, v0
	v_lshlrev_b64 v[25:26], v25, v[31:32]
	v_sub_u32_e32 v0, 29, v0
	v_and_b32_e32 v25, 7, v25
	v_cndmask_b32_e64 v0, v33, v0, s[4:5]
	v_cndmask_b32_e64 v25, v32, v25, s[4:5]
	v_lshlrev_b32_e32 v26, 24, v31
	v_bfrev_b32_e32 v5, 60
	v_lshlrev_b32_e32 v25, 20, v25
	v_and_b32_e32 v26, 0x80000000, v26
	v_lshl_add_u32 v0, v0, 23, v5
	v_or3_b32 v23, v26, v0, v25
.LBB313_166:                            ;   in Loop: Header=BB313_13 Depth=1
	s_or_b64 exec, exec, s[44:45]
.LBB313_167:                            ;   in Loop: Header=BB313_13 Depth=1
	s_or_b64 exec, exec, s[42:43]
.LBB313_168:                            ;   in Loop: Header=BB313_13 Depth=1
	s_or_b64 exec, exec, s[40:41]
	v_lshrrev_b16_e32 v32, 8, v31
	v_cmp_ne_u16_e64 s[4:5], 0, v32
	s_and_saveexec_b64 s[40:41], s[4:5]
	s_cbranch_execz .LBB313_174
; %bb.169:                              ;   in Loop: Header=BB313_13 Depth=1
	v_cmp_ne_u16_e64 s[4:5], s52, v32
	v_bfrev_b32_e32 v43, 1
	s_and_saveexec_b64 s[42:43], s[4:5]
	s_cbranch_execz .LBB313_173
; %bb.170:                              ;   in Loop: Header=BB313_13 Depth=1
	v_and_b32_e32 v0, 0x7f, v32
	v_cmp_ne_u32_e64 s[4:5], s53, v0
	v_mov_b32_e32 v43, 0x7f800001
	s_and_saveexec_b64 s[44:45], s[4:5]
	s_cbranch_execz .LBB313_172
; %bb.171:                              ;   in Loop: Header=BB313_13 Depth=1
	v_and_b32_e32 v33, 7, v32
	v_lshrrev_b32_e32 v34, 3, v0
	v_cmp_gt_u32_e64 s[4:5], 8, v0
	v_ffbh_u32_e32 v0, v33
	v_min_u32_e32 v0, 32, v0
	v_subrev_u32_e32 v25, 28, v0
	v_lshlrev_b64 v[25:26], v25, v[32:33]
	v_sub_u32_e32 v0, 29, v0
	v_and_b32_e32 v25, 7, v25
	v_cndmask_b32_e64 v0, v34, v0, s[4:5]
	v_cndmask_b32_e64 v25, v33, v25, s[4:5]
	v_lshlrev_b32_e32 v26, 16, v31
	v_bfrev_b32_e32 v5, 60
	v_lshlrev_b32_e32 v25, 20, v25
	v_and_b32_e32 v26, 0x80000000, v26
	v_lshl_add_u32 v0, v0, 23, v5
	v_or3_b32 v43, v26, v0, v25
.LBB313_172:                            ;   in Loop: Header=BB313_13 Depth=1
	s_or_b64 exec, exec, s[44:45]
.LBB313_173:                            ;   in Loop: Header=BB313_13 Depth=1
	s_or_b64 exec, exec, s[42:43]
.LBB313_174:                            ;   in Loop: Header=BB313_13 Depth=1
	s_or_b64 exec, exec, s[40:41]
	v_lshrrev_b32_e32 v32, 16, v31
	v_mov_b32_e32 v0, 0
	v_cmp_ne_u16_sdwa s[4:5], v32, v0 src0_sel:BYTE_0 src1_sel:DWORD
	v_mov_b32_e32 v41, 0
	v_mov_b32_e32 v46, 0
	s_and_saveexec_b64 s[40:41], s[4:5]
	s_cbranch_execz .LBB313_180
; %bb.175:                              ;   in Loop: Header=BB313_13 Depth=1
	v_cmp_ne_u16_sdwa s[4:5], v32, s52 src0_sel:BYTE_0 src1_sel:DWORD
	v_bfrev_b32_e32 v46, 1
	s_and_saveexec_b64 s[42:43], s[4:5]
	s_cbranch_execz .LBB313_179
; %bb.176:                              ;   in Loop: Header=BB313_13 Depth=1
	v_bfe_u32 v0, v31, 16, 7
	v_cmp_ne_u32_e64 s[4:5], s53, v0
	v_mov_b32_e32 v46, 0x7f800001
	s_and_saveexec_b64 s[44:45], s[4:5]
	s_cbranch_execz .LBB313_178
; %bb.177:                              ;   in Loop: Header=BB313_13 Depth=1
	v_and_b32_e32 v33, 7, v32
	v_lshrrev_b32_e32 v34, 3, v0
	v_cmp_gt_u32_e64 s[4:5], 8, v0
	v_ffbh_u32_e32 v0, v33
	v_min_u32_e32 v0, 32, v0
	v_subrev_u32_e32 v25, 28, v0
	v_lshlrev_b64 v[25:26], v25, v[32:33]
	v_sub_u32_e32 v0, 29, v0
	v_and_b32_e32 v25, 7, v25
	v_cndmask_b32_e64 v0, v34, v0, s[4:5]
	v_cndmask_b32_e64 v25, v33, v25, s[4:5]
	v_lshlrev_b32_e32 v26, 24, v32
	v_bfrev_b32_e32 v5, 60
	v_lshlrev_b32_e32 v25, 20, v25
	v_and_b32_e32 v26, 0x80000000, v26
	v_lshl_add_u32 v0, v0, 23, v5
	v_or3_b32 v46, v26, v0, v25
.LBB313_178:                            ;   in Loop: Header=BB313_13 Depth=1
	s_or_b64 exec, exec, s[44:45]
.LBB313_179:                            ;   in Loop: Header=BB313_13 Depth=1
	s_or_b64 exec, exec, s[42:43]
.LBB313_180:                            ;   in Loop: Header=BB313_13 Depth=1
	s_or_b64 exec, exec, s[40:41]
	v_cmp_lt_u32_e64 s[4:5], s54, v31
	s_and_saveexec_b64 s[40:41], s[4:5]
	s_cbranch_execz .LBB313_186
; %bb.181:                              ;   in Loop: Header=BB313_13 Depth=1
	v_lshrrev_b32_e32 v32, 24, v31
	v_cmp_ne_u32_e64 s[4:5], s52, v32
	v_bfrev_b32_e32 v41, 1
	s_and_saveexec_b64 s[42:43], s[4:5]
	s_cbranch_execz .LBB313_185
; %bb.182:                              ;   in Loop: Header=BB313_13 Depth=1
	v_bfe_u32 v0, v31, 24, 7
	v_cmp_ne_u32_e64 s[4:5], s53, v0
	v_mov_b32_e32 v41, 0x7f800001
	s_and_saveexec_b64 s[44:45], s[4:5]
	s_cbranch_execz .LBB313_184
; %bb.183:                              ;   in Loop: Header=BB313_13 Depth=1
	v_and_b32_e32 v31, 7, v32
	v_lshrrev_b32_e32 v33, 3, v0
	v_cmp_gt_u32_e64 s[4:5], 8, v0
	v_ffbh_u32_e32 v0, v31
	v_min_u32_e32 v0, 32, v0
	v_subrev_u32_e32 v25, 28, v0
	v_lshlrev_b64 v[25:26], v25, v[32:33]
	v_sub_u32_e32 v0, 29, v0
	v_and_b32_e32 v25, 7, v25
	v_cndmask_b32_e64 v0, v33, v0, s[4:5]
	v_cndmask_b32_e64 v25, v31, v25, s[4:5]
	v_lshlrev_b32_e32 v26, 24, v32
	v_bfrev_b32_e32 v5, 60
	v_lshlrev_b32_e32 v25, 20, v25
	v_and_b32_e32 v26, 0x80000000, v26
	v_lshl_add_u32 v0, v0, 23, v5
	v_or3_b32 v41, v26, v0, v25
.LBB313_184:                            ;   in Loop: Header=BB313_13 Depth=1
	s_or_b64 exec, exec, s[44:45]
.LBB313_185:                            ;   in Loop: Header=BB313_13 Depth=1
	s_or_b64 exec, exec, s[42:43]
.LBB313_186:                            ;   in Loop: Header=BB313_13 Depth=1
	s_or_b64 exec, exec, s[40:41]
	global_load_dword v31, v[29:30], off offset:1544
	v_mov_b32_e32 v0, 0
	v_mov_b32_e32 v53, 0
	;; [unrolled: 1-line block ×3, first 2 shown]
	s_waitcnt vmcnt(0)
	v_cmp_ne_u16_sdwa s[4:5], v31, v0 src0_sel:BYTE_0 src1_sel:DWORD
	s_and_saveexec_b64 s[40:41], s[4:5]
	s_cbranch_execz .LBB313_192
; %bb.187:                              ;   in Loop: Header=BB313_13 Depth=1
	v_cmp_ne_u16_sdwa s[4:5], v31, s52 src0_sel:BYTE_0 src1_sel:DWORD
	v_bfrev_b32_e32 v45, 1
	s_and_saveexec_b64 s[42:43], s[4:5]
	s_cbranch_execz .LBB313_191
; %bb.188:                              ;   in Loop: Header=BB313_13 Depth=1
	v_and_b32_e32 v0, 0x7f, v31
	v_cmp_ne_u32_e64 s[4:5], s53, v0
	v_mov_b32_e32 v45, 0x7f800001
	s_and_saveexec_b64 s[44:45], s[4:5]
	s_cbranch_execz .LBB313_190
; %bb.189:                              ;   in Loop: Header=BB313_13 Depth=1
	v_and_b32_e32 v32, 7, v31
	v_lshrrev_b32_e32 v33, 3, v0
	v_cmp_gt_u32_e64 s[4:5], 8, v0
	v_ffbh_u32_e32 v0, v32
	v_min_u32_e32 v0, 32, v0
	v_subrev_u32_e32 v25, 28, v0
	v_lshlrev_b64 v[25:26], v25, v[31:32]
	v_sub_u32_e32 v0, 29, v0
	v_and_b32_e32 v25, 7, v25
	v_cndmask_b32_e64 v0, v33, v0, s[4:5]
	v_cndmask_b32_e64 v25, v32, v25, s[4:5]
	v_lshlrev_b32_e32 v26, 24, v31
	v_bfrev_b32_e32 v5, 60
	v_lshlrev_b32_e32 v25, 20, v25
	v_and_b32_e32 v26, 0x80000000, v26
	v_lshl_add_u32 v0, v0, 23, v5
	v_or3_b32 v45, v26, v0, v25
.LBB313_190:                            ;   in Loop: Header=BB313_13 Depth=1
	s_or_b64 exec, exec, s[44:45]
.LBB313_191:                            ;   in Loop: Header=BB313_13 Depth=1
	s_or_b64 exec, exec, s[42:43]
.LBB313_192:                            ;   in Loop: Header=BB313_13 Depth=1
	s_or_b64 exec, exec, s[40:41]
	v_lshrrev_b16_e32 v32, 8, v31
	v_cmp_ne_u16_e64 s[4:5], 0, v32
	s_and_saveexec_b64 s[40:41], s[4:5]
	s_cbranch_execz .LBB313_198
; %bb.193:                              ;   in Loop: Header=BB313_13 Depth=1
	v_cmp_ne_u16_e64 s[4:5], s52, v32
	v_bfrev_b32_e32 v53, 1
	s_and_saveexec_b64 s[42:43], s[4:5]
	s_cbranch_execz .LBB313_197
; %bb.194:                              ;   in Loop: Header=BB313_13 Depth=1
	v_and_b32_e32 v0, 0x7f, v32
	v_cmp_ne_u32_e64 s[4:5], s53, v0
	v_mov_b32_e32 v53, 0x7f800001
	s_and_saveexec_b64 s[44:45], s[4:5]
	s_cbranch_execz .LBB313_196
; %bb.195:                              ;   in Loop: Header=BB313_13 Depth=1
	v_and_b32_e32 v33, 7, v32
	v_lshrrev_b32_e32 v34, 3, v0
	v_cmp_gt_u32_e64 s[4:5], 8, v0
	v_ffbh_u32_e32 v0, v33
	v_min_u32_e32 v0, 32, v0
	v_subrev_u32_e32 v25, 28, v0
	v_lshlrev_b64 v[25:26], v25, v[32:33]
	v_sub_u32_e32 v0, 29, v0
	v_and_b32_e32 v25, 7, v25
	v_cndmask_b32_e64 v0, v34, v0, s[4:5]
	v_cndmask_b32_e64 v25, v33, v25, s[4:5]
	v_lshlrev_b32_e32 v26, 16, v31
	v_bfrev_b32_e32 v5, 60
	v_lshlrev_b32_e32 v25, 20, v25
	v_and_b32_e32 v26, 0x80000000, v26
	v_lshl_add_u32 v0, v0, 23, v5
	v_or3_b32 v53, v26, v0, v25
.LBB313_196:                            ;   in Loop: Header=BB313_13 Depth=1
	s_or_b64 exec, exec, s[44:45]
.LBB313_197:                            ;   in Loop: Header=BB313_13 Depth=1
	s_or_b64 exec, exec, s[42:43]
.LBB313_198:                            ;   in Loop: Header=BB313_13 Depth=1
	s_or_b64 exec, exec, s[40:41]
	v_lshrrev_b32_e32 v32, 16, v31
	v_mov_b32_e32 v0, 0
	v_cmp_ne_u16_sdwa s[4:5], v32, v0 src0_sel:BYTE_0 src1_sel:DWORD
	v_mov_b32_e32 v47, 0
	v_mov_b32_e32 v58, 0
	s_and_saveexec_b64 s[40:41], s[4:5]
	s_cbranch_execz .LBB313_204
; %bb.199:                              ;   in Loop: Header=BB313_13 Depth=1
	v_cmp_ne_u16_sdwa s[4:5], v32, s52 src0_sel:BYTE_0 src1_sel:DWORD
	v_bfrev_b32_e32 v58, 1
	s_and_saveexec_b64 s[42:43], s[4:5]
	s_cbranch_execz .LBB313_203
; %bb.200:                              ;   in Loop: Header=BB313_13 Depth=1
	v_bfe_u32 v0, v31, 16, 7
	v_cmp_ne_u32_e64 s[4:5], s53, v0
	v_mov_b32_e32 v58, 0x7f800001
	s_and_saveexec_b64 s[44:45], s[4:5]
	s_cbranch_execz .LBB313_202
; %bb.201:                              ;   in Loop: Header=BB313_13 Depth=1
	v_and_b32_e32 v33, 7, v32
	v_lshrrev_b32_e32 v34, 3, v0
	v_cmp_gt_u32_e64 s[4:5], 8, v0
	v_ffbh_u32_e32 v0, v33
	v_min_u32_e32 v0, 32, v0
	v_subrev_u32_e32 v25, 28, v0
	v_lshlrev_b64 v[25:26], v25, v[32:33]
	v_sub_u32_e32 v0, 29, v0
	v_and_b32_e32 v25, 7, v25
	v_cndmask_b32_e64 v0, v34, v0, s[4:5]
	v_cndmask_b32_e64 v25, v33, v25, s[4:5]
	v_lshlrev_b32_e32 v26, 24, v32
	v_bfrev_b32_e32 v5, 60
	v_lshlrev_b32_e32 v25, 20, v25
	v_and_b32_e32 v26, 0x80000000, v26
	v_lshl_add_u32 v0, v0, 23, v5
	v_or3_b32 v58, v26, v0, v25
.LBB313_202:                            ;   in Loop: Header=BB313_13 Depth=1
	s_or_b64 exec, exec, s[44:45]
.LBB313_203:                            ;   in Loop: Header=BB313_13 Depth=1
	s_or_b64 exec, exec, s[42:43]
.LBB313_204:                            ;   in Loop: Header=BB313_13 Depth=1
	s_or_b64 exec, exec, s[40:41]
	v_cmp_lt_u32_e64 s[4:5], s54, v31
	s_and_saveexec_b64 s[40:41], s[4:5]
	s_cbranch_execz .LBB313_210
; %bb.205:                              ;   in Loop: Header=BB313_13 Depth=1
	v_lshrrev_b32_e32 v32, 24, v31
	v_cmp_ne_u32_e64 s[4:5], s52, v32
	v_bfrev_b32_e32 v47, 1
	s_and_saveexec_b64 s[42:43], s[4:5]
	s_cbranch_execz .LBB313_209
; %bb.206:                              ;   in Loop: Header=BB313_13 Depth=1
	v_bfe_u32 v0, v31, 24, 7
	v_cmp_ne_u32_e64 s[4:5], s53, v0
	v_mov_b32_e32 v47, 0x7f800001
	s_and_saveexec_b64 s[44:45], s[4:5]
	s_cbranch_execz .LBB313_208
; %bb.207:                              ;   in Loop: Header=BB313_13 Depth=1
	v_and_b32_e32 v31, 7, v32
	v_lshrrev_b32_e32 v33, 3, v0
	v_cmp_gt_u32_e64 s[4:5], 8, v0
	v_ffbh_u32_e32 v0, v31
	v_min_u32_e32 v0, 32, v0
	v_subrev_u32_e32 v25, 28, v0
	v_lshlrev_b64 v[25:26], v25, v[32:33]
	v_sub_u32_e32 v0, 29, v0
	v_and_b32_e32 v25, 7, v25
	v_cndmask_b32_e64 v0, v33, v0, s[4:5]
	v_cndmask_b32_e64 v25, v31, v25, s[4:5]
	v_lshlrev_b32_e32 v26, 24, v32
	v_bfrev_b32_e32 v5, 60
	v_lshlrev_b32_e32 v25, 20, v25
	v_and_b32_e32 v26, 0x80000000, v26
	v_lshl_add_u32 v0, v0, 23, v5
	v_or3_b32 v47, v26, v0, v25
.LBB313_208:                            ;   in Loop: Header=BB313_13 Depth=1
	s_or_b64 exec, exec, s[44:45]
.LBB313_209:                            ;   in Loop: Header=BB313_13 Depth=1
	s_or_b64 exec, exec, s[42:43]
.LBB313_210:                            ;   in Loop: Header=BB313_13 Depth=1
	s_or_b64 exec, exec, s[40:41]
	global_load_dword v31, v[29:30], off offset:2048
	v_mov_b32_e32 v0, 0
	v_mov_b32_e32 v55, 0
	;; [unrolled: 1-line block ×3, first 2 shown]
	s_waitcnt vmcnt(0)
	v_cmp_ne_u16_sdwa s[4:5], v31, v0 src0_sel:BYTE_0 src1_sel:DWORD
	s_and_saveexec_b64 s[40:41], s[4:5]
	s_cbranch_execz .LBB313_216
; %bb.211:                              ;   in Loop: Header=BB313_13 Depth=1
	v_cmp_ne_u16_sdwa s[4:5], v31, s52 src0_sel:BYTE_0 src1_sel:DWORD
	v_bfrev_b32_e32 v54, 1
	s_and_saveexec_b64 s[42:43], s[4:5]
	s_cbranch_execz .LBB313_215
; %bb.212:                              ;   in Loop: Header=BB313_13 Depth=1
	v_and_b32_e32 v0, 0x7f, v31
	v_cmp_ne_u32_e64 s[4:5], s53, v0
	v_mov_b32_e32 v54, 0x7f800001
	s_and_saveexec_b64 s[44:45], s[4:5]
	s_cbranch_execz .LBB313_214
; %bb.213:                              ;   in Loop: Header=BB313_13 Depth=1
	v_and_b32_e32 v32, 7, v31
	v_lshrrev_b32_e32 v33, 3, v0
	v_cmp_gt_u32_e64 s[4:5], 8, v0
	v_ffbh_u32_e32 v0, v32
	v_min_u32_e32 v0, 32, v0
	v_subrev_u32_e32 v25, 28, v0
	v_lshlrev_b64 v[25:26], v25, v[31:32]
	v_sub_u32_e32 v0, 29, v0
	v_and_b32_e32 v25, 7, v25
	v_cndmask_b32_e64 v0, v33, v0, s[4:5]
	v_cndmask_b32_e64 v25, v32, v25, s[4:5]
	v_lshlrev_b32_e32 v26, 24, v31
	v_bfrev_b32_e32 v5, 60
	v_lshlrev_b32_e32 v25, 20, v25
	v_and_b32_e32 v26, 0x80000000, v26
	v_lshl_add_u32 v0, v0, 23, v5
	v_or3_b32 v54, v26, v0, v25
.LBB313_214:                            ;   in Loop: Header=BB313_13 Depth=1
	s_or_b64 exec, exec, s[44:45]
.LBB313_215:                            ;   in Loop: Header=BB313_13 Depth=1
	s_or_b64 exec, exec, s[42:43]
.LBB313_216:                            ;   in Loop: Header=BB313_13 Depth=1
	s_or_b64 exec, exec, s[40:41]
	v_lshrrev_b16_e32 v32, 8, v31
	v_cmp_ne_u16_e64 s[4:5], 0, v32
	s_and_saveexec_b64 s[40:41], s[4:5]
	s_cbranch_execz .LBB313_222
; %bb.217:                              ;   in Loop: Header=BB313_13 Depth=1
	v_cmp_ne_u16_e64 s[4:5], s52, v32
	v_bfrev_b32_e32 v55, 1
	s_and_saveexec_b64 s[42:43], s[4:5]
	s_cbranch_execz .LBB313_221
; %bb.218:                              ;   in Loop: Header=BB313_13 Depth=1
	v_and_b32_e32 v0, 0x7f, v32
	v_cmp_ne_u32_e64 s[4:5], s53, v0
	v_mov_b32_e32 v55, 0x7f800001
	s_and_saveexec_b64 s[44:45], s[4:5]
	s_cbranch_execz .LBB313_220
; %bb.219:                              ;   in Loop: Header=BB313_13 Depth=1
	v_and_b32_e32 v33, 7, v32
	v_lshrrev_b32_e32 v34, 3, v0
	v_cmp_gt_u32_e64 s[4:5], 8, v0
	v_ffbh_u32_e32 v0, v33
	v_min_u32_e32 v0, 32, v0
	v_subrev_u32_e32 v25, 28, v0
	v_lshlrev_b64 v[25:26], v25, v[32:33]
	v_sub_u32_e32 v0, 29, v0
	v_and_b32_e32 v25, 7, v25
	v_cndmask_b32_e64 v0, v34, v0, s[4:5]
	v_cndmask_b32_e64 v25, v33, v25, s[4:5]
	v_lshlrev_b32_e32 v26, 16, v31
	v_bfrev_b32_e32 v5, 60
	v_lshlrev_b32_e32 v25, 20, v25
	v_and_b32_e32 v26, 0x80000000, v26
	v_lshl_add_u32 v0, v0, 23, v5
	v_or3_b32 v55, v26, v0, v25
.LBB313_220:                            ;   in Loop: Header=BB313_13 Depth=1
	s_or_b64 exec, exec, s[44:45]
.LBB313_221:                            ;   in Loop: Header=BB313_13 Depth=1
	s_or_b64 exec, exec, s[42:43]
.LBB313_222:                            ;   in Loop: Header=BB313_13 Depth=1
	s_or_b64 exec, exec, s[40:41]
	v_lshrrev_b32_e32 v32, 16, v31
	v_mov_b32_e32 v0, 0
	v_cmp_ne_u16_sdwa s[4:5], v32, v0 src0_sel:BYTE_0 src1_sel:DWORD
	v_mov_b32_e32 v56, 0
	v_mov_b32_e32 v57, 0
	s_and_saveexec_b64 s[40:41], s[4:5]
	s_cbranch_execz .LBB313_228
; %bb.223:                              ;   in Loop: Header=BB313_13 Depth=1
	v_cmp_ne_u16_sdwa s[4:5], v32, s52 src0_sel:BYTE_0 src1_sel:DWORD
	v_bfrev_b32_e32 v57, 1
	s_and_saveexec_b64 s[42:43], s[4:5]
	s_cbranch_execz .LBB313_227
; %bb.224:                              ;   in Loop: Header=BB313_13 Depth=1
	v_bfe_u32 v0, v31, 16, 7
	v_cmp_ne_u32_e64 s[4:5], s53, v0
	v_mov_b32_e32 v57, 0x7f800001
	s_and_saveexec_b64 s[44:45], s[4:5]
	s_cbranch_execz .LBB313_226
; %bb.225:                              ;   in Loop: Header=BB313_13 Depth=1
	v_and_b32_e32 v33, 7, v32
	v_lshrrev_b32_e32 v34, 3, v0
	v_cmp_gt_u32_e64 s[4:5], 8, v0
	v_ffbh_u32_e32 v0, v33
	v_min_u32_e32 v0, 32, v0
	v_subrev_u32_e32 v25, 28, v0
	v_lshlrev_b64 v[25:26], v25, v[32:33]
	v_sub_u32_e32 v0, 29, v0
	v_and_b32_e32 v25, 7, v25
	v_cndmask_b32_e64 v0, v34, v0, s[4:5]
	v_cndmask_b32_e64 v25, v33, v25, s[4:5]
	v_lshlrev_b32_e32 v26, 24, v32
	v_bfrev_b32_e32 v5, 60
	v_lshlrev_b32_e32 v25, 20, v25
	v_and_b32_e32 v26, 0x80000000, v26
	v_lshl_add_u32 v0, v0, 23, v5
	v_or3_b32 v57, v26, v0, v25
.LBB313_226:                            ;   in Loop: Header=BB313_13 Depth=1
	s_or_b64 exec, exec, s[44:45]
.LBB313_227:                            ;   in Loop: Header=BB313_13 Depth=1
	s_or_b64 exec, exec, s[42:43]
.LBB313_228:                            ;   in Loop: Header=BB313_13 Depth=1
	s_or_b64 exec, exec, s[40:41]
	v_cmp_lt_u32_e64 s[4:5], s54, v31
	s_and_saveexec_b64 s[40:41], s[4:5]
	s_cbranch_execz .LBB313_234
; %bb.229:                              ;   in Loop: Header=BB313_13 Depth=1
	v_lshrrev_b32_e32 v32, 24, v31
	v_cmp_ne_u32_e64 s[4:5], s52, v32
	v_bfrev_b32_e32 v56, 1
	s_and_saveexec_b64 s[42:43], s[4:5]
	s_cbranch_execz .LBB313_233
; %bb.230:                              ;   in Loop: Header=BB313_13 Depth=1
	v_bfe_u32 v0, v31, 24, 7
	v_cmp_ne_u32_e64 s[4:5], s53, v0
	v_mov_b32_e32 v56, 0x7f800001
	s_and_saveexec_b64 s[44:45], s[4:5]
	s_cbranch_execz .LBB313_232
; %bb.231:                              ;   in Loop: Header=BB313_13 Depth=1
	v_and_b32_e32 v31, 7, v32
	v_lshrrev_b32_e32 v33, 3, v0
	v_cmp_gt_u32_e64 s[4:5], 8, v0
	v_ffbh_u32_e32 v0, v31
	v_min_u32_e32 v0, 32, v0
	v_subrev_u32_e32 v25, 28, v0
	v_lshlrev_b64 v[25:26], v25, v[32:33]
	v_sub_u32_e32 v0, 29, v0
	v_and_b32_e32 v25, 7, v25
	v_cndmask_b32_e64 v0, v33, v0, s[4:5]
	v_cndmask_b32_e64 v25, v31, v25, s[4:5]
	v_lshlrev_b32_e32 v26, 24, v32
	v_bfrev_b32_e32 v5, 60
	v_lshlrev_b32_e32 v25, 20, v25
	v_and_b32_e32 v26, 0x80000000, v26
	v_lshl_add_u32 v0, v0, 23, v5
	v_or3_b32 v56, v26, v0, v25
.LBB313_232:                            ;   in Loop: Header=BB313_13 Depth=1
	s_or_b64 exec, exec, s[44:45]
.LBB313_233:                            ;   in Loop: Header=BB313_13 Depth=1
	s_or_b64 exec, exec, s[42:43]
.LBB313_234:                            ;   in Loop: Header=BB313_13 Depth=1
	s_or_b64 exec, exec, s[40:41]
	global_load_dword v31, v[29:30], off offset:2056
	v_mov_b32_e32 v0, 0
	v_mov_b32_e32 v59, 0
	;; [unrolled: 1-line block ×3, first 2 shown]
	s_waitcnt vmcnt(0)
	v_cmp_ne_u16_sdwa s[4:5], v31, v0 src0_sel:BYTE_0 src1_sel:DWORD
	s_and_saveexec_b64 s[40:41], s[4:5]
	s_cbranch_execz .LBB313_240
; %bb.235:                              ;   in Loop: Header=BB313_13 Depth=1
	v_cmp_ne_u16_sdwa s[4:5], v31, s52 src0_sel:BYTE_0 src1_sel:DWORD
	v_bfrev_b32_e32 v24, 1
	s_and_saveexec_b64 s[42:43], s[4:5]
	s_cbranch_execz .LBB313_239
; %bb.236:                              ;   in Loop: Header=BB313_13 Depth=1
	v_and_b32_e32 v0, 0x7f, v31
	v_cmp_ne_u32_e64 s[4:5], s53, v0
	v_mov_b32_e32 v24, 0x7f800001
	s_and_saveexec_b64 s[44:45], s[4:5]
	s_cbranch_execz .LBB313_238
; %bb.237:                              ;   in Loop: Header=BB313_13 Depth=1
	v_and_b32_e32 v32, 7, v31
	v_lshrrev_b32_e32 v33, 3, v0
	v_cmp_gt_u32_e64 s[4:5], 8, v0
	v_ffbh_u32_e32 v0, v32
	v_min_u32_e32 v0, 32, v0
	v_subrev_u32_e32 v25, 28, v0
	v_lshlrev_b64 v[25:26], v25, v[31:32]
	v_sub_u32_e32 v0, 29, v0
	v_and_b32_e32 v25, 7, v25
	v_cndmask_b32_e64 v0, v33, v0, s[4:5]
	v_cndmask_b32_e64 v25, v32, v25, s[4:5]
	v_lshlrev_b32_e32 v26, 24, v31
	v_bfrev_b32_e32 v5, 60
	v_lshlrev_b32_e32 v25, 20, v25
	v_and_b32_e32 v26, 0x80000000, v26
	v_lshl_add_u32 v0, v0, 23, v5
	v_or3_b32 v24, v26, v0, v25
.LBB313_238:                            ;   in Loop: Header=BB313_13 Depth=1
	s_or_b64 exec, exec, s[44:45]
.LBB313_239:                            ;   in Loop: Header=BB313_13 Depth=1
	s_or_b64 exec, exec, s[42:43]
.LBB313_240:                            ;   in Loop: Header=BB313_13 Depth=1
	s_or_b64 exec, exec, s[40:41]
	v_lshrrev_b16_e32 v32, 8, v31
	v_cmp_ne_u16_e64 s[4:5], 0, v32
	s_and_saveexec_b64 s[40:41], s[4:5]
	s_cbranch_execz .LBB313_246
; %bb.241:                              ;   in Loop: Header=BB313_13 Depth=1
	v_cmp_ne_u16_e64 s[4:5], s52, v32
	v_bfrev_b32_e32 v59, 1
	s_and_saveexec_b64 s[42:43], s[4:5]
	s_cbranch_execz .LBB313_245
; %bb.242:                              ;   in Loop: Header=BB313_13 Depth=1
	v_and_b32_e32 v0, 0x7f, v32
	v_cmp_ne_u32_e64 s[4:5], s53, v0
	v_mov_b32_e32 v59, 0x7f800001
	s_and_saveexec_b64 s[44:45], s[4:5]
	s_cbranch_execz .LBB313_244
; %bb.243:                              ;   in Loop: Header=BB313_13 Depth=1
	v_and_b32_e32 v33, 7, v32
	v_lshrrev_b32_e32 v34, 3, v0
	v_cmp_gt_u32_e64 s[4:5], 8, v0
	v_ffbh_u32_e32 v0, v33
	v_min_u32_e32 v0, 32, v0
	v_subrev_u32_e32 v25, 28, v0
	v_lshlrev_b64 v[25:26], v25, v[32:33]
	v_sub_u32_e32 v0, 29, v0
	v_and_b32_e32 v25, 7, v25
	v_cndmask_b32_e64 v0, v34, v0, s[4:5]
	v_cndmask_b32_e64 v25, v33, v25, s[4:5]
	v_lshlrev_b32_e32 v26, 16, v31
	v_bfrev_b32_e32 v5, 60
	v_lshlrev_b32_e32 v25, 20, v25
	v_and_b32_e32 v26, 0x80000000, v26
	v_lshl_add_u32 v0, v0, 23, v5
	v_or3_b32 v59, v26, v0, v25
.LBB313_244:                            ;   in Loop: Header=BB313_13 Depth=1
	s_or_b64 exec, exec, s[44:45]
.LBB313_245:                            ;   in Loop: Header=BB313_13 Depth=1
	s_or_b64 exec, exec, s[42:43]
.LBB313_246:                            ;   in Loop: Header=BB313_13 Depth=1
	s_or_b64 exec, exec, s[40:41]
	v_lshrrev_b32_e32 v32, 16, v31
	v_mov_b32_e32 v0, 0
	v_cmp_ne_u16_sdwa s[4:5], v32, v0 src0_sel:BYTE_0 src1_sel:DWORD
	v_mov_b32_e32 v7, 0
	v_mov_b32_e32 v60, 0
	s_and_saveexec_b64 s[40:41], s[4:5]
	s_cbranch_execz .LBB313_252
; %bb.247:                              ;   in Loop: Header=BB313_13 Depth=1
	v_cmp_ne_u16_sdwa s[4:5], v32, s52 src0_sel:BYTE_0 src1_sel:DWORD
	v_bfrev_b32_e32 v60, 1
	s_and_saveexec_b64 s[42:43], s[4:5]
	s_cbranch_execz .LBB313_251
; %bb.248:                              ;   in Loop: Header=BB313_13 Depth=1
	v_bfe_u32 v0, v31, 16, 7
	v_cmp_ne_u32_e64 s[4:5], s53, v0
	v_mov_b32_e32 v60, 0x7f800001
	s_and_saveexec_b64 s[44:45], s[4:5]
	s_cbranch_execz .LBB313_250
; %bb.249:                              ;   in Loop: Header=BB313_13 Depth=1
	v_and_b32_e32 v33, 7, v32
	v_lshrrev_b32_e32 v34, 3, v0
	v_cmp_gt_u32_e64 s[4:5], 8, v0
	v_ffbh_u32_e32 v0, v33
	v_min_u32_e32 v0, 32, v0
	v_subrev_u32_e32 v25, 28, v0
	v_lshlrev_b64 v[25:26], v25, v[32:33]
	v_sub_u32_e32 v0, 29, v0
	v_and_b32_e32 v25, 7, v25
	v_cndmask_b32_e64 v0, v34, v0, s[4:5]
	v_cndmask_b32_e64 v25, v33, v25, s[4:5]
	v_lshlrev_b32_e32 v26, 24, v32
	v_bfrev_b32_e32 v5, 60
	v_lshlrev_b32_e32 v25, 20, v25
	v_and_b32_e32 v26, 0x80000000, v26
	v_lshl_add_u32 v0, v0, 23, v5
	v_or3_b32 v60, v26, v0, v25
.LBB313_250:                            ;   in Loop: Header=BB313_13 Depth=1
	s_or_b64 exec, exec, s[44:45]
.LBB313_251:                            ;   in Loop: Header=BB313_13 Depth=1
	s_or_b64 exec, exec, s[42:43]
.LBB313_252:                            ;   in Loop: Header=BB313_13 Depth=1
	s_or_b64 exec, exec, s[40:41]
	v_cmp_lt_u32_e64 s[4:5], s54, v31
	s_and_saveexec_b64 s[40:41], s[4:5]
	s_cbranch_execz .LBB313_258
; %bb.253:                              ;   in Loop: Header=BB313_13 Depth=1
	v_lshrrev_b32_e32 v32, 24, v31
	v_cmp_ne_u32_e64 s[4:5], s52, v32
	v_bfrev_b32_e32 v7, 1
	s_and_saveexec_b64 s[42:43], s[4:5]
	s_cbranch_execz .LBB313_257
; %bb.254:                              ;   in Loop: Header=BB313_13 Depth=1
	v_bfe_u32 v0, v31, 24, 7
	v_cmp_ne_u32_e64 s[4:5], s53, v0
	v_mov_b32_e32 v7, 0x7f800001
	s_and_saveexec_b64 s[44:45], s[4:5]
	s_cbranch_execz .LBB313_256
; %bb.255:                              ;   in Loop: Header=BB313_13 Depth=1
	v_and_b32_e32 v31, 7, v32
	v_lshrrev_b32_e32 v33, 3, v0
	v_cmp_gt_u32_e64 s[4:5], 8, v0
	v_ffbh_u32_e32 v0, v31
	v_min_u32_e32 v0, 32, v0
	v_subrev_u32_e32 v25, 28, v0
	v_lshlrev_b64 v[25:26], v25, v[32:33]
	v_sub_u32_e32 v0, 29, v0
	v_and_b32_e32 v25, 7, v25
	v_cndmask_b32_e64 v0, v33, v0, s[4:5]
	v_cndmask_b32_e64 v25, v31, v25, s[4:5]
	v_lshlrev_b32_e32 v26, 24, v32
	v_bfrev_b32_e32 v5, 60
	v_lshlrev_b32_e32 v25, 20, v25
	v_and_b32_e32 v26, 0x80000000, v26
	v_lshl_add_u32 v0, v0, 23, v5
	v_or3_b32 v7, v26, v0, v25
.LBB313_256:                            ;   in Loop: Header=BB313_13 Depth=1
	s_or_b64 exec, exec, s[44:45]
.LBB313_257:                            ;   in Loop: Header=BB313_13 Depth=1
	s_or_b64 exec, exec, s[42:43]
.LBB313_258:                            ;   in Loop: Header=BB313_13 Depth=1
	s_or_b64 exec, exec, s[40:41]
	global_load_dword v31, v[29:30], off offset:2560
	v_mov_b32_e32 v0, 0
	v_mov_b32_e32 v34, 0
	;; [unrolled: 1-line block ×3, first 2 shown]
	s_waitcnt vmcnt(0)
	v_cmp_ne_u16_sdwa s[4:5], v31, v0 src0_sel:BYTE_0 src1_sel:DWORD
	s_and_saveexec_b64 s[40:41], s[4:5]
	s_cbranch_execz .LBB313_264
; %bb.259:                              ;   in Loop: Header=BB313_13 Depth=1
	v_cmp_ne_u16_sdwa s[4:5], v31, s52 src0_sel:BYTE_0 src1_sel:DWORD
	v_bfrev_b32_e32 v61, 1
	s_and_saveexec_b64 s[42:43], s[4:5]
	s_cbranch_execz .LBB313_263
; %bb.260:                              ;   in Loop: Header=BB313_13 Depth=1
	v_and_b32_e32 v0, 0x7f, v31
	v_cmp_ne_u32_e64 s[4:5], s53, v0
	v_mov_b32_e32 v61, 0x7f800001
	s_and_saveexec_b64 s[44:45], s[4:5]
	s_cbranch_execz .LBB313_262
; %bb.261:                              ;   in Loop: Header=BB313_13 Depth=1
	v_and_b32_e32 v32, 7, v31
	v_lshrrev_b32_e32 v33, 3, v0
	v_cmp_gt_u32_e64 s[4:5], 8, v0
	v_ffbh_u32_e32 v0, v32
	v_min_u32_e32 v0, 32, v0
	v_subrev_u32_e32 v25, 28, v0
	v_lshlrev_b64 v[25:26], v25, v[31:32]
	v_sub_u32_e32 v0, 29, v0
	v_and_b32_e32 v25, 7, v25
	v_cndmask_b32_e64 v0, v33, v0, s[4:5]
	v_cndmask_b32_e64 v25, v32, v25, s[4:5]
	v_lshlrev_b32_e32 v26, 24, v31
	v_bfrev_b32_e32 v5, 60
	v_lshlrev_b32_e32 v25, 20, v25
	v_and_b32_e32 v26, 0x80000000, v26
	v_lshl_add_u32 v0, v0, 23, v5
	v_or3_b32 v61, v26, v0, v25
.LBB313_262:                            ;   in Loop: Header=BB313_13 Depth=1
	s_or_b64 exec, exec, s[44:45]
.LBB313_263:                            ;   in Loop: Header=BB313_13 Depth=1
	s_or_b64 exec, exec, s[42:43]
.LBB313_264:                            ;   in Loop: Header=BB313_13 Depth=1
	s_or_b64 exec, exec, s[40:41]
	v_lshrrev_b16_e32 v32, 8, v31
	v_cmp_ne_u16_e64 s[4:5], 0, v32
	s_and_saveexec_b64 s[40:41], s[4:5]
	s_cbranch_execz .LBB313_270
; %bb.265:                              ;   in Loop: Header=BB313_13 Depth=1
	v_cmp_ne_u16_e64 s[4:5], s52, v32
	v_bfrev_b32_e32 v34, 1
	s_and_saveexec_b64 s[42:43], s[4:5]
	s_cbranch_execz .LBB313_269
; %bb.266:                              ;   in Loop: Header=BB313_13 Depth=1
	v_and_b32_e32 v0, 0x7f, v32
	v_cmp_ne_u32_e64 s[4:5], s53, v0
	v_mov_b32_e32 v34, 0x7f800001
	s_and_saveexec_b64 s[44:45], s[4:5]
	s_cbranch_execz .LBB313_268
; %bb.267:                              ;   in Loop: Header=BB313_13 Depth=1
	v_and_b32_e32 v33, 7, v32
	v_lshrrev_b32_e32 v34, 3, v0
	v_cmp_gt_u32_e64 s[4:5], 8, v0
	v_ffbh_u32_e32 v0, v33
	v_min_u32_e32 v0, 32, v0
	v_subrev_u32_e32 v25, 28, v0
	v_lshlrev_b64 v[25:26], v25, v[32:33]
	v_sub_u32_e32 v0, 29, v0
	v_and_b32_e32 v25, 7, v25
	v_cndmask_b32_e64 v0, v34, v0, s[4:5]
	v_cndmask_b32_e64 v25, v33, v25, s[4:5]
	v_lshlrev_b32_e32 v26, 16, v31
	v_bfrev_b32_e32 v5, 60
	v_lshlrev_b32_e32 v25, 20, v25
	v_and_b32_e32 v26, 0x80000000, v26
	v_lshl_add_u32 v0, v0, 23, v5
	v_or3_b32 v34, v26, v0, v25
.LBB313_268:                            ;   in Loop: Header=BB313_13 Depth=1
	s_or_b64 exec, exec, s[44:45]
.LBB313_269:                            ;   in Loop: Header=BB313_13 Depth=1
	s_or_b64 exec, exec, s[42:43]
.LBB313_270:                            ;   in Loop: Header=BB313_13 Depth=1
	s_or_b64 exec, exec, s[40:41]
	v_lshrrev_b32_e32 v32, 16, v31
	v_mov_b32_e32 v0, 0
	v_cmp_ne_u16_sdwa s[4:5], v32, v0 src0_sel:BYTE_0 src1_sel:DWORD
	v_mov_b32_e32 v36, 0
	v_mov_b32_e32 v35, 0
	buffer_store_dword v34, off, s[60:63], 0 offset:168 ; 4-byte Folded Spill
	s_and_saveexec_b64 s[40:41], s[4:5]
	s_cbranch_execz .LBB313_276
; %bb.271:                              ;   in Loop: Header=BB313_13 Depth=1
	v_cmp_ne_u16_sdwa s[4:5], v32, s52 src0_sel:BYTE_0 src1_sel:DWORD
	v_bfrev_b32_e32 v35, 1
	s_and_saveexec_b64 s[42:43], s[4:5]
	s_cbranch_execz .LBB313_275
; %bb.272:                              ;   in Loop: Header=BB313_13 Depth=1
	v_bfe_u32 v0, v31, 16, 7
	v_cmp_ne_u32_e64 s[4:5], s53, v0
	v_mov_b32_e32 v35, 0x7f800001
	s_and_saveexec_b64 s[44:45], s[4:5]
	s_cbranch_execz .LBB313_274
; %bb.273:                              ;   in Loop: Header=BB313_13 Depth=1
	v_and_b32_e32 v33, 7, v32
	v_lshrrev_b32_e32 v34, 3, v0
	v_cmp_gt_u32_e64 s[4:5], 8, v0
	v_ffbh_u32_e32 v0, v33
	v_min_u32_e32 v0, 32, v0
	v_subrev_u32_e32 v25, 28, v0
	v_lshlrev_b64 v[25:26], v25, v[32:33]
	v_sub_u32_e32 v0, 29, v0
	v_and_b32_e32 v25, 7, v25
	v_cndmask_b32_e64 v0, v34, v0, s[4:5]
	v_cndmask_b32_e64 v25, v33, v25, s[4:5]
	v_lshlrev_b32_e32 v26, 24, v32
	v_bfrev_b32_e32 v5, 60
	v_lshlrev_b32_e32 v25, 20, v25
	v_and_b32_e32 v26, 0x80000000, v26
	v_lshl_add_u32 v0, v0, 23, v5
	v_or3_b32 v35, v26, v0, v25
.LBB313_274:                            ;   in Loop: Header=BB313_13 Depth=1
	s_or_b64 exec, exec, s[44:45]
.LBB313_275:                            ;   in Loop: Header=BB313_13 Depth=1
	s_or_b64 exec, exec, s[42:43]
.LBB313_276:                            ;   in Loop: Header=BB313_13 Depth=1
	s_or_b64 exec, exec, s[40:41]
	v_cmp_lt_u32_e64 s[4:5], s54, v31
	s_and_saveexec_b64 s[40:41], s[4:5]
	s_cbranch_execz .LBB313_282
; %bb.277:                              ;   in Loop: Header=BB313_13 Depth=1
	v_lshrrev_b32_e32 v32, 24, v31
	v_cmp_ne_u32_e64 s[4:5], s52, v32
	v_bfrev_b32_e32 v36, 1
	s_and_saveexec_b64 s[42:43], s[4:5]
	s_cbranch_execz .LBB313_281
; %bb.278:                              ;   in Loop: Header=BB313_13 Depth=1
	v_bfe_u32 v0, v31, 24, 7
	v_cmp_ne_u32_e64 s[4:5], s53, v0
	v_mov_b32_e32 v36, 0x7f800001
	s_and_saveexec_b64 s[44:45], s[4:5]
	s_cbranch_execz .LBB313_280
; %bb.279:                              ;   in Loop: Header=BB313_13 Depth=1
	v_and_b32_e32 v31, 7, v32
	v_lshrrev_b32_e32 v33, 3, v0
	v_cmp_gt_u32_e64 s[4:5], 8, v0
	v_ffbh_u32_e32 v0, v31
	v_min_u32_e32 v0, 32, v0
	v_subrev_u32_e32 v25, 28, v0
	v_lshlrev_b64 v[25:26], v25, v[32:33]
	v_sub_u32_e32 v0, 29, v0
	v_and_b32_e32 v25, 7, v25
	v_cndmask_b32_e64 v0, v33, v0, s[4:5]
	v_cndmask_b32_e64 v25, v31, v25, s[4:5]
	v_lshlrev_b32_e32 v26, 24, v32
	v_bfrev_b32_e32 v5, 60
	v_lshlrev_b32_e32 v25, 20, v25
	v_and_b32_e32 v26, 0x80000000, v26
	v_lshl_add_u32 v0, v0, 23, v5
	v_or3_b32 v36, v26, v0, v25
.LBB313_280:                            ;   in Loop: Header=BB313_13 Depth=1
	s_or_b64 exec, exec, s[44:45]
.LBB313_281:                            ;   in Loop: Header=BB313_13 Depth=1
	s_or_b64 exec, exec, s[42:43]
.LBB313_282:                            ;   in Loop: Header=BB313_13 Depth=1
	s_or_b64 exec, exec, s[40:41]
	global_load_dword v29, v[29:30], off offset:2568
	v_mov_b32_e32 v0, 0
	v_mov_b32_e32 v38, 0
	;; [unrolled: 1-line block ×3, first 2 shown]
	s_waitcnt vmcnt(0)
	v_cmp_ne_u16_sdwa s[4:5], v29, v0 src0_sel:BYTE_0 src1_sel:DWORD
	s_and_saveexec_b64 s[40:41], s[4:5]
	s_cbranch_execz .LBB313_288
; %bb.283:                              ;   in Loop: Header=BB313_13 Depth=1
	v_cmp_ne_u16_sdwa s[4:5], v29, s52 src0_sel:BYTE_0 src1_sel:DWORD
	v_bfrev_b32_e32 v37, 1
	s_and_saveexec_b64 s[42:43], s[4:5]
	s_cbranch_execz .LBB313_287
; %bb.284:                              ;   in Loop: Header=BB313_13 Depth=1
	v_and_b32_e32 v0, 0x7f, v29
	v_cmp_ne_u32_e64 s[4:5], s53, v0
	v_mov_b32_e32 v37, 0x7f800001
	s_and_saveexec_b64 s[44:45], s[4:5]
	s_cbranch_execz .LBB313_286
; %bb.285:                              ;   in Loop: Header=BB313_13 Depth=1
	v_and_b32_e32 v30, 7, v29
	v_lshrrev_b32_e32 v31, 3, v0
	v_cmp_gt_u32_e64 s[4:5], 8, v0
	v_ffbh_u32_e32 v0, v30
	v_min_u32_e32 v0, 32, v0
	v_subrev_u32_e32 v25, 28, v0
	v_lshlrev_b64 v[25:26], v25, v[29:30]
	v_sub_u32_e32 v0, 29, v0
	v_and_b32_e32 v25, 7, v25
	v_cndmask_b32_e64 v0, v31, v0, s[4:5]
	v_cndmask_b32_e64 v25, v30, v25, s[4:5]
	v_lshlrev_b32_e32 v26, 24, v29
	v_bfrev_b32_e32 v5, 60
	v_lshlrev_b32_e32 v25, 20, v25
	v_and_b32_e32 v26, 0x80000000, v26
	v_lshl_add_u32 v0, v0, 23, v5
	v_or3_b32 v37, v26, v0, v25
.LBB313_286:                            ;   in Loop: Header=BB313_13 Depth=1
	s_or_b64 exec, exec, s[44:45]
.LBB313_287:                            ;   in Loop: Header=BB313_13 Depth=1
	s_or_b64 exec, exec, s[42:43]
.LBB313_288:                            ;   in Loop: Header=BB313_13 Depth=1
	s_or_b64 exec, exec, s[40:41]
	v_lshrrev_b16_e32 v30, 8, v29
	v_cmp_ne_u16_e64 s[4:5], 0, v30
	s_and_saveexec_b64 s[40:41], s[4:5]
	s_cbranch_execz .LBB313_294
; %bb.289:                              ;   in Loop: Header=BB313_13 Depth=1
	v_cmp_ne_u16_e64 s[4:5], s52, v30
	v_bfrev_b32_e32 v38, 1
	s_and_saveexec_b64 s[42:43], s[4:5]
	s_cbranch_execz .LBB313_293
; %bb.290:                              ;   in Loop: Header=BB313_13 Depth=1
	v_and_b32_e32 v0, 0x7f, v30
	v_cmp_ne_u32_e64 s[4:5], s53, v0
	v_mov_b32_e32 v38, 0x7f800001
	s_and_saveexec_b64 s[44:45], s[4:5]
	s_cbranch_execz .LBB313_292
; %bb.291:                              ;   in Loop: Header=BB313_13 Depth=1
	v_and_b32_e32 v31, 7, v30
	v_lshrrev_b32_e32 v32, 3, v0
	v_cmp_gt_u32_e64 s[4:5], 8, v0
	v_ffbh_u32_e32 v0, v31
	v_min_u32_e32 v0, 32, v0
	v_subrev_u32_e32 v25, 28, v0
	v_lshlrev_b64 v[25:26], v25, v[30:31]
	v_sub_u32_e32 v0, 29, v0
	v_and_b32_e32 v25, 7, v25
	v_cndmask_b32_e64 v0, v32, v0, s[4:5]
	v_cndmask_b32_e64 v25, v31, v25, s[4:5]
	v_lshlrev_b32_e32 v26, 16, v29
	v_bfrev_b32_e32 v5, 60
	v_lshlrev_b32_e32 v25, 20, v25
	v_and_b32_e32 v26, 0x80000000, v26
	v_lshl_add_u32 v0, v0, 23, v5
	v_or3_b32 v38, v26, v0, v25
.LBB313_292:                            ;   in Loop: Header=BB313_13 Depth=1
	s_or_b64 exec, exec, s[44:45]
.LBB313_293:                            ;   in Loop: Header=BB313_13 Depth=1
	s_or_b64 exec, exec, s[42:43]
.LBB313_294:                            ;   in Loop: Header=BB313_13 Depth=1
	s_or_b64 exec, exec, s[40:41]
	v_lshrrev_b32_e32 v30, 16, v29
	v_mov_b32_e32 v0, 0
	v_cmp_ne_u16_sdwa s[4:5], v30, v0 src0_sel:BYTE_0 src1_sel:DWORD
	v_mov_b32_e32 v31, 0
	v_mov_b32_e32 v5, 0
	s_and_saveexec_b64 s[40:41], s[4:5]
	s_cbranch_execz .LBB313_300
; %bb.295:                              ;   in Loop: Header=BB313_13 Depth=1
	v_cmp_ne_u16_sdwa s[4:5], v30, s52 src0_sel:BYTE_0 src1_sel:DWORD
	v_bfrev_b32_e32 v5, 1
	s_and_saveexec_b64 s[42:43], s[4:5]
	s_cbranch_execz .LBB313_299
; %bb.296:                              ;   in Loop: Header=BB313_13 Depth=1
	v_bfe_u32 v0, v29, 16, 7
	v_cmp_ne_u32_e64 s[4:5], s53, v0
	v_mov_b32_e32 v5, 0x7f800001
	s_and_saveexec_b64 s[44:45], s[4:5]
	s_cbranch_execz .LBB313_298
; %bb.297:                              ;   in Loop: Header=BB313_13 Depth=1
	v_and_b32_e32 v32, 7, v30
	v_lshrrev_b32_e32 v33, 3, v0
	v_cmp_gt_u32_e64 s[4:5], 8, v0
	v_ffbh_u32_e32 v0, v32
	v_min_u32_e32 v0, 32, v0
	v_subrev_u32_e32 v25, 28, v0
	v_lshlrev_b64 v[25:26], v25, v[30:31]
	v_sub_u32_e32 v0, 29, v0
	v_and_b32_e32 v25, 7, v25
	v_cndmask_b32_e64 v0, v33, v0, s[4:5]
	v_cndmask_b32_e64 v25, v32, v25, s[4:5]
	v_lshlrev_b32_e32 v26, 24, v30
	v_bfrev_b32_e32 v5, 60
	v_lshlrev_b32_e32 v25, 20, v25
	v_and_b32_e32 v26, 0x80000000, v26
	v_lshl_add_u32 v0, v0, 23, v5
	v_or3_b32 v5, v26, v0, v25
.LBB313_298:                            ;   in Loop: Header=BB313_13 Depth=1
	s_or_b64 exec, exec, s[44:45]
.LBB313_299:                            ;   in Loop: Header=BB313_13 Depth=1
	s_or_b64 exec, exec, s[42:43]
.LBB313_300:                            ;   in Loop: Header=BB313_13 Depth=1
	s_or_b64 exec, exec, s[40:41]
	buffer_store_dword v5, off, s[60:63], 0 offset:172 ; 4-byte Folded Spill
	v_mov_b32_e32 v32, v63
	buffer_store_dword v61, off, s[60:63], 0 offset:164 ; 4-byte Folded Spill
	buffer_store_dword v60, off, s[60:63], 0 offset:160 ; 4-byte Folded Spill
	;; [unrolled: 1-line block ×15, first 2 shown]
	v_mov_b32_e32 v23, v22
	buffer_store_dword v21, off, s[60:63], 0 offset:100 ; 4-byte Folded Spill
	buffer_store_dword v20, off, s[60:63], 0 offset:96 ; 4-byte Folded Spill
	v_mov_b32_e32 v22, v19
	v_mov_b32_e32 v21, v18
	;; [unrolled: 1-line block ×4, first 2 shown]
	buffer_store_dword v15, off, s[60:63], 0 offset:76 ; 4-byte Folded Spill
	v_mov_b32_e32 v18, v14
	v_mov_b32_e32 v17, v13
	;; [unrolled: 1-line block ×12, first 2 shown]
	v_cmp_lt_u32_e64 s[4:5], s54, v29
	s_and_saveexec_b64 s[40:41], s[4:5]
	s_cbranch_execz .LBB313_306
; %bb.301:                              ;   in Loop: Header=BB313_13 Depth=1
	v_lshrrev_b32_e32 v30, 24, v29
	v_cmp_ne_u32_e64 s[4:5], s52, v30
	v_bfrev_b32_e32 v31, 1
	s_and_saveexec_b64 s[42:43], s[4:5]
	s_cbranch_execz .LBB313_305
; %bb.302:                              ;   in Loop: Header=BB313_13 Depth=1
	v_bfe_u32 v0, v29, 24, 7
	v_cmp_ne_u32_e64 s[4:5], s53, v0
	v_mov_b32_e32 v31, 0x7f800001
	s_and_saveexec_b64 s[44:45], s[4:5]
	s_cbranch_execz .LBB313_304
; %bb.303:                              ;   in Loop: Header=BB313_13 Depth=1
	v_and_b32_e32 v29, 7, v30
	v_lshrrev_b32_e32 v31, 3, v0
	v_cmp_gt_u32_e64 s[4:5], 8, v0
	v_ffbh_u32_e32 v0, v29
	v_min_u32_e32 v0, 32, v0
	v_subrev_u32_e32 v25, 28, v0
	v_lshlrev_b64 v[25:26], v25, v[30:31]
	v_sub_u32_e32 v0, 29, v0
	v_and_b32_e32 v25, 7, v25
	v_cndmask_b32_e64 v0, v31, v0, s[4:5]
	v_cndmask_b32_e64 v25, v29, v25, s[4:5]
	v_lshlrev_b32_e32 v26, 24, v30
	v_bfrev_b32_e32 v5, 60
	v_lshlrev_b32_e32 v25, 20, v25
	v_and_b32_e32 v26, 0x80000000, v26
	v_lshl_add_u32 v0, v0, 23, v5
	v_or3_b32 v31, v26, v0, v25
.LBB313_304:                            ;   in Loop: Header=BB313_13 Depth=1
	s_or_b64 exec, exec, s[44:45]
.LBB313_305:                            ;   in Loop: Header=BB313_13 Depth=1
	s_or_b64 exec, exec, s[42:43]
.LBB313_306:                            ;   in Loop: Header=BB313_13 Depth=1
	s_or_b64 exec, exec, s[40:41]
	buffer_load_dword v2, off, s[60:63], 0 offset:80 ; 4-byte Folded Reload
	buffer_load_dword v3, off, s[60:63], 0 offset:84 ; 4-byte Folded Reload
	;; [unrolled: 1-line block ×4, first 2 shown]
	v_lshlrev_b32_e32 v25, 16, v50
	v_lshlrev_b32_e32 v58, 16, v51
	;; [unrolled: 1-line block ×3, first 2 shown]
	v_and_b32_e32 v56, 0xffff0000, v50
	v_and_b32_e32 v60, 0xffff0000, v51
	;; [unrolled: 1-line block ×3, first 2 shown]
	v_lshlrev_b32_e32 v57, 16, v49
	v_and_b32_e32 v59, 0xffff0000, v49
	v_mul_f32_e32 v31, s56, v31
	s_waitcnt vmcnt(3)
	v_lshlrev_b32_e32 v55, 16, v2
	s_waitcnt vmcnt(2)
	v_lshlrev_b32_e32 v53, 16, v3
	;; [unrolled: 2-line block ×4, first 2 shown]
	v_and_b32_e32 v54, 0xffff0000, v2
	v_and_b32_e32 v52, 0xffff0000, v3
	;; [unrolled: 1-line block ×4, first 2 shown]
	buffer_load_dword v2, off, s[60:63], 0 offset:60 ; 4-byte Folded Reload
	buffer_load_dword v3, off, s[60:63], 0 offset:64 ; 4-byte Folded Reload
	;; [unrolled: 1-line block ×4, first 2 shown]
	s_waitcnt vmcnt(3)
	v_lshlrev_b32_e32 v49, 16, v2
	s_waitcnt vmcnt(2)
	v_lshlrev_b32_e32 v40, 16, v3
	;; [unrolled: 2-line block ×4, first 2 shown]
	v_and_b32_e32 v46, 0xffff0000, v2
	v_and_b32_e32 v39, 0xffff0000, v3
	;; [unrolled: 1-line block ×4, first 2 shown]
	buffer_load_dword v2, off, s[60:63], 0 offset:44 ; 4-byte Folded Reload
	buffer_load_dword v3, off, s[60:63], 0 offset:48 ; 4-byte Folded Reload
	;; [unrolled: 1-line block ×4, first 2 shown]
	s_waitcnt vmcnt(3)
	v_lshlrev_b32_e32 v30, 16, v2
	s_waitcnt vmcnt(2)
	v_lshlrev_b32_e32 v29, 16, v3
	buffer_store_dword v29, off, s[60:63], 0 offset:232 ; 4-byte Folded Spill
	s_waitcnt vmcnt(2)
	v_lshlrev_b32_e32 v29, 16, v4
	buffer_store_dword v29, off, s[60:63], 0 offset:224 ; 4-byte Folded Spill
	;; [unrolled: 3-line block ×3, first 2 shown]
	v_and_b32_e32 v29, 0xffff0000, v2
	v_and_b32_e32 v2, 0xffff0000, v3
	buffer_store_dword v2, off, s[60:63], 0 offset:236 ; 4-byte Folded Spill
	v_and_b32_e32 v2, 0xffff0000, v4
	buffer_store_dword v2, off, s[60:63], 0 offset:228 ; 4-byte Folded Spill
	;; [unrolled: 2-line block ×3, first 2 shown]
	buffer_load_dword v2, off, s[60:63], 0 offset:28 ; 4-byte Folded Reload
	s_nop 0
	buffer_load_dword v3, off, s[60:63], 0 offset:32 ; 4-byte Folded Reload
	buffer_load_dword v4, off, s[60:63], 0 offset:36 ; 4-byte Folded Reload
	;; [unrolled: 1-line block ×3, first 2 shown]
	s_waitcnt vmcnt(3)
	v_lshlrev_b32_e32 v63, 16, v2
	v_and_b32_e32 v2, 0xffff0000, v2
	buffer_store_dword v63, off, s[60:63], 0 offset:208 ; 4-byte Folded Spill
	s_waitcnt vmcnt(3)
	v_lshlrev_b32_e32 v63, 16, v3
	buffer_store_dword v2, off, s[60:63], 0 offset:216 ; 4-byte Folded Spill
	v_and_b32_e32 v2, 0xffff0000, v3
	buffer_store_dword v63, off, s[60:63], 0 offset:200 ; 4-byte Folded Spill
	s_waitcnt vmcnt(4)
	v_lshlrev_b32_e32 v63, 16, v4
	buffer_store_dword v2, off, s[60:63], 0 offset:204 ; 4-byte Folded Spill
	;; [unrolled: 5-line block ×3, first 2 shown]
	v_and_b32_e32 v2, 0xffff0000, v5
	buffer_store_dword v63, off, s[60:63], 0 offset:184 ; 4-byte Folded Spill
	buffer_store_dword v2, off, s[60:63], 0 offset:188 ; 4-byte Folded Spill
	buffer_load_dword v2, off, s[60:63], 0 offset:12 ; 4-byte Folded Reload
	s_nop 0
	buffer_load_dword v3, off, s[60:63], 0 offset:16 ; 4-byte Folded Reload
	buffer_load_dword v4, off, s[60:63], 0 offset:20 ; 4-byte Folded Reload
	;; [unrolled: 1-line block ×3, first 2 shown]
	s_waitcnt vmcnt(3)
	v_lshlrev_b32_e32 v63, 16, v2
	buffer_store_dword v63, off, s[60:63], 0 offset:180 ; 4-byte Folded Spill
	s_waitcnt vmcnt(3)
	v_lshlrev_b32_e32 v63, 16, v3
	v_and_b32_e32 v3, 0xffff0000, v3
	buffer_store_dword v3, off, s[60:63], 0 offset:176 ; 4-byte Folded Spill
	s_waitcnt vmcnt(3)
	v_and_b32_e32 v3, 0xffff0000, v4
	buffer_store_dword v3, off, s[60:63], 0 offset:60 ; 4-byte Folded Spill
	s_waitcnt vmcnt(3)
	v_and_b32_e32 v3, 0xffff0000, v5
	buffer_store_dword v3, off, s[60:63], 0 offset:12 ; 4-byte Folded Spill
	v_mul_f32_e32 v3, s56, v62
	buffer_store_dword v63, off, s[60:63], 0 offset:80 ; 4-byte Folded Spill
	v_lshlrev_b32_e32 v63, 16, v4
	v_bfe_u32 v4, v3, 16, 1
	v_add3_u32 v4, v4, v3, s55
	v_or_b32_e32 v62, 0x400000, v3
	v_cmp_u_f32_e64 s[4:5], v3, v3
	v_cndmask_b32_e64 v3, v4, v62, s[4:5]
	v_mul_f32_e32 v4, s56, v32
	buffer_store_dword v63, off, s[60:63], 0 offset:44 ; 4-byte Folded Spill
	v_lshlrev_b32_e32 v63, 16, v5
	v_bfe_u32 v62, v4, 16, 1
	buffer_store_dword v63, off, s[60:63], 0 offset:28 ; 4-byte Folded Spill
	v_add3_u32 v62, v62, v4, s55
	v_or_b32_e32 v63, 0x400000, v4
	v_cmp_u_f32_e64 s[4:5], v4, v4
	v_cndmask_b32_e64 v4, v62, v63, s[4:5]
	v_and_b32_e32 v3, 0xffff0000, v3
	v_mul_f32_e32 v3, v58, v3
	v_and_b32_e32 v4, 0xffff0000, v4
	v_fmac_f32_e32 v3, v57, v4
	v_mul_f32_e32 v4, s56, v1
	v_bfe_u32 v57, v4, 16, 1
	v_add3_u32 v57, v57, v4, s55
	v_or_b32_e32 v58, 0x400000, v4
	v_cmp_u_f32_e64 s[4:5], v4, v4
	v_cndmask_b32_e64 v4, v57, v58, s[4:5]
	v_mul_f32_e32 v57, s56, v6
	v_bfe_u32 v58, v57, 16, 1
	v_add3_u32 v58, v58, v57, s55
	v_or_b32_e32 v62, 0x400000, v57
	v_cmp_u_f32_e64 s[4:5], v57, v57
	v_cndmask_b32_e64 v57, v58, v62, s[4:5]
	v_and_b32_e32 v4, 0xffff0000, v4
	v_mul_f32_e32 v4, v60, v4
	v_and_b32_e32 v57, 0xffff0000, v57
	v_fmac_f32_e32 v4, v59, v57
	v_mul_f32_e32 v57, s56, v10
	v_bfe_u32 v58, v57, 16, 1
	v_add3_u32 v58, v58, v57, s55
	v_or_b32_e32 v59, 0x400000, v57
	v_cmp_u_f32_e64 s[4:5], v57, v57
	v_cndmask_b32_e64 v57, v58, v59, s[4:5]
	v_mul_f32_e32 v58, s56, v45
	v_bfe_u32 v59, v58, 16, 1
	v_add3_u32 v59, v59, v58, s55
	v_or_b32_e32 v60, 0x400000, v58
	v_cmp_u_f32_e64 s[4:5], v58, v58
	v_cndmask_b32_e64 v58, v59, v60, s[4:5]
	v_and_b32_e32 v57, 0xffff0000, v57
	v_mul_f32_e32 v43, v43, v57
	v_and_b32_e32 v57, 0xffff0000, v58
	v_fmac_f32_e32 v43, v25, v57
	v_mul_f32_e32 v25, s56, v9
	v_bfe_u32 v57, v25, 16, 1
	buffer_load_dword v1, off, s[60:63], 0 offset:168 ; 4-byte Folded Reload
	v_add3_u32 v57, v57, v25, s55
	v_or_b32_e32 v58, 0x400000, v25
	v_cmp_u_f32_e64 s[4:5], v25, v25
	v_cndmask_b32_e64 v25, v57, v58, s[4:5]
	v_mul_f32_e32 v57, s56, v8
	v_bfe_u32 v58, v57, 16, 1
	v_add3_u32 v58, v58, v57, s55
	v_or_b32_e32 v59, 0x400000, v57
	v_cmp_u_f32_e64 s[4:5], v57, v57
	v_cndmask_b32_e64 v57, v58, v59, s[4:5]
	v_and_b32_e32 v25, 0xffff0000, v25
	v_mul_f32_e32 v25, v61, v25
	v_and_b32_e32 v57, 0xffff0000, v57
	v_fmac_f32_e32 v25, v56, v57
	v_mul_f32_e32 v56, s56, v12
	v_bfe_u32 v57, v56, 16, 1
	v_add3_u32 v57, v57, v56, s55
	v_or_b32_e32 v58, 0x400000, v56
	v_cmp_u_f32_e64 s[4:5], v56, v56
	v_cndmask_b32_e64 v56, v57, v58, s[4:5]
	v_and_b32_e32 v56, 0xffff0000, v56
	v_fmac_f32_e32 v3, v55, v56
	v_mul_f32_e32 v55, s56, v11
	v_bfe_u32 v56, v55, 16, 1
	v_add3_u32 v56, v56, v55, s55
	v_or_b32_e32 v57, 0x400000, v55
	v_cmp_u_f32_e64 s[4:5], v55, v55
	v_cndmask_b32_e64 v55, v56, v57, s[4:5]
	v_and_b32_e32 v55, 0xffff0000, v55
	v_fmac_f32_e32 v4, v54, v55
	v_mul_f32_e32 v54, s56, v14
	v_bfe_u32 v55, v54, 16, 1
	v_add3_u32 v55, v55, v54, s55
	v_or_b32_e32 v56, 0x400000, v54
	v_cmp_u_f32_e64 s[4:5], v54, v54
	v_cndmask_b32_e64 v54, v55, v56, s[4:5]
	v_and_b32_e32 v54, 0xffff0000, v54
	v_fmac_f32_e32 v43, v53, v54
	v_mul_f32_e32 v53, s56, v13
	v_bfe_u32 v54, v53, 16, 1
	v_add3_u32 v54, v54, v53, s55
	v_or_b32_e32 v55, 0x400000, v53
	v_cmp_u_f32_e64 s[4:5], v53, v53
	v_cndmask_b32_e64 v53, v54, v55, s[4:5]
	v_and_b32_e32 v53, 0xffff0000, v53
	v_fmac_f32_e32 v25, v52, v53
	v_mul_f32_e32 v52, s56, v16
	v_bfe_u32 v53, v52, 16, 1
	v_add3_u32 v53, v53, v52, s55
	v_or_b32_e32 v54, 0x400000, v52
	v_cmp_u_f32_e64 s[4:5], v52, v52
	v_cndmask_b32_e64 v52, v53, v54, s[4:5]
	v_and_b32_e32 v52, 0xffff0000, v52
	v_fmac_f32_e32 v3, v34, v52
	v_mul_f32_e32 v34, s56, v15
	v_bfe_u32 v52, v34, 16, 1
	v_add3_u32 v52, v52, v34, s55
	v_or_b32_e32 v53, 0x400000, v34
	v_cmp_u_f32_e64 s[4:5], v34, v34
	v_cndmask_b32_e64 v34, v52, v53, s[4:5]
	v_and_b32_e32 v34, 0xffff0000, v34
	v_fmac_f32_e32 v4, v33, v34
	v_mul_f32_e32 v33, s56, v18
	v_bfe_u32 v34, v33, 16, 1
	v_add3_u32 v34, v34, v33, s55
	v_or_b32_e32 v52, 0x400000, v33
	v_cmp_u_f32_e64 s[4:5], v33, v33
	v_cndmask_b32_e64 v33, v34, v52, s[4:5]
	v_and_b32_e32 v33, 0xffff0000, v33
	v_fmac_f32_e32 v43, v51, v33
	v_mul_f32_e32 v33, s56, v17
	v_bfe_u32 v34, v33, 16, 1
	v_add3_u32 v34, v34, v33, s55
	v_or_b32_e32 v51, 0x400000, v33
	v_cmp_u_f32_e64 s[4:5], v33, v33
	v_cndmask_b32_e64 v33, v34, v51, s[4:5]
	v_and_b32_e32 v33, 0xffff0000, v33
	v_fmac_f32_e32 v25, v50, v33
	v_mul_f32_e32 v33, s56, v20
	v_bfe_u32 v34, v33, 16, 1
	v_add3_u32 v34, v34, v33, s55
	v_or_b32_e32 v50, 0x400000, v33
	v_cmp_u_f32_e64 s[4:5], v33, v33
	v_cndmask_b32_e64 v33, v34, v50, s[4:5]
	v_and_b32_e32 v33, 0xffff0000, v33
	v_fmac_f32_e32 v3, v49, v33
	v_mul_f32_e32 v33, s56, v19
	v_bfe_u32 v34, v33, 16, 1
	v_add3_u32 v34, v34, v33, s55
	v_or_b32_e32 v49, 0x400000, v33
	v_cmp_u_f32_e64 s[4:5], v33, v33
	v_cndmask_b32_e64 v33, v34, v49, s[4:5]
	v_and_b32_e32 v33, 0xffff0000, v33
	v_fmac_f32_e32 v4, v46, v33
	v_mul_f32_e32 v33, s56, v22
	v_bfe_u32 v34, v33, 16, 1
	v_add3_u32 v34, v34, v33, s55
	v_or_b32_e32 v46, 0x400000, v33
	v_cmp_u_f32_e64 s[4:5], v33, v33
	v_cndmask_b32_e64 v33, v34, v46, s[4:5]
	v_and_b32_e32 v33, 0xffff0000, v33
	v_fmac_f32_e32 v43, v40, v33
	v_mul_f32_e32 v33, s56, v21
	v_bfe_u32 v34, v33, 16, 1
	v_add3_u32 v34, v34, v33, s55
	v_or_b32_e32 v40, 0x400000, v33
	v_cmp_u_f32_e64 s[4:5], v33, v33
	v_cndmask_b32_e64 v33, v34, v40, s[4:5]
	v_and_b32_e32 v33, 0xffff0000, v33
	v_fmac_f32_e32 v25, v39, v33
	v_mul_f32_e32 v33, s56, v23
	v_bfe_u32 v34, v33, 16, 1
	v_add3_u32 v34, v34, v33, s55
	v_or_b32_e32 v39, 0x400000, v33
	v_cmp_u_f32_e64 s[4:5], v33, v33
	v_cndmask_b32_e64 v33, v34, v39, s[4:5]
	v_and_b32_e32 v33, 0xffff0000, v33
	v_fmac_f32_e32 v3, v41, v33
	v_mul_f32_e32 v33, s56, v38
	v_bfe_u32 v34, v33, 16, 1
	v_add3_u32 v34, v34, v33, s55
	v_or_b32_e32 v38, 0x400000, v33
	v_cmp_u_f32_e64 s[4:5], v33, v33
	v_mul_f32_e32 v33, s56, v37
	v_cndmask_b32_e64 v38, v34, v38, s[4:5]
	v_bfe_u32 v34, v33, 16, 1
	v_add3_u32 v34, v34, v33, s55
	v_or_b32_e32 v37, 0x400000, v33
	v_cmp_u_f32_e64 s[4:5], v33, v33
	v_mul_f32_e32 v33, s56, v35
	v_cndmask_b32_e64 v37, v34, v37, s[4:5]
	;; [unrolled: 6-line block ×3, first 2 shown]
	v_bfe_u32 v34, v33, 16, 1
	v_add3_u32 v34, v34, v33, s55
	v_or_b32_e32 v36, 0x400000, v33
	v_cmp_u_f32_e64 s[4:5], v33, v33
	s_waitcnt vmcnt(0)
	v_mul_f32_e32 v33, s56, v1
	buffer_load_dword v1, off, s[60:63], 0 offset:164 ; 4-byte Folded Reload
	v_cndmask_b32_e64 v36, v34, v36, s[4:5]
	v_bfe_u32 v34, v33, 16, 1
	v_add3_u32 v34, v34, v33, s55
	v_or_b32_e32 v39, 0x400000, v33
	v_cmp_u_f32_e64 s[4:5], v33, v33
	v_cndmask_b32_e64 v63, v34, v39, s[4:5]
	v_and_b32_e32 v2, 0xffff0000, v2
	buffer_load_dword v6, off, s[60:63], 0 offset:260 ; 4-byte Folded Reload
	s_waitcnt vmcnt(1)
	v_mul_f32_e32 v33, s56, v1
	buffer_load_dword v1, off, s[60:63], 0 offset:160 ; 4-byte Folded Reload
	v_bfe_u32 v34, v33, 16, 1
	v_add3_u32 v34, v34, v33, s55
	v_or_b32_e32 v39, 0x400000, v33
	v_cmp_u_f32_e64 s[4:5], v33, v33
	v_cndmask_b32_e64 v62, v34, v39, s[4:5]
	s_waitcnt vmcnt(0)
	v_mul_f32_e32 v33, s56, v1
	buffer_load_dword v1, off, s[60:63], 0 offset:156 ; 4-byte Folded Reload
	v_bfe_u32 v34, v33, 16, 1
	v_add3_u32 v34, v34, v33, s55
	v_or_b32_e32 v39, 0x400000, v33
	v_cmp_u_f32_e64 s[4:5], v33, v33
	v_mul_f32_e32 v33, s56, v7
	v_cndmask_b32_e64 v61, v34, v39, s[4:5]
	v_bfe_u32 v34, v33, 16, 1
	v_add3_u32 v34, v34, v33, s55
	v_or_b32_e32 v39, 0x400000, v33
	v_cmp_u_f32_e64 s[4:5], v33, v33
	v_cndmask_b32_e64 v60, v34, v39, s[4:5]
	s_waitcnt vmcnt(0)
	v_mul_f32_e32 v33, s56, v1
	buffer_load_dword v1, off, s[60:63], 0 offset:148 ; 4-byte Folded Reload
	v_bfe_u32 v34, v33, 16, 1
	v_add3_u32 v34, v34, v33, s55
	v_or_b32_e32 v39, 0x400000, v33
	v_cmp_u_f32_e64 s[4:5], v33, v33
	v_mul_f32_e32 v33, s56, v24
	v_cndmask_b32_e64 v59, v34, v39, s[4:5]
	v_bfe_u32 v34, v33, 16, 1
	v_add3_u32 v34, v34, v33, s55
	v_or_b32_e32 v39, 0x400000, v33
	v_cmp_u_f32_e64 s[4:5], v33, v33
	v_cndmask_b32_e64 v58, v34, v39, s[4:5]
	s_waitcnt vmcnt(0)
	v_mul_f32_e32 v33, s56, v1
	buffer_load_dword v1, off, s[60:63], 0 offset:144 ; 4-byte Folded Reload
	v_bfe_u32 v34, v33, 16, 1
	v_add3_u32 v34, v34, v33, s55
	v_or_b32_e32 v39, 0x400000, v33
	v_cmp_u_f32_e64 s[4:5], v33, v33
	v_cndmask_b32_e64 v57, v34, v39, s[4:5]
	s_waitcnt vmcnt(0)
	v_mul_f32_e32 v33, s56, v1
	buffer_load_dword v1, off, s[60:63], 0 offset:136 ; 4-byte Folded Reload
	;; [unrolled: 8-line block ×15, first 2 shown]
	v_bfe_u32 v45, v39, 16, 1
	v_add3_u32 v45, v45, v39, s55
	v_or_b32_e32 v5, 0x400000, v39
	v_cmp_u_f32_e64 s[4:5], v39, v39
	v_cndmask_b32_e64 v5, v45, v5, s[4:5]
	v_and_b32_e32 v5, 0xffff0000, v5
	v_fmac_f32_e32 v4, v0, v5
	v_and_b32_e32 v0, 0xffff0000, v33
	v_fmac_f32_e32 v43, v47, v0
	;; [unrolled: 2-line block ×3, first 2 shown]
	v_and_b32_e32 v0, 0xffff0000, v49
	v_and_b32_e32 v5, 0xffff0000, v34
	v_fmac_f32_e32 v25, v26, v5
	v_and_b32_e32 v5, 0xffff0000, v40
	v_fmac_f32_e32 v4, v29, v5
	v_and_b32_e32 v5, 0xffff0000, v46
	s_waitcnt vmcnt(0)
	v_mul_f32_e32 v32, s56, v1
	buffer_load_dword v1, off, s[60:63], 0 offset:232 ; 4-byte Folded Reload
	v_bfe_u32 v39, v32, 16, 1
	v_add3_u32 v39, v39, v32, s55
	v_or_b32_e32 v45, 0x400000, v32
	v_cmp_u_f32_e64 s[4:5], v32, v32
	v_cndmask_b32_e64 v32, v39, v45, s[4:5]
	v_bfe_u32 v39, v31, 16, 1
	v_add3_u32 v39, v39, v31, s55
	v_or_b32_e32 v45, 0x400000, v31
	v_cmp_u_f32_e64 s[4:5], v31, v31
	v_cndmask_b32_e64 v39, v39, v45, s[4:5]
	s_waitcnt vmcnt(0)
	v_fmac_f32_e32 v43, v1, v0
	buffer_load_dword v0, off, s[60:63], 0 offset:236 ; 4-byte Folded Reload
	buffer_load_dword v1, off, s[60:63], 0 offset:224 ; 4-byte Folded Reload
	s_waitcnt vmcnt(1)
	v_fmac_f32_e32 v25, v0, v5
	v_and_b32_e32 v0, 0xffff0000, v50
	s_waitcnt vmcnt(0)
	v_fmac_f32_e32 v3, v1, v0
	buffer_load_dword v0, off, s[60:63], 0 offset:228 ; 4-byte Folded Reload
	buffer_load_dword v1, off, s[60:63], 0 offset:212 ; 4-byte Folded Reload
	v_and_b32_e32 v5, 0xffff0000, v51
	s_waitcnt vmcnt(1)
	v_fmac_f32_e32 v4, v0, v5
	v_and_b32_e32 v0, 0xffff0000, v53
	s_waitcnt vmcnt(0)
	v_fmac_f32_e32 v43, v1, v0
	buffer_load_dword v0, off, s[60:63], 0 offset:220 ; 4-byte Folded Reload
	buffer_load_dword v1, off, s[60:63], 0 offset:208 ; 4-byte Folded Reload
	v_and_b32_e32 v5, 0xffff0000, v52
	;; [unrolled: 8-line block ×6, first 2 shown]
	s_waitcnt vmcnt(1)
	v_fmac_f32_e32 v25, v0, v5
	v_and_b32_e32 v0, 0xffff0000, v62
	s_waitcnt vmcnt(0)
	v_fmac_f32_e32 v3, v1, v0
	buffer_load_dword v1, off, s[60:63], 0 offset:80 ; 4-byte Folded Reload
	v_and_b32_e32 v0, 0xffff0000, v35
	v_and_b32_e32 v5, 0xffff0000, v63
	v_fmac_f32_e32 v4, v2, v5
	v_and_b32_e32 v5, 0xffff0000, v36
	buffer_load_dword v2, off, s[60:63], 0 offset:28 ; 4-byte Folded Reload
	s_waitcnt vmcnt(1)
	v_fmac_f32_e32 v43, v1, v0
	buffer_load_dword v0, off, s[60:63], 0 offset:176 ; 4-byte Folded Reload
	buffer_load_dword v1, off, s[60:63], 0 offset:44 ; 4-byte Folded Reload
	s_waitcnt vmcnt(1)
	v_fmac_f32_e32 v25, v0, v5
	v_and_b32_e32 v0, 0xffff0000, v37
	s_waitcnt vmcnt(0)
	v_fmac_f32_e32 v3, v1, v0
	buffer_load_dword v0, off, s[60:63], 0 offset:60 ; 4-byte Folded Reload
	v_and_b32_e32 v5, 0xffff0000, v38
	v_and_b32_e32 v1, 0xffff0000, v39
	s_waitcnt vmcnt(0)
	v_fmac_f32_e32 v4, v0, v5
	v_and_b32_e32 v0, 0xffff0000, v32
	v_fmac_f32_e32 v43, v2, v0
	buffer_load_dword v0, off, s[60:63], 0 offset:12 ; 4-byte Folded Reload
	v_and_b32_e32 v31, 64, v6
	v_add_u32_e32 v31, 64, v31
	v_xor_b32_e32 v45, 1, v6
	v_cmp_lt_i32_e64 s[4:5], v45, v31
	v_cndmask_b32_e64 v31, v6, v45, s[4:5]
	v_lshlrev_b32_e32 v31, 2, v31
	s_waitcnt vmcnt(0)
	v_fmac_f32_e32 v25, v0, v1
	v_add_f32_e32 v0, v3, v4
	v_add_f32_e32 v0, v0, v43
	;; [unrolled: 1-line block ×3, first 2 shown]
	ds_bpermute_b32 v1, v31, v0
	s_and_saveexec_b64 s[40:41], vcc
	s_cbranch_execz .LBB313_11
; %bb.307:                              ;   in Loop: Header=BB313_13 Depth=1
	buffer_load_dword v2, off, s[60:63], 0 offset:268 ; 4-byte Folded Reload
	buffer_load_dword v3, off, s[60:63], 0 offset:264 ; 4-byte Folded Reload
	s_waitcnt lgkmcnt(0)
	v_add_f32_e32 v0, v0, v1
	s_waitcnt vmcnt(1)
	v_add_u32_e32 v2, v2, v42
	v_cvt_f32_i32_e32 v2, v2
	v_mul_f32_e32 v1, s48, v2
	buffer_load_dword v2, off, s[60:63], 0 offset:244 ; 4-byte Folded Reload
	s_waitcnt vmcnt(1)
	v_add_u32_e32 v3, v3, v42
	v_cndmask_b32_e64 v1, 0, v1, s[2:3]
	v_fmac_f32_e32 v1, s37, v0
	v_cmp_gt_i32_e64 s[4:5], s33, v3
	v_cndmask_b32_e64 v0, 0, v1, s[4:5]
	ds_write_b32 v44, v0
	s_waitcnt vmcnt(0)
	v_max_f32_e32 v0, v2, v2
	v_max_f32_e32 v0, v0, v1
	v_cndmask_b32_e64 v2, v2, v0, s[4:5]
	buffer_store_dword v2, off, s[60:63], 0 offset:244 ; 4-byte Folded Spill
	s_branch .LBB313_11
.LBB313_308:
	s_or_b64 exec, exec, s[38:39]
	buffer_load_dword v12, off, s[60:63], 0 offset:272 ; 4-byte Folded Reload
	buffer_load_dword v13, off, s[60:63], 0 offset:276 ; 4-byte Folded Reload
	;; [unrolled: 1-line block ×3, first 2 shown]
	v_mbcnt_lo_u32_b32 v5, -1, 0
.LBB313_309:
	s_or_b64 exec, exec, s[18:19]
	v_mbcnt_hi_u32_b32 v0, -1, v5
	v_and_b32_e32 v7, 64, v0
	v_add_u32_e32 v8, 64, v7
	s_waitcnt lgkmcnt(0)
	v_xor_b32_e32 v1, 32, v0
	v_cmp_lt_i32_e32 vcc, v1, v8
	v_cndmask_b32_e32 v1, v0, v1, vcc
	v_lshlrev_b32_e32 v1, 2, v1
	s_waitcnt vmcnt(0)
	ds_bpermute_b32 v2, v1, v3
	v_xor_b32_e32 v4, 16, v0
	v_max_f32_e32 v3, v3, v3
	v_cmp_lt_i32_e32 vcc, v4, v8
	v_xor_b32_e32 v5, 8, v0
	s_waitcnt lgkmcnt(0)
	v_max_f32_e32 v2, v2, v2
	v_max_f32_e32 v3, v3, v2
	v_cndmask_b32_e32 v2, v0, v4, vcc
	v_lshlrev_b32_e32 v2, 2, v2
	ds_bpermute_b32 v4, v2, v3
	v_cmp_lt_i32_e32 vcc, v5, v8
	v_xor_b32_e32 v6, 4, v0
	v_xor_b32_e32 v9, 2, v0
	s_waitcnt lgkmcnt(0)
	v_max_f32_e32 v4, v4, v4
	v_max_f32_e32 v4, v3, v4
	v_cndmask_b32_e32 v3, v0, v5, vcc
	v_lshlrev_b32_e32 v3, 2, v3
	ds_bpermute_b32 v5, v3, v4
	v_cmp_lt_i32_e32 vcc, v6, v8
	s_waitcnt lgkmcnt(0)
	v_max_f32_e32 v5, v5, v5
	v_max_f32_e32 v5, v4, v5
	v_cndmask_b32_e32 v4, v0, v6, vcc
	v_lshlrev_b32_e32 v4, 2, v4
	ds_bpermute_b32 v6, v4, v5
	v_cmp_lt_i32_e32 vcc, v9, v8
	s_waitcnt lgkmcnt(0)
	v_max_f32_e32 v6, v6, v6
	v_max_f32_e32 v6, v5, v6
	v_cndmask_b32_e32 v5, v0, v9, vcc
	v_lshlrev_b32_e32 v15, 2, v5
	buffer_load_dword v5, off, s[60:63], 0 offset:240 ; 4-byte Folded Reload
	ds_bpermute_b32 v9, v15, v6
	s_waitcnt vmcnt(0)
	v_and_b32_e32 v14, 63, v5
	buffer_load_dword v5, off, s[60:63], 0  ; 4-byte Folded Reload
	v_cmp_eq_u32_e32 vcc, 0, v14
	s_waitcnt vmcnt(0)
	v_lshlrev_b32_e32 v5, 2, v5
	s_and_saveexec_b64 s[2:3], vcc
	s_cbranch_execz .LBB313_311
; %bb.310:
	s_waitcnt lgkmcnt(0)
	v_max_f32_e32 v9, v9, v9
	v_max_f32_e32 v6, v6, v6
	;; [unrolled: 1-line block ×3, first 2 shown]
	ds_write_b32 v5, v6 offset:192
.LBB313_311:
	s_or_b64 exec, exec, s[2:3]
	v_cmp_gt_u32_e64 s[2:3], 2, v14
	s_waitcnt lgkmcnt(0)
	v_mov_b32_e32 v9, 0xff7fffff
	v_lshlrev_b32_e32 v6, 2, v14
	s_barrier
	s_and_saveexec_b64 s[4:5], s[2:3]
; %bb.312:
	ds_read_b32 v9, v6 offset:192
; %bb.313:
	s_or_b64 exec, exec, s[4:5]
	v_xor_b32_e32 v10, 1, v0
	v_cmp_lt_i32_e64 s[4:5], v10, v8
	v_cndmask_b32_e64 v8, v0, v10, s[4:5]
	v_lshlrev_b32_e32 v16, 2, v8
	s_waitcnt lgkmcnt(0)
	ds_bpermute_b32 v8, v16, v9
	v_max_f32_e32 v9, v9, v9
	v_lshlrev_b32_e32 v7, 2, v7
	s_lshl_b32 s4, s47, 5
	s_min_i32 s37, s4, s33
	s_waitcnt lgkmcnt(0)
	v_max_f32_e32 v8, v8, v8
	v_max_f32_e32 v8, v9, v8
	ds_bpermute_b32 v8, v7, v8
	buffer_load_dword v7, off, s[60:63], 0 offset:240 ; 4-byte Folded Reload
	s_waitcnt vmcnt(0)
	v_cmp_gt_i32_e64 s[4:5], s37, v7
	v_mov_b32_e32 v7, 0
	s_and_saveexec_b64 s[12:13], s[4:5]
	s_cbranch_execz .LBB313_317
; %bb.314:
	buffer_load_dword v10, off, s[60:63], 0 offset:240 ; 4-byte Folded Reload
	v_mov_b32_e32 v7, 0xd0
	s_mov_b64 s[18:19], 0
	s_waitcnt vmcnt(0)
	v_lshl_add_u32 v9, v10, 2, v7
	v_mov_b32_e32 v7, 0
.LBB313_315:                            ; =>This Inner Loop Header: Depth=1
	ds_read_b32 v11, v9
	v_add_u32_e32 v10, 0x80, v10
	v_cmp_le_i32_e64 s[6:7], s37, v10
	s_or_b64 s[18:19], s[6:7], s[18:19]
	s_waitcnt lgkmcnt(0)
	v_sub_f32_e32 v11, v11, v8
	v_mul_f32_e32 v11, 0x3fb8aa3b, v11
	v_exp_f32_e32 v11, v11
	ds_write_b32 v9, v11
	v_add_f32_e32 v7, v7, v11
	v_add_u32_e32 v9, 0x200, v9
	s_andn2_b64 exec, exec, s[18:19]
	s_cbranch_execnz .LBB313_315
; %bb.316:
	s_or_b64 exec, exec, s[18:19]
.LBB313_317:
	s_or_b64 exec, exec, s[12:13]
	ds_bpermute_b32 v1, v1, v7
	s_waitcnt lgkmcnt(0)
	v_add_f32_e32 v1, v7, v1
	ds_bpermute_b32 v2, v2, v1
	s_waitcnt lgkmcnt(0)
	v_add_f32_e32 v1, v1, v2
	;; [unrolled: 3-line block ×6, first 2 shown]
	s_and_saveexec_b64 s[6:7], vcc
; %bb.318:
	ds_write_b32 v5, v1 offset:200
; %bb.319:
	s_or_b64 exec, exec, s[6:7]
	s_waitcnt lgkmcnt(0)
	s_barrier
	s_and_saveexec_b64 s[6:7], s[2:3]
; %bb.320:
	ds_read_b32 v1, v6 offset:200
; %bb.321:
	s_or_b64 exec, exec, s[6:7]
	s_waitcnt lgkmcnt(0)
	ds_bpermute_b32 v2, v16, v1
	v_lshlrev_b32_e32 v0, 2, v0
	v_and_b32_e32 v0, 0x100, v0
	s_waitcnt lgkmcnt(0)
	v_add_f32_e32 v1, v1, v2
	ds_bpermute_b32 v0, v0, v1
	s_and_saveexec_b64 s[2:3], s[4:5]
	s_cbranch_execz .LBB313_324
; %bb.322:
	s_waitcnt lgkmcnt(0)
	v_add_f32_e32 v1, 0x358637bd, v0
	v_div_scale_f32 v0, s[4:5], v1, v1, 1.0
	v_div_scale_f32 v2, vcc, 1.0, v1, 1.0
	s_mov_b64 s[4:5], 0
	v_rcp_f32_e32 v3, v0
	v_fma_f32 v4, -v0, v3, 1.0
	v_fmac_f32_e32 v3, v4, v3
	v_mul_f32_e32 v4, v2, v3
	v_fma_f32 v5, -v0, v4, v2
	v_fmac_f32_e32 v4, v5, v3
	v_fma_f32 v0, -v0, v4, v2
	v_div_fmas_f32 v2, v0, v3, v4
	buffer_load_dword v3, off, s[60:63], 0 offset:240 ; 4-byte Folded Reload
	v_mov_b32_e32 v0, 0xd0
	v_div_fixup_f32 v1, v2, v1, 1.0
	s_waitcnt vmcnt(0)
	v_lshl_add_u32 v0, v3, 2, v0
	v_mov_b32_e32 v2, v3
.LBB313_323:                            ; =>This Inner Loop Header: Depth=1
	ds_read_b32 v3, v0
	v_add_u32_e32 v2, 0x80, v2
	v_cmp_le_i32_e32 vcc, s37, v2
	s_or_b64 s[4:5], vcc, s[4:5]
	s_waitcnt lgkmcnt(0)
	v_mul_f32_e32 v3, v1, v3
	ds_write_b32 v0, v3
	v_add_u32_e32 v0, 0x200, v0
	s_andn2_b64 exec, exec, s[4:5]
	s_cbranch_execnz .LBB313_323
.LBB313_324:
	s_or_b64 exec, exec, s[2:3]
	s_waitcnt lgkmcnt(0)
	s_barrier
	buffer_load_dword v0, off, s[60:63], 0 offset:240 ; 4-byte Folded Reload
	v_mov_b32_e32 v55, 0
	v_mov_b32_e32 v59, 0
	;; [unrolled: 1-line block ×6, first 2 shown]
	s_waitcnt vmcnt(0)
	v_and_b32_e32 v17, 3, v0
	s_and_saveexec_b64 s[2:3], s[0:1]
	s_cbranch_execz .LBB313_630
; %bb.325:
	s_sub_i32 s37, s16, s21
	s_ashr_i32 s0, s20, 31
	s_add_u32 s1, s34, s20
	s_addc_u32 s0, s35, s0
	v_and_b32_e32 v1, 0x1f8, v12
	v_mov_b32_e32 v4, s0
	v_add_co_u32_e32 v5, vcc, s1, v1
	v_addc_co_u32_e32 v6, vcc, 0, v4, vcc
	buffer_store_dword v16, off, s[60:63], 0 offset:160 ; 4-byte Folded Spill
	buffer_store_dword v15, off, s[60:63], 0 offset:156 ; 4-byte Folded Spill
	;; [unrolled: 1-line block ×3, first 2 shown]
	s_abs_i32 s22, s22
	buffer_store_dword v5, off, s[60:63], 0 offset:136 ; 4-byte Folded Spill
	s_nop 0
	buffer_store_dword v6, off, s[60:63], 0 offset:140 ; 4-byte Folded Spill
	s_sub_i32 s6, 0, s22
	s_add_i32 s35, s47, -1
	s_lshl_b64 s[0:1], s[30:31], 2
	buffer_load_dword v1, off, s[60:63], 0  ; 4-byte Folded Reload
	v_and_b32_e32 v3, 60, v13
	s_add_u32 s0, s28, s0
	v_add_co_u32_e32 v13, vcc, s0, v3
	buffer_load_dword v3, off, s[60:63], 0 offset:4 ; 4-byte Folded Reload
	v_cvt_f32_u32_e32 v0, s22
	s_addc_u32 s1, s29, s1
	s_mov_b32 s4, -1
	v_and_b32_e32 v53, 24, v12
	v_rcp_iflag_f32_e32 v0, v0
	s_mov_b32 s34, s17
	s_mov_b32 s5, 0xffffff
	v_mov_b32_e32 v10, 0
	v_mul_f32_e32 v0, 0x4f7ffffe, v0
	v_cvt_u32_f32_e32 v0, v0
	s_movk_i32 s28, 0x80
	s_movk_i32 s29, 0x7f
	;; [unrolled: 1-line block ×3, first 2 shown]
	v_mul_lo_u32 v2, s6, v0
	s_mov_b64 s[6:7], 0
	v_mov_b32_e32 v54, 0
	v_mov_b32_e32 v56, 0
	v_mul_hi_u32 v2, v0, v2
	v_mov_b32_e32 v57, 0
	v_mov_b32_e32 v58, 0
	;; [unrolled: 1-line block ×3, first 2 shown]
	v_add_u32_e32 v52, v0, v2
	v_mov_b32_e32 v0, s1
	v_addc_co_u32_e32 v14, vcc, 0, v0, vcc
	v_lshlrev_b32_e32 v0, 5, v17
	v_mov_b32_e32 v55, 0
	buffer_store_dword v17, off, s[60:63], 0 offset:164 ; 4-byte Folded Spill
	buffer_store_dword v53, off, s[60:63], 0 offset:148 ; 4-byte Folded Spill
	;; [unrolled: 1-line block ×3, first 2 shown]
	s_waitcnt vmcnt(4)
	v_lshl_or_b32 v0, v1, 7, v0
	v_add_u32_e32 v32, 0xd0, v0
	s_branch .LBB313_328
.LBB313_326:                            ;   in Loop: Header=BB313_328 Depth=1
	s_or_b64 exec, exec, s[0:1]
	v_bfe_u32 v33, v5, 16, 1
	v_add3_u32 v33, v33, v5, s30
	v_or_b32_e32 v34, 0x400000, v5
	v_cmp_u_f32_e32 vcc, v5, v5
	v_bfe_u32 v5, v6, 16, 1
	v_cndmask_b32_e32 v33, v33, v34, vcc
	v_add3_u32 v5, v5, v6, s30
	v_or_b32_e32 v34, 0x400000, v6
	v_cmp_u_f32_e32 vcc, v6, v6
	v_cndmask_b32_e32 v34, v5, v34, vcc
	v_bfe_u32 v5, v7, 16, 1
	v_add3_u32 v5, v5, v7, s30
	v_or_b32_e32 v6, 0x400000, v7
	v_cmp_u_f32_e32 vcc, v7, v7
	v_cndmask_b32_e32 v5, v5, v6, vcc
	v_bfe_u32 v6, v8, 16, 1
	;; [unrolled: 5-line block ×3, first 2 shown]
	v_add3_u32 v7, v7, v1, s30
	v_or_b32_e32 v8, 0x400000, v1
	v_cmp_u_f32_e32 vcc, v1, v1
	v_bfe_u32 v1, v2, 16, 1
	buffer_load_dword v0, off, s[60:63], 0 offset:132 ; 4-byte Folded Reload
	v_cndmask_b32_e32 v7, v7, v8, vcc
	v_add3_u32 v1, v1, v2, s30
	v_or_b32_e32 v8, 0x400000, v2
	v_cmp_u_f32_e32 vcc, v2, v2
	v_cndmask_b32_e32 v42, v1, v8, vcc
	v_bfe_u32 v1, v3, 16, 1
	v_add3_u32 v1, v1, v3, s30
	v_or_b32_e32 v2, 0x400000, v3
	v_cmp_u_f32_e32 vcc, v3, v3
	v_cndmask_b32_e32 v8, v1, v2, vcc
	v_bfe_u32 v1, v4, 16, 1
	v_add3_u32 v1, v1, v4, s30
	v_or_b32_e32 v2, 0x400000, v4
	v_cmp_u_f32_e32 vcc, v4, v4
	v_cndmask_b32_e32 v43, v1, v2, vcc
	v_and_b32_e32 v1, 0xffff0000, v34
	v_lshlrev_b32_e32 v2, 16, v37
	v_mul_f32_e32 v2, v1, v2
	v_bfe_u32 v3, v2, 16, 1
	v_add3_u32 v3, v3, v2, s30
	v_or_b32_e32 v4, 0x400000, v2
	v_cmp_u_f32_e32 vcc, v2, v2
	v_cndmask_b32_e32 v34, v3, v4, vcc
	v_and_b32_e32 v4, 0xffff0000, v33
	v_lshlrev_b32_e32 v2, 16, v36
	v_mul_f32_e32 v2, v4, v2
	;; [unrolled: 8-line block ×5, first 2 shown]
	v_bfe_u32 v19, v5, 16, 1
	v_add3_u32 v19, v19, v5, s30
	v_or_b32_e32 v36, 0x400000, v5
	v_cmp_u_f32_e32 vcc, v5, v5
	v_and_b32_e32 v7, 0xffff0000, v7
	v_lshlrev_b32_e32 v5, 16, v18
	v_mul_f32_e32 v5, v7, v5
	v_bfe_u32 v18, v5, 16, 1
	v_cndmask_b32_e32 v19, v19, v36, vcc
	v_add3_u32 v18, v18, v5, s30
	v_or_b32_e32 v36, 0x400000, v5
	v_cmp_u_f32_e32 vcc, v5, v5
	v_and_b32_e32 v5, 0xffff0000, v43
	v_lshlrev_b32_e32 v29, 16, v29
	v_mul_f32_e32 v29, v5, v29
	v_cndmask_b32_e32 v18, v18, v36, vcc
	v_bfe_u32 v36, v29, 16, 1
	v_and_b32_e32 v8, 0xffff0000, v8
	v_lshlrev_b32_e32 v27, 16, v27
	v_add3_u32 v36, v36, v29, s30
	v_or_b32_e32 v37, 0x400000, v29
	v_cmp_u_f32_e32 vcc, v29, v29
	v_mul_f32_e32 v27, v8, v27
	v_cndmask_b32_e32 v29, v36, v37, vcc
	v_bfe_u32 v36, v27, 16, 1
	v_and_b32_e32 v33, 0xffff0000, v33
	v_and_b32_e32 v34, 0xffff0000, v34
	v_add3_u32 v36, v36, v27, s30
	v_or_b32_e32 v37, 0x400000, v27
	v_cmp_u_f32_e32 vcc, v27, v27
	v_add_f32_e32 v33, v33, v34
	v_and_b32_e32 v28, 0xffff0000, v28
	v_and_b32_e32 v34, 0xffff0000, v35
	v_cndmask_b32_e32 v27, v36, v37, vcc
	v_add_f32_e32 v28, v28, v34
	v_and_b32_e32 v18, 0xffff0000, v18
	v_and_b32_e32 v19, 0xffff0000, v19
	v_add_f32_e32 v28, v28, v33
	v_add_f32_e32 v18, v18, v19
	v_and_b32_e32 v19, 0xffff0000, v27
	v_and_b32_e32 v27, 0xffff0000, v29
	v_add_f32_e32 v18, v18, v28
	v_add_f32_e32 v19, v19, v27
	v_add_f32_e32 v18, v19, v18
	v_add_f32_e32 v56, v56, v18
	v_lshlrev_b32_e32 v18, 16, v26
	v_mul_f32_e32 v18, v1, v18
	v_bfe_u32 v19, v18, 16, 1
	v_add3_u32 v19, v19, v18, s30
	v_or_b32_e32 v26, 0x400000, v18
	v_cmp_u_f32_e32 vcc, v18, v18
	v_cndmask_b32_e32 v18, v19, v26, vcc
	v_lshlrev_b32_e32 v19, 16, v25
	v_mul_f32_e32 v19, v4, v19
	v_bfe_u32 v25, v19, 16, 1
	v_add3_u32 v25, v25, v19, s30
	v_or_b32_e32 v26, 0x400000, v19
	v_cmp_u_f32_e32 vcc, v19, v19
	v_cndmask_b32_e32 v19, v25, v26, vcc
	v_lshlrev_b32_e32 v25, 16, v31
	v_mul_f32_e32 v25, v2, v25
	v_bfe_u32 v26, v25, 16, 1
	v_lshlrev_b32_e32 v12, 16, v12
	v_add3_u32 v26, v26, v25, s30
	v_or_b32_e32 v27, 0x400000, v25
	v_cmp_u_f32_e32 vcc, v25, v25
	v_mul_f32_e32 v12, v6, v12
	v_cndmask_b32_e32 v25, v26, v27, vcc
	v_bfe_u32 v26, v12, 16, 1
	v_lshlrev_b32_e32 v22, 16, v22
	v_add3_u32 v26, v26, v12, s30
	v_or_b32_e32 v27, 0x400000, v12
	v_cmp_u_f32_e32 vcc, v12, v12
	v_mul_f32_e32 v22, v3, v22
	v_cndmask_b32_e32 v12, v26, v27, vcc
	v_bfe_u32 v26, v22, 16, 1
	v_add3_u32 v26, v26, v22, s30
	v_or_b32_e32 v27, 0x400000, v22
	v_cmp_u_f32_e32 vcc, v22, v22
	v_cndmask_b32_e32 v22, v26, v27, vcc
	v_lshlrev_b32_e32 v26, 16, v30
	v_mul_f32_e32 v26, v7, v26
	v_bfe_u32 v27, v26, 16, 1
	v_lshlrev_b32_e32 v24, 16, v24
	v_add3_u32 v27, v27, v26, s30
	v_or_b32_e32 v28, 0x400000, v26
	v_cmp_u_f32_e32 vcc, v26, v26
	v_mul_f32_e32 v24, v5, v24
	v_cndmask_b32_e32 v26, v27, v28, vcc
	v_bfe_u32 v27, v24, 16, 1
	v_lshlrev_b32_e32 v11, 16, v11
	v_and_b32_e32 v19, 0xffff0000, v19
	v_and_b32_e32 v18, 0xffff0000, v18
	v_add3_u32 v27, v27, v24, s30
	v_or_b32_e32 v28, 0x400000, v24
	v_cmp_u_f32_e32 vcc, v24, v24
	v_mul_f32_e32 v11, v8, v11
	v_add_f32_e32 v18, v19, v18
	v_and_b32_e32 v12, 0xffff0000, v12
	v_and_b32_e32 v19, 0xffff0000, v25
	v_cndmask_b32_e32 v24, v27, v28, vcc
	v_bfe_u32 v27, v11, 16, 1
	v_add_f32_e32 v12, v12, v19
	v_add3_u32 v27, v27, v11, s30
	v_or_b32_e32 v28, 0x400000, v11
	v_cmp_u_f32_e32 vcc, v11, v11
	v_add_f32_e32 v12, v12, v18
	v_and_b32_e32 v18, 0xffff0000, v26
	v_and_b32_e32 v19, 0xffff0000, v22
	v_cndmask_b32_e32 v11, v27, v28, vcc
	v_add_f32_e32 v18, v18, v19
	v_add_f32_e32 v12, v18, v12
	v_and_b32_e32 v11, 0xffff0000, v11
	v_and_b32_e32 v18, 0xffff0000, v24
	v_add_f32_e32 v11, v11, v18
	v_add_f32_e32 v11, v11, v12
	;; [unrolled: 1-line block ×3, first 2 shown]
	v_lshlrev_b32_e32 v11, 16, v20
	v_mul_f32_e32 v11, v1, v11
	v_bfe_u32 v12, v11, 16, 1
	v_add3_u32 v12, v12, v11, s30
	v_or_b32_e32 v18, 0x400000, v11
	v_cmp_u_f32_e32 vcc, v11, v11
	v_cndmask_b32_e32 v11, v12, v18, vcc
	v_lshlrev_b32_e32 v12, 16, v21
	v_mul_f32_e32 v12, v4, v12
	v_bfe_u32 v18, v12, 16, 1
	v_add3_u32 v18, v18, v12, s30
	v_or_b32_e32 v19, 0x400000, v12
	v_cmp_u_f32_e32 vcc, v12, v12
	v_cndmask_b32_e32 v12, v18, v19, vcc
	;; [unrolled: 7-line block ×3, first 2 shown]
	v_lshlrev_b32_e32 v19, 16, v63
	v_mul_f32_e32 v19, v6, v19
	v_bfe_u32 v20, v19, 16, 1
	s_waitcnt vmcnt(0)
	v_lshlrev_b32_e32 v0, 16, v0
	v_add3_u32 v20, v20, v19, s30
	v_or_b32_e32 v21, 0x400000, v19
	v_cmp_u_f32_e32 vcc, v19, v19
	v_mul_f32_e32 v0, v3, v0
	v_cndmask_b32_e32 v19, v20, v21, vcc
	v_bfe_u32 v20, v0, 16, 1
	v_add3_u32 v20, v20, v0, s30
	v_or_b32_e32 v21, 0x400000, v0
	v_cmp_u_f32_e32 vcc, v0, v0
	v_cndmask_b32_e32 v0, v20, v21, vcc
	v_lshlrev_b32_e32 v20, 16, v60
	v_mul_f32_e32 v20, v7, v20
	v_bfe_u32 v21, v20, 16, 1
	v_add3_u32 v21, v21, v20, s30
	v_or_b32_e32 v22, 0x400000, v20
	v_cmp_u_f32_e32 vcc, v20, v20
	v_cndmask_b32_e32 v20, v21, v22, vcc
	v_lshlrev_b32_e32 v21, 16, v23
	v_mul_f32_e32 v21, v5, v21
	v_bfe_u32 v22, v21, 16, 1
	v_add3_u32 v22, v22, v21, s30
	v_or_b32_e32 v23, 0x400000, v21
	v_cmp_u_f32_e32 vcc, v21, v21
	v_cndmask_b32_e32 v21, v22, v23, vcc
	v_lshlrev_b32_e32 v22, 16, v61
	v_and_b32_e32 v12, 0xffff0000, v12
	v_and_b32_e32 v11, 0xffff0000, v11
	v_mul_f32_e32 v22, v8, v22
	v_add_f32_e32 v11, v12, v11
	v_and_b32_e32 v12, 0xffff0000, v19
	v_and_b32_e32 v18, 0xffff0000, v18
	v_bfe_u32 v23, v22, 16, 1
	v_add_f32_e32 v12, v12, v18
	v_add3_u32 v23, v23, v22, s30
	v_or_b32_e32 v24, 0x400000, v22
	v_cmp_u_f32_e32 vcc, v22, v22
	v_add_f32_e32 v11, v12, v11
	v_and_b32_e32 v12, 0xffff0000, v20
	v_and_b32_e32 v0, 0xffff0000, v0
	v_cndmask_b32_e32 v22, v23, v24, vcc
	v_add_f32_e32 v0, v12, v0
	v_add_f32_e32 v0, v0, v11
	v_and_b32_e32 v11, 0xffff0000, v22
	v_and_b32_e32 v12, 0xffff0000, v21
	v_add_f32_e32 v11, v11, v12
	v_add_f32_e32 v0, v11, v0
	;; [unrolled: 1-line block ×3, first 2 shown]
	buffer_load_dword v0, off, s[60:63], 0 offset:124 ; 4-byte Folded Reload
	s_waitcnt vmcnt(0)
	v_lshlrev_b32_e32 v0, 16, v0
	v_mul_f32_e32 v0, v1, v0
	v_bfe_u32 v11, v0, 16, 1
	v_add3_u32 v11, v11, v0, s30
	v_or_b32_e32 v12, 0x400000, v0
	v_cmp_u_f32_e32 vcc, v0, v0
	v_cndmask_b32_e32 v0, v11, v12, vcc
	buffer_load_dword v11, off, s[60:63], 0 offset:128 ; 4-byte Folded Reload
	v_and_b32_e32 v0, 0xffff0000, v0
	s_waitcnt vmcnt(0)
	v_lshlrev_b32_e32 v11, 16, v11
	v_mul_f32_e32 v11, v4, v11
	v_bfe_u32 v12, v11, 16, 1
	v_add3_u32 v12, v12, v11, s30
	v_or_b32_e32 v18, 0x400000, v11
	v_cmp_u_f32_e32 vcc, v11, v11
	v_cndmask_b32_e32 v11, v12, v18, vcc
	buffer_load_dword v12, off, s[60:63], 0 offset:112 ; 4-byte Folded Reload
	v_and_b32_e32 v11, 0xffff0000, v11
	v_add_f32_e32 v0, v11, v0
	s_waitcnt vmcnt(0)
	v_lshlrev_b32_e32 v12, 16, v12
	v_mul_f32_e32 v12, v2, v12
	v_bfe_u32 v18, v12, 16, 1
	v_add3_u32 v18, v18, v12, s30
	v_or_b32_e32 v19, 0x400000, v12
	v_cmp_u_f32_e32 vcc, v12, v12
	v_cndmask_b32_e32 v12, v18, v19, vcc
	buffer_load_dword v18, off, s[60:63], 0 offset:116 ; 4-byte Folded Reload
	v_and_b32_e32 v12, 0xffff0000, v12
	s_waitcnt vmcnt(0)
	v_lshlrev_b32_e32 v18, 16, v18
	v_mul_f32_e32 v18, v6, v18
	v_bfe_u32 v19, v18, 16, 1
	v_add3_u32 v19, v19, v18, s30
	v_or_b32_e32 v20, 0x400000, v18
	v_cmp_u_f32_e32 vcc, v18, v18
	v_cndmask_b32_e32 v18, v19, v20, vcc
	buffer_load_dword v19, off, s[60:63], 0 offset:100 ; 4-byte Folded Reload
	v_and_b32_e32 v11, 0xffff0000, v18
	v_add_f32_e32 v11, v11, v12
	v_add_f32_e32 v0, v11, v0
	s_waitcnt vmcnt(0)
	v_lshlrev_b32_e32 v19, 16, v19
	v_mul_f32_e32 v19, v3, v19
	v_bfe_u32 v20, v19, 16, 1
	v_add3_u32 v20, v20, v19, s30
	v_or_b32_e32 v21, 0x400000, v19
	v_cmp_u_f32_e32 vcc, v19, v19
	v_cndmask_b32_e32 v19, v20, v21, vcc
	buffer_load_dword v20, off, s[60:63], 0 offset:104 ; 4-byte Folded Reload
	v_and_b32_e32 v12, 0xffff0000, v19
	s_waitcnt vmcnt(0)
	v_lshlrev_b32_e32 v20, 16, v20
	v_mul_f32_e32 v20, v7, v20
	v_bfe_u32 v21, v20, 16, 1
	v_add3_u32 v21, v21, v20, s30
	v_or_b32_e32 v22, 0x400000, v20
	v_cmp_u_f32_e32 vcc, v20, v20
	v_cndmask_b32_e32 v20, v21, v22, vcc
	buffer_load_dword v21, off, s[60:63], 0 offset:120 ; 4-byte Folded Reload
	v_and_b32_e32 v11, 0xffff0000, v20
	v_add_f32_e32 v11, v11, v12
	v_add_f32_e32 v0, v11, v0
	s_waitcnt vmcnt(0)
	v_lshlrev_b32_e32 v21, 16, v21
	v_mul_f32_e32 v21, v5, v21
	v_bfe_u32 v22, v21, 16, 1
	v_add3_u32 v22, v22, v21, s30
	v_or_b32_e32 v23, 0x400000, v21
	v_cmp_u_f32_e32 vcc, v21, v21
	v_cndmask_b32_e32 v21, v22, v23, vcc
	buffer_load_dword v22, off, s[60:63], 0 offset:108 ; 4-byte Folded Reload
	v_and_b32_e32 v12, 0xffff0000, v21
	s_waitcnt vmcnt(0)
	v_lshlrev_b32_e32 v22, 16, v22
	v_mul_f32_e32 v22, v8, v22
	v_bfe_u32 v23, v22, 16, 1
	v_add3_u32 v23, v23, v22, s30
	v_or_b32_e32 v24, 0x400000, v22
	v_cmp_u_f32_e32 vcc, v22, v22
	v_cndmask_b32_e32 v22, v23, v24, vcc
	v_and_b32_e32 v11, 0xffff0000, v22
	v_add_f32_e32 v11, v11, v12
	v_add_f32_e32 v0, v11, v0
	;; [unrolled: 1-line block ×3, first 2 shown]
	buffer_load_dword v0, off, s[60:63], 0 offset:80 ; 4-byte Folded Reload
	s_waitcnt vmcnt(0)
	v_lshlrev_b32_e32 v0, 16, v0
	v_mul_f32_e32 v0, v1, v0
	v_bfe_u32 v11, v0, 16, 1
	v_add3_u32 v11, v11, v0, s30
	v_or_b32_e32 v12, 0x400000, v0
	v_cmp_u_f32_e32 vcc, v0, v0
	v_cndmask_b32_e32 v0, v11, v12, vcc
	buffer_load_dword v11, off, s[60:63], 0 offset:96 ; 4-byte Folded Reload
	v_and_b32_e32 v0, 0xffff0000, v0
	s_waitcnt vmcnt(0)
	v_lshlrev_b32_e32 v11, 16, v11
	v_mul_f32_e32 v11, v4, v11
	v_bfe_u32 v12, v11, 16, 1
	v_add3_u32 v12, v12, v11, s30
	v_or_b32_e32 v18, 0x400000, v11
	v_cmp_u_f32_e32 vcc, v11, v11
	v_cndmask_b32_e32 v11, v12, v18, vcc
	buffer_load_dword v12, off, s[60:63], 0 offset:44 ; 4-byte Folded Reload
	v_and_b32_e32 v11, 0xffff0000, v11
	v_add_f32_e32 v0, v11, v0
	s_waitcnt vmcnt(0)
	v_lshlrev_b32_e32 v12, 16, v12
	v_mul_f32_e32 v12, v2, v12
	v_bfe_u32 v18, v12, 16, 1
	v_add3_u32 v18, v18, v12, s30
	v_or_b32_e32 v19, 0x400000, v12
	v_cmp_u_f32_e32 vcc, v12, v12
	v_cndmask_b32_e32 v12, v18, v19, vcc
	buffer_load_dword v18, off, s[60:63], 0 offset:60 ; 4-byte Folded Reload
	v_and_b32_e32 v12, 0xffff0000, v12
	s_waitcnt vmcnt(0)
	v_lshlrev_b32_e32 v18, 16, v18
	v_mul_f32_e32 v18, v6, v18
	v_bfe_u32 v19, v18, 16, 1
	v_add3_u32 v19, v19, v18, s30
	v_or_b32_e32 v20, 0x400000, v18
	v_cmp_u_f32_e32 vcc, v18, v18
	v_cndmask_b32_e32 v18, v19, v20, vcc
	buffer_load_dword v19, off, s[60:63], 0 offset:8 ; 4-byte Folded Reload
	v_and_b32_e32 v11, 0xffff0000, v18
	v_add_f32_e32 v11, v11, v12
	v_add_f32_e32 v0, v11, v0
	s_waitcnt vmcnt(0)
	v_lshlrev_b32_e32 v19, 16, v19
	v_mul_f32_e32 v19, v3, v19
	v_bfe_u32 v20, v19, 16, 1
	v_add3_u32 v20, v20, v19, s30
	v_or_b32_e32 v21, 0x400000, v19
	v_cmp_u_f32_e32 vcc, v19, v19
	v_cndmask_b32_e32 v19, v20, v21, vcc
	buffer_load_dword v20, off, s[60:63], 0 offset:12 ; 4-byte Folded Reload
	v_and_b32_e32 v12, 0xffff0000, v19
	s_waitcnt vmcnt(0)
	v_lshlrev_b32_e32 v20, 16, v20
	v_mul_f32_e32 v20, v7, v20
	v_bfe_u32 v21, v20, 16, 1
	v_add3_u32 v21, v21, v20, s30
	v_or_b32_e32 v22, 0x400000, v20
	v_cmp_u_f32_e32 vcc, v20, v20
	v_cndmask_b32_e32 v20, v21, v22, vcc
	buffer_load_dword v21, off, s[60:63], 0 offset:76 ; 4-byte Folded Reload
	v_and_b32_e32 v11, 0xffff0000, v20
	v_add_f32_e32 v11, v11, v12
	v_add_f32_e32 v0, v11, v0
	s_waitcnt vmcnt(0)
	v_lshlrev_b32_e32 v21, 16, v21
	v_mul_f32_e32 v21, v5, v21
	v_bfe_u32 v22, v21, 16, 1
	v_add3_u32 v22, v22, v21, s30
	v_or_b32_e32 v23, 0x400000, v21
	v_cmp_u_f32_e32 vcc, v21, v21
	v_cndmask_b32_e32 v21, v22, v23, vcc
	buffer_load_dword v22, off, s[60:63], 0 offset:28 ; 4-byte Folded Reload
	v_and_b32_e32 v12, 0xffff0000, v21
	s_waitcnt vmcnt(0)
	v_lshlrev_b32_e32 v22, 16, v22
	v_mul_f32_e32 v22, v8, v22
	v_bfe_u32 v23, v22, 16, 1
	v_add3_u32 v23, v23, v22, s30
	v_or_b32_e32 v24, 0x400000, v22
	v_cmp_u_f32_e32 vcc, v22, v22
	v_cndmask_b32_e32 v22, v23, v24, vcc
	v_and_b32_e32 v11, 0xffff0000, v22
	v_add_f32_e32 v11, v11, v12
	v_add_f32_e32 v0, v11, v0
	;; [unrolled: 1-line block ×3, first 2 shown]
	v_lshlrev_b32_e32 v0, 16, v41
	v_mul_f32_e32 v0, v4, v0
	v_bfe_u32 v4, v0, 16, 1
	v_add3_u32 v4, v4, v0, s30
	v_or_b32_e32 v11, 0x400000, v0
	v_cmp_u_f32_e32 vcc, v0, v0
	v_cndmask_b32_e32 v0, v4, v11, vcc
	v_lshlrev_b32_e32 v4, 16, v40
	v_mul_f32_e32 v1, v1, v4
	v_bfe_u32 v4, v1, 16, 1
	v_add3_u32 v4, v4, v1, s30
	v_or_b32_e32 v11, 0x400000, v1
	v_cmp_u_f32_e32 vcc, v1, v1
	v_cndmask_b32_e32 v1, v4, v11, vcc
	;; [unrolled: 7-line block ×7, first 2 shown]
	v_lshlrev_b32_e32 v8, 16, v38
	v_and_b32_e32 v1, 0xffff0000, v1
	v_and_b32_e32 v0, 0xffff0000, v0
	v_mul_f32_e32 v5, v5, v8
	v_add_f32_e32 v0, v0, v1
	v_and_b32_e32 v1, 0xffff0000, v2
	v_and_b32_e32 v2, 0xffff0000, v4
	v_bfe_u32 v8, v5, 16, 1
	v_add_f32_e32 v1, v2, v1
	v_add3_u32 v8, v8, v5, s30
	v_or_b32_e32 v9, 0x400000, v5
	v_cmp_u_f32_e32 vcc, v5, v5
	v_add_f32_e32 v0, v1, v0
	v_and_b32_e32 v1, 0xffff0000, v3
	v_and_b32_e32 v2, 0xffff0000, v6
	v_cndmask_b32_e32 v5, v8, v9, vcc
	v_add_f32_e32 v1, v2, v1
	v_add_f32_e32 v0, v1, v0
	v_and_b32_e32 v1, 0xffff0000, v5
	v_and_b32_e32 v2, 0xffff0000, v7
	v_add_f32_e32 v1, v2, v1
	v_add_f32_e32 v0, v1, v0
	;; [unrolled: 1-line block ×3, first 2 shown]
.LBB313_327:                            ;   in Loop: Header=BB313_328 Depth=1
	s_or_b64 exec, exec, s[12:13]
	buffer_load_dword v0, off, s[60:63], 0  ; 4-byte Folded Reload
	buffer_load_dword v3, off, s[60:63], 0 offset:4 ; 4-byte Folded Reload
	v_add_co_u32_e32 v13, vcc, 8, v13
	v_addc_co_u32_e32 v14, vcc, 0, v14, vcc
	v_add_u32_e32 v32, 0x100, v32
	s_waitcnt vmcnt(1)
	v_add_u32_e32 v0, 2, v0
	v_cmp_le_i32_e32 vcc, s47, v0
	s_waitcnt vmcnt(0)
	v_add_u32_e32 v3, 64, v3
	s_or_b64 s[6:7], vcc, s[6:7]
	buffer_store_dword v0, off, s[60:63], 0 ; 4-byte Folded Spill
	s_andn2_b64 exec, exec, s[6:7]
	s_cbranch_execz .LBB313_629
.LBB313_328:                            ; =>This Inner Loop Header: Depth=1
	s_waitcnt vmcnt(3)
	v_mul_hi_u32 v0, v3, s46
	buffer_store_dword v3, off, s[60:63], 0 offset:4 ; 4-byte Folded Spill
	v_mul_lo_u32 v1, v0, s25
	v_add_u32_e32 v2, 1, v0
	v_sub_u32_e32 v1, v3, v1
	v_cmp_le_u32_e32 vcc, s25, v1
	v_cndmask_b32_e32 v0, v0, v2, vcc
	v_subrev_u32_e32 v2, s25, v1
	v_cndmask_b32_e32 v1, v1, v2, vcc
	v_add_u32_e32 v2, 1, v0
	v_cmp_le_u32_e32 vcc, s25, v1
	v_cndmask_b32_e32 v0, v0, v2, vcc
	v_xor_b32_e32 v0, s23, v0
	v_subrev_u32_e32 v0, s23, v0
	v_add_u32_e32 v1, s36, v0
	v_sub_u32_e32 v2, 0, v1
	v_max_i32_e32 v2, v1, v2
	v_mul_hi_u32 v3, v2, v52
	v_ashrrev_i32_e32 v1, 31, v1
	v_cmp_lt_i32_e64 s[0:1], s37, v0
	v_mul_lo_u32 v3, v3, s22
	v_sub_u32_e32 v2, v2, v3
	v_subrev_u32_e32 v3, s22, v2
	v_cmp_le_u32_e32 vcc, s22, v2
	v_cndmask_b32_e32 v2, v2, v3, vcc
	v_subrev_u32_e32 v3, s22, v2
	v_cmp_le_u32_e32 vcc, s22, v2
	v_cndmask_b32_e32 v2, v2, v3, vcc
	v_xor_b32_e32 v2, v2, v1
	v_sub_u32_e32 v1, v2, v1
	v_cmp_eq_u32_e32 vcc, 0, v1
	s_or_b64 s[0:1], vcc, s[0:1]
	s_and_saveexec_b64 s[12:13], s[0:1]
	s_cbranch_execz .LBB313_327
; %bb.329:                              ;   in Loop: Header=BB313_328 Depth=1
	global_load_dword v0, v[13:14], off
	buffer_load_dword v1, off, s[60:63], 0 offset:136 ; 4-byte Folded Reload
	buffer_load_dword v2, off, s[60:63], 0 offset:140 ; 4-byte Folded Reload
	v_mov_b32_e32 v11, 0
	s_waitcnt vmcnt(0)
	v_mad_i64_i32 v[15:16], s[0:1], v0, s34, v[1:2]
	v_mov_b32_e32 v0, 0
	global_load_dwordx2 v[17:18], v[15:16], off
	ds_read2_b64 v[5:8], v32 offset1:1
	ds_read2_b64 v[1:4], v32 offset0:2 offset1:3
	s_load_dword s31, s[14:15], 0x0
	s_waitcnt vmcnt(0)
	v_cmp_ne_u16_sdwa s[16:17], v17, v10 src0_sel:BYTE_0 src1_sel:DWORD
	s_and_saveexec_b64 s[0:1], s[16:17]
	s_cbranch_execz .LBB313_335
; %bb.330:                              ;   in Loop: Header=BB313_328 Depth=1
	v_cmp_ne_u16_sdwa s[18:19], v17, s28 src0_sel:BYTE_0 src1_sel:DWORD
	v_bfrev_b32_e32 v0, 1
	s_and_saveexec_b64 s[16:17], s[18:19]
	s_cbranch_execz .LBB313_334
; %bb.331:                              ;   in Loop: Header=BB313_328 Depth=1
	v_and_b32_e32 v9, 0x7f, v17
	v_cmp_ne_u32_e32 vcc, s29, v9
	v_mov_b32_e32 v0, 0x7f800001
	s_and_saveexec_b64 s[18:19], vcc
	s_cbranch_execz .LBB313_333
; %bb.332:                              ;   in Loop: Header=BB313_328 Depth=1
	v_and_b32_e32 v0, 7, v17
	v_ffbh_u32_e32 v0, v0
	v_min_u32_e32 v0, 32, v0
	v_subrev_u32_e32 v19, 28, v0
	v_cmp_gt_u32_e32 vcc, 8, v9
	v_lshrrev_b32_e32 v12, 3, v9
	v_cndmask_b32_e32 v9, 0, v19, vcc
	v_lshlrev_b64 v[19:20], v9, v[17:18]
	v_sub_u32_e32 v0, 29, v0
	v_cndmask_b32_e32 v0, v12, v0, vcc
	v_lshlrev_b32_e32 v9, 20, v19
	v_lshlrev_b32_e32 v12, 24, v17
	v_bfrev_b32_e32 v19, 60
	v_and_b32_e32 v9, 0x700000, v9
	v_and_b32_e32 v12, 0x80000000, v12
	v_lshl_add_u32 v0, v0, 23, v19
	v_or3_b32 v0, v12, v0, v9
.LBB313_333:                            ;   in Loop: Header=BB313_328 Depth=1
	s_or_b64 exec, exec, s[18:19]
.LBB313_334:                            ;   in Loop: Header=BB313_328 Depth=1
	s_or_b64 exec, exec, s[16:17]
.LBB313_335:                            ;   in Loop: Header=BB313_328 Depth=1
	s_or_b64 exec, exec, s[0:1]
	v_lshrrev_b16_e32 v9, 8, v17
	v_cmp_ne_u16_e32 vcc, 0, v9
	s_and_saveexec_b64 s[0:1], vcc
	s_cbranch_execz .LBB313_341
; %bb.336:                              ;   in Loop: Header=BB313_328 Depth=1
	v_cmp_ne_u16_e32 vcc, s28, v9
	v_bfrev_b32_e32 v11, 1
	s_and_saveexec_b64 s[16:17], vcc
	s_cbranch_execz .LBB313_340
; %bb.337:                              ;   in Loop: Header=BB313_328 Depth=1
	v_and_b32_e32 v12, 0x7f, v9
	v_cmp_ne_u32_e32 vcc, s29, v12
	v_mov_b32_e32 v11, 0x7f800001
	s_and_saveexec_b64 s[18:19], vcc
	s_cbranch_execz .LBB313_339
; %bb.338:                              ;   in Loop: Header=BB313_328 Depth=1
	v_and_b32_e32 v11, 7, v9
	v_ffbh_u32_e32 v19, v11
	v_min_u32_e32 v22, 32, v19
	v_subrev_u32_e32 v19, 28, v22
	v_lshlrev_b64 v[19:20], v19, v[9:10]
	v_lshrrev_b32_e32 v21, 3, v12
	v_sub_u32_e32 v9, 29, v22
	v_and_b32_e32 v19, 7, v19
	v_cmp_gt_u32_e32 vcc, 8, v12
	v_cndmask_b32_e32 v9, v21, v9, vcc
	v_cndmask_b32_e32 v11, v11, v19, vcc
	v_lshlrev_b32_e32 v12, 16, v17
	v_bfrev_b32_e32 v19, 60
	v_lshlrev_b32_e32 v11, 20, v11
	v_and_b32_e32 v12, 0x80000000, v12
	v_lshl_add_u32 v9, v9, 23, v19
	v_or3_b32 v11, v12, v9, v11
.LBB313_339:                            ;   in Loop: Header=BB313_328 Depth=1
	s_or_b64 exec, exec, s[18:19]
.LBB313_340:                            ;   in Loop: Header=BB313_328 Depth=1
	s_or_b64 exec, exec, s[16:17]
.LBB313_341:                            ;   in Loop: Header=BB313_328 Depth=1
	s_or_b64 exec, exec, s[0:1]
	v_lshrrev_b32_e32 v9, 16, v17
	v_cmp_ne_u16_sdwa s[16:17], v9, v10 src0_sel:BYTE_0 src1_sel:DWORD
	v_mov_b32_e32 v20, 0
	v_mov_b32_e32 v12, 0
	s_and_saveexec_b64 s[0:1], s[16:17]
	s_cbranch_execz .LBB313_347
; %bb.342:                              ;   in Loop: Header=BB313_328 Depth=1
	v_cmp_ne_u16_sdwa s[18:19], v9, s28 src0_sel:BYTE_0 src1_sel:DWORD
	v_bfrev_b32_e32 v12, 1
	s_and_saveexec_b64 s[16:17], s[18:19]
	s_cbranch_execz .LBB313_346
; %bb.343:                              ;   in Loop: Header=BB313_328 Depth=1
	v_bfe_u32 v19, v17, 16, 7
	v_cmp_ne_u32_e32 vcc, s29, v19
	v_mov_b32_e32 v12, 0x7f800001
	s_and_saveexec_b64 s[18:19], vcc
	s_cbranch_execz .LBB313_345
; %bb.344:                              ;   in Loop: Header=BB313_328 Depth=1
	v_and_b32_e32 v12, 7, v9
	v_ffbh_u32_e32 v21, v12
	v_min_u32_e32 v24, 32, v21
	v_subrev_u32_e32 v21, 28, v24
	v_lshlrev_b64 v[21:22], v21, v[9:10]
	v_lshrrev_b32_e32 v23, 3, v19
	v_sub_u32_e32 v22, 29, v24
	v_and_b32_e32 v21, 7, v21
	v_cmp_gt_u32_e32 vcc, 8, v19
	v_cndmask_b32_e32 v19, v23, v22, vcc
	v_cndmask_b32_e32 v12, v12, v21, vcc
	v_lshlrev_b32_e32 v9, 24, v9
	v_bfrev_b32_e32 v21, 60
	v_lshlrev_b32_e32 v12, 20, v12
	v_and_b32_e32 v9, 0x80000000, v9
	v_lshl_add_u32 v19, v19, 23, v21
	v_or3_b32 v12, v9, v19, v12
.LBB313_345:                            ;   in Loop: Header=BB313_328 Depth=1
	s_or_b64 exec, exec, s[18:19]
.LBB313_346:                            ;   in Loop: Header=BB313_328 Depth=1
	s_or_b64 exec, exec, s[16:17]
.LBB313_347:                            ;   in Loop: Header=BB313_328 Depth=1
	s_or_b64 exec, exec, s[0:1]
	v_cmp_lt_u32_e32 vcc, s5, v17
	s_and_saveexec_b64 s[0:1], vcc
	s_cbranch_execz .LBB313_353
; %bb.348:                              ;   in Loop: Header=BB313_328 Depth=1
	v_lshrrev_b32_e32 v9, 24, v17
	v_cmp_ne_u32_e32 vcc, s28, v9
	v_bfrev_b32_e32 v20, 1
	s_and_saveexec_b64 s[16:17], vcc
	s_cbranch_execz .LBB313_352
; %bb.349:                              ;   in Loop: Header=BB313_328 Depth=1
	v_bfe_u32 v19, v17, 24, 7
	v_cmp_ne_u32_e32 vcc, s29, v19
	v_mov_b32_e32 v20, 0x7f800001
	s_and_saveexec_b64 s[18:19], vcc
	s_cbranch_execz .LBB313_351
; %bb.350:                              ;   in Loop: Header=BB313_328 Depth=1
	v_and_b32_e32 v22, 7, v9
	v_ffbh_u32_e32 v20, v22
	v_min_u32_e32 v24, 32, v20
	v_subrev_u32_e32 v20, 28, v24
	v_lshlrev_b64 v[20:21], v20, v[9:10]
	v_lshrrev_b32_e32 v23, 3, v19
	v_sub_u32_e32 v21, 29, v24
	v_and_b32_e32 v20, 7, v20
	v_cmp_gt_u32_e32 vcc, 8, v19
	v_cndmask_b32_e32 v19, v23, v21, vcc
	v_cndmask_b32_e32 v20, v22, v20, vcc
	v_lshlrev_b32_e32 v9, 24, v9
	v_bfrev_b32_e32 v21, 60
	v_lshlrev_b32_e32 v20, 20, v20
	v_and_b32_e32 v9, 0x80000000, v9
	v_lshl_add_u32 v19, v19, 23, v21
	v_or3_b32 v20, v9, v19, v20
.LBB313_351:                            ;   in Loop: Header=BB313_328 Depth=1
	s_or_b64 exec, exec, s[18:19]
.LBB313_352:                            ;   in Loop: Header=BB313_328 Depth=1
	s_or_b64 exec, exec, s[16:17]
.LBB313_353:                            ;   in Loop: Header=BB313_328 Depth=1
	s_or_b64 exec, exec, s[0:1]
	v_mov_b32_e32 v9, v18
	v_cmp_ne_u16_sdwa s[16:17], v18, v10 src0_sel:BYTE_0 src1_sel:DWORD
	v_mov_b32_e32 v22, 0
	v_mov_b32_e32 v21, 0
	s_and_saveexec_b64 s[0:1], s[16:17]
	s_cbranch_execz .LBB313_359
; %bb.354:                              ;   in Loop: Header=BB313_328 Depth=1
	v_cmp_ne_u16_sdwa s[18:19], v18, s28 src0_sel:BYTE_0 src1_sel:DWORD
	v_bfrev_b32_e32 v21, 1
	s_and_saveexec_b64 s[16:17], s[18:19]
	s_cbranch_execz .LBB313_358
; %bb.355:                              ;   in Loop: Header=BB313_328 Depth=1
	v_and_b32_e32 v19, 0x7f, v18
	v_cmp_ne_u32_e32 vcc, s29, v19
	v_mov_b32_e32 v21, 0x7f800001
	s_and_saveexec_b64 s[18:19], vcc
	s_cbranch_execz .LBB313_357
; %bb.356:                              ;   in Loop: Header=BB313_328 Depth=1
	v_and_b32_e32 v21, 7, v18
	v_ffbh_u32_e32 v21, v21
	v_min_u32_e32 v21, 32, v21
	v_lshrrev_b32_e32 v23, 3, v19
	v_subrev_u32_e32 v24, 28, v21
	v_sub_u32_e32 v21, 29, v21
	v_cmp_gt_u32_e32 vcc, 8, v19
	v_cndmask_b32_e32 v19, v23, v21, vcc
	v_cndmask_b32_e32 v21, 0, v24, vcc
	v_lshlrev_b64 v[23:24], v21, v[9:10]
	v_bfrev_b32_e32 v24, 60
	v_lshlrev_b32_e32 v21, 20, v23
	v_lshlrev_b32_e32 v23, 24, v9
	v_and_b32_e32 v21, 0x700000, v21
	v_and_b32_e32 v23, 0x80000000, v23
	v_lshl_add_u32 v19, v19, 23, v24
	v_or3_b32 v21, v23, v19, v21
.LBB313_357:                            ;   in Loop: Header=BB313_328 Depth=1
	s_or_b64 exec, exec, s[18:19]
.LBB313_358:                            ;   in Loop: Header=BB313_328 Depth=1
	s_or_b64 exec, exec, s[16:17]
.LBB313_359:                            ;   in Loop: Header=BB313_328 Depth=1
	s_or_b64 exec, exec, s[0:1]
	v_lshrrev_b16_e32 v19, 8, v9
	v_cmp_ne_u16_e32 vcc, 0, v19
	s_and_saveexec_b64 s[0:1], vcc
	s_cbranch_execz .LBB313_365
; %bb.360:                              ;   in Loop: Header=BB313_328 Depth=1
	v_cmp_ne_u16_e32 vcc, s28, v19
	v_bfrev_b32_e32 v22, 1
	s_and_saveexec_b64 s[16:17], vcc
	s_cbranch_execz .LBB313_364
; %bb.361:                              ;   in Loop: Header=BB313_328 Depth=1
	v_and_b32_e32 v23, 0x7f, v19
	v_cmp_ne_u32_e32 vcc, s29, v23
	v_mov_b32_e32 v22, 0x7f800001
	s_and_saveexec_b64 s[18:19], vcc
	s_cbranch_execz .LBB313_363
; %bb.362:                              ;   in Loop: Header=BB313_328 Depth=1
	v_and_b32_e32 v22, 7, v19
	v_ffbh_u32_e32 v24, v22
	v_min_u32_e32 v27, 32, v24
	v_subrev_u32_e32 v24, 28, v27
	v_lshlrev_b64 v[24:25], v24, v[19:20]
	v_lshrrev_b32_e32 v26, 3, v23
	v_sub_u32_e32 v19, 29, v27
	v_and_b32_e32 v24, 7, v24
	v_cmp_gt_u32_e32 vcc, 8, v23
	v_cndmask_b32_e32 v19, v26, v19, vcc
	v_cndmask_b32_e32 v22, v22, v24, vcc
	v_lshlrev_b32_e32 v9, 16, v9
	v_bfrev_b32_e32 v23, 60
	v_lshlrev_b32_e32 v22, 20, v22
	v_and_b32_e32 v9, 0x80000000, v9
	v_lshl_add_u32 v19, v19, 23, v23
	v_or3_b32 v22, v9, v19, v22
.LBB313_363:                            ;   in Loop: Header=BB313_328 Depth=1
	s_or_b64 exec, exec, s[18:19]
.LBB313_364:                            ;   in Loop: Header=BB313_328 Depth=1
	s_or_b64 exec, exec, s[16:17]
.LBB313_365:                            ;   in Loop: Header=BB313_328 Depth=1
	s_or_b64 exec, exec, s[0:1]
	v_lshrrev_b32_e32 v9, 16, v18
	v_cmp_ne_u16_sdwa s[16:17], v9, v10 src0_sel:BYTE_0 src1_sel:DWORD
	v_mov_b32_e32 v19, 0
	v_mov_b32_e32 v23, 0
	s_and_saveexec_b64 s[0:1], s[16:17]
	s_cbranch_execz .LBB313_371
; %bb.366:                              ;   in Loop: Header=BB313_328 Depth=1
	v_cmp_ne_u16_sdwa s[18:19], v9, s28 src0_sel:BYTE_0 src1_sel:DWORD
	v_bfrev_b32_e32 v23, 1
	s_and_saveexec_b64 s[16:17], s[18:19]
	s_cbranch_execz .LBB313_370
; %bb.367:                              ;   in Loop: Header=BB313_328 Depth=1
	v_bfe_u32 v24, v18, 16, 7
	v_cmp_ne_u32_e32 vcc, s29, v24
	v_mov_b32_e32 v23, 0x7f800001
	s_and_saveexec_b64 s[18:19], vcc
	s_cbranch_execz .LBB313_369
; %bb.368:                              ;   in Loop: Header=BB313_328 Depth=1
	v_and_b32_e32 v23, 7, v9
	v_ffbh_u32_e32 v25, v23
	v_min_u32_e32 v28, 32, v25
	v_subrev_u32_e32 v25, 28, v28
	v_lshlrev_b64 v[25:26], v25, v[9:10]
	v_lshrrev_b32_e32 v27, 3, v24
	v_sub_u32_e32 v26, 29, v28
	v_and_b32_e32 v25, 7, v25
	v_cmp_gt_u32_e32 vcc, 8, v24
	v_cndmask_b32_e32 v24, v27, v26, vcc
	v_cndmask_b32_e32 v23, v23, v25, vcc
	v_lshlrev_b32_e32 v9, 24, v9
	v_bfrev_b32_e32 v25, 60
	v_lshlrev_b32_e32 v23, 20, v23
	v_and_b32_e32 v9, 0x80000000, v9
	v_lshl_add_u32 v24, v24, 23, v25
	v_or3_b32 v23, v9, v24, v23
.LBB313_369:                            ;   in Loop: Header=BB313_328 Depth=1
	s_or_b64 exec, exec, s[18:19]
.LBB313_370:                            ;   in Loop: Header=BB313_328 Depth=1
	s_or_b64 exec, exec, s[16:17]
.LBB313_371:                            ;   in Loop: Header=BB313_328 Depth=1
	s_or_b64 exec, exec, s[0:1]
	v_cmp_lt_u64_e32 vcc, s[4:5], v[17:18]
	s_and_saveexec_b64 s[0:1], vcc
	s_cbranch_execz .LBB313_377
; %bb.372:                              ;   in Loop: Header=BB313_328 Depth=1
	v_lshrrev_b32_e32 v9, 24, v18
	v_cmp_ne_u32_e32 vcc, s28, v9
	v_bfrev_b32_e32 v19, 1
	s_and_saveexec_b64 s[16:17], vcc
	s_cbranch_execz .LBB313_376
; %bb.373:                              ;   in Loop: Header=BB313_328 Depth=1
	v_bfe_u32 v17, v18, 24, 7
	v_cmp_ne_u32_e32 vcc, s29, v17
	v_mov_b32_e32 v19, 0x7f800001
	s_and_saveexec_b64 s[18:19], vcc
	s_cbranch_execz .LBB313_375
; %bb.374:                              ;   in Loop: Header=BB313_328 Depth=1
	v_and_b32_e32 v24, 7, v9
	v_ffbh_u32_e32 v18, v24
	v_min_u32_e32 v26, 32, v18
	v_subrev_u32_e32 v18, 28, v26
	v_lshlrev_b64 v[18:19], v18, v[9:10]
	v_lshrrev_b32_e32 v25, 3, v17
	v_sub_u32_e32 v19, 29, v26
	v_and_b32_e32 v18, 7, v18
	v_cmp_gt_u32_e32 vcc, 8, v17
	v_cndmask_b32_e32 v17, v25, v19, vcc
	v_cndmask_b32_e32 v18, v24, v18, vcc
	v_lshlrev_b32_e32 v9, 24, v9
	v_bfrev_b32_e32 v19, 60
	v_lshlrev_b32_e32 v18, 20, v18
	v_and_b32_e32 v9, 0x80000000, v9
	v_lshl_add_u32 v17, v17, 23, v19
	v_or3_b32 v19, v9, v17, v18
.LBB313_375:                            ;   in Loop: Header=BB313_328 Depth=1
	s_or_b64 exec, exec, s[18:19]
.LBB313_376:                            ;   in Loop: Header=BB313_328 Depth=1
	s_or_b64 exec, exec, s[16:17]
.LBB313_377:                            ;   in Loop: Header=BB313_328 Depth=1
	s_or_b64 exec, exec, s[0:1]
	buffer_load_dword v9, off, s[60:63], 0 offset:4 ; 4-byte Folded Reload
	s_waitcnt lgkmcnt(0)
	v_mul_f32_e32 v0, s31, v0
	s_waitcnt vmcnt(0)
	v_add_u32_e32 v44, v53, v9
	buffer_load_dword v9, off, s[60:63], 0  ; 4-byte Folded Reload
	v_add_u32_e32 v51, 1, v44
	v_add_u32_e32 v50, 2, v44
	;; [unrolled: 1-line block ×7, first 2 shown]
	s_waitcnt vmcnt(0)
	v_cmp_eq_u32_e32 vcc, s35, v9
	v_mul_f32_e32 v9, s31, v22
	v_bfe_u32 v17, v9, 16, 1
	v_add3_u32 v17, v17, v9, s30
	v_or_b32_e32 v18, 0x400000, v9
	v_cmp_u_f32_e64 s[0:1], v9, v9
	v_cndmask_b32_e64 v9, v17, v18, s[0:1]
	v_lshrrev_b32_e32 v9, 16, v9
	buffer_store_dword v9, off, s[60:63], 0 offset:8 ; 4-byte Folded Spill
	v_mul_f32_e32 v9, s31, v21
	v_bfe_u32 v17, v9, 16, 1
	v_add3_u32 v17, v17, v9, s30
	v_or_b32_e32 v18, 0x400000, v9
	v_cmp_u_f32_e64 s[0:1], v9, v9
	v_cndmask_b32_e64 v9, v17, v18, s[0:1]
	v_lshrrev_b32_e32 v9, 16, v9
	buffer_store_dword v9, off, s[60:63], 0 offset:12 ; 4-byte Folded Spill
	;; [unrolled: 8-line block ×5, first 2 shown]
	v_bfe_u32 v9, v0, 16, 1
	v_add3_u32 v9, v9, v0, s30
	v_or_b32_e32 v11, 0x400000, v0
	v_cmp_u_f32_e64 s[0:1], v0, v0
	v_cndmask_b32_e64 v0, v9, v11, s[0:1]
	v_lshrrev_b32_e32 v0, 16, v0
	buffer_store_dword v0, off, s[60:63], 0 offset:96 ; 4-byte Folded Spill
	v_mul_f32_e32 v0, s31, v23
	v_bfe_u32 v9, v0, 16, 1
	v_add3_u32 v9, v9, v0, s30
	v_or_b32_e32 v11, 0x400000, v0
	v_cmp_u_f32_e64 s[0:1], v0, v0
	v_cndmask_b32_e64 v0, v9, v11, s[0:1]
	v_lshrrev_b32_e32 v0, 16, v0
	buffer_store_dword v0, off, s[60:63], 0 offset:28 ; 4-byte Folded Spill
	v_mul_f32_e32 v0, s31, v19
	v_bfe_u32 v9, v0, 16, 1
	v_add3_u32 v9, v9, v0, s30
	v_or_b32_e32 v11, 0x400000, v0
	v_cmp_u_f32_e64 s[0:1], v0, v0
	v_cndmask_b32_e64 v0, v9, v11, s[0:1]
	v_lshrrev_b32_e32 v0, 16, v0
	buffer_store_dword v0, off, s[60:63], 0 offset:76 ; 4-byte Folded Spill
	s_and_saveexec_b64 s[16:17], vcc
	s_cbranch_execz .LBB313_379
; %bb.378:                              ;   in Loop: Header=BB313_328 Depth=1
	buffer_load_dword v0, off, s[60:63], 0 offset:96 ; 4-byte Folded Reload
	v_cmp_gt_i32_e64 s[0:1], s33, v44
	s_waitcnt vmcnt(0)
	v_cndmask_b32_e64 v0, 0, v0, s[0:1]
	buffer_store_dword v0, off, s[60:63], 0 offset:96 ; 4-byte Folded Spill
	buffer_load_dword v0, off, s[60:63], 0 offset:80 ; 4-byte Folded Reload
	v_cmp_gt_i32_e64 s[0:1], s33, v51
	s_waitcnt vmcnt(0)
	v_cndmask_b32_e64 v0, 0, v0, s[0:1]
	buffer_store_dword v0, off, s[60:63], 0 offset:80 ; 4-byte Folded Spill
	buffer_load_dword v0, off, s[60:63], 0 offset:60 ; 4-byte Folded Reload
	v_cmp_gt_i32_e64 s[0:1], s33, v50
	s_waitcnt vmcnt(0)
	v_cndmask_b32_e64 v0, 0, v0, s[0:1]
	buffer_store_dword v0, off, s[60:63], 0 offset:60 ; 4-byte Folded Spill
	buffer_load_dword v0, off, s[60:63], 0 offset:44 ; 4-byte Folded Reload
	v_cmp_gt_i32_e64 s[0:1], s33, v49
	s_waitcnt vmcnt(0)
	v_cndmask_b32_e64 v0, 0, v0, s[0:1]
	buffer_store_dword v0, off, s[60:63], 0 offset:44 ; 4-byte Folded Spill
	buffer_load_dword v0, off, s[60:63], 0 offset:12 ; 4-byte Folded Reload
	v_cmp_gt_i32_e64 s[0:1], s33, v48
	s_waitcnt vmcnt(0)
	v_cndmask_b32_e64 v0, 0, v0, s[0:1]
	buffer_store_dword v0, off, s[60:63], 0 offset:12 ; 4-byte Folded Spill
	buffer_load_dword v0, off, s[60:63], 0 offset:8 ; 4-byte Folded Reload
	v_cmp_gt_i32_e64 s[0:1], s33, v47
	s_waitcnt vmcnt(0)
	v_cndmask_b32_e64 v0, 0, v0, s[0:1]
	buffer_store_dword v0, off, s[60:63], 0 offset:8 ; 4-byte Folded Spill
	buffer_load_dword v0, off, s[60:63], 0 offset:28 ; 4-byte Folded Reload
	v_cmp_gt_i32_e64 s[0:1], s33, v46
	s_waitcnt vmcnt(0)
	v_cndmask_b32_e64 v0, 0, v0, s[0:1]
	buffer_store_dword v0, off, s[60:63], 0 offset:28 ; 4-byte Folded Spill
	buffer_load_dword v0, off, s[60:63], 0 offset:76 ; 4-byte Folded Reload
	v_cmp_gt_i32_e64 s[0:1], s33, v45
	s_waitcnt vmcnt(0)
	v_cndmask_b32_e64 v0, 0, v0, s[0:1]
	buffer_store_dword v0, off, s[60:63], 0 offset:76 ; 4-byte Folded Spill
.LBB313_379:                            ;   in Loop: Header=BB313_328 Depth=1
	s_or_b64 exec, exec, s[16:17]
	global_load_dwordx2 v[17:18], v[15:16], off offset:512
	v_mov_b32_e32 v11, 0
	v_mov_b32_e32 v0, 0
	s_waitcnt vmcnt(0)
	v_cmp_ne_u16_sdwa s[0:1], v17, v10 src0_sel:BYTE_0 src1_sel:DWORD
	s_and_saveexec_b64 s[16:17], s[0:1]
	s_cbranch_execz .LBB313_385
; %bb.380:                              ;   in Loop: Header=BB313_328 Depth=1
	v_cmp_ne_u16_sdwa s[0:1], v17, s28 src0_sel:BYTE_0 src1_sel:DWORD
	v_bfrev_b32_e32 v0, 1
	s_and_saveexec_b64 s[18:19], s[0:1]
	s_cbranch_execz .LBB313_384
; %bb.381:                              ;   in Loop: Header=BB313_328 Depth=1
	v_and_b32_e32 v9, 0x7f, v17
	v_cmp_ne_u32_e64 s[0:1], s29, v9
	v_mov_b32_e32 v0, 0x7f800001
	s_and_saveexec_b64 s[20:21], s[0:1]
	s_cbranch_execz .LBB313_383
; %bb.382:                              ;   in Loop: Header=BB313_328 Depth=1
	v_and_b32_e32 v0, 7, v17
	v_ffbh_u32_e32 v0, v0
	v_min_u32_e32 v0, 32, v0
	v_subrev_u32_e32 v19, 28, v0
	v_cmp_gt_u32_e64 s[0:1], 8, v9
	v_lshrrev_b32_e32 v12, 3, v9
	v_cndmask_b32_e64 v9, 0, v19, s[0:1]
	v_lshlrev_b64 v[19:20], v9, v[17:18]
	v_sub_u32_e32 v0, 29, v0
	v_cndmask_b32_e64 v0, v12, v0, s[0:1]
	v_lshlrev_b32_e32 v9, 20, v19
	v_lshlrev_b32_e32 v12, 24, v17
	v_bfrev_b32_e32 v19, 60
	v_and_b32_e32 v9, 0x700000, v9
	v_and_b32_e32 v12, 0x80000000, v12
	v_lshl_add_u32 v0, v0, 23, v19
	v_or3_b32 v0, v12, v0, v9
.LBB313_383:                            ;   in Loop: Header=BB313_328 Depth=1
	s_or_b64 exec, exec, s[20:21]
.LBB313_384:                            ;   in Loop: Header=BB313_328 Depth=1
	s_or_b64 exec, exec, s[18:19]
.LBB313_385:                            ;   in Loop: Header=BB313_328 Depth=1
	s_or_b64 exec, exec, s[16:17]
	v_lshrrev_b16_e32 v9, 8, v17
	v_cmp_ne_u16_e64 s[0:1], 0, v9
	s_and_saveexec_b64 s[16:17], s[0:1]
	s_cbranch_execz .LBB313_391
; %bb.386:                              ;   in Loop: Header=BB313_328 Depth=1
	v_cmp_ne_u16_e64 s[0:1], s28, v9
	v_bfrev_b32_e32 v11, 1
	s_and_saveexec_b64 s[18:19], s[0:1]
	s_cbranch_execz .LBB313_390
; %bb.387:                              ;   in Loop: Header=BB313_328 Depth=1
	v_and_b32_e32 v12, 0x7f, v9
	v_cmp_ne_u32_e64 s[0:1], s29, v12
	v_mov_b32_e32 v11, 0x7f800001
	s_and_saveexec_b64 s[20:21], s[0:1]
	s_cbranch_execz .LBB313_389
; %bb.388:                              ;   in Loop: Header=BB313_328 Depth=1
	v_and_b32_e32 v11, 7, v9
	v_ffbh_u32_e32 v19, v11
	v_min_u32_e32 v22, 32, v19
	v_subrev_u32_e32 v19, 28, v22
	v_lshlrev_b64 v[19:20], v19, v[9:10]
	v_lshrrev_b32_e32 v21, 3, v12
	v_sub_u32_e32 v9, 29, v22
	v_and_b32_e32 v19, 7, v19
	v_cmp_gt_u32_e64 s[0:1], 8, v12
	v_cndmask_b32_e64 v9, v21, v9, s[0:1]
	v_cndmask_b32_e64 v11, v11, v19, s[0:1]
	v_lshlrev_b32_e32 v12, 16, v17
	v_bfrev_b32_e32 v19, 60
	v_lshlrev_b32_e32 v11, 20, v11
	v_and_b32_e32 v12, 0x80000000, v12
	v_lshl_add_u32 v9, v9, 23, v19
	v_or3_b32 v11, v12, v9, v11
.LBB313_389:                            ;   in Loop: Header=BB313_328 Depth=1
	s_or_b64 exec, exec, s[20:21]
.LBB313_390:                            ;   in Loop: Header=BB313_328 Depth=1
	s_or_b64 exec, exec, s[18:19]
.LBB313_391:                            ;   in Loop: Header=BB313_328 Depth=1
	s_or_b64 exec, exec, s[16:17]
	v_lshrrev_b32_e32 v9, 16, v17
	v_cmp_ne_u16_sdwa s[0:1], v9, v10 src0_sel:BYTE_0 src1_sel:DWORD
	v_mov_b32_e32 v20, 0
	v_mov_b32_e32 v12, 0
	s_and_saveexec_b64 s[16:17], s[0:1]
	s_cbranch_execz .LBB313_397
; %bb.392:                              ;   in Loop: Header=BB313_328 Depth=1
	v_cmp_ne_u16_sdwa s[0:1], v9, s28 src0_sel:BYTE_0 src1_sel:DWORD
	v_bfrev_b32_e32 v12, 1
	s_and_saveexec_b64 s[18:19], s[0:1]
	s_cbranch_execz .LBB313_396
; %bb.393:                              ;   in Loop: Header=BB313_328 Depth=1
	v_bfe_u32 v19, v17, 16, 7
	v_cmp_ne_u32_e64 s[0:1], s29, v19
	v_mov_b32_e32 v12, 0x7f800001
	s_and_saveexec_b64 s[20:21], s[0:1]
	s_cbranch_execz .LBB313_395
; %bb.394:                              ;   in Loop: Header=BB313_328 Depth=1
	v_and_b32_e32 v12, 7, v9
	v_ffbh_u32_e32 v21, v12
	v_min_u32_e32 v24, 32, v21
	v_subrev_u32_e32 v21, 28, v24
	v_lshlrev_b64 v[21:22], v21, v[9:10]
	v_lshrrev_b32_e32 v23, 3, v19
	v_sub_u32_e32 v22, 29, v24
	v_and_b32_e32 v21, 7, v21
	v_cmp_gt_u32_e64 s[0:1], 8, v19
	v_cndmask_b32_e64 v19, v23, v22, s[0:1]
	v_cndmask_b32_e64 v12, v12, v21, s[0:1]
	v_lshlrev_b32_e32 v9, 24, v9
	v_bfrev_b32_e32 v21, 60
	v_lshlrev_b32_e32 v12, 20, v12
	v_and_b32_e32 v9, 0x80000000, v9
	v_lshl_add_u32 v19, v19, 23, v21
	v_or3_b32 v12, v9, v19, v12
.LBB313_395:                            ;   in Loop: Header=BB313_328 Depth=1
	s_or_b64 exec, exec, s[20:21]
.LBB313_396:                            ;   in Loop: Header=BB313_328 Depth=1
	s_or_b64 exec, exec, s[18:19]
.LBB313_397:                            ;   in Loop: Header=BB313_328 Depth=1
	s_or_b64 exec, exec, s[16:17]
	v_cmp_lt_u32_e64 s[0:1], s5, v17
	s_and_saveexec_b64 s[16:17], s[0:1]
	s_cbranch_execz .LBB313_403
; %bb.398:                              ;   in Loop: Header=BB313_328 Depth=1
	v_lshrrev_b32_e32 v9, 24, v17
	v_cmp_ne_u32_e64 s[0:1], s28, v9
	v_bfrev_b32_e32 v20, 1
	s_and_saveexec_b64 s[18:19], s[0:1]
	s_cbranch_execz .LBB313_402
; %bb.399:                              ;   in Loop: Header=BB313_328 Depth=1
	v_bfe_u32 v19, v17, 24, 7
	v_cmp_ne_u32_e64 s[0:1], s29, v19
	v_mov_b32_e32 v20, 0x7f800001
	s_and_saveexec_b64 s[20:21], s[0:1]
	s_cbranch_execz .LBB313_401
; %bb.400:                              ;   in Loop: Header=BB313_328 Depth=1
	v_and_b32_e32 v22, 7, v9
	v_ffbh_u32_e32 v20, v22
	v_min_u32_e32 v24, 32, v20
	v_subrev_u32_e32 v20, 28, v24
	v_lshlrev_b64 v[20:21], v20, v[9:10]
	v_lshrrev_b32_e32 v23, 3, v19
	v_sub_u32_e32 v21, 29, v24
	v_and_b32_e32 v20, 7, v20
	v_cmp_gt_u32_e64 s[0:1], 8, v19
	v_cndmask_b32_e64 v19, v23, v21, s[0:1]
	v_cndmask_b32_e64 v20, v22, v20, s[0:1]
	v_lshlrev_b32_e32 v9, 24, v9
	v_bfrev_b32_e32 v21, 60
	v_lshlrev_b32_e32 v20, 20, v20
	v_and_b32_e32 v9, 0x80000000, v9
	v_lshl_add_u32 v19, v19, 23, v21
	v_or3_b32 v20, v9, v19, v20
.LBB313_401:                            ;   in Loop: Header=BB313_328 Depth=1
	s_or_b64 exec, exec, s[20:21]
.LBB313_402:                            ;   in Loop: Header=BB313_328 Depth=1
	s_or_b64 exec, exec, s[18:19]
.LBB313_403:                            ;   in Loop: Header=BB313_328 Depth=1
	s_or_b64 exec, exec, s[16:17]
	v_mov_b32_e32 v9, v18
	v_cmp_ne_u16_sdwa s[0:1], v18, v10 src0_sel:BYTE_0 src1_sel:DWORD
	v_mov_b32_e32 v22, 0
	v_mov_b32_e32 v21, 0
	s_and_saveexec_b64 s[16:17], s[0:1]
	s_cbranch_execz .LBB313_409
; %bb.404:                              ;   in Loop: Header=BB313_328 Depth=1
	v_cmp_ne_u16_sdwa s[0:1], v18, s28 src0_sel:BYTE_0 src1_sel:DWORD
	v_bfrev_b32_e32 v21, 1
	s_and_saveexec_b64 s[18:19], s[0:1]
	s_cbranch_execz .LBB313_408
; %bb.405:                              ;   in Loop: Header=BB313_328 Depth=1
	v_and_b32_e32 v19, 0x7f, v18
	v_cmp_ne_u32_e64 s[0:1], s29, v19
	v_mov_b32_e32 v21, 0x7f800001
	s_and_saveexec_b64 s[20:21], s[0:1]
	s_cbranch_execz .LBB313_407
; %bb.406:                              ;   in Loop: Header=BB313_328 Depth=1
	v_and_b32_e32 v21, 7, v18
	v_ffbh_u32_e32 v21, v21
	v_min_u32_e32 v21, 32, v21
	v_lshrrev_b32_e32 v23, 3, v19
	v_subrev_u32_e32 v24, 28, v21
	v_sub_u32_e32 v21, 29, v21
	v_cmp_gt_u32_e64 s[0:1], 8, v19
	v_cndmask_b32_e64 v19, v23, v21, s[0:1]
	v_cndmask_b32_e64 v21, 0, v24, s[0:1]
	v_lshlrev_b64 v[23:24], v21, v[9:10]
	v_bfrev_b32_e32 v24, 60
	v_lshlrev_b32_e32 v21, 20, v23
	v_lshlrev_b32_e32 v23, 24, v9
	v_and_b32_e32 v21, 0x700000, v21
	v_and_b32_e32 v23, 0x80000000, v23
	v_lshl_add_u32 v19, v19, 23, v24
	v_or3_b32 v21, v23, v19, v21
.LBB313_407:                            ;   in Loop: Header=BB313_328 Depth=1
	s_or_b64 exec, exec, s[20:21]
.LBB313_408:                            ;   in Loop: Header=BB313_328 Depth=1
	s_or_b64 exec, exec, s[18:19]
.LBB313_409:                            ;   in Loop: Header=BB313_328 Depth=1
	s_or_b64 exec, exec, s[16:17]
	v_lshrrev_b16_e32 v19, 8, v9
	v_cmp_ne_u16_e64 s[0:1], 0, v19
	s_and_saveexec_b64 s[16:17], s[0:1]
	s_cbranch_execz .LBB313_415
; %bb.410:                              ;   in Loop: Header=BB313_328 Depth=1
	v_cmp_ne_u16_e64 s[0:1], s28, v19
	v_bfrev_b32_e32 v22, 1
	s_and_saveexec_b64 s[18:19], s[0:1]
	s_cbranch_execz .LBB313_414
; %bb.411:                              ;   in Loop: Header=BB313_328 Depth=1
	v_and_b32_e32 v23, 0x7f, v19
	v_cmp_ne_u32_e64 s[0:1], s29, v23
	v_mov_b32_e32 v22, 0x7f800001
	s_and_saveexec_b64 s[20:21], s[0:1]
	s_cbranch_execz .LBB313_413
; %bb.412:                              ;   in Loop: Header=BB313_328 Depth=1
	v_and_b32_e32 v22, 7, v19
	v_ffbh_u32_e32 v24, v22
	v_min_u32_e32 v27, 32, v24
	v_subrev_u32_e32 v24, 28, v27
	v_lshlrev_b64 v[24:25], v24, v[19:20]
	v_lshrrev_b32_e32 v26, 3, v23
	v_sub_u32_e32 v19, 29, v27
	v_and_b32_e32 v24, 7, v24
	v_cmp_gt_u32_e64 s[0:1], 8, v23
	v_cndmask_b32_e64 v19, v26, v19, s[0:1]
	v_cndmask_b32_e64 v22, v22, v24, s[0:1]
	v_lshlrev_b32_e32 v9, 16, v9
	v_bfrev_b32_e32 v23, 60
	v_lshlrev_b32_e32 v22, 20, v22
	v_and_b32_e32 v9, 0x80000000, v9
	v_lshl_add_u32 v19, v19, 23, v23
	v_or3_b32 v22, v9, v19, v22
.LBB313_413:                            ;   in Loop: Header=BB313_328 Depth=1
	s_or_b64 exec, exec, s[20:21]
.LBB313_414:                            ;   in Loop: Header=BB313_328 Depth=1
	s_or_b64 exec, exec, s[18:19]
.LBB313_415:                            ;   in Loop: Header=BB313_328 Depth=1
	s_or_b64 exec, exec, s[16:17]
	v_lshrrev_b32_e32 v9, 16, v18
	v_cmp_ne_u16_sdwa s[0:1], v9, v10 src0_sel:BYTE_0 src1_sel:DWORD
	v_mov_b32_e32 v19, 0
	v_mov_b32_e32 v23, 0
	s_and_saveexec_b64 s[16:17], s[0:1]
	s_cbranch_execz .LBB313_421
; %bb.416:                              ;   in Loop: Header=BB313_328 Depth=1
	v_cmp_ne_u16_sdwa s[0:1], v9, s28 src0_sel:BYTE_0 src1_sel:DWORD
	v_bfrev_b32_e32 v23, 1
	s_and_saveexec_b64 s[18:19], s[0:1]
	s_cbranch_execz .LBB313_420
; %bb.417:                              ;   in Loop: Header=BB313_328 Depth=1
	v_bfe_u32 v24, v18, 16, 7
	v_cmp_ne_u32_e64 s[0:1], s29, v24
	v_mov_b32_e32 v23, 0x7f800001
	s_and_saveexec_b64 s[20:21], s[0:1]
	s_cbranch_execz .LBB313_419
; %bb.418:                              ;   in Loop: Header=BB313_328 Depth=1
	v_and_b32_e32 v25, 7, v9
	v_ffbh_u32_e32 v23, v25
	v_min_u32_e32 v27, 32, v23
	v_subrev_u32_e32 v23, 28, v27
	v_lshrrev_b32_e32 v26, 3, v24
	v_cmp_gt_u32_e64 s[0:1], 8, v24
	v_lshlrev_b64 v[23:24], v23, v[9:10]
	v_sub_u32_e32 v24, 29, v27
	v_and_b32_e32 v23, 7, v23
	v_cndmask_b32_e64 v24, v26, v24, s[0:1]
	v_cndmask_b32_e64 v23, v25, v23, s[0:1]
	v_lshlrev_b32_e32 v9, 24, v9
	v_bfrev_b32_e32 v25, 60
	v_lshlrev_b32_e32 v23, 20, v23
	v_and_b32_e32 v9, 0x80000000, v9
	v_lshl_add_u32 v24, v24, 23, v25
	v_or3_b32 v23, v9, v24, v23
.LBB313_419:                            ;   in Loop: Header=BB313_328 Depth=1
	s_or_b64 exec, exec, s[20:21]
.LBB313_420:                            ;   in Loop: Header=BB313_328 Depth=1
	s_or_b64 exec, exec, s[18:19]
.LBB313_421:                            ;   in Loop: Header=BB313_328 Depth=1
	s_or_b64 exec, exec, s[16:17]
	v_cmp_lt_u64_e64 s[0:1], s[4:5], v[17:18]
	s_and_saveexec_b64 s[16:17], s[0:1]
	s_cbranch_execz .LBB313_427
; %bb.422:                              ;   in Loop: Header=BB313_328 Depth=1
	v_lshrrev_b32_e32 v9, 24, v18
	v_cmp_ne_u32_e64 s[0:1], s28, v9
	v_bfrev_b32_e32 v19, 1
	s_and_saveexec_b64 s[18:19], s[0:1]
	s_cbranch_execz .LBB313_426
; %bb.423:                              ;   in Loop: Header=BB313_328 Depth=1
	v_bfe_u32 v17, v18, 24, 7
	v_cmp_ne_u32_e64 s[0:1], s29, v17
	v_mov_b32_e32 v19, 0x7f800001
	s_and_saveexec_b64 s[20:21], s[0:1]
	s_cbranch_execz .LBB313_425
; %bb.424:                              ;   in Loop: Header=BB313_328 Depth=1
	v_and_b32_e32 v24, 7, v9
	v_ffbh_u32_e32 v18, v24
	v_min_u32_e32 v26, 32, v18
	v_subrev_u32_e32 v18, 28, v26
	v_lshlrev_b64 v[18:19], v18, v[9:10]
	v_lshrrev_b32_e32 v25, 3, v17
	v_sub_u32_e32 v19, 29, v26
	v_and_b32_e32 v18, 7, v18
	v_cmp_gt_u32_e64 s[0:1], 8, v17
	v_cndmask_b32_e64 v17, v25, v19, s[0:1]
	v_cndmask_b32_e64 v18, v24, v18, s[0:1]
	v_lshlrev_b32_e32 v9, 24, v9
	v_bfrev_b32_e32 v19, 60
	v_lshlrev_b32_e32 v18, 20, v18
	v_and_b32_e32 v9, 0x80000000, v9
	v_lshl_add_u32 v17, v17, 23, v19
	v_or3_b32 v19, v9, v17, v18
.LBB313_425:                            ;   in Loop: Header=BB313_328 Depth=1
	s_or_b64 exec, exec, s[20:21]
.LBB313_426:                            ;   in Loop: Header=BB313_328 Depth=1
	s_or_b64 exec, exec, s[18:19]
.LBB313_427:                            ;   in Loop: Header=BB313_328 Depth=1
	s_or_b64 exec, exec, s[16:17]
	v_mul_f32_e32 v9, s31, v22
	v_bfe_u32 v17, v9, 16, 1
	v_add3_u32 v17, v17, v9, s30
	v_or_b32_e32 v18, 0x400000, v9
	v_cmp_u_f32_e64 s[0:1], v9, v9
	v_cndmask_b32_e64 v9, v17, v18, s[0:1]
	v_lshrrev_b32_e32 v9, 16, v9
	buffer_store_dword v9, off, s[60:63], 0 offset:100 ; 4-byte Folded Spill
	v_mul_f32_e32 v9, s31, v21
	v_bfe_u32 v17, v9, 16, 1
	v_add3_u32 v17, v17, v9, s30
	v_or_b32_e32 v18, 0x400000, v9
	v_cmp_u_f32_e64 s[0:1], v9, v9
	v_cndmask_b32_e64 v9, v17, v18, s[0:1]
	v_lshrrev_b32_e32 v9, 16, v9
	buffer_store_dword v9, off, s[60:63], 0 offset:104 ; 4-byte Folded Spill
	;; [unrolled: 8-line block ×4, first 2 shown]
	v_mul_f32_e32 v9, s31, v11
	v_bfe_u32 v11, v9, 16, 1
	v_add3_u32 v11, v11, v9, s30
	v_or_b32_e32 v12, 0x400000, v9
	v_cmp_u_f32_e64 s[0:1], v9, v9
	v_cndmask_b32_e64 v9, v11, v12, s[0:1]
	v_lshrrev_b32_e32 v9, 16, v9
	v_mul_f32_e32 v0, s31, v0
	buffer_store_dword v9, off, s[60:63], 0 offset:124 ; 4-byte Folded Spill
	v_bfe_u32 v9, v0, 16, 1
	v_add3_u32 v9, v9, v0, s30
	v_or_b32_e32 v11, 0x400000, v0
	v_cmp_u_f32_e64 s[0:1], v0, v0
	v_cndmask_b32_e64 v0, v9, v11, s[0:1]
	v_lshrrev_b32_e32 v0, 16, v0
	buffer_store_dword v0, off, s[60:63], 0 offset:128 ; 4-byte Folded Spill
	v_mul_f32_e32 v0, s31, v23
	v_bfe_u32 v9, v0, 16, 1
	v_add3_u32 v9, v9, v0, s30
	v_or_b32_e32 v11, 0x400000, v0
	v_cmp_u_f32_e64 s[0:1], v0, v0
	v_cndmask_b32_e64 v0, v9, v11, s[0:1]
	v_lshrrev_b32_e32 v0, 16, v0
	buffer_store_dword v0, off, s[60:63], 0 offset:108 ; 4-byte Folded Spill
	v_mul_f32_e32 v0, s31, v19
	v_bfe_u32 v9, v0, 16, 1
	v_add3_u32 v9, v9, v0, s30
	v_or_b32_e32 v11, 0x400000, v0
	v_cmp_u_f32_e64 s[0:1], v0, v0
	v_cndmask_b32_e64 v0, v9, v11, s[0:1]
	v_lshrrev_b32_e32 v0, 16, v0
	buffer_store_dword v0, off, s[60:63], 0 offset:120 ; 4-byte Folded Spill
	s_and_saveexec_b64 s[16:17], vcc
	s_cbranch_execz .LBB313_429
; %bb.428:                              ;   in Loop: Header=BB313_328 Depth=1
	buffer_load_dword v0, off, s[60:63], 0 offset:128 ; 4-byte Folded Reload
	v_cmp_gt_i32_e64 s[0:1], s33, v44
	s_waitcnt vmcnt(0)
	v_cndmask_b32_e64 v0, 0, v0, s[0:1]
	buffer_store_dword v0, off, s[60:63], 0 offset:128 ; 4-byte Folded Spill
	buffer_load_dword v0, off, s[60:63], 0 offset:124 ; 4-byte Folded Reload
	v_cmp_gt_i32_e64 s[0:1], s33, v51
	s_waitcnt vmcnt(0)
	v_cndmask_b32_e64 v0, 0, v0, s[0:1]
	buffer_store_dword v0, off, s[60:63], 0 offset:124 ; 4-byte Folded Spill
	;; [unrolled: 5-line block ×8, first 2 shown]
.LBB313_429:                            ;   in Loop: Header=BB313_328 Depth=1
	s_or_b64 exec, exec, s[16:17]
	global_load_dwordx2 v[17:18], v[15:16], off offset:1024
	v_mov_b32_e32 v12, 0
	v_mov_b32_e32 v11, 0
	s_waitcnt vmcnt(0)
	v_cmp_ne_u16_sdwa s[0:1], v17, v10 src0_sel:BYTE_0 src1_sel:DWORD
	s_and_saveexec_b64 s[16:17], s[0:1]
	s_cbranch_execz .LBB313_435
; %bb.430:                              ;   in Loop: Header=BB313_328 Depth=1
	v_cmp_ne_u16_sdwa s[0:1], v17, s28 src0_sel:BYTE_0 src1_sel:DWORD
	v_bfrev_b32_e32 v11, 1
	s_and_saveexec_b64 s[18:19], s[0:1]
	s_cbranch_execz .LBB313_434
; %bb.431:                              ;   in Loop: Header=BB313_328 Depth=1
	v_and_b32_e32 v0, 0x7f, v17
	v_cmp_ne_u32_e64 s[0:1], s29, v0
	v_mov_b32_e32 v11, 0x7f800001
	s_and_saveexec_b64 s[20:21], s[0:1]
	s_cbranch_execz .LBB313_433
; %bb.432:                              ;   in Loop: Header=BB313_328 Depth=1
	v_and_b32_e32 v9, 7, v17
	v_ffbh_u32_e32 v9, v9
	v_min_u32_e32 v9, 32, v9
	v_lshrrev_b32_e32 v11, 3, v0
	v_subrev_u32_e32 v19, 28, v9
	v_sub_u32_e32 v9, 29, v9
	v_cmp_gt_u32_e64 s[0:1], 8, v0
	v_cndmask_b32_e64 v0, v11, v9, s[0:1]
	v_cndmask_b32_e64 v9, 0, v19, s[0:1]
	v_lshlrev_b64 v[19:20], v9, v[17:18]
	v_lshlrev_b32_e32 v11, 24, v17
	v_lshlrev_b32_e32 v9, 20, v19
	v_bfrev_b32_e32 v19, 60
	v_and_b32_e32 v9, 0x700000, v9
	v_and_b32_e32 v11, 0x80000000, v11
	v_lshl_add_u32 v0, v0, 23, v19
	v_or3_b32 v11, v11, v0, v9
.LBB313_433:                            ;   in Loop: Header=BB313_328 Depth=1
	s_or_b64 exec, exec, s[20:21]
.LBB313_434:                            ;   in Loop: Header=BB313_328 Depth=1
	s_or_b64 exec, exec, s[18:19]
.LBB313_435:                            ;   in Loop: Header=BB313_328 Depth=1
	s_or_b64 exec, exec, s[16:17]
	v_lshrrev_b16_e32 v9, 8, v17
	v_cmp_ne_u16_e64 s[0:1], 0, v9
	s_and_saveexec_b64 s[16:17], s[0:1]
	s_cbranch_execz .LBB313_441
; %bb.436:                              ;   in Loop: Header=BB313_328 Depth=1
	v_cmp_ne_u16_e64 s[0:1], s28, v9
	v_bfrev_b32_e32 v12, 1
	s_and_saveexec_b64 s[18:19], s[0:1]
	s_cbranch_execz .LBB313_440
; %bb.437:                              ;   in Loop: Header=BB313_328 Depth=1
	v_and_b32_e32 v0, 0x7f, v9
	v_cmp_ne_u32_e64 s[0:1], s29, v0
	v_mov_b32_e32 v12, 0x7f800001
	s_and_saveexec_b64 s[20:21], s[0:1]
	s_cbranch_execz .LBB313_439
; %bb.438:                              ;   in Loop: Header=BB313_328 Depth=1
	v_and_b32_e32 v12, 7, v9
	v_lshrrev_b32_e32 v21, 3, v0
	v_cmp_gt_u32_e64 s[0:1], 8, v0
	v_ffbh_u32_e32 v0, v12
	v_min_u32_e32 v0, 32, v0
	v_subrev_u32_e32 v19, 28, v0
	v_lshlrev_b64 v[19:20], v19, v[9:10]
	v_sub_u32_e32 v0, 29, v0
	v_and_b32_e32 v9, 7, v19
	v_cndmask_b32_e64 v0, v21, v0, s[0:1]
	v_cndmask_b32_e64 v9, v12, v9, s[0:1]
	v_lshlrev_b32_e32 v12, 16, v17
	v_bfrev_b32_e32 v19, 60
	v_lshlrev_b32_e32 v9, 20, v9
	v_and_b32_e32 v12, 0x80000000, v12
	v_lshl_add_u32 v0, v0, 23, v19
	v_or3_b32 v12, v12, v0, v9
.LBB313_439:                            ;   in Loop: Header=BB313_328 Depth=1
	s_or_b64 exec, exec, s[20:21]
.LBB313_440:                            ;   in Loop: Header=BB313_328 Depth=1
	s_or_b64 exec, exec, s[18:19]
.LBB313_441:                            ;   in Loop: Header=BB313_328 Depth=1
	s_or_b64 exec, exec, s[16:17]
	v_lshrrev_b32_e32 v9, 16, v17
	v_cmp_ne_u16_sdwa s[0:1], v9, v10 src0_sel:BYTE_0 src1_sel:DWORD
	v_mov_b32_e32 v21, 0
	v_mov_b32_e32 v20, 0
	s_and_saveexec_b64 s[16:17], s[0:1]
	s_cbranch_execz .LBB313_447
; %bb.442:                              ;   in Loop: Header=BB313_328 Depth=1
	v_cmp_ne_u16_sdwa s[0:1], v9, s28 src0_sel:BYTE_0 src1_sel:DWORD
	v_bfrev_b32_e32 v20, 1
	s_and_saveexec_b64 s[18:19], s[0:1]
	s_cbranch_execz .LBB313_446
; %bb.443:                              ;   in Loop: Header=BB313_328 Depth=1
	v_bfe_u32 v0, v17, 16, 7
	v_cmp_ne_u32_e64 s[0:1], s29, v0
	v_mov_b32_e32 v20, 0x7f800001
	s_and_saveexec_b64 s[20:21], s[0:1]
	s_cbranch_execz .LBB313_445
; %bb.444:                              ;   in Loop: Header=BB313_328 Depth=1
	v_and_b32_e32 v22, 7, v9
	v_lshrrev_b32_e32 v23, 3, v0
	v_cmp_gt_u32_e64 s[0:1], 8, v0
	v_ffbh_u32_e32 v0, v22
	v_min_u32_e32 v0, 32, v0
	v_subrev_u32_e32 v19, 28, v0
	v_lshlrev_b64 v[19:20], v19, v[9:10]
	v_sub_u32_e32 v0, 29, v0
	v_and_b32_e32 v19, 7, v19
	v_cndmask_b32_e64 v0, v23, v0, s[0:1]
	v_cndmask_b32_e64 v19, v22, v19, s[0:1]
	v_lshlrev_b32_e32 v9, 24, v9
	v_bfrev_b32_e32 v20, 60
	v_lshlrev_b32_e32 v19, 20, v19
	v_and_b32_e32 v9, 0x80000000, v9
	v_lshl_add_u32 v0, v0, 23, v20
	v_or3_b32 v20, v9, v0, v19
.LBB313_445:                            ;   in Loop: Header=BB313_328 Depth=1
	s_or_b64 exec, exec, s[20:21]
.LBB313_446:                            ;   in Loop: Header=BB313_328 Depth=1
	s_or_b64 exec, exec, s[18:19]
.LBB313_447:                            ;   in Loop: Header=BB313_328 Depth=1
	s_or_b64 exec, exec, s[16:17]
	v_cmp_lt_u32_e64 s[0:1], s5, v17
	s_and_saveexec_b64 s[16:17], s[0:1]
	s_cbranch_execz .LBB313_453
; %bb.448:                              ;   in Loop: Header=BB313_328 Depth=1
	v_lshrrev_b32_e32 v9, 24, v17
	v_cmp_ne_u32_e64 s[0:1], s28, v9
	v_bfrev_b32_e32 v21, 1
	s_and_saveexec_b64 s[18:19], s[0:1]
	s_cbranch_execz .LBB313_452
; %bb.449:                              ;   in Loop: Header=BB313_328 Depth=1
	v_bfe_u32 v0, v17, 24, 7
	v_cmp_ne_u32_e64 s[0:1], s29, v0
	v_mov_b32_e32 v21, 0x7f800001
	s_and_saveexec_b64 s[20:21], s[0:1]
	s_cbranch_execz .LBB313_451
; %bb.450:                              ;   in Loop: Header=BB313_328 Depth=1
	v_and_b32_e32 v19, 7, v9
	v_lshrrev_b32_e32 v23, 3, v0
	v_cmp_gt_u32_e64 s[0:1], 8, v0
	v_ffbh_u32_e32 v0, v19
	v_min_u32_e32 v0, 32, v0
	v_subrev_u32_e32 v21, 28, v0
	v_lshlrev_b64 v[21:22], v21, v[9:10]
	v_sub_u32_e32 v0, 29, v0
	v_and_b32_e32 v21, 7, v21
	v_cndmask_b32_e64 v0, v23, v0, s[0:1]
	v_cndmask_b32_e64 v19, v19, v21, s[0:1]
	v_lshlrev_b32_e32 v9, 24, v9
	v_bfrev_b32_e32 v21, 60
	v_lshlrev_b32_e32 v19, 20, v19
	v_and_b32_e32 v9, 0x80000000, v9
	v_lshl_add_u32 v0, v0, 23, v21
	v_or3_b32 v21, v9, v0, v19
.LBB313_451:                            ;   in Loop: Header=BB313_328 Depth=1
	s_or_b64 exec, exec, s[20:21]
.LBB313_452:                            ;   in Loop: Header=BB313_328 Depth=1
	s_or_b64 exec, exec, s[18:19]
.LBB313_453:                            ;   in Loop: Header=BB313_328 Depth=1
	s_or_b64 exec, exec, s[16:17]
	v_mov_b32_e32 v9, v18
	v_cmp_ne_u16_sdwa s[0:1], v18, v10 src0_sel:BYTE_0 src1_sel:DWORD
	v_mov_b32_e32 v0, 0
	v_mov_b32_e32 v22, 0
	s_and_saveexec_b64 s[16:17], s[0:1]
	s_cbranch_execz .LBB313_459
; %bb.454:                              ;   in Loop: Header=BB313_328 Depth=1
	v_cmp_ne_u16_sdwa s[0:1], v18, s28 src0_sel:BYTE_0 src1_sel:DWORD
	v_bfrev_b32_e32 v22, 1
	s_and_saveexec_b64 s[18:19], s[0:1]
	s_cbranch_execz .LBB313_458
; %bb.455:                              ;   in Loop: Header=BB313_328 Depth=1
	v_and_b32_e32 v19, 0x7f, v18
	v_cmp_ne_u32_e64 s[0:1], s29, v19
	v_mov_b32_e32 v22, 0x7f800001
	s_and_saveexec_b64 s[20:21], s[0:1]
	s_cbranch_execz .LBB313_457
; %bb.456:                              ;   in Loop: Header=BB313_328 Depth=1
	v_and_b32_e32 v22, 7, v18
	v_lshrrev_b32_e32 v23, 3, v19
	v_cmp_gt_u32_e64 s[0:1], 8, v19
	v_ffbh_u32_e32 v19, v22
	v_min_u32_e32 v19, 32, v19
	v_subrev_u32_e32 v22, 28, v19
	v_sub_u32_e32 v19, 29, v19
	v_cndmask_b32_e64 v22, 0, v22, s[0:1]
	v_cndmask_b32_e64 v19, v23, v19, s[0:1]
	v_lshlrev_b64 v[22:23], v22, v[9:10]
	v_lshlrev_b32_e32 v23, 24, v9
	v_lshlrev_b32_e32 v22, 20, v22
	v_bfrev_b32_e32 v24, 60
	v_and_b32_e32 v22, 0x700000, v22
	v_and_b32_e32 v23, 0x80000000, v23
	v_lshl_add_u32 v19, v19, 23, v24
	v_or3_b32 v22, v23, v19, v22
.LBB313_457:                            ;   in Loop: Header=BB313_328 Depth=1
	s_or_b64 exec, exec, s[20:21]
.LBB313_458:                            ;   in Loop: Header=BB313_328 Depth=1
	s_or_b64 exec, exec, s[18:19]
.LBB313_459:                            ;   in Loop: Header=BB313_328 Depth=1
	s_or_b64 exec, exec, s[16:17]
	v_lshrrev_b16_e32 v19, 8, v9
	v_cmp_ne_u16_e64 s[0:1], 0, v19
	s_and_saveexec_b64 s[16:17], s[0:1]
	s_cbranch_execz .LBB313_465
; %bb.460:                              ;   in Loop: Header=BB313_328 Depth=1
	v_cmp_ne_u16_e64 s[0:1], s28, v19
	v_bfrev_b32_e32 v0, 1
	s_and_saveexec_b64 s[18:19], s[0:1]
	s_cbranch_execz .LBB313_464
; %bb.461:                              ;   in Loop: Header=BB313_328 Depth=1
	v_and_b32_e32 v23, 0x7f, v19
	v_cmp_ne_u32_e64 s[0:1], s29, v23
	v_mov_b32_e32 v0, 0x7f800001
	s_and_saveexec_b64 s[20:21], s[0:1]
	s_cbranch_execz .LBB313_463
; %bb.462:                              ;   in Loop: Header=BB313_328 Depth=1
	v_and_b32_e32 v0, 7, v19
	v_lshrrev_b32_e32 v25, 3, v23
	v_cmp_gt_u32_e64 s[0:1], 8, v23
	v_ffbh_u32_e32 v23, v0
	v_min_u32_e32 v26, 32, v23
	v_subrev_u32_e32 v23, 28, v26
	v_lshlrev_b64 v[23:24], v23, v[19:20]
	v_sub_u32_e32 v19, 29, v26
	v_and_b32_e32 v23, 7, v23
	v_cndmask_b32_e64 v19, v25, v19, s[0:1]
	v_cndmask_b32_e64 v0, v0, v23, s[0:1]
	v_lshlrev_b32_e32 v9, 16, v9
	v_bfrev_b32_e32 v23, 60
	v_lshlrev_b32_e32 v0, 20, v0
	v_and_b32_e32 v9, 0x80000000, v9
	v_lshl_add_u32 v19, v19, 23, v23
	v_or3_b32 v0, v9, v19, v0
.LBB313_463:                            ;   in Loop: Header=BB313_328 Depth=1
	s_or_b64 exec, exec, s[20:21]
.LBB313_464:                            ;   in Loop: Header=BB313_328 Depth=1
	s_or_b64 exec, exec, s[18:19]
.LBB313_465:                            ;   in Loop: Header=BB313_328 Depth=1
	s_or_b64 exec, exec, s[16:17]
	v_lshrrev_b32_e32 v9, 16, v18
	v_cmp_ne_u16_sdwa s[0:1], v9, v10 src0_sel:BYTE_0 src1_sel:DWORD
	v_mov_b32_e32 v19, 0
	v_mov_b32_e32 v23, 0
	s_and_saveexec_b64 s[16:17], s[0:1]
	s_cbranch_execz .LBB313_471
; %bb.466:                              ;   in Loop: Header=BB313_328 Depth=1
	v_cmp_ne_u16_sdwa s[0:1], v9, s28 src0_sel:BYTE_0 src1_sel:DWORD
	v_bfrev_b32_e32 v23, 1
	s_and_saveexec_b64 s[18:19], s[0:1]
	s_cbranch_execz .LBB313_470
; %bb.467:                              ;   in Loop: Header=BB313_328 Depth=1
	v_bfe_u32 v24, v18, 16, 7
	v_cmp_ne_u32_e64 s[0:1], s29, v24
	v_mov_b32_e32 v23, 0x7f800001
	s_and_saveexec_b64 s[20:21], s[0:1]
	s_cbranch_execz .LBB313_469
; %bb.468:                              ;   in Loop: Header=BB313_328 Depth=1
	v_and_b32_e32 v25, 7, v9
	v_ffbh_u32_e32 v23, v25
	v_min_u32_e32 v27, 32, v23
	v_subrev_u32_e32 v23, 28, v27
	v_lshrrev_b32_e32 v26, 3, v24
	v_cmp_gt_u32_e64 s[0:1], 8, v24
	v_lshlrev_b64 v[23:24], v23, v[9:10]
	v_sub_u32_e32 v24, 29, v27
	v_and_b32_e32 v23, 7, v23
	v_cndmask_b32_e64 v24, v26, v24, s[0:1]
	v_cndmask_b32_e64 v23, v25, v23, s[0:1]
	v_lshlrev_b32_e32 v9, 24, v9
	v_bfrev_b32_e32 v25, 60
	v_lshlrev_b32_e32 v23, 20, v23
	v_and_b32_e32 v9, 0x80000000, v9
	v_lshl_add_u32 v24, v24, 23, v25
	v_or3_b32 v23, v9, v24, v23
.LBB313_469:                            ;   in Loop: Header=BB313_328 Depth=1
	s_or_b64 exec, exec, s[20:21]
.LBB313_470:                            ;   in Loop: Header=BB313_328 Depth=1
	s_or_b64 exec, exec, s[18:19]
.LBB313_471:                            ;   in Loop: Header=BB313_328 Depth=1
	s_or_b64 exec, exec, s[16:17]
	v_cmp_lt_u64_e64 s[0:1], s[4:5], v[17:18]
	s_and_saveexec_b64 s[16:17], s[0:1]
	s_cbranch_execz .LBB313_477
; %bb.472:                              ;   in Loop: Header=BB313_328 Depth=1
	v_lshrrev_b32_e32 v9, 24, v18
	v_cmp_ne_u32_e64 s[0:1], s28, v9
	v_bfrev_b32_e32 v19, 1
	s_and_saveexec_b64 s[18:19], s[0:1]
	s_cbranch_execz .LBB313_476
; %bb.473:                              ;   in Loop: Header=BB313_328 Depth=1
	v_bfe_u32 v17, v18, 24, 7
	v_cmp_ne_u32_e64 s[0:1], s29, v17
	v_mov_b32_e32 v19, 0x7f800001
	s_and_saveexec_b64 s[20:21], s[0:1]
	s_cbranch_execz .LBB313_475
; %bb.474:                              ;   in Loop: Header=BB313_328 Depth=1
	v_and_b32_e32 v19, 7, v9
	v_lshrrev_b32_e32 v24, 3, v17
	v_cmp_gt_u32_e64 s[0:1], 8, v17
	v_ffbh_u32_e32 v17, v19
	v_min_u32_e32 v25, 32, v17
	v_subrev_u32_e32 v17, 28, v25
	v_lshlrev_b64 v[17:18], v17, v[9:10]
	v_sub_u32_e32 v18, 29, v25
	v_and_b32_e32 v17, 7, v17
	v_cndmask_b32_e64 v18, v24, v18, s[0:1]
	v_cndmask_b32_e64 v17, v19, v17, s[0:1]
	v_lshlrev_b32_e32 v9, 24, v9
	v_bfrev_b32_e32 v19, 60
	v_lshlrev_b32_e32 v17, 20, v17
	v_and_b32_e32 v9, 0x80000000, v9
	v_lshl_add_u32 v18, v18, 23, v19
	v_or3_b32 v19, v9, v18, v17
.LBB313_475:                            ;   in Loop: Header=BB313_328 Depth=1
	s_or_b64 exec, exec, s[20:21]
.LBB313_476:                            ;   in Loop: Header=BB313_328 Depth=1
	s_or_b64 exec, exec, s[18:19]
.LBB313_477:                            ;   in Loop: Header=BB313_328 Depth=1
	s_or_b64 exec, exec, s[16:17]
	v_mul_f32_e32 v0, s31, v0
	v_bfe_u32 v9, v0, 16, 1
	v_add3_u32 v9, v9, v0, s30
	v_or_b32_e32 v17, 0x400000, v0
	v_cmp_u_f32_e64 s[0:1], v0, v0
	v_cndmask_b32_e64 v0, v9, v17, s[0:1]
	v_mul_f32_e32 v9, s31, v22
	v_bfe_u32 v17, v9, 16, 1
	v_add3_u32 v17, v17, v9, s30
	v_or_b32_e32 v18, 0x400000, v9
	v_cmp_u_f32_e64 s[0:1], v9, v9
	v_cndmask_b32_e64 v9, v17, v18, s[0:1]
	v_lshrrev_b32_e32 v60, 16, v9
	v_mul_f32_e32 v9, s31, v21
	v_bfe_u32 v17, v9, 16, 1
	v_add3_u32 v17, v17, v9, s30
	v_or_b32_e32 v18, 0x400000, v9
	v_cmp_u_f32_e64 s[0:1], v9, v9
	v_cndmask_b32_e64 v9, v17, v18, s[0:1]
	v_lshrrev_b32_e32 v62, 16, v9
	;; [unrolled: 7-line block ×7, first 2 shown]
	v_lshrrev_b32_e32 v23, 16, v9
	buffer_store_dword v0, off, s[60:63], 0 offset:132 ; 4-byte Folded Spill
	s_and_saveexec_b64 s[16:17], vcc
	s_cbranch_execz .LBB313_479
; %bb.478:                              ;   in Loop: Header=BB313_328 Depth=1
	buffer_load_dword v0, off, s[60:63], 0 offset:132 ; 4-byte Folded Reload
	v_cmp_gt_i32_e64 s[0:1], s33, v44
	v_cndmask_b32_e64 v21, 0, v21, s[0:1]
	v_cmp_gt_i32_e64 s[0:1], s33, v51
	v_cndmask_b32_e64 v20, 0, v20, s[0:1]
	;; [unrolled: 2-line block ×5, first 2 shown]
	v_cmp_gt_i32_e64 s[0:1], s33, v47
	s_waitcnt vmcnt(0)
	v_cndmask_b32_e64 v0, 0, v0, s[0:1]
	v_cmp_gt_i32_e64 s[0:1], s33, v46
	v_cndmask_b32_e64 v61, 0, v61, s[0:1]
	v_cmp_gt_i32_e64 s[0:1], s33, v45
	v_cndmask_b32_e64 v23, 0, v23, s[0:1]
	buffer_store_dword v0, off, s[60:63], 0 offset:132 ; 4-byte Folded Spill
.LBB313_479:                            ;   in Loop: Header=BB313_328 Depth=1
	s_or_b64 exec, exec, s[16:17]
	global_load_dwordx2 v[17:18], v[15:16], off offset:1536
	v_mov_b32_e32 v24, 0
	v_mov_b32_e32 v11, 0
	s_waitcnt vmcnt(0)
	v_cmp_ne_u16_sdwa s[0:1], v17, v10 src0_sel:BYTE_0 src1_sel:DWORD
	s_and_saveexec_b64 s[16:17], s[0:1]
	s_cbranch_execz .LBB313_485
; %bb.480:                              ;   in Loop: Header=BB313_328 Depth=1
	v_cmp_ne_u16_sdwa s[0:1], v17, s28 src0_sel:BYTE_0 src1_sel:DWORD
	v_bfrev_b32_e32 v11, 1
	s_and_saveexec_b64 s[18:19], s[0:1]
	s_cbranch_execz .LBB313_484
; %bb.481:                              ;   in Loop: Header=BB313_328 Depth=1
	v_and_b32_e32 v9, 0x7f, v17
	v_cmp_ne_u32_e64 s[0:1], s29, v9
	v_mov_b32_e32 v11, 0x7f800001
	s_and_saveexec_b64 s[20:21], s[0:1]
	s_cbranch_execz .LBB313_483
; %bb.482:                              ;   in Loop: Header=BB313_328 Depth=1
	v_and_b32_e32 v11, 7, v17
	v_lshrrev_b32_e32 v12, 3, v9
	v_cmp_gt_u32_e64 s[0:1], 8, v9
	v_ffbh_u32_e32 v9, v11
	v_min_u32_e32 v9, 32, v9
	v_subrev_u32_e32 v11, 28, v9
	v_sub_u32_e32 v9, 29, v9
	v_cndmask_b32_e64 v11, 0, v11, s[0:1]
	v_cndmask_b32_e64 v9, v12, v9, s[0:1]
	v_lshlrev_b64 v[11:12], v11, v[17:18]
	v_lshlrev_b32_e32 v12, 24, v17
	v_lshlrev_b32_e32 v11, 20, v11
	v_bfrev_b32_e32 v0, 60
	v_and_b32_e32 v11, 0x700000, v11
	v_and_b32_e32 v12, 0x80000000, v12
	v_lshl_add_u32 v9, v9, 23, v0
	v_or3_b32 v11, v12, v9, v11
.LBB313_483:                            ;   in Loop: Header=BB313_328 Depth=1
	s_or_b64 exec, exec, s[20:21]
.LBB313_484:                            ;   in Loop: Header=BB313_328 Depth=1
	s_or_b64 exec, exec, s[18:19]
.LBB313_485:                            ;   in Loop: Header=BB313_328 Depth=1
	s_or_b64 exec, exec, s[16:17]
	v_lshrrev_b16_e32 v9, 8, v17
	v_cmp_ne_u16_e64 s[0:1], 0, v9
	s_and_saveexec_b64 s[16:17], s[0:1]
	s_cbranch_execz .LBB313_491
; %bb.486:                              ;   in Loop: Header=BB313_328 Depth=1
	v_cmp_ne_u16_e64 s[0:1], s28, v9
	v_bfrev_b32_e32 v24, 1
	s_and_saveexec_b64 s[18:19], s[0:1]
	s_cbranch_execz .LBB313_490
; %bb.487:                              ;   in Loop: Header=BB313_328 Depth=1
	v_and_b32_e32 v12, 0x7f, v9
	v_cmp_ne_u32_e64 s[0:1], s29, v12
	v_mov_b32_e32 v24, 0x7f800001
	s_and_saveexec_b64 s[20:21], s[0:1]
	s_cbranch_execz .LBB313_489
; %bb.488:                              ;   in Loop: Header=BB313_328 Depth=1
	v_and_b32_e32 v19, 7, v9
	v_lshrrev_b32_e32 v22, 3, v12
	v_cmp_gt_u32_e64 s[0:1], 8, v12
	v_ffbh_u32_e32 v12, v19
	v_min_u32_e32 v12, 32, v12
	v_subrev_u32_e32 v24, 28, v12
	v_lshlrev_b64 v[24:25], v24, v[9:10]
	v_sub_u32_e32 v9, 29, v12
	v_and_b32_e32 v12, 7, v24
	v_cndmask_b32_e64 v9, v22, v9, s[0:1]
	v_cndmask_b32_e64 v12, v19, v12, s[0:1]
	v_lshlrev_b32_e32 v19, 16, v17
	v_bfrev_b32_e32 v0, 60
	v_lshlrev_b32_e32 v12, 20, v12
	v_and_b32_e32 v19, 0x80000000, v19
	v_lshl_add_u32 v9, v9, 23, v0
	v_or3_b32 v24, v19, v9, v12
.LBB313_489:                            ;   in Loop: Header=BB313_328 Depth=1
	s_or_b64 exec, exec, s[20:21]
.LBB313_490:                            ;   in Loop: Header=BB313_328 Depth=1
	s_or_b64 exec, exec, s[18:19]
.LBB313_491:                            ;   in Loop: Header=BB313_328 Depth=1
	s_or_b64 exec, exec, s[16:17]
	v_lshrrev_b32_e32 v9, 16, v17
	v_cmp_ne_u16_sdwa s[0:1], v9, v10 src0_sel:BYTE_0 src1_sel:DWORD
	v_mov_b32_e32 v25, 0
	v_mov_b32_e32 v12, 0
	s_and_saveexec_b64 s[16:17], s[0:1]
	s_cbranch_execz .LBB313_497
; %bb.492:                              ;   in Loop: Header=BB313_328 Depth=1
	v_cmp_ne_u16_sdwa s[0:1], v9, s28 src0_sel:BYTE_0 src1_sel:DWORD
	v_bfrev_b32_e32 v12, 1
	s_and_saveexec_b64 s[18:19], s[0:1]
	s_cbranch_execz .LBB313_496
; %bb.493:                              ;   in Loop: Header=BB313_328 Depth=1
	v_bfe_u32 v19, v17, 16, 7
	v_cmp_ne_u32_e64 s[0:1], s29, v19
	v_mov_b32_e32 v12, 0x7f800001
	s_and_saveexec_b64 s[20:21], s[0:1]
	s_cbranch_execz .LBB313_495
; %bb.494:                              ;   in Loop: Header=BB313_328 Depth=1
	v_and_b32_e32 v12, 7, v9
	v_lshrrev_b32_e32 v22, 3, v19
	v_cmp_gt_u32_e64 s[0:1], 8, v19
	v_ffbh_u32_e32 v19, v12
	v_min_u32_e32 v19, 32, v19
	v_subrev_u32_e32 v26, 28, v19
	v_lshlrev_b64 v[26:27], v26, v[9:10]
	v_sub_u32_e32 v19, 29, v19
	v_and_b32_e32 v26, 7, v26
	v_cndmask_b32_e64 v19, v22, v19, s[0:1]
	v_cndmask_b32_e64 v12, v12, v26, s[0:1]
	v_lshlrev_b32_e32 v9, 24, v9
	v_bfrev_b32_e32 v0, 60
	v_lshlrev_b32_e32 v12, 20, v12
	v_and_b32_e32 v9, 0x80000000, v9
	v_lshl_add_u32 v19, v19, 23, v0
	v_or3_b32 v12, v9, v19, v12
.LBB313_495:                            ;   in Loop: Header=BB313_328 Depth=1
	s_or_b64 exec, exec, s[20:21]
.LBB313_496:                            ;   in Loop: Header=BB313_328 Depth=1
	s_or_b64 exec, exec, s[18:19]
.LBB313_497:                            ;   in Loop: Header=BB313_328 Depth=1
	s_or_b64 exec, exec, s[16:17]
	v_cmp_lt_u32_e64 s[0:1], s5, v17
	s_and_saveexec_b64 s[16:17], s[0:1]
	s_cbranch_execz .LBB313_503
; %bb.498:                              ;   in Loop: Header=BB313_328 Depth=1
	v_lshrrev_b32_e32 v9, 24, v17
	v_cmp_ne_u32_e64 s[0:1], s28, v9
	v_bfrev_b32_e32 v25, 1
	s_and_saveexec_b64 s[18:19], s[0:1]
	s_cbranch_execz .LBB313_502
; %bb.499:                              ;   in Loop: Header=BB313_328 Depth=1
	v_bfe_u32 v19, v17, 24, 7
	v_cmp_ne_u32_e64 s[0:1], s29, v19
	v_mov_b32_e32 v25, 0x7f800001
	s_and_saveexec_b64 s[20:21], s[0:1]
	s_cbranch_execz .LBB313_501
; %bb.500:                              ;   in Loop: Header=BB313_328 Depth=1
	v_and_b32_e32 v22, 7, v9
	v_lshrrev_b32_e32 v27, 3, v19
	v_cmp_gt_u32_e64 s[0:1], 8, v19
	v_ffbh_u32_e32 v19, v22
	v_min_u32_e32 v19, 32, v19
	v_subrev_u32_e32 v25, 28, v19
	v_lshlrev_b64 v[25:26], v25, v[9:10]
	v_sub_u32_e32 v19, 29, v19
	v_and_b32_e32 v25, 7, v25
	v_cndmask_b32_e64 v19, v27, v19, s[0:1]
	v_cndmask_b32_e64 v22, v22, v25, s[0:1]
	v_lshlrev_b32_e32 v9, 24, v9
	v_bfrev_b32_e32 v0, 60
	v_lshlrev_b32_e32 v22, 20, v22
	v_and_b32_e32 v9, 0x80000000, v9
	v_lshl_add_u32 v19, v19, 23, v0
	v_or3_b32 v25, v9, v19, v22
.LBB313_501:                            ;   in Loop: Header=BB313_328 Depth=1
	s_or_b64 exec, exec, s[20:21]
.LBB313_502:                            ;   in Loop: Header=BB313_328 Depth=1
	s_or_b64 exec, exec, s[18:19]
.LBB313_503:                            ;   in Loop: Header=BB313_328 Depth=1
	s_or_b64 exec, exec, s[16:17]
	v_mov_b32_e32 v9, v18
	v_cmp_ne_u16_sdwa s[0:1], v18, v10 src0_sel:BYTE_0 src1_sel:DWORD
	v_mov_b32_e32 v22, 0
	v_mov_b32_e32 v26, 0
	s_and_saveexec_b64 s[16:17], s[0:1]
	s_cbranch_execz .LBB313_509
; %bb.504:                              ;   in Loop: Header=BB313_328 Depth=1
	v_cmp_ne_u16_sdwa s[0:1], v18, s28 src0_sel:BYTE_0 src1_sel:DWORD
	v_bfrev_b32_e32 v26, 1
	s_and_saveexec_b64 s[18:19], s[0:1]
	s_cbranch_execz .LBB313_508
; %bb.505:                              ;   in Loop: Header=BB313_328 Depth=1
	v_and_b32_e32 v19, 0x7f, v18
	v_cmp_ne_u32_e64 s[0:1], s29, v19
	v_mov_b32_e32 v26, 0x7f800001
	s_and_saveexec_b64 s[20:21], s[0:1]
	s_cbranch_execz .LBB313_507
; %bb.506:                              ;   in Loop: Header=BB313_328 Depth=1
	v_and_b32_e32 v26, 7, v18
	v_lshrrev_b32_e32 v27, 3, v19
	v_cmp_gt_u32_e64 s[0:1], 8, v19
	v_ffbh_u32_e32 v19, v26
	v_min_u32_e32 v19, 32, v19
	v_subrev_u32_e32 v26, 28, v19
	v_sub_u32_e32 v19, 29, v19
	v_cndmask_b32_e64 v26, 0, v26, s[0:1]
	v_cndmask_b32_e64 v19, v27, v19, s[0:1]
	v_lshlrev_b64 v[26:27], v26, v[9:10]
	v_lshlrev_b32_e32 v27, 24, v9
	v_lshlrev_b32_e32 v26, 20, v26
	v_bfrev_b32_e32 v0, 60
	v_and_b32_e32 v26, 0x700000, v26
	v_and_b32_e32 v27, 0x80000000, v27
	v_lshl_add_u32 v19, v19, 23, v0
	v_or3_b32 v26, v27, v19, v26
.LBB313_507:                            ;   in Loop: Header=BB313_328 Depth=1
	s_or_b64 exec, exec, s[20:21]
.LBB313_508:                            ;   in Loop: Header=BB313_328 Depth=1
	s_or_b64 exec, exec, s[18:19]
.LBB313_509:                            ;   in Loop: Header=BB313_328 Depth=1
	s_or_b64 exec, exec, s[16:17]
	v_lshrrev_b16_e32 v19, 8, v9
	v_cmp_ne_u16_e64 s[0:1], 0, v19
	s_and_saveexec_b64 s[16:17], s[0:1]
	s_cbranch_execz .LBB313_515
; %bb.510:                              ;   in Loop: Header=BB313_328 Depth=1
	v_cmp_ne_u16_e64 s[0:1], s28, v19
	v_bfrev_b32_e32 v22, 1
	s_and_saveexec_b64 s[18:19], s[0:1]
	s_cbranch_execz .LBB313_514
; %bb.511:                              ;   in Loop: Header=BB313_328 Depth=1
	v_and_b32_e32 v27, 0x7f, v19
	v_cmp_ne_u32_e64 s[0:1], s29, v27
	v_mov_b32_e32 v22, 0x7f800001
	s_and_saveexec_b64 s[20:21], s[0:1]
	s_cbranch_execz .LBB313_513
; %bb.512:                              ;   in Loop: Header=BB313_328 Depth=1
	v_and_b32_e32 v22, 7, v19
	v_lshrrev_b32_e32 v29, 3, v27
	v_cmp_gt_u32_e64 s[0:1], 8, v27
	v_ffbh_u32_e32 v27, v22
	v_min_u32_e32 v30, 32, v27
	v_subrev_u32_e32 v27, 28, v30
	v_lshlrev_b64 v[27:28], v27, v[19:20]
	v_sub_u32_e32 v19, 29, v30
	v_and_b32_e32 v27, 7, v27
	v_cndmask_b32_e64 v19, v29, v19, s[0:1]
	v_cndmask_b32_e64 v22, v22, v27, s[0:1]
	v_lshlrev_b32_e32 v9, 16, v9
	v_bfrev_b32_e32 v0, 60
	v_lshlrev_b32_e32 v22, 20, v22
	v_and_b32_e32 v9, 0x80000000, v9
	v_lshl_add_u32 v19, v19, 23, v0
	v_or3_b32 v22, v9, v19, v22
.LBB313_513:                            ;   in Loop: Header=BB313_328 Depth=1
	s_or_b64 exec, exec, s[20:21]
.LBB313_514:                            ;   in Loop: Header=BB313_328 Depth=1
	s_or_b64 exec, exec, s[18:19]
.LBB313_515:                            ;   in Loop: Header=BB313_328 Depth=1
	s_or_b64 exec, exec, s[16:17]
	v_lshrrev_b32_e32 v9, 16, v18
	v_cmp_ne_u16_sdwa s[0:1], v9, v10 src0_sel:BYTE_0 src1_sel:DWORD
	v_mov_b32_e32 v19, 0
	v_mov_b32_e32 v27, 0
	s_and_saveexec_b64 s[16:17], s[0:1]
	s_cbranch_execz .LBB313_521
; %bb.516:                              ;   in Loop: Header=BB313_328 Depth=1
	v_cmp_ne_u16_sdwa s[0:1], v9, s28 src0_sel:BYTE_0 src1_sel:DWORD
	v_bfrev_b32_e32 v27, 1
	s_and_saveexec_b64 s[18:19], s[0:1]
	s_cbranch_execz .LBB313_520
; %bb.517:                              ;   in Loop: Header=BB313_328 Depth=1
	v_bfe_u32 v28, v18, 16, 7
	v_cmp_ne_u32_e64 s[0:1], s29, v28
	v_mov_b32_e32 v27, 0x7f800001
	s_and_saveexec_b64 s[20:21], s[0:1]
	s_cbranch_execz .LBB313_519
; %bb.518:                              ;   in Loop: Header=BB313_328 Depth=1
	v_and_b32_e32 v29, 7, v9
	v_ffbh_u32_e32 v27, v29
	v_min_u32_e32 v31, 32, v27
	v_subrev_u32_e32 v27, 28, v31
	v_lshrrev_b32_e32 v30, 3, v28
	v_cmp_gt_u32_e64 s[0:1], 8, v28
	v_lshlrev_b64 v[27:28], v27, v[9:10]
	v_sub_u32_e32 v28, 29, v31
	v_and_b32_e32 v27, 7, v27
	v_cndmask_b32_e64 v28, v30, v28, s[0:1]
	v_cndmask_b32_e64 v27, v29, v27, s[0:1]
	v_lshlrev_b32_e32 v9, 24, v9
	v_bfrev_b32_e32 v0, 60
	v_lshlrev_b32_e32 v27, 20, v27
	v_and_b32_e32 v9, 0x80000000, v9
	v_lshl_add_u32 v28, v28, 23, v0
	v_or3_b32 v27, v9, v28, v27
.LBB313_519:                            ;   in Loop: Header=BB313_328 Depth=1
	s_or_b64 exec, exec, s[20:21]
.LBB313_520:                            ;   in Loop: Header=BB313_328 Depth=1
	s_or_b64 exec, exec, s[18:19]
.LBB313_521:                            ;   in Loop: Header=BB313_328 Depth=1
	s_or_b64 exec, exec, s[16:17]
	v_cmp_lt_u64_e64 s[0:1], s[4:5], v[17:18]
	s_and_saveexec_b64 s[16:17], s[0:1]
	s_cbranch_execz .LBB313_527
; %bb.522:                              ;   in Loop: Header=BB313_328 Depth=1
	v_lshrrev_b32_e32 v9, 24, v18
	v_cmp_ne_u32_e64 s[0:1], s28, v9
	v_bfrev_b32_e32 v19, 1
	s_and_saveexec_b64 s[18:19], s[0:1]
	s_cbranch_execz .LBB313_526
; %bb.523:                              ;   in Loop: Header=BB313_328 Depth=1
	v_bfe_u32 v17, v18, 24, 7
	v_cmp_ne_u32_e64 s[0:1], s29, v17
	v_mov_b32_e32 v19, 0x7f800001
	s_and_saveexec_b64 s[20:21], s[0:1]
	s_cbranch_execz .LBB313_525
; %bb.524:                              ;   in Loop: Header=BB313_328 Depth=1
	v_and_b32_e32 v19, 7, v9
	v_lshrrev_b32_e32 v28, 3, v17
	v_cmp_gt_u32_e64 s[0:1], 8, v17
	v_ffbh_u32_e32 v17, v19
	v_min_u32_e32 v29, 32, v17
	v_subrev_u32_e32 v17, 28, v29
	v_lshlrev_b64 v[17:18], v17, v[9:10]
	v_sub_u32_e32 v18, 29, v29
	v_and_b32_e32 v17, 7, v17
	v_cndmask_b32_e64 v18, v28, v18, s[0:1]
	v_cndmask_b32_e64 v17, v19, v17, s[0:1]
	v_lshlrev_b32_e32 v9, 24, v9
	v_bfrev_b32_e32 v0, 60
	v_lshlrev_b32_e32 v17, 20, v17
	v_and_b32_e32 v9, 0x80000000, v9
	v_lshl_add_u32 v18, v18, 23, v0
	v_or3_b32 v19, v9, v18, v17
.LBB313_525:                            ;   in Loop: Header=BB313_328 Depth=1
	s_or_b64 exec, exec, s[20:21]
.LBB313_526:                            ;   in Loop: Header=BB313_328 Depth=1
	s_or_b64 exec, exec, s[18:19]
.LBB313_527:                            ;   in Loop: Header=BB313_328 Depth=1
	s_or_b64 exec, exec, s[16:17]
	v_mul_f32_e32 v9, s31, v22
	v_bfe_u32 v17, v9, 16, 1
	v_add3_u32 v17, v17, v9, s30
	v_or_b32_e32 v18, 0x400000, v9
	v_cmp_u_f32_e64 s[0:1], v9, v9
	v_cndmask_b32_e64 v9, v17, v18, s[0:1]
	v_lshrrev_b32_e32 v22, 16, v9
	v_mul_f32_e32 v9, s31, v26
	v_bfe_u32 v17, v9, 16, 1
	v_add3_u32 v17, v17, v9, s30
	v_or_b32_e32 v18, 0x400000, v9
	v_cmp_u_f32_e64 s[0:1], v9, v9
	v_cndmask_b32_e64 v9, v17, v18, s[0:1]
	v_lshrrev_b32_e32 v30, 16, v9
	v_mul_f32_e32 v9, s31, v25
	v_bfe_u32 v17, v9, 16, 1
	v_add3_u32 v17, v17, v9, s30
	v_or_b32_e32 v18, 0x400000, v9
	v_cmp_u_f32_e64 s[0:1], v9, v9
	v_cndmask_b32_e64 v9, v17, v18, s[0:1]
	v_lshrrev_b32_e32 v31, 16, v9
	v_mul_f32_e32 v9, s31, v12
	v_bfe_u32 v12, v9, 16, 1
	v_add3_u32 v12, v12, v9, s30
	v_or_b32_e32 v17, 0x400000, v9
	v_cmp_u_f32_e64 s[0:1], v9, v9
	v_cndmask_b32_e64 v9, v12, v17, s[0:1]
	v_lshrrev_b32_e32 v12, 16, v9
	v_mul_f32_e32 v9, s31, v24
	v_bfe_u32 v17, v9, 16, 1
	v_add3_u32 v17, v17, v9, s30
	v_or_b32_e32 v18, 0x400000, v9
	v_cmp_u_f32_e64 s[0:1], v9, v9
	v_cndmask_b32_e64 v9, v17, v18, s[0:1]
	v_lshrrev_b32_e32 v26, 16, v9
	v_mul_f32_e32 v9, s31, v11
	v_bfe_u32 v11, v9, 16, 1
	v_add3_u32 v11, v11, v9, s30
	v_or_b32_e32 v17, 0x400000, v9
	v_cmp_u_f32_e64 s[0:1], v9, v9
	v_cndmask_b32_e64 v9, v11, v17, s[0:1]
	v_lshrrev_b32_e32 v25, 16, v9
	v_mul_f32_e32 v9, s31, v27
	v_bfe_u32 v11, v9, 16, 1
	v_add3_u32 v11, v11, v9, s30
	v_or_b32_e32 v17, 0x400000, v9
	v_cmp_u_f32_e64 s[0:1], v9, v9
	v_cndmask_b32_e64 v9, v11, v17, s[0:1]
	v_lshrrev_b32_e32 v11, 16, v9
	v_mul_f32_e32 v9, s31, v19
	v_bfe_u32 v17, v9, 16, 1
	v_add3_u32 v17, v17, v9, s30
	v_or_b32_e32 v18, 0x400000, v9
	v_cmp_u_f32_e64 s[0:1], v9, v9
	v_cndmask_b32_e64 v9, v17, v18, s[0:1]
	v_lshrrev_b32_e32 v24, 16, v9
	s_and_saveexec_b64 s[16:17], vcc
	s_cbranch_execz .LBB313_529
; %bb.528:                              ;   in Loop: Header=BB313_328 Depth=1
	v_cmp_gt_i32_e64 s[0:1], s33, v44
	v_cndmask_b32_e64 v25, 0, v25, s[0:1]
	v_cmp_gt_i32_e64 s[0:1], s33, v51
	v_cndmask_b32_e64 v26, 0, v26, s[0:1]
	;; [unrolled: 2-line block ×8, first 2 shown]
.LBB313_529:                            ;   in Loop: Header=BB313_328 Depth=1
	s_or_b64 exec, exec, s[16:17]
	global_load_dwordx2 v[17:18], v[15:16], off offset:2048
	v_mov_b32_e32 v29, 0
	v_mov_b32_e32 v27, 0
	s_waitcnt vmcnt(0)
	v_cmp_ne_u16_sdwa s[0:1], v17, v10 src0_sel:BYTE_0 src1_sel:DWORD
	s_and_saveexec_b64 s[16:17], s[0:1]
	s_cbranch_execz .LBB313_535
; %bb.530:                              ;   in Loop: Header=BB313_328 Depth=1
	v_cmp_ne_u16_sdwa s[0:1], v17, s28 src0_sel:BYTE_0 src1_sel:DWORD
	v_bfrev_b32_e32 v27, 1
	s_and_saveexec_b64 s[18:19], s[0:1]
	s_cbranch_execz .LBB313_534
; %bb.531:                              ;   in Loop: Header=BB313_328 Depth=1
	v_and_b32_e32 v9, 0x7f, v17
	v_cmp_ne_u32_e64 s[0:1], s29, v9
	v_mov_b32_e32 v27, 0x7f800001
	s_and_saveexec_b64 s[20:21], s[0:1]
	s_cbranch_execz .LBB313_533
; %bb.532:                              ;   in Loop: Header=BB313_328 Depth=1
	v_and_b32_e32 v19, 7, v17
	v_lshrrev_b32_e32 v27, 3, v9
	v_cmp_gt_u32_e64 s[0:1], 8, v9
	v_ffbh_u32_e32 v9, v19
	v_min_u32_e32 v9, 32, v9
	v_subrev_u32_e32 v19, 28, v9
	v_sub_u32_e32 v9, 29, v9
	v_cndmask_b32_e64 v19, 0, v19, s[0:1]
	v_cndmask_b32_e64 v9, v27, v9, s[0:1]
	v_lshlrev_b64 v[27:28], v19, v[17:18]
	v_bfrev_b32_e32 v0, 60
	v_lshlrev_b32_e32 v19, 20, v27
	v_lshlrev_b32_e32 v27, 24, v17
	v_and_b32_e32 v19, 0x700000, v19
	v_and_b32_e32 v27, 0x80000000, v27
	v_lshl_add_u32 v9, v9, 23, v0
	v_or3_b32 v27, v27, v9, v19
.LBB313_533:                            ;   in Loop: Header=BB313_328 Depth=1
	s_or_b64 exec, exec, s[20:21]
.LBB313_534:                            ;   in Loop: Header=BB313_328 Depth=1
	s_or_b64 exec, exec, s[18:19]
.LBB313_535:                            ;   in Loop: Header=BB313_328 Depth=1
	s_or_b64 exec, exec, s[16:17]
	v_lshrrev_b16_e32 v9, 8, v17
	v_cmp_ne_u16_e64 s[0:1], 0, v9
	s_and_saveexec_b64 s[16:17], s[0:1]
	s_cbranch_execz .LBB313_541
; %bb.536:                              ;   in Loop: Header=BB313_328 Depth=1
	v_cmp_ne_u16_e64 s[0:1], s28, v9
	v_bfrev_b32_e32 v29, 1
	s_and_saveexec_b64 s[18:19], s[0:1]
	s_cbranch_execz .LBB313_540
; %bb.537:                              ;   in Loop: Header=BB313_328 Depth=1
	v_and_b32_e32 v19, 0x7f, v9
	v_cmp_ne_u32_e64 s[0:1], s29, v19
	v_mov_b32_e32 v29, 0x7f800001
	s_and_saveexec_b64 s[20:21], s[0:1]
	s_cbranch_execz .LBB313_539
; %bb.538:                              ;   in Loop: Header=BB313_328 Depth=1
	v_and_b32_e32 v33, 7, v9
	v_lshrrev_b32_e32 v34, 3, v19
	v_cmp_gt_u32_e64 s[0:1], 8, v19
	v_ffbh_u32_e32 v19, v33
	v_min_u32_e32 v19, 32, v19
	v_subrev_u32_e32 v28, 28, v19
	v_lshlrev_b64 v[28:29], v28, v[9:10]
	v_sub_u32_e32 v9, 29, v19
	v_and_b32_e32 v19, 7, v28
	v_cndmask_b32_e64 v9, v34, v9, s[0:1]
	v_cndmask_b32_e64 v19, v33, v19, s[0:1]
	v_lshlrev_b32_e32 v28, 16, v17
	v_bfrev_b32_e32 v0, 60
	v_lshlrev_b32_e32 v19, 20, v19
	v_and_b32_e32 v28, 0x80000000, v28
	v_lshl_add_u32 v9, v9, 23, v0
	v_or3_b32 v29, v28, v9, v19
.LBB313_539:                            ;   in Loop: Header=BB313_328 Depth=1
	s_or_b64 exec, exec, s[20:21]
.LBB313_540:                            ;   in Loop: Header=BB313_328 Depth=1
	s_or_b64 exec, exec, s[18:19]
.LBB313_541:                            ;   in Loop: Header=BB313_328 Depth=1
	s_or_b64 exec, exec, s[16:17]
	v_lshrrev_b32_e32 v9, 16, v17
	v_cmp_ne_u16_sdwa s[0:1], v9, v10 src0_sel:BYTE_0 src1_sel:DWORD
	v_mov_b32_e32 v35, 0
	v_mov_b32_e32 v28, 0
	s_and_saveexec_b64 s[16:17], s[0:1]
	s_cbranch_execz .LBB313_547
; %bb.542:                              ;   in Loop: Header=BB313_328 Depth=1
	v_cmp_ne_u16_sdwa s[0:1], v9, s28 src0_sel:BYTE_0 src1_sel:DWORD
	v_bfrev_b32_e32 v28, 1
	s_and_saveexec_b64 s[18:19], s[0:1]
	s_cbranch_execz .LBB313_546
; %bb.543:                              ;   in Loop: Header=BB313_328 Depth=1
	v_bfe_u32 v19, v17, 16, 7
	v_cmp_ne_u32_e64 s[0:1], s29, v19
	v_mov_b32_e32 v28, 0x7f800001
	s_and_saveexec_b64 s[20:21], s[0:1]
	s_cbranch_execz .LBB313_545
; %bb.544:                              ;   in Loop: Header=BB313_328 Depth=1
	v_and_b32_e32 v28, 7, v9
	v_lshrrev_b32_e32 v36, 3, v19
	v_cmp_gt_u32_e64 s[0:1], 8, v19
	v_ffbh_u32_e32 v19, v28
	v_min_u32_e32 v19, 32, v19
	v_subrev_u32_e32 v33, 28, v19
	v_lshlrev_b64 v[33:34], v33, v[9:10]
	v_sub_u32_e32 v19, 29, v19
	v_and_b32_e32 v33, 7, v33
	v_cndmask_b32_e64 v19, v36, v19, s[0:1]
	v_cndmask_b32_e64 v28, v28, v33, s[0:1]
	v_lshlrev_b32_e32 v9, 24, v9
	v_bfrev_b32_e32 v0, 60
	v_lshlrev_b32_e32 v28, 20, v28
	v_and_b32_e32 v9, 0x80000000, v9
	v_lshl_add_u32 v19, v19, 23, v0
	v_or3_b32 v28, v9, v19, v28
.LBB313_545:                            ;   in Loop: Header=BB313_328 Depth=1
	s_or_b64 exec, exec, s[20:21]
.LBB313_546:                            ;   in Loop: Header=BB313_328 Depth=1
	s_or_b64 exec, exec, s[18:19]
.LBB313_547:                            ;   in Loop: Header=BB313_328 Depth=1
	s_or_b64 exec, exec, s[16:17]
	v_cmp_lt_u32_e64 s[0:1], s5, v17
	s_and_saveexec_b64 s[16:17], s[0:1]
	s_cbranch_execz .LBB313_553
; %bb.548:                              ;   in Loop: Header=BB313_328 Depth=1
	v_lshrrev_b32_e32 v9, 24, v17
	v_cmp_ne_u32_e64 s[0:1], s28, v9
	v_bfrev_b32_e32 v35, 1
	s_and_saveexec_b64 s[18:19], s[0:1]
	s_cbranch_execz .LBB313_552
; %bb.549:                              ;   in Loop: Header=BB313_328 Depth=1
	v_bfe_u32 v19, v17, 24, 7
	v_cmp_ne_u32_e64 s[0:1], s29, v19
	v_mov_b32_e32 v35, 0x7f800001
	s_and_saveexec_b64 s[20:21], s[0:1]
	s_cbranch_execz .LBB313_551
; %bb.550:                              ;   in Loop: Header=BB313_328 Depth=1
	v_and_b32_e32 v35, 7, v9
	v_lshrrev_b32_e32 v36, 3, v19
	v_cmp_gt_u32_e64 s[0:1], 8, v19
	v_ffbh_u32_e32 v19, v35
	v_min_u32_e32 v19, 32, v19
	v_subrev_u32_e32 v33, 28, v19
	v_lshlrev_b64 v[33:34], v33, v[9:10]
	v_sub_u32_e32 v19, 29, v19
	v_and_b32_e32 v33, 7, v33
	v_cndmask_b32_e64 v19, v36, v19, s[0:1]
	v_cndmask_b32_e64 v33, v35, v33, s[0:1]
	v_lshlrev_b32_e32 v9, 24, v9
	v_bfrev_b32_e32 v0, 60
	v_lshlrev_b32_e32 v33, 20, v33
	v_and_b32_e32 v9, 0x80000000, v9
	v_lshl_add_u32 v19, v19, 23, v0
	v_or3_b32 v35, v9, v19, v33
.LBB313_551:                            ;   in Loop: Header=BB313_328 Depth=1
	s_or_b64 exec, exec, s[20:21]
.LBB313_552:                            ;   in Loop: Header=BB313_328 Depth=1
	s_or_b64 exec, exec, s[18:19]
.LBB313_553:                            ;   in Loop: Header=BB313_328 Depth=1
	s_or_b64 exec, exec, s[16:17]
	v_mov_b32_e32 v9, v18
	v_cmp_ne_u16_sdwa s[0:1], v18, v10 src0_sel:BYTE_0 src1_sel:DWORD
	v_mov_b32_e32 v37, 0
	v_mov_b32_e32 v36, 0
	s_and_saveexec_b64 s[16:17], s[0:1]
	s_cbranch_execz .LBB313_559
; %bb.554:                              ;   in Loop: Header=BB313_328 Depth=1
	v_cmp_ne_u16_sdwa s[0:1], v18, s28 src0_sel:BYTE_0 src1_sel:DWORD
	v_bfrev_b32_e32 v36, 1
	s_and_saveexec_b64 s[18:19], s[0:1]
	s_cbranch_execz .LBB313_558
; %bb.555:                              ;   in Loop: Header=BB313_328 Depth=1
	v_and_b32_e32 v19, 0x7f, v18
	v_cmp_ne_u32_e64 s[0:1], s29, v19
	v_mov_b32_e32 v36, 0x7f800001
	s_and_saveexec_b64 s[20:21], s[0:1]
	s_cbranch_execz .LBB313_557
; %bb.556:                              ;   in Loop: Header=BB313_328 Depth=1
	v_and_b32_e32 v33, 7, v18
	v_lshrrev_b32_e32 v34, 3, v19
	v_cmp_gt_u32_e64 s[0:1], 8, v19
	v_ffbh_u32_e32 v19, v33
	v_min_u32_e32 v19, 32, v19
	v_subrev_u32_e32 v33, 28, v19
	v_sub_u32_e32 v19, 29, v19
	v_cndmask_b32_e64 v33, 0, v33, s[0:1]
	v_cndmask_b32_e64 v19, v34, v19, s[0:1]
	v_lshlrev_b64 v[33:34], v33, v[9:10]
	v_lshlrev_b32_e32 v34, 24, v9
	v_lshlrev_b32_e32 v33, 20, v33
	v_bfrev_b32_e32 v0, 60
	v_and_b32_e32 v33, 0x700000, v33
	v_and_b32_e32 v34, 0x80000000, v34
	v_lshl_add_u32 v19, v19, 23, v0
	v_or3_b32 v36, v34, v19, v33
.LBB313_557:                            ;   in Loop: Header=BB313_328 Depth=1
	s_or_b64 exec, exec, s[20:21]
.LBB313_558:                            ;   in Loop: Header=BB313_328 Depth=1
	s_or_b64 exec, exec, s[18:19]
.LBB313_559:                            ;   in Loop: Header=BB313_328 Depth=1
	s_or_b64 exec, exec, s[16:17]
	v_lshrrev_b16_e32 v19, 8, v9
	v_cmp_ne_u16_e64 s[0:1], 0, v19
	s_and_saveexec_b64 s[16:17], s[0:1]
	s_cbranch_execz .LBB313_565
; %bb.560:                              ;   in Loop: Header=BB313_328 Depth=1
	v_cmp_ne_u16_e64 s[0:1], s28, v19
	v_bfrev_b32_e32 v37, 1
	s_and_saveexec_b64 s[18:19], s[0:1]
	s_cbranch_execz .LBB313_564
; %bb.561:                              ;   in Loop: Header=BB313_328 Depth=1
	v_and_b32_e32 v33, 0x7f, v19
	v_cmp_ne_u32_e64 s[0:1], s29, v33
	v_mov_b32_e32 v37, 0x7f800001
	s_and_saveexec_b64 s[20:21], s[0:1]
	s_cbranch_execz .LBB313_563
; %bb.562:                              ;   in Loop: Header=BB313_328 Depth=1
	v_and_b32_e32 v37, 7, v19
	v_lshrrev_b32_e32 v38, 3, v33
	v_cmp_gt_u32_e64 s[0:1], 8, v33
	v_ffbh_u32_e32 v33, v37
	v_min_u32_e32 v39, 32, v33
	v_subrev_u32_e32 v33, 28, v39
	v_lshlrev_b64 v[33:34], v33, v[19:20]
	v_sub_u32_e32 v19, 29, v39
	v_and_b32_e32 v33, 7, v33
	v_cndmask_b32_e64 v19, v38, v19, s[0:1]
	v_cndmask_b32_e64 v33, v37, v33, s[0:1]
	v_lshlrev_b32_e32 v9, 16, v9
	v_bfrev_b32_e32 v0, 60
	v_lshlrev_b32_e32 v33, 20, v33
	v_and_b32_e32 v9, 0x80000000, v9
	v_lshl_add_u32 v19, v19, 23, v0
	v_or3_b32 v37, v9, v19, v33
.LBB313_563:                            ;   in Loop: Header=BB313_328 Depth=1
	s_or_b64 exec, exec, s[20:21]
.LBB313_564:                            ;   in Loop: Header=BB313_328 Depth=1
	s_or_b64 exec, exec, s[18:19]
.LBB313_565:                            ;   in Loop: Header=BB313_328 Depth=1
	s_or_b64 exec, exec, s[16:17]
	v_lshrrev_b32_e32 v9, 16, v18
	v_cmp_ne_u16_sdwa s[0:1], v9, v10 src0_sel:BYTE_0 src1_sel:DWORD
	v_mov_b32_e32 v33, 0
	v_mov_b32_e32 v34, 0
	s_and_saveexec_b64 s[16:17], s[0:1]
	s_cbranch_execz .LBB313_571
; %bb.566:                              ;   in Loop: Header=BB313_328 Depth=1
	v_cmp_ne_u16_sdwa s[0:1], v9, s28 src0_sel:BYTE_0 src1_sel:DWORD
	v_bfrev_b32_e32 v34, 1
	s_and_saveexec_b64 s[18:19], s[0:1]
	s_cbranch_execz .LBB313_570
; %bb.567:                              ;   in Loop: Header=BB313_328 Depth=1
	v_bfe_u32 v19, v18, 16, 7
	v_cmp_ne_u32_e64 s[0:1], s29, v19
	v_mov_b32_e32 v34, 0x7f800001
	s_and_saveexec_b64 s[20:21], s[0:1]
	s_cbranch_execz .LBB313_569
; %bb.568:                              ;   in Loop: Header=BB313_328 Depth=1
	v_and_b32_e32 v34, 7, v9
	v_lshrrev_b32_e32 v40, 3, v19
	v_cmp_gt_u32_e64 s[0:1], 8, v19
	v_ffbh_u32_e32 v19, v34
	v_min_u32_e32 v19, 32, v19
	v_subrev_u32_e32 v38, 28, v19
	v_lshlrev_b64 v[38:39], v38, v[9:10]
	v_sub_u32_e32 v19, 29, v19
	v_and_b32_e32 v38, 7, v38
	v_cndmask_b32_e64 v19, v40, v19, s[0:1]
	v_cndmask_b32_e64 v34, v34, v38, s[0:1]
	v_lshlrev_b32_e32 v9, 24, v9
	v_bfrev_b32_e32 v0, 60
	v_lshlrev_b32_e32 v34, 20, v34
	v_and_b32_e32 v9, 0x80000000, v9
	v_lshl_add_u32 v19, v19, 23, v0
	v_or3_b32 v34, v9, v19, v34
.LBB313_569:                            ;   in Loop: Header=BB313_328 Depth=1
	s_or_b64 exec, exec, s[20:21]
.LBB313_570:                            ;   in Loop: Header=BB313_328 Depth=1
	s_or_b64 exec, exec, s[18:19]
.LBB313_571:                            ;   in Loop: Header=BB313_328 Depth=1
	s_or_b64 exec, exec, s[16:17]
	v_cmp_lt_u64_e64 s[0:1], s[4:5], v[17:18]
	s_and_saveexec_b64 s[16:17], s[0:1]
	s_cbranch_execz .LBB313_577
; %bb.572:                              ;   in Loop: Header=BB313_328 Depth=1
	v_lshrrev_b32_e32 v9, 24, v18
	v_cmp_ne_u32_e64 s[0:1], s28, v9
	v_bfrev_b32_e32 v33, 1
	s_and_saveexec_b64 s[18:19], s[0:1]
	s_cbranch_execz .LBB313_576
; %bb.573:                              ;   in Loop: Header=BB313_328 Depth=1
	v_bfe_u32 v17, v18, 24, 7
	v_cmp_ne_u32_e64 s[0:1], s29, v17
	v_mov_b32_e32 v33, 0x7f800001
	s_and_saveexec_b64 s[20:21], s[0:1]
	s_cbranch_execz .LBB313_575
; %bb.574:                              ;   in Loop: Header=BB313_328 Depth=1
	v_and_b32_e32 v19, 7, v9
	v_lshrrev_b32_e32 v33, 3, v17
	v_cmp_gt_u32_e64 s[0:1], 8, v17
	v_ffbh_u32_e32 v17, v19
	v_min_u32_e32 v38, 32, v17
	v_subrev_u32_e32 v17, 28, v38
	v_lshlrev_b64 v[17:18], v17, v[9:10]
	v_sub_u32_e32 v18, 29, v38
	v_and_b32_e32 v17, 7, v17
	v_cndmask_b32_e64 v18, v33, v18, s[0:1]
	v_cndmask_b32_e64 v17, v19, v17, s[0:1]
	v_lshlrev_b32_e32 v9, 24, v9
	v_bfrev_b32_e32 v0, 60
	v_lshlrev_b32_e32 v17, 20, v17
	v_and_b32_e32 v9, 0x80000000, v9
	v_lshl_add_u32 v18, v18, 23, v0
	v_or3_b32 v33, v9, v18, v17
.LBB313_575:                            ;   in Loop: Header=BB313_328 Depth=1
	s_or_b64 exec, exec, s[20:21]
.LBB313_576:                            ;   in Loop: Header=BB313_328 Depth=1
	s_or_b64 exec, exec, s[18:19]
.LBB313_577:                            ;   in Loop: Header=BB313_328 Depth=1
	s_or_b64 exec, exec, s[16:17]
	v_mul_f32_e32 v9, s31, v37
	v_bfe_u32 v17, v9, 16, 1
	v_add3_u32 v17, v17, v9, s30
	v_or_b32_e32 v18, 0x400000, v9
	v_cmp_u_f32_e64 s[0:1], v9, v9
	v_cndmask_b32_e64 v9, v17, v18, s[0:1]
	v_lshrrev_b32_e32 v19, 16, v9
	v_mul_f32_e32 v9, s31, v36
	v_bfe_u32 v17, v9, 16, 1
	v_add3_u32 v17, v17, v9, s30
	v_or_b32_e32 v18, 0x400000, v9
	v_cmp_u_f32_e64 s[0:1], v9, v9
	v_cndmask_b32_e64 v9, v17, v18, s[0:1]
	v_lshrrev_b32_e32 v18, 16, v9
	;; [unrolled: 7-line block ×8, first 2 shown]
	s_and_saveexec_b64 s[16:17], vcc
	s_cbranch_execz .LBB313_579
; %bb.578:                              ;   in Loop: Header=BB313_328 Depth=1
	v_cmp_gt_i32_e64 s[0:1], s33, v44
	v_cndmask_b32_e64 v36, 0, v36, s[0:1]
	v_cmp_gt_i32_e64 s[0:1], s33, v51
	v_cndmask_b32_e64 v37, 0, v37, s[0:1]
	;; [unrolled: 2-line block ×8, first 2 shown]
.LBB313_579:                            ;   in Loop: Header=BB313_328 Depth=1
	s_or_b64 exec, exec, s[16:17]
	global_load_dwordx2 v[15:16], v[15:16], off offset:2560
	v_mov_b32_e32 v40, 0
	v_mov_b32_e32 v38, 0
	s_waitcnt vmcnt(0)
	v_cmp_ne_u16_sdwa s[0:1], v15, v10 src0_sel:BYTE_0 src1_sel:DWORD
	s_and_saveexec_b64 s[16:17], s[0:1]
	s_cbranch_execz .LBB313_585
; %bb.580:                              ;   in Loop: Header=BB313_328 Depth=1
	v_cmp_ne_u16_sdwa s[0:1], v15, s28 src0_sel:BYTE_0 src1_sel:DWORD
	v_bfrev_b32_e32 v38, 1
	s_and_saveexec_b64 s[18:19], s[0:1]
	s_cbranch_execz .LBB313_584
; %bb.581:                              ;   in Loop: Header=BB313_328 Depth=1
	v_and_b32_e32 v9, 0x7f, v15
	v_cmp_ne_u32_e64 s[0:1], s29, v9
	v_mov_b32_e32 v38, 0x7f800001
	s_and_saveexec_b64 s[20:21], s[0:1]
	s_cbranch_execz .LBB313_583
; %bb.582:                              ;   in Loop: Header=BB313_328 Depth=1
	v_and_b32_e32 v17, 7, v15
	v_lshrrev_b32_e32 v33, 3, v9
	v_cmp_gt_u32_e64 s[0:1], 8, v9
	v_ffbh_u32_e32 v9, v17
	v_min_u32_e32 v9, 32, v9
	v_subrev_u32_e32 v17, 28, v9
	v_sub_u32_e32 v9, 29, v9
	v_cndmask_b32_e64 v17, 0, v17, s[0:1]
	v_cndmask_b32_e64 v9, v33, v9, s[0:1]
	v_lshlrev_b64 v[33:34], v17, v[15:16]
	v_bfrev_b32_e32 v0, 60
	v_lshlrev_b32_e32 v17, 20, v33
	v_lshlrev_b32_e32 v33, 24, v15
	v_and_b32_e32 v17, 0x700000, v17
	v_and_b32_e32 v33, 0x80000000, v33
	v_lshl_add_u32 v9, v9, 23, v0
	v_or3_b32 v38, v33, v9, v17
.LBB313_583:                            ;   in Loop: Header=BB313_328 Depth=1
	s_or_b64 exec, exec, s[20:21]
.LBB313_584:                            ;   in Loop: Header=BB313_328 Depth=1
	s_or_b64 exec, exec, s[18:19]
.LBB313_585:                            ;   in Loop: Header=BB313_328 Depth=1
	s_or_b64 exec, exec, s[16:17]
	v_lshrrev_b16_e32 v9, 8, v15
	v_cmp_ne_u16_e64 s[0:1], 0, v9
	s_and_saveexec_b64 s[16:17], s[0:1]
	s_cbranch_execz .LBB313_591
; %bb.586:                              ;   in Loop: Header=BB313_328 Depth=1
	v_cmp_ne_u16_e64 s[0:1], s28, v9
	v_bfrev_b32_e32 v40, 1
	s_and_saveexec_b64 s[18:19], s[0:1]
	s_cbranch_execz .LBB313_590
; %bb.587:                              ;   in Loop: Header=BB313_328 Depth=1
	v_and_b32_e32 v17, 0x7f, v9
	v_cmp_ne_u32_e64 s[0:1], s29, v17
	v_mov_b32_e32 v40, 0x7f800001
	s_and_saveexec_b64 s[20:21], s[0:1]
	s_cbranch_execz .LBB313_589
; %bb.588:                              ;   in Loop: Header=BB313_328 Depth=1
	v_and_b32_e32 v39, 7, v9
	v_lshrrev_b32_e32 v40, 3, v17
	v_cmp_gt_u32_e64 s[0:1], 8, v17
	v_ffbh_u32_e32 v17, v39
	v_min_u32_e32 v17, 32, v17
	v_subrev_u32_e32 v33, 28, v17
	v_lshlrev_b64 v[33:34], v33, v[9:10]
	v_sub_u32_e32 v9, 29, v17
	v_and_b32_e32 v17, 7, v33
	v_cndmask_b32_e64 v9, v40, v9, s[0:1]
	v_cndmask_b32_e64 v17, v39, v17, s[0:1]
	v_lshlrev_b32_e32 v33, 16, v15
	v_bfrev_b32_e32 v0, 60
	v_lshlrev_b32_e32 v17, 20, v17
	v_and_b32_e32 v33, 0x80000000, v33
	v_lshl_add_u32 v9, v9, 23, v0
	v_or3_b32 v40, v33, v9, v17
.LBB313_589:                            ;   in Loop: Header=BB313_328 Depth=1
	s_or_b64 exec, exec, s[20:21]
.LBB313_590:                            ;   in Loop: Header=BB313_328 Depth=1
	s_or_b64 exec, exec, s[18:19]
.LBB313_591:                            ;   in Loop: Header=BB313_328 Depth=1
	s_or_b64 exec, exec, s[16:17]
	v_lshrrev_b32_e32 v9, 16, v15
	v_cmp_ne_u16_sdwa s[0:1], v9, v10 src0_sel:BYTE_0 src1_sel:DWORD
	v_mov_b32_e32 v41, 0
	v_mov_b32_e32 v39, 0
	s_and_saveexec_b64 s[16:17], s[0:1]
	s_cbranch_execz .LBB313_597
; %bb.592:                              ;   in Loop: Header=BB313_328 Depth=1
	v_cmp_ne_u16_sdwa s[0:1], v9, s28 src0_sel:BYTE_0 src1_sel:DWORD
	v_bfrev_b32_e32 v39, 1
	s_and_saveexec_b64 s[18:19], s[0:1]
	s_cbranch_execz .LBB313_596
; %bb.593:                              ;   in Loop: Header=BB313_328 Depth=1
	v_bfe_u32 v17, v15, 16, 7
	v_cmp_ne_u32_e64 s[0:1], s29, v17
	v_mov_b32_e32 v39, 0x7f800001
	s_and_saveexec_b64 s[20:21], s[0:1]
	s_cbranch_execz .LBB313_595
; %bb.594:                              ;   in Loop: Header=BB313_328 Depth=1
	v_and_b32_e32 v39, 7, v9
	v_lshrrev_b32_e32 v42, 3, v17
	v_cmp_gt_u32_e64 s[0:1], 8, v17
	v_ffbh_u32_e32 v17, v39
	v_min_u32_e32 v17, 32, v17
	v_subrev_u32_e32 v33, 28, v17
	v_lshlrev_b64 v[33:34], v33, v[9:10]
	v_sub_u32_e32 v17, 29, v17
	v_and_b32_e32 v33, 7, v33
	v_cndmask_b32_e64 v17, v42, v17, s[0:1]
	v_cndmask_b32_e64 v33, v39, v33, s[0:1]
	v_lshlrev_b32_e32 v9, 24, v9
	v_bfrev_b32_e32 v0, 60
	v_lshlrev_b32_e32 v33, 20, v33
	v_and_b32_e32 v9, 0x80000000, v9
	v_lshl_add_u32 v17, v17, 23, v0
	v_or3_b32 v39, v9, v17, v33
.LBB313_595:                            ;   in Loop: Header=BB313_328 Depth=1
	s_or_b64 exec, exec, s[20:21]
.LBB313_596:                            ;   in Loop: Header=BB313_328 Depth=1
	s_or_b64 exec, exec, s[18:19]
.LBB313_597:                            ;   in Loop: Header=BB313_328 Depth=1
	s_or_b64 exec, exec, s[16:17]
	v_cmp_lt_u32_e64 s[0:1], s5, v15
	s_and_saveexec_b64 s[16:17], s[0:1]
	s_cbranch_execz .LBB313_603
; %bb.598:                              ;   in Loop: Header=BB313_328 Depth=1
	v_lshrrev_b32_e32 v9, 24, v15
	v_cmp_ne_u32_e64 s[0:1], s28, v9
	v_bfrev_b32_e32 v41, 1
	s_and_saveexec_b64 s[18:19], s[0:1]
	s_cbranch_execz .LBB313_602
; %bb.599:                              ;   in Loop: Header=BB313_328 Depth=1
	v_bfe_u32 v17, v15, 24, 7
	v_cmp_ne_u32_e64 s[0:1], s29, v17
	v_mov_b32_e32 v41, 0x7f800001
	s_and_saveexec_b64 s[20:21], s[0:1]
	s_cbranch_execz .LBB313_601
; %bb.600:                              ;   in Loop: Header=BB313_328 Depth=1
	v_and_b32_e32 v41, 7, v9
	v_lshrrev_b32_e32 v42, 3, v17
	v_cmp_gt_u32_e64 s[0:1], 8, v17
	v_ffbh_u32_e32 v17, v41
	v_min_u32_e32 v17, 32, v17
	v_subrev_u32_e32 v33, 28, v17
	v_lshlrev_b64 v[33:34], v33, v[9:10]
	v_sub_u32_e32 v17, 29, v17
	v_and_b32_e32 v33, 7, v33
	v_cndmask_b32_e64 v17, v42, v17, s[0:1]
	v_cndmask_b32_e64 v33, v41, v33, s[0:1]
	v_lshlrev_b32_e32 v9, 24, v9
	v_bfrev_b32_e32 v0, 60
	v_lshlrev_b32_e32 v33, 20, v33
	v_and_b32_e32 v9, 0x80000000, v9
	v_lshl_add_u32 v17, v17, 23, v0
	v_or3_b32 v41, v9, v17, v33
.LBB313_601:                            ;   in Loop: Header=BB313_328 Depth=1
	s_or_b64 exec, exec, s[20:21]
.LBB313_602:                            ;   in Loop: Header=BB313_328 Depth=1
	s_or_b64 exec, exec, s[18:19]
.LBB313_603:                            ;   in Loop: Header=BB313_328 Depth=1
	s_or_b64 exec, exec, s[16:17]
	v_mov_b32_e32 v9, v16
	v_cmp_ne_u16_sdwa s[0:1], v16, v10 src0_sel:BYTE_0 src1_sel:DWORD
	v_mov_b32_e32 v43, 0
	v_mov_b32_e32 v42, 0
	s_and_saveexec_b64 s[16:17], s[0:1]
	s_cbranch_execz .LBB313_609
; %bb.604:                              ;   in Loop: Header=BB313_328 Depth=1
	v_cmp_ne_u16_sdwa s[0:1], v16, s28 src0_sel:BYTE_0 src1_sel:DWORD
	v_bfrev_b32_e32 v42, 1
	s_and_saveexec_b64 s[18:19], s[0:1]
	s_cbranch_execz .LBB313_608
; %bb.605:                              ;   in Loop: Header=BB313_328 Depth=1
	v_and_b32_e32 v17, 0x7f, v16
	v_cmp_ne_u32_e64 s[0:1], s29, v17
	v_mov_b32_e32 v42, 0x7f800001
	s_and_saveexec_b64 s[20:21], s[0:1]
	s_cbranch_execz .LBB313_607
; %bb.606:                              ;   in Loop: Header=BB313_328 Depth=1
	v_and_b32_e32 v33, 7, v16
	v_lshrrev_b32_e32 v34, 3, v17
	v_cmp_gt_u32_e64 s[0:1], 8, v17
	v_ffbh_u32_e32 v17, v33
	v_min_u32_e32 v17, 32, v17
	v_subrev_u32_e32 v33, 28, v17
	v_sub_u32_e32 v17, 29, v17
	v_cndmask_b32_e64 v33, 0, v33, s[0:1]
	v_cndmask_b32_e64 v17, v34, v17, s[0:1]
	v_lshlrev_b64 v[33:34], v33, v[9:10]
	v_lshlrev_b32_e32 v34, 24, v9
	v_lshlrev_b32_e32 v33, 20, v33
	v_bfrev_b32_e32 v0, 60
	v_and_b32_e32 v33, 0x700000, v33
	v_and_b32_e32 v34, 0x80000000, v34
	v_lshl_add_u32 v17, v17, 23, v0
	v_or3_b32 v42, v34, v17, v33
.LBB313_607:                            ;   in Loop: Header=BB313_328 Depth=1
	s_or_b64 exec, exec, s[20:21]
.LBB313_608:                            ;   in Loop: Header=BB313_328 Depth=1
	s_or_b64 exec, exec, s[18:19]
.LBB313_609:                            ;   in Loop: Header=BB313_328 Depth=1
	s_or_b64 exec, exec, s[16:17]
	v_lshrrev_b16_e32 v17, 8, v9
	v_cmp_ne_u16_e64 s[0:1], 0, v17
	s_and_saveexec_b64 s[16:17], s[0:1]
	s_cbranch_execz .LBB313_615
; %bb.610:                              ;   in Loop: Header=BB313_328 Depth=1
	v_cmp_ne_u16_e64 s[0:1], s28, v17
	v_bfrev_b32_e32 v43, 1
	s_and_saveexec_b64 s[18:19], s[0:1]
	s_cbranch_execz .LBB313_614
; %bb.611:                              ;   in Loop: Header=BB313_328 Depth=1
	v_and_b32_e32 v33, 0x7f, v17
	v_cmp_ne_u32_e64 s[0:1], s29, v33
	v_mov_b32_e32 v43, 0x7f800001
	s_and_saveexec_b64 s[20:21], s[0:1]
	s_cbranch_execz .LBB313_613
; %bb.612:                              ;   in Loop: Header=BB313_328 Depth=1
	v_and_b32_e32 v43, 7, v17
	v_lshrrev_b32_e32 v52, 3, v33
	v_cmp_gt_u32_e64 s[0:1], 8, v33
	v_ffbh_u32_e32 v33, v43
	v_min_u32_e32 v53, 32, v33
	v_subrev_u32_e32 v33, 28, v53
	v_lshlrev_b64 v[33:34], v33, v[17:18]
	v_sub_u32_e32 v17, 29, v53
	buffer_load_dword v53, off, s[60:63], 0 offset:148 ; 4-byte Folded Reload
	v_cndmask_b32_e64 v17, v52, v17, s[0:1]
	buffer_load_dword v52, off, s[60:63], 0 offset:144 ; 4-byte Folded Reload
	v_and_b32_e32 v33, 7, v33
	v_cndmask_b32_e64 v33, v43, v33, s[0:1]
	v_lshlrev_b32_e32 v9, 16, v9
	v_bfrev_b32_e32 v0, 60
	v_lshlrev_b32_e32 v33, 20, v33
	v_and_b32_e32 v9, 0x80000000, v9
	v_lshl_add_u32 v17, v17, 23, v0
	v_or3_b32 v43, v9, v17, v33
.LBB313_613:                            ;   in Loop: Header=BB313_328 Depth=1
	s_or_b64 exec, exec, s[20:21]
.LBB313_614:                            ;   in Loop: Header=BB313_328 Depth=1
	s_or_b64 exec, exec, s[18:19]
.LBB313_615:                            ;   in Loop: Header=BB313_328 Depth=1
	s_or_b64 exec, exec, s[16:17]
	v_lshrrev_b32_e32 v9, 16, v16
	v_cmp_ne_u16_sdwa s[0:1], v9, v10 src0_sel:BYTE_0 src1_sel:DWORD
	v_mov_b32_e32 v33, 0
	v_mov_b32_e32 v17, 0
	s_and_saveexec_b64 s[16:17], s[0:1]
	s_cbranch_execz .LBB313_621
; %bb.616:                              ;   in Loop: Header=BB313_328 Depth=1
	v_cmp_ne_u16_sdwa s[0:1], v9, s28 src0_sel:BYTE_0 src1_sel:DWORD
	v_bfrev_b32_e32 v17, 1
	s_and_saveexec_b64 s[18:19], s[0:1]
	s_cbranch_execz .LBB313_620
; %bb.617:                              ;   in Loop: Header=BB313_328 Depth=1
	v_bfe_u32 v34, v16, 16, 7
	v_cmp_ne_u32_e64 s[0:1], s29, v34
	v_mov_b32_e32 v17, 0x7f800001
	s_and_saveexec_b64 s[20:21], s[0:1]
	s_cbranch_execz .LBB313_619
; %bb.618:                              ;   in Loop: Header=BB313_328 Depth=1
	v_and_b32_e32 v17, 7, v9
	v_mov_b32_e32 v0, v55
	v_mov_b32_e32 v55, v59
	;; [unrolled: 1-line block ×6, first 2 shown]
	v_lshrrev_b32_e32 v54, 3, v34
	v_cmp_gt_u32_e64 s[0:1], 8, v34
	v_ffbh_u32_e32 v34, v17
	v_min_u32_e32 v34, 32, v34
	s_waitcnt vmcnt(0)
	v_subrev_u32_e32 v52, 28, v34
	v_lshlrev_b64 v[52:53], v52, v[9:10]
	buffer_load_dword v53, off, s[60:63], 0 offset:148 ; 4-byte Folded Reload
	v_and_b32_e32 v52, 7, v52
	v_cndmask_b32_e64 v17, v17, v52, s[0:1]
	buffer_load_dword v52, off, s[60:63], 0 offset:144 ; 4-byte Folded Reload
	v_sub_u32_e32 v34, 29, v34
	v_cndmask_b32_e64 v34, v54, v34, s[0:1]
	v_mov_b32_e32 v54, v56
	v_mov_b32_e32 v56, v57
	v_mov_b32_e32 v57, v58
	v_mov_b32_e32 v58, v59
	v_mov_b32_e32 v59, v55
	v_mov_b32_e32 v55, v0
	v_lshlrev_b32_e32 v9, 24, v9
	v_bfrev_b32_e32 v0, 60
	v_lshlrev_b32_e32 v17, 20, v17
	v_and_b32_e32 v9, 0x80000000, v9
	v_lshl_add_u32 v34, v34, 23, v0
	v_or3_b32 v17, v9, v34, v17
.LBB313_619:                            ;   in Loop: Header=BB313_328 Depth=1
	s_or_b64 exec, exec, s[20:21]
.LBB313_620:                            ;   in Loop: Header=BB313_328 Depth=1
	s_or_b64 exec, exec, s[18:19]
.LBB313_621:                            ;   in Loop: Header=BB313_328 Depth=1
	s_or_b64 exec, exec, s[16:17]
	v_cmp_lt_u64_e64 s[0:1], s[4:5], v[15:16]
	s_and_saveexec_b64 s[16:17], s[0:1]
	s_cbranch_execz .LBB313_627
; %bb.622:                              ;   in Loop: Header=BB313_328 Depth=1
	v_lshrrev_b32_e32 v9, 24, v16
	v_cmp_ne_u32_e64 s[0:1], s28, v9
	v_bfrev_b32_e32 v33, 1
	s_and_saveexec_b64 s[18:19], s[0:1]
	s_cbranch_execz .LBB313_626
; %bb.623:                              ;   in Loop: Header=BB313_328 Depth=1
	v_bfe_u32 v15, v16, 24, 7
	v_cmp_ne_u32_e64 s[0:1], s29, v15
	v_mov_b32_e32 v33, 0x7f800001
	s_and_saveexec_b64 s[20:21], s[0:1]
	s_cbranch_execz .LBB313_625
; %bb.624:                              ;   in Loop: Header=BB313_328 Depth=1
	v_and_b32_e32 v33, 7, v9
	v_lshrrev_b32_e32 v34, 3, v15
	v_cmp_gt_u32_e64 s[0:1], 8, v15
	v_ffbh_u32_e32 v15, v33
	s_waitcnt vmcnt(0)
	v_min_u32_e32 v52, 32, v15
	v_subrev_u32_e32 v15, 28, v52
	v_lshlrev_b64 v[15:16], v15, v[9:10]
	v_sub_u32_e32 v16, 29, v52
	buffer_load_dword v52, off, s[60:63], 0 offset:144 ; 4-byte Folded Reload
	v_and_b32_e32 v15, 7, v15
	v_cndmask_b32_e64 v16, v34, v16, s[0:1]
	v_cndmask_b32_e64 v15, v33, v15, s[0:1]
	v_lshlrev_b32_e32 v9, 24, v9
	v_bfrev_b32_e32 v0, 60
	v_lshlrev_b32_e32 v15, 20, v15
	v_and_b32_e32 v9, 0x80000000, v9
	v_lshl_add_u32 v16, v16, 23, v0
	v_or3_b32 v33, v9, v16, v15
.LBB313_625:                            ;   in Loop: Header=BB313_328 Depth=1
	s_or_b64 exec, exec, s[20:21]
.LBB313_626:                            ;   in Loop: Header=BB313_328 Depth=1
	s_or_b64 exec, exec, s[18:19]
.LBB313_627:                            ;   in Loop: Header=BB313_328 Depth=1
	s_or_b64 exec, exec, s[16:17]
	v_mul_f32_e32 v9, s31, v43
	v_bfe_u32 v15, v9, 16, 1
	v_add3_u32 v15, v15, v9, s30
	v_or_b32_e32 v16, 0x400000, v9
	v_cmp_u_f32_e64 s[0:1], v9, v9
	v_cndmask_b32_e64 v9, v15, v16, s[0:1]
	v_mul_f32_e32 v15, s31, v42
	v_bfe_u32 v16, v15, 16, 1
	v_add3_u32 v16, v16, v15, s30
	v_or_b32_e32 v34, 0x400000, v15
	v_cmp_u_f32_e64 s[0:1], v15, v15
	v_cndmask_b32_e64 v15, v16, v34, s[0:1]
	;; [unrolled: 6-line block ×4, first 2 shown]
	v_lshrrev_b32_e32 v39, 16, v34
	v_mul_f32_e32 v34, s31, v40
	v_bfe_u32 v40, v34, 16, 1
	v_add3_u32 v40, v40, v34, s30
	v_or_b32_e32 v41, 0x400000, v34
	v_cmp_u_f32_e64 s[0:1], v34, v34
	v_cndmask_b32_e64 v34, v40, v41, s[0:1]
	v_lshrrev_b32_e32 v40, 16, v34
	v_mul_f32_e32 v34, s31, v38
	v_bfe_u32 v38, v34, 16, 1
	v_add3_u32 v38, v38, v34, s30
	v_or_b32_e32 v41, 0x400000, v34
	v_cmp_u_f32_e64 s[0:1], v34, v34
	v_cndmask_b32_e64 v34, v38, v41, s[0:1]
	v_mul_f32_e32 v17, s31, v17
	v_lshrrev_b32_e32 v41, 16, v34
	v_bfe_u32 v34, v17, 16, 1
	v_add3_u32 v34, v34, v17, s30
	v_or_b32_e32 v38, 0x400000, v17
	v_cmp_u_f32_e64 s[0:1], v17, v17
	v_mul_f32_e32 v33, s31, v33
	v_cndmask_b32_e64 v17, v34, v38, s[0:1]
	v_bfe_u32 v34, v33, 16, 1
	v_add3_u32 v34, v34, v33, s30
	v_or_b32_e32 v38, 0x400000, v33
	v_cmp_u_f32_e64 s[0:1], v33, v33
	v_cndmask_b32_e64 v33, v34, v38, s[0:1]
	v_lshrrev_b32_e32 v9, 16, v9
	v_lshrrev_b32_e32 v15, 16, v15
	;; [unrolled: 1-line block ×5, first 2 shown]
	s_and_saveexec_b64 s[0:1], vcc
	s_cbranch_execz .LBB313_326
; %bb.628:                              ;   in Loop: Header=BB313_328 Depth=1
	v_cmp_gt_i32_e32 vcc, s33, v44
	v_cndmask_b32_e32 v41, 0, v41, vcc
	v_cmp_gt_i32_e32 vcc, s33, v51
	v_cndmask_b32_e32 v40, 0, v40, vcc
	;; [unrolled: 2-line block ×8, first 2 shown]
	s_branch .LBB313_326
.LBB313_629:
	s_or_b64 exec, exec, s[6:7]
	buffer_load_dword v14, off, s[60:63], 0 offset:152 ; 4-byte Folded Reload
	buffer_load_dword v15, off, s[60:63], 0 offset:156 ; 4-byte Folded Reload
	;; [unrolled: 1-line block ×4, first 2 shown]
.LBB313_630:
	s_or_b64 exec, exec, s[2:3]
	s_waitcnt vmcnt(2)
	ds_bpermute_b32 v1, v15, v59
	ds_bpermute_b32 v5, v15, v56
	s_waitcnt vmcnt(0) lgkmcnt(0)
	s_barrier
	v_add_f32_e32 v1, v59, v1
	ds_bpermute_b32 v6, v16, v1
	v_add_f32_e32 v10, v56, v5
	ds_bpermute_b32 v0, v15, v55
	ds_bpermute_b32 v2, v15, v58
	;; [unrolled: 1-line block ×3, first 2 shown]
	s_waitcnt lgkmcnt(3)
	v_add_f32_e32 v5, v1, v6
	buffer_load_dword v6, off, s[60:63], 0 offset:240 ; 4-byte Folded Reload
	s_waitcnt lgkmcnt(2)
	v_add_f32_e32 v0, v55, v0
	ds_bpermute_b32 v3, v16, v0
	s_waitcnt lgkmcnt(2)
	v_add_f32_e32 v2, v58, v2
	ds_bpermute_b32 v7, v16, v2
	s_waitcnt lgkmcnt(2)
	v_add_f32_e32 v8, v57, v4
	ds_bpermute_b32 v9, v16, v8
	s_waitcnt lgkmcnt(2)
	v_add_f32_e32 v3, v0, v3
	ds_bpermute_b32 v0, v15, v54
	ds_bpermute_b32 v11, v16, v10
	s_waitcnt lgkmcnt(3)
	v_add_f32_e32 v4, v2, v7
	s_waitcnt lgkmcnt(2)
	v_add_f32_e32 v2, v8, v9
	;; [unrolled: 2-line block ×3, first 2 shown]
	ds_bpermute_b32 v12, v16, v0
	s_waitcnt lgkmcnt(1)
	v_add_f32_e32 v1, v10, v11
	s_waitcnt lgkmcnt(0)
	v_add_f32_e32 v0, v0, v12
	s_waitcnt vmcnt(0)
	v_and_b32_e32 v7, 0x3c3, v6
	v_cmp_eq_u32_e32 vcc, 64, v7
	s_and_saveexec_b64 s[0:1], vcc
	s_cbranch_execz .LBB313_632
; %bb.631:
	v_add_u32_e32 v6, 0xd0, v14
	ds_write2_b32 v6, v3, v5 offset1:16
	ds_write2_b32 v6, v4, v2 offset0:32 offset1:48
	ds_write2_b32 v6, v1, v0 offset0:64 offset1:80
.LBB313_632:
	s_or_b64 exec, exec, s[0:1]
	buffer_load_dword v6, off, s[60:63], 0 offset:240 ; 4-byte Folded Reload
	s_waitcnt vmcnt(0) lgkmcnt(0)
	s_barrier
	v_cmp_gt_u32_e32 vcc, 64, v6
	v_lshrrev_b32_e32 v6, 2, v6
	s_and_saveexec_b64 s[0:1], vcc
	s_cbranch_execz .LBB313_641
; %bb.633:
	v_mov_b32_e32 v8, 0xd0
	v_cmp_eq_u32_e32 vcc, 0, v17
	v_lshl_add_u32 v8, v6, 2, v8
	s_and_saveexec_b64 s[2:3], vcc
	s_cbranch_execnz .LBB313_644
; %bb.634:
	s_or_b64 exec, exec, s[2:3]
	s_and_saveexec_b64 s[2:3], vcc
	s_cbranch_execnz .LBB313_645
.LBB313_635:
	s_or_b64 exec, exec, s[2:3]
	s_and_saveexec_b64 s[2:3], vcc
	s_cbranch_execnz .LBB313_646
.LBB313_636:
	s_or_b64 exec, exec, s[2:3]
	s_and_saveexec_b64 s[2:3], vcc
	s_cbranch_execnz .LBB313_647
.LBB313_637:
	s_or_b64 exec, exec, s[2:3]
	s_and_saveexec_b64 s[2:3], vcc
	s_cbranch_execnz .LBB313_648
.LBB313_638:
	s_or_b64 exec, exec, s[2:3]
	s_and_saveexec_b64 s[2:3], vcc
	s_cbranch_execz .LBB313_640
.LBB313_639:
	ds_read_b32 v8, v8 offset:320
	s_waitcnt lgkmcnt(0)
	v_add_f32_e32 v0, v0, v8
.LBB313_640:
	s_or_b64 exec, exec, s[2:3]
.LBB313_641:
	s_or_b64 exec, exec, s[0:1]
	v_cmp_eq_u32_e32 vcc, 0, v7
	s_barrier
	s_and_saveexec_b64 s[0:1], vcc
	s_cbranch_execz .LBB313_643
; %bb.642:
	s_mul_i32 s0, s10, s11
	s_mul_i32 s0, s0, s9
	s_mulk_i32 s0, 0x60
	s_ashr_i32 s1, s0, 31
	s_lshl_b64 s[0:1], s[0:1], 1
	s_add_u32 s2, s26, s0
	s_mul_i32 s0, s11, s24
	s_addc_u32 s3, s27, s1
	s_ashr_i32 s1, s0, 31
	s_lshl_b64 s[0:1], s[0:1], 1
	s_add_u32 s2, s2, s0
	s_mul_i32 s0, s8, 0x60
	s_addc_u32 s3, s3, s1
	s_ashr_i32 s1, s0, 31
	s_lshl_b64 s[0:1], s[0:1], 1
	s_add_u32 s0, s2, s0
	v_bfe_u32 v7, v3, 16, 1
	s_movk_i32 s2, 0x7fff
	v_add3_u32 v7, v7, v3, s2
	v_or_b32_e32 v8, 0x400000, v3
	v_cmp_u_f32_e32 vcc, v3, v3
	s_addc_u32 s1, s3, s1
	v_lshlrev_b32_e32 v6, 1, v6
	v_cndmask_b32_e32 v3, v7, v8, vcc
	global_store_short_d16_hi v6, v3, s[0:1]
	v_bfe_u32 v3, v5, 16, 1
	v_add3_u32 v3, v3, v5, s2
	v_or_b32_e32 v7, 0x400000, v5
	v_cmp_u_f32_e32 vcc, v5, v5
	v_cndmask_b32_e32 v3, v3, v7, vcc
	global_store_short_d16_hi v6, v3, s[0:1] offset:32
	v_bfe_u32 v3, v4, 16, 1
	v_add3_u32 v3, v3, v4, s2
	v_or_b32_e32 v5, 0x400000, v4
	v_cmp_u_f32_e32 vcc, v4, v4
	v_cndmask_b32_e32 v3, v3, v5, vcc
	global_store_short_d16_hi v6, v3, s[0:1] offset:64
	;; [unrolled: 6-line block ×5, first 2 shown]
.LBB313_643:
	s_endpgm
.LBB313_644:
	ds_read_b32 v9, v8
	s_waitcnt lgkmcnt(0)
	v_add_f32_e32 v3, v3, v9
	s_or_b64 exec, exec, s[2:3]
	s_and_saveexec_b64 s[2:3], vcc
	s_cbranch_execz .LBB313_635
.LBB313_645:
	ds_read_b32 v9, v8 offset:64
	s_waitcnt lgkmcnt(0)
	v_add_f32_e32 v5, v5, v9
	s_or_b64 exec, exec, s[2:3]
	s_and_saveexec_b64 s[2:3], vcc
	s_cbranch_execz .LBB313_636
.LBB313_646:
	ds_read_b32 v9, v8 offset:128
	s_waitcnt lgkmcnt(0)
	v_add_f32_e32 v4, v4, v9
	s_or_b64 exec, exec, s[2:3]
	s_and_saveexec_b64 s[2:3], vcc
	s_cbranch_execz .LBB313_637
.LBB313_647:
	ds_read_b32 v9, v8 offset:192
	s_waitcnt lgkmcnt(0)
	v_add_f32_e32 v2, v2, v9
	s_or_b64 exec, exec, s[2:3]
	s_and_saveexec_b64 s[2:3], vcc
	s_cbranch_execz .LBB313_638
.LBB313_648:
	ds_read_b32 v9, v8 offset:256
	s_waitcnt lgkmcnt(0)
	v_add_f32_e32 v1, v1, v9
	s_or_b64 exec, exec, s[2:3]
	s_and_saveexec_b64 s[2:3], vcc
	s_cbranch_execnz .LBB313_639
	s_branch .LBB313_640
	.section	.rodata,"a",@progbits
	.p2align	6, 0x0
	.amdhsa_kernel _ZN4vllm25paged_attention_v1_kernelI14__hip_bfloat16hLi96ELi32ELi128ELNS_18Fp8KVCacheDataTypeE1ELb1EEEvPT_PKS3_PKT0_S9_ifPKiSB_iPKfiiiSD_SD_iiiii
		.amdhsa_group_segment_fixed_size 208
		.amdhsa_private_segment_fixed_size 284
		.amdhsa_kernarg_size 384
		.amdhsa_user_sgpr_count 6
		.amdhsa_user_sgpr_private_segment_buffer 1
		.amdhsa_user_sgpr_dispatch_ptr 0
		.amdhsa_user_sgpr_queue_ptr 0
		.amdhsa_user_sgpr_kernarg_segment_ptr 1
		.amdhsa_user_sgpr_dispatch_id 0
		.amdhsa_user_sgpr_flat_scratch_init 0
		.amdhsa_user_sgpr_private_segment_size 0
		.amdhsa_uses_dynamic_stack 0
		.amdhsa_system_sgpr_private_segment_wavefront_offset 1
		.amdhsa_system_sgpr_workgroup_id_x 1
		.amdhsa_system_sgpr_workgroup_id_y 1
		.amdhsa_system_sgpr_workgroup_id_z 1
		.amdhsa_system_sgpr_workgroup_info 0
		.amdhsa_system_vgpr_workitem_id 0
		.amdhsa_next_free_vgpr 64
		.amdhsa_next_free_sgpr 64
		.amdhsa_reserve_vcc 1
		.amdhsa_reserve_flat_scratch 0
		.amdhsa_float_round_mode_32 0
		.amdhsa_float_round_mode_16_64 0
		.amdhsa_float_denorm_mode_32 3
		.amdhsa_float_denorm_mode_16_64 3
		.amdhsa_dx10_clamp 1
		.amdhsa_ieee_mode 1
		.amdhsa_fp16_overflow 0
		.amdhsa_exception_fp_ieee_invalid_op 0
		.amdhsa_exception_fp_denorm_src 0
		.amdhsa_exception_fp_ieee_div_zero 0
		.amdhsa_exception_fp_ieee_overflow 0
		.amdhsa_exception_fp_ieee_underflow 0
		.amdhsa_exception_fp_ieee_inexact 0
		.amdhsa_exception_int_div_zero 0
	.end_amdhsa_kernel
	.section	.text._ZN4vllm25paged_attention_v1_kernelI14__hip_bfloat16hLi96ELi32ELi128ELNS_18Fp8KVCacheDataTypeE1ELb1EEEvPT_PKS3_PKT0_S9_ifPKiSB_iPKfiiiSD_SD_iiiii,"axG",@progbits,_ZN4vllm25paged_attention_v1_kernelI14__hip_bfloat16hLi96ELi32ELi128ELNS_18Fp8KVCacheDataTypeE1ELb1EEEvPT_PKS3_PKT0_S9_ifPKiSB_iPKfiiiSD_SD_iiiii,comdat
.Lfunc_end313:
	.size	_ZN4vllm25paged_attention_v1_kernelI14__hip_bfloat16hLi96ELi32ELi128ELNS_18Fp8KVCacheDataTypeE1ELb1EEEvPT_PKS3_PKT0_S9_ifPKiSB_iPKfiiiSD_SD_iiiii, .Lfunc_end313-_ZN4vllm25paged_attention_v1_kernelI14__hip_bfloat16hLi96ELi32ELi128ELNS_18Fp8KVCacheDataTypeE1ELb1EEEvPT_PKS3_PKT0_S9_ifPKiSB_iPKfiiiSD_SD_iiiii
                                        ; -- End function
	.set _ZN4vllm25paged_attention_v1_kernelI14__hip_bfloat16hLi96ELi32ELi128ELNS_18Fp8KVCacheDataTypeE1ELb1EEEvPT_PKS3_PKT0_S9_ifPKiSB_iPKfiiiSD_SD_iiiii.num_vgpr, 64
	.set _ZN4vllm25paged_attention_v1_kernelI14__hip_bfloat16hLi96ELi32ELi128ELNS_18Fp8KVCacheDataTypeE1ELb1EEEvPT_PKS3_PKT0_S9_ifPKiSB_iPKfiiiSD_SD_iiiii.num_agpr, 0
	.set _ZN4vllm25paged_attention_v1_kernelI14__hip_bfloat16hLi96ELi32ELi128ELNS_18Fp8KVCacheDataTypeE1ELb1EEEvPT_PKS3_PKT0_S9_ifPKiSB_iPKfiiiSD_SD_iiiii.numbered_sgpr, 64
	.set _ZN4vllm25paged_attention_v1_kernelI14__hip_bfloat16hLi96ELi32ELi128ELNS_18Fp8KVCacheDataTypeE1ELb1EEEvPT_PKS3_PKT0_S9_ifPKiSB_iPKfiiiSD_SD_iiiii.num_named_barrier, 0
	.set _ZN4vllm25paged_attention_v1_kernelI14__hip_bfloat16hLi96ELi32ELi128ELNS_18Fp8KVCacheDataTypeE1ELb1EEEvPT_PKS3_PKT0_S9_ifPKiSB_iPKfiiiSD_SD_iiiii.private_seg_size, 284
	.set _ZN4vllm25paged_attention_v1_kernelI14__hip_bfloat16hLi96ELi32ELi128ELNS_18Fp8KVCacheDataTypeE1ELb1EEEvPT_PKS3_PKT0_S9_ifPKiSB_iPKfiiiSD_SD_iiiii.uses_vcc, 1
	.set _ZN4vllm25paged_attention_v1_kernelI14__hip_bfloat16hLi96ELi32ELi128ELNS_18Fp8KVCacheDataTypeE1ELb1EEEvPT_PKS3_PKT0_S9_ifPKiSB_iPKfiiiSD_SD_iiiii.uses_flat_scratch, 0
	.set _ZN4vllm25paged_attention_v1_kernelI14__hip_bfloat16hLi96ELi32ELi128ELNS_18Fp8KVCacheDataTypeE1ELb1EEEvPT_PKS3_PKT0_S9_ifPKiSB_iPKfiiiSD_SD_iiiii.has_dyn_sized_stack, 0
	.set _ZN4vllm25paged_attention_v1_kernelI14__hip_bfloat16hLi96ELi32ELi128ELNS_18Fp8KVCacheDataTypeE1ELb1EEEvPT_PKS3_PKT0_S9_ifPKiSB_iPKfiiiSD_SD_iiiii.has_recursion, 0
	.set _ZN4vllm25paged_attention_v1_kernelI14__hip_bfloat16hLi96ELi32ELi128ELNS_18Fp8KVCacheDataTypeE1ELb1EEEvPT_PKS3_PKT0_S9_ifPKiSB_iPKfiiiSD_SD_iiiii.has_indirect_call, 0
	.section	.AMDGPU.csdata,"",@progbits
; Kernel info:
; codeLenInByte = 33196
; TotalNumSgprs: 68
; NumVgprs: 64
; ScratchSize: 284
; MemoryBound: 0
; FloatMode: 240
; IeeeMode: 1
; LDSByteSize: 208 bytes/workgroup (compile time only)
; SGPRBlocks: 8
; VGPRBlocks: 15
; NumSGPRsForWavesPerEU: 68
; NumVGPRsForWavesPerEU: 64
; Occupancy: 4
; WaveLimiterHint : 1
; COMPUTE_PGM_RSRC2:SCRATCH_EN: 1
; COMPUTE_PGM_RSRC2:USER_SGPR: 6
; COMPUTE_PGM_RSRC2:TRAP_HANDLER: 0
; COMPUTE_PGM_RSRC2:TGID_X_EN: 1
; COMPUTE_PGM_RSRC2:TGID_Y_EN: 1
; COMPUTE_PGM_RSRC2:TGID_Z_EN: 1
; COMPUTE_PGM_RSRC2:TIDIG_COMP_CNT: 0
	.section	.text._ZN4vllm25paged_attention_v1_kernelI14__hip_bfloat16hLi112ELi32ELi128ELNS_18Fp8KVCacheDataTypeE1ELb1EEEvPT_PKS3_PKT0_S9_ifPKiSB_iPKfiiiSD_SD_iiiii,"axG",@progbits,_ZN4vllm25paged_attention_v1_kernelI14__hip_bfloat16hLi112ELi32ELi128ELNS_18Fp8KVCacheDataTypeE1ELb1EEEvPT_PKS3_PKT0_S9_ifPKiSB_iPKfiiiSD_SD_iiiii,comdat
	.protected	_ZN4vllm25paged_attention_v1_kernelI14__hip_bfloat16hLi112ELi32ELi128ELNS_18Fp8KVCacheDataTypeE1ELb1EEEvPT_PKS3_PKT0_S9_ifPKiSB_iPKfiiiSD_SD_iiiii ; -- Begin function _ZN4vllm25paged_attention_v1_kernelI14__hip_bfloat16hLi112ELi32ELi128ELNS_18Fp8KVCacheDataTypeE1ELb1EEEvPT_PKS3_PKT0_S9_ifPKiSB_iPKfiiiSD_SD_iiiii
	.globl	_ZN4vllm25paged_attention_v1_kernelI14__hip_bfloat16hLi112ELi32ELi128ELNS_18Fp8KVCacheDataTypeE1ELb1EEEvPT_PKS3_PKT0_S9_ifPKiSB_iPKfiiiSD_SD_iiiii
	.p2align	8
	.type	_ZN4vllm25paged_attention_v1_kernelI14__hip_bfloat16hLi112ELi32ELi128ELNS_18Fp8KVCacheDataTypeE1ELb1EEEvPT_PKS3_PKT0_S9_ifPKiSB_iPKfiiiSD_SD_iiiii,@function
_ZN4vllm25paged_attention_v1_kernelI14__hip_bfloat16hLi112ELi32ELi128ELNS_18Fp8KVCacheDataTypeE1ELb1EEEvPT_PKS3_PKT0_S9_ifPKiSB_iPKfiiiSD_SD_iiiii: ; @_ZN4vllm25paged_attention_v1_kernelI14__hip_bfloat16hLi112ELi32ELi128ELNS_18Fp8KVCacheDataTypeE1ELb1EEEvPT_PKS3_PKT0_S9_ifPKiSB_iPKfiiiSD_SD_iiiii
; %bb.0:
	s_mov_b64 s[62:63], s[2:3]
	s_mov_b64 s[60:61], s[0:1]
	s_add_u32 s60, s60, s9
	s_addc_u32 s61, s61, 0
	buffer_store_dword v0, off, s[60:63], 0 offset:260 ; 4-byte Folded Spill
	s_load_dword s9, s[4:5], 0x80
	s_load_dwordx2 s[0:1], s[4:5], 0x30
	s_load_dwordx2 s[36:37], s[4:5], 0x20
	s_mov_b32 s10, s7
	s_ashr_i32 s11, s7, 31
	s_lshl_b64 s[2:3], s[10:11], 2
	s_waitcnt lgkmcnt(0)
	s_add_u32 s0, s0, s2
	s_addc_u32 s1, s1, s3
	s_abs_i32 s2, s36
	v_cvt_f32_u32_e32 v0, s2
	s_sub_i32 s11, 0, s2
	s_abs_i32 s7, s9
	s_xor_b32 s3, s9, s36
	v_rcp_iflag_f32_e32 v0, v0
	s_ashr_i32 s3, s3, 31
	s_mov_b32 s48, 0
	v_mul_f32_e32 v0, 0x4f7ffffe, v0
	v_cvt_u32_f32_e32 v0, v0
	v_readfirstlane_b32 s12, v0
	s_mul_i32 s11, s11, s12
	s_mul_hi_u32 s11, s12, s11
	s_add_i32 s12, s12, s11
	s_mul_hi_u32 s11, s7, s12
	s_mul_i32 s12, s11, s2
	s_sub_i32 s7, s7, s12
	s_add_i32 s12, s11, 1
	s_sub_i32 s13, s7, s2
	s_cmp_ge_u32 s7, s2
	s_cselect_b32 s11, s12, s11
	s_cselect_b32 s7, s13, s7
	s_add_i32 s12, s11, 1
	s_cmp_ge_u32 s7, s2
	s_cselect_b32 s2, s12, s11
	s_xor_b32 s2, s2, s3
	s_sub_i32 s14, s2, s3
	s_abs_i32 s11, s14
	v_cvt_f32_u32_e32 v0, s11
	s_load_dwordx2 s[2:3], s[4:5], 0x40
	s_sub_i32 s7, 0, s11
	s_abs_i32 s12, s6
	v_rcp_iflag_f32_e32 v0, v0
	v_mul_f32_e32 v0, 0x4f7ffffe, v0
	v_cvt_u32_f32_e32 v0, v0
	v_readfirstlane_b32 s13, v0
	s_mul_i32 s7, s7, s13
	s_mul_hi_u32 s7, s13, s7
	s_add_i32 s13, s13, s7
	s_waitcnt lgkmcnt(0)
	s_cmp_eq_u64 s[2:3], 0
	s_mul_hi_u32 s13, s12, s13
	s_cbranch_scc1 .LBB314_2
; %bb.1:
	s_ashr_i32 s7, s6, 31
	s_lshl_b64 s[16:17], s[6:7], 2
	s_add_u32 s2, s2, s16
	s_addc_u32 s3, s3, s17
	s_load_dword s48, s[2:3], 0x0
.LBB314_2:
	buffer_load_dword v1, off, s[60:63], 0 offset:260 ; 4-byte Folded Reload
	s_load_dword s33, s[0:1], 0x0
	s_load_dwordx4 s[16:19], s[4:5], 0x48
	s_ashr_i32 s2, s6, 31
	s_ashr_i32 s7, s14, 31
	s_movk_i32 s3, 0x70
	s_mul_i32 s24, s6, 0x70
	s_waitcnt vmcnt(0)
	v_and_b32_e32 v0, 1, v1
	v_cmp_gt_u32_e32 vcc, 28, v1
	v_lshlrev_b32_e32 v12, 3, v1
	s_and_saveexec_b64 s[0:1], vcc
	s_cbranch_execz .LBB314_4
; %bb.3:
	s_load_dwordx2 s[14:15], s[4:5], 0x8
	s_waitcnt lgkmcnt(0)
	s_mul_i32 s20, s16, s10
	s_ashr_i32 s21, s20, 31
	s_lshl_b64 s[20:21], s[20:21], 1
	buffer_load_dword v3, off, s[60:63], 0 offset:260 ; 4-byte Folded Reload
	s_add_u32 s16, s14, s20
	s_addc_u32 s19, s15, s21
	s_ashr_i32 s25, s24, 31
	s_lshl_b64 s[14:15], s[24:25], 1
	s_add_u32 s14, s16, s14
	s_addc_u32 s15, s19, s15
	global_load_dwordx2 v[1:2], v12, s[14:15]
	s_waitcnt vmcnt(1)
	v_lshlrev_b32_e32 v3, 2, v3
	v_and_b32_e32 v3, 0xff8, v3
	v_mad_u32_u24 v3, v0, s3, v3
	s_waitcnt vmcnt(0)
	ds_write_b64 v3, v[1:2]
.LBB314_4:
	s_or_b64 exec, exec, s[0:1]
	s_mul_i32 s1, s13, s11
	s_sub_i32 s1, s12, s1
	s_xor_b32 s0, s2, s7
	s_add_i32 s2, s13, 1
	s_sub_i32 s7, s1, s11
	s_load_dwordx4 s[20:23], s[4:5], 0x68
	s_load_dword s3, s[4:5], 0x78
	s_cmp_ge_u32 s1, s11
	s_cselect_b32 s2, s2, s13
	s_cselect_b32 s1, s7, s1
	s_add_i32 s7, s2, 1
	s_cmp_ge_u32 s1, s11
	s_cselect_b32 s1, s7, s2
	s_waitcnt lgkmcnt(0)
	s_abs_i32 s25, s23
	v_cvt_f32_u32_e32 v1, s25
	s_xor_b32 s1, s1, s0
	s_sub_i32 s2, s1, s0
	s_sub_i32 s0, 0, s25
	v_rcp_iflag_f32_e32 v1, v1
	s_add_i32 s11, s33, -1
	s_abs_i32 s7, s11
	v_mul_f32_e32 v1, 0x4f7ffffe, v1
	v_cvt_u32_f32_e32 v1, v1
	s_barrier
	v_readfirstlane_b32 s46, v1
	s_mul_i32 s0, s0, s46
	s_mul_hi_u32 s0, s46, s0
	s_add_i32 s46, s46, s0
	s_cmp_lt_i32 s3, 0
	s_mul_hi_u32 s16, s7, s46
	s_cbranch_scc0 .LBB314_6
; %bb.5:
	s_mul_i32 s0, s20, s36
	s_add_i32 s0, s2, s0
	s_mul_i32 s0, s0, s3
	s_sub_i32 s36, 1, s0
	s_mov_b64 s[0:1], 0
	s_branch .LBB314_7
.LBB314_6:
	s_mov_b64 s[0:1], -1
                                        ; implicit-def: $sgpr36
.LBB314_7:
	s_load_dwordx2 s[28:29], s[4:5], 0x28
	s_ashr_i32 s19, s11, 31
	s_andn2_b64 vcc, exec, s[0:1]
	s_ashr_i32 s23, s23, 31
	s_cbranch_vccnz .LBB314_9
; %bb.8:
	s_mul_i32 s0, s9, s20
	s_add_i32 s0, s0, s6
	s_mul_i32 s0, s0, s3
	s_add_i32 s36, s0, 1
.LBB314_9:
	s_load_dword s0, s[4:5], 0x38
	s_load_dwordx2 s[26:27], s[4:5], 0x0
	s_load_dwordx2 s[34:35], s[4:5], 0x18
	s_load_dword s11, s[4:5], 0x88
	s_load_dwordx4 s[12:15], s[4:5], 0x58
	buffer_load_dword v1, off, s[60:63], 0 offset:260 ; 4-byte Folded Reload
	s_mul_i32 s1, s16, s25
	s_waitcnt lgkmcnt(0)
	s_mul_i32 s30, s0, s10
	s_sub_i32 s1, s7, s1
	s_ashr_i32 s31, s30, 31
	s_xor_b32 s0, s19, s23
	s_add_i32 s3, s16, 1
	s_sub_i32 s6, s1, s25
	s_cmp_ge_u32 s1, s25
	s_cselect_b32 s3, s3, s16
	s_cselect_b32 s1, s6, s1
	s_add_i32 s6, s3, 1
	s_cmp_ge_u32 s1, s25
	s_cselect_b32 s1, s6, s3
	s_xor_b32 s1, s1, s0
	s_sub_i32 s16, s1, s0
	s_add_i32 s0, s33, 31
	s_ashr_i32 s1, s0, 31
	s_lshr_b32 s1, s1, 27
	s_add_i32 s0, s0, s1
	s_ashr_i32 s47, s0, 5
	v_mov_b32_e32 v3, 0xff7fffff
	s_mul_i32 s20, s2, s18
	v_mbcnt_lo_u32_b32 v5, -1, 0
	s_waitcnt vmcnt(0)
	v_lshrrev_b32_e32 v2, 6, v1
	v_cmp_gt_i32_e64 s[0:1], s47, v2
	v_lshrrev_b32_e32 v13, 4, v1
	v_lshlrev_b32_e32 v1, 5, v2
	buffer_store_dword v2, off, s[60:63], 0 ; 4-byte Folded Spill
	buffer_store_dword v1, off, s[60:63], 0 offset:4 ; 4-byte Folded Spill
	s_and_saveexec_b64 s[18:19], s[0:1]
	s_cbranch_execz .LBB314_357
; %bb.10:
	buffer_load_dword v2, off, s[60:63], 0 offset:260 ; 4-byte Folded Reload
	s_load_dwordx2 s[2:3], s[4:5], 0x10
	s_sub_i32 s49, s16, s21
	s_ashr_i32 s4, s20, 31
	v_cmp_eq_u32_e32 vcc, 0, v0
	v_mul_u32_u24_e32 v8, 0x70, v0
	s_waitcnt lgkmcnt(0)
	s_add_u32 s5, s2, s20
	s_addc_u32 s4, s3, s4
	s_abs_i32 s50, s22
	v_cvt_f32_u32_e32 v1, s50
	s_sub_i32 s2, 0, s50
	v_mov_b32_e32 v4, s4
	buffer_store_dword v12, off, s[60:63], 0 offset:292 ; 4-byte Folded Spill
	v_rcp_iflag_f32_e32 v1, v1
	s_mov_b32 s51, s17
	s_mov_b64 s[38:39], 0
	s_movk_i32 s52, 0x80
	v_mul_f32_e32 v1, 0x4f7ffffe, v1
	v_cvt_u32_f32_e32 v1, v1
	s_movk_i32 s53, 0x7f
	s_mov_b32 s54, 0xffffff
	s_movk_i32 s55, 0x7fff
	s_waitcnt vmcnt(1)
	v_bfe_u32 v6, v2, 1, 5
	v_lshlrev_b32_e32 v2, 2, v0
	v_mul_lo_u32 v0, s2, v1
	v_lshlrev_b32_e32 v3, 4, v6
	v_add_co_u32_e64 v3, s[4:5], s5, v3
	v_mul_hi_u32 v0, v1, v0
	v_addc_co_u32_e64 v4, s[4:5], 0, v4, s[4:5]
	v_cmp_neq_f32_e64 s[2:3], s48, 0
	v_add_u32_e32 v0, v1, v0
	buffer_store_dword v0, off, s[60:63], 0 offset:60 ; 4-byte Folded Spill
	v_add_co_u32_e64 v0, s[4:5], v3, v2
	v_addc_co_u32_e64 v1, s[4:5], 0, v4, s[4:5]
	buffer_store_dword v0, off, s[60:63], 0 offset:272 ; 4-byte Folded Spill
	s_nop 0
	buffer_store_dword v1, off, s[60:63], 0 offset:276 ; 4-byte Folded Spill
	buffer_store_dword v13, off, s[60:63], 0 offset:296 ; 4-byte Folded Spill
	buffer_load_dword v9, off, s[60:63], 0  ; 4-byte Folded Reload
	s_lshl_b64 s[4:5], s[30:31], 2
	s_add_u32 s4, s28, s4
	v_and_b32_e32 v0, 60, v13
	s_addc_u32 s5, s29, s5
	v_mov_b32_e32 v1, s5
	v_add_co_u32_e64 v27, s[4:5], s4, v0
	v_subrev_u32_e32 v0, s33, v6
	v_add_u32_e32 v0, 1, v0
	buffer_store_dword v0, off, s[60:63], 0 offset:288 ; 4-byte Folded Spill
	buffer_store_dword v6, off, s[60:63], 0 offset:284 ; 4-byte Folded Spill
	v_lshlrev_b32_e32 v0, 2, v6
	v_addc_co_u32_e64 v28, s[4:5], 0, v1, s[4:5]
	s_waitcnt vmcnt(2)
	v_lshl_or_b32 v0, v9, 7, v0
	v_add_u32_e32 v0, 0xf0, v0
	buffer_store_dword v0, off, s[60:63], 0 offset:8 ; 4-byte Folded Spill
	v_mbcnt_hi_u32_b32 v0, -1, v5
	v_lshlrev_b32_e32 v42, 5, v9
	buffer_store_dword v0, off, s[60:63], 0 offset:280 ; 4-byte Folded Spill
	v_mov_b32_e32 v0, 0xff7fffff
	buffer_store_dword v0, off, s[60:63], 0 offset:264 ; 4-byte Folded Spill
	buffer_store_dword v8, off, s[60:63], 0 offset:268 ; 4-byte Folded Spill
	s_branch .LBB314_13
.LBB314_11:                             ;   in Loop: Header=BB314_13 Depth=1
	s_or_b64 exec, exec, s[6:7]
.LBB314_12:                             ;   in Loop: Header=BB314_13 Depth=1
	s_or_b64 exec, exec, s[40:41]
	buffer_load_dword v0, off, s[60:63], 0 offset:8 ; 4-byte Folded Reload
	v_add_co_u32_e64 v27, s[4:5], 8, v27
	v_add_u32_e32 v9, 2, v9
	v_addc_co_u32_e64 v28, s[4:5], 0, v28, s[4:5]
	v_cmp_le_i32_e64 s[4:5], s47, v9
	v_add_u32_e32 v42, 64, v42
	s_or_b64 s[38:39], s[4:5], s[38:39]
	s_waitcnt vmcnt(0)
	v_add_u32_e32 v0, 0x100, v0
	buffer_store_dword v0, off, s[60:63], 0 offset:8 ; 4-byte Folded Spill
	s_andn2_b64 exec, exec, s[38:39]
	s_cbranch_execz .LBB314_356
.LBB314_13:                             ; =>This Inner Loop Header: Depth=1
	buffer_load_dword v3, off, s[60:63], 0 offset:60 ; 4-byte Folded Reload
	v_mul_hi_u32 v0, v42, s46
	s_waitcnt lgkmcnt(0)
	v_mul_lo_u32 v1, v0, s25
	v_add_u32_e32 v2, 1, v0
	v_sub_u32_e32 v1, v42, v1
	v_cmp_le_u32_e64 s[4:5], s25, v1
	v_cndmask_b32_e64 v0, v0, v2, s[4:5]
	v_subrev_u32_e32 v2, s25, v1
	v_cndmask_b32_e64 v1, v1, v2, s[4:5]
	v_add_u32_e32 v2, 1, v0
	v_cmp_le_u32_e64 s[4:5], s25, v1
	v_cndmask_b32_e64 v0, v0, v2, s[4:5]
	v_xor_b32_e32 v0, s23, v0
	v_subrev_u32_e32 v0, s23, v0
	v_add_u32_e32 v1, s36, v0
	v_sub_u32_e32 v2, 0, v1
	v_max_i32_e32 v2, v1, v2
	v_ashrrev_i32_e32 v1, 31, v1
	v_cmp_ge_i32_e64 s[6:7], s49, v0
	s_waitcnt vmcnt(0)
	v_mul_hi_u32 v3, v2, v3
	v_mul_lo_u32 v3, v3, s50
	v_sub_u32_e32 v2, v2, v3
	v_subrev_u32_e32 v3, s50, v2
	v_cmp_le_u32_e64 s[4:5], s50, v2
	v_cndmask_b32_e64 v2, v2, v3, s[4:5]
	v_subrev_u32_e32 v3, s50, v2
	v_cmp_le_u32_e64 s[4:5], s50, v2
	v_cndmask_b32_e64 v2, v2, v3, s[4:5]
	v_xor_b32_e32 v2, v2, v1
	v_sub_u32_e32 v1, v2, v1
	v_cmp_ne_u32_e64 s[4:5], 0, v1
	s_and_b64 s[4:5], s[4:5], s[6:7]
	s_and_saveexec_b64 s[6:7], s[4:5]
	s_xor_b64 s[4:5], exec, s[6:7]
	s_cbranch_execz .LBB314_17
; %bb.14:                               ;   in Loop: Header=BB314_13 Depth=1
	s_and_saveexec_b64 s[6:7], vcc
	s_cbranch_execz .LBB314_16
; %bb.15:                               ;   in Loop: Header=BB314_13 Depth=1
	buffer_load_dword v1, off, s[60:63], 0 offset:8 ; 4-byte Folded Reload
	v_mov_b32_e32 v0, 0xff7fffff
	s_waitcnt vmcnt(0)
	ds_write_b32 v1, v0
.LBB314_16:                             ;   in Loop: Header=BB314_13 Depth=1
	s_or_b64 exec, exec, s[6:7]
.LBB314_17:                             ;   in Loop: Header=BB314_13 Depth=1
	s_andn2_saveexec_b64 s[40:41], s[4:5]
	s_cbranch_execz .LBB314_12
; %bb.18:                               ;   in Loop: Header=BB314_13 Depth=1
	global_load_dword v0, v[27:28], off
	buffer_load_dword v1, off, s[60:63], 0 offset:272 ; 4-byte Folded Reload
	buffer_load_dword v2, off, s[60:63], 0 offset:276 ; 4-byte Folded Reload
	v_mov_b32_e32 v7, 0
	v_mov_b32_e32 v37, 0
	s_waitcnt vmcnt(0)
	v_mad_i64_i32 v[29:30], s[4:5], v0, s51, v[1:2]
	global_load_dword v31, v[29:30], off
	ds_read_b128 v[51:54], v8
	ds_read_b128 v[47:50], v8 offset:16
	ds_read_b32 v0, v8 offset:96
	s_load_dword s56, s[12:13], 0x0
	s_waitcnt lgkmcnt(0)
	buffer_store_dword v0, off, s[60:63], 0 offset:64 ; 4-byte Folded Spill
	ds_read_u16 v0, v8 offset:100
	s_waitcnt lgkmcnt(0)
	buffer_store_dword v0, off, s[60:63], 0 offset:68 ; 4-byte Folded Spill
	ds_read_b128 v[1:4], v8 offset:32
	ds_read_b128 v[10:13], v8 offset:48
	v_mov_b32_e32 v0, 0
	s_waitcnt lgkmcnt(0)
	buffer_store_dword v10, off, s[60:63], 0 offset:104 ; 4-byte Folded Spill
	s_nop 0
	buffer_store_dword v11, off, s[60:63], 0 offset:108 ; 4-byte Folded Spill
	buffer_store_dword v12, off, s[60:63], 0 offset:112 ; 4-byte Folded Spill
	;; [unrolled: 1-line block ×3, first 2 shown]
	ds_read_b128 v[21:24], v8 offset:64
	s_waitcnt lgkmcnt(0)
	buffer_store_dword v21, off, s[60:63], 0 offset:88 ; 4-byte Folded Spill
	s_nop 0
	buffer_store_dword v22, off, s[60:63], 0 offset:92 ; 4-byte Folded Spill
	buffer_store_dword v23, off, s[60:63], 0 offset:96 ; 4-byte Folded Spill
	;; [unrolled: 1-line block ×3, first 2 shown]
	ds_read_b128 v[21:24], v8 offset:80
	s_waitcnt lgkmcnt(0)
	buffer_store_dword v21, off, s[60:63], 0 offset:72 ; 4-byte Folded Spill
	s_nop 0
	buffer_store_dword v22, off, s[60:63], 0 offset:76 ; 4-byte Folded Spill
	buffer_store_dword v23, off, s[60:63], 0 offset:80 ; 4-byte Folded Spill
	buffer_store_dword v24, off, s[60:63], 0 offset:84 ; 4-byte Folded Spill
	s_waitcnt vmcnt(14)
	v_cmp_ne_u16_sdwa s[4:5], v31, v0 src0_sel:BYTE_0 src1_sel:DWORD
	s_and_saveexec_b64 s[6:7], s[4:5]
	s_cbranch_execz .LBB314_24
; %bb.19:                               ;   in Loop: Header=BB314_13 Depth=1
	v_cmp_ne_u16_sdwa s[4:5], v31, s52 src0_sel:BYTE_0 src1_sel:DWORD
	v_bfrev_b32_e32 v37, 1
	s_and_saveexec_b64 s[42:43], s[4:5]
	s_cbranch_execz .LBB314_23
; %bb.20:                               ;   in Loop: Header=BB314_13 Depth=1
	v_and_b32_e32 v0, 0x7f, v31
	v_cmp_ne_u32_e64 s[4:5], s53, v0
	v_mov_b32_e32 v37, 0x7f800001
	s_and_saveexec_b64 s[44:45], s[4:5]
	s_cbranch_execz .LBB314_22
; %bb.21:                               ;   in Loop: Header=BB314_13 Depth=1
	v_and_b32_e32 v32, 7, v31
	v_ffbh_u32_e32 v25, v32
	v_min_u32_e32 v34, 32, v25
	v_subrev_u32_e32 v25, 28, v34
	v_lshlrev_b64 v[25:26], v25, v[31:32]
	v_lshrrev_b32_e32 v33, 3, v0
	v_sub_u32_e32 v26, 29, v34
	v_and_b32_e32 v25, 7, v25
	v_cmp_gt_u32_e64 s[4:5], 8, v0
	v_cndmask_b32_e64 v0, v33, v26, s[4:5]
	v_cndmask_b32_e64 v25, v32, v25, s[4:5]
	v_lshlrev_b32_e32 v26, 24, v31
	v_bfrev_b32_e32 v5, 60
	v_lshlrev_b32_e32 v25, 20, v25
	v_and_b32_e32 v26, 0x80000000, v26
	v_lshl_add_u32 v0, v0, 23, v5
	v_or3_b32 v37, v26, v0, v25
.LBB314_22:                             ;   in Loop: Header=BB314_13 Depth=1
	s_or_b64 exec, exec, s[44:45]
.LBB314_23:                             ;   in Loop: Header=BB314_13 Depth=1
	s_or_b64 exec, exec, s[42:43]
.LBB314_24:                             ;   in Loop: Header=BB314_13 Depth=1
	s_or_b64 exec, exec, s[6:7]
	v_lshrrev_b16_e32 v32, 8, v31
	v_cmp_ne_u16_e64 s[4:5], 0, v32
	s_and_saveexec_b64 s[6:7], s[4:5]
	s_cbranch_execz .LBB314_30
; %bb.25:                               ;   in Loop: Header=BB314_13 Depth=1
	v_cmp_ne_u16_e64 s[4:5], s52, v32
	v_bfrev_b32_e32 v7, 1
	s_and_saveexec_b64 s[42:43], s[4:5]
	s_cbranch_execz .LBB314_29
; %bb.26:                               ;   in Loop: Header=BB314_13 Depth=1
	v_and_b32_e32 v0, 0x7f, v32
	v_cmp_ne_u32_e64 s[4:5], s53, v0
	v_mov_b32_e32 v7, 0x7f800001
	s_and_saveexec_b64 s[44:45], s[4:5]
	s_cbranch_execz .LBB314_28
; %bb.27:                               ;   in Loop: Header=BB314_13 Depth=1
	v_and_b32_e32 v33, 7, v32
	v_ffbh_u32_e32 v25, v33
	v_min_u32_e32 v35, 32, v25
	v_subrev_u32_e32 v25, 28, v35
	v_lshlrev_b64 v[25:26], v25, v[32:33]
	v_lshrrev_b32_e32 v34, 3, v0
	v_sub_u32_e32 v26, 29, v35
	v_and_b32_e32 v25, 7, v25
	v_cmp_gt_u32_e64 s[4:5], 8, v0
	v_cndmask_b32_e64 v0, v34, v26, s[4:5]
	v_cndmask_b32_e64 v25, v33, v25, s[4:5]
	v_lshlrev_b32_e32 v26, 16, v31
	v_bfrev_b32_e32 v5, 60
	v_lshlrev_b32_e32 v25, 20, v25
	v_and_b32_e32 v26, 0x80000000, v26
	v_lshl_add_u32 v0, v0, 23, v5
	v_or3_b32 v7, v26, v0, v25
.LBB314_28:                             ;   in Loop: Header=BB314_13 Depth=1
	s_or_b64 exec, exec, s[44:45]
.LBB314_29:                             ;   in Loop: Header=BB314_13 Depth=1
	s_or_b64 exec, exec, s[42:43]
.LBB314_30:                             ;   in Loop: Header=BB314_13 Depth=1
	s_or_b64 exec, exec, s[6:7]
	v_lshrrev_b32_e32 v32, 16, v31
	v_mov_b32_e32 v0, 0
	v_cmp_ne_u16_sdwa s[4:5], v32, v0 src0_sel:BYTE_0 src1_sel:DWORD
	v_mov_b32_e32 v21, 0
	v_mov_b32_e32 v12, 0
	s_and_saveexec_b64 s[6:7], s[4:5]
	s_cbranch_execz .LBB314_36
; %bb.31:                               ;   in Loop: Header=BB314_13 Depth=1
	v_cmp_ne_u16_sdwa s[4:5], v32, s52 src0_sel:BYTE_0 src1_sel:DWORD
	v_bfrev_b32_e32 v12, 1
	s_and_saveexec_b64 s[42:43], s[4:5]
	s_cbranch_execz .LBB314_35
; %bb.32:                               ;   in Loop: Header=BB314_13 Depth=1
	v_bfe_u32 v0, v31, 16, 7
	v_cmp_ne_u32_e64 s[4:5], s53, v0
	v_mov_b32_e32 v12, 0x7f800001
	s_and_saveexec_b64 s[44:45], s[4:5]
	s_cbranch_execz .LBB314_34
; %bb.33:                               ;   in Loop: Header=BB314_13 Depth=1
	v_and_b32_e32 v33, 7, v32
	v_ffbh_u32_e32 v25, v33
	v_min_u32_e32 v35, 32, v25
	v_subrev_u32_e32 v25, 28, v35
	v_lshlrev_b64 v[25:26], v25, v[32:33]
	v_lshrrev_b32_e32 v34, 3, v0
	v_sub_u32_e32 v26, 29, v35
	v_and_b32_e32 v25, 7, v25
	v_cmp_gt_u32_e64 s[4:5], 8, v0
	v_cndmask_b32_e64 v0, v34, v26, s[4:5]
	v_cndmask_b32_e64 v25, v33, v25, s[4:5]
	v_lshlrev_b32_e32 v26, 24, v32
	v_bfrev_b32_e32 v5, 60
	v_lshlrev_b32_e32 v25, 20, v25
	v_and_b32_e32 v26, 0x80000000, v26
	v_lshl_add_u32 v0, v0, 23, v5
	v_or3_b32 v12, v26, v0, v25
.LBB314_34:                             ;   in Loop: Header=BB314_13 Depth=1
	s_or_b64 exec, exec, s[44:45]
.LBB314_35:                             ;   in Loop: Header=BB314_13 Depth=1
	s_or_b64 exec, exec, s[42:43]
.LBB314_36:                             ;   in Loop: Header=BB314_13 Depth=1
	s_or_b64 exec, exec, s[6:7]
	v_cmp_lt_u32_e64 s[4:5], s54, v31
	s_and_saveexec_b64 s[6:7], s[4:5]
	s_cbranch_execz .LBB314_42
; %bb.37:                               ;   in Loop: Header=BB314_13 Depth=1
	v_lshrrev_b32_e32 v32, 24, v31
	v_cmp_ne_u32_e64 s[4:5], s52, v32
	v_bfrev_b32_e32 v21, 1
	s_and_saveexec_b64 s[42:43], s[4:5]
	s_cbranch_execz .LBB314_41
; %bb.38:                               ;   in Loop: Header=BB314_13 Depth=1
	v_bfe_u32 v0, v31, 24, 7
	v_cmp_ne_u32_e64 s[4:5], s53, v0
	v_mov_b32_e32 v21, 0x7f800001
	s_and_saveexec_b64 s[44:45], s[4:5]
	s_cbranch_execz .LBB314_40
; %bb.39:                               ;   in Loop: Header=BB314_13 Depth=1
	v_and_b32_e32 v31, 7, v32
	v_ffbh_u32_e32 v25, v31
	v_min_u32_e32 v34, 32, v25
	v_lshrrev_b32_e32 v33, 3, v0
	v_subrev_u32_e32 v25, 28, v34
	v_lshlrev_b64 v[25:26], v25, v[32:33]
	v_sub_u32_e32 v26, 29, v34
	v_and_b32_e32 v25, 7, v25
	v_cmp_gt_u32_e64 s[4:5], 8, v0
	v_cndmask_b32_e64 v0, v33, v26, s[4:5]
	v_cndmask_b32_e64 v25, v31, v25, s[4:5]
	v_lshlrev_b32_e32 v26, 24, v32
	v_bfrev_b32_e32 v5, 60
	v_lshlrev_b32_e32 v25, 20, v25
	v_and_b32_e32 v26, 0x80000000, v26
	v_lshl_add_u32 v0, v0, 23, v5
	v_or3_b32 v21, v26, v0, v25
.LBB314_40:                             ;   in Loop: Header=BB314_13 Depth=1
	s_or_b64 exec, exec, s[44:45]
.LBB314_41:                             ;   in Loop: Header=BB314_13 Depth=1
	s_or_b64 exec, exec, s[42:43]
.LBB314_42:                             ;   in Loop: Header=BB314_13 Depth=1
	s_or_b64 exec, exec, s[6:7]
	global_load_dword v31, v[29:30], off offset:8
	v_mov_b32_e32 v0, 0
	v_mov_b32_e32 v13, 0
	;; [unrolled: 1-line block ×3, first 2 shown]
	s_waitcnt vmcnt(0)
	v_cmp_ne_u16_sdwa s[4:5], v31, v0 src0_sel:BYTE_0 src1_sel:DWORD
	s_and_saveexec_b64 s[6:7], s[4:5]
	s_cbranch_execz .LBB314_48
; %bb.43:                               ;   in Loop: Header=BB314_13 Depth=1
	v_cmp_ne_u16_sdwa s[4:5], v31, s52 src0_sel:BYTE_0 src1_sel:DWORD
	v_bfrev_b32_e32 v14, 1
	s_and_saveexec_b64 s[42:43], s[4:5]
	s_cbranch_execz .LBB314_47
; %bb.44:                               ;   in Loop: Header=BB314_13 Depth=1
	v_and_b32_e32 v0, 0x7f, v31
	v_cmp_ne_u32_e64 s[4:5], s53, v0
	v_mov_b32_e32 v14, 0x7f800001
	s_and_saveexec_b64 s[44:45], s[4:5]
	s_cbranch_execz .LBB314_46
; %bb.45:                               ;   in Loop: Header=BB314_13 Depth=1
	v_and_b32_e32 v32, 7, v31
	v_ffbh_u32_e32 v25, v32
	v_min_u32_e32 v34, 32, v25
	v_subrev_u32_e32 v25, 28, v34
	v_lshlrev_b64 v[25:26], v25, v[31:32]
	v_lshrrev_b32_e32 v33, 3, v0
	v_sub_u32_e32 v26, 29, v34
	v_and_b32_e32 v25, 7, v25
	v_cmp_gt_u32_e64 s[4:5], 8, v0
	v_cndmask_b32_e64 v0, v33, v26, s[4:5]
	v_cndmask_b32_e64 v25, v32, v25, s[4:5]
	v_lshlrev_b32_e32 v26, 24, v31
	v_bfrev_b32_e32 v5, 60
	v_lshlrev_b32_e32 v25, 20, v25
	v_and_b32_e32 v26, 0x80000000, v26
	v_lshl_add_u32 v0, v0, 23, v5
	v_or3_b32 v14, v26, v0, v25
.LBB314_46:                             ;   in Loop: Header=BB314_13 Depth=1
	s_or_b64 exec, exec, s[44:45]
.LBB314_47:                             ;   in Loop: Header=BB314_13 Depth=1
	s_or_b64 exec, exec, s[42:43]
.LBB314_48:                             ;   in Loop: Header=BB314_13 Depth=1
	s_or_b64 exec, exec, s[6:7]
	v_lshrrev_b16_e32 v32, 8, v31
	v_cmp_ne_u16_e64 s[4:5], 0, v32
	s_and_saveexec_b64 s[6:7], s[4:5]
	s_cbranch_execz .LBB314_54
; %bb.49:                               ;   in Loop: Header=BB314_13 Depth=1
	v_cmp_ne_u16_e64 s[4:5], s52, v32
	v_bfrev_b32_e32 v13, 1
	s_and_saveexec_b64 s[42:43], s[4:5]
	s_cbranch_execz .LBB314_53
; %bb.50:                               ;   in Loop: Header=BB314_13 Depth=1
	v_and_b32_e32 v0, 0x7f, v32
	v_cmp_ne_u32_e64 s[4:5], s53, v0
	v_mov_b32_e32 v13, 0x7f800001
	s_and_saveexec_b64 s[44:45], s[4:5]
	s_cbranch_execz .LBB314_52
; %bb.51:                               ;   in Loop: Header=BB314_13 Depth=1
	v_and_b32_e32 v33, 7, v32
	v_ffbh_u32_e32 v25, v33
	v_min_u32_e32 v35, 32, v25
	v_subrev_u32_e32 v25, 28, v35
	v_lshlrev_b64 v[25:26], v25, v[32:33]
	v_lshrrev_b32_e32 v34, 3, v0
	v_sub_u32_e32 v26, 29, v35
	v_and_b32_e32 v25, 7, v25
	v_cmp_gt_u32_e64 s[4:5], 8, v0
	v_cndmask_b32_e64 v0, v34, v26, s[4:5]
	v_cndmask_b32_e64 v25, v33, v25, s[4:5]
	v_lshlrev_b32_e32 v26, 16, v31
	v_bfrev_b32_e32 v5, 60
	v_lshlrev_b32_e32 v25, 20, v25
	v_and_b32_e32 v26, 0x80000000, v26
	v_lshl_add_u32 v0, v0, 23, v5
	v_or3_b32 v13, v26, v0, v25
.LBB314_52:                             ;   in Loop: Header=BB314_13 Depth=1
	s_or_b64 exec, exec, s[44:45]
.LBB314_53:                             ;   in Loop: Header=BB314_13 Depth=1
	s_or_b64 exec, exec, s[42:43]
.LBB314_54:                             ;   in Loop: Header=BB314_13 Depth=1
	s_or_b64 exec, exec, s[6:7]
	v_lshrrev_b32_e32 v32, 16, v31
	v_mov_b32_e32 v0, 0
	v_cmp_ne_u16_sdwa s[4:5], v32, v0 src0_sel:BYTE_0 src1_sel:DWORD
	v_mov_b32_e32 v15, 0
	v_mov_b32_e32 v16, 0
	s_and_saveexec_b64 s[6:7], s[4:5]
	s_cbranch_execz .LBB314_60
; %bb.55:                               ;   in Loop: Header=BB314_13 Depth=1
	v_cmp_ne_u16_sdwa s[4:5], v32, s52 src0_sel:BYTE_0 src1_sel:DWORD
	v_bfrev_b32_e32 v16, 1
	s_and_saveexec_b64 s[42:43], s[4:5]
	s_cbranch_execz .LBB314_59
; %bb.56:                               ;   in Loop: Header=BB314_13 Depth=1
	v_bfe_u32 v0, v31, 16, 7
	v_cmp_ne_u32_e64 s[4:5], s53, v0
	v_mov_b32_e32 v16, 0x7f800001
	s_and_saveexec_b64 s[44:45], s[4:5]
	s_cbranch_execz .LBB314_58
; %bb.57:                               ;   in Loop: Header=BB314_13 Depth=1
	v_and_b32_e32 v33, 7, v32
	v_lshrrev_b32_e32 v34, 3, v0
	v_cmp_gt_u32_e64 s[4:5], 8, v0
	v_ffbh_u32_e32 v0, v33
	v_min_u32_e32 v0, 32, v0
	v_subrev_u32_e32 v25, 28, v0
	v_lshlrev_b64 v[25:26], v25, v[32:33]
	v_sub_u32_e32 v0, 29, v0
	v_and_b32_e32 v25, 7, v25
	v_cndmask_b32_e64 v0, v34, v0, s[4:5]
	v_cndmask_b32_e64 v25, v33, v25, s[4:5]
	v_lshlrev_b32_e32 v26, 24, v32
	v_bfrev_b32_e32 v5, 60
	v_lshlrev_b32_e32 v25, 20, v25
	v_and_b32_e32 v26, 0x80000000, v26
	v_lshl_add_u32 v0, v0, 23, v5
	v_or3_b32 v16, v26, v0, v25
.LBB314_58:                             ;   in Loop: Header=BB314_13 Depth=1
	s_or_b64 exec, exec, s[44:45]
.LBB314_59:                             ;   in Loop: Header=BB314_13 Depth=1
	s_or_b64 exec, exec, s[42:43]
.LBB314_60:                             ;   in Loop: Header=BB314_13 Depth=1
	s_or_b64 exec, exec, s[6:7]
	v_cmp_lt_u32_e64 s[4:5], s54, v31
	s_and_saveexec_b64 s[6:7], s[4:5]
	s_cbranch_execz .LBB314_66
; %bb.61:                               ;   in Loop: Header=BB314_13 Depth=1
	v_lshrrev_b32_e32 v32, 24, v31
	v_cmp_ne_u32_e64 s[4:5], s52, v32
	v_bfrev_b32_e32 v15, 1
	s_and_saveexec_b64 s[42:43], s[4:5]
	s_cbranch_execz .LBB314_65
; %bb.62:                               ;   in Loop: Header=BB314_13 Depth=1
	v_bfe_u32 v0, v31, 24, 7
	v_cmp_ne_u32_e64 s[4:5], s53, v0
	v_mov_b32_e32 v15, 0x7f800001
	s_and_saveexec_b64 s[44:45], s[4:5]
	s_cbranch_execz .LBB314_64
; %bb.63:                               ;   in Loop: Header=BB314_13 Depth=1
	v_and_b32_e32 v31, 7, v32
	v_lshrrev_b32_e32 v33, 3, v0
	v_cmp_gt_u32_e64 s[4:5], 8, v0
	v_ffbh_u32_e32 v0, v31
	v_min_u32_e32 v0, 32, v0
	v_subrev_u32_e32 v25, 28, v0
	v_lshlrev_b64 v[25:26], v25, v[32:33]
	v_sub_u32_e32 v0, 29, v0
	v_and_b32_e32 v25, 7, v25
	v_cndmask_b32_e64 v0, v33, v0, s[4:5]
	v_cndmask_b32_e64 v25, v31, v25, s[4:5]
	v_lshlrev_b32_e32 v26, 24, v32
	v_bfrev_b32_e32 v5, 60
	v_lshlrev_b32_e32 v25, 20, v25
	v_and_b32_e32 v26, 0x80000000, v26
	v_lshl_add_u32 v0, v0, 23, v5
	v_or3_b32 v15, v26, v0, v25
.LBB314_64:                             ;   in Loop: Header=BB314_13 Depth=1
	s_or_b64 exec, exec, s[44:45]
.LBB314_65:                             ;   in Loop: Header=BB314_13 Depth=1
	s_or_b64 exec, exec, s[42:43]
.LBB314_66:                             ;   in Loop: Header=BB314_13 Depth=1
	s_or_b64 exec, exec, s[6:7]
	global_load_dword v31, v[29:30], off offset:512
	v_mov_b32_e32 v0, 0
	v_mov_b32_e32 v17, 0
	;; [unrolled: 1-line block ×3, first 2 shown]
	s_waitcnt vmcnt(0)
	v_cmp_ne_u16_sdwa s[4:5], v31, v0 src0_sel:BYTE_0 src1_sel:DWORD
	s_and_saveexec_b64 s[6:7], s[4:5]
	s_cbranch_execz .LBB314_72
; %bb.67:                               ;   in Loop: Header=BB314_13 Depth=1
	v_cmp_ne_u16_sdwa s[4:5], v31, s52 src0_sel:BYTE_0 src1_sel:DWORD
	v_bfrev_b32_e32 v18, 1
	s_and_saveexec_b64 s[42:43], s[4:5]
	s_cbranch_execz .LBB314_71
; %bb.68:                               ;   in Loop: Header=BB314_13 Depth=1
	v_and_b32_e32 v0, 0x7f, v31
	v_cmp_ne_u32_e64 s[4:5], s53, v0
	v_mov_b32_e32 v18, 0x7f800001
	s_and_saveexec_b64 s[44:45], s[4:5]
	s_cbranch_execz .LBB314_70
; %bb.69:                               ;   in Loop: Header=BB314_13 Depth=1
	v_and_b32_e32 v32, 7, v31
	v_lshrrev_b32_e32 v33, 3, v0
	v_cmp_gt_u32_e64 s[4:5], 8, v0
	v_ffbh_u32_e32 v0, v32
	v_min_u32_e32 v0, 32, v0
	v_subrev_u32_e32 v25, 28, v0
	v_lshlrev_b64 v[25:26], v25, v[31:32]
	v_sub_u32_e32 v0, 29, v0
	v_and_b32_e32 v25, 7, v25
	v_cndmask_b32_e64 v0, v33, v0, s[4:5]
	v_cndmask_b32_e64 v25, v32, v25, s[4:5]
	v_lshlrev_b32_e32 v26, 24, v31
	v_bfrev_b32_e32 v5, 60
	v_lshlrev_b32_e32 v25, 20, v25
	v_and_b32_e32 v26, 0x80000000, v26
	v_lshl_add_u32 v0, v0, 23, v5
	v_or3_b32 v18, v26, v0, v25
.LBB314_70:                             ;   in Loop: Header=BB314_13 Depth=1
	s_or_b64 exec, exec, s[44:45]
.LBB314_71:                             ;   in Loop: Header=BB314_13 Depth=1
	s_or_b64 exec, exec, s[42:43]
.LBB314_72:                             ;   in Loop: Header=BB314_13 Depth=1
	s_or_b64 exec, exec, s[6:7]
	v_lshrrev_b16_e32 v32, 8, v31
	v_cmp_ne_u16_e64 s[4:5], 0, v32
	s_and_saveexec_b64 s[6:7], s[4:5]
	s_cbranch_execz .LBB314_78
; %bb.73:                               ;   in Loop: Header=BB314_13 Depth=1
	v_cmp_ne_u16_e64 s[4:5], s52, v32
	v_bfrev_b32_e32 v17, 1
	s_and_saveexec_b64 s[42:43], s[4:5]
	s_cbranch_execz .LBB314_77
; %bb.74:                               ;   in Loop: Header=BB314_13 Depth=1
	v_and_b32_e32 v0, 0x7f, v32
	v_cmp_ne_u32_e64 s[4:5], s53, v0
	v_mov_b32_e32 v17, 0x7f800001
	s_and_saveexec_b64 s[44:45], s[4:5]
	s_cbranch_execz .LBB314_76
; %bb.75:                               ;   in Loop: Header=BB314_13 Depth=1
	v_and_b32_e32 v33, 7, v32
	v_lshrrev_b32_e32 v34, 3, v0
	v_cmp_gt_u32_e64 s[4:5], 8, v0
	v_ffbh_u32_e32 v0, v33
	v_min_u32_e32 v0, 32, v0
	v_subrev_u32_e32 v25, 28, v0
	v_lshlrev_b64 v[25:26], v25, v[32:33]
	v_sub_u32_e32 v0, 29, v0
	v_and_b32_e32 v25, 7, v25
	v_cndmask_b32_e64 v0, v34, v0, s[4:5]
	v_cndmask_b32_e64 v25, v33, v25, s[4:5]
	v_lshlrev_b32_e32 v26, 16, v31
	v_bfrev_b32_e32 v5, 60
	v_lshlrev_b32_e32 v25, 20, v25
	v_and_b32_e32 v26, 0x80000000, v26
	v_lshl_add_u32 v0, v0, 23, v5
	v_or3_b32 v17, v26, v0, v25
.LBB314_76:                             ;   in Loop: Header=BB314_13 Depth=1
	s_or_b64 exec, exec, s[44:45]
.LBB314_77:                             ;   in Loop: Header=BB314_13 Depth=1
	s_or_b64 exec, exec, s[42:43]
.LBB314_78:                             ;   in Loop: Header=BB314_13 Depth=1
	s_or_b64 exec, exec, s[6:7]
	v_lshrrev_b32_e32 v32, 16, v31
	v_mov_b32_e32 v0, 0
	v_cmp_ne_u16_sdwa s[4:5], v32, v0 src0_sel:BYTE_0 src1_sel:DWORD
	v_mov_b32_e32 v19, 0
	v_mov_b32_e32 v20, 0
	s_and_saveexec_b64 s[6:7], s[4:5]
	s_cbranch_execz .LBB314_84
; %bb.79:                               ;   in Loop: Header=BB314_13 Depth=1
	v_cmp_ne_u16_sdwa s[4:5], v32, s52 src0_sel:BYTE_0 src1_sel:DWORD
	v_bfrev_b32_e32 v20, 1
	s_and_saveexec_b64 s[42:43], s[4:5]
	s_cbranch_execz .LBB314_83
; %bb.80:                               ;   in Loop: Header=BB314_13 Depth=1
	v_bfe_u32 v0, v31, 16, 7
	v_cmp_ne_u32_e64 s[4:5], s53, v0
	v_mov_b32_e32 v20, 0x7f800001
	s_and_saveexec_b64 s[44:45], s[4:5]
	s_cbranch_execz .LBB314_82
; %bb.81:                               ;   in Loop: Header=BB314_13 Depth=1
	v_and_b32_e32 v33, 7, v32
	v_lshrrev_b32_e32 v34, 3, v0
	v_cmp_gt_u32_e64 s[4:5], 8, v0
	v_ffbh_u32_e32 v0, v33
	v_min_u32_e32 v0, 32, v0
	v_subrev_u32_e32 v25, 28, v0
	v_lshlrev_b64 v[25:26], v25, v[32:33]
	v_sub_u32_e32 v0, 29, v0
	v_and_b32_e32 v25, 7, v25
	v_cndmask_b32_e64 v0, v34, v0, s[4:5]
	v_cndmask_b32_e64 v25, v33, v25, s[4:5]
	v_lshlrev_b32_e32 v26, 24, v32
	v_bfrev_b32_e32 v5, 60
	v_lshlrev_b32_e32 v25, 20, v25
	v_and_b32_e32 v26, 0x80000000, v26
	v_lshl_add_u32 v0, v0, 23, v5
	v_or3_b32 v20, v26, v0, v25
.LBB314_82:                             ;   in Loop: Header=BB314_13 Depth=1
	s_or_b64 exec, exec, s[44:45]
.LBB314_83:                             ;   in Loop: Header=BB314_13 Depth=1
	s_or_b64 exec, exec, s[42:43]
.LBB314_84:                             ;   in Loop: Header=BB314_13 Depth=1
	s_or_b64 exec, exec, s[6:7]
	v_cmp_lt_u32_e64 s[4:5], s54, v31
	s_and_saveexec_b64 s[6:7], s[4:5]
	s_cbranch_execz .LBB314_90
; %bb.85:                               ;   in Loop: Header=BB314_13 Depth=1
	v_lshrrev_b32_e32 v32, 24, v31
	v_cmp_ne_u32_e64 s[4:5], s52, v32
	v_bfrev_b32_e32 v19, 1
	s_and_saveexec_b64 s[42:43], s[4:5]
	s_cbranch_execz .LBB314_89
; %bb.86:                               ;   in Loop: Header=BB314_13 Depth=1
	v_bfe_u32 v0, v31, 24, 7
	v_cmp_ne_u32_e64 s[4:5], s53, v0
	v_mov_b32_e32 v19, 0x7f800001
	s_and_saveexec_b64 s[44:45], s[4:5]
	s_cbranch_execz .LBB314_88
; %bb.87:                               ;   in Loop: Header=BB314_13 Depth=1
	v_and_b32_e32 v31, 7, v32
	v_lshrrev_b32_e32 v33, 3, v0
	v_cmp_gt_u32_e64 s[4:5], 8, v0
	v_ffbh_u32_e32 v0, v31
	v_min_u32_e32 v0, 32, v0
	v_subrev_u32_e32 v25, 28, v0
	v_lshlrev_b64 v[25:26], v25, v[32:33]
	v_sub_u32_e32 v0, 29, v0
	v_and_b32_e32 v25, 7, v25
	v_cndmask_b32_e64 v0, v33, v0, s[4:5]
	v_cndmask_b32_e64 v25, v31, v25, s[4:5]
	v_lshlrev_b32_e32 v26, 24, v32
	v_bfrev_b32_e32 v5, 60
	v_lshlrev_b32_e32 v25, 20, v25
	v_and_b32_e32 v26, 0x80000000, v26
	v_lshl_add_u32 v0, v0, 23, v5
	v_or3_b32 v19, v26, v0, v25
.LBB314_88:                             ;   in Loop: Header=BB314_13 Depth=1
	s_or_b64 exec, exec, s[44:45]
.LBB314_89:                             ;   in Loop: Header=BB314_13 Depth=1
	s_or_b64 exec, exec, s[42:43]
.LBB314_90:                             ;   in Loop: Header=BB314_13 Depth=1
	s_or_b64 exec, exec, s[6:7]
	global_load_dword v31, v[29:30], off offset:520
	v_mov_b32_e32 v0, 0
	v_mov_b32_e32 v6, 0
	v_mov_b32_e32 v22, 0
	s_waitcnt vmcnt(0)
	v_cmp_ne_u16_sdwa s[4:5], v31, v0 src0_sel:BYTE_0 src1_sel:DWORD
	s_and_saveexec_b64 s[6:7], s[4:5]
	s_cbranch_execz .LBB314_96
; %bb.91:                               ;   in Loop: Header=BB314_13 Depth=1
	v_cmp_ne_u16_sdwa s[4:5], v31, s52 src0_sel:BYTE_0 src1_sel:DWORD
	v_bfrev_b32_e32 v22, 1
	s_and_saveexec_b64 s[42:43], s[4:5]
	s_cbranch_execz .LBB314_95
; %bb.92:                               ;   in Loop: Header=BB314_13 Depth=1
	v_and_b32_e32 v0, 0x7f, v31
	v_cmp_ne_u32_e64 s[4:5], s53, v0
	v_mov_b32_e32 v22, 0x7f800001
	s_and_saveexec_b64 s[44:45], s[4:5]
	s_cbranch_execz .LBB314_94
; %bb.93:                               ;   in Loop: Header=BB314_13 Depth=1
	v_and_b32_e32 v32, 7, v31
	v_lshrrev_b32_e32 v33, 3, v0
	v_cmp_gt_u32_e64 s[4:5], 8, v0
	v_ffbh_u32_e32 v0, v32
	v_min_u32_e32 v0, 32, v0
	v_subrev_u32_e32 v25, 28, v0
	v_lshlrev_b64 v[25:26], v25, v[31:32]
	v_sub_u32_e32 v0, 29, v0
	v_and_b32_e32 v25, 7, v25
	v_cndmask_b32_e64 v0, v33, v0, s[4:5]
	v_cndmask_b32_e64 v25, v32, v25, s[4:5]
	v_lshlrev_b32_e32 v26, 24, v31
	v_bfrev_b32_e32 v5, 60
	v_lshlrev_b32_e32 v25, 20, v25
	v_and_b32_e32 v26, 0x80000000, v26
	v_lshl_add_u32 v0, v0, 23, v5
	v_or3_b32 v22, v26, v0, v25
.LBB314_94:                             ;   in Loop: Header=BB314_13 Depth=1
	s_or_b64 exec, exec, s[44:45]
.LBB314_95:                             ;   in Loop: Header=BB314_13 Depth=1
	s_or_b64 exec, exec, s[42:43]
.LBB314_96:                             ;   in Loop: Header=BB314_13 Depth=1
	s_or_b64 exec, exec, s[6:7]
	v_lshrrev_b16_e32 v32, 8, v31
	v_cmp_ne_u16_e64 s[4:5], 0, v32
	s_and_saveexec_b64 s[6:7], s[4:5]
	s_cbranch_execz .LBB314_102
; %bb.97:                               ;   in Loop: Header=BB314_13 Depth=1
	v_cmp_ne_u16_e64 s[4:5], s52, v32
	v_bfrev_b32_e32 v6, 1
	s_and_saveexec_b64 s[42:43], s[4:5]
	s_cbranch_execz .LBB314_101
; %bb.98:                               ;   in Loop: Header=BB314_13 Depth=1
	v_and_b32_e32 v0, 0x7f, v32
	v_cmp_ne_u32_e64 s[4:5], s53, v0
	v_mov_b32_e32 v6, 0x7f800001
	s_and_saveexec_b64 s[44:45], s[4:5]
	s_cbranch_execz .LBB314_100
; %bb.99:                               ;   in Loop: Header=BB314_13 Depth=1
	v_and_b32_e32 v33, 7, v32
	v_lshrrev_b32_e32 v34, 3, v0
	v_cmp_gt_u32_e64 s[4:5], 8, v0
	v_ffbh_u32_e32 v0, v33
	v_min_u32_e32 v0, 32, v0
	v_subrev_u32_e32 v25, 28, v0
	v_lshlrev_b64 v[25:26], v25, v[32:33]
	v_sub_u32_e32 v0, 29, v0
	v_and_b32_e32 v25, 7, v25
	v_cndmask_b32_e64 v0, v34, v0, s[4:5]
	v_cndmask_b32_e64 v25, v33, v25, s[4:5]
	v_lshlrev_b32_e32 v26, 16, v31
	v_bfrev_b32_e32 v5, 60
	v_lshlrev_b32_e32 v25, 20, v25
	v_and_b32_e32 v26, 0x80000000, v26
	v_lshl_add_u32 v0, v0, 23, v5
	v_or3_b32 v6, v26, v0, v25
.LBB314_100:                            ;   in Loop: Header=BB314_13 Depth=1
	s_or_b64 exec, exec, s[44:45]
.LBB314_101:                            ;   in Loop: Header=BB314_13 Depth=1
	s_or_b64 exec, exec, s[42:43]
.LBB314_102:                            ;   in Loop: Header=BB314_13 Depth=1
	s_or_b64 exec, exec, s[6:7]
	v_lshrrev_b32_e32 v32, 16, v31
	v_mov_b32_e32 v0, 0
	v_cmp_ne_u16_sdwa s[4:5], v32, v0 src0_sel:BYTE_0 src1_sel:DWORD
	v_mov_b32_e32 v23, 0
	v_mov_b32_e32 v24, 0
	s_and_saveexec_b64 s[6:7], s[4:5]
	s_cbranch_execz .LBB314_108
; %bb.103:                              ;   in Loop: Header=BB314_13 Depth=1
	v_cmp_ne_u16_sdwa s[4:5], v32, s52 src0_sel:BYTE_0 src1_sel:DWORD
	v_bfrev_b32_e32 v24, 1
	s_and_saveexec_b64 s[42:43], s[4:5]
	s_cbranch_execz .LBB314_107
; %bb.104:                              ;   in Loop: Header=BB314_13 Depth=1
	v_bfe_u32 v0, v31, 16, 7
	v_cmp_ne_u32_e64 s[4:5], s53, v0
	v_mov_b32_e32 v24, 0x7f800001
	s_and_saveexec_b64 s[44:45], s[4:5]
	s_cbranch_execz .LBB314_106
; %bb.105:                              ;   in Loop: Header=BB314_13 Depth=1
	v_and_b32_e32 v33, 7, v32
	v_lshrrev_b32_e32 v34, 3, v0
	v_cmp_gt_u32_e64 s[4:5], 8, v0
	v_ffbh_u32_e32 v0, v33
	v_min_u32_e32 v0, 32, v0
	v_subrev_u32_e32 v25, 28, v0
	v_lshlrev_b64 v[25:26], v25, v[32:33]
	v_sub_u32_e32 v0, 29, v0
	v_and_b32_e32 v25, 7, v25
	v_cndmask_b32_e64 v0, v34, v0, s[4:5]
	v_cndmask_b32_e64 v25, v33, v25, s[4:5]
	v_lshlrev_b32_e32 v26, 24, v32
	v_bfrev_b32_e32 v5, 60
	v_lshlrev_b32_e32 v25, 20, v25
	v_and_b32_e32 v26, 0x80000000, v26
	v_lshl_add_u32 v0, v0, 23, v5
	v_or3_b32 v24, v26, v0, v25
.LBB314_106:                            ;   in Loop: Header=BB314_13 Depth=1
	s_or_b64 exec, exec, s[44:45]
.LBB314_107:                            ;   in Loop: Header=BB314_13 Depth=1
	s_or_b64 exec, exec, s[42:43]
.LBB314_108:                            ;   in Loop: Header=BB314_13 Depth=1
	s_or_b64 exec, exec, s[6:7]
	v_cmp_lt_u32_e64 s[4:5], s54, v31
	s_and_saveexec_b64 s[6:7], s[4:5]
	s_cbranch_execz .LBB314_114
; %bb.109:                              ;   in Loop: Header=BB314_13 Depth=1
	v_lshrrev_b32_e32 v32, 24, v31
	v_cmp_ne_u32_e64 s[4:5], s52, v32
	v_bfrev_b32_e32 v23, 1
	s_and_saveexec_b64 s[42:43], s[4:5]
	s_cbranch_execz .LBB314_113
; %bb.110:                              ;   in Loop: Header=BB314_13 Depth=1
	v_bfe_u32 v0, v31, 24, 7
	v_cmp_ne_u32_e64 s[4:5], s53, v0
	v_mov_b32_e32 v23, 0x7f800001
	s_and_saveexec_b64 s[44:45], s[4:5]
	s_cbranch_execz .LBB314_112
; %bb.111:                              ;   in Loop: Header=BB314_13 Depth=1
	v_and_b32_e32 v31, 7, v32
	v_lshrrev_b32_e32 v33, 3, v0
	v_cmp_gt_u32_e64 s[4:5], 8, v0
	v_ffbh_u32_e32 v0, v31
	v_min_u32_e32 v0, 32, v0
	v_subrev_u32_e32 v25, 28, v0
	v_lshlrev_b64 v[25:26], v25, v[32:33]
	v_sub_u32_e32 v0, 29, v0
	v_and_b32_e32 v25, 7, v25
	v_cndmask_b32_e64 v0, v33, v0, s[4:5]
	v_cndmask_b32_e64 v25, v31, v25, s[4:5]
	v_lshlrev_b32_e32 v26, 24, v32
	v_bfrev_b32_e32 v5, 60
	v_lshlrev_b32_e32 v25, 20, v25
	v_and_b32_e32 v26, 0x80000000, v26
	v_lshl_add_u32 v0, v0, 23, v5
	v_or3_b32 v23, v26, v0, v25
.LBB314_112:                            ;   in Loop: Header=BB314_13 Depth=1
	s_or_b64 exec, exec, s[44:45]
.LBB314_113:                            ;   in Loop: Header=BB314_13 Depth=1
	s_or_b64 exec, exec, s[42:43]
.LBB314_114:                            ;   in Loop: Header=BB314_13 Depth=1
	s_or_b64 exec, exec, s[6:7]
	global_load_dword v31, v[29:30], off offset:1024
	v_mov_b32_e32 v0, 0
	v_mov_b32_e32 v38, 0
	;; [unrolled: 1-line block ×3, first 2 shown]
	s_waitcnt vmcnt(0)
	v_cmp_ne_u16_sdwa s[4:5], v31, v0 src0_sel:BYTE_0 src1_sel:DWORD
	s_and_saveexec_b64 s[6:7], s[4:5]
	s_cbranch_execz .LBB314_120
; %bb.115:                              ;   in Loop: Header=BB314_13 Depth=1
	v_cmp_ne_u16_sdwa s[4:5], v31, s52 src0_sel:BYTE_0 src1_sel:DWORD
	v_bfrev_b32_e32 v39, 1
	s_and_saveexec_b64 s[42:43], s[4:5]
	s_cbranch_execz .LBB314_119
; %bb.116:                              ;   in Loop: Header=BB314_13 Depth=1
	v_and_b32_e32 v0, 0x7f, v31
	v_cmp_ne_u32_e64 s[4:5], s53, v0
	v_mov_b32_e32 v39, 0x7f800001
	s_and_saveexec_b64 s[44:45], s[4:5]
	s_cbranch_execz .LBB314_118
; %bb.117:                              ;   in Loop: Header=BB314_13 Depth=1
	v_and_b32_e32 v32, 7, v31
	v_lshrrev_b32_e32 v33, 3, v0
	v_cmp_gt_u32_e64 s[4:5], 8, v0
	v_ffbh_u32_e32 v0, v32
	v_min_u32_e32 v0, 32, v0
	v_subrev_u32_e32 v25, 28, v0
	v_lshlrev_b64 v[25:26], v25, v[31:32]
	v_sub_u32_e32 v0, 29, v0
	v_and_b32_e32 v25, 7, v25
	v_cndmask_b32_e64 v0, v33, v0, s[4:5]
	v_cndmask_b32_e64 v25, v32, v25, s[4:5]
	v_lshlrev_b32_e32 v26, 24, v31
	v_bfrev_b32_e32 v5, 60
	v_lshlrev_b32_e32 v25, 20, v25
	v_and_b32_e32 v26, 0x80000000, v26
	v_lshl_add_u32 v0, v0, 23, v5
	v_or3_b32 v39, v26, v0, v25
.LBB314_118:                            ;   in Loop: Header=BB314_13 Depth=1
	s_or_b64 exec, exec, s[44:45]
.LBB314_119:                            ;   in Loop: Header=BB314_13 Depth=1
	s_or_b64 exec, exec, s[42:43]
.LBB314_120:                            ;   in Loop: Header=BB314_13 Depth=1
	s_or_b64 exec, exec, s[6:7]
	v_lshrrev_b16_e32 v32, 8, v31
	v_cmp_ne_u16_e64 s[4:5], 0, v32
	s_and_saveexec_b64 s[6:7], s[4:5]
	s_cbranch_execz .LBB314_126
; %bb.121:                              ;   in Loop: Header=BB314_13 Depth=1
	v_cmp_ne_u16_e64 s[4:5], s52, v32
	v_bfrev_b32_e32 v38, 1
	s_and_saveexec_b64 s[42:43], s[4:5]
	s_cbranch_execz .LBB314_125
; %bb.122:                              ;   in Loop: Header=BB314_13 Depth=1
	v_and_b32_e32 v0, 0x7f, v32
	v_cmp_ne_u32_e64 s[4:5], s53, v0
	v_mov_b32_e32 v38, 0x7f800001
	s_and_saveexec_b64 s[44:45], s[4:5]
	s_cbranch_execz .LBB314_124
; %bb.123:                              ;   in Loop: Header=BB314_13 Depth=1
	v_and_b32_e32 v33, 7, v32
	v_lshrrev_b32_e32 v34, 3, v0
	v_cmp_gt_u32_e64 s[4:5], 8, v0
	v_ffbh_u32_e32 v0, v33
	v_min_u32_e32 v0, 32, v0
	v_subrev_u32_e32 v25, 28, v0
	v_lshlrev_b64 v[25:26], v25, v[32:33]
	v_sub_u32_e32 v0, 29, v0
	v_and_b32_e32 v25, 7, v25
	v_cndmask_b32_e64 v0, v34, v0, s[4:5]
	v_cndmask_b32_e64 v25, v33, v25, s[4:5]
	v_lshlrev_b32_e32 v26, 16, v31
	v_bfrev_b32_e32 v5, 60
	v_lshlrev_b32_e32 v25, 20, v25
	v_and_b32_e32 v26, 0x80000000, v26
	v_lshl_add_u32 v0, v0, 23, v5
	v_or3_b32 v38, v26, v0, v25
.LBB314_124:                            ;   in Loop: Header=BB314_13 Depth=1
	s_or_b64 exec, exec, s[44:45]
.LBB314_125:                            ;   in Loop: Header=BB314_13 Depth=1
	s_or_b64 exec, exec, s[42:43]
.LBB314_126:                            ;   in Loop: Header=BB314_13 Depth=1
	s_or_b64 exec, exec, s[6:7]
	v_lshrrev_b32_e32 v32, 16, v31
	v_mov_b32_e32 v0, 0
	v_cmp_ne_u16_sdwa s[4:5], v32, v0 src0_sel:BYTE_0 src1_sel:DWORD
	v_mov_b32_e32 v40, 0
	v_mov_b32_e32 v10, 0
	s_and_saveexec_b64 s[6:7], s[4:5]
	s_cbranch_execz .LBB314_132
; %bb.127:                              ;   in Loop: Header=BB314_13 Depth=1
	v_cmp_ne_u16_sdwa s[4:5], v32, s52 src0_sel:BYTE_0 src1_sel:DWORD
	v_bfrev_b32_e32 v10, 1
	s_and_saveexec_b64 s[42:43], s[4:5]
	s_cbranch_execz .LBB314_131
; %bb.128:                              ;   in Loop: Header=BB314_13 Depth=1
	v_bfe_u32 v0, v31, 16, 7
	v_cmp_ne_u32_e64 s[4:5], s53, v0
	v_mov_b32_e32 v10, 0x7f800001
	s_and_saveexec_b64 s[44:45], s[4:5]
	s_cbranch_execz .LBB314_130
; %bb.129:                              ;   in Loop: Header=BB314_13 Depth=1
	v_and_b32_e32 v33, 7, v32
	v_lshrrev_b32_e32 v34, 3, v0
	v_cmp_gt_u32_e64 s[4:5], 8, v0
	v_ffbh_u32_e32 v0, v33
	v_min_u32_e32 v0, 32, v0
	v_subrev_u32_e32 v25, 28, v0
	v_lshlrev_b64 v[25:26], v25, v[32:33]
	v_sub_u32_e32 v0, 29, v0
	v_and_b32_e32 v25, 7, v25
	v_cndmask_b32_e64 v0, v34, v0, s[4:5]
	v_cndmask_b32_e64 v25, v33, v25, s[4:5]
	v_lshlrev_b32_e32 v26, 24, v32
	v_bfrev_b32_e32 v5, 60
	v_lshlrev_b32_e32 v25, 20, v25
	v_and_b32_e32 v26, 0x80000000, v26
	v_lshl_add_u32 v0, v0, 23, v5
	v_or3_b32 v10, v26, v0, v25
.LBB314_130:                            ;   in Loop: Header=BB314_13 Depth=1
	s_or_b64 exec, exec, s[44:45]
.LBB314_131:                            ;   in Loop: Header=BB314_13 Depth=1
	s_or_b64 exec, exec, s[42:43]
.LBB314_132:                            ;   in Loop: Header=BB314_13 Depth=1
	s_or_b64 exec, exec, s[6:7]
	v_cmp_lt_u32_e64 s[4:5], s54, v31
	s_and_saveexec_b64 s[6:7], s[4:5]
	s_cbranch_execz .LBB314_138
; %bb.133:                              ;   in Loop: Header=BB314_13 Depth=1
	v_lshrrev_b32_e32 v32, 24, v31
	v_cmp_ne_u32_e64 s[4:5], s52, v32
	v_bfrev_b32_e32 v40, 1
	s_and_saveexec_b64 s[42:43], s[4:5]
	s_cbranch_execz .LBB314_137
; %bb.134:                              ;   in Loop: Header=BB314_13 Depth=1
	v_bfe_u32 v0, v31, 24, 7
	v_cmp_ne_u32_e64 s[4:5], s53, v0
	v_mov_b32_e32 v40, 0x7f800001
	s_and_saveexec_b64 s[44:45], s[4:5]
	s_cbranch_execz .LBB314_136
; %bb.135:                              ;   in Loop: Header=BB314_13 Depth=1
	v_and_b32_e32 v31, 7, v32
	v_lshrrev_b32_e32 v33, 3, v0
	v_cmp_gt_u32_e64 s[4:5], 8, v0
	v_ffbh_u32_e32 v0, v31
	v_min_u32_e32 v0, 32, v0
	v_subrev_u32_e32 v25, 28, v0
	v_lshlrev_b64 v[25:26], v25, v[32:33]
	v_sub_u32_e32 v0, 29, v0
	v_and_b32_e32 v25, 7, v25
	v_cndmask_b32_e64 v0, v33, v0, s[4:5]
	v_cndmask_b32_e64 v25, v31, v25, s[4:5]
	v_lshlrev_b32_e32 v26, 24, v32
	v_bfrev_b32_e32 v5, 60
	v_lshlrev_b32_e32 v25, 20, v25
	v_and_b32_e32 v26, 0x80000000, v26
	v_lshl_add_u32 v0, v0, 23, v5
	v_or3_b32 v40, v26, v0, v25
.LBB314_136:                            ;   in Loop: Header=BB314_13 Depth=1
	s_or_b64 exec, exec, s[44:45]
.LBB314_137:                            ;   in Loop: Header=BB314_13 Depth=1
	s_or_b64 exec, exec, s[42:43]
.LBB314_138:                            ;   in Loop: Header=BB314_13 Depth=1
	s_or_b64 exec, exec, s[6:7]
	global_load_dword v31, v[29:30], off offset:1032
	v_mov_b32_e32 v0, 0
	v_mov_b32_e32 v41, 0
	v_mov_b32_e32 v44, 0
	s_waitcnt vmcnt(0)
	v_cmp_ne_u16_sdwa s[4:5], v31, v0 src0_sel:BYTE_0 src1_sel:DWORD
	s_and_saveexec_b64 s[6:7], s[4:5]
	s_cbranch_execz .LBB314_144
; %bb.139:                              ;   in Loop: Header=BB314_13 Depth=1
	v_cmp_ne_u16_sdwa s[4:5], v31, s52 src0_sel:BYTE_0 src1_sel:DWORD
	v_bfrev_b32_e32 v44, 1
	s_and_saveexec_b64 s[42:43], s[4:5]
	s_cbranch_execz .LBB314_143
; %bb.140:                              ;   in Loop: Header=BB314_13 Depth=1
	v_and_b32_e32 v0, 0x7f, v31
	v_cmp_ne_u32_e64 s[4:5], s53, v0
	v_mov_b32_e32 v44, 0x7f800001
	s_and_saveexec_b64 s[44:45], s[4:5]
	s_cbranch_execz .LBB314_142
; %bb.141:                              ;   in Loop: Header=BB314_13 Depth=1
	v_and_b32_e32 v32, 7, v31
	v_lshrrev_b32_e32 v33, 3, v0
	v_cmp_gt_u32_e64 s[4:5], 8, v0
	v_ffbh_u32_e32 v0, v32
	v_min_u32_e32 v0, 32, v0
	v_subrev_u32_e32 v25, 28, v0
	v_lshlrev_b64 v[25:26], v25, v[31:32]
	v_sub_u32_e32 v0, 29, v0
	v_and_b32_e32 v25, 7, v25
	v_cndmask_b32_e64 v0, v33, v0, s[4:5]
	v_cndmask_b32_e64 v25, v32, v25, s[4:5]
	v_lshlrev_b32_e32 v26, 24, v31
	v_bfrev_b32_e32 v5, 60
	v_lshlrev_b32_e32 v25, 20, v25
	v_and_b32_e32 v26, 0x80000000, v26
	v_lshl_add_u32 v0, v0, 23, v5
	v_or3_b32 v44, v26, v0, v25
.LBB314_142:                            ;   in Loop: Header=BB314_13 Depth=1
	s_or_b64 exec, exec, s[44:45]
.LBB314_143:                            ;   in Loop: Header=BB314_13 Depth=1
	s_or_b64 exec, exec, s[42:43]
.LBB314_144:                            ;   in Loop: Header=BB314_13 Depth=1
	s_or_b64 exec, exec, s[6:7]
	v_lshrrev_b16_e32 v32, 8, v31
	v_cmp_ne_u16_e64 s[4:5], 0, v32
	s_and_saveexec_b64 s[6:7], s[4:5]
	s_cbranch_execz .LBB314_150
; %bb.145:                              ;   in Loop: Header=BB314_13 Depth=1
	v_cmp_ne_u16_e64 s[4:5], s52, v32
	v_bfrev_b32_e32 v41, 1
	s_and_saveexec_b64 s[42:43], s[4:5]
	s_cbranch_execz .LBB314_149
; %bb.146:                              ;   in Loop: Header=BB314_13 Depth=1
	v_and_b32_e32 v0, 0x7f, v32
	v_cmp_ne_u32_e64 s[4:5], s53, v0
	v_mov_b32_e32 v41, 0x7f800001
	s_and_saveexec_b64 s[44:45], s[4:5]
	s_cbranch_execz .LBB314_148
; %bb.147:                              ;   in Loop: Header=BB314_13 Depth=1
	v_and_b32_e32 v33, 7, v32
	v_lshrrev_b32_e32 v34, 3, v0
	v_cmp_gt_u32_e64 s[4:5], 8, v0
	v_ffbh_u32_e32 v0, v33
	v_min_u32_e32 v0, 32, v0
	v_subrev_u32_e32 v25, 28, v0
	v_lshlrev_b64 v[25:26], v25, v[32:33]
	v_sub_u32_e32 v0, 29, v0
	v_and_b32_e32 v25, 7, v25
	v_cndmask_b32_e64 v0, v34, v0, s[4:5]
	v_cndmask_b32_e64 v25, v33, v25, s[4:5]
	v_lshlrev_b32_e32 v26, 16, v31
	v_bfrev_b32_e32 v5, 60
	v_lshlrev_b32_e32 v25, 20, v25
	v_and_b32_e32 v26, 0x80000000, v26
	v_lshl_add_u32 v0, v0, 23, v5
	v_or3_b32 v41, v26, v0, v25
.LBB314_148:                            ;   in Loop: Header=BB314_13 Depth=1
	s_or_b64 exec, exec, s[44:45]
.LBB314_149:                            ;   in Loop: Header=BB314_13 Depth=1
	s_or_b64 exec, exec, s[42:43]
.LBB314_150:                            ;   in Loop: Header=BB314_13 Depth=1
	s_or_b64 exec, exec, s[6:7]
	v_lshrrev_b32_e32 v32, 16, v31
	v_mov_b32_e32 v0, 0
	v_cmp_ne_u16_sdwa s[4:5], v32, v0 src0_sel:BYTE_0 src1_sel:DWORD
	v_mov_b32_e32 v55, 0
	v_mov_b32_e32 v56, 0
	s_and_saveexec_b64 s[6:7], s[4:5]
	s_cbranch_execz .LBB314_156
; %bb.151:                              ;   in Loop: Header=BB314_13 Depth=1
	v_cmp_ne_u16_sdwa s[4:5], v32, s52 src0_sel:BYTE_0 src1_sel:DWORD
	v_bfrev_b32_e32 v56, 1
	s_and_saveexec_b64 s[42:43], s[4:5]
	s_cbranch_execz .LBB314_155
; %bb.152:                              ;   in Loop: Header=BB314_13 Depth=1
	v_bfe_u32 v0, v31, 16, 7
	v_cmp_ne_u32_e64 s[4:5], s53, v0
	v_mov_b32_e32 v56, 0x7f800001
	s_and_saveexec_b64 s[44:45], s[4:5]
	s_cbranch_execz .LBB314_154
; %bb.153:                              ;   in Loop: Header=BB314_13 Depth=1
	v_and_b32_e32 v33, 7, v32
	v_lshrrev_b32_e32 v34, 3, v0
	v_cmp_gt_u32_e64 s[4:5], 8, v0
	v_ffbh_u32_e32 v0, v33
	v_min_u32_e32 v0, 32, v0
	v_subrev_u32_e32 v25, 28, v0
	v_lshlrev_b64 v[25:26], v25, v[32:33]
	v_sub_u32_e32 v0, 29, v0
	v_and_b32_e32 v25, 7, v25
	v_cndmask_b32_e64 v0, v34, v0, s[4:5]
	v_cndmask_b32_e64 v25, v33, v25, s[4:5]
	v_lshlrev_b32_e32 v26, 24, v32
	v_bfrev_b32_e32 v5, 60
	v_lshlrev_b32_e32 v25, 20, v25
	v_and_b32_e32 v26, 0x80000000, v26
	v_lshl_add_u32 v0, v0, 23, v5
	v_or3_b32 v56, v26, v0, v25
.LBB314_154:                            ;   in Loop: Header=BB314_13 Depth=1
	s_or_b64 exec, exec, s[44:45]
.LBB314_155:                            ;   in Loop: Header=BB314_13 Depth=1
	s_or_b64 exec, exec, s[42:43]
.LBB314_156:                            ;   in Loop: Header=BB314_13 Depth=1
	s_or_b64 exec, exec, s[6:7]
	v_cmp_lt_u32_e64 s[4:5], s54, v31
	s_and_saveexec_b64 s[6:7], s[4:5]
	s_cbranch_execz .LBB314_162
; %bb.157:                              ;   in Loop: Header=BB314_13 Depth=1
	v_lshrrev_b32_e32 v32, 24, v31
	v_cmp_ne_u32_e64 s[4:5], s52, v32
	v_bfrev_b32_e32 v55, 1
	s_and_saveexec_b64 s[42:43], s[4:5]
	s_cbranch_execz .LBB314_161
; %bb.158:                              ;   in Loop: Header=BB314_13 Depth=1
	v_bfe_u32 v0, v31, 24, 7
	v_cmp_ne_u32_e64 s[4:5], s53, v0
	v_mov_b32_e32 v55, 0x7f800001
	s_and_saveexec_b64 s[44:45], s[4:5]
	s_cbranch_execz .LBB314_160
; %bb.159:                              ;   in Loop: Header=BB314_13 Depth=1
	v_and_b32_e32 v31, 7, v32
	v_lshrrev_b32_e32 v33, 3, v0
	v_cmp_gt_u32_e64 s[4:5], 8, v0
	v_ffbh_u32_e32 v0, v31
	v_min_u32_e32 v0, 32, v0
	v_subrev_u32_e32 v25, 28, v0
	v_lshlrev_b64 v[25:26], v25, v[32:33]
	v_sub_u32_e32 v0, 29, v0
	v_and_b32_e32 v25, 7, v25
	v_cndmask_b32_e64 v0, v33, v0, s[4:5]
	v_cndmask_b32_e64 v25, v31, v25, s[4:5]
	v_lshlrev_b32_e32 v26, 24, v32
	v_bfrev_b32_e32 v5, 60
	v_lshlrev_b32_e32 v25, 20, v25
	v_and_b32_e32 v26, 0x80000000, v26
	v_lshl_add_u32 v0, v0, 23, v5
	v_or3_b32 v55, v26, v0, v25
.LBB314_160:                            ;   in Loop: Header=BB314_13 Depth=1
	s_or_b64 exec, exec, s[44:45]
.LBB314_161:                            ;   in Loop: Header=BB314_13 Depth=1
	s_or_b64 exec, exec, s[42:43]
.LBB314_162:                            ;   in Loop: Header=BB314_13 Depth=1
	s_or_b64 exec, exec, s[6:7]
	global_load_dword v31, v[29:30], off offset:1536
	v_mov_b32_e32 v0, 0
	v_mov_b32_e32 v57, 0
	;; [unrolled: 1-line block ×3, first 2 shown]
	s_waitcnt vmcnt(0)
	v_cmp_ne_u16_sdwa s[4:5], v31, v0 src0_sel:BYTE_0 src1_sel:DWORD
	s_and_saveexec_b64 s[6:7], s[4:5]
	s_cbranch_execz .LBB314_168
; %bb.163:                              ;   in Loop: Header=BB314_13 Depth=1
	v_cmp_ne_u16_sdwa s[4:5], v31, s52 src0_sel:BYTE_0 src1_sel:DWORD
	v_bfrev_b32_e32 v58, 1
	s_and_saveexec_b64 s[42:43], s[4:5]
	s_cbranch_execz .LBB314_167
; %bb.164:                              ;   in Loop: Header=BB314_13 Depth=1
	v_and_b32_e32 v0, 0x7f, v31
	v_cmp_ne_u32_e64 s[4:5], s53, v0
	v_mov_b32_e32 v58, 0x7f800001
	s_and_saveexec_b64 s[44:45], s[4:5]
	s_cbranch_execz .LBB314_166
; %bb.165:                              ;   in Loop: Header=BB314_13 Depth=1
	v_and_b32_e32 v32, 7, v31
	v_lshrrev_b32_e32 v33, 3, v0
	v_cmp_gt_u32_e64 s[4:5], 8, v0
	v_ffbh_u32_e32 v0, v32
	v_min_u32_e32 v0, 32, v0
	v_subrev_u32_e32 v25, 28, v0
	v_lshlrev_b64 v[25:26], v25, v[31:32]
	v_sub_u32_e32 v0, 29, v0
	v_and_b32_e32 v25, 7, v25
	v_cndmask_b32_e64 v0, v33, v0, s[4:5]
	v_cndmask_b32_e64 v25, v32, v25, s[4:5]
	v_lshlrev_b32_e32 v26, 24, v31
	v_bfrev_b32_e32 v5, 60
	v_lshlrev_b32_e32 v25, 20, v25
	v_and_b32_e32 v26, 0x80000000, v26
	v_lshl_add_u32 v0, v0, 23, v5
	v_or3_b32 v58, v26, v0, v25
.LBB314_166:                            ;   in Loop: Header=BB314_13 Depth=1
	s_or_b64 exec, exec, s[44:45]
.LBB314_167:                            ;   in Loop: Header=BB314_13 Depth=1
	s_or_b64 exec, exec, s[42:43]
.LBB314_168:                            ;   in Loop: Header=BB314_13 Depth=1
	s_or_b64 exec, exec, s[6:7]
	v_lshrrev_b16_e32 v32, 8, v31
	v_cmp_ne_u16_e64 s[4:5], 0, v32
	s_and_saveexec_b64 s[6:7], s[4:5]
	s_cbranch_execz .LBB314_174
; %bb.169:                              ;   in Loop: Header=BB314_13 Depth=1
	v_cmp_ne_u16_e64 s[4:5], s52, v32
	v_bfrev_b32_e32 v57, 1
	s_and_saveexec_b64 s[42:43], s[4:5]
	s_cbranch_execz .LBB314_173
; %bb.170:                              ;   in Loop: Header=BB314_13 Depth=1
	v_and_b32_e32 v0, 0x7f, v32
	v_cmp_ne_u32_e64 s[4:5], s53, v0
	v_mov_b32_e32 v57, 0x7f800001
	s_and_saveexec_b64 s[44:45], s[4:5]
	s_cbranch_execz .LBB314_172
; %bb.171:                              ;   in Loop: Header=BB314_13 Depth=1
	v_and_b32_e32 v33, 7, v32
	v_lshrrev_b32_e32 v34, 3, v0
	v_cmp_gt_u32_e64 s[4:5], 8, v0
	v_ffbh_u32_e32 v0, v33
	v_min_u32_e32 v0, 32, v0
	v_subrev_u32_e32 v25, 28, v0
	v_lshlrev_b64 v[25:26], v25, v[32:33]
	v_sub_u32_e32 v0, 29, v0
	v_and_b32_e32 v25, 7, v25
	v_cndmask_b32_e64 v0, v34, v0, s[4:5]
	v_cndmask_b32_e64 v25, v33, v25, s[4:5]
	v_lshlrev_b32_e32 v26, 16, v31
	v_bfrev_b32_e32 v5, 60
	v_lshlrev_b32_e32 v25, 20, v25
	v_and_b32_e32 v26, 0x80000000, v26
	v_lshl_add_u32 v0, v0, 23, v5
	v_or3_b32 v57, v26, v0, v25
.LBB314_172:                            ;   in Loop: Header=BB314_13 Depth=1
	s_or_b64 exec, exec, s[44:45]
.LBB314_173:                            ;   in Loop: Header=BB314_13 Depth=1
	s_or_b64 exec, exec, s[42:43]
.LBB314_174:                            ;   in Loop: Header=BB314_13 Depth=1
	s_or_b64 exec, exec, s[6:7]
	v_lshrrev_b32_e32 v32, 16, v31
	v_mov_b32_e32 v0, 0
	v_cmp_ne_u16_sdwa s[4:5], v32, v0 src0_sel:BYTE_0 src1_sel:DWORD
	v_mov_b32_e32 v43, 0
	v_mov_b32_e32 v45, 0
	s_and_saveexec_b64 s[6:7], s[4:5]
	s_cbranch_execz .LBB314_180
; %bb.175:                              ;   in Loop: Header=BB314_13 Depth=1
	v_cmp_ne_u16_sdwa s[4:5], v32, s52 src0_sel:BYTE_0 src1_sel:DWORD
	v_bfrev_b32_e32 v45, 1
	s_and_saveexec_b64 s[42:43], s[4:5]
	s_cbranch_execz .LBB314_179
; %bb.176:                              ;   in Loop: Header=BB314_13 Depth=1
	v_bfe_u32 v0, v31, 16, 7
	v_cmp_ne_u32_e64 s[4:5], s53, v0
	v_mov_b32_e32 v45, 0x7f800001
	s_and_saveexec_b64 s[44:45], s[4:5]
	s_cbranch_execz .LBB314_178
; %bb.177:                              ;   in Loop: Header=BB314_13 Depth=1
	v_and_b32_e32 v33, 7, v32
	v_lshrrev_b32_e32 v34, 3, v0
	v_cmp_gt_u32_e64 s[4:5], 8, v0
	v_ffbh_u32_e32 v0, v33
	v_min_u32_e32 v0, 32, v0
	v_subrev_u32_e32 v25, 28, v0
	v_lshlrev_b64 v[25:26], v25, v[32:33]
	v_sub_u32_e32 v0, 29, v0
	v_and_b32_e32 v25, 7, v25
	v_cndmask_b32_e64 v0, v34, v0, s[4:5]
	v_cndmask_b32_e64 v25, v33, v25, s[4:5]
	v_lshlrev_b32_e32 v26, 24, v32
	v_bfrev_b32_e32 v5, 60
	v_lshlrev_b32_e32 v25, 20, v25
	v_and_b32_e32 v26, 0x80000000, v26
	v_lshl_add_u32 v0, v0, 23, v5
	v_or3_b32 v45, v26, v0, v25
.LBB314_178:                            ;   in Loop: Header=BB314_13 Depth=1
	s_or_b64 exec, exec, s[44:45]
.LBB314_179:                            ;   in Loop: Header=BB314_13 Depth=1
	s_or_b64 exec, exec, s[42:43]
.LBB314_180:                            ;   in Loop: Header=BB314_13 Depth=1
	s_or_b64 exec, exec, s[6:7]
	v_cmp_lt_u32_e64 s[4:5], s54, v31
	s_and_saveexec_b64 s[6:7], s[4:5]
	s_cbranch_execz .LBB314_186
; %bb.181:                              ;   in Loop: Header=BB314_13 Depth=1
	v_lshrrev_b32_e32 v32, 24, v31
	v_cmp_ne_u32_e64 s[4:5], s52, v32
	v_bfrev_b32_e32 v43, 1
	s_and_saveexec_b64 s[42:43], s[4:5]
	s_cbranch_execz .LBB314_185
; %bb.182:                              ;   in Loop: Header=BB314_13 Depth=1
	v_bfe_u32 v0, v31, 24, 7
	v_cmp_ne_u32_e64 s[4:5], s53, v0
	v_mov_b32_e32 v43, 0x7f800001
	s_and_saveexec_b64 s[44:45], s[4:5]
	s_cbranch_execz .LBB314_184
; %bb.183:                              ;   in Loop: Header=BB314_13 Depth=1
	v_and_b32_e32 v31, 7, v32
	v_lshrrev_b32_e32 v33, 3, v0
	v_cmp_gt_u32_e64 s[4:5], 8, v0
	v_ffbh_u32_e32 v0, v31
	v_min_u32_e32 v0, 32, v0
	v_subrev_u32_e32 v25, 28, v0
	v_lshlrev_b64 v[25:26], v25, v[32:33]
	v_sub_u32_e32 v0, 29, v0
	v_and_b32_e32 v25, 7, v25
	v_cndmask_b32_e64 v0, v33, v0, s[4:5]
	v_cndmask_b32_e64 v25, v31, v25, s[4:5]
	v_lshlrev_b32_e32 v26, 24, v32
	v_bfrev_b32_e32 v5, 60
	v_lshlrev_b32_e32 v25, 20, v25
	v_and_b32_e32 v26, 0x80000000, v26
	v_lshl_add_u32 v0, v0, 23, v5
	v_or3_b32 v43, v26, v0, v25
.LBB314_184:                            ;   in Loop: Header=BB314_13 Depth=1
	s_or_b64 exec, exec, s[44:45]
.LBB314_185:                            ;   in Loop: Header=BB314_13 Depth=1
	s_or_b64 exec, exec, s[42:43]
.LBB314_186:                            ;   in Loop: Header=BB314_13 Depth=1
	s_or_b64 exec, exec, s[6:7]
	global_load_dword v31, v[29:30], off offset:1544
	v_mov_b32_e32 v0, 0
	v_mov_b32_e32 v60, 0
	;; [unrolled: 1-line block ×3, first 2 shown]
	s_waitcnt vmcnt(0)
	v_cmp_ne_u16_sdwa s[4:5], v31, v0 src0_sel:BYTE_0 src1_sel:DWORD
	s_and_saveexec_b64 s[6:7], s[4:5]
	s_cbranch_execz .LBB314_192
; %bb.187:                              ;   in Loop: Header=BB314_13 Depth=1
	v_cmp_ne_u16_sdwa s[4:5], v31, s52 src0_sel:BYTE_0 src1_sel:DWORD
	v_bfrev_b32_e32 v59, 1
	s_and_saveexec_b64 s[42:43], s[4:5]
	s_cbranch_execz .LBB314_191
; %bb.188:                              ;   in Loop: Header=BB314_13 Depth=1
	v_and_b32_e32 v0, 0x7f, v31
	v_cmp_ne_u32_e64 s[4:5], s53, v0
	v_mov_b32_e32 v59, 0x7f800001
	s_and_saveexec_b64 s[44:45], s[4:5]
	s_cbranch_execz .LBB314_190
; %bb.189:                              ;   in Loop: Header=BB314_13 Depth=1
	v_and_b32_e32 v32, 7, v31
	v_lshrrev_b32_e32 v33, 3, v0
	v_cmp_gt_u32_e64 s[4:5], 8, v0
	v_ffbh_u32_e32 v0, v32
	v_min_u32_e32 v0, 32, v0
	v_subrev_u32_e32 v25, 28, v0
	v_lshlrev_b64 v[25:26], v25, v[31:32]
	v_sub_u32_e32 v0, 29, v0
	v_and_b32_e32 v25, 7, v25
	v_cndmask_b32_e64 v0, v33, v0, s[4:5]
	v_cndmask_b32_e64 v25, v32, v25, s[4:5]
	v_lshlrev_b32_e32 v26, 24, v31
	v_bfrev_b32_e32 v5, 60
	v_lshlrev_b32_e32 v25, 20, v25
	v_and_b32_e32 v26, 0x80000000, v26
	v_lshl_add_u32 v0, v0, 23, v5
	v_or3_b32 v59, v26, v0, v25
.LBB314_190:                            ;   in Loop: Header=BB314_13 Depth=1
	s_or_b64 exec, exec, s[44:45]
.LBB314_191:                            ;   in Loop: Header=BB314_13 Depth=1
	s_or_b64 exec, exec, s[42:43]
.LBB314_192:                            ;   in Loop: Header=BB314_13 Depth=1
	s_or_b64 exec, exec, s[6:7]
	v_lshrrev_b16_e32 v32, 8, v31
	v_cmp_ne_u16_e64 s[4:5], 0, v32
	s_and_saveexec_b64 s[6:7], s[4:5]
	s_cbranch_execz .LBB314_198
; %bb.193:                              ;   in Loop: Header=BB314_13 Depth=1
	v_cmp_ne_u16_e64 s[4:5], s52, v32
	v_bfrev_b32_e32 v60, 1
	s_and_saveexec_b64 s[42:43], s[4:5]
	s_cbranch_execz .LBB314_197
; %bb.194:                              ;   in Loop: Header=BB314_13 Depth=1
	v_and_b32_e32 v0, 0x7f, v32
	v_cmp_ne_u32_e64 s[4:5], s53, v0
	v_mov_b32_e32 v60, 0x7f800001
	s_and_saveexec_b64 s[44:45], s[4:5]
	s_cbranch_execz .LBB314_196
; %bb.195:                              ;   in Loop: Header=BB314_13 Depth=1
	v_and_b32_e32 v33, 7, v32
	v_lshrrev_b32_e32 v34, 3, v0
	v_cmp_gt_u32_e64 s[4:5], 8, v0
	v_ffbh_u32_e32 v0, v33
	v_min_u32_e32 v0, 32, v0
	v_subrev_u32_e32 v25, 28, v0
	v_lshlrev_b64 v[25:26], v25, v[32:33]
	v_sub_u32_e32 v0, 29, v0
	v_and_b32_e32 v25, 7, v25
	v_cndmask_b32_e64 v0, v34, v0, s[4:5]
	v_cndmask_b32_e64 v25, v33, v25, s[4:5]
	v_lshlrev_b32_e32 v26, 16, v31
	v_bfrev_b32_e32 v5, 60
	v_lshlrev_b32_e32 v25, 20, v25
	v_and_b32_e32 v26, 0x80000000, v26
	v_lshl_add_u32 v0, v0, 23, v5
	v_or3_b32 v60, v26, v0, v25
.LBB314_196:                            ;   in Loop: Header=BB314_13 Depth=1
	s_or_b64 exec, exec, s[44:45]
.LBB314_197:                            ;   in Loop: Header=BB314_13 Depth=1
	s_or_b64 exec, exec, s[42:43]
.LBB314_198:                            ;   in Loop: Header=BB314_13 Depth=1
	s_or_b64 exec, exec, s[6:7]
	v_lshrrev_b32_e32 v32, 16, v31
	v_mov_b32_e32 v0, 0
	v_cmp_ne_u16_sdwa s[4:5], v32, v0 src0_sel:BYTE_0 src1_sel:DWORD
	v_mov_b32_e32 v61, 0
	v_mov_b32_e32 v62, 0
	s_and_saveexec_b64 s[6:7], s[4:5]
	s_cbranch_execz .LBB314_204
; %bb.199:                              ;   in Loop: Header=BB314_13 Depth=1
	v_cmp_ne_u16_sdwa s[4:5], v32, s52 src0_sel:BYTE_0 src1_sel:DWORD
	v_bfrev_b32_e32 v62, 1
	s_and_saveexec_b64 s[42:43], s[4:5]
	s_cbranch_execz .LBB314_203
; %bb.200:                              ;   in Loop: Header=BB314_13 Depth=1
	v_bfe_u32 v0, v31, 16, 7
	v_cmp_ne_u32_e64 s[4:5], s53, v0
	v_mov_b32_e32 v62, 0x7f800001
	s_and_saveexec_b64 s[44:45], s[4:5]
	s_cbranch_execz .LBB314_202
; %bb.201:                              ;   in Loop: Header=BB314_13 Depth=1
	v_and_b32_e32 v33, 7, v32
	v_lshrrev_b32_e32 v34, 3, v0
	v_cmp_gt_u32_e64 s[4:5], 8, v0
	v_ffbh_u32_e32 v0, v33
	v_min_u32_e32 v0, 32, v0
	v_subrev_u32_e32 v25, 28, v0
	v_lshlrev_b64 v[25:26], v25, v[32:33]
	v_sub_u32_e32 v0, 29, v0
	v_and_b32_e32 v25, 7, v25
	v_cndmask_b32_e64 v0, v34, v0, s[4:5]
	v_cndmask_b32_e64 v25, v33, v25, s[4:5]
	v_lshlrev_b32_e32 v26, 24, v32
	v_bfrev_b32_e32 v5, 60
	v_lshlrev_b32_e32 v25, 20, v25
	v_and_b32_e32 v26, 0x80000000, v26
	v_lshl_add_u32 v0, v0, 23, v5
	v_or3_b32 v62, v26, v0, v25
.LBB314_202:                            ;   in Loop: Header=BB314_13 Depth=1
	s_or_b64 exec, exec, s[44:45]
.LBB314_203:                            ;   in Loop: Header=BB314_13 Depth=1
	s_or_b64 exec, exec, s[42:43]
.LBB314_204:                            ;   in Loop: Header=BB314_13 Depth=1
	s_or_b64 exec, exec, s[6:7]
	v_cmp_lt_u32_e64 s[4:5], s54, v31
	s_and_saveexec_b64 s[6:7], s[4:5]
	s_cbranch_execz .LBB314_210
; %bb.205:                              ;   in Loop: Header=BB314_13 Depth=1
	v_lshrrev_b32_e32 v32, 24, v31
	v_cmp_ne_u32_e64 s[4:5], s52, v32
	v_bfrev_b32_e32 v61, 1
	s_and_saveexec_b64 s[42:43], s[4:5]
	s_cbranch_execz .LBB314_209
; %bb.206:                              ;   in Loop: Header=BB314_13 Depth=1
	v_bfe_u32 v0, v31, 24, 7
	v_cmp_ne_u32_e64 s[4:5], s53, v0
	v_mov_b32_e32 v61, 0x7f800001
	s_and_saveexec_b64 s[44:45], s[4:5]
	s_cbranch_execz .LBB314_208
; %bb.207:                              ;   in Loop: Header=BB314_13 Depth=1
	v_and_b32_e32 v31, 7, v32
	v_lshrrev_b32_e32 v33, 3, v0
	v_cmp_gt_u32_e64 s[4:5], 8, v0
	v_ffbh_u32_e32 v0, v31
	v_min_u32_e32 v0, 32, v0
	v_subrev_u32_e32 v25, 28, v0
	v_lshlrev_b64 v[25:26], v25, v[32:33]
	v_sub_u32_e32 v0, 29, v0
	v_and_b32_e32 v25, 7, v25
	v_cndmask_b32_e64 v0, v33, v0, s[4:5]
	v_cndmask_b32_e64 v25, v31, v25, s[4:5]
	v_lshlrev_b32_e32 v26, 24, v32
	v_bfrev_b32_e32 v5, 60
	v_lshlrev_b32_e32 v25, 20, v25
	v_and_b32_e32 v26, 0x80000000, v26
	v_lshl_add_u32 v0, v0, 23, v5
	v_or3_b32 v61, v26, v0, v25
.LBB314_208:                            ;   in Loop: Header=BB314_13 Depth=1
	s_or_b64 exec, exec, s[44:45]
.LBB314_209:                            ;   in Loop: Header=BB314_13 Depth=1
	s_or_b64 exec, exec, s[42:43]
.LBB314_210:                            ;   in Loop: Header=BB314_13 Depth=1
	s_or_b64 exec, exec, s[6:7]
	global_load_dword v31, v[29:30], off offset:2048
	v_mov_b32_e32 v0, 0
	v_mov_b32_e32 v11, 0
	;; [unrolled: 1-line block ×3, first 2 shown]
	s_waitcnt vmcnt(0)
	v_cmp_ne_u16_sdwa s[4:5], v31, v0 src0_sel:BYTE_0 src1_sel:DWORD
	s_and_saveexec_b64 s[6:7], s[4:5]
	s_cbranch_execz .LBB314_216
; %bb.211:                              ;   in Loop: Header=BB314_13 Depth=1
	v_cmp_ne_u16_sdwa s[4:5], v31, s52 src0_sel:BYTE_0 src1_sel:DWORD
	v_bfrev_b32_e32 v63, 1
	s_and_saveexec_b64 s[42:43], s[4:5]
	s_cbranch_execz .LBB314_215
; %bb.212:                              ;   in Loop: Header=BB314_13 Depth=1
	v_and_b32_e32 v0, 0x7f, v31
	v_cmp_ne_u32_e64 s[4:5], s53, v0
	v_mov_b32_e32 v63, 0x7f800001
	s_and_saveexec_b64 s[44:45], s[4:5]
	s_cbranch_execz .LBB314_214
; %bb.213:                              ;   in Loop: Header=BB314_13 Depth=1
	v_and_b32_e32 v32, 7, v31
	v_lshrrev_b32_e32 v33, 3, v0
	v_cmp_gt_u32_e64 s[4:5], 8, v0
	v_ffbh_u32_e32 v0, v32
	v_min_u32_e32 v0, 32, v0
	v_subrev_u32_e32 v25, 28, v0
	v_lshlrev_b64 v[25:26], v25, v[31:32]
	v_sub_u32_e32 v0, 29, v0
	v_and_b32_e32 v25, 7, v25
	v_cndmask_b32_e64 v0, v33, v0, s[4:5]
	v_cndmask_b32_e64 v25, v32, v25, s[4:5]
	v_lshlrev_b32_e32 v26, 24, v31
	v_bfrev_b32_e32 v5, 60
	v_lshlrev_b32_e32 v25, 20, v25
	v_and_b32_e32 v26, 0x80000000, v26
	v_lshl_add_u32 v0, v0, 23, v5
	v_or3_b32 v63, v26, v0, v25
.LBB314_214:                            ;   in Loop: Header=BB314_13 Depth=1
	s_or_b64 exec, exec, s[44:45]
.LBB314_215:                            ;   in Loop: Header=BB314_13 Depth=1
	s_or_b64 exec, exec, s[42:43]
.LBB314_216:                            ;   in Loop: Header=BB314_13 Depth=1
	s_or_b64 exec, exec, s[6:7]
	v_lshrrev_b16_e32 v32, 8, v31
	v_cmp_ne_u16_e64 s[4:5], 0, v32
	s_and_saveexec_b64 s[6:7], s[4:5]
	s_cbranch_execz .LBB314_222
; %bb.217:                              ;   in Loop: Header=BB314_13 Depth=1
	v_cmp_ne_u16_e64 s[4:5], s52, v32
	v_bfrev_b32_e32 v11, 1
	s_and_saveexec_b64 s[42:43], s[4:5]
	s_cbranch_execz .LBB314_221
; %bb.218:                              ;   in Loop: Header=BB314_13 Depth=1
	v_and_b32_e32 v0, 0x7f, v32
	v_cmp_ne_u32_e64 s[4:5], s53, v0
	v_mov_b32_e32 v11, 0x7f800001
	s_and_saveexec_b64 s[44:45], s[4:5]
	s_cbranch_execz .LBB314_220
; %bb.219:                              ;   in Loop: Header=BB314_13 Depth=1
	v_and_b32_e32 v33, 7, v32
	v_lshrrev_b32_e32 v34, 3, v0
	v_cmp_gt_u32_e64 s[4:5], 8, v0
	v_ffbh_u32_e32 v0, v33
	v_min_u32_e32 v0, 32, v0
	v_subrev_u32_e32 v25, 28, v0
	v_lshlrev_b64 v[25:26], v25, v[32:33]
	v_sub_u32_e32 v0, 29, v0
	v_and_b32_e32 v25, 7, v25
	v_cndmask_b32_e64 v0, v34, v0, s[4:5]
	v_cndmask_b32_e64 v25, v33, v25, s[4:5]
	v_lshlrev_b32_e32 v26, 16, v31
	v_bfrev_b32_e32 v5, 60
	v_lshlrev_b32_e32 v25, 20, v25
	v_and_b32_e32 v26, 0x80000000, v26
	v_lshl_add_u32 v0, v0, 23, v5
	v_or3_b32 v11, v26, v0, v25
.LBB314_220:                            ;   in Loop: Header=BB314_13 Depth=1
	s_or_b64 exec, exec, s[44:45]
.LBB314_221:                            ;   in Loop: Header=BB314_13 Depth=1
	s_or_b64 exec, exec, s[42:43]
.LBB314_222:                            ;   in Loop: Header=BB314_13 Depth=1
	s_or_b64 exec, exec, s[6:7]
	v_lshrrev_b32_e32 v32, 16, v31
	v_mov_b32_e32 v0, 0
	v_cmp_ne_u16_sdwa s[4:5], v32, v0 src0_sel:BYTE_0 src1_sel:DWORD
	v_mov_b32_e32 v36, 0
	v_mov_b32_e32 v0, 0
	buffer_store_dword v0, off, s[60:63], 0 offset:12 ; 4-byte Folded Spill
	s_and_saveexec_b64 s[6:7], s[4:5]
	s_cbranch_execz .LBB314_228
; %bb.223:                              ;   in Loop: Header=BB314_13 Depth=1
	v_cmp_ne_u16_sdwa s[4:5], v32, s52 src0_sel:BYTE_0 src1_sel:DWORD
	v_bfrev_b32_e32 v0, 1
	buffer_store_dword v0, off, s[60:63], 0 offset:12 ; 4-byte Folded Spill
	s_and_saveexec_b64 s[42:43], s[4:5]
	s_cbranch_execz .LBB314_227
; %bb.224:                              ;   in Loop: Header=BB314_13 Depth=1
	v_bfe_u32 v0, v31, 16, 7
	v_cmp_ne_u32_e64 s[4:5], s53, v0
	v_mov_b32_e32 v5, 0x7f800001
	buffer_store_dword v5, off, s[60:63], 0 offset:12 ; 4-byte Folded Spill
	s_and_saveexec_b64 s[44:45], s[4:5]
	s_cbranch_execz .LBB314_226
; %bb.225:                              ;   in Loop: Header=BB314_13 Depth=1
	v_and_b32_e32 v33, 7, v32
	v_lshrrev_b32_e32 v34, 3, v0
	v_cmp_gt_u32_e64 s[4:5], 8, v0
	v_ffbh_u32_e32 v0, v33
	v_min_u32_e32 v0, 32, v0
	v_subrev_u32_e32 v25, 28, v0
	v_lshlrev_b64 v[25:26], v25, v[32:33]
	v_sub_u32_e32 v0, 29, v0
	v_and_b32_e32 v25, 7, v25
	v_cndmask_b32_e64 v0, v34, v0, s[4:5]
	v_cndmask_b32_e64 v25, v33, v25, s[4:5]
	v_lshlrev_b32_e32 v26, 24, v32
	v_bfrev_b32_e32 v5, 60
	v_lshlrev_b32_e32 v25, 20, v25
	v_and_b32_e32 v26, 0x80000000, v26
	v_lshl_add_u32 v0, v0, 23, v5
	v_or3_b32 v0, v26, v0, v25
	buffer_store_dword v0, off, s[60:63], 0 offset:12 ; 4-byte Folded Spill
.LBB314_226:                            ;   in Loop: Header=BB314_13 Depth=1
	s_or_b64 exec, exec, s[44:45]
.LBB314_227:                            ;   in Loop: Header=BB314_13 Depth=1
	s_or_b64 exec, exec, s[42:43]
.LBB314_228:                            ;   in Loop: Header=BB314_13 Depth=1
	s_or_b64 exec, exec, s[6:7]
	v_cmp_lt_u32_e64 s[4:5], s54, v31
	s_and_saveexec_b64 s[6:7], s[4:5]
	s_cbranch_execz .LBB314_234
; %bb.229:                              ;   in Loop: Header=BB314_13 Depth=1
	v_lshrrev_b32_e32 v32, 24, v31
	v_cmp_ne_u32_e64 s[4:5], s52, v32
	v_bfrev_b32_e32 v36, 1
	s_and_saveexec_b64 s[42:43], s[4:5]
	s_cbranch_execz .LBB314_233
; %bb.230:                              ;   in Loop: Header=BB314_13 Depth=1
	v_bfe_u32 v0, v31, 24, 7
	v_cmp_ne_u32_e64 s[4:5], s53, v0
	v_mov_b32_e32 v36, 0x7f800001
	s_and_saveexec_b64 s[44:45], s[4:5]
	s_cbranch_execz .LBB314_232
; %bb.231:                              ;   in Loop: Header=BB314_13 Depth=1
	v_and_b32_e32 v31, 7, v32
	v_lshrrev_b32_e32 v33, 3, v0
	v_cmp_gt_u32_e64 s[4:5], 8, v0
	v_ffbh_u32_e32 v0, v31
	v_min_u32_e32 v0, 32, v0
	v_subrev_u32_e32 v25, 28, v0
	v_lshlrev_b64 v[25:26], v25, v[32:33]
	v_sub_u32_e32 v0, 29, v0
	v_and_b32_e32 v25, 7, v25
	v_cndmask_b32_e64 v0, v33, v0, s[4:5]
	v_cndmask_b32_e64 v25, v31, v25, s[4:5]
	v_lshlrev_b32_e32 v26, 24, v32
	v_bfrev_b32_e32 v5, 60
	v_lshlrev_b32_e32 v25, 20, v25
	v_and_b32_e32 v26, 0x80000000, v26
	v_lshl_add_u32 v0, v0, 23, v5
	v_or3_b32 v36, v26, v0, v25
.LBB314_232:                            ;   in Loop: Header=BB314_13 Depth=1
	s_or_b64 exec, exec, s[44:45]
.LBB314_233:                            ;   in Loop: Header=BB314_13 Depth=1
	s_or_b64 exec, exec, s[42:43]
.LBB314_234:                            ;   in Loop: Header=BB314_13 Depth=1
	s_or_b64 exec, exec, s[6:7]
	global_load_dword v31, v[29:30], off offset:2056
	v_mov_b32_e32 v0, 0
	buffer_store_dword v0, off, s[60:63], 0 offset:20 ; 4-byte Folded Spill
	v_mov_b32_e32 v0, 0
	s_waitcnt vmcnt(1)
	v_cmp_ne_u16_sdwa s[4:5], v31, v0 src0_sel:BYTE_0 src1_sel:DWORD
	v_mov_b32_e32 v0, 0
	buffer_store_dword v0, off, s[60:63], 0 offset:16 ; 4-byte Folded Spill
	s_and_saveexec_b64 s[6:7], s[4:5]
	s_cbranch_execz .LBB314_240
; %bb.235:                              ;   in Loop: Header=BB314_13 Depth=1
	v_cmp_ne_u16_sdwa s[4:5], v31, s52 src0_sel:BYTE_0 src1_sel:DWORD
	v_bfrev_b32_e32 v0, 1
	buffer_store_dword v0, off, s[60:63], 0 offset:16 ; 4-byte Folded Spill
	s_and_saveexec_b64 s[42:43], s[4:5]
	s_cbranch_execz .LBB314_239
; %bb.236:                              ;   in Loop: Header=BB314_13 Depth=1
	v_and_b32_e32 v0, 0x7f, v31
	v_cmp_ne_u32_e64 s[4:5], s53, v0
	v_mov_b32_e32 v5, 0x7f800001
	buffer_store_dword v5, off, s[60:63], 0 offset:16 ; 4-byte Folded Spill
	s_and_saveexec_b64 s[44:45], s[4:5]
	s_cbranch_execz .LBB314_238
; %bb.237:                              ;   in Loop: Header=BB314_13 Depth=1
	v_and_b32_e32 v32, 7, v31
	v_lshrrev_b32_e32 v33, 3, v0
	v_cmp_gt_u32_e64 s[4:5], 8, v0
	v_ffbh_u32_e32 v0, v32
	v_min_u32_e32 v0, 32, v0
	v_subrev_u32_e32 v25, 28, v0
	v_lshlrev_b64 v[25:26], v25, v[31:32]
	v_sub_u32_e32 v0, 29, v0
	v_and_b32_e32 v25, 7, v25
	v_cndmask_b32_e64 v0, v33, v0, s[4:5]
	v_cndmask_b32_e64 v25, v32, v25, s[4:5]
	v_lshlrev_b32_e32 v26, 24, v31
	v_bfrev_b32_e32 v5, 60
	v_lshlrev_b32_e32 v25, 20, v25
	v_and_b32_e32 v26, 0x80000000, v26
	v_lshl_add_u32 v0, v0, 23, v5
	v_or3_b32 v0, v26, v0, v25
	buffer_store_dword v0, off, s[60:63], 0 offset:16 ; 4-byte Folded Spill
.LBB314_238:                            ;   in Loop: Header=BB314_13 Depth=1
	s_or_b64 exec, exec, s[44:45]
.LBB314_239:                            ;   in Loop: Header=BB314_13 Depth=1
	s_or_b64 exec, exec, s[42:43]
.LBB314_240:                            ;   in Loop: Header=BB314_13 Depth=1
	s_or_b64 exec, exec, s[6:7]
	v_lshrrev_b16_e32 v32, 8, v31
	v_cmp_ne_u16_e64 s[4:5], 0, v32
	s_and_saveexec_b64 s[6:7], s[4:5]
	s_cbranch_execz .LBB314_246
; %bb.241:                              ;   in Loop: Header=BB314_13 Depth=1
	v_cmp_ne_u16_e64 s[4:5], s52, v32
	v_bfrev_b32_e32 v0, 1
	buffer_store_dword v0, off, s[60:63], 0 offset:20 ; 4-byte Folded Spill
	s_and_saveexec_b64 s[42:43], s[4:5]
	s_cbranch_execz .LBB314_245
; %bb.242:                              ;   in Loop: Header=BB314_13 Depth=1
	v_and_b32_e32 v0, 0x7f, v32
	v_cmp_ne_u32_e64 s[4:5], s53, v0
	v_mov_b32_e32 v5, 0x7f800001
	buffer_store_dword v5, off, s[60:63], 0 offset:20 ; 4-byte Folded Spill
	s_and_saveexec_b64 s[44:45], s[4:5]
	s_cbranch_execz .LBB314_244
; %bb.243:                              ;   in Loop: Header=BB314_13 Depth=1
	v_and_b32_e32 v33, 7, v32
	v_lshrrev_b32_e32 v34, 3, v0
	v_cmp_gt_u32_e64 s[4:5], 8, v0
	v_ffbh_u32_e32 v0, v33
	v_min_u32_e32 v0, 32, v0
	v_subrev_u32_e32 v25, 28, v0
	v_lshlrev_b64 v[25:26], v25, v[32:33]
	v_sub_u32_e32 v0, 29, v0
	v_and_b32_e32 v25, 7, v25
	v_cndmask_b32_e64 v0, v34, v0, s[4:5]
	v_cndmask_b32_e64 v25, v33, v25, s[4:5]
	v_lshlrev_b32_e32 v26, 16, v31
	v_bfrev_b32_e32 v5, 60
	v_lshlrev_b32_e32 v25, 20, v25
	v_and_b32_e32 v26, 0x80000000, v26
	v_lshl_add_u32 v0, v0, 23, v5
	v_or3_b32 v0, v26, v0, v25
	buffer_store_dword v0, off, s[60:63], 0 offset:20 ; 4-byte Folded Spill
.LBB314_244:                            ;   in Loop: Header=BB314_13 Depth=1
	s_or_b64 exec, exec, s[44:45]
.LBB314_245:                            ;   in Loop: Header=BB314_13 Depth=1
	s_or_b64 exec, exec, s[42:43]
.LBB314_246:                            ;   in Loop: Header=BB314_13 Depth=1
	s_or_b64 exec, exec, s[6:7]
	v_lshrrev_b32_e32 v32, 16, v31
	v_mov_b32_e32 v0, 0
	v_cmp_ne_u16_sdwa s[4:5], v32, v0 src0_sel:BYTE_0 src1_sel:DWORD
	v_mov_b32_e32 v0, 0
	buffer_store_dword v0, off, s[60:63], 0 offset:44 ; 4-byte Folded Spill
	v_mov_b32_e32 v0, 0
	buffer_store_dword v0, off, s[60:63], 0 offset:24 ; 4-byte Folded Spill
	s_and_saveexec_b64 s[6:7], s[4:5]
	s_cbranch_execz .LBB314_252
; %bb.247:                              ;   in Loop: Header=BB314_13 Depth=1
	v_cmp_ne_u16_sdwa s[4:5], v32, s52 src0_sel:BYTE_0 src1_sel:DWORD
	v_bfrev_b32_e32 v0, 1
	buffer_store_dword v0, off, s[60:63], 0 offset:24 ; 4-byte Folded Spill
	s_and_saveexec_b64 s[42:43], s[4:5]
	s_cbranch_execz .LBB314_251
; %bb.248:                              ;   in Loop: Header=BB314_13 Depth=1
	v_bfe_u32 v0, v31, 16, 7
	v_cmp_ne_u32_e64 s[4:5], s53, v0
	v_mov_b32_e32 v5, 0x7f800001
	buffer_store_dword v5, off, s[60:63], 0 offset:24 ; 4-byte Folded Spill
	s_and_saveexec_b64 s[44:45], s[4:5]
	s_cbranch_execz .LBB314_250
; %bb.249:                              ;   in Loop: Header=BB314_13 Depth=1
	v_and_b32_e32 v33, 7, v32
	v_lshrrev_b32_e32 v34, 3, v0
	v_cmp_gt_u32_e64 s[4:5], 8, v0
	v_ffbh_u32_e32 v0, v33
	v_min_u32_e32 v0, 32, v0
	v_subrev_u32_e32 v25, 28, v0
	v_lshlrev_b64 v[25:26], v25, v[32:33]
	v_sub_u32_e32 v0, 29, v0
	v_and_b32_e32 v25, 7, v25
	v_cndmask_b32_e64 v0, v34, v0, s[4:5]
	v_cndmask_b32_e64 v25, v33, v25, s[4:5]
	v_lshlrev_b32_e32 v26, 24, v32
	v_bfrev_b32_e32 v5, 60
	v_lshlrev_b32_e32 v25, 20, v25
	v_and_b32_e32 v26, 0x80000000, v26
	v_lshl_add_u32 v0, v0, 23, v5
	v_or3_b32 v0, v26, v0, v25
	buffer_store_dword v0, off, s[60:63], 0 offset:24 ; 4-byte Folded Spill
.LBB314_250:                            ;   in Loop: Header=BB314_13 Depth=1
	s_or_b64 exec, exec, s[44:45]
.LBB314_251:                            ;   in Loop: Header=BB314_13 Depth=1
	s_or_b64 exec, exec, s[42:43]
.LBB314_252:                            ;   in Loop: Header=BB314_13 Depth=1
	s_or_b64 exec, exec, s[6:7]
	v_cmp_lt_u32_e64 s[4:5], s54, v31
	s_and_saveexec_b64 s[6:7], s[4:5]
	s_cbranch_execz .LBB314_258
; %bb.253:                              ;   in Loop: Header=BB314_13 Depth=1
	v_lshrrev_b32_e32 v32, 24, v31
	v_cmp_ne_u32_e64 s[4:5], s52, v32
	v_bfrev_b32_e32 v0, 1
	buffer_store_dword v0, off, s[60:63], 0 offset:44 ; 4-byte Folded Spill
	s_and_saveexec_b64 s[42:43], s[4:5]
	s_cbranch_execz .LBB314_257
; %bb.254:                              ;   in Loop: Header=BB314_13 Depth=1
	v_bfe_u32 v0, v31, 24, 7
	v_cmp_ne_u32_e64 s[4:5], s53, v0
	v_mov_b32_e32 v5, 0x7f800001
	s_and_saveexec_b64 s[44:45], s[4:5]
	s_cbranch_execz .LBB314_256
; %bb.255:                              ;   in Loop: Header=BB314_13 Depth=1
	v_and_b32_e32 v31, 7, v32
	v_lshrrev_b32_e32 v33, 3, v0
	v_cmp_gt_u32_e64 s[4:5], 8, v0
	v_ffbh_u32_e32 v0, v31
	v_min_u32_e32 v0, 32, v0
	v_subrev_u32_e32 v25, 28, v0
	v_lshlrev_b64 v[25:26], v25, v[32:33]
	v_sub_u32_e32 v0, 29, v0
	v_and_b32_e32 v25, 7, v25
	v_cndmask_b32_e64 v0, v33, v0, s[4:5]
	v_cndmask_b32_e64 v25, v31, v25, s[4:5]
	v_lshlrev_b32_e32 v26, 24, v32
	v_bfrev_b32_e32 v5, 60
	v_lshlrev_b32_e32 v25, 20, v25
	v_and_b32_e32 v26, 0x80000000, v26
	v_lshl_add_u32 v0, v0, 23, v5
	v_or3_b32 v5, v26, v0, v25
.LBB314_256:                            ;   in Loop: Header=BB314_13 Depth=1
	s_or_b64 exec, exec, s[44:45]
	buffer_store_dword v5, off, s[60:63], 0 offset:44 ; 4-byte Folded Spill
.LBB314_257:                            ;   in Loop: Header=BB314_13 Depth=1
	s_or_b64 exec, exec, s[42:43]
.LBB314_258:                            ;   in Loop: Header=BB314_13 Depth=1
	s_or_b64 exec, exec, s[6:7]
	global_load_dword v31, v[29:30], off offset:2560
	v_mov_b32_e32 v0, 0
	buffer_store_dword v0, off, s[60:63], 0 offset:32 ; 4-byte Folded Spill
	v_mov_b32_e32 v0, 0
	s_waitcnt vmcnt(1)
	v_cmp_ne_u16_sdwa s[4:5], v31, v0 src0_sel:BYTE_0 src1_sel:DWORD
	v_mov_b32_e32 v0, 0
	buffer_store_dword v0, off, s[60:63], 0 offset:28 ; 4-byte Folded Spill
	s_and_saveexec_b64 s[6:7], s[4:5]
	s_cbranch_execz .LBB314_264
; %bb.259:                              ;   in Loop: Header=BB314_13 Depth=1
	v_cmp_ne_u16_sdwa s[4:5], v31, s52 src0_sel:BYTE_0 src1_sel:DWORD
	v_bfrev_b32_e32 v0, 1
	buffer_store_dword v0, off, s[60:63], 0 offset:28 ; 4-byte Folded Spill
	s_and_saveexec_b64 s[42:43], s[4:5]
	s_cbranch_execz .LBB314_263
; %bb.260:                              ;   in Loop: Header=BB314_13 Depth=1
	v_and_b32_e32 v0, 0x7f, v31
	v_cmp_ne_u32_e64 s[4:5], s53, v0
	v_mov_b32_e32 v5, 0x7f800001
	buffer_store_dword v5, off, s[60:63], 0 offset:28 ; 4-byte Folded Spill
	s_and_saveexec_b64 s[44:45], s[4:5]
	s_cbranch_execz .LBB314_262
; %bb.261:                              ;   in Loop: Header=BB314_13 Depth=1
	v_and_b32_e32 v32, 7, v31
	v_lshrrev_b32_e32 v33, 3, v0
	v_cmp_gt_u32_e64 s[4:5], 8, v0
	v_ffbh_u32_e32 v0, v32
	v_min_u32_e32 v0, 32, v0
	v_subrev_u32_e32 v25, 28, v0
	v_lshlrev_b64 v[25:26], v25, v[31:32]
	v_sub_u32_e32 v0, 29, v0
	v_and_b32_e32 v25, 7, v25
	v_cndmask_b32_e64 v0, v33, v0, s[4:5]
	v_cndmask_b32_e64 v25, v32, v25, s[4:5]
	v_lshlrev_b32_e32 v26, 24, v31
	v_bfrev_b32_e32 v5, 60
	v_lshlrev_b32_e32 v25, 20, v25
	v_and_b32_e32 v26, 0x80000000, v26
	v_lshl_add_u32 v0, v0, 23, v5
	v_or3_b32 v0, v26, v0, v25
	buffer_store_dword v0, off, s[60:63], 0 offset:28 ; 4-byte Folded Spill
.LBB314_262:                            ;   in Loop: Header=BB314_13 Depth=1
	s_or_b64 exec, exec, s[44:45]
.LBB314_263:                            ;   in Loop: Header=BB314_13 Depth=1
	s_or_b64 exec, exec, s[42:43]
.LBB314_264:                            ;   in Loop: Header=BB314_13 Depth=1
	s_or_b64 exec, exec, s[6:7]
	v_lshrrev_b16_e32 v32, 8, v31
	v_cmp_ne_u16_e64 s[4:5], 0, v32
	s_and_saveexec_b64 s[6:7], s[4:5]
	s_cbranch_execz .LBB314_270
; %bb.265:                              ;   in Loop: Header=BB314_13 Depth=1
	v_cmp_ne_u16_e64 s[4:5], s52, v32
	v_bfrev_b32_e32 v0, 1
	buffer_store_dword v0, off, s[60:63], 0 offset:32 ; 4-byte Folded Spill
	s_and_saveexec_b64 s[42:43], s[4:5]
	s_cbranch_execz .LBB314_269
; %bb.266:                              ;   in Loop: Header=BB314_13 Depth=1
	v_and_b32_e32 v0, 0x7f, v32
	v_cmp_ne_u32_e64 s[4:5], s53, v0
	v_mov_b32_e32 v5, 0x7f800001
	buffer_store_dword v5, off, s[60:63], 0 offset:32 ; 4-byte Folded Spill
	s_and_saveexec_b64 s[44:45], s[4:5]
	s_cbranch_execz .LBB314_268
; %bb.267:                              ;   in Loop: Header=BB314_13 Depth=1
	v_and_b32_e32 v33, 7, v32
	v_lshrrev_b32_e32 v34, 3, v0
	v_cmp_gt_u32_e64 s[4:5], 8, v0
	v_ffbh_u32_e32 v0, v33
	v_min_u32_e32 v0, 32, v0
	v_subrev_u32_e32 v25, 28, v0
	v_lshlrev_b64 v[25:26], v25, v[32:33]
	v_sub_u32_e32 v0, 29, v0
	v_and_b32_e32 v25, 7, v25
	v_cndmask_b32_e64 v0, v34, v0, s[4:5]
	v_cndmask_b32_e64 v25, v33, v25, s[4:5]
	v_lshlrev_b32_e32 v26, 16, v31
	v_bfrev_b32_e32 v5, 60
	v_lshlrev_b32_e32 v25, 20, v25
	v_and_b32_e32 v26, 0x80000000, v26
	v_lshl_add_u32 v0, v0, 23, v5
	v_or3_b32 v0, v26, v0, v25
	buffer_store_dword v0, off, s[60:63], 0 offset:32 ; 4-byte Folded Spill
.LBB314_268:                            ;   in Loop: Header=BB314_13 Depth=1
	s_or_b64 exec, exec, s[44:45]
.LBB314_269:                            ;   in Loop: Header=BB314_13 Depth=1
	s_or_b64 exec, exec, s[42:43]
.LBB314_270:                            ;   in Loop: Header=BB314_13 Depth=1
	s_or_b64 exec, exec, s[6:7]
	v_lshrrev_b32_e32 v32, 16, v31
	v_mov_b32_e32 v0, 0
	v_cmp_ne_u16_sdwa s[4:5], v32, v0 src0_sel:BYTE_0 src1_sel:DWORD
	v_mov_b32_e32 v0, 0
	buffer_store_dword v0, off, s[60:63], 0 offset:48 ; 4-byte Folded Spill
	v_mov_b32_e32 v0, 0
	buffer_store_dword v0, off, s[60:63], 0 offset:36 ; 4-byte Folded Spill
	s_and_saveexec_b64 s[6:7], s[4:5]
	s_cbranch_execz .LBB314_276
; %bb.271:                              ;   in Loop: Header=BB314_13 Depth=1
	v_cmp_ne_u16_sdwa s[4:5], v32, s52 src0_sel:BYTE_0 src1_sel:DWORD
	v_bfrev_b32_e32 v0, 1
	buffer_store_dword v0, off, s[60:63], 0 offset:36 ; 4-byte Folded Spill
	s_and_saveexec_b64 s[42:43], s[4:5]
	s_cbranch_execz .LBB314_275
; %bb.272:                              ;   in Loop: Header=BB314_13 Depth=1
	v_bfe_u32 v0, v31, 16, 7
	v_cmp_ne_u32_e64 s[4:5], s53, v0
	v_mov_b32_e32 v5, 0x7f800001
	buffer_store_dword v5, off, s[60:63], 0 offset:36 ; 4-byte Folded Spill
	s_and_saveexec_b64 s[44:45], s[4:5]
	s_cbranch_execz .LBB314_274
; %bb.273:                              ;   in Loop: Header=BB314_13 Depth=1
	v_and_b32_e32 v33, 7, v32
	v_lshrrev_b32_e32 v34, 3, v0
	v_cmp_gt_u32_e64 s[4:5], 8, v0
	v_ffbh_u32_e32 v0, v33
	v_min_u32_e32 v0, 32, v0
	v_subrev_u32_e32 v25, 28, v0
	v_lshlrev_b64 v[25:26], v25, v[32:33]
	v_sub_u32_e32 v0, 29, v0
	v_and_b32_e32 v25, 7, v25
	v_cndmask_b32_e64 v0, v34, v0, s[4:5]
	v_cndmask_b32_e64 v25, v33, v25, s[4:5]
	v_lshlrev_b32_e32 v26, 24, v32
	v_bfrev_b32_e32 v5, 60
	v_lshlrev_b32_e32 v25, 20, v25
	v_and_b32_e32 v26, 0x80000000, v26
	v_lshl_add_u32 v0, v0, 23, v5
	v_or3_b32 v0, v26, v0, v25
	buffer_store_dword v0, off, s[60:63], 0 offset:36 ; 4-byte Folded Spill
.LBB314_274:                            ;   in Loop: Header=BB314_13 Depth=1
	s_or_b64 exec, exec, s[44:45]
.LBB314_275:                            ;   in Loop: Header=BB314_13 Depth=1
	s_or_b64 exec, exec, s[42:43]
.LBB314_276:                            ;   in Loop: Header=BB314_13 Depth=1
	s_or_b64 exec, exec, s[6:7]
	v_cmp_lt_u32_e64 s[4:5], s54, v31
	s_and_saveexec_b64 s[6:7], s[4:5]
	s_cbranch_execz .LBB314_282
; %bb.277:                              ;   in Loop: Header=BB314_13 Depth=1
	v_lshrrev_b32_e32 v32, 24, v31
	v_cmp_ne_u32_e64 s[4:5], s52, v32
	v_bfrev_b32_e32 v0, 1
	buffer_store_dword v0, off, s[60:63], 0 offset:48 ; 4-byte Folded Spill
	s_and_saveexec_b64 s[42:43], s[4:5]
	s_cbranch_execz .LBB314_281
; %bb.278:                              ;   in Loop: Header=BB314_13 Depth=1
	v_bfe_u32 v0, v31, 24, 7
	v_cmp_ne_u32_e64 s[4:5], s53, v0
	v_mov_b32_e32 v5, 0x7f800001
	s_and_saveexec_b64 s[44:45], s[4:5]
	s_cbranch_execz .LBB314_280
; %bb.279:                              ;   in Loop: Header=BB314_13 Depth=1
	v_and_b32_e32 v31, 7, v32
	v_lshrrev_b32_e32 v33, 3, v0
	v_cmp_gt_u32_e64 s[4:5], 8, v0
	v_ffbh_u32_e32 v0, v31
	v_min_u32_e32 v0, 32, v0
	v_subrev_u32_e32 v25, 28, v0
	v_lshlrev_b64 v[25:26], v25, v[32:33]
	v_sub_u32_e32 v0, 29, v0
	v_and_b32_e32 v25, 7, v25
	v_cndmask_b32_e64 v0, v33, v0, s[4:5]
	v_cndmask_b32_e64 v25, v31, v25, s[4:5]
	v_lshlrev_b32_e32 v26, 24, v32
	v_bfrev_b32_e32 v5, 60
	v_lshlrev_b32_e32 v25, 20, v25
	v_and_b32_e32 v26, 0x80000000, v26
	v_lshl_add_u32 v0, v0, 23, v5
	v_or3_b32 v5, v26, v0, v25
.LBB314_280:                            ;   in Loop: Header=BB314_13 Depth=1
	s_or_b64 exec, exec, s[44:45]
	buffer_store_dword v5, off, s[60:63], 0 offset:48 ; 4-byte Folded Spill
.LBB314_281:                            ;   in Loop: Header=BB314_13 Depth=1
	s_or_b64 exec, exec, s[42:43]
.LBB314_282:                            ;   in Loop: Header=BB314_13 Depth=1
	s_or_b64 exec, exec, s[6:7]
	global_load_dword v31, v[29:30], off offset:2568
	v_mov_b32_e32 v0, 0
	v_mov_b32_e32 v26, 0
	;; [unrolled: 1-line block ×3, first 2 shown]
	s_waitcnt vmcnt(0)
	v_cmp_ne_u16_sdwa s[4:5], v31, v0 src0_sel:BYTE_0 src1_sel:DWORD
	s_and_saveexec_b64 s[6:7], s[4:5]
	s_cbranch_execz .LBB314_288
; %bb.283:                              ;   in Loop: Header=BB314_13 Depth=1
	v_cmp_ne_u16_sdwa s[4:5], v31, s52 src0_sel:BYTE_0 src1_sel:DWORD
	v_bfrev_b32_e32 v5, 1
	s_and_saveexec_b64 s[42:43], s[4:5]
	s_cbranch_execz .LBB314_287
; %bb.284:                              ;   in Loop: Header=BB314_13 Depth=1
	v_and_b32_e32 v0, 0x7f, v31
	v_cmp_ne_u32_e64 s[4:5], s53, v0
	v_mov_b32_e32 v5, 0x7f800001
	s_and_saveexec_b64 s[44:45], s[4:5]
	s_cbranch_execz .LBB314_286
; %bb.285:                              ;   in Loop: Header=BB314_13 Depth=1
	v_and_b32_e32 v32, 7, v31
	v_lshrrev_b32_e32 v33, 3, v0
	v_cmp_gt_u32_e64 s[4:5], 8, v0
	v_ffbh_u32_e32 v0, v32
	v_min_u32_e32 v0, 32, v0
	v_subrev_u32_e32 v25, 28, v0
	v_lshlrev_b64 v[25:26], v25, v[31:32]
	v_sub_u32_e32 v0, 29, v0
	v_and_b32_e32 v25, 7, v25
	v_cndmask_b32_e64 v0, v33, v0, s[4:5]
	v_cndmask_b32_e64 v25, v32, v25, s[4:5]
	v_lshlrev_b32_e32 v26, 24, v31
	v_bfrev_b32_e32 v5, 60
	v_lshlrev_b32_e32 v25, 20, v25
	v_and_b32_e32 v26, 0x80000000, v26
	v_lshl_add_u32 v0, v0, 23, v5
	v_or3_b32 v5, v26, v0, v25
	v_mov_b32_e32 v26, 0
.LBB314_286:                            ;   in Loop: Header=BB314_13 Depth=1
	s_or_b64 exec, exec, s[44:45]
.LBB314_287:                            ;   in Loop: Header=BB314_13 Depth=1
	s_or_b64 exec, exec, s[42:43]
.LBB314_288:                            ;   in Loop: Header=BB314_13 Depth=1
	s_or_b64 exec, exec, s[6:7]
	v_lshrrev_b16_e32 v32, 8, v31
	v_cmp_ne_u16_e64 s[4:5], 0, v32
	buffer_store_dword v5, off, s[60:63], 0 offset:184 ; 4-byte Folded Spill
	s_and_saveexec_b64 s[6:7], s[4:5]
	s_cbranch_execz .LBB314_294
; %bb.289:                              ;   in Loop: Header=BB314_13 Depth=1
	v_cmp_ne_u16_e64 s[4:5], s52, v32
	v_bfrev_b32_e32 v26, 1
	s_and_saveexec_b64 s[42:43], s[4:5]
	s_cbranch_execz .LBB314_293
; %bb.290:                              ;   in Loop: Header=BB314_13 Depth=1
	v_and_b32_e32 v0, 0x7f, v32
	v_cmp_ne_u32_e64 s[4:5], s53, v0
	v_mov_b32_e32 v26, 0x7f800001
	s_and_saveexec_b64 s[44:45], s[4:5]
	s_cbranch_execz .LBB314_292
; %bb.291:                              ;   in Loop: Header=BB314_13 Depth=1
	v_and_b32_e32 v33, 7, v32
	v_lshrrev_b32_e32 v34, 3, v0
	v_cmp_gt_u32_e64 s[4:5], 8, v0
	v_ffbh_u32_e32 v0, v33
	v_min_u32_e32 v0, 32, v0
	v_subrev_u32_e32 v25, 28, v0
	v_lshlrev_b64 v[25:26], v25, v[32:33]
	v_sub_u32_e32 v0, 29, v0
	v_and_b32_e32 v25, 7, v25
	v_cndmask_b32_e64 v0, v34, v0, s[4:5]
	v_cndmask_b32_e64 v25, v33, v25, s[4:5]
	v_lshlrev_b32_e32 v26, 16, v31
	v_bfrev_b32_e32 v5, 60
	v_lshlrev_b32_e32 v25, 20, v25
	v_and_b32_e32 v26, 0x80000000, v26
	v_lshl_add_u32 v0, v0, 23, v5
	v_or3_b32 v26, v26, v0, v25
.LBB314_292:                            ;   in Loop: Header=BB314_13 Depth=1
	s_or_b64 exec, exec, s[44:45]
.LBB314_293:                            ;   in Loop: Header=BB314_13 Depth=1
	s_or_b64 exec, exec, s[42:43]
.LBB314_294:                            ;   in Loop: Header=BB314_13 Depth=1
	s_or_b64 exec, exec, s[6:7]
	v_lshrrev_b32_e32 v32, 16, v31
	v_mov_b32_e32 v0, 0
	v_cmp_ne_u16_sdwa s[4:5], v32, v0 src0_sel:BYTE_0 src1_sel:DWORD
	v_mov_b32_e32 v0, 0
	buffer_store_dword v0, off, s[60:63], 0 offset:52 ; 4-byte Folded Spill
	v_mov_b32_e32 v0, 0
	buffer_store_dword v0, off, s[60:63], 0 offset:40 ; 4-byte Folded Spill
	s_and_saveexec_b64 s[6:7], s[4:5]
	s_cbranch_execz .LBB314_300
; %bb.295:                              ;   in Loop: Header=BB314_13 Depth=1
	v_cmp_ne_u16_sdwa s[4:5], v32, s52 src0_sel:BYTE_0 src1_sel:DWORD
	v_bfrev_b32_e32 v0, 1
	buffer_store_dword v0, off, s[60:63], 0 offset:40 ; 4-byte Folded Spill
	s_and_saveexec_b64 s[42:43], s[4:5]
	s_cbranch_execz .LBB314_299
; %bb.296:                              ;   in Loop: Header=BB314_13 Depth=1
	v_bfe_u32 v25, v31, 16, 7
	v_cmp_ne_u32_e64 s[4:5], s53, v25
	v_mov_b32_e32 v0, 0x7f800001
	buffer_store_dword v0, off, s[60:63], 0 offset:40 ; 4-byte Folded Spill
	s_and_saveexec_b64 s[44:45], s[4:5]
	s_cbranch_execz .LBB314_298
; %bb.297:                              ;   in Loop: Header=BB314_13 Depth=1
	v_and_b32_e32 v0, 7, v32
	v_lshrrev_b32_e32 v35, 3, v25
	v_cmp_gt_u32_e64 s[4:5], 8, v25
	v_ffbh_u32_e32 v25, v0
	v_min_u32_e32 v25, 32, v25
	v_subrev_u32_e32 v33, 28, v25
	v_lshlrev_b64 v[33:34], v33, v[32:33]
	v_sub_u32_e32 v25, 29, v25
	v_and_b32_e32 v33, 7, v33
	v_cndmask_b32_e64 v25, v35, v25, s[4:5]
	v_cndmask_b32_e64 v0, v0, v33, s[4:5]
	v_lshlrev_b32_e32 v32, 24, v32
	v_bfrev_b32_e32 v5, 60
	v_lshlrev_b32_e32 v0, 20, v0
	v_and_b32_e32 v32, 0x80000000, v32
	v_lshl_add_u32 v25, v25, 23, v5
	v_or3_b32 v0, v32, v25, v0
	buffer_store_dword v0, off, s[60:63], 0 offset:40 ; 4-byte Folded Spill
.LBB314_298:                            ;   in Loop: Header=BB314_13 Depth=1
	s_or_b64 exec, exec, s[44:45]
.LBB314_299:                            ;   in Loop: Header=BB314_13 Depth=1
	s_or_b64 exec, exec, s[42:43]
.LBB314_300:                            ;   in Loop: Header=BB314_13 Depth=1
	s_or_b64 exec, exec, s[6:7]
	v_cmp_lt_u32_e64 s[4:5], s54, v31
	s_mov_b64 s[6:7], exec
	s_and_b64 s[4:5], s[6:7], s[4:5]
	buffer_store_dword v26, off, s[60:63], 0 offset:188 ; 4-byte Folded Spill
	s_mov_b64 exec, s[4:5]
	s_cbranch_execz .LBB314_306
; %bb.301:                              ;   in Loop: Header=BB314_13 Depth=1
	v_lshrrev_b32_e32 v32, 24, v31
	v_cmp_ne_u32_e64 s[4:5], s52, v32
	v_bfrev_b32_e32 v0, 1
	buffer_store_dword v0, off, s[60:63], 0 offset:52 ; 4-byte Folded Spill
	s_and_saveexec_b64 s[42:43], s[4:5]
	s_cbranch_execz .LBB314_305
; %bb.302:                              ;   in Loop: Header=BB314_13 Depth=1
	v_bfe_u32 v25, v31, 24, 7
	v_cmp_ne_u32_e64 s[4:5], s53, v25
	v_mov_b32_e32 v0, 0x7f800001
	s_and_saveexec_b64 s[44:45], s[4:5]
	s_cbranch_execz .LBB314_304
; %bb.303:                              ;   in Loop: Header=BB314_13 Depth=1
	v_and_b32_e32 v31, 7, v32
	v_lshrrev_b32_e32 v33, 3, v25
	v_cmp_gt_u32_e64 s[4:5], 8, v25
	v_ffbh_u32_e32 v25, v31
	v_min_u32_e32 v34, 32, v25
	v_subrev_u32_e32 v25, 28, v34
	v_lshlrev_b64 v[25:26], v25, v[32:33]
	v_sub_u32_e32 v26, 29, v34
	v_and_b32_e32 v25, 7, v25
	v_cndmask_b32_e64 v26, v33, v26, s[4:5]
	v_cndmask_b32_e64 v25, v31, v25, s[4:5]
	v_lshlrev_b32_e32 v31, 24, v32
	v_bfrev_b32_e32 v0, 60
	v_lshlrev_b32_e32 v25, 20, v25
	v_and_b32_e32 v31, 0x80000000, v31
	v_lshl_add_u32 v26, v26, 23, v0
	v_or3_b32 v0, v31, v26, v25
.LBB314_304:                            ;   in Loop: Header=BB314_13 Depth=1
	s_or_b64 exec, exec, s[44:45]
	buffer_store_dword v0, off, s[60:63], 0 offset:52 ; 4-byte Folded Spill
.LBB314_305:                            ;   in Loop: Header=BB314_13 Depth=1
	s_or_b64 exec, exec, s[42:43]
.LBB314_306:                            ;   in Loop: Header=BB314_13 Depth=1
	s_or_b64 exec, exec, s[6:7]
	global_load_dword v31, v[29:30], off offset:3072
	v_mov_b32_e32 v0, 0
	v_mov_b32_e32 v26, 0
	;; [unrolled: 1-line block ×3, first 2 shown]
	s_waitcnt vmcnt(0)
	v_cmp_ne_u16_sdwa s[4:5], v31, v0 src0_sel:BYTE_0 src1_sel:DWORD
	s_and_saveexec_b64 s[6:7], s[4:5]
	s_cbranch_execz .LBB314_312
; %bb.307:                              ;   in Loop: Header=BB314_13 Depth=1
	v_cmp_ne_u16_sdwa s[4:5], v31, s52 src0_sel:BYTE_0 src1_sel:DWORD
	v_bfrev_b32_e32 v5, 1
	s_and_saveexec_b64 s[42:43], s[4:5]
	s_cbranch_execz .LBB314_311
; %bb.308:                              ;   in Loop: Header=BB314_13 Depth=1
	v_and_b32_e32 v25, 0x7f, v31
	v_cmp_ne_u32_e64 s[4:5], s53, v25
	v_mov_b32_e32 v5, 0x7f800001
	s_and_saveexec_b64 s[44:45], s[4:5]
	s_cbranch_execz .LBB314_310
; %bb.309:                              ;   in Loop: Header=BB314_13 Depth=1
	v_and_b32_e32 v34, 7, v31
	v_lshrrev_b32_e32 v35, 3, v25
	v_cmp_gt_u32_e64 s[4:5], 8, v25
	v_ffbh_u32_e32 v25, v34
	v_min_u32_e32 v25, 32, v25
	v_subrev_u32_e32 v32, 28, v25
	v_lshlrev_b64 v[32:33], v32, v[31:32]
	v_sub_u32_e32 v25, 29, v25
	v_and_b32_e32 v32, 7, v32
	v_cndmask_b32_e64 v25, v35, v25, s[4:5]
	v_cndmask_b32_e64 v32, v34, v32, s[4:5]
	v_lshlrev_b32_e32 v33, 24, v31
	v_bfrev_b32_e32 v0, 60
	v_lshlrev_b32_e32 v32, 20, v32
	v_and_b32_e32 v33, 0x80000000, v33
	v_lshl_add_u32 v25, v25, 23, v0
	v_or3_b32 v5, v33, v25, v32
.LBB314_310:                            ;   in Loop: Header=BB314_13 Depth=1
	s_or_b64 exec, exec, s[44:45]
.LBB314_311:                            ;   in Loop: Header=BB314_13 Depth=1
	s_or_b64 exec, exec, s[42:43]
.LBB314_312:                            ;   in Loop: Header=BB314_13 Depth=1
	s_or_b64 exec, exec, s[6:7]
	v_lshrrev_b16_e32 v32, 8, v31
	v_cmp_ne_u16_e64 s[4:5], 0, v32
	s_and_saveexec_b64 s[6:7], s[4:5]
	s_cbranch_execz .LBB314_318
; %bb.313:                              ;   in Loop: Header=BB314_13 Depth=1
	v_cmp_ne_u16_e64 s[4:5], s52, v32
	v_bfrev_b32_e32 v26, 1
	s_and_saveexec_b64 s[42:43], s[4:5]
	s_cbranch_execz .LBB314_317
; %bb.314:                              ;   in Loop: Header=BB314_13 Depth=1
	v_and_b32_e32 v25, 0x7f, v32
	v_cmp_ne_u32_e64 s[4:5], s53, v25
	v_mov_b32_e32 v26, 0x7f800001
	s_and_saveexec_b64 s[44:45], s[4:5]
	s_cbranch_execz .LBB314_316
; %bb.315:                              ;   in Loop: Header=BB314_13 Depth=1
	v_and_b32_e32 v34, 7, v32
	v_lshrrev_b32_e32 v35, 3, v25
	v_cmp_gt_u32_e64 s[4:5], 8, v25
	v_ffbh_u32_e32 v25, v34
	v_min_u32_e32 v25, 32, v25
	v_subrev_u32_e32 v33, 28, v25
	v_lshlrev_b64 v[32:33], v33, v[32:33]
	v_sub_u32_e32 v25, 29, v25
	v_and_b32_e32 v32, 7, v32
	v_cndmask_b32_e64 v25, v35, v25, s[4:5]
	v_cndmask_b32_e64 v32, v34, v32, s[4:5]
	v_lshlrev_b32_e32 v33, 16, v31
	v_bfrev_b32_e32 v0, 60
	v_lshlrev_b32_e32 v32, 20, v32
	v_and_b32_e32 v33, 0x80000000, v33
	v_lshl_add_u32 v25, v25, 23, v0
	v_or3_b32 v26, v33, v25, v32
.LBB314_316:                            ;   in Loop: Header=BB314_13 Depth=1
	s_or_b64 exec, exec, s[44:45]
.LBB314_317:                            ;   in Loop: Header=BB314_13 Depth=1
	s_or_b64 exec, exec, s[42:43]
.LBB314_318:                            ;   in Loop: Header=BB314_13 Depth=1
	s_or_b64 exec, exec, s[6:7]
	v_lshrrev_b32_e32 v32, 16, v31
	v_mov_b32_e32 v0, 0
	v_cmp_ne_u16_sdwa s[4:5], v32, v0 src0_sel:BYTE_0 src1_sel:DWORD
	v_mov_b32_e32 v34, 0
	v_mov_b32_e32 v0, 0
	buffer_store_dword v0, off, s[60:63], 0 offset:56 ; 4-byte Folded Spill
	s_mov_b64 s[6:7], exec
	s_and_b64 s[4:5], s[6:7], s[4:5]
	buffer_store_dword v11, off, s[60:63], 0 offset:176 ; 4-byte Folded Spill
	buffer_store_dword v36, off, s[60:63], 0 offset:180 ; 4-byte Folded Spill
	s_mov_b64 exec, s[4:5]
	s_cbranch_execz .LBB314_324
; %bb.319:                              ;   in Loop: Header=BB314_13 Depth=1
	v_cmp_ne_u16_sdwa s[4:5], v32, s52 src0_sel:BYTE_0 src1_sel:DWORD
	v_bfrev_b32_e32 v0, 1
	s_and_saveexec_b64 s[42:43], s[4:5]
	s_cbranch_execz .LBB314_323
; %bb.320:                              ;   in Loop: Header=BB314_13 Depth=1
	v_bfe_u32 v25, v31, 16, 7
	v_cmp_ne_u32_e64 s[4:5], s53, v25
	v_mov_b32_e32 v0, 0x7f800001
	s_and_saveexec_b64 s[44:45], s[4:5]
	s_cbranch_execz .LBB314_322
; %bb.321:                              ;   in Loop: Header=BB314_13 Depth=1
	v_and_b32_e32 v35, 7, v32
	v_lshrrev_b32_e32 v36, 3, v25
	v_cmp_gt_u32_e64 s[4:5], 8, v25
	v_ffbh_u32_e32 v25, v35
	v_min_u32_e32 v25, 32, v25
	v_subrev_u32_e32 v33, 28, v25
	v_lshlrev_b64 v[33:34], v33, v[32:33]
	v_sub_u32_e32 v25, 29, v25
	v_and_b32_e32 v33, 7, v33
	v_cndmask_b32_e64 v25, v36, v25, s[4:5]
	v_cndmask_b32_e64 v33, v35, v33, s[4:5]
	v_lshlrev_b32_e32 v32, 24, v32
	v_bfrev_b32_e32 v0, 60
	v_lshlrev_b32_e32 v33, 20, v33
	v_and_b32_e32 v32, 0x80000000, v32
	v_lshl_add_u32 v25, v25, 23, v0
	v_mov_b32_e32 v34, 0
	v_or3_b32 v0, v32, v25, v33
.LBB314_322:                            ;   in Loop: Header=BB314_13 Depth=1
	s_or_b64 exec, exec, s[44:45]
.LBB314_323:                            ;   in Loop: Header=BB314_13 Depth=1
	s_or_b64 exec, exec, s[42:43]
	buffer_store_dword v0, off, s[60:63], 0 offset:56 ; 4-byte Folded Spill
.LBB314_324:                            ;   in Loop: Header=BB314_13 Depth=1
	s_or_b64 exec, exec, s[6:7]
	v_cmp_lt_u32_e64 s[4:5], s54, v31
	s_and_saveexec_b64 s[6:7], s[4:5]
	s_cbranch_execz .LBB314_330
; %bb.325:                              ;   in Loop: Header=BB314_13 Depth=1
	v_lshrrev_b32_e32 v32, 24, v31
	v_cmp_ne_u32_e64 s[4:5], s52, v32
	v_bfrev_b32_e32 v34, 1
	s_and_saveexec_b64 s[42:43], s[4:5]
	s_cbranch_execz .LBB314_329
; %bb.326:                              ;   in Loop: Header=BB314_13 Depth=1
	v_bfe_u32 v25, v31, 24, 7
	v_cmp_ne_u32_e64 s[4:5], s53, v25
	v_mov_b32_e32 v34, 0x7f800001
	s_and_saveexec_b64 s[44:45], s[4:5]
	s_cbranch_execz .LBB314_328
; %bb.327:                              ;   in Loop: Header=BB314_13 Depth=1
	v_and_b32_e32 v31, 7, v32
	v_lshrrev_b32_e32 v35, 3, v25
	v_cmp_gt_u32_e64 s[4:5], 8, v25
	v_ffbh_u32_e32 v25, v31
	v_min_u32_e32 v25, 32, v25
	v_subrev_u32_e32 v33, 28, v25
	v_lshlrev_b64 v[33:34], v33, v[32:33]
	v_sub_u32_e32 v25, 29, v25
	v_and_b32_e32 v33, 7, v33
	v_cndmask_b32_e64 v25, v35, v25, s[4:5]
	v_cndmask_b32_e64 v31, v31, v33, s[4:5]
	v_lshlrev_b32_e32 v32, 24, v32
	v_bfrev_b32_e32 v0, 60
	v_lshlrev_b32_e32 v31, 20, v31
	v_and_b32_e32 v32, 0x80000000, v32
	v_lshl_add_u32 v25, v25, 23, v0
	v_or3_b32 v34, v32, v25, v31
.LBB314_328:                            ;   in Loop: Header=BB314_13 Depth=1
	s_or_b64 exec, exec, s[44:45]
.LBB314_329:                            ;   in Loop: Header=BB314_13 Depth=1
	s_or_b64 exec, exec, s[42:43]
.LBB314_330:                            ;   in Loop: Header=BB314_13 Depth=1
	s_or_b64 exec, exec, s[6:7]
	global_load_dword v29, v[29:30], off offset:3080
	v_mov_b32_e32 v0, 0
	v_mov_b32_e32 v46, 0
	;; [unrolled: 1-line block ×3, first 2 shown]
	s_waitcnt vmcnt(0)
	v_cmp_ne_u16_sdwa s[4:5], v29, v0 src0_sel:BYTE_0 src1_sel:DWORD
	s_and_saveexec_b64 s[6:7], s[4:5]
	s_cbranch_execz .LBB314_336
; %bb.331:                              ;   in Loop: Header=BB314_13 Depth=1
	v_cmp_ne_u16_sdwa s[4:5], v29, s52 src0_sel:BYTE_0 src1_sel:DWORD
	v_bfrev_b32_e32 v11, 1
	s_and_saveexec_b64 s[42:43], s[4:5]
	s_cbranch_execz .LBB314_335
; %bb.332:                              ;   in Loop: Header=BB314_13 Depth=1
	v_and_b32_e32 v25, 0x7f, v29
	v_cmp_ne_u32_e64 s[4:5], s53, v25
	v_mov_b32_e32 v11, 0x7f800001
	s_and_saveexec_b64 s[44:45], s[4:5]
	s_cbranch_execz .LBB314_334
; %bb.333:                              ;   in Loop: Header=BB314_13 Depth=1
	v_and_b32_e32 v32, 7, v29
	v_lshrrev_b32_e32 v33, 3, v25
	v_cmp_gt_u32_e64 s[4:5], 8, v25
	v_ffbh_u32_e32 v25, v32
	v_min_u32_e32 v25, 32, v25
	v_subrev_u32_e32 v30, 28, v25
	v_lshlrev_b64 v[30:31], v30, v[29:30]
	v_sub_u32_e32 v25, 29, v25
	v_and_b32_e32 v30, 7, v30
	v_cndmask_b32_e64 v25, v33, v25, s[4:5]
	v_cndmask_b32_e64 v30, v32, v30, s[4:5]
	v_lshlrev_b32_e32 v31, 24, v29
	v_bfrev_b32_e32 v0, 60
	v_lshlrev_b32_e32 v30, 20, v30
	v_and_b32_e32 v31, 0x80000000, v31
	v_lshl_add_u32 v25, v25, 23, v0
	v_or3_b32 v11, v31, v25, v30
.LBB314_334:                            ;   in Loop: Header=BB314_13 Depth=1
	s_or_b64 exec, exec, s[44:45]
.LBB314_335:                            ;   in Loop: Header=BB314_13 Depth=1
	s_or_b64 exec, exec, s[42:43]
.LBB314_336:                            ;   in Loop: Header=BB314_13 Depth=1
	s_or_b64 exec, exec, s[6:7]
	v_lshrrev_b16_e32 v30, 8, v29
	v_cmp_ne_u16_e64 s[4:5], 0, v30
	s_and_saveexec_b64 s[6:7], s[4:5]
	s_cbranch_execz .LBB314_342
; %bb.337:                              ;   in Loop: Header=BB314_13 Depth=1
	v_cmp_ne_u16_e64 s[4:5], s52, v30
	v_bfrev_b32_e32 v46, 1
	s_and_saveexec_b64 s[42:43], s[4:5]
	s_cbranch_execz .LBB314_341
; %bb.338:                              ;   in Loop: Header=BB314_13 Depth=1
	v_and_b32_e32 v25, 0x7f, v30
	v_cmp_ne_u32_e64 s[4:5], s53, v25
	v_mov_b32_e32 v46, 0x7f800001
	s_and_saveexec_b64 s[44:45], s[4:5]
	s_cbranch_execz .LBB314_340
; %bb.339:                              ;   in Loop: Header=BB314_13 Depth=1
	v_and_b32_e32 v32, 7, v30
	v_lshrrev_b32_e32 v33, 3, v25
	v_cmp_gt_u32_e64 s[4:5], 8, v25
	v_ffbh_u32_e32 v25, v32
	v_min_u32_e32 v25, 32, v25
	v_subrev_u32_e32 v31, 28, v25
	v_lshlrev_b64 v[30:31], v31, v[30:31]
	v_sub_u32_e32 v25, 29, v25
	v_and_b32_e32 v30, 7, v30
	v_cndmask_b32_e64 v25, v33, v25, s[4:5]
	v_cndmask_b32_e64 v30, v32, v30, s[4:5]
	v_lshlrev_b32_e32 v31, 16, v29
	v_bfrev_b32_e32 v0, 60
	v_lshlrev_b32_e32 v30, 20, v30
	v_and_b32_e32 v31, 0x80000000, v31
	v_lshl_add_u32 v25, v25, 23, v0
	v_or3_b32 v46, v31, v25, v30
.LBB314_340:                            ;   in Loop: Header=BB314_13 Depth=1
	s_or_b64 exec, exec, s[44:45]
.LBB314_341:                            ;   in Loop: Header=BB314_13 Depth=1
	s_or_b64 exec, exec, s[42:43]
.LBB314_342:                            ;   in Loop: Header=BB314_13 Depth=1
	s_or_b64 exec, exec, s[6:7]
	v_lshrrev_b32_e32 v30, 16, v29
	v_mov_b32_e32 v0, 0
	v_cmp_ne_u16_sdwa s[4:5], v30, v0 src0_sel:BYTE_0 src1_sel:DWORD
	v_mov_b32_e32 v31, 0
	v_mov_b32_e32 v0, 0
	s_and_saveexec_b64 s[6:7], s[4:5]
	s_cbranch_execz .LBB314_348
; %bb.343:                              ;   in Loop: Header=BB314_13 Depth=1
	v_cmp_ne_u16_sdwa s[4:5], v30, s52 src0_sel:BYTE_0 src1_sel:DWORD
	v_bfrev_b32_e32 v0, 1
	s_and_saveexec_b64 s[42:43], s[4:5]
	s_cbranch_execz .LBB314_347
; %bb.344:                              ;   in Loop: Header=BB314_13 Depth=1
	v_bfe_u32 v25, v29, 16, 7
	v_cmp_ne_u32_e64 s[4:5], s53, v25
	v_mov_b32_e32 v0, 0x7f800001
	s_and_saveexec_b64 s[44:45], s[4:5]
	s_cbranch_execz .LBB314_346
; %bb.345:                              ;   in Loop: Header=BB314_13 Depth=1
	v_mov_b32_e32 v0, v34
	v_and_b32_e32 v34, 7, v30
	v_lshrrev_b32_e32 v35, 3, v25
	v_cmp_gt_u32_e64 s[4:5], 8, v25
	v_ffbh_u32_e32 v25, v34
	v_min_u32_e32 v25, 32, v25
	v_subrev_u32_e32 v32, 28, v25
	v_lshlrev_b64 v[32:33], v32, v[30:31]
	v_sub_u32_e32 v25, 29, v25
	v_and_b32_e32 v32, 7, v32
	v_cndmask_b32_e64 v25, v35, v25, s[4:5]
	v_cndmask_b32_e64 v32, v34, v32, s[4:5]
	v_mov_b32_e32 v34, v0
	v_lshlrev_b32_e32 v30, 24, v30
	v_bfrev_b32_e32 v0, 60
	v_lshlrev_b32_e32 v32, 20, v32
	v_and_b32_e32 v30, 0x80000000, v30
	v_lshl_add_u32 v25, v25, 23, v0
	v_or3_b32 v0, v30, v25, v32
.LBB314_346:                            ;   in Loop: Header=BB314_13 Depth=1
	s_or_b64 exec, exec, s[44:45]
.LBB314_347:                            ;   in Loop: Header=BB314_13 Depth=1
	s_or_b64 exec, exec, s[42:43]
.LBB314_348:                            ;   in Loop: Header=BB314_13 Depth=1
	s_or_b64 exec, exec, s[6:7]
	buffer_store_dword v34, off, s[60:63], 0 offset:204 ; 4-byte Folded Spill
	buffer_store_dword v0, off, s[60:63], 0 offset:200 ; 4-byte Folded Spill
	buffer_store_dword v26, off, s[60:63], 0 offset:196 ; 4-byte Folded Spill
	buffer_store_dword v5, off, s[60:63], 0 offset:192 ; 4-byte Folded Spill
	buffer_store_dword v63, off, s[60:63], 0 offset:172 ; 4-byte Folded Spill
	buffer_store_dword v62, off, s[60:63], 0 offset:168 ; 4-byte Folded Spill
	buffer_store_dword v61, off, s[60:63], 0 offset:160 ; 4-byte Folded Spill
	buffer_store_dword v60, off, s[60:63], 0 offset:156 ; 4-byte Folded Spill
	buffer_store_dword v59, off, s[60:63], 0 offset:152 ; 4-byte Folded Spill
	buffer_store_dword v58, off, s[60:63], 0 offset:148 ; 4-byte Folded Spill
	buffer_store_dword v57, off, s[60:63], 0 offset:144 ; 4-byte Folded Spill
	buffer_store_dword v56, off, s[60:63], 0 offset:140 ; 4-byte Folded Spill
	buffer_store_dword v55, off, s[60:63], 0 offset:136 ; 4-byte Folded Spill
	buffer_store_dword v45, off, s[60:63], 0 offset:132 ; 4-byte Folded Spill
	buffer_store_dword v44, off, s[60:63], 0 offset:128 ; 4-byte Folded Spill
	buffer_store_dword v43, off, s[60:63], 0 offset:124 ; 4-byte Folded Spill
	buffer_store_dword v41, off, s[60:63], 0 offset:120 ; 4-byte Folded Spill
	v_mov_b32_e32 v45, v40
	v_mov_b32_e32 v40, v39
	;; [unrolled: 1-line block ×9, first 2 shown]
	v_cmp_lt_u32_e64 s[4:5], s54, v29
	s_and_saveexec_b64 s[6:7], s[4:5]
	s_cbranch_execz .LBB314_354
; %bb.349:                              ;   in Loop: Header=BB314_13 Depth=1
	v_lshrrev_b32_e32 v30, 24, v29
	v_cmp_ne_u32_e64 s[4:5], s52, v30
	v_bfrev_b32_e32 v31, 1
	s_and_saveexec_b64 s[42:43], s[4:5]
	s_cbranch_execz .LBB314_353
; %bb.350:                              ;   in Loop: Header=BB314_13 Depth=1
	v_bfe_u32 v25, v29, 24, 7
	v_cmp_ne_u32_e64 s[4:5], s53, v25
	v_mov_b32_e32 v31, 0x7f800001
	s_and_saveexec_b64 s[44:45], s[4:5]
	s_cbranch_execz .LBB314_352
; %bb.351:                              ;   in Loop: Header=BB314_13 Depth=1
	v_and_b32_e32 v29, 7, v30
	v_lshrrev_b32_e32 v31, 3, v25
	v_cmp_gt_u32_e64 s[4:5], 8, v25
	v_ffbh_u32_e32 v25, v29
	v_min_u32_e32 v25, 32, v25
	v_subrev_u32_e32 v33, 28, v25
	v_lshlrev_b64 v[33:34], v33, v[30:31]
	v_sub_u32_e32 v25, 29, v25
	v_and_b32_e32 v33, 7, v33
	v_cndmask_b32_e64 v25, v31, v25, s[4:5]
	v_cndmask_b32_e64 v29, v29, v33, s[4:5]
	v_lshlrev_b32_e32 v30, 24, v30
	v_bfrev_b32_e32 v0, 60
	v_lshlrev_b32_e32 v29, 20, v29
	v_and_b32_e32 v30, 0x80000000, v30
	v_lshl_add_u32 v25, v25, 23, v0
	v_or3_b32 v31, v30, v25, v29
.LBB314_352:                            ;   in Loop: Header=BB314_13 Depth=1
	s_or_b64 exec, exec, s[44:45]
.LBB314_353:                            ;   in Loop: Header=BB314_13 Depth=1
	s_or_b64 exec, exec, s[42:43]
.LBB314_354:                            ;   in Loop: Header=BB314_13 Depth=1
	s_or_b64 exec, exec, s[6:7]
	v_lshlrev_b32_e32 v0, 16, v53
	v_lshlrev_b32_e32 v37, 16, v54
	v_and_b32_e32 v22, 0xffff0000, v53
	v_and_b32_e32 v39, 0xffff0000, v54
	v_lshlrev_b32_e32 v34, 16, v1
	v_lshlrev_b32_e32 v58, 16, v2
	;; [unrolled: 1-line block ×4, first 2 shown]
	v_and_b32_e32 v33, 0xffff0000, v1
	v_and_b32_e32 v57, 0xffff0000, v2
	;; [unrolled: 1-line block ×4, first 2 shown]
	buffer_load_dword v1, off, s[60:63], 0 offset:104 ; 4-byte Folded Reload
	buffer_load_dword v2, off, s[60:63], 0 offset:108 ; 4-byte Folded Reload
	;; [unrolled: 1-line block ×4, first 2 shown]
	v_lshlrev_b32_e32 v43, 16, v47
	v_lshlrev_b32_e32 v36, 16, v48
	;; [unrolled: 1-line block ×4, first 2 shown]
	v_and_b32_e32 v38, 0xffff0000, v47
	v_and_b32_e32 v63, 0xffff0000, v48
	;; [unrolled: 1-line block ×4, first 2 shown]
	v_lshlrev_b32_e32 v26, 16, v51
	v_lshlrev_b32_e32 v35, 16, v52
	v_and_b32_e32 v21, 0xffff0000, v51
	v_and_b32_e32 v25, 0xffff0000, v52
	v_mul_f32_e32 v31, s56, v31
	s_waitcnt vmcnt(3)
	v_lshlrev_b32_e32 v52, 16, v1
	v_and_b32_e32 v51, 0xffff0000, v1
	s_waitcnt vmcnt(2)
	v_lshlrev_b32_e32 v30, 16, v2
	s_waitcnt vmcnt(0)
	v_lshlrev_b32_e32 v29, 16, v4
	buffer_store_dword v29, off, s[60:63], 0 offset:256 ; 4-byte Folded Spill
	buffer_load_dword v47, off, s[60:63], 0 offset:88 ; 4-byte Folded Reload
	buffer_load_dword v48, off, s[60:63], 0 offset:92 ; 4-byte Folded Reload
	;; [unrolled: 1-line block ×4, first 2 shown]
	v_lshlrev_b32_e32 v8, 16, v3
	v_and_b32_e32 v29, 0xffff0000, v2
	v_and_b32_e32 v2, 0xffff0000, v3
	;; [unrolled: 1-line block ×3, first 2 shown]
	s_waitcnt vmcnt(3)
	v_lshlrev_b32_e32 v1, 16, v47
	buffer_store_dword v1, off, s[60:63], 0 offset:248 ; 4-byte Folded Spill
	s_waitcnt vmcnt(3)
	v_lshlrev_b32_e32 v1, 16, v48
	buffer_store_dword v1, off, s[60:63], 0 offset:240 ; 4-byte Folded Spill
	;; [unrolled: 3-line block ×4, first 2 shown]
	v_and_b32_e32 v1, 0xffff0000, v47
	buffer_store_dword v1, off, s[60:63], 0 offset:252 ; 4-byte Folded Spill
	v_and_b32_e32 v1, 0xffff0000, v48
	buffer_store_dword v1, off, s[60:63], 0 offset:244 ; 4-byte Folded Spill
	;; [unrolled: 2-line block ×4, first 2 shown]
	buffer_load_dword v47, off, s[60:63], 0 offset:72 ; 4-byte Folded Reload
	buffer_load_dword v48, off, s[60:63], 0 offset:76 ; 4-byte Folded Reload
	;; [unrolled: 1-line block ×4, first 2 shown]
	s_waitcnt vmcnt(3)
	v_lshlrev_b32_e32 v1, 16, v47
	buffer_store_dword v1, off, s[60:63], 0 offset:216 ; 4-byte Folded Spill
	s_waitcnt vmcnt(3)
	v_lshlrev_b32_e32 v1, 16, v48
	buffer_store_dword v1, off, s[60:63], 0 offset:208 ; 4-byte Folded Spill
	;; [unrolled: 3-line block ×4, first 2 shown]
	v_and_b32_e32 v1, 0xffff0000, v47
	buffer_store_dword v1, off, s[60:63], 0 offset:224 ; 4-byte Folded Spill
	v_and_b32_e32 v1, 0xffff0000, v48
	buffer_store_dword v1, off, s[60:63], 0 offset:212 ; 4-byte Folded Spill
	;; [unrolled: 2-line block ×3, first 2 shown]
	v_mul_f32_e32 v1, s56, v14
	v_bfe_u32 v4, v1, 16, 1
	v_add3_u32 v4, v4, v1, s55
	v_or_b32_e32 v47, 0x400000, v1
	v_cmp_u_f32_e64 s[4:5], v1, v1
	v_cndmask_b32_e64 v1, v4, v47, s[4:5]
	v_mul_f32_e32 v4, s56, v5
	v_bfe_u32 v47, v4, 16, 1
	v_add3_u32 v47, v47, v4, s55
	v_or_b32_e32 v5, 0x400000, v4
	v_cmp_u_f32_e64 s[4:5], v4, v4
	v_cndmask_b32_e64 v4, v47, v5, s[4:5]
	v_and_b32_e32 v1, 0xffff0000, v1
	v_mul_f32_e32 v1, v0, v1
	v_and_b32_e32 v0, 0xffff0000, v4
	v_fmac_f32_e32 v1, v26, v0
	v_mul_f32_e32 v0, s56, v13
	v_bfe_u32 v4, v0, 16, 1
	v_add3_u32 v4, v4, v0, s55
	v_or_b32_e32 v5, 0x400000, v0
	v_cmp_u_f32_e64 s[4:5], v0, v0
	v_cndmask_b32_e64 v0, v4, v5, s[4:5]
	v_mul_f32_e32 v4, s56, v7
	v_bfe_u32 v5, v4, 16, 1
	v_add3_u32 v5, v5, v4, s55
	v_or_b32_e32 v26, 0x400000, v4
	v_cmp_u_f32_e64 s[4:5], v4, v4
	v_cndmask_b32_e64 v5, v5, v26, s[4:5]
	v_and_b32_e32 v0, 0xffff0000, v0
	v_mul_f32_e32 v4, v22, v0
	v_and_b32_e32 v0, 0xffff0000, v5
	v_fmac_f32_e32 v4, v21, v0
	;; [unrolled: 16-line block ×4, first 2 shown]
	v_mul_f32_e32 v0, s56, v18
	v_bfe_u32 v5, v0, 16, 1
	v_add3_u32 v5, v5, v0, s55
	v_or_b32_e32 v25, 0x400000, v0
	v_cmp_u_f32_e64 s[4:5], v0, v0
	v_cndmask_b32_e64 v0, v5, v25, s[4:5]
	v_and_b32_e32 v0, 0xffff0000, v0
	v_fmac_f32_e32 v1, v43, v0
	v_mul_f32_e32 v0, s56, v19
	v_bfe_u32 v5, v0, 16, 1
	v_add3_u32 v5, v5, v0, s55
	v_or_b32_e32 v25, 0x400000, v0
	v_cmp_u_f32_e64 s[4:5], v0, v0
	v_cndmask_b32_e64 v0, v5, v25, s[4:5]
	v_and_b32_e32 v0, 0xffff0000, v0
	v_fmac_f32_e32 v4, v38, v0
	;; [unrolled: 8-line block ×12, first 2 shown]
	buffer_load_dword v0, off, s[60:63], 0 offset:128 ; 4-byte Folded Reload
	v_and_b32_e32 v48, 0xffff0000, v49
	buffer_load_dword v7, off, s[60:63], 0 offset:200 ; 4-byte Folded Reload
	s_waitcnt vmcnt(1)
	v_mul_f32_e32 v0, s56, v0
	v_bfe_u32 v5, v0, 16, 1
	v_add3_u32 v5, v5, v0, s55
	v_or_b32_e32 v25, 0x400000, v0
	v_cmp_u_f32_e64 s[4:5], v0, v0
	v_cndmask_b32_e64 v0, v5, v25, s[4:5]
	v_and_b32_e32 v0, 0xffff0000, v0
	v_fmac_f32_e32 v1, v56, v0
	buffer_load_dword v0, off, s[60:63], 0 offset:120 ; 4-byte Folded Reload
	s_waitcnt vmcnt(0)
	v_mul_f32_e32 v0, s56, v0
	v_bfe_u32 v5, v0, 16, 1
	v_add3_u32 v5, v5, v0, s55
	v_or_b32_e32 v25, 0x400000, v0
	v_cmp_u_f32_e64 s[4:5], v0, v0
	v_cndmask_b32_e64 v0, v5, v25, s[4:5]
	v_and_b32_e32 v0, 0xffff0000, v0
	v_fmac_f32_e32 v4, v55, v0
	;; [unrolled: 10-line block ×6, first 2 shown]
	v_mul_f32_e32 v0, s56, v46
	v_bfe_u32 v5, v0, 16, 1
	v_add3_u32 v5, v5, v0, s55
	v_or_b32_e32 v25, 0x400000, v0
	v_cmp_u_f32_e64 s[4:5], v0, v0
	v_mul_f32_e32 v0, s56, v11
	v_cndmask_b32_e64 v46, v5, v25, s[4:5]
	v_bfe_u32 v5, v0, 16, 1
	v_add3_u32 v5, v5, v0, s55
	v_or_b32_e32 v25, 0x400000, v0
	v_cmp_u_f32_e64 s[4:5], v0, v0
	buffer_load_dword v0, off, s[60:63], 0 offset:56 ; 4-byte Folded Reload
	v_cndmask_b32_e64 v49, v5, v25, s[4:5]
	s_waitcnt vmcnt(0)
	v_mul_f32_e32 v0, s56, v0
	v_bfe_u32 v5, v0, 16, 1
	v_add3_u32 v5, v5, v0, s55
	v_or_b32_e32 v25, 0x400000, v0
	v_cmp_u_f32_e64 s[4:5], v0, v0
	buffer_load_dword v0, off, s[60:63], 0 offset:204 ; 4-byte Folded Reload
	v_cndmask_b32_e64 v50, v5, v25, s[4:5]
	s_waitcnt vmcnt(0)
	v_mul_f32_e32 v0, s56, v0
	;; [unrolled: 8-line block ×5, first 2 shown]
	v_bfe_u32 v5, v0, 16, 1
	v_add3_u32 v5, v5, v0, s55
	v_or_b32_e32 v6, 0x400000, v0
	v_cmp_u_f32_e64 s[4:5], v0, v0
	v_cndmask_b32_e64 v0, v5, v6, s[4:5]
	buffer_load_dword v5, off, s[60:63], 0 offset:52 ; 4-byte Folded Reload
	v_and_b32_e32 v0, 0xffff0000, v0
	s_waitcnt vmcnt(0)
	v_mul_f32_e32 v5, s56, v5
	v_bfe_u32 v6, v5, 16, 1
	v_add3_u32 v6, v6, v5, s55
	v_or_b32_e32 v25, 0x400000, v5
	v_cmp_u_f32_e64 s[4:5], v5, v5
	buffer_load_dword v5, off, s[60:63], 0 offset:188 ; 4-byte Folded Reload
	v_cndmask_b32_e64 v26, v6, v25, s[4:5]
	s_waitcnt vmcnt(0)
	v_mul_f32_e32 v5, s56, v5
	v_bfe_u32 v6, v5, 16, 1
	v_add3_u32 v6, v6, v5, s55
	v_or_b32_e32 v25, 0x400000, v5
	v_cmp_u_f32_e64 s[4:5], v5, v5
	buffer_load_dword v5, off, s[60:63], 0 offset:184 ; 4-byte Folded Reload
	v_cndmask_b32_e64 v25, v6, v25, s[4:5]
	;; [unrolled: 8-line block ×19, first 2 shown]
	s_waitcnt vmcnt(0)
	v_mul_f32_e32 v5, s56, v5
	v_bfe_u32 v6, v5, 16, 1
	v_add3_u32 v6, v6, v5, s55
	v_or_b32_e32 v39, 0x400000, v5
	v_cmp_u_f32_e64 s[4:5], v5, v5
	v_cndmask_b32_e64 v5, v6, v39, s[4:5]
	buffer_load_dword v6, off, s[60:63], 0 offset:124 ; 4-byte Folded Reload
	v_and_b32_e32 v5, 0xffff0000, v5
	v_fmac_f32_e32 v21, v30, v5
	s_waitcnt vmcnt(0)
	v_mul_f32_e32 v6, s56, v6
	v_bfe_u32 v39, v6, 16, 1
	v_add3_u32 v39, v39, v6, s55
	v_or_b32_e32 v52, 0x400000, v6
	v_cmp_u_f32_e64 s[4:5], v6, v6
	v_cndmask_b32_e64 v6, v39, v52, s[4:5]
	buffer_load_dword v52, off, s[60:63], 0 offset:280 ; 4-byte Folded Reload
	s_waitcnt vmcnt(0)
	v_and_b32_e32 v30, 64, v52
	v_xor_b32_e32 v5, 1, v52
	v_add_u32_e32 v30, 64, v30
	v_cmp_lt_i32_e64 s[4:5], v5, v30
	v_mul_f32_e32 v30, s56, v7
	v_bfe_u32 v32, v30, 16, 1
	v_add3_u32 v32, v32, v30, s55
	v_or_b32_e32 v39, 0x400000, v30
	v_cmp_u_f32_e64 s[6:7], v30, v30
	v_cndmask_b32_e64 v30, v32, v39, s[6:7]
	v_bfe_u32 v32, v31, 16, 1
	v_add3_u32 v32, v32, v31, s55
	v_or_b32_e32 v39, 0x400000, v31
	v_cmp_u_f32_e64 s[6:7], v31, v31
	buffer_load_dword v31, off, s[60:63], 0 offset:64 ; 4-byte Folded Reload
	v_cndmask_b32_e64 v5, v52, v5, s[4:5]
	v_and_b32_e32 v7, 0xffff0000, v40
	v_cndmask_b32_e64 v32, v32, v39, s[6:7]
	s_waitcnt vmcnt(0)
	v_and_b32_e32 v53, 0xffff0000, v31
	v_lshlrev_b32_e32 v63, 16, v31
	buffer_load_dword v31, off, s[60:63], 0 offset:68 ; 4-byte Folded Reload
	s_waitcnt vmcnt(0)
	v_lshlrev_b32_e32 v52, 16, v31
	v_lshlrev_b32_e32 v31, 2, v5
	v_and_b32_e32 v5, 0xffff0000, v6
	v_and_b32_e32 v6, 0xffff0000, v33
	v_fmac_f32_e32 v4, v2, v6
	buffer_load_dword v2, off, s[60:63], 0 offset:256 ; 4-byte Folded Reload
	v_fmac_f32_e32 v22, v29, v5
	v_and_b32_e32 v5, 0xffff0000, v34
	v_fmac_f32_e32 v1, v8, v5
	v_and_b32_e32 v5, 0xffff0000, v55
	v_and_b32_e32 v6, 0xffff0000, v54
	v_fmac_f32_e32 v22, v3, v6
	v_and_b32_e32 v6, 0xffff0000, v57
	buffer_load_dword v3, off, s[60:63], 0 offset:88 ; 4-byte Folded Reload
	buffer_load_dword v8, off, s[60:63], 0 offset:268 ; 4-byte Folded Reload
	s_waitcnt vmcnt(2)
	v_fmac_f32_e32 v21, v2, v5
	buffer_load_dword v2, off, s[60:63], 0 offset:248 ; 4-byte Folded Reload
	v_and_b32_e32 v5, 0xffff0000, v56
	s_waitcnt vmcnt(0)
	v_fmac_f32_e32 v1, v2, v5
	buffer_load_dword v2, off, s[60:63], 0 offset:252 ; 4-byte Folded Reload
	v_and_b32_e32 v5, 0xffff0000, v59
	;; [unrolled: 4-line block ×11, first 2 shown]
	s_waitcnt vmcnt(0)
	v_fmac_f32_e32 v21, v2, v5
	buffer_load_dword v2, off, s[60:63], 0 offset:212 ; 4-byte Folded Reload
	v_fmac_f32_e32 v21, v3, v0
	buffer_load_dword v0, off, s[60:63], 0 offset:72 ; 4-byte Folded Reload
	v_and_b32_e32 v5, 0xffff0000, v43
	s_waitcnt vmcnt(1)
	v_fmac_f32_e32 v22, v2, v6
	buffer_load_dword v2, off, s[60:63], 0 offset:104 ; 4-byte Folded Reload
	v_and_b32_e32 v6, 0xffff0000, v25
	v_fmac_f32_e32 v4, v48, v6
	v_and_b32_e32 v6, 0xffff0000, v41
	v_fmac_f32_e32 v4, v53, v6
	;; [unrolled: 2-line block ×3, first 2 shown]
	v_and_b32_e32 v6, 0xffff0000, v49
	s_waitcnt vmcnt(0)
	v_fmac_f32_e32 v1, v2, v5
	v_and_b32_e32 v2, 0xffff0000, v26
	v_fmac_f32_e32 v22, v0, v2
	ds_read_b64 v[2:3], v8 offset:102
	ds_read_u16 v0, v8 offset:110
	v_and_b32_e32 v5, 0xffff0000, v47
	v_fmac_f32_e32 v1, v63, v5
	s_waitcnt lgkmcnt(1)
	v_lshlrev_b32_e32 v5, 16, v2
	v_fmac_f32_e32 v22, v7, v5
	v_and_b32_e32 v2, 0xffff0000, v2
	v_lshlrev_b32_e32 v5, 16, v3
	v_and_b32_e32 v7, 0xffff0000, v46
	v_fmac_f32_e32 v1, v6, v2
	v_fmac_f32_e32 v4, v7, v5
	v_and_b32_e32 v2, 0xffff0000, v3
	s_waitcnt lgkmcnt(0)
	v_lshlrev_b32_e32 v0, 16, v0
	v_and_b32_e32 v3, 0xffff0000, v30
	v_and_b32_e32 v5, 0xffff0000, v32
	v_fmac_f32_e32 v21, v3, v2
	v_fmac_f32_e32 v22, v5, v0
	v_add_f32_e32 v0, v1, v4
	v_add_f32_e32 v0, v0, v21
	;; [unrolled: 1-line block ×3, first 2 shown]
	ds_bpermute_b32 v1, v31, v0
	s_and_saveexec_b64 s[6:7], vcc
	s_cbranch_execz .LBB314_11
; %bb.355:                              ;   in Loop: Header=BB314_13 Depth=1
	buffer_load_dword v2, off, s[60:63], 0 offset:288 ; 4-byte Folded Reload
	buffer_load_dword v3, off, s[60:63], 0 offset:284 ; 4-byte Folded Reload
	s_waitcnt lgkmcnt(0)
	v_add_f32_e32 v0, v0, v1
	s_waitcnt vmcnt(1)
	v_add_u32_e32 v2, v2, v42
	v_cvt_f32_i32_e32 v2, v2
	v_mul_f32_e32 v1, s48, v2
	buffer_load_dword v2, off, s[60:63], 0 offset:8 ; 4-byte Folded Reload
	s_waitcnt vmcnt(1)
	v_add_u32_e32 v3, v3, v42
	v_cndmask_b32_e64 v1, 0, v1, s[2:3]
	v_fmac_f32_e32 v1, s37, v0
	v_cmp_gt_i32_e64 s[4:5], s33, v3
	v_cndmask_b32_e64 v0, 0, v1, s[4:5]
	s_waitcnt vmcnt(0)
	ds_write_b32 v2, v0
	buffer_load_dword v2, off, s[60:63], 0 offset:264 ; 4-byte Folded Reload
	s_waitcnt vmcnt(0)
	v_max_f32_e32 v0, v2, v2
	v_max_f32_e32 v0, v0, v1
	v_cndmask_b32_e64 v2, v2, v0, s[4:5]
	buffer_store_dword v2, off, s[60:63], 0 offset:264 ; 4-byte Folded Spill
	s_branch .LBB314_11
.LBB314_356:
	s_or_b64 exec, exec, s[38:39]
	buffer_load_dword v12, off, s[60:63], 0 offset:292 ; 4-byte Folded Reload
	buffer_load_dword v13, off, s[60:63], 0 offset:296 ; 4-byte Folded Reload
	;; [unrolled: 1-line block ×3, first 2 shown]
	v_mbcnt_lo_u32_b32 v5, -1, 0
.LBB314_357:
	s_or_b64 exec, exec, s[18:19]
	v_mbcnt_hi_u32_b32 v0, -1, v5
	v_and_b32_e32 v7, 64, v0
	v_add_u32_e32 v8, 64, v7
	s_waitcnt lgkmcnt(0)
	v_xor_b32_e32 v1, 32, v0
	v_cmp_lt_i32_e32 vcc, v1, v8
	v_cndmask_b32_e32 v1, v0, v1, vcc
	v_lshlrev_b32_e32 v1, 2, v1
	s_waitcnt vmcnt(0)
	ds_bpermute_b32 v2, v1, v3
	v_xor_b32_e32 v4, 16, v0
	v_max_f32_e32 v3, v3, v3
	v_cmp_lt_i32_e32 vcc, v4, v8
	v_xor_b32_e32 v5, 8, v0
	s_waitcnt lgkmcnt(0)
	v_max_f32_e32 v2, v2, v2
	v_max_f32_e32 v3, v3, v2
	v_cndmask_b32_e32 v2, v0, v4, vcc
	v_lshlrev_b32_e32 v2, 2, v2
	ds_bpermute_b32 v4, v2, v3
	v_cmp_lt_i32_e32 vcc, v5, v8
	v_xor_b32_e32 v6, 4, v0
	v_xor_b32_e32 v9, 2, v0
	s_waitcnt lgkmcnt(0)
	v_max_f32_e32 v4, v4, v4
	v_max_f32_e32 v4, v3, v4
	v_cndmask_b32_e32 v3, v0, v5, vcc
	v_lshlrev_b32_e32 v3, 2, v3
	ds_bpermute_b32 v5, v3, v4
	v_cmp_lt_i32_e32 vcc, v6, v8
	s_waitcnt lgkmcnt(0)
	v_max_f32_e32 v5, v5, v5
	v_max_f32_e32 v5, v4, v5
	v_cndmask_b32_e32 v4, v0, v6, vcc
	v_lshlrev_b32_e32 v4, 2, v4
	ds_bpermute_b32 v6, v4, v5
	v_cmp_lt_i32_e32 vcc, v9, v8
	s_waitcnt lgkmcnt(0)
	v_max_f32_e32 v6, v6, v6
	v_max_f32_e32 v6, v5, v6
	v_cndmask_b32_e32 v5, v0, v9, vcc
	v_lshlrev_b32_e32 v15, 2, v5
	buffer_load_dword v5, off, s[60:63], 0 offset:260 ; 4-byte Folded Reload
	ds_bpermute_b32 v9, v15, v6
	s_waitcnt vmcnt(0)
	v_and_b32_e32 v14, 63, v5
	buffer_load_dword v5, off, s[60:63], 0  ; 4-byte Folded Reload
	v_cmp_eq_u32_e32 vcc, 0, v14
	s_waitcnt vmcnt(0)
	v_lshlrev_b32_e32 v5, 2, v5
	s_and_saveexec_b64 s[2:3], vcc
	s_cbranch_execz .LBB314_359
; %bb.358:
	s_waitcnt lgkmcnt(0)
	v_max_f32_e32 v9, v9, v9
	v_max_f32_e32 v6, v6, v6
	;; [unrolled: 1-line block ×3, first 2 shown]
	ds_write_b32 v5, v6 offset:224
.LBB314_359:
	s_or_b64 exec, exec, s[2:3]
	v_cmp_gt_u32_e64 s[2:3], 2, v14
	s_waitcnt lgkmcnt(0)
	v_mov_b32_e32 v9, 0xff7fffff
	v_lshlrev_b32_e32 v6, 2, v14
	s_barrier
	s_and_saveexec_b64 s[4:5], s[2:3]
; %bb.360:
	ds_read_b32 v9, v6 offset:224
; %bb.361:
	s_or_b64 exec, exec, s[4:5]
	v_xor_b32_e32 v10, 1, v0
	v_cmp_lt_i32_e64 s[4:5], v10, v8
	v_cndmask_b32_e64 v8, v0, v10, s[4:5]
	v_lshlrev_b32_e32 v16, 2, v8
	s_waitcnt lgkmcnt(0)
	ds_bpermute_b32 v8, v16, v9
	v_max_f32_e32 v9, v9, v9
	v_lshlrev_b32_e32 v7, 2, v7
	s_lshl_b32 s4, s47, 5
	s_min_i32 s37, s4, s33
	s_waitcnt lgkmcnt(0)
	v_max_f32_e32 v8, v8, v8
	v_max_f32_e32 v8, v9, v8
	ds_bpermute_b32 v8, v7, v8
	buffer_load_dword v7, off, s[60:63], 0 offset:260 ; 4-byte Folded Reload
	s_waitcnt vmcnt(0)
	v_cmp_gt_i32_e64 s[4:5], s37, v7
	v_mov_b32_e32 v7, 0
	s_and_saveexec_b64 s[12:13], s[4:5]
	s_cbranch_execz .LBB314_365
; %bb.362:
	buffer_load_dword v10, off, s[60:63], 0 offset:260 ; 4-byte Folded Reload
	v_mov_b32_e32 v7, 0xf0
	s_mov_b64 s[18:19], 0
	s_waitcnt vmcnt(0)
	v_lshl_add_u32 v9, v10, 2, v7
	v_mov_b32_e32 v7, 0
.LBB314_363:                            ; =>This Inner Loop Header: Depth=1
	ds_read_b32 v11, v9
	v_add_u32_e32 v10, 0x80, v10
	v_cmp_le_i32_e64 s[6:7], s37, v10
	s_or_b64 s[18:19], s[6:7], s[18:19]
	s_waitcnt lgkmcnt(0)
	v_sub_f32_e32 v11, v11, v8
	v_mul_f32_e32 v11, 0x3fb8aa3b, v11
	v_exp_f32_e32 v11, v11
	ds_write_b32 v9, v11
	v_add_f32_e32 v7, v7, v11
	v_add_u32_e32 v9, 0x200, v9
	s_andn2_b64 exec, exec, s[18:19]
	s_cbranch_execnz .LBB314_363
; %bb.364:
	s_or_b64 exec, exec, s[18:19]
.LBB314_365:
	s_or_b64 exec, exec, s[12:13]
	ds_bpermute_b32 v1, v1, v7
	s_waitcnt lgkmcnt(0)
	v_add_f32_e32 v1, v7, v1
	ds_bpermute_b32 v2, v2, v1
	s_waitcnt lgkmcnt(0)
	v_add_f32_e32 v1, v1, v2
	;; [unrolled: 3-line block ×6, first 2 shown]
	s_and_saveexec_b64 s[6:7], vcc
; %bb.366:
	ds_write_b32 v5, v1 offset:232
; %bb.367:
	s_or_b64 exec, exec, s[6:7]
	s_waitcnt lgkmcnt(0)
	s_barrier
	s_and_saveexec_b64 s[6:7], s[2:3]
; %bb.368:
	ds_read_b32 v1, v6 offset:232
; %bb.369:
	s_or_b64 exec, exec, s[6:7]
	s_waitcnt lgkmcnt(0)
	ds_bpermute_b32 v2, v16, v1
	v_lshlrev_b32_e32 v0, 2, v0
	v_and_b32_e32 v0, 0x100, v0
	s_waitcnt lgkmcnt(0)
	v_add_f32_e32 v1, v1, v2
	ds_bpermute_b32 v0, v0, v1
	s_and_saveexec_b64 s[2:3], s[4:5]
	s_cbranch_execz .LBB314_372
; %bb.370:
	s_waitcnt lgkmcnt(0)
	v_add_f32_e32 v1, 0x358637bd, v0
	v_div_scale_f32 v0, s[4:5], v1, v1, 1.0
	v_div_scale_f32 v2, vcc, 1.0, v1, 1.0
	s_mov_b64 s[4:5], 0
	v_rcp_f32_e32 v3, v0
	v_fma_f32 v4, -v0, v3, 1.0
	v_fmac_f32_e32 v3, v4, v3
	v_mul_f32_e32 v4, v2, v3
	v_fma_f32 v5, -v0, v4, v2
	v_fmac_f32_e32 v4, v5, v3
	v_fma_f32 v0, -v0, v4, v2
	v_div_fmas_f32 v2, v0, v3, v4
	buffer_load_dword v3, off, s[60:63], 0 offset:260 ; 4-byte Folded Reload
	v_mov_b32_e32 v0, 0xf0
	v_div_fixup_f32 v1, v2, v1, 1.0
	s_waitcnt vmcnt(0)
	v_lshl_add_u32 v0, v3, 2, v0
	v_mov_b32_e32 v2, v3
.LBB314_371:                            ; =>This Inner Loop Header: Depth=1
	ds_read_b32 v3, v0
	v_add_u32_e32 v2, 0x80, v2
	v_cmp_le_i32_e32 vcc, s37, v2
	s_or_b64 s[4:5], vcc, s[4:5]
	s_waitcnt lgkmcnt(0)
	v_mul_f32_e32 v3, v1, v3
	ds_write_b32 v0, v3
	v_add_u32_e32 v0, 0x200, v0
	s_andn2_b64 exec, exec, s[4:5]
	s_cbranch_execnz .LBB314_371
.LBB314_372:
	s_or_b64 exec, exec, s[2:3]
	s_waitcnt lgkmcnt(0)
	s_barrier
	buffer_load_dword v0, off, s[60:63], 0 offset:260 ; 4-byte Folded Reload
	v_mov_b32_e32 v18, 0
	v_mov_b32_e32 v3, 0
	;; [unrolled: 1-line block ×6, first 2 shown]
	s_waitcnt vmcnt(0)
	v_and_b32_e32 v17, 3, v0
	v_mov_b32_e32 v0, 0
	buffer_store_dword v0, off, s[60:63], 0 offset:136 ; 4-byte Folded Spill
	s_and_saveexec_b64 s[2:3], s[0:1]
	s_cbranch_execz .LBB314_728
; %bb.373:
	s_sub_i32 s37, s16, s21
	s_ashr_i32 s0, s20, 31
	s_add_u32 s1, s34, s20
	v_and_b32_e32 v1, 24, v12
	buffer_store_dword v16, off, s[60:63], 0 offset:176 ; 4-byte Folded Spill
	buffer_store_dword v15, off, s[60:63], 0 offset:172 ; 4-byte Folded Spill
	;; [unrolled: 1-line block ×3, first 2 shown]
	s_addc_u32 s0, s35, s0
	buffer_store_dword v1, off, s[60:63], 0 offset:156 ; 4-byte Folded Spill
	v_and_b32_e32 v1, 0x1f8, v12
	v_mov_b32_e32 v4, s0
	v_add_co_u32_e32 v5, vcc, s1, v1
	v_addc_co_u32_e32 v6, vcc, 0, v4, vcc
	buffer_store_dword v5, off, s[60:63], 0 offset:160 ; 4-byte Folded Spill
	s_nop 0
	buffer_store_dword v6, off, s[60:63], 0 offset:164 ; 4-byte Folded Spill
	s_abs_i32 s22, s22
	buffer_load_dword v1, off, s[60:63], 0  ; 4-byte Folded Reload
	s_sub_i32 s6, 0, s22
	s_add_i32 s35, s47, -1
	s_lshl_b64 s[0:1], s[30:31], 2
	v_and_b32_e32 v3, 60, v13
	s_add_u32 s0, s28, s0
	v_add_co_u32_e32 v13, vcc, s0, v3
	buffer_load_dword v3, off, s[60:63], 0 offset:4 ; 4-byte Folded Reload
	v_cvt_f32_u32_e32 v0, s22
	s_addc_u32 s1, s29, s1
	s_mov_b32 s4, -1
	s_mov_b32 s34, s17
	v_rcp_iflag_f32_e32 v0, v0
	s_mov_b32 s5, 0xffffff
	v_mov_b32_e32 v10, 0
	s_movk_i32 s28, 0x80
	v_mul_f32_e32 v0, 0x4f7ffffe, v0
	v_cvt_u32_f32_e32 v0, v0
	s_movk_i32 s29, 0x7f
	s_movk_i32 s30, 0x7fff
	v_mov_b32_e32 v62, 0
	v_mul_lo_u32 v2, s6, v0
	s_mov_b64 s[6:7], 0
	v_mov_b32_e32 v61, 0
	v_mov_b32_e32 v29, 0
	v_mul_hi_u32 v2, v0, v2
	v_mov_b32_e32 v60, 0
	v_mov_b32_e32 v18, 0
	buffer_store_dword v17, off, s[60:63], 0 offset:180 ; 4-byte Folded Spill
	v_add_u32_e32 v0, v0, v2
	buffer_store_dword v0, off, s[60:63], 0 offset:144 ; 4-byte Folded Spill
	v_mov_b32_e32 v0, s1
	v_addc_co_u32_e32 v14, vcc, 0, v0, vcc
	v_lshlrev_b32_e32 v0, 5, v17
	s_waitcnt vmcnt(3)
	v_lshl_or_b32 v0, v1, 7, v0
	v_add_u32_e32 v35, 0xf0, v0
	v_mov_b32_e32 v0, 0
	buffer_store_dword v0, off, s[60:63], 0 offset:136 ; 4-byte Folded Spill
	v_mov_b32_e32 v0, 0
	buffer_store_dword v0, off, s[60:63], 0 offset:140 ; 4-byte Folded Spill
	s_branch .LBB314_376
.LBB314_374:                            ;   in Loop: Header=BB314_376 Depth=1
	s_or_b64 exec, exec, s[0:1]
	v_bfe_u32 v33, v5, 16, 1
	v_add3_u32 v33, v33, v5, s30
	v_or_b32_e32 v34, 0x400000, v5
	v_cmp_u_f32_e32 vcc, v5, v5
	v_bfe_u32 v5, v6, 16, 1
	v_cndmask_b32_e32 v33, v33, v34, vcc
	v_add3_u32 v5, v5, v6, s30
	v_or_b32_e32 v34, 0x400000, v6
	v_cmp_u_f32_e32 vcc, v6, v6
	v_cndmask_b32_e32 v34, v5, v34, vcc
	v_bfe_u32 v5, v7, 16, 1
	v_add3_u32 v5, v5, v7, s30
	v_or_b32_e32 v6, 0x400000, v7
	v_cmp_u_f32_e32 vcc, v7, v7
	v_cndmask_b32_e32 v5, v5, v6, vcc
	v_bfe_u32 v6, v8, 16, 1
	;; [unrolled: 5-line block ×3, first 2 shown]
	v_add3_u32 v7, v7, v1, s30
	v_or_b32_e32 v8, 0x400000, v1
	v_cmp_u_f32_e32 vcc, v1, v1
	v_bfe_u32 v1, v2, 16, 1
	v_cndmask_b32_e32 v7, v7, v8, vcc
	v_add3_u32 v1, v1, v2, s30
	v_or_b32_e32 v8, 0x400000, v2
	v_cmp_u_f32_e32 vcc, v2, v2
	v_cndmask_b32_e32 v45, v1, v8, vcc
	v_bfe_u32 v1, v3, 16, 1
	v_add3_u32 v1, v1, v3, s30
	v_or_b32_e32 v2, 0x400000, v3
	v_cmp_u_f32_e32 vcc, v3, v3
	v_cndmask_b32_e32 v8, v1, v2, vcc
	v_bfe_u32 v1, v4, 16, 1
	v_add3_u32 v1, v1, v4, s30
	v_or_b32_e32 v2, 0x400000, v4
	v_cmp_u_f32_e32 vcc, v4, v4
	v_cndmask_b32_e32 v48, v1, v2, vcc
	v_and_b32_e32 v1, 0xffff0000, v34
	v_lshlrev_b32_e32 v2, 16, v47
	v_mul_f32_e32 v2, v1, v2
	v_bfe_u32 v3, v2, 16, 1
	v_add3_u32 v3, v3, v2, s30
	v_or_b32_e32 v4, 0x400000, v2
	v_cmp_u_f32_e32 vcc, v2, v2
	v_cndmask_b32_e32 v34, v3, v4, vcc
	v_and_b32_e32 v4, 0xffff0000, v33
	v_lshlrev_b32_e32 v2, 16, v46
	v_mul_f32_e32 v2, v4, v2
	v_bfe_u32 v3, v2, 16, 1
	v_lshlrev_b32_e32 v12, 16, v22
	v_lshlrev_b32_e32 v22, 16, v0
	buffer_load_dword v0, off, s[60:63], 0 offset:124 ; 4-byte Folded Reload
	v_add3_u32 v3, v3, v2, s30
	v_or_b32_e32 v33, 0x400000, v2
	v_cmp_u_f32_e32 vcc, v2, v2
	v_cndmask_b32_e32 v33, v3, v33, vcc
	v_and_b32_e32 v2, 0xffff0000, v6
	v_lshlrev_b32_e32 v3, 16, v44
	v_mul_f32_e32 v3, v2, v3
	v_bfe_u32 v6, v3, 16, 1
	v_add3_u32 v6, v6, v3, s30
	v_or_b32_e32 v44, 0x400000, v3
	v_cmp_u_f32_e32 vcc, v3, v3
	v_cndmask_b32_e32 v44, v6, v44, vcc
	v_and_b32_e32 v6, 0xffff0000, v5
	v_lshlrev_b32_e32 v3, 16, v36
	v_mul_f32_e32 v3, v6, v3
	v_bfe_u32 v5, v3, 16, 1
	;; [unrolled: 8-line block ×3, first 2 shown]
	v_add3_u32 v19, v19, v5, s30
	v_or_b32_e32 v45, 0x400000, v5
	v_cmp_u_f32_e32 vcc, v5, v5
	v_and_b32_e32 v7, 0xffff0000, v7
	v_lshlrev_b32_e32 v5, 16, v18
	v_mul_f32_e32 v5, v7, v5
	v_bfe_u32 v18, v5, 16, 1
	v_cndmask_b32_e32 v19, v19, v45, vcc
	v_add3_u32 v18, v18, v5, s30
	v_or_b32_e32 v45, 0x400000, v5
	v_cmp_u_f32_e32 vcc, v5, v5
	v_and_b32_e32 v5, 0xffff0000, v48
	v_lshlrev_b32_e32 v43, 16, v43
	v_mul_f32_e32 v43, v5, v43
	v_cndmask_b32_e32 v18, v18, v45, vcc
	v_bfe_u32 v45, v43, 16, 1
	v_and_b32_e32 v8, 0xffff0000, v8
	v_lshlrev_b32_e32 v42, 16, v42
	v_add3_u32 v45, v45, v43, s30
	v_or_b32_e32 v46, 0x400000, v43
	v_cmp_u_f32_e32 vcc, v43, v43
	v_mul_f32_e32 v42, v8, v42
	v_and_b32_e32 v33, 0xffff0000, v33
	v_and_b32_e32 v34, 0xffff0000, v34
	v_cndmask_b32_e32 v43, v45, v46, vcc
	v_bfe_u32 v45, v42, 16, 1
	v_add_f32_e32 v33, v33, v34
	v_and_b32_e32 v34, 0xffff0000, v36
	v_and_b32_e32 v36, 0xffff0000, v44
	v_add3_u32 v45, v45, v42, s30
	v_or_b32_e32 v46, 0x400000, v42
	v_cmp_u_f32_e32 vcc, v42, v42
	v_add_f32_e32 v34, v34, v36
	v_and_b32_e32 v18, 0xffff0000, v18
	v_and_b32_e32 v19, 0xffff0000, v19
	v_cndmask_b32_e32 v42, v45, v46, vcc
	v_add_f32_e32 v33, v34, v33
	v_add_f32_e32 v18, v18, v19
	;; [unrolled: 1-line block ×3, first 2 shown]
	v_and_b32_e32 v19, 0xffff0000, v42
	v_and_b32_e32 v33, 0xffff0000, v43
	v_add_f32_e32 v19, v19, v33
	v_add_f32_e32 v18, v19, v18
	v_add_f32_e32 v62, v62, v18
	v_lshlrev_b32_e32 v18, 16, v41
	v_mul_f32_e32 v18, v1, v18
	v_bfe_u32 v19, v18, 16, 1
	v_add3_u32 v19, v19, v18, s30
	v_or_b32_e32 v33, 0x400000, v18
	v_cmp_u_f32_e32 vcc, v18, v18
	v_cndmask_b32_e32 v18, v19, v33, vcc
	v_lshlrev_b32_e32 v19, 16, v40
	v_mul_f32_e32 v19, v4, v19
	v_bfe_u32 v33, v19, 16, 1
	v_add3_u32 v33, v33, v19, s30
	v_or_b32_e32 v34, 0x400000, v19
	v_cmp_u_f32_e32 vcc, v19, v19
	v_cndmask_b32_e32 v19, v33, v34, vcc
	v_lshlrev_b32_e32 v33, 16, v38
	v_mul_f32_e32 v33, v2, v33
	v_bfe_u32 v34, v33, 16, 1
	v_add3_u32 v34, v34, v33, s30
	v_or_b32_e32 v36, 0x400000, v33
	v_cmp_u_f32_e32 vcc, v33, v33
	v_cndmask_b32_e32 v33, v34, v36, vcc
	v_lshlrev_b32_e32 v34, 16, v37
	v_mul_f32_e32 v34, v6, v34
	v_bfe_u32 v36, v34, 16, 1
	v_lshlrev_b32_e32 v30, 16, v30
	v_add3_u32 v36, v36, v34, s30
	v_or_b32_e32 v37, 0x400000, v34
	v_cmp_u_f32_e32 vcc, v34, v34
	v_mul_f32_e32 v30, v3, v30
	v_cndmask_b32_e32 v34, v36, v37, vcc
	v_bfe_u32 v36, v30, 16, 1
	v_lshlrev_b32_e32 v28, 16, v28
	v_add3_u32 v36, v36, v30, s30
	v_or_b32_e32 v37, 0x400000, v30
	v_cmp_u_f32_e32 vcc, v30, v30
	v_mul_f32_e32 v28, v7, v28
	v_cndmask_b32_e32 v30, v36, v37, vcc
	v_bfe_u32 v36, v28, 16, 1
	v_add3_u32 v36, v36, v28, s30
	v_or_b32_e32 v37, 0x400000, v28
	v_cmp_u_f32_e32 vcc, v28, v28
	v_cndmask_b32_e32 v28, v36, v37, vcc
	v_lshlrev_b32_e32 v36, 16, v39
	v_mul_f32_e32 v36, v5, v36
	v_bfe_u32 v37, v36, 16, 1
	v_lshlrev_b32_e32 v31, 16, v31
	v_and_b32_e32 v19, 0xffff0000, v19
	v_and_b32_e32 v18, 0xffff0000, v18
	v_add3_u32 v37, v37, v36, s30
	v_or_b32_e32 v38, 0x400000, v36
	v_cmp_u_f32_e32 vcc, v36, v36
	v_mul_f32_e32 v31, v8, v31
	v_add_f32_e32 v18, v19, v18
	v_and_b32_e32 v19, 0xffff0000, v34
	v_and_b32_e32 v33, 0xffff0000, v33
	v_cndmask_b32_e32 v36, v37, v38, vcc
	v_bfe_u32 v37, v31, 16, 1
	v_add_f32_e32 v19, v19, v33
	v_add3_u32 v37, v37, v31, s30
	v_or_b32_e32 v38, 0x400000, v31
	v_cmp_u_f32_e32 vcc, v31, v31
	v_add_f32_e32 v18, v19, v18
	v_and_b32_e32 v19, 0xffff0000, v28
	v_and_b32_e32 v28, 0xffff0000, v30
	v_cndmask_b32_e32 v31, v37, v38, vcc
	v_add_f32_e32 v19, v19, v28
	v_add_f32_e32 v18, v19, v18
	v_and_b32_e32 v19, 0xffff0000, v31
	v_and_b32_e32 v28, 0xffff0000, v36
	v_add_f32_e32 v19, v19, v28
	v_add_f32_e32 v18, v19, v18
	;; [unrolled: 1-line block ×3, first 2 shown]
	v_lshlrev_b32_e32 v18, 16, v23
	v_mul_f32_e32 v18, v1, v18
	v_bfe_u32 v19, v18, 16, 1
	v_add3_u32 v19, v19, v18, s30
	v_or_b32_e32 v27, 0x400000, v18
	v_cmp_u_f32_e32 vcc, v18, v18
	v_cndmask_b32_e32 v18, v19, v27, vcc
	v_lshlrev_b32_e32 v19, 16, v63
	v_mul_f32_e32 v19, v4, v19
	v_bfe_u32 v26, v19, 16, 1
	v_lshlrev_b32_e32 v24, 16, v25
	v_add3_u32 v26, v26, v19, s30
	v_or_b32_e32 v27, 0x400000, v19
	v_cmp_u_f32_e32 vcc, v19, v19
	v_mul_f32_e32 v24, v2, v24
	v_cndmask_b32_e32 v19, v26, v27, vcc
	v_bfe_u32 v26, v24, 16, 1
	v_add3_u32 v26, v26, v24, s30
	v_or_b32_e32 v27, 0x400000, v24
	v_cmp_u_f32_e32 vcc, v24, v24
	v_cndmask_b32_e32 v24, v26, v27, vcc
	v_lshlrev_b32_e32 v26, 16, v20
	v_mul_f32_e32 v26, v6, v26
	v_bfe_u32 v27, v26, 16, 1
	v_add3_u32 v27, v27, v26, s30
	v_or_b32_e32 v28, 0x400000, v26
	v_cmp_u_f32_e32 vcc, v26, v26
	v_mul_f32_e32 v12, v3, v12
	v_cndmask_b32_e32 v26, v27, v28, vcc
	v_bfe_u32 v27, v12, 16, 1
	v_lshlrev_b32_e32 v11, 16, v11
	v_add3_u32 v27, v27, v12, s30
	v_or_b32_e32 v28, 0x400000, v12
	v_cmp_u_f32_e32 vcc, v12, v12
	v_mul_f32_e32 v11, v7, v11
	v_cndmask_b32_e32 v12, v27, v28, vcc
	v_bfe_u32 v27, v11, 16, 1
	v_lshlrev_b32_e32 v25, 16, v21
	v_add3_u32 v27, v27, v11, s30
	v_or_b32_e32 v28, 0x400000, v11
	v_cmp_u_f32_e32 vcc, v11, v11
	v_mul_f32_e32 v25, v5, v25
	v_cndmask_b32_e32 v11, v27, v28, vcc
	v_bfe_u32 v27, v25, 16, 1
	v_add3_u32 v27, v27, v25, s30
	v_or_b32_e32 v28, 0x400000, v25
	v_cmp_u_f32_e32 vcc, v25, v25
	v_mul_f32_e32 v22, v8, v22
	v_and_b32_e32 v19, 0xffff0000, v19
	v_and_b32_e32 v18, 0xffff0000, v18
	v_cndmask_b32_e32 v25, v27, v28, vcc
	v_bfe_u32 v27, v22, 16, 1
	v_add_f32_e32 v18, v19, v18
	v_and_b32_e32 v19, 0xffff0000, v26
	v_and_b32_e32 v24, 0xffff0000, v24
	v_add3_u32 v27, v27, v22, s30
	v_or_b32_e32 v28, 0x400000, v22
	v_cmp_u_f32_e32 vcc, v22, v22
	v_add_f32_e32 v19, v19, v24
	v_and_b32_e32 v11, 0xffff0000, v11
	v_and_b32_e32 v12, 0xffff0000, v12
	v_cndmask_b32_e32 v22, v27, v28, vcc
	v_add_f32_e32 v18, v19, v18
	v_add_f32_e32 v11, v11, v12
	;; [unrolled: 1-line block ×3, first 2 shown]
	v_and_b32_e32 v12, 0xffff0000, v22
	v_and_b32_e32 v18, 0xffff0000, v25
	v_add_f32_e32 v12, v12, v18
	s_waitcnt vmcnt(0)
	v_lshlrev_b32_e32 v0, 16, v0
	v_add_f32_e32 v11, v12, v11
	v_mul_f32_e32 v0, v1, v0
	v_add_f32_e32 v29, v29, v11
	v_bfe_u32 v11, v0, 16, 1
	v_add3_u32 v11, v11, v0, s30
	v_or_b32_e32 v12, 0x400000, v0
	v_cmp_u_f32_e32 vcc, v0, v0
	v_cndmask_b32_e32 v0, v11, v12, vcc
	buffer_load_dword v11, off, s[60:63], 0 offset:128 ; 4-byte Folded Reload
	v_and_b32_e32 v0, 0xffff0000, v0
	s_waitcnt vmcnt(0)
	v_lshlrev_b32_e32 v11, 16, v11
	v_mul_f32_e32 v11, v4, v11
	v_bfe_u32 v12, v11, 16, 1
	v_add3_u32 v12, v12, v11, s30
	v_or_b32_e32 v18, 0x400000, v11
	v_cmp_u_f32_e32 vcc, v11, v11
	v_cndmask_b32_e32 v11, v12, v18, vcc
	buffer_load_dword v12, off, s[60:63], 0 offset:88 ; 4-byte Folded Reload
	v_and_b32_e32 v11, 0xffff0000, v11
	v_add_f32_e32 v0, v11, v0
	s_waitcnt vmcnt(0)
	v_lshlrev_b32_e32 v12, 16, v12
	v_mul_f32_e32 v12, v2, v12
	v_bfe_u32 v18, v12, 16, 1
	v_add3_u32 v18, v18, v12, s30
	v_or_b32_e32 v19, 0x400000, v12
	v_cmp_u_f32_e32 vcc, v12, v12
	v_cndmask_b32_e32 v12, v18, v19, vcc
	buffer_load_dword v18, off, s[60:63], 0 offset:104 ; 4-byte Folded Reload
	v_and_b32_e32 v12, 0xffff0000, v12
	s_waitcnt vmcnt(0)
	v_lshlrev_b32_e32 v18, 16, v18
	v_mul_f32_e32 v18, v6, v18
	v_bfe_u32 v19, v18, 16, 1
	v_add3_u32 v19, v19, v18, s30
	v_or_b32_e32 v20, 0x400000, v18
	v_cmp_u_f32_e32 vcc, v18, v18
	v_cndmask_b32_e32 v18, v19, v20, vcc
	buffer_load_dword v19, off, s[60:63], 0 offset:132 ; 4-byte Folded Reload
	v_and_b32_e32 v11, 0xffff0000, v18
	v_add_f32_e32 v11, v11, v12
	v_add_f32_e32 v0, v11, v0
	s_waitcnt vmcnt(0)
	v_lshlrev_b32_e32 v19, 16, v19
	v_mul_f32_e32 v19, v3, v19
	v_bfe_u32 v20, v19, 16, 1
	v_add3_u32 v20, v20, v19, s30
	v_or_b32_e32 v21, 0x400000, v19
	v_cmp_u_f32_e32 vcc, v19, v19
	v_cndmask_b32_e32 v19, v20, v21, vcc
	buffer_load_dword v20, off, s[60:63], 0 offset:72 ; 4-byte Folded Reload
	v_and_b32_e32 v12, 0xffff0000, v19
	s_waitcnt vmcnt(0)
	v_lshlrev_b32_e32 v20, 16, v20
	v_mul_f32_e32 v20, v7, v20
	v_bfe_u32 v21, v20, 16, 1
	v_add3_u32 v21, v21, v20, s30
	v_or_b32_e32 v22, 0x400000, v20
	v_cmp_u_f32_e32 vcc, v20, v20
	v_cndmask_b32_e32 v20, v21, v22, vcc
	buffer_load_dword v21, off, s[60:63], 0 offset:120 ; 4-byte Folded Reload
	v_and_b32_e32 v11, 0xffff0000, v20
	v_add_f32_e32 v11, v11, v12
	v_add_f32_e32 v0, v11, v0
	s_waitcnt vmcnt(0)
	v_lshlrev_b32_e32 v21, 16, v21
	v_mul_f32_e32 v21, v5, v21
	v_bfe_u32 v22, v21, 16, 1
	v_add3_u32 v22, v22, v21, s30
	v_or_b32_e32 v23, 0x400000, v21
	v_cmp_u_f32_e32 vcc, v21, v21
	v_cndmask_b32_e32 v21, v22, v23, vcc
	v_lshlrev_b32_e32 v22, 16, v32
	v_mul_f32_e32 v22, v8, v22
	v_bfe_u32 v23, v22, 16, 1
	v_add3_u32 v23, v23, v22, s30
	v_or_b32_e32 v24, 0x400000, v22
	v_cmp_u_f32_e32 vcc, v22, v22
	v_cndmask_b32_e32 v22, v23, v24, vcc
	v_and_b32_e32 v11, 0xffff0000, v22
	v_and_b32_e32 v12, 0xffff0000, v21
	v_add_f32_e32 v11, v11, v12
	v_add_f32_e32 v0, v11, v0
	;; [unrolled: 1-line block ×3, first 2 shown]
	buffer_load_dword v0, off, s[60:63], 0 offset:64 ; 4-byte Folded Reload
	s_waitcnt vmcnt(0)
	v_lshlrev_b32_e32 v0, 16, v0
	v_mul_f32_e32 v0, v1, v0
	v_bfe_u32 v11, v0, 16, 1
	v_add3_u32 v11, v11, v0, s30
	v_or_b32_e32 v12, 0x400000, v0
	v_cmp_u_f32_e32 vcc, v0, v0
	v_cndmask_b32_e32 v0, v11, v12, vcc
	buffer_load_dword v11, off, s[60:63], 0 offset:68 ; 4-byte Folded Reload
	v_and_b32_e32 v0, 0xffff0000, v0
	s_waitcnt vmcnt(0)
	v_lshlrev_b32_e32 v11, 16, v11
	v_mul_f32_e32 v11, v4, v11
	v_bfe_u32 v12, v11, 16, 1
	v_add3_u32 v12, v12, v11, s30
	v_or_b32_e32 v18, 0x400000, v11
	v_cmp_u_f32_e32 vcc, v11, v11
	v_cndmask_b32_e32 v11, v12, v18, vcc
	buffer_load_dword v12, off, s[60:63], 0 offset:52 ; 4-byte Folded Reload
	v_and_b32_e32 v11, 0xffff0000, v11
	v_add_f32_e32 v0, v11, v0
	s_waitcnt vmcnt(0)
	v_lshlrev_b32_e32 v12, 16, v12
	v_mul_f32_e32 v12, v2, v12
	v_bfe_u32 v18, v12, 16, 1
	v_add3_u32 v18, v18, v12, s30
	v_or_b32_e32 v19, 0x400000, v12
	v_cmp_u_f32_e32 vcc, v12, v12
	v_cndmask_b32_e32 v12, v18, v19, vcc
	buffer_load_dword v18, off, s[60:63], 0 offset:56 ; 4-byte Folded Reload
	v_and_b32_e32 v12, 0xffff0000, v12
	s_waitcnt vmcnt(0)
	v_lshlrev_b32_e32 v18, 16, v18
	v_mul_f32_e32 v18, v6, v18
	v_bfe_u32 v19, v18, 16, 1
	v_add3_u32 v19, v19, v18, s30
	v_or_b32_e32 v20, 0x400000, v18
	v_cmp_u_f32_e32 vcc, v18, v18
	v_cndmask_b32_e32 v18, v19, v20, vcc
	buffer_load_dword v19, off, s[60:63], 0 offset:40 ; 4-byte Folded Reload
	v_and_b32_e32 v11, 0xffff0000, v18
	v_add_f32_e32 v11, v11, v12
	v_add_f32_e32 v0, v11, v0
	s_waitcnt vmcnt(0)
	v_lshlrev_b32_e32 v19, 16, v19
	v_mul_f32_e32 v19, v3, v19
	v_bfe_u32 v20, v19, 16, 1
	v_add3_u32 v20, v20, v19, s30
	v_or_b32_e32 v21, 0x400000, v19
	v_cmp_u_f32_e32 vcc, v19, v19
	v_cndmask_b32_e32 v19, v20, v21, vcc
	buffer_load_dword v20, off, s[60:63], 0 offset:44 ; 4-byte Folded Reload
	v_and_b32_e32 v12, 0xffff0000, v19
	s_waitcnt vmcnt(0)
	v_lshlrev_b32_e32 v20, 16, v20
	v_mul_f32_e32 v20, v7, v20
	v_bfe_u32 v21, v20, 16, 1
	v_add3_u32 v21, v21, v20, s30
	v_or_b32_e32 v22, 0x400000, v20
	v_cmp_u_f32_e32 vcc, v20, v20
	v_cndmask_b32_e32 v20, v21, v22, vcc
	buffer_load_dword v21, off, s[60:63], 0 offset:60 ; 4-byte Folded Reload
	v_and_b32_e32 v11, 0xffff0000, v20
	v_add_f32_e32 v11, v11, v12
	v_add_f32_e32 v0, v11, v0
	s_waitcnt vmcnt(0)
	v_lshlrev_b32_e32 v21, 16, v21
	v_mul_f32_e32 v21, v5, v21
	v_bfe_u32 v22, v21, 16, 1
	v_add3_u32 v22, v22, v21, s30
	v_or_b32_e32 v23, 0x400000, v21
	v_cmp_u_f32_e32 vcc, v21, v21
	v_cndmask_b32_e32 v21, v22, v23, vcc
	buffer_load_dword v22, off, s[60:63], 0 offset:48 ; 4-byte Folded Reload
	v_and_b32_e32 v12, 0xffff0000, v21
	s_waitcnt vmcnt(0)
	v_lshlrev_b32_e32 v22, 16, v22
	v_mul_f32_e32 v22, v8, v22
	v_bfe_u32 v23, v22, 16, 1
	v_add3_u32 v23, v23, v22, s30
	v_or_b32_e32 v24, 0x400000, v22
	v_cmp_u_f32_e32 vcc, v22, v22
	v_cndmask_b32_e32 v22, v23, v24, vcc
	v_and_b32_e32 v11, 0xffff0000, v22
	v_add_f32_e32 v11, v11, v12
	v_add_f32_e32 v0, v11, v0
	buffer_load_dword v11, off, s[60:63], 0 offset:140 ; 4-byte Folded Reload
	s_waitcnt vmcnt(0)
	v_add_f32_e32 v11, v11, v0
	buffer_load_dword v0, off, s[60:63], 0 offset:32 ; 4-byte Folded Reload
	s_waitcnt vmcnt(0)
	v_lshlrev_b32_e32 v0, 16, v0
	v_mul_f32_e32 v0, v1, v0
	buffer_store_dword v11, off, s[60:63], 0 offset:140 ; 4-byte Folded Spill
	v_bfe_u32 v11, v0, 16, 1
	v_add3_u32 v11, v11, v0, s30
	v_or_b32_e32 v12, 0x400000, v0
	v_cmp_u_f32_e32 vcc, v0, v0
	v_cndmask_b32_e32 v0, v11, v12, vcc
	buffer_load_dword v11, off, s[60:63], 0 offset:36 ; 4-byte Folded Reload
	v_and_b32_e32 v0, 0xffff0000, v0
	s_waitcnt vmcnt(0)
	v_lshlrev_b32_e32 v11, 16, v11
	v_mul_f32_e32 v11, v4, v11
	v_bfe_u32 v12, v11, 16, 1
	v_add3_u32 v12, v12, v11, s30
	v_or_b32_e32 v18, 0x400000, v11
	v_cmp_u_f32_e32 vcc, v11, v11
	v_cndmask_b32_e32 v11, v12, v18, vcc
	buffer_load_dword v12, off, s[60:63], 0 offset:20 ; 4-byte Folded Reload
	v_and_b32_e32 v11, 0xffff0000, v11
	v_add_f32_e32 v0, v11, v0
	s_waitcnt vmcnt(0)
	v_lshlrev_b32_e32 v12, 16, v12
	v_mul_f32_e32 v12, v2, v12
	v_bfe_u32 v18, v12, 16, 1
	v_add3_u32 v18, v18, v12, s30
	v_or_b32_e32 v19, 0x400000, v12
	v_cmp_u_f32_e32 vcc, v12, v12
	v_cndmask_b32_e32 v12, v18, v19, vcc
	buffer_load_dword v18, off, s[60:63], 0 offset:24 ; 4-byte Folded Reload
	v_and_b32_e32 v12, 0xffff0000, v12
	s_waitcnt vmcnt(0)
	v_lshlrev_b32_e32 v18, 16, v18
	v_mul_f32_e32 v18, v6, v18
	v_bfe_u32 v19, v18, 16, 1
	v_add3_u32 v19, v19, v18, s30
	v_or_b32_e32 v20, 0x400000, v18
	v_cmp_u_f32_e32 vcc, v18, v18
	v_cndmask_b32_e32 v18, v19, v20, vcc
	buffer_load_dword v19, off, s[60:63], 0 offset:8 ; 4-byte Folded Reload
	v_and_b32_e32 v11, 0xffff0000, v18
	buffer_load_dword v18, off, s[60:63], 0 offset:148 ; 4-byte Folded Reload
	v_add_f32_e32 v11, v11, v12
	v_add_f32_e32 v0, v11, v0
	s_waitcnt vmcnt(1)
	v_lshlrev_b32_e32 v19, 16, v19
	v_mul_f32_e32 v19, v3, v19
	v_bfe_u32 v20, v19, 16, 1
	v_add3_u32 v20, v20, v19, s30
	v_or_b32_e32 v21, 0x400000, v19
	v_cmp_u_f32_e32 vcc, v19, v19
	v_cndmask_b32_e32 v19, v20, v21, vcc
	buffer_load_dword v20, off, s[60:63], 0 offset:12 ; 4-byte Folded Reload
	v_and_b32_e32 v12, 0xffff0000, v19
	s_waitcnt vmcnt(0)
	v_lshlrev_b32_e32 v20, 16, v20
	v_mul_f32_e32 v20, v7, v20
	v_bfe_u32 v21, v20, 16, 1
	v_add3_u32 v21, v21, v20, s30
	v_or_b32_e32 v22, 0x400000, v20
	v_cmp_u_f32_e32 vcc, v20, v20
	v_cndmask_b32_e32 v20, v21, v22, vcc
	buffer_load_dword v21, off, s[60:63], 0 offset:28 ; 4-byte Folded Reload
	v_and_b32_e32 v11, 0xffff0000, v20
	v_add_f32_e32 v11, v11, v12
	v_add_f32_e32 v0, v11, v0
	s_waitcnt vmcnt(0)
	v_lshlrev_b32_e32 v21, 16, v21
	v_mul_f32_e32 v21, v5, v21
	v_bfe_u32 v22, v21, 16, 1
	v_add3_u32 v22, v22, v21, s30
	v_or_b32_e32 v23, 0x400000, v21
	v_cmp_u_f32_e32 vcc, v21, v21
	v_cndmask_b32_e32 v21, v22, v23, vcc
	buffer_load_dword v22, off, s[60:63], 0 offset:16 ; 4-byte Folded Reload
	v_and_b32_e32 v12, 0xffff0000, v21
	s_waitcnt vmcnt(0)
	v_lshlrev_b32_e32 v22, 16, v22
	v_mul_f32_e32 v22, v8, v22
	v_bfe_u32 v23, v22, 16, 1
	v_add3_u32 v23, v23, v22, s30
	v_or_b32_e32 v24, 0x400000, v22
	v_cmp_u_f32_e32 vcc, v22, v22
	v_cndmask_b32_e32 v22, v23, v24, vcc
	v_and_b32_e32 v11, 0xffff0000, v22
	v_add_f32_e32 v11, v11, v12
	v_add_f32_e32 v0, v11, v0
	;; [unrolled: 1-line block ×3, first 2 shown]
	v_lshlrev_b32_e32 v0, 16, v58
	v_mul_f32_e32 v0, v4, v0
	v_bfe_u32 v4, v0, 16, 1
	v_add3_u32 v4, v4, v0, s30
	v_or_b32_e32 v11, 0x400000, v0
	v_cmp_u_f32_e32 vcc, v0, v0
	v_cndmask_b32_e32 v0, v4, v11, vcc
	v_lshlrev_b32_e32 v4, 16, v57
	v_mul_f32_e32 v1, v1, v4
	v_bfe_u32 v4, v1, 16, 1
	v_add3_u32 v4, v4, v1, s30
	v_or_b32_e32 v11, 0x400000, v1
	v_cmp_u_f32_e32 vcc, v1, v1
	v_cndmask_b32_e32 v1, v4, v11, vcc
	v_lshlrev_b32_e32 v4, 16, v56
	v_mul_f32_e32 v4, v6, v4
	v_bfe_u32 v6, v4, 16, 1
	v_add3_u32 v6, v6, v4, s30
	v_or_b32_e32 v11, 0x400000, v4
	v_cmp_u_f32_e32 vcc, v4, v4
	v_cndmask_b32_e32 v4, v6, v11, vcc
	v_lshlrev_b32_e32 v6, 16, v16
	v_mul_f32_e32 v2, v2, v6
	v_bfe_u32 v6, v2, 16, 1
	v_add3_u32 v6, v6, v2, s30
	v_or_b32_e32 v11, 0x400000, v2
	v_cmp_u_f32_e32 vcc, v2, v2
	v_cndmask_b32_e32 v2, v6, v11, vcc
	v_lshlrev_b32_e32 v6, 16, v15
	v_mul_f32_e32 v6, v7, v6
	v_bfe_u32 v7, v6, 16, 1
	v_add3_u32 v7, v7, v6, s30
	v_or_b32_e32 v11, 0x400000, v6
	v_cmp_u_f32_e32 vcc, v6, v6
	v_cndmask_b32_e32 v6, v7, v11, vcc
	v_lshlrev_b32_e32 v7, 16, v9
	v_mul_f32_e32 v3, v3, v7
	v_bfe_u32 v7, v3, 16, 1
	v_add3_u32 v7, v7, v3, s30
	v_or_b32_e32 v9, 0x400000, v3
	v_cmp_u_f32_e32 vcc, v3, v3
	v_cndmask_b32_e32 v3, v7, v9, vcc
	v_lshlrev_b32_e32 v7, 16, v17
	v_mul_f32_e32 v7, v8, v7
	v_bfe_u32 v8, v7, 16, 1
	v_add3_u32 v8, v8, v7, s30
	v_or_b32_e32 v9, 0x400000, v7
	v_cmp_u_f32_e32 vcc, v7, v7
	v_cndmask_b32_e32 v7, v8, v9, vcc
	v_lshlrev_b32_e32 v8, 16, v53
	v_and_b32_e32 v1, 0xffff0000, v1
	v_and_b32_e32 v0, 0xffff0000, v0
	v_mul_f32_e32 v5, v5, v8
	v_add_f32_e32 v0, v0, v1
	v_and_b32_e32 v1, 0xffff0000, v2
	v_and_b32_e32 v2, 0xffff0000, v4
	v_bfe_u32 v8, v5, 16, 1
	v_add_f32_e32 v1, v2, v1
	v_add3_u32 v8, v8, v5, s30
	v_or_b32_e32 v9, 0x400000, v5
	v_cmp_u_f32_e32 vcc, v5, v5
	v_add_f32_e32 v0, v1, v0
	v_and_b32_e32 v1, 0xffff0000, v3
	v_and_b32_e32 v2, 0xffff0000, v6
	v_cndmask_b32_e32 v5, v8, v9, vcc
	v_add_f32_e32 v1, v2, v1
	v_add_f32_e32 v0, v1, v0
	v_and_b32_e32 v1, 0xffff0000, v5
	v_and_b32_e32 v2, 0xffff0000, v7
	v_add_f32_e32 v1, v2, v1
	v_add_f32_e32 v0, v1, v0
	buffer_load_dword v1, off, s[60:63], 0 offset:136 ; 4-byte Folded Reload
	s_waitcnt vmcnt(0)
	v_add_f32_e32 v1, v1, v0
	buffer_store_dword v1, off, s[60:63], 0 offset:136 ; 4-byte Folded Spill
.LBB314_375:                            ;   in Loop: Header=BB314_376 Depth=1
	s_or_b64 exec, exec, s[12:13]
	buffer_load_dword v0, off, s[60:63], 0  ; 4-byte Folded Reload
	buffer_load_dword v3, off, s[60:63], 0 offset:4 ; 4-byte Folded Reload
	v_add_co_u32_e32 v13, vcc, 8, v13
	v_addc_co_u32_e32 v14, vcc, 0, v14, vcc
	v_add_u32_e32 v35, 0x100, v35
	s_waitcnt vmcnt(1)
	v_add_u32_e32 v0, 2, v0
	v_cmp_le_i32_e32 vcc, s47, v0
	s_waitcnt vmcnt(0)
	v_add_u32_e32 v3, 64, v3
	s_or_b64 s[6:7], vcc, s[6:7]
	buffer_store_dword v0, off, s[60:63], 0 ; 4-byte Folded Spill
	s_andn2_b64 exec, exec, s[6:7]
	s_cbranch_execz .LBB314_727
.LBB314_376:                            ; =>This Inner Loop Header: Depth=1
	s_waitcnt vmcnt(4)
	v_mul_hi_u32 v0, v3, s46
	buffer_store_dword v3, off, s[60:63], 0 offset:4 ; 4-byte Folded Spill
	v_mul_lo_u32 v1, v0, s25
	v_add_u32_e32 v2, 1, v0
	v_sub_u32_e32 v1, v3, v1
	buffer_load_dword v3, off, s[60:63], 0 offset:144 ; 4-byte Folded Reload
	v_cmp_le_u32_e32 vcc, s25, v1
	v_cndmask_b32_e32 v0, v0, v2, vcc
	v_subrev_u32_e32 v2, s25, v1
	v_cndmask_b32_e32 v1, v1, v2, vcc
	v_add_u32_e32 v2, 1, v0
	v_cmp_le_u32_e32 vcc, s25, v1
	v_cndmask_b32_e32 v0, v0, v2, vcc
	v_xor_b32_e32 v0, s23, v0
	v_subrev_u32_e32 v0, s23, v0
	v_add_u32_e32 v1, s36, v0
	v_sub_u32_e32 v2, 0, v1
	v_max_i32_e32 v2, v1, v2
	v_ashrrev_i32_e32 v1, 31, v1
	v_cmp_lt_i32_e64 s[0:1], s37, v0
	s_waitcnt vmcnt(0)
	v_mul_hi_u32 v3, v2, v3
	v_mul_lo_u32 v3, v3, s22
	v_sub_u32_e32 v2, v2, v3
	v_subrev_u32_e32 v3, s22, v2
	v_cmp_le_u32_e32 vcc, s22, v2
	v_cndmask_b32_e32 v2, v2, v3, vcc
	v_subrev_u32_e32 v3, s22, v2
	v_cmp_le_u32_e32 vcc, s22, v2
	v_cndmask_b32_e32 v2, v2, v3, vcc
	v_xor_b32_e32 v2, v2, v1
	v_sub_u32_e32 v1, v2, v1
	v_cmp_eq_u32_e32 vcc, 0, v1
	s_or_b64 s[0:1], vcc, s[0:1]
	s_and_saveexec_b64 s[12:13], s[0:1]
	s_cbranch_execz .LBB314_375
; %bb.377:                              ;   in Loop: Header=BB314_376 Depth=1
	buffer_store_dword v18, off, s[60:63], 0 offset:148 ; 4-byte Folded Spill
	global_load_dword v0, v[13:14], off
	buffer_load_dword v1, off, s[60:63], 0 offset:160 ; 4-byte Folded Reload
	buffer_load_dword v2, off, s[60:63], 0 offset:164 ; 4-byte Folded Reload
	v_mov_b32_e32 v11, 0
	s_waitcnt vmcnt(0)
	v_mad_i64_i32 v[15:16], s[0:1], v0, s34, v[1:2]
	v_mov_b32_e32 v0, 0
	global_load_dwordx2 v[17:18], v[15:16], off
	ds_read2_b64 v[5:8], v35 offset1:1
	ds_read2_b64 v[1:4], v35 offset0:2 offset1:3
	s_load_dword s31, s[14:15], 0x0
	s_waitcnt vmcnt(0)
	v_cmp_ne_u16_sdwa s[16:17], v17, v10 src0_sel:BYTE_0 src1_sel:DWORD
	s_and_saveexec_b64 s[0:1], s[16:17]
	s_cbranch_execz .LBB314_383
; %bb.378:                              ;   in Loop: Header=BB314_376 Depth=1
	v_cmp_ne_u16_sdwa s[18:19], v17, s28 src0_sel:BYTE_0 src1_sel:DWORD
	v_bfrev_b32_e32 v0, 1
	s_and_saveexec_b64 s[16:17], s[18:19]
	s_cbranch_execz .LBB314_382
; %bb.379:                              ;   in Loop: Header=BB314_376 Depth=1
	v_and_b32_e32 v9, 0x7f, v17
	v_cmp_ne_u32_e32 vcc, s29, v9
	v_mov_b32_e32 v0, 0x7f800001
	s_and_saveexec_b64 s[18:19], vcc
	s_cbranch_execz .LBB314_381
; %bb.380:                              ;   in Loop: Header=BB314_376 Depth=1
	v_and_b32_e32 v0, 7, v17
	v_ffbh_u32_e32 v0, v0
	v_min_u32_e32 v0, 32, v0
	v_subrev_u32_e32 v19, 28, v0
	v_cmp_gt_u32_e32 vcc, 8, v9
	v_lshrrev_b32_e32 v12, 3, v9
	v_cndmask_b32_e32 v9, 0, v19, vcc
	v_lshlrev_b64 v[19:20], v9, v[17:18]
	v_sub_u32_e32 v0, 29, v0
	v_cndmask_b32_e32 v0, v12, v0, vcc
	v_lshlrev_b32_e32 v9, 20, v19
	v_lshlrev_b32_e32 v12, 24, v17
	v_bfrev_b32_e32 v19, 60
	v_and_b32_e32 v9, 0x700000, v9
	v_and_b32_e32 v12, 0x80000000, v12
	v_lshl_add_u32 v0, v0, 23, v19
	v_or3_b32 v0, v12, v0, v9
.LBB314_381:                            ;   in Loop: Header=BB314_376 Depth=1
	s_or_b64 exec, exec, s[18:19]
.LBB314_382:                            ;   in Loop: Header=BB314_376 Depth=1
	s_or_b64 exec, exec, s[16:17]
.LBB314_383:                            ;   in Loop: Header=BB314_376 Depth=1
	s_or_b64 exec, exec, s[0:1]
	v_lshrrev_b16_e32 v9, 8, v17
	v_cmp_ne_u16_e32 vcc, 0, v9
	s_and_saveexec_b64 s[0:1], vcc
	s_cbranch_execz .LBB314_389
; %bb.384:                              ;   in Loop: Header=BB314_376 Depth=1
	v_cmp_ne_u16_e32 vcc, s28, v9
	v_bfrev_b32_e32 v11, 1
	s_and_saveexec_b64 s[16:17], vcc
	s_cbranch_execz .LBB314_388
; %bb.385:                              ;   in Loop: Header=BB314_376 Depth=1
	v_and_b32_e32 v12, 0x7f, v9
	v_cmp_ne_u32_e32 vcc, s29, v12
	v_mov_b32_e32 v11, 0x7f800001
	s_and_saveexec_b64 s[18:19], vcc
	s_cbranch_execz .LBB314_387
; %bb.386:                              ;   in Loop: Header=BB314_376 Depth=1
	v_and_b32_e32 v11, 7, v9
	v_ffbh_u32_e32 v19, v11
	v_min_u32_e32 v22, 32, v19
	v_subrev_u32_e32 v19, 28, v22
	v_lshlrev_b64 v[19:20], v19, v[9:10]
	v_lshrrev_b32_e32 v21, 3, v12
	v_sub_u32_e32 v9, 29, v22
	v_and_b32_e32 v19, 7, v19
	v_cmp_gt_u32_e32 vcc, 8, v12
	v_cndmask_b32_e32 v9, v21, v9, vcc
	v_cndmask_b32_e32 v11, v11, v19, vcc
	v_lshlrev_b32_e32 v12, 16, v17
	v_bfrev_b32_e32 v19, 60
	v_lshlrev_b32_e32 v11, 20, v11
	v_and_b32_e32 v12, 0x80000000, v12
	v_lshl_add_u32 v9, v9, 23, v19
	v_or3_b32 v11, v12, v9, v11
.LBB314_387:                            ;   in Loop: Header=BB314_376 Depth=1
	s_or_b64 exec, exec, s[18:19]
.LBB314_388:                            ;   in Loop: Header=BB314_376 Depth=1
	s_or_b64 exec, exec, s[16:17]
.LBB314_389:                            ;   in Loop: Header=BB314_376 Depth=1
	s_or_b64 exec, exec, s[0:1]
	v_lshrrev_b32_e32 v9, 16, v17
	v_cmp_ne_u16_sdwa s[16:17], v9, v10 src0_sel:BYTE_0 src1_sel:DWORD
	v_mov_b32_e32 v20, 0
	v_mov_b32_e32 v12, 0
	s_and_saveexec_b64 s[0:1], s[16:17]
	s_cbranch_execz .LBB314_395
; %bb.390:                              ;   in Loop: Header=BB314_376 Depth=1
	v_cmp_ne_u16_sdwa s[18:19], v9, s28 src0_sel:BYTE_0 src1_sel:DWORD
	v_bfrev_b32_e32 v12, 1
	s_and_saveexec_b64 s[16:17], s[18:19]
	s_cbranch_execz .LBB314_394
; %bb.391:                              ;   in Loop: Header=BB314_376 Depth=1
	v_bfe_u32 v19, v17, 16, 7
	v_cmp_ne_u32_e32 vcc, s29, v19
	v_mov_b32_e32 v12, 0x7f800001
	s_and_saveexec_b64 s[18:19], vcc
	s_cbranch_execz .LBB314_393
; %bb.392:                              ;   in Loop: Header=BB314_376 Depth=1
	v_and_b32_e32 v12, 7, v9
	v_ffbh_u32_e32 v21, v12
	v_min_u32_e32 v24, 32, v21
	v_subrev_u32_e32 v21, 28, v24
	v_lshlrev_b64 v[21:22], v21, v[9:10]
	v_lshrrev_b32_e32 v23, 3, v19
	v_sub_u32_e32 v22, 29, v24
	v_and_b32_e32 v21, 7, v21
	v_cmp_gt_u32_e32 vcc, 8, v19
	v_cndmask_b32_e32 v19, v23, v22, vcc
	v_cndmask_b32_e32 v12, v12, v21, vcc
	v_lshlrev_b32_e32 v9, 24, v9
	v_bfrev_b32_e32 v21, 60
	v_lshlrev_b32_e32 v12, 20, v12
	v_and_b32_e32 v9, 0x80000000, v9
	v_lshl_add_u32 v19, v19, 23, v21
	v_or3_b32 v12, v9, v19, v12
.LBB314_393:                            ;   in Loop: Header=BB314_376 Depth=1
	s_or_b64 exec, exec, s[18:19]
.LBB314_394:                            ;   in Loop: Header=BB314_376 Depth=1
	s_or_b64 exec, exec, s[16:17]
.LBB314_395:                            ;   in Loop: Header=BB314_376 Depth=1
	s_or_b64 exec, exec, s[0:1]
	v_cmp_lt_u32_e32 vcc, s5, v17
	s_and_saveexec_b64 s[0:1], vcc
	s_cbranch_execz .LBB314_401
; %bb.396:                              ;   in Loop: Header=BB314_376 Depth=1
	v_lshrrev_b32_e32 v9, 24, v17
	v_cmp_ne_u32_e32 vcc, s28, v9
	v_bfrev_b32_e32 v20, 1
	s_and_saveexec_b64 s[16:17], vcc
	s_cbranch_execz .LBB314_400
; %bb.397:                              ;   in Loop: Header=BB314_376 Depth=1
	v_bfe_u32 v19, v17, 24, 7
	v_cmp_ne_u32_e32 vcc, s29, v19
	v_mov_b32_e32 v20, 0x7f800001
	s_and_saveexec_b64 s[18:19], vcc
	s_cbranch_execz .LBB314_399
; %bb.398:                              ;   in Loop: Header=BB314_376 Depth=1
	v_and_b32_e32 v22, 7, v9
	v_ffbh_u32_e32 v20, v22
	v_min_u32_e32 v24, 32, v20
	v_subrev_u32_e32 v20, 28, v24
	v_lshlrev_b64 v[20:21], v20, v[9:10]
	v_lshrrev_b32_e32 v23, 3, v19
	v_sub_u32_e32 v21, 29, v24
	v_and_b32_e32 v20, 7, v20
	v_cmp_gt_u32_e32 vcc, 8, v19
	v_cndmask_b32_e32 v19, v23, v21, vcc
	v_cndmask_b32_e32 v20, v22, v20, vcc
	v_lshlrev_b32_e32 v9, 24, v9
	v_bfrev_b32_e32 v21, 60
	v_lshlrev_b32_e32 v20, 20, v20
	v_and_b32_e32 v9, 0x80000000, v9
	v_lshl_add_u32 v19, v19, 23, v21
	v_or3_b32 v20, v9, v19, v20
.LBB314_399:                            ;   in Loop: Header=BB314_376 Depth=1
	s_or_b64 exec, exec, s[18:19]
.LBB314_400:                            ;   in Loop: Header=BB314_376 Depth=1
	s_or_b64 exec, exec, s[16:17]
.LBB314_401:                            ;   in Loop: Header=BB314_376 Depth=1
	s_or_b64 exec, exec, s[0:1]
	v_mov_b32_e32 v9, v18
	v_cmp_ne_u16_sdwa s[16:17], v18, v10 src0_sel:BYTE_0 src1_sel:DWORD
	v_mov_b32_e32 v22, 0
	v_mov_b32_e32 v21, 0
	s_and_saveexec_b64 s[0:1], s[16:17]
	s_cbranch_execz .LBB314_407
; %bb.402:                              ;   in Loop: Header=BB314_376 Depth=1
	v_cmp_ne_u16_sdwa s[18:19], v18, s28 src0_sel:BYTE_0 src1_sel:DWORD
	v_bfrev_b32_e32 v21, 1
	s_and_saveexec_b64 s[16:17], s[18:19]
	s_cbranch_execz .LBB314_406
; %bb.403:                              ;   in Loop: Header=BB314_376 Depth=1
	v_and_b32_e32 v19, 0x7f, v18
	v_cmp_ne_u32_e32 vcc, s29, v19
	v_mov_b32_e32 v21, 0x7f800001
	s_and_saveexec_b64 s[18:19], vcc
	s_cbranch_execz .LBB314_405
; %bb.404:                              ;   in Loop: Header=BB314_376 Depth=1
	v_and_b32_e32 v21, 7, v18
	v_ffbh_u32_e32 v21, v21
	v_min_u32_e32 v21, 32, v21
	v_lshrrev_b32_e32 v23, 3, v19
	v_subrev_u32_e32 v24, 28, v21
	v_sub_u32_e32 v21, 29, v21
	v_cmp_gt_u32_e32 vcc, 8, v19
	v_cndmask_b32_e32 v19, v23, v21, vcc
	v_cndmask_b32_e32 v21, 0, v24, vcc
	v_lshlrev_b64 v[23:24], v21, v[9:10]
	v_bfrev_b32_e32 v24, 60
	v_lshlrev_b32_e32 v21, 20, v23
	v_lshlrev_b32_e32 v23, 24, v9
	v_and_b32_e32 v21, 0x700000, v21
	v_and_b32_e32 v23, 0x80000000, v23
	v_lshl_add_u32 v19, v19, 23, v24
	v_or3_b32 v21, v23, v19, v21
.LBB314_405:                            ;   in Loop: Header=BB314_376 Depth=1
	s_or_b64 exec, exec, s[18:19]
.LBB314_406:                            ;   in Loop: Header=BB314_376 Depth=1
	s_or_b64 exec, exec, s[16:17]
.LBB314_407:                            ;   in Loop: Header=BB314_376 Depth=1
	s_or_b64 exec, exec, s[0:1]
	v_lshrrev_b16_e32 v19, 8, v9
	v_cmp_ne_u16_e32 vcc, 0, v19
	s_and_saveexec_b64 s[0:1], vcc
	s_cbranch_execz .LBB314_413
; %bb.408:                              ;   in Loop: Header=BB314_376 Depth=1
	v_cmp_ne_u16_e32 vcc, s28, v19
	v_bfrev_b32_e32 v22, 1
	s_and_saveexec_b64 s[16:17], vcc
	s_cbranch_execz .LBB314_412
; %bb.409:                              ;   in Loop: Header=BB314_376 Depth=1
	v_and_b32_e32 v23, 0x7f, v19
	v_cmp_ne_u32_e32 vcc, s29, v23
	v_mov_b32_e32 v22, 0x7f800001
	s_and_saveexec_b64 s[18:19], vcc
	s_cbranch_execz .LBB314_411
; %bb.410:                              ;   in Loop: Header=BB314_376 Depth=1
	v_and_b32_e32 v22, 7, v19
	v_ffbh_u32_e32 v24, v22
	v_min_u32_e32 v27, 32, v24
	v_subrev_u32_e32 v24, 28, v27
	v_lshlrev_b64 v[24:25], v24, v[19:20]
	v_lshrrev_b32_e32 v26, 3, v23
	v_sub_u32_e32 v19, 29, v27
	v_and_b32_e32 v24, 7, v24
	v_cmp_gt_u32_e32 vcc, 8, v23
	v_cndmask_b32_e32 v19, v26, v19, vcc
	v_cndmask_b32_e32 v22, v22, v24, vcc
	v_lshlrev_b32_e32 v9, 16, v9
	v_bfrev_b32_e32 v23, 60
	v_lshlrev_b32_e32 v22, 20, v22
	v_and_b32_e32 v9, 0x80000000, v9
	v_lshl_add_u32 v19, v19, 23, v23
	v_or3_b32 v22, v9, v19, v22
.LBB314_411:                            ;   in Loop: Header=BB314_376 Depth=1
	s_or_b64 exec, exec, s[18:19]
.LBB314_412:                            ;   in Loop: Header=BB314_376 Depth=1
	s_or_b64 exec, exec, s[16:17]
.LBB314_413:                            ;   in Loop: Header=BB314_376 Depth=1
	s_or_b64 exec, exec, s[0:1]
	v_lshrrev_b32_e32 v9, 16, v18
	v_cmp_ne_u16_sdwa s[16:17], v9, v10 src0_sel:BYTE_0 src1_sel:DWORD
	v_mov_b32_e32 v19, 0
	v_mov_b32_e32 v23, 0
	s_and_saveexec_b64 s[0:1], s[16:17]
	s_cbranch_execz .LBB314_419
; %bb.414:                              ;   in Loop: Header=BB314_376 Depth=1
	v_cmp_ne_u16_sdwa s[18:19], v9, s28 src0_sel:BYTE_0 src1_sel:DWORD
	v_bfrev_b32_e32 v23, 1
	s_and_saveexec_b64 s[16:17], s[18:19]
	s_cbranch_execz .LBB314_418
; %bb.415:                              ;   in Loop: Header=BB314_376 Depth=1
	v_bfe_u32 v24, v18, 16, 7
	v_cmp_ne_u32_e32 vcc, s29, v24
	v_mov_b32_e32 v23, 0x7f800001
	s_and_saveexec_b64 s[18:19], vcc
	s_cbranch_execz .LBB314_417
; %bb.416:                              ;   in Loop: Header=BB314_376 Depth=1
	v_and_b32_e32 v23, 7, v9
	v_ffbh_u32_e32 v25, v23
	v_min_u32_e32 v28, 32, v25
	v_subrev_u32_e32 v25, 28, v28
	v_lshlrev_b64 v[25:26], v25, v[9:10]
	v_lshrrev_b32_e32 v27, 3, v24
	v_sub_u32_e32 v26, 29, v28
	v_and_b32_e32 v25, 7, v25
	v_cmp_gt_u32_e32 vcc, 8, v24
	v_cndmask_b32_e32 v24, v27, v26, vcc
	v_cndmask_b32_e32 v23, v23, v25, vcc
	v_lshlrev_b32_e32 v9, 24, v9
	v_bfrev_b32_e32 v25, 60
	v_lshlrev_b32_e32 v23, 20, v23
	v_and_b32_e32 v9, 0x80000000, v9
	v_lshl_add_u32 v24, v24, 23, v25
	v_or3_b32 v23, v9, v24, v23
.LBB314_417:                            ;   in Loop: Header=BB314_376 Depth=1
	s_or_b64 exec, exec, s[18:19]
.LBB314_418:                            ;   in Loop: Header=BB314_376 Depth=1
	s_or_b64 exec, exec, s[16:17]
.LBB314_419:                            ;   in Loop: Header=BB314_376 Depth=1
	s_or_b64 exec, exec, s[0:1]
	v_cmp_lt_u64_e32 vcc, s[4:5], v[17:18]
	s_and_saveexec_b64 s[0:1], vcc
	s_cbranch_execz .LBB314_425
; %bb.420:                              ;   in Loop: Header=BB314_376 Depth=1
	v_lshrrev_b32_e32 v9, 24, v18
	v_cmp_ne_u32_e32 vcc, s28, v9
	v_bfrev_b32_e32 v19, 1
	s_and_saveexec_b64 s[16:17], vcc
	s_cbranch_execz .LBB314_424
; %bb.421:                              ;   in Loop: Header=BB314_376 Depth=1
	v_bfe_u32 v17, v18, 24, 7
	v_cmp_ne_u32_e32 vcc, s29, v17
	v_mov_b32_e32 v19, 0x7f800001
	s_and_saveexec_b64 s[18:19], vcc
	s_cbranch_execz .LBB314_423
; %bb.422:                              ;   in Loop: Header=BB314_376 Depth=1
	v_and_b32_e32 v24, 7, v9
	v_ffbh_u32_e32 v18, v24
	v_min_u32_e32 v26, 32, v18
	v_subrev_u32_e32 v18, 28, v26
	v_lshlrev_b64 v[18:19], v18, v[9:10]
	v_lshrrev_b32_e32 v25, 3, v17
	v_sub_u32_e32 v19, 29, v26
	v_and_b32_e32 v18, 7, v18
	v_cmp_gt_u32_e32 vcc, 8, v17
	v_cndmask_b32_e32 v17, v25, v19, vcc
	v_cndmask_b32_e32 v18, v24, v18, vcc
	v_lshlrev_b32_e32 v9, 24, v9
	v_bfrev_b32_e32 v19, 60
	v_lshlrev_b32_e32 v18, 20, v18
	v_and_b32_e32 v9, 0x80000000, v9
	v_lshl_add_u32 v17, v17, 23, v19
	v_or3_b32 v19, v9, v17, v18
.LBB314_423:                            ;   in Loop: Header=BB314_376 Depth=1
	s_or_b64 exec, exec, s[18:19]
.LBB314_424:                            ;   in Loop: Header=BB314_376 Depth=1
	s_or_b64 exec, exec, s[16:17]
.LBB314_425:                            ;   in Loop: Header=BB314_376 Depth=1
	s_or_b64 exec, exec, s[0:1]
	buffer_load_dword v9, off, s[60:63], 0 offset:4 ; 4-byte Folded Reload
	buffer_load_dword v17, off, s[60:63], 0 offset:156 ; 4-byte Folded Reload
	s_waitcnt lgkmcnt(0)
	v_mul_f32_e32 v0, s31, v0
	s_waitcnt vmcnt(0)
	v_add_u32_e32 v45, v17, v9
	buffer_load_dword v9, off, s[60:63], 0  ; 4-byte Folded Reload
	v_add_u32_e32 v48, 1, v45
	v_add_u32_e32 v54, 2, v45
	;; [unrolled: 1-line block ×6, first 2 shown]
	s_waitcnt vmcnt(0)
	v_cmp_eq_u32_e32 vcc, s35, v9
	v_mul_f32_e32 v9, s31, v22
	v_bfe_u32 v17, v9, 16, 1
	v_add3_u32 v17, v17, v9, s30
	v_or_b32_e32 v18, 0x400000, v9
	v_cmp_u_f32_e64 s[0:1], v9, v9
	v_cndmask_b32_e64 v9, v17, v18, s[0:1]
	v_lshrrev_b32_e32 v9, 16, v9
	buffer_store_dword v9, off, s[60:63], 0 offset:8 ; 4-byte Folded Spill
	v_mul_f32_e32 v9, s31, v21
	v_bfe_u32 v17, v9, 16, 1
	v_add3_u32 v17, v17, v9, s30
	v_or_b32_e32 v18, 0x400000, v9
	v_cmp_u_f32_e64 s[0:1], v9, v9
	v_cndmask_b32_e64 v9, v17, v18, s[0:1]
	v_lshrrev_b32_e32 v9, 16, v9
	buffer_store_dword v9, off, s[60:63], 0 offset:12 ; 4-byte Folded Spill
	;; [unrolled: 8-line block ×5, first 2 shown]
	v_bfe_u32 v9, v0, 16, 1
	v_add3_u32 v9, v9, v0, s30
	v_or_b32_e32 v11, 0x400000, v0
	v_cmp_u_f32_e64 s[0:1], v0, v0
	v_cndmask_b32_e64 v0, v9, v11, s[0:1]
	v_lshrrev_b32_e32 v0, 16, v0
	buffer_store_dword v0, off, s[60:63], 0 offset:36 ; 4-byte Folded Spill
	v_mul_f32_e32 v0, s31, v23
	v_bfe_u32 v9, v0, 16, 1
	v_add3_u32 v9, v9, v0, s30
	v_or_b32_e32 v11, 0x400000, v0
	v_cmp_u_f32_e64 s[0:1], v0, v0
	v_cndmask_b32_e64 v0, v9, v11, s[0:1]
	v_lshrrev_b32_e32 v0, 16, v0
	buffer_store_dword v0, off, s[60:63], 0 offset:16 ; 4-byte Folded Spill
	v_mul_f32_e32 v0, s31, v19
	v_bfe_u32 v9, v0, 16, 1
	v_add3_u32 v9, v9, v0, s30
	v_or_b32_e32 v11, 0x400000, v0
	v_cmp_u_f32_e64 s[0:1], v0, v0
	v_cndmask_b32_e64 v0, v9, v11, s[0:1]
	v_lshrrev_b32_e32 v0, 16, v0
	buffer_store_dword v0, off, s[60:63], 0 offset:28 ; 4-byte Folded Spill
	v_add_u32_e32 v0, 7, v45
	buffer_store_dword v0, off, s[60:63], 0 offset:152 ; 4-byte Folded Spill
	s_and_saveexec_b64 s[16:17], vcc
	s_cbranch_execz .LBB314_427
; %bb.426:                              ;   in Loop: Header=BB314_376 Depth=1
	buffer_load_dword v0, off, s[60:63], 0 offset:36 ; 4-byte Folded Reload
	v_cmp_gt_i32_e64 s[0:1], s33, v45
	s_waitcnt vmcnt(0)
	v_cndmask_b32_e64 v0, 0, v0, s[0:1]
	buffer_store_dword v0, off, s[60:63], 0 offset:36 ; 4-byte Folded Spill
	buffer_load_dword v0, off, s[60:63], 0 offset:32 ; 4-byte Folded Reload
	v_cmp_gt_i32_e64 s[0:1], s33, v48
	s_waitcnt vmcnt(0)
	v_cndmask_b32_e64 v0, 0, v0, s[0:1]
	buffer_store_dword v0, off, s[60:63], 0 offset:32 ; 4-byte Folded Spill
	;; [unrolled: 5-line block ×7, first 2 shown]
	v_add_u32_e32 v0, 7, v45
	v_cmp_gt_i32_e64 s[0:1], s33, v0
	buffer_load_dword v0, off, s[60:63], 0 offset:28 ; 4-byte Folded Reload
	s_waitcnt vmcnt(0)
	v_cndmask_b32_e64 v0, 0, v0, s[0:1]
	buffer_store_dword v0, off, s[60:63], 0 offset:28 ; 4-byte Folded Spill
.LBB314_427:                            ;   in Loop: Header=BB314_376 Depth=1
	s_or_b64 exec, exec, s[16:17]
	global_load_dwordx2 v[17:18], v[15:16], off offset:512
	v_mov_b32_e32 v11, 0
	v_mov_b32_e32 v0, 0
	s_waitcnt vmcnt(0)
	v_cmp_ne_u16_sdwa s[0:1], v17, v10 src0_sel:BYTE_0 src1_sel:DWORD
	s_and_saveexec_b64 s[16:17], s[0:1]
	s_cbranch_execz .LBB314_433
; %bb.428:                              ;   in Loop: Header=BB314_376 Depth=1
	v_cmp_ne_u16_sdwa s[0:1], v17, s28 src0_sel:BYTE_0 src1_sel:DWORD
	v_bfrev_b32_e32 v0, 1
	s_and_saveexec_b64 s[18:19], s[0:1]
	s_cbranch_execz .LBB314_432
; %bb.429:                              ;   in Loop: Header=BB314_376 Depth=1
	v_and_b32_e32 v9, 0x7f, v17
	v_cmp_ne_u32_e64 s[0:1], s29, v9
	v_mov_b32_e32 v0, 0x7f800001
	s_and_saveexec_b64 s[20:21], s[0:1]
	s_cbranch_execz .LBB314_431
; %bb.430:                              ;   in Loop: Header=BB314_376 Depth=1
	v_and_b32_e32 v0, 7, v17
	v_ffbh_u32_e32 v0, v0
	v_min_u32_e32 v0, 32, v0
	v_subrev_u32_e32 v19, 28, v0
	v_cmp_gt_u32_e64 s[0:1], 8, v9
	v_lshrrev_b32_e32 v12, 3, v9
	v_cndmask_b32_e64 v9, 0, v19, s[0:1]
	v_lshlrev_b64 v[19:20], v9, v[17:18]
	v_sub_u32_e32 v0, 29, v0
	v_cndmask_b32_e64 v0, v12, v0, s[0:1]
	v_lshlrev_b32_e32 v9, 20, v19
	v_lshlrev_b32_e32 v12, 24, v17
	v_bfrev_b32_e32 v19, 60
	v_and_b32_e32 v9, 0x700000, v9
	v_and_b32_e32 v12, 0x80000000, v12
	v_lshl_add_u32 v0, v0, 23, v19
	v_or3_b32 v0, v12, v0, v9
.LBB314_431:                            ;   in Loop: Header=BB314_376 Depth=1
	s_or_b64 exec, exec, s[20:21]
.LBB314_432:                            ;   in Loop: Header=BB314_376 Depth=1
	s_or_b64 exec, exec, s[18:19]
.LBB314_433:                            ;   in Loop: Header=BB314_376 Depth=1
	s_or_b64 exec, exec, s[16:17]
	v_lshrrev_b16_e32 v9, 8, v17
	v_cmp_ne_u16_e64 s[0:1], 0, v9
	s_and_saveexec_b64 s[16:17], s[0:1]
	s_cbranch_execz .LBB314_439
; %bb.434:                              ;   in Loop: Header=BB314_376 Depth=1
	v_cmp_ne_u16_e64 s[0:1], s28, v9
	v_bfrev_b32_e32 v11, 1
	s_and_saveexec_b64 s[18:19], s[0:1]
	s_cbranch_execz .LBB314_438
; %bb.435:                              ;   in Loop: Header=BB314_376 Depth=1
	v_and_b32_e32 v12, 0x7f, v9
	v_cmp_ne_u32_e64 s[0:1], s29, v12
	v_mov_b32_e32 v11, 0x7f800001
	s_and_saveexec_b64 s[20:21], s[0:1]
	s_cbranch_execz .LBB314_437
; %bb.436:                              ;   in Loop: Header=BB314_376 Depth=1
	v_and_b32_e32 v11, 7, v9
	v_ffbh_u32_e32 v19, v11
	v_min_u32_e32 v22, 32, v19
	v_subrev_u32_e32 v19, 28, v22
	v_lshlrev_b64 v[19:20], v19, v[9:10]
	v_lshrrev_b32_e32 v21, 3, v12
	v_sub_u32_e32 v9, 29, v22
	v_and_b32_e32 v19, 7, v19
	v_cmp_gt_u32_e64 s[0:1], 8, v12
	v_cndmask_b32_e64 v9, v21, v9, s[0:1]
	v_cndmask_b32_e64 v11, v11, v19, s[0:1]
	v_lshlrev_b32_e32 v12, 16, v17
	v_bfrev_b32_e32 v19, 60
	v_lshlrev_b32_e32 v11, 20, v11
	v_and_b32_e32 v12, 0x80000000, v12
	v_lshl_add_u32 v9, v9, 23, v19
	v_or3_b32 v11, v12, v9, v11
.LBB314_437:                            ;   in Loop: Header=BB314_376 Depth=1
	s_or_b64 exec, exec, s[20:21]
.LBB314_438:                            ;   in Loop: Header=BB314_376 Depth=1
	s_or_b64 exec, exec, s[18:19]
.LBB314_439:                            ;   in Loop: Header=BB314_376 Depth=1
	s_or_b64 exec, exec, s[16:17]
	v_lshrrev_b32_e32 v9, 16, v17
	v_cmp_ne_u16_sdwa s[0:1], v9, v10 src0_sel:BYTE_0 src1_sel:DWORD
	v_mov_b32_e32 v20, 0
	v_mov_b32_e32 v12, 0
	s_and_saveexec_b64 s[16:17], s[0:1]
	s_cbranch_execz .LBB314_445
; %bb.440:                              ;   in Loop: Header=BB314_376 Depth=1
	v_cmp_ne_u16_sdwa s[0:1], v9, s28 src0_sel:BYTE_0 src1_sel:DWORD
	v_bfrev_b32_e32 v12, 1
	s_and_saveexec_b64 s[18:19], s[0:1]
	s_cbranch_execz .LBB314_444
; %bb.441:                              ;   in Loop: Header=BB314_376 Depth=1
	v_bfe_u32 v19, v17, 16, 7
	v_cmp_ne_u32_e64 s[0:1], s29, v19
	v_mov_b32_e32 v12, 0x7f800001
	s_and_saveexec_b64 s[20:21], s[0:1]
	s_cbranch_execz .LBB314_443
; %bb.442:                              ;   in Loop: Header=BB314_376 Depth=1
	v_and_b32_e32 v12, 7, v9
	v_ffbh_u32_e32 v21, v12
	v_min_u32_e32 v24, 32, v21
	v_subrev_u32_e32 v21, 28, v24
	v_lshlrev_b64 v[21:22], v21, v[9:10]
	v_lshrrev_b32_e32 v23, 3, v19
	v_sub_u32_e32 v22, 29, v24
	v_and_b32_e32 v21, 7, v21
	v_cmp_gt_u32_e64 s[0:1], 8, v19
	v_cndmask_b32_e64 v19, v23, v22, s[0:1]
	v_cndmask_b32_e64 v12, v12, v21, s[0:1]
	v_lshlrev_b32_e32 v9, 24, v9
	v_bfrev_b32_e32 v21, 60
	v_lshlrev_b32_e32 v12, 20, v12
	v_and_b32_e32 v9, 0x80000000, v9
	v_lshl_add_u32 v19, v19, 23, v21
	v_or3_b32 v12, v9, v19, v12
.LBB314_443:                            ;   in Loop: Header=BB314_376 Depth=1
	s_or_b64 exec, exec, s[20:21]
.LBB314_444:                            ;   in Loop: Header=BB314_376 Depth=1
	s_or_b64 exec, exec, s[18:19]
.LBB314_445:                            ;   in Loop: Header=BB314_376 Depth=1
	s_or_b64 exec, exec, s[16:17]
	v_cmp_lt_u32_e64 s[0:1], s5, v17
	s_and_saveexec_b64 s[16:17], s[0:1]
	s_cbranch_execz .LBB314_451
; %bb.446:                              ;   in Loop: Header=BB314_376 Depth=1
	v_lshrrev_b32_e32 v9, 24, v17
	v_cmp_ne_u32_e64 s[0:1], s28, v9
	v_bfrev_b32_e32 v20, 1
	s_and_saveexec_b64 s[18:19], s[0:1]
	s_cbranch_execz .LBB314_450
; %bb.447:                              ;   in Loop: Header=BB314_376 Depth=1
	v_bfe_u32 v19, v17, 24, 7
	v_cmp_ne_u32_e64 s[0:1], s29, v19
	v_mov_b32_e32 v20, 0x7f800001
	s_and_saveexec_b64 s[20:21], s[0:1]
	s_cbranch_execz .LBB314_449
; %bb.448:                              ;   in Loop: Header=BB314_376 Depth=1
	v_and_b32_e32 v22, 7, v9
	v_ffbh_u32_e32 v20, v22
	v_min_u32_e32 v24, 32, v20
	v_subrev_u32_e32 v20, 28, v24
	v_lshlrev_b64 v[20:21], v20, v[9:10]
	v_lshrrev_b32_e32 v23, 3, v19
	v_sub_u32_e32 v21, 29, v24
	v_and_b32_e32 v20, 7, v20
	v_cmp_gt_u32_e64 s[0:1], 8, v19
	v_cndmask_b32_e64 v19, v23, v21, s[0:1]
	v_cndmask_b32_e64 v20, v22, v20, s[0:1]
	v_lshlrev_b32_e32 v9, 24, v9
	v_bfrev_b32_e32 v21, 60
	v_lshlrev_b32_e32 v20, 20, v20
	v_and_b32_e32 v9, 0x80000000, v9
	v_lshl_add_u32 v19, v19, 23, v21
	v_or3_b32 v20, v9, v19, v20
.LBB314_449:                            ;   in Loop: Header=BB314_376 Depth=1
	s_or_b64 exec, exec, s[20:21]
.LBB314_450:                            ;   in Loop: Header=BB314_376 Depth=1
	s_or_b64 exec, exec, s[18:19]
.LBB314_451:                            ;   in Loop: Header=BB314_376 Depth=1
	s_or_b64 exec, exec, s[16:17]
	v_mov_b32_e32 v9, v18
	v_cmp_ne_u16_sdwa s[0:1], v18, v10 src0_sel:BYTE_0 src1_sel:DWORD
	v_mov_b32_e32 v22, 0
	v_mov_b32_e32 v21, 0
	s_and_saveexec_b64 s[16:17], s[0:1]
	s_cbranch_execz .LBB314_457
; %bb.452:                              ;   in Loop: Header=BB314_376 Depth=1
	v_cmp_ne_u16_sdwa s[0:1], v18, s28 src0_sel:BYTE_0 src1_sel:DWORD
	v_bfrev_b32_e32 v21, 1
	s_and_saveexec_b64 s[18:19], s[0:1]
	s_cbranch_execz .LBB314_456
; %bb.453:                              ;   in Loop: Header=BB314_376 Depth=1
	v_and_b32_e32 v19, 0x7f, v18
	v_cmp_ne_u32_e64 s[0:1], s29, v19
	v_mov_b32_e32 v21, 0x7f800001
	s_and_saveexec_b64 s[20:21], s[0:1]
	s_cbranch_execz .LBB314_455
; %bb.454:                              ;   in Loop: Header=BB314_376 Depth=1
	v_and_b32_e32 v21, 7, v18
	v_ffbh_u32_e32 v21, v21
	v_min_u32_e32 v21, 32, v21
	v_lshrrev_b32_e32 v23, 3, v19
	v_subrev_u32_e32 v24, 28, v21
	v_sub_u32_e32 v21, 29, v21
	v_cmp_gt_u32_e64 s[0:1], 8, v19
	v_cndmask_b32_e64 v19, v23, v21, s[0:1]
	v_cndmask_b32_e64 v21, 0, v24, s[0:1]
	v_lshlrev_b64 v[23:24], v21, v[9:10]
	v_bfrev_b32_e32 v24, 60
	v_lshlrev_b32_e32 v21, 20, v23
	v_lshlrev_b32_e32 v23, 24, v9
	v_and_b32_e32 v21, 0x700000, v21
	v_and_b32_e32 v23, 0x80000000, v23
	v_lshl_add_u32 v19, v19, 23, v24
	v_or3_b32 v21, v23, v19, v21
.LBB314_455:                            ;   in Loop: Header=BB314_376 Depth=1
	s_or_b64 exec, exec, s[20:21]
.LBB314_456:                            ;   in Loop: Header=BB314_376 Depth=1
	s_or_b64 exec, exec, s[18:19]
.LBB314_457:                            ;   in Loop: Header=BB314_376 Depth=1
	s_or_b64 exec, exec, s[16:17]
	v_lshrrev_b16_e32 v19, 8, v9
	v_cmp_ne_u16_e64 s[0:1], 0, v19
	s_and_saveexec_b64 s[16:17], s[0:1]
	s_cbranch_execz .LBB314_463
; %bb.458:                              ;   in Loop: Header=BB314_376 Depth=1
	v_cmp_ne_u16_e64 s[0:1], s28, v19
	v_bfrev_b32_e32 v22, 1
	s_and_saveexec_b64 s[18:19], s[0:1]
	s_cbranch_execz .LBB314_462
; %bb.459:                              ;   in Loop: Header=BB314_376 Depth=1
	v_and_b32_e32 v23, 0x7f, v19
	v_cmp_ne_u32_e64 s[0:1], s29, v23
	v_mov_b32_e32 v22, 0x7f800001
	s_and_saveexec_b64 s[20:21], s[0:1]
	s_cbranch_execz .LBB314_461
; %bb.460:                              ;   in Loop: Header=BB314_376 Depth=1
	v_and_b32_e32 v24, 7, v19
	v_ffbh_u32_e32 v22, v24
	v_min_u32_e32 v26, 32, v22
	v_subrev_u32_e32 v22, 28, v26
	v_lshrrev_b32_e32 v25, 3, v23
	v_cmp_gt_u32_e64 s[0:1], 8, v23
	v_lshlrev_b64 v[22:23], v22, v[19:20]
	v_sub_u32_e32 v19, 29, v26
	v_and_b32_e32 v22, 7, v22
	v_cndmask_b32_e64 v19, v25, v19, s[0:1]
	v_cndmask_b32_e64 v22, v24, v22, s[0:1]
	v_lshlrev_b32_e32 v9, 16, v9
	v_bfrev_b32_e32 v23, 60
	v_lshlrev_b32_e32 v22, 20, v22
	v_and_b32_e32 v9, 0x80000000, v9
	v_lshl_add_u32 v19, v19, 23, v23
	v_or3_b32 v22, v9, v19, v22
.LBB314_461:                            ;   in Loop: Header=BB314_376 Depth=1
	s_or_b64 exec, exec, s[20:21]
.LBB314_462:                            ;   in Loop: Header=BB314_376 Depth=1
	s_or_b64 exec, exec, s[18:19]
.LBB314_463:                            ;   in Loop: Header=BB314_376 Depth=1
	s_or_b64 exec, exec, s[16:17]
	v_lshrrev_b32_e32 v9, 16, v18
	v_cmp_ne_u16_sdwa s[0:1], v9, v10 src0_sel:BYTE_0 src1_sel:DWORD
	v_mov_b32_e32 v19, 0
	v_mov_b32_e32 v23, 0
	s_and_saveexec_b64 s[16:17], s[0:1]
	s_cbranch_execz .LBB314_469
; %bb.464:                              ;   in Loop: Header=BB314_376 Depth=1
	v_cmp_ne_u16_sdwa s[0:1], v9, s28 src0_sel:BYTE_0 src1_sel:DWORD
	v_bfrev_b32_e32 v23, 1
	s_and_saveexec_b64 s[18:19], s[0:1]
	s_cbranch_execz .LBB314_468
; %bb.465:                              ;   in Loop: Header=BB314_376 Depth=1
	v_bfe_u32 v24, v18, 16, 7
	v_cmp_ne_u32_e64 s[0:1], s29, v24
	v_mov_b32_e32 v23, 0x7f800001
	s_and_saveexec_b64 s[20:21], s[0:1]
	s_cbranch_execz .LBB314_467
; %bb.466:                              ;   in Loop: Header=BB314_376 Depth=1
	v_and_b32_e32 v25, 7, v9
	v_ffbh_u32_e32 v23, v25
	v_min_u32_e32 v27, 32, v23
	v_subrev_u32_e32 v23, 28, v27
	v_lshrrev_b32_e32 v26, 3, v24
	v_cmp_gt_u32_e64 s[0:1], 8, v24
	v_lshlrev_b64 v[23:24], v23, v[9:10]
	v_sub_u32_e32 v24, 29, v27
	v_and_b32_e32 v23, 7, v23
	v_cndmask_b32_e64 v24, v26, v24, s[0:1]
	v_cndmask_b32_e64 v23, v25, v23, s[0:1]
	v_lshlrev_b32_e32 v9, 24, v9
	v_bfrev_b32_e32 v25, 60
	v_lshlrev_b32_e32 v23, 20, v23
	v_and_b32_e32 v9, 0x80000000, v9
	v_lshl_add_u32 v24, v24, 23, v25
	v_or3_b32 v23, v9, v24, v23
.LBB314_467:                            ;   in Loop: Header=BB314_376 Depth=1
	s_or_b64 exec, exec, s[20:21]
.LBB314_468:                            ;   in Loop: Header=BB314_376 Depth=1
	s_or_b64 exec, exec, s[18:19]
.LBB314_469:                            ;   in Loop: Header=BB314_376 Depth=1
	s_or_b64 exec, exec, s[16:17]
	v_cmp_lt_u64_e64 s[0:1], s[4:5], v[17:18]
	s_and_saveexec_b64 s[16:17], s[0:1]
	s_cbranch_execz .LBB314_475
; %bb.470:                              ;   in Loop: Header=BB314_376 Depth=1
	v_lshrrev_b32_e32 v9, 24, v18
	v_cmp_ne_u32_e64 s[0:1], s28, v9
	v_bfrev_b32_e32 v19, 1
	s_and_saveexec_b64 s[18:19], s[0:1]
	s_cbranch_execz .LBB314_474
; %bb.471:                              ;   in Loop: Header=BB314_376 Depth=1
	v_bfe_u32 v17, v18, 24, 7
	v_cmp_ne_u32_e64 s[0:1], s29, v17
	v_mov_b32_e32 v19, 0x7f800001
	s_and_saveexec_b64 s[20:21], s[0:1]
	s_cbranch_execz .LBB314_473
; %bb.472:                              ;   in Loop: Header=BB314_376 Depth=1
	v_and_b32_e32 v24, 7, v9
	v_ffbh_u32_e32 v18, v24
	v_min_u32_e32 v26, 32, v18
	v_subrev_u32_e32 v18, 28, v26
	v_lshlrev_b64 v[18:19], v18, v[9:10]
	v_lshrrev_b32_e32 v25, 3, v17
	v_sub_u32_e32 v19, 29, v26
	v_and_b32_e32 v18, 7, v18
	v_cmp_gt_u32_e64 s[0:1], 8, v17
	v_cndmask_b32_e64 v17, v25, v19, s[0:1]
	v_cndmask_b32_e64 v18, v24, v18, s[0:1]
	v_lshlrev_b32_e32 v9, 24, v9
	v_bfrev_b32_e32 v19, 60
	v_lshlrev_b32_e32 v18, 20, v18
	v_and_b32_e32 v9, 0x80000000, v9
	v_lshl_add_u32 v17, v17, 23, v19
	v_or3_b32 v19, v9, v17, v18
.LBB314_473:                            ;   in Loop: Header=BB314_376 Depth=1
	s_or_b64 exec, exec, s[20:21]
.LBB314_474:                            ;   in Loop: Header=BB314_376 Depth=1
	s_or_b64 exec, exec, s[18:19]
.LBB314_475:                            ;   in Loop: Header=BB314_376 Depth=1
	s_or_b64 exec, exec, s[16:17]
	v_mul_f32_e32 v9, s31, v22
	v_bfe_u32 v17, v9, 16, 1
	v_add3_u32 v17, v17, v9, s30
	v_or_b32_e32 v18, 0x400000, v9
	v_cmp_u_f32_e64 s[0:1], v9, v9
	v_cndmask_b32_e64 v9, v17, v18, s[0:1]
	v_lshrrev_b32_e32 v9, 16, v9
	buffer_store_dword v9, off, s[60:63], 0 offset:40 ; 4-byte Folded Spill
	v_mul_f32_e32 v9, s31, v21
	v_bfe_u32 v17, v9, 16, 1
	v_add3_u32 v17, v17, v9, s30
	v_or_b32_e32 v18, 0x400000, v9
	v_cmp_u_f32_e64 s[0:1], v9, v9
	v_cndmask_b32_e64 v9, v17, v18, s[0:1]
	v_lshrrev_b32_e32 v9, 16, v9
	buffer_store_dword v9, off, s[60:63], 0 offset:44 ; 4-byte Folded Spill
	v_mul_f32_e32 v9, s31, v20
	v_bfe_u32 v17, v9, 16, 1
	v_add3_u32 v17, v17, v9, s30
	v_or_b32_e32 v18, 0x400000, v9
	v_cmp_u_f32_e64 s[0:1], v9, v9
	v_cndmask_b32_e64 v9, v17, v18, s[0:1]
	v_lshrrev_b32_e32 v9, 16, v9
	buffer_store_dword v9, off, s[60:63], 0 offset:52 ; 4-byte Folded Spill
	v_mul_f32_e32 v9, s31, v12
	v_bfe_u32 v12, v9, 16, 1
	v_add3_u32 v12, v12, v9, s30
	v_or_b32_e32 v17, 0x400000, v9
	v_cmp_u_f32_e64 s[0:1], v9, v9
	v_cndmask_b32_e64 v9, v12, v17, s[0:1]
	v_lshrrev_b32_e32 v9, 16, v9
	buffer_store_dword v9, off, s[60:63], 0 offset:56 ; 4-byte Folded Spill
	v_mul_f32_e32 v9, s31, v11
	v_bfe_u32 v11, v9, 16, 1
	v_add3_u32 v11, v11, v9, s30
	v_or_b32_e32 v12, 0x400000, v9
	v_cmp_u_f32_e64 s[0:1], v9, v9
	v_cndmask_b32_e64 v9, v11, v12, s[0:1]
	v_lshrrev_b32_e32 v9, 16, v9
	v_mul_f32_e32 v0, s31, v0
	buffer_store_dword v9, off, s[60:63], 0 offset:64 ; 4-byte Folded Spill
	v_bfe_u32 v9, v0, 16, 1
	v_add3_u32 v9, v9, v0, s30
	v_or_b32_e32 v11, 0x400000, v0
	v_cmp_u_f32_e64 s[0:1], v0, v0
	v_cndmask_b32_e64 v0, v9, v11, s[0:1]
	v_lshrrev_b32_e32 v0, 16, v0
	buffer_store_dword v0, off, s[60:63], 0 offset:68 ; 4-byte Folded Spill
	v_mul_f32_e32 v0, s31, v23
	v_bfe_u32 v9, v0, 16, 1
	v_add3_u32 v9, v9, v0, s30
	v_or_b32_e32 v11, 0x400000, v0
	v_cmp_u_f32_e64 s[0:1], v0, v0
	v_cndmask_b32_e64 v0, v9, v11, s[0:1]
	v_lshrrev_b32_e32 v0, 16, v0
	buffer_store_dword v0, off, s[60:63], 0 offset:48 ; 4-byte Folded Spill
	v_mul_f32_e32 v0, s31, v19
	v_bfe_u32 v9, v0, 16, 1
	v_add3_u32 v9, v9, v0, s30
	v_or_b32_e32 v11, 0x400000, v0
	v_cmp_u_f32_e64 s[0:1], v0, v0
	v_cndmask_b32_e64 v0, v9, v11, s[0:1]
	v_lshrrev_b32_e32 v0, 16, v0
	buffer_store_dword v0, off, s[60:63], 0 offset:60 ; 4-byte Folded Spill
	s_and_saveexec_b64 s[16:17], vcc
	s_cbranch_execz .LBB314_477
; %bb.476:                              ;   in Loop: Header=BB314_376 Depth=1
	buffer_load_dword v0, off, s[60:63], 0 offset:68 ; 4-byte Folded Reload
	v_cmp_gt_i32_e64 s[0:1], s33, v45
	s_waitcnt vmcnt(0)
	v_cndmask_b32_e64 v0, 0, v0, s[0:1]
	buffer_store_dword v0, off, s[60:63], 0 offset:68 ; 4-byte Folded Spill
	buffer_load_dword v0, off, s[60:63], 0 offset:64 ; 4-byte Folded Reload
	v_cmp_gt_i32_e64 s[0:1], s33, v48
	s_waitcnt vmcnt(0)
	v_cndmask_b32_e64 v0, 0, v0, s[0:1]
	buffer_store_dword v0, off, s[60:63], 0 offset:64 ; 4-byte Folded Spill
	;; [unrolled: 5-line block ×7, first 2 shown]
	v_add_u32_e32 v0, 7, v45
	v_cmp_gt_i32_e64 s[0:1], s33, v0
	buffer_load_dword v0, off, s[60:63], 0 offset:60 ; 4-byte Folded Reload
	s_waitcnt vmcnt(0)
	v_cndmask_b32_e64 v0, 0, v0, s[0:1]
	buffer_store_dword v0, off, s[60:63], 0 offset:60 ; 4-byte Folded Spill
.LBB314_477:                            ;   in Loop: Header=BB314_376 Depth=1
	s_or_b64 exec, exec, s[16:17]
	global_load_dwordx2 v[17:18], v[15:16], off offset:1024
	v_mov_b32_e32 v0, 0
	v_mov_b32_e32 v11, 0
	s_waitcnt vmcnt(0)
	v_cmp_ne_u16_sdwa s[0:1], v17, v10 src0_sel:BYTE_0 src1_sel:DWORD
	s_and_saveexec_b64 s[16:17], s[0:1]
	s_cbranch_execz .LBB314_483
; %bb.478:                              ;   in Loop: Header=BB314_376 Depth=1
	v_cmp_ne_u16_sdwa s[0:1], v17, s28 src0_sel:BYTE_0 src1_sel:DWORD
	v_bfrev_b32_e32 v11, 1
	s_and_saveexec_b64 s[18:19], s[0:1]
	s_cbranch_execz .LBB314_482
; %bb.479:                              ;   in Loop: Header=BB314_376 Depth=1
	v_and_b32_e32 v9, 0x7f, v17
	v_cmp_ne_u32_e64 s[0:1], s29, v9
	v_mov_b32_e32 v11, 0x7f800001
	s_and_saveexec_b64 s[20:21], s[0:1]
	s_cbranch_execz .LBB314_481
; %bb.480:                              ;   in Loop: Header=BB314_376 Depth=1
	v_and_b32_e32 v11, 7, v17
	v_lshrrev_b32_e32 v12, 3, v9
	v_cmp_gt_u32_e64 s[0:1], 8, v9
	v_ffbh_u32_e32 v9, v11
	v_min_u32_e32 v9, 32, v9
	v_subrev_u32_e32 v11, 28, v9
	v_sub_u32_e32 v9, 29, v9
	v_cndmask_b32_e64 v11, 0, v11, s[0:1]
	v_cndmask_b32_e64 v9, v12, v9, s[0:1]
	v_lshlrev_b64 v[11:12], v11, v[17:18]
	v_lshlrev_b32_e32 v12, 24, v17
	v_lshlrev_b32_e32 v11, 20, v11
	v_bfrev_b32_e32 v19, 60
	v_and_b32_e32 v11, 0x700000, v11
	v_and_b32_e32 v12, 0x80000000, v12
	v_lshl_add_u32 v9, v9, 23, v19
	v_or3_b32 v11, v12, v9, v11
.LBB314_481:                            ;   in Loop: Header=BB314_376 Depth=1
	s_or_b64 exec, exec, s[20:21]
.LBB314_482:                            ;   in Loop: Header=BB314_376 Depth=1
	s_or_b64 exec, exec, s[18:19]
.LBB314_483:                            ;   in Loop: Header=BB314_376 Depth=1
	s_or_b64 exec, exec, s[16:17]
	v_lshrrev_b16_e32 v9, 8, v17
	v_cmp_ne_u16_e64 s[0:1], 0, v9
	s_and_saveexec_b64 s[16:17], s[0:1]
	s_cbranch_execz .LBB314_489
; %bb.484:                              ;   in Loop: Header=BB314_376 Depth=1
	v_cmp_ne_u16_e64 s[0:1], s28, v9
	v_bfrev_b32_e32 v0, 1
	s_and_saveexec_b64 s[18:19], s[0:1]
	s_cbranch_execz .LBB314_488
; %bb.485:                              ;   in Loop: Header=BB314_376 Depth=1
	v_and_b32_e32 v12, 0x7f, v9
	v_cmp_ne_u32_e64 s[0:1], s29, v12
	v_mov_b32_e32 v0, 0x7f800001
	s_and_saveexec_b64 s[20:21], s[0:1]
	s_cbranch_execz .LBB314_487
; %bb.486:                              ;   in Loop: Header=BB314_376 Depth=1
	v_and_b32_e32 v0, 7, v9
	v_lshrrev_b32_e32 v21, 3, v12
	v_cmp_gt_u32_e64 s[0:1], 8, v12
	v_ffbh_u32_e32 v12, v0
	v_min_u32_e32 v12, 32, v12
	v_subrev_u32_e32 v19, 28, v12
	v_lshlrev_b64 v[19:20], v19, v[9:10]
	v_sub_u32_e32 v9, 29, v12
	v_and_b32_e32 v12, 7, v19
	v_cndmask_b32_e64 v9, v21, v9, s[0:1]
	v_cndmask_b32_e64 v0, v0, v12, s[0:1]
	v_lshlrev_b32_e32 v12, 16, v17
	v_bfrev_b32_e32 v19, 60
	v_lshlrev_b32_e32 v0, 20, v0
	v_and_b32_e32 v12, 0x80000000, v12
	v_lshl_add_u32 v9, v9, 23, v19
	v_or3_b32 v0, v12, v9, v0
.LBB314_487:                            ;   in Loop: Header=BB314_376 Depth=1
	s_or_b64 exec, exec, s[20:21]
.LBB314_488:                            ;   in Loop: Header=BB314_376 Depth=1
	s_or_b64 exec, exec, s[18:19]
.LBB314_489:                            ;   in Loop: Header=BB314_376 Depth=1
	s_or_b64 exec, exec, s[16:17]
	v_lshrrev_b32_e32 v9, 16, v17
	v_cmp_ne_u16_sdwa s[0:1], v9, v10 src0_sel:BYTE_0 src1_sel:DWORD
	v_mov_b32_e32 v20, 0
	v_mov_b32_e32 v12, 0
	s_and_saveexec_b64 s[16:17], s[0:1]
	s_cbranch_execz .LBB314_495
; %bb.490:                              ;   in Loop: Header=BB314_376 Depth=1
	v_cmp_ne_u16_sdwa s[0:1], v9, s28 src0_sel:BYTE_0 src1_sel:DWORD
	v_bfrev_b32_e32 v12, 1
	s_and_saveexec_b64 s[18:19], s[0:1]
	s_cbranch_execz .LBB314_494
; %bb.491:                              ;   in Loop: Header=BB314_376 Depth=1
	v_bfe_u32 v19, v17, 16, 7
	v_cmp_ne_u32_e64 s[0:1], s29, v19
	v_mov_b32_e32 v12, 0x7f800001
	s_and_saveexec_b64 s[20:21], s[0:1]
	s_cbranch_execz .LBB314_493
; %bb.492:                              ;   in Loop: Header=BB314_376 Depth=1
	v_and_b32_e32 v12, 7, v9
	v_lshrrev_b32_e32 v23, 3, v19
	v_cmp_gt_u32_e64 s[0:1], 8, v19
	v_ffbh_u32_e32 v19, v12
	v_min_u32_e32 v19, 32, v19
	v_subrev_u32_e32 v21, 28, v19
	v_lshlrev_b64 v[21:22], v21, v[9:10]
	v_sub_u32_e32 v19, 29, v19
	v_and_b32_e32 v21, 7, v21
	v_cndmask_b32_e64 v19, v23, v19, s[0:1]
	v_cndmask_b32_e64 v12, v12, v21, s[0:1]
	v_lshlrev_b32_e32 v9, 24, v9
	v_bfrev_b32_e32 v21, 60
	v_lshlrev_b32_e32 v12, 20, v12
	v_and_b32_e32 v9, 0x80000000, v9
	v_lshl_add_u32 v19, v19, 23, v21
	v_or3_b32 v12, v9, v19, v12
.LBB314_493:                            ;   in Loop: Header=BB314_376 Depth=1
	s_or_b64 exec, exec, s[20:21]
.LBB314_494:                            ;   in Loop: Header=BB314_376 Depth=1
	s_or_b64 exec, exec, s[18:19]
.LBB314_495:                            ;   in Loop: Header=BB314_376 Depth=1
	s_or_b64 exec, exec, s[16:17]
	v_cmp_lt_u32_e64 s[0:1], s5, v17
	s_and_saveexec_b64 s[16:17], s[0:1]
	s_cbranch_execz .LBB314_501
; %bb.496:                              ;   in Loop: Header=BB314_376 Depth=1
	v_lshrrev_b32_e32 v9, 24, v17
	v_cmp_ne_u32_e64 s[0:1], s28, v9
	v_bfrev_b32_e32 v20, 1
	s_and_saveexec_b64 s[18:19], s[0:1]
	s_cbranch_execz .LBB314_500
; %bb.497:                              ;   in Loop: Header=BB314_376 Depth=1
	v_bfe_u32 v19, v17, 24, 7
	v_cmp_ne_u32_e64 s[0:1], s29, v19
	v_mov_b32_e32 v20, 0x7f800001
	s_and_saveexec_b64 s[20:21], s[0:1]
	s_cbranch_execz .LBB314_499
; %bb.498:                              ;   in Loop: Header=BB314_376 Depth=1
	v_and_b32_e32 v21, 7, v9
	v_lshrrev_b32_e32 v22, 3, v19
	v_cmp_gt_u32_e64 s[0:1], 8, v19
	v_ffbh_u32_e32 v19, v21
	v_min_u32_e32 v23, 32, v19
	v_subrev_u32_e32 v19, 28, v23
	v_lshlrev_b64 v[19:20], v19, v[9:10]
	v_sub_u32_e32 v20, 29, v23
	v_and_b32_e32 v19, 7, v19
	v_cndmask_b32_e64 v20, v22, v20, s[0:1]
	v_cndmask_b32_e64 v19, v21, v19, s[0:1]
	v_lshlrev_b32_e32 v9, 24, v9
	v_bfrev_b32_e32 v21, 60
	v_lshlrev_b32_e32 v19, 20, v19
	v_and_b32_e32 v9, 0x80000000, v9
	v_lshl_add_u32 v20, v20, 23, v21
	v_or3_b32 v20, v9, v20, v19
.LBB314_499:                            ;   in Loop: Header=BB314_376 Depth=1
	s_or_b64 exec, exec, s[20:21]
.LBB314_500:                            ;   in Loop: Header=BB314_376 Depth=1
	s_or_b64 exec, exec, s[18:19]
.LBB314_501:                            ;   in Loop: Header=BB314_376 Depth=1
	s_or_b64 exec, exec, s[16:17]
	v_mov_b32_e32 v9, v18
	v_cmp_ne_u16_sdwa s[0:1], v18, v10 src0_sel:BYTE_0 src1_sel:DWORD
	v_mov_b32_e32 v22, 0
	v_mov_b32_e32 v21, 0
	s_and_saveexec_b64 s[16:17], s[0:1]
	s_cbranch_execz .LBB314_507
; %bb.502:                              ;   in Loop: Header=BB314_376 Depth=1
	v_cmp_ne_u16_sdwa s[0:1], v18, s28 src0_sel:BYTE_0 src1_sel:DWORD
	v_bfrev_b32_e32 v21, 1
	s_and_saveexec_b64 s[18:19], s[0:1]
	s_cbranch_execz .LBB314_506
; %bb.503:                              ;   in Loop: Header=BB314_376 Depth=1
	v_and_b32_e32 v19, 0x7f, v18
	v_cmp_ne_u32_e64 s[0:1], s29, v19
	v_mov_b32_e32 v21, 0x7f800001
	s_and_saveexec_b64 s[20:21], s[0:1]
	s_cbranch_execz .LBB314_505
; %bb.504:                              ;   in Loop: Header=BB314_376 Depth=1
	v_and_b32_e32 v21, 7, v18
	v_lshrrev_b32_e32 v23, 3, v19
	v_cmp_gt_u32_e64 s[0:1], 8, v19
	v_ffbh_u32_e32 v19, v21
	v_min_u32_e32 v19, 32, v19
	v_subrev_u32_e32 v21, 28, v19
	v_sub_u32_e32 v19, 29, v19
	v_cndmask_b32_e64 v21, 0, v21, s[0:1]
	v_cndmask_b32_e64 v19, v23, v19, s[0:1]
	v_lshlrev_b64 v[23:24], v21, v[9:10]
	v_bfrev_b32_e32 v24, 60
	v_lshlrev_b32_e32 v21, 20, v23
	v_lshlrev_b32_e32 v23, 24, v9
	v_and_b32_e32 v21, 0x700000, v21
	v_and_b32_e32 v23, 0x80000000, v23
	v_lshl_add_u32 v19, v19, 23, v24
	v_or3_b32 v21, v23, v19, v21
.LBB314_505:                            ;   in Loop: Header=BB314_376 Depth=1
	s_or_b64 exec, exec, s[20:21]
.LBB314_506:                            ;   in Loop: Header=BB314_376 Depth=1
	s_or_b64 exec, exec, s[18:19]
.LBB314_507:                            ;   in Loop: Header=BB314_376 Depth=1
	s_or_b64 exec, exec, s[16:17]
	v_lshrrev_b16_e32 v19, 8, v9
	v_cmp_ne_u16_e64 s[0:1], 0, v19
	s_and_saveexec_b64 s[16:17], s[0:1]
	s_cbranch_execz .LBB314_513
; %bb.508:                              ;   in Loop: Header=BB314_376 Depth=1
	v_cmp_ne_u16_e64 s[0:1], s28, v19
	v_bfrev_b32_e32 v22, 1
	s_and_saveexec_b64 s[18:19], s[0:1]
	s_cbranch_execz .LBB314_512
; %bb.509:                              ;   in Loop: Header=BB314_376 Depth=1
	v_and_b32_e32 v23, 0x7f, v19
	v_cmp_ne_u32_e64 s[0:1], s29, v23
	v_mov_b32_e32 v22, 0x7f800001
	s_and_saveexec_b64 s[20:21], s[0:1]
	s_cbranch_execz .LBB314_511
; %bb.510:                              ;   in Loop: Header=BB314_376 Depth=1
	v_and_b32_e32 v24, 7, v19
	v_ffbh_u32_e32 v22, v24
	v_min_u32_e32 v26, 32, v22
	v_subrev_u32_e32 v22, 28, v26
	v_lshrrev_b32_e32 v25, 3, v23
	v_cmp_gt_u32_e64 s[0:1], 8, v23
	v_lshlrev_b64 v[22:23], v22, v[19:20]
	v_sub_u32_e32 v19, 29, v26
	v_and_b32_e32 v22, 7, v22
	v_cndmask_b32_e64 v19, v25, v19, s[0:1]
	v_cndmask_b32_e64 v22, v24, v22, s[0:1]
	v_lshlrev_b32_e32 v9, 16, v9
	v_bfrev_b32_e32 v23, 60
	v_lshlrev_b32_e32 v22, 20, v22
	v_and_b32_e32 v9, 0x80000000, v9
	v_lshl_add_u32 v19, v19, 23, v23
	v_or3_b32 v22, v9, v19, v22
.LBB314_511:                            ;   in Loop: Header=BB314_376 Depth=1
	s_or_b64 exec, exec, s[20:21]
.LBB314_512:                            ;   in Loop: Header=BB314_376 Depth=1
	s_or_b64 exec, exec, s[18:19]
.LBB314_513:                            ;   in Loop: Header=BB314_376 Depth=1
	s_or_b64 exec, exec, s[16:17]
	v_lshrrev_b32_e32 v9, 16, v18
	v_cmp_ne_u16_sdwa s[0:1], v9, v10 src0_sel:BYTE_0 src1_sel:DWORD
	v_mov_b32_e32 v19, 0
	v_mov_b32_e32 v24, 0
	s_and_saveexec_b64 s[16:17], s[0:1]
	s_cbranch_execz .LBB314_519
; %bb.514:                              ;   in Loop: Header=BB314_376 Depth=1
	v_cmp_ne_u16_sdwa s[0:1], v9, s28 src0_sel:BYTE_0 src1_sel:DWORD
	v_bfrev_b32_e32 v24, 1
	s_and_saveexec_b64 s[18:19], s[0:1]
	s_cbranch_execz .LBB314_518
; %bb.515:                              ;   in Loop: Header=BB314_376 Depth=1
	v_bfe_u32 v23, v18, 16, 7
	v_cmp_ne_u32_e64 s[0:1], s29, v23
	v_mov_b32_e32 v24, 0x7f800001
	s_and_saveexec_b64 s[20:21], s[0:1]
	s_cbranch_execz .LBB314_517
; %bb.516:                              ;   in Loop: Header=BB314_376 Depth=1
	v_and_b32_e32 v25, 7, v9
	v_lshrrev_b32_e32 v26, 3, v23
	v_cmp_gt_u32_e64 s[0:1], 8, v23
	v_ffbh_u32_e32 v23, v25
	v_min_u32_e32 v27, 32, v23
	v_subrev_u32_e32 v23, 28, v27
	v_lshlrev_b64 v[23:24], v23, v[9:10]
	v_sub_u32_e32 v24, 29, v27
	v_and_b32_e32 v23, 7, v23
	v_cndmask_b32_e64 v24, v26, v24, s[0:1]
	v_cndmask_b32_e64 v23, v25, v23, s[0:1]
	v_lshlrev_b32_e32 v9, 24, v9
	v_bfrev_b32_e32 v25, 60
	v_lshlrev_b32_e32 v23, 20, v23
	v_and_b32_e32 v9, 0x80000000, v9
	v_lshl_add_u32 v24, v24, 23, v25
	v_or3_b32 v24, v9, v24, v23
.LBB314_517:                            ;   in Loop: Header=BB314_376 Depth=1
	s_or_b64 exec, exec, s[20:21]
.LBB314_518:                            ;   in Loop: Header=BB314_376 Depth=1
	s_or_b64 exec, exec, s[18:19]
.LBB314_519:                            ;   in Loop: Header=BB314_376 Depth=1
	s_or_b64 exec, exec, s[16:17]
	v_cmp_lt_u64_e64 s[0:1], s[4:5], v[17:18]
	s_and_saveexec_b64 s[16:17], s[0:1]
	s_cbranch_execz .LBB314_525
; %bb.520:                              ;   in Loop: Header=BB314_376 Depth=1
	v_lshrrev_b32_e32 v9, 24, v18
	v_cmp_ne_u32_e64 s[0:1], s28, v9
	v_bfrev_b32_e32 v19, 1
	s_and_saveexec_b64 s[18:19], s[0:1]
	s_cbranch_execz .LBB314_524
; %bb.521:                              ;   in Loop: Header=BB314_376 Depth=1
	v_bfe_u32 v17, v18, 24, 7
	v_cmp_ne_u32_e64 s[0:1], s29, v17
	v_mov_b32_e32 v19, 0x7f800001
	s_and_saveexec_b64 s[20:21], s[0:1]
	s_cbranch_execz .LBB314_523
; %bb.522:                              ;   in Loop: Header=BB314_376 Depth=1
	v_and_b32_e32 v19, 7, v9
	v_lshrrev_b32_e32 v23, 3, v17
	v_cmp_gt_u32_e64 s[0:1], 8, v17
	v_ffbh_u32_e32 v17, v19
	v_min_u32_e32 v25, 32, v17
	v_subrev_u32_e32 v17, 28, v25
	v_lshlrev_b64 v[17:18], v17, v[9:10]
	v_sub_u32_e32 v18, 29, v25
	v_and_b32_e32 v17, 7, v17
	v_cndmask_b32_e64 v18, v23, v18, s[0:1]
	v_cndmask_b32_e64 v17, v19, v17, s[0:1]
	v_lshlrev_b32_e32 v9, 24, v9
	v_bfrev_b32_e32 v19, 60
	v_lshlrev_b32_e32 v17, 20, v17
	v_and_b32_e32 v9, 0x80000000, v9
	v_lshl_add_u32 v18, v18, 23, v19
	v_or3_b32 v19, v9, v18, v17
.LBB314_523:                            ;   in Loop: Header=BB314_376 Depth=1
	s_or_b64 exec, exec, s[20:21]
.LBB314_524:                            ;   in Loop: Header=BB314_376 Depth=1
	s_or_b64 exec, exec, s[18:19]
.LBB314_525:                            ;   in Loop: Header=BB314_376 Depth=1
	s_or_b64 exec, exec, s[16:17]
	v_mul_f32_e32 v9, s31, v22
	v_bfe_u32 v17, v9, 16, 1
	v_add3_u32 v17, v17, v9, s30
	v_or_b32_e32 v18, 0x400000, v9
	v_cmp_u_f32_e64 s[0:1], v9, v9
	v_cndmask_b32_e64 v9, v17, v18, s[0:1]
	v_lshrrev_b32_e32 v9, 16, v9
	buffer_store_dword v9, off, s[60:63], 0 offset:132 ; 4-byte Folded Spill
	v_mul_f32_e32 v9, s31, v21
	v_bfe_u32 v17, v9, 16, 1
	v_add3_u32 v17, v17, v9, s30
	v_or_b32_e32 v18, 0x400000, v9
	v_cmp_u_f32_e64 s[0:1], v9, v9
	v_cndmask_b32_e64 v9, v17, v18, s[0:1]
	v_lshrrev_b32_e32 v9, 16, v9
	buffer_store_dword v9, off, s[60:63], 0 offset:72 ; 4-byte Folded Spill
	;; [unrolled: 8-line block ×3, first 2 shown]
	v_mul_f32_e32 v9, s31, v12
	v_bfe_u32 v12, v9, 16, 1
	v_add3_u32 v12, v12, v9, s30
	v_or_b32_e32 v17, 0x400000, v9
	v_cmp_u_f32_e64 s[0:1], v9, v9
	v_cndmask_b32_e64 v9, v12, v17, s[0:1]
	v_lshrrev_b32_e32 v9, 16, v9
	v_mul_f32_e32 v0, s31, v0
	buffer_store_dword v9, off, s[60:63], 0 offset:104 ; 4-byte Folded Spill
	v_bfe_u32 v9, v0, 16, 1
	v_add3_u32 v9, v9, v0, s30
	v_or_b32_e32 v12, 0x400000, v0
	v_cmp_u_f32_e64 s[0:1], v0, v0
	v_cndmask_b32_e64 v0, v9, v12, s[0:1]
	v_mul_f32_e32 v9, s31, v11
	v_bfe_u32 v11, v9, 16, 1
	v_add3_u32 v11, v11, v9, s30
	v_or_b32_e32 v12, 0x400000, v9
	v_cmp_u_f32_e64 s[0:1], v9, v9
	v_lshrrev_b32_e32 v0, 16, v0
	v_cndmask_b32_e64 v9, v11, v12, s[0:1]
	buffer_store_dword v0, off, s[60:63], 0 offset:124 ; 4-byte Folded Spill
	v_lshrrev_b32_e32 v0, 16, v9
	v_mul_f32_e32 v9, s31, v24
	v_bfe_u32 v11, v9, 16, 1
	v_add3_u32 v11, v11, v9, s30
	v_or_b32_e32 v12, 0x400000, v9
	v_cmp_u_f32_e64 s[0:1], v9, v9
	v_cndmask_b32_e64 v9, v11, v12, s[0:1]
	v_lshrrev_b32_e32 v20, 16, v9
	v_mul_f32_e32 v9, s31, v19
	v_bfe_u32 v11, v9, 16, 1
	v_add3_u32 v11, v11, v9, s30
	v_or_b32_e32 v12, 0x400000, v9
	v_cmp_u_f32_e64 s[0:1], v9, v9
	v_cndmask_b32_e64 v9, v11, v12, s[0:1]
	buffer_store_dword v0, off, s[60:63], 0 offset:128 ; 4-byte Folded Spill
	v_lshrrev_b32_e32 v0, 16, v9
	buffer_store_dword v0, off, s[60:63], 0 offset:120 ; 4-byte Folded Spill
	s_and_saveexec_b64 s[16:17], vcc
	s_cbranch_execz .LBB314_527
; %bb.526:                              ;   in Loop: Header=BB314_376 Depth=1
	buffer_load_dword v0, off, s[60:63], 0 offset:128 ; 4-byte Folded Reload
	v_cmp_gt_i32_e64 s[0:1], s33, v45
	s_waitcnt vmcnt(0)
	v_cndmask_b32_e64 v0, 0, v0, s[0:1]
	buffer_store_dword v0, off, s[60:63], 0 offset:128 ; 4-byte Folded Spill
	buffer_load_dword v0, off, s[60:63], 0 offset:124 ; 4-byte Folded Reload
	v_cmp_gt_i32_e64 s[0:1], s33, v48
	s_waitcnt vmcnt(0)
	v_cndmask_b32_e64 v0, 0, v0, s[0:1]
	buffer_store_dword v0, off, s[60:63], 0 offset:124 ; 4-byte Folded Spill
	;; [unrolled: 5-line block ×6, first 2 shown]
	v_cmp_gt_i32_e64 s[0:1], s33, v49
	v_add_u32_e32 v0, 7, v45
	v_cndmask_b32_e64 v20, 0, v20, s[0:1]
	v_cmp_gt_i32_e64 s[0:1], s33, v0
	buffer_load_dword v0, off, s[60:63], 0 offset:120 ; 4-byte Folded Reload
	s_waitcnt vmcnt(0)
	v_cndmask_b32_e64 v0, 0, v0, s[0:1]
	buffer_store_dword v0, off, s[60:63], 0 offset:120 ; 4-byte Folded Spill
.LBB314_527:                            ;   in Loop: Header=BB314_376 Depth=1
	s_or_b64 exec, exec, s[16:17]
	global_load_dwordx2 v[17:18], v[15:16], off offset:1536
	v_mov_b32_e32 v25, 0
	v_mov_b32_e32 v22, 0
	s_waitcnt vmcnt(0)
	v_cmp_ne_u16_sdwa s[0:1], v17, v10 src0_sel:BYTE_0 src1_sel:DWORD
	s_and_saveexec_b64 s[16:17], s[0:1]
	s_cbranch_execz .LBB314_533
; %bb.528:                              ;   in Loop: Header=BB314_376 Depth=1
	v_cmp_ne_u16_sdwa s[0:1], v17, s28 src0_sel:BYTE_0 src1_sel:DWORD
	v_bfrev_b32_e32 v22, 1
	s_and_saveexec_b64 s[18:19], s[0:1]
	s_cbranch_execz .LBB314_532
; %bb.529:                              ;   in Loop: Header=BB314_376 Depth=1
	v_and_b32_e32 v9, 0x7f, v17
	v_cmp_ne_u32_e64 s[0:1], s29, v9
	v_mov_b32_e32 v22, 0x7f800001
	s_and_saveexec_b64 s[20:21], s[0:1]
	s_cbranch_execz .LBB314_531
; %bb.530:                              ;   in Loop: Header=BB314_376 Depth=1
	v_and_b32_e32 v11, 7, v17
	v_lshrrev_b32_e32 v12, 3, v9
	v_cmp_gt_u32_e64 s[0:1], 8, v9
	v_ffbh_u32_e32 v9, v11
	v_min_u32_e32 v9, 32, v9
	v_subrev_u32_e32 v11, 28, v9
	v_sub_u32_e32 v9, 29, v9
	v_cndmask_b32_e64 v11, 0, v11, s[0:1]
	v_cndmask_b32_e64 v9, v12, v9, s[0:1]
	v_lshlrev_b64 v[11:12], v11, v[17:18]
	v_lshlrev_b32_e32 v12, 24, v17
	v_lshlrev_b32_e32 v11, 20, v11
	v_bfrev_b32_e32 v0, 60
	v_and_b32_e32 v11, 0x700000, v11
	v_and_b32_e32 v12, 0x80000000, v12
	v_lshl_add_u32 v9, v9, 23, v0
	v_or3_b32 v22, v12, v9, v11
.LBB314_531:                            ;   in Loop: Header=BB314_376 Depth=1
	s_or_b64 exec, exec, s[20:21]
.LBB314_532:                            ;   in Loop: Header=BB314_376 Depth=1
	s_or_b64 exec, exec, s[18:19]
.LBB314_533:                            ;   in Loop: Header=BB314_376 Depth=1
	s_or_b64 exec, exec, s[16:17]
	v_lshrrev_b16_e32 v9, 8, v17
	v_cmp_ne_u16_e64 s[0:1], 0, v9
	s_and_saveexec_b64 s[16:17], s[0:1]
	s_cbranch_execz .LBB314_539
; %bb.534:                              ;   in Loop: Header=BB314_376 Depth=1
	v_cmp_ne_u16_e64 s[0:1], s28, v9
	v_bfrev_b32_e32 v25, 1
	s_and_saveexec_b64 s[18:19], s[0:1]
	s_cbranch_execz .LBB314_538
; %bb.535:                              ;   in Loop: Header=BB314_376 Depth=1
	v_and_b32_e32 v11, 0x7f, v9
	v_cmp_ne_u32_e64 s[0:1], s29, v11
	v_mov_b32_e32 v25, 0x7f800001
	s_and_saveexec_b64 s[20:21], s[0:1]
	s_cbranch_execz .LBB314_537
; %bb.536:                              ;   in Loop: Header=BB314_376 Depth=1
	v_and_b32_e32 v19, 7, v9
	v_lshrrev_b32_e32 v24, 3, v11
	v_cmp_gt_u32_e64 s[0:1], 8, v11
	v_ffbh_u32_e32 v11, v19
	v_min_u32_e32 v25, 32, v11
	v_subrev_u32_e32 v11, 28, v25
	v_lshlrev_b64 v[11:12], v11, v[9:10]
	v_sub_u32_e32 v9, 29, v25
	v_and_b32_e32 v11, 7, v11
	v_cndmask_b32_e64 v9, v24, v9, s[0:1]
	v_cndmask_b32_e64 v11, v19, v11, s[0:1]
	v_lshlrev_b32_e32 v12, 16, v17
	v_bfrev_b32_e32 v0, 60
	v_lshlrev_b32_e32 v11, 20, v11
	v_and_b32_e32 v12, 0x80000000, v12
	v_lshl_add_u32 v9, v9, 23, v0
	v_or3_b32 v25, v12, v9, v11
.LBB314_537:                            ;   in Loop: Header=BB314_376 Depth=1
	s_or_b64 exec, exec, s[20:21]
.LBB314_538:                            ;   in Loop: Header=BB314_376 Depth=1
	s_or_b64 exec, exec, s[18:19]
.LBB314_539:                            ;   in Loop: Header=BB314_376 Depth=1
	s_or_b64 exec, exec, s[16:17]
	v_lshrrev_b32_e32 v9, 16, v17
	v_cmp_ne_u16_sdwa s[0:1], v9, v10 src0_sel:BYTE_0 src1_sel:DWORD
	v_mov_b32_e32 v24, 0
	v_mov_b32_e32 v26, 0
	s_and_saveexec_b64 s[16:17], s[0:1]
	s_cbranch_execz .LBB314_545
; %bb.540:                              ;   in Loop: Header=BB314_376 Depth=1
	v_cmp_ne_u16_sdwa s[0:1], v9, s28 src0_sel:BYTE_0 src1_sel:DWORD
	v_bfrev_b32_e32 v26, 1
	s_and_saveexec_b64 s[18:19], s[0:1]
	s_cbranch_execz .LBB314_544
; %bb.541:                              ;   in Loop: Header=BB314_376 Depth=1
	v_bfe_u32 v11, v17, 16, 7
	v_cmp_ne_u32_e64 s[0:1], s29, v11
	v_mov_b32_e32 v26, 0x7f800001
	s_and_saveexec_b64 s[20:21], s[0:1]
	s_cbranch_execz .LBB314_543
; %bb.542:                              ;   in Loop: Header=BB314_376 Depth=1
	v_and_b32_e32 v19, 7, v9
	v_lshrrev_b32_e32 v26, 3, v11
	v_cmp_gt_u32_e64 s[0:1], 8, v11
	v_ffbh_u32_e32 v11, v19
	v_min_u32_e32 v27, 32, v11
	v_subrev_u32_e32 v11, 28, v27
	v_lshlrev_b64 v[11:12], v11, v[9:10]
	v_sub_u32_e32 v12, 29, v27
	v_and_b32_e32 v11, 7, v11
	v_cndmask_b32_e64 v12, v26, v12, s[0:1]
	v_cndmask_b32_e64 v11, v19, v11, s[0:1]
	v_lshlrev_b32_e32 v9, 24, v9
	v_bfrev_b32_e32 v0, 60
	v_lshlrev_b32_e32 v11, 20, v11
	v_and_b32_e32 v9, 0x80000000, v9
	v_lshl_add_u32 v12, v12, 23, v0
	v_or3_b32 v26, v9, v12, v11
.LBB314_543:                            ;   in Loop: Header=BB314_376 Depth=1
	s_or_b64 exec, exec, s[20:21]
.LBB314_544:                            ;   in Loop: Header=BB314_376 Depth=1
	s_or_b64 exec, exec, s[18:19]
.LBB314_545:                            ;   in Loop: Header=BB314_376 Depth=1
	s_or_b64 exec, exec, s[16:17]
	v_cmp_lt_u32_e64 s[0:1], s5, v17
	s_and_saveexec_b64 s[16:17], s[0:1]
	s_cbranch_execz .LBB314_551
; %bb.546:                              ;   in Loop: Header=BB314_376 Depth=1
	v_lshrrev_b32_e32 v9, 24, v17
	v_cmp_ne_u32_e64 s[0:1], s28, v9
	v_bfrev_b32_e32 v24, 1
	s_and_saveexec_b64 s[18:19], s[0:1]
	s_cbranch_execz .LBB314_550
; %bb.547:                              ;   in Loop: Header=BB314_376 Depth=1
	v_bfe_u32 v11, v17, 24, 7
	v_cmp_ne_u32_e64 s[0:1], s29, v11
	v_mov_b32_e32 v24, 0x7f800001
	s_and_saveexec_b64 s[20:21], s[0:1]
	s_cbranch_execz .LBB314_549
; %bb.548:                              ;   in Loop: Header=BB314_376 Depth=1
	v_and_b32_e32 v19, 7, v9
	v_lshrrev_b32_e32 v24, 3, v11
	v_cmp_gt_u32_e64 s[0:1], 8, v11
	v_ffbh_u32_e32 v11, v19
	v_min_u32_e32 v27, 32, v11
	v_subrev_u32_e32 v11, 28, v27
	v_lshlrev_b64 v[11:12], v11, v[9:10]
	v_sub_u32_e32 v12, 29, v27
	v_and_b32_e32 v11, 7, v11
	v_cndmask_b32_e64 v12, v24, v12, s[0:1]
	v_cndmask_b32_e64 v11, v19, v11, s[0:1]
	v_lshlrev_b32_e32 v9, 24, v9
	v_bfrev_b32_e32 v0, 60
	v_lshlrev_b32_e32 v11, 20, v11
	v_and_b32_e32 v9, 0x80000000, v9
	v_lshl_add_u32 v12, v12, 23, v0
	v_or3_b32 v24, v9, v12, v11
.LBB314_549:                            ;   in Loop: Header=BB314_376 Depth=1
	s_or_b64 exec, exec, s[20:21]
.LBB314_550:                            ;   in Loop: Header=BB314_376 Depth=1
	s_or_b64 exec, exec, s[18:19]
.LBB314_551:                            ;   in Loop: Header=BB314_376 Depth=1
	s_or_b64 exec, exec, s[16:17]
	v_mov_b32_e32 v9, v18
	v_cmp_ne_u16_sdwa s[0:1], v18, v10 src0_sel:BYTE_0 src1_sel:DWORD
	v_mov_b32_e32 v12, 0
	v_mov_b32_e32 v11, 0
	s_and_saveexec_b64 s[16:17], s[0:1]
	s_cbranch_execz .LBB314_557
; %bb.552:                              ;   in Loop: Header=BB314_376 Depth=1
	v_cmp_ne_u16_sdwa s[0:1], v18, s28 src0_sel:BYTE_0 src1_sel:DWORD
	v_bfrev_b32_e32 v11, 1
	s_and_saveexec_b64 s[18:19], s[0:1]
	s_cbranch_execz .LBB314_556
; %bb.553:                              ;   in Loop: Header=BB314_376 Depth=1
	v_and_b32_e32 v19, 0x7f, v18
	v_cmp_ne_u32_e64 s[0:1], s29, v19
	v_mov_b32_e32 v11, 0x7f800001
	s_and_saveexec_b64 s[20:21], s[0:1]
	s_cbranch_execz .LBB314_555
; %bb.554:                              ;   in Loop: Header=BB314_376 Depth=1
	v_and_b32_e32 v11, 7, v18
	v_ffbh_u32_e32 v11, v11
	v_min_u32_e32 v11, 32, v11
	v_lshrrev_b32_e32 v27, 3, v19
	v_cmp_gt_u32_e64 s[0:1], 8, v19
	v_subrev_u32_e32 v19, 28, v11
	v_sub_u32_e32 v11, 29, v11
	v_cndmask_b32_e64 v19, 0, v19, s[0:1]
	v_cndmask_b32_e64 v11, v27, v11, s[0:1]
	v_lshlrev_b64 v[27:28], v19, v[9:10]
	v_bfrev_b32_e32 v0, 60
	v_lshlrev_b32_e32 v19, 20, v27
	v_lshlrev_b32_e32 v27, 24, v9
	v_and_b32_e32 v19, 0x700000, v19
	v_and_b32_e32 v27, 0x80000000, v27
	v_lshl_add_u32 v11, v11, 23, v0
	v_or3_b32 v11, v27, v11, v19
.LBB314_555:                            ;   in Loop: Header=BB314_376 Depth=1
	s_or_b64 exec, exec, s[20:21]
.LBB314_556:                            ;   in Loop: Header=BB314_376 Depth=1
	s_or_b64 exec, exec, s[18:19]
.LBB314_557:                            ;   in Loop: Header=BB314_376 Depth=1
	s_or_b64 exec, exec, s[16:17]
	v_lshrrev_b16_e32 v19, 8, v9
	v_cmp_ne_u16_e64 s[0:1], 0, v19
	s_and_saveexec_b64 s[16:17], s[0:1]
	s_cbranch_execz .LBB314_563
; %bb.558:                              ;   in Loop: Header=BB314_376 Depth=1
	v_cmp_ne_u16_e64 s[0:1], s28, v19
	v_bfrev_b32_e32 v12, 1
	s_and_saveexec_b64 s[18:19], s[0:1]
	s_cbranch_execz .LBB314_562
; %bb.559:                              ;   in Loop: Header=BB314_376 Depth=1
	v_and_b32_e32 v27, 0x7f, v19
	v_cmp_ne_u32_e64 s[0:1], s29, v27
	v_mov_b32_e32 v12, 0x7f800001
	s_and_saveexec_b64 s[20:21], s[0:1]
	s_cbranch_execz .LBB314_561
; %bb.560:                              ;   in Loop: Header=BB314_376 Depth=1
	v_and_b32_e32 v12, 7, v19
	v_lshrrev_b32_e32 v30, 3, v27
	v_cmp_gt_u32_e64 s[0:1], 8, v27
	v_ffbh_u32_e32 v27, v12
	v_min_u32_e32 v31, 32, v27
	v_subrev_u32_e32 v27, 28, v31
	v_lshlrev_b64 v[27:28], v27, v[19:20]
	v_sub_u32_e32 v19, 29, v31
	v_and_b32_e32 v27, 7, v27
	v_cndmask_b32_e64 v19, v30, v19, s[0:1]
	v_cndmask_b32_e64 v12, v12, v27, s[0:1]
	v_lshlrev_b32_e32 v9, 16, v9
	v_bfrev_b32_e32 v0, 60
	v_lshlrev_b32_e32 v12, 20, v12
	v_and_b32_e32 v9, 0x80000000, v9
	v_lshl_add_u32 v19, v19, 23, v0
	v_or3_b32 v12, v9, v19, v12
.LBB314_561:                            ;   in Loop: Header=BB314_376 Depth=1
	s_or_b64 exec, exec, s[20:21]
.LBB314_562:                            ;   in Loop: Header=BB314_376 Depth=1
	s_or_b64 exec, exec, s[18:19]
.LBB314_563:                            ;   in Loop: Header=BB314_376 Depth=1
	s_or_b64 exec, exec, s[16:17]
	v_lshrrev_b32_e32 v9, 16, v18
	v_cmp_ne_u16_sdwa s[0:1], v9, v10 src0_sel:BYTE_0 src1_sel:DWORD
	v_mov_b32_e32 v19, 0
	v_mov_b32_e32 v28, 0
	s_and_saveexec_b64 s[16:17], s[0:1]
	s_cbranch_execz .LBB314_569
; %bb.564:                              ;   in Loop: Header=BB314_376 Depth=1
	v_cmp_ne_u16_sdwa s[0:1], v9, s28 src0_sel:BYTE_0 src1_sel:DWORD
	v_bfrev_b32_e32 v28, 1
	s_and_saveexec_b64 s[18:19], s[0:1]
	s_cbranch_execz .LBB314_568
; %bb.565:                              ;   in Loop: Header=BB314_376 Depth=1
	v_bfe_u32 v27, v18, 16, 7
	v_cmp_ne_u32_e64 s[0:1], s29, v27
	v_mov_b32_e32 v28, 0x7f800001
	s_and_saveexec_b64 s[20:21], s[0:1]
	s_cbranch_execz .LBB314_567
; %bb.566:                              ;   in Loop: Header=BB314_376 Depth=1
	v_and_b32_e32 v30, 7, v9
	v_lshrrev_b32_e32 v31, 3, v27
	v_cmp_gt_u32_e64 s[0:1], 8, v27
	v_ffbh_u32_e32 v27, v30
	v_min_u32_e32 v32, 32, v27
	v_subrev_u32_e32 v27, 28, v32
	v_lshlrev_b64 v[27:28], v27, v[9:10]
	v_sub_u32_e32 v28, 29, v32
	v_and_b32_e32 v27, 7, v27
	v_cndmask_b32_e64 v28, v31, v28, s[0:1]
	v_cndmask_b32_e64 v27, v30, v27, s[0:1]
	v_lshlrev_b32_e32 v9, 24, v9
	v_bfrev_b32_e32 v0, 60
	v_lshlrev_b32_e32 v27, 20, v27
	v_and_b32_e32 v9, 0x80000000, v9
	v_lshl_add_u32 v28, v28, 23, v0
	v_or3_b32 v28, v9, v28, v27
.LBB314_567:                            ;   in Loop: Header=BB314_376 Depth=1
	s_or_b64 exec, exec, s[20:21]
.LBB314_568:                            ;   in Loop: Header=BB314_376 Depth=1
	s_or_b64 exec, exec, s[18:19]
.LBB314_569:                            ;   in Loop: Header=BB314_376 Depth=1
	s_or_b64 exec, exec, s[16:17]
	v_cmp_lt_u64_e64 s[0:1], s[4:5], v[17:18]
	s_and_saveexec_b64 s[16:17], s[0:1]
	s_cbranch_execz .LBB314_575
; %bb.570:                              ;   in Loop: Header=BB314_376 Depth=1
	v_lshrrev_b32_e32 v9, 24, v18
	v_cmp_ne_u32_e64 s[0:1], s28, v9
	v_bfrev_b32_e32 v19, 1
	s_and_saveexec_b64 s[18:19], s[0:1]
	s_cbranch_execz .LBB314_574
; %bb.571:                              ;   in Loop: Header=BB314_376 Depth=1
	v_bfe_u32 v17, v18, 24, 7
	v_cmp_ne_u32_e64 s[0:1], s29, v17
	v_mov_b32_e32 v19, 0x7f800001
	s_and_saveexec_b64 s[20:21], s[0:1]
	s_cbranch_execz .LBB314_573
; %bb.572:                              ;   in Loop: Header=BB314_376 Depth=1
	v_and_b32_e32 v19, 7, v9
	v_lshrrev_b32_e32 v27, 3, v17
	v_cmp_gt_u32_e64 s[0:1], 8, v17
	v_ffbh_u32_e32 v17, v19
	v_min_u32_e32 v30, 32, v17
	v_subrev_u32_e32 v17, 28, v30
	v_lshlrev_b64 v[17:18], v17, v[9:10]
	v_sub_u32_e32 v18, 29, v30
	v_and_b32_e32 v17, 7, v17
	v_cndmask_b32_e64 v18, v27, v18, s[0:1]
	v_cndmask_b32_e64 v17, v19, v17, s[0:1]
	v_lshlrev_b32_e32 v9, 24, v9
	v_bfrev_b32_e32 v0, 60
	v_lshlrev_b32_e32 v17, 20, v17
	v_and_b32_e32 v9, 0x80000000, v9
	v_lshl_add_u32 v18, v18, 23, v0
	v_or3_b32 v19, v9, v18, v17
.LBB314_573:                            ;   in Loop: Header=BB314_376 Depth=1
	s_or_b64 exec, exec, s[20:21]
.LBB314_574:                            ;   in Loop: Header=BB314_376 Depth=1
	s_or_b64 exec, exec, s[18:19]
.LBB314_575:                            ;   in Loop: Header=BB314_376 Depth=1
	s_or_b64 exec, exec, s[16:17]
	v_mul_f32_e32 v9, s31, v12
	v_bfe_u32 v12, v9, 16, 1
	v_add3_u32 v12, v12, v9, s30
	v_or_b32_e32 v17, 0x400000, v9
	v_cmp_u_f32_e64 s[0:1], v9, v9
	v_cndmask_b32_e64 v9, v12, v17, s[0:1]
	v_lshrrev_b32_e32 v0, 16, v9
	v_mul_f32_e32 v9, s31, v11
	v_bfe_u32 v11, v9, 16, 1
	v_add3_u32 v11, v11, v9, s30
	v_or_b32_e32 v17, 0x400000, v9
	v_cmp_u_f32_e64 s[0:1], v9, v9
	v_cndmask_b32_e64 v9, v11, v17, s[0:1]
	v_lshrrev_b32_e32 v11, 16, v9
	;; [unrolled: 7-line block ×6, first 2 shown]
	v_mul_f32_e32 v9, s31, v28
	v_bfe_u32 v17, v9, 16, 1
	v_add3_u32 v17, v17, v9, s30
	v_or_b32_e32 v18, 0x400000, v9
	v_cmp_u_f32_e64 s[0:1], v9, v9
	v_cndmask_b32_e64 v9, v17, v18, s[0:1]
	v_mov_b32_e32 v25, v12
	v_lshrrev_b32_e32 v12, 16, v9
	v_mul_f32_e32 v9, s31, v19
	v_bfe_u32 v17, v9, 16, 1
	v_add3_u32 v17, v17, v9, s30
	v_or_b32_e32 v18, 0x400000, v9
	v_cmp_u_f32_e64 s[0:1], v9, v9
	v_cndmask_b32_e64 v9, v17, v18, s[0:1]
	v_mov_b32_e32 v22, v0
	v_lshrrev_b32_e32 v26, 16, v9
	s_and_saveexec_b64 s[16:17], vcc
	s_cbranch_execz .LBB314_577
; %bb.576:                              ;   in Loop: Header=BB314_376 Depth=1
	v_cmp_gt_i32_e64 s[0:1], s33, v45
	v_cndmask_b32_e64 v63, 0, v63, s[0:1]
	v_cmp_gt_i32_e64 s[0:1], s33, v48
	v_cndmask_b32_e64 v23, 0, v23, s[0:1]
	;; [unrolled: 2-line block ×6, first 2 shown]
	v_cmp_gt_i32_e64 s[0:1], s33, v49
	v_add_u32_e32 v0, 7, v45
	v_cndmask_b32_e64 v12, 0, v12, s[0:1]
	v_cmp_gt_i32_e64 s[0:1], s33, v0
	v_cndmask_b32_e64 v26, 0, v26, s[0:1]
.LBB314_577:                            ;   in Loop: Header=BB314_376 Depth=1
	s_or_b64 exec, exec, s[16:17]
	global_load_dwordx2 v[17:18], v[15:16], off offset:2048
	v_mov_b32_e32 v36, 0
	v_mov_b32_e32 v31, 0
	s_waitcnt vmcnt(0)
	v_cmp_ne_u16_sdwa s[0:1], v17, v10 src0_sel:BYTE_0 src1_sel:DWORD
	s_and_saveexec_b64 s[16:17], s[0:1]
	s_cbranch_execz .LBB314_583
; %bb.578:                              ;   in Loop: Header=BB314_376 Depth=1
	v_cmp_ne_u16_sdwa s[0:1], v17, s28 src0_sel:BYTE_0 src1_sel:DWORD
	v_bfrev_b32_e32 v31, 1
	s_and_saveexec_b64 s[18:19], s[0:1]
	s_cbranch_execz .LBB314_582
; %bb.579:                              ;   in Loop: Header=BB314_376 Depth=1
	v_and_b32_e32 v9, 0x7f, v17
	v_cmp_ne_u32_e64 s[0:1], s29, v9
	v_mov_b32_e32 v31, 0x7f800001
	s_and_saveexec_b64 s[20:21], s[0:1]
	s_cbranch_execz .LBB314_581
; %bb.580:                              ;   in Loop: Header=BB314_376 Depth=1
	v_and_b32_e32 v19, 7, v17
	v_lshrrev_b32_e32 v28, 3, v9
	v_cmp_gt_u32_e64 s[0:1], 8, v9
	v_ffbh_u32_e32 v9, v19
	v_min_u32_e32 v9, 32, v9
	v_subrev_u32_e32 v19, 28, v9
	v_cndmask_b32_e64 v19, 0, v19, s[0:1]
	v_lshlrev_b64 v[30:31], v19, v[17:18]
	v_sub_u32_e32 v9, 29, v9
	v_cndmask_b32_e64 v9, v28, v9, s[0:1]
	v_lshlrev_b32_e32 v19, 20, v30
	v_lshlrev_b32_e32 v28, 24, v17
	v_bfrev_b32_e32 v0, 60
	v_and_b32_e32 v19, 0x700000, v19
	v_and_b32_e32 v28, 0x80000000, v28
	v_lshl_add_u32 v9, v9, 23, v0
	v_or3_b32 v31, v28, v9, v19
.LBB314_581:                            ;   in Loop: Header=BB314_376 Depth=1
	s_or_b64 exec, exec, s[20:21]
.LBB314_582:                            ;   in Loop: Header=BB314_376 Depth=1
	s_or_b64 exec, exec, s[18:19]
.LBB314_583:                            ;   in Loop: Header=BB314_376 Depth=1
	s_or_b64 exec, exec, s[16:17]
	v_lshrrev_b16_e32 v9, 8, v17
	v_cmp_ne_u16_e64 s[0:1], 0, v9
	s_and_saveexec_b64 s[16:17], s[0:1]
	s_cbranch_execz .LBB314_589
; %bb.584:                              ;   in Loop: Header=BB314_376 Depth=1
	v_cmp_ne_u16_e64 s[0:1], s28, v9
	v_bfrev_b32_e32 v36, 1
	s_and_saveexec_b64 s[18:19], s[0:1]
	s_cbranch_execz .LBB314_588
; %bb.585:                              ;   in Loop: Header=BB314_376 Depth=1
	v_and_b32_e32 v19, 0x7f, v9
	v_cmp_ne_u32_e64 s[0:1], s29, v19
	v_mov_b32_e32 v36, 0x7f800001
	s_and_saveexec_b64 s[20:21], s[0:1]
	s_cbranch_execz .LBB314_587
; %bb.586:                              ;   in Loop: Header=BB314_376 Depth=1
	v_and_b32_e32 v28, 7, v9
	v_lshrrev_b32_e32 v30, 3, v19
	v_cmp_gt_u32_e64 s[0:1], 8, v19
	v_ffbh_u32_e32 v19, v28
	v_min_u32_e32 v19, 32, v19
	v_subrev_u32_e32 v33, 28, v19
	v_lshlrev_b64 v[33:34], v33, v[9:10]
	v_sub_u32_e32 v9, 29, v19
	v_and_b32_e32 v19, 7, v33
	v_cndmask_b32_e64 v9, v30, v9, s[0:1]
	v_cndmask_b32_e64 v19, v28, v19, s[0:1]
	v_lshlrev_b32_e32 v28, 16, v17
	v_bfrev_b32_e32 v0, 60
	v_lshlrev_b32_e32 v19, 20, v19
	v_and_b32_e32 v28, 0x80000000, v28
	v_lshl_add_u32 v9, v9, 23, v0
	v_or3_b32 v36, v28, v9, v19
.LBB314_587:                            ;   in Loop: Header=BB314_376 Depth=1
	s_or_b64 exec, exec, s[20:21]
.LBB314_588:                            ;   in Loop: Header=BB314_376 Depth=1
	s_or_b64 exec, exec, s[18:19]
.LBB314_589:                            ;   in Loop: Header=BB314_376 Depth=1
	s_or_b64 exec, exec, s[16:17]
	v_lshrrev_b32_e32 v9, 16, v17
	v_cmp_ne_u16_sdwa s[0:1], v9, v10 src0_sel:BYTE_0 src1_sel:DWORD
	v_mov_b32_e32 v38, 0
	v_mov_b32_e32 v37, 0
	s_and_saveexec_b64 s[16:17], s[0:1]
	s_cbranch_execz .LBB314_595
; %bb.590:                              ;   in Loop: Header=BB314_376 Depth=1
	v_cmp_ne_u16_sdwa s[0:1], v9, s28 src0_sel:BYTE_0 src1_sel:DWORD
	v_bfrev_b32_e32 v37, 1
	s_and_saveexec_b64 s[18:19], s[0:1]
	s_cbranch_execz .LBB314_594
; %bb.591:                              ;   in Loop: Header=BB314_376 Depth=1
	v_bfe_u32 v19, v17, 16, 7
	v_cmp_ne_u32_e64 s[0:1], s29, v19
	v_mov_b32_e32 v37, 0x7f800001
	s_and_saveexec_b64 s[20:21], s[0:1]
	s_cbranch_execz .LBB314_593
; %bb.592:                              ;   in Loop: Header=BB314_376 Depth=1
	v_and_b32_e32 v28, 7, v9
	v_lshrrev_b32_e32 v30, 3, v19
	v_cmp_gt_u32_e64 s[0:1], 8, v19
	v_ffbh_u32_e32 v19, v28
	v_min_u32_e32 v19, 32, v19
	v_subrev_u32_e32 v33, 28, v19
	v_lshlrev_b64 v[33:34], v33, v[9:10]
	v_sub_u32_e32 v19, 29, v19
	v_and_b32_e32 v33, 7, v33
	v_cndmask_b32_e64 v19, v30, v19, s[0:1]
	v_cndmask_b32_e64 v28, v28, v33, s[0:1]
	v_lshlrev_b32_e32 v9, 24, v9
	v_bfrev_b32_e32 v0, 60
	v_lshlrev_b32_e32 v28, 20, v28
	v_and_b32_e32 v9, 0x80000000, v9
	v_lshl_add_u32 v19, v19, 23, v0
	v_or3_b32 v37, v9, v19, v28
.LBB314_593:                            ;   in Loop: Header=BB314_376 Depth=1
	s_or_b64 exec, exec, s[20:21]
.LBB314_594:                            ;   in Loop: Header=BB314_376 Depth=1
	s_or_b64 exec, exec, s[18:19]
.LBB314_595:                            ;   in Loop: Header=BB314_376 Depth=1
	s_or_b64 exec, exec, s[16:17]
	v_cmp_lt_u32_e64 s[0:1], s5, v17
	s_and_saveexec_b64 s[16:17], s[0:1]
	s_cbranch_execz .LBB314_601
; %bb.596:                              ;   in Loop: Header=BB314_376 Depth=1
	v_lshrrev_b32_e32 v9, 24, v17
	v_cmp_ne_u32_e64 s[0:1], s28, v9
	v_bfrev_b32_e32 v38, 1
	s_and_saveexec_b64 s[18:19], s[0:1]
	s_cbranch_execz .LBB314_600
; %bb.597:                              ;   in Loop: Header=BB314_376 Depth=1
	v_bfe_u32 v19, v17, 24, 7
	v_cmp_ne_u32_e64 s[0:1], s29, v19
	v_mov_b32_e32 v38, 0x7f800001
	s_and_saveexec_b64 s[20:21], s[0:1]
	s_cbranch_execz .LBB314_599
; %bb.598:                              ;   in Loop: Header=BB314_376 Depth=1
	v_and_b32_e32 v28, 7, v9
	v_lshrrev_b32_e32 v30, 3, v19
	v_cmp_gt_u32_e64 s[0:1], 8, v19
	v_ffbh_u32_e32 v19, v28
	v_min_u32_e32 v19, 32, v19
	v_subrev_u32_e32 v33, 28, v19
	v_lshlrev_b64 v[33:34], v33, v[9:10]
	v_sub_u32_e32 v19, 29, v19
	v_and_b32_e32 v33, 7, v33
	v_cndmask_b32_e64 v19, v30, v19, s[0:1]
	v_cndmask_b32_e64 v28, v28, v33, s[0:1]
	v_lshlrev_b32_e32 v9, 24, v9
	v_bfrev_b32_e32 v0, 60
	v_lshlrev_b32_e32 v28, 20, v28
	v_and_b32_e32 v9, 0x80000000, v9
	v_lshl_add_u32 v19, v19, 23, v0
	v_or3_b32 v38, v9, v19, v28
.LBB314_599:                            ;   in Loop: Header=BB314_376 Depth=1
	s_or_b64 exec, exec, s[20:21]
.LBB314_600:                            ;   in Loop: Header=BB314_376 Depth=1
	s_or_b64 exec, exec, s[18:19]
.LBB314_601:                            ;   in Loop: Header=BB314_376 Depth=1
	s_or_b64 exec, exec, s[16:17]
	v_mov_b32_e32 v9, v18
	v_cmp_ne_u16_sdwa s[0:1], v18, v10 src0_sel:BYTE_0 src1_sel:DWORD
	v_mov_b32_e32 v30, 0
	v_mov_b32_e32 v28, 0
	s_and_saveexec_b64 s[16:17], s[0:1]
	s_cbranch_execz .LBB314_607
; %bb.602:                              ;   in Loop: Header=BB314_376 Depth=1
	v_cmp_ne_u16_sdwa s[0:1], v18, s28 src0_sel:BYTE_0 src1_sel:DWORD
	v_bfrev_b32_e32 v28, 1
	s_and_saveexec_b64 s[18:19], s[0:1]
	s_cbranch_execz .LBB314_606
; %bb.603:                              ;   in Loop: Header=BB314_376 Depth=1
	v_and_b32_e32 v19, 0x7f, v18
	v_cmp_ne_u32_e64 s[0:1], s29, v19
	v_mov_b32_e32 v28, 0x7f800001
	s_and_saveexec_b64 s[20:21], s[0:1]
	s_cbranch_execz .LBB314_605
; %bb.604:                              ;   in Loop: Header=BB314_376 Depth=1
	v_and_b32_e32 v28, 7, v18
	v_lshrrev_b32_e32 v33, 3, v19
	v_cmp_gt_u32_e64 s[0:1], 8, v19
	v_ffbh_u32_e32 v19, v28
	v_min_u32_e32 v19, 32, v19
	v_subrev_u32_e32 v28, 28, v19
	v_sub_u32_e32 v19, 29, v19
	v_cndmask_b32_e64 v28, 0, v28, s[0:1]
	v_cndmask_b32_e64 v19, v33, v19, s[0:1]
	v_lshlrev_b64 v[33:34], v28, v[9:10]
	v_bfrev_b32_e32 v0, 60
	v_lshlrev_b32_e32 v28, 20, v33
	v_lshlrev_b32_e32 v33, 24, v9
	v_and_b32_e32 v28, 0x700000, v28
	v_and_b32_e32 v33, 0x80000000, v33
	v_lshl_add_u32 v19, v19, 23, v0
	v_or3_b32 v28, v33, v19, v28
.LBB314_605:                            ;   in Loop: Header=BB314_376 Depth=1
	s_or_b64 exec, exec, s[20:21]
.LBB314_606:                            ;   in Loop: Header=BB314_376 Depth=1
	s_or_b64 exec, exec, s[18:19]
.LBB314_607:                            ;   in Loop: Header=BB314_376 Depth=1
	s_or_b64 exec, exec, s[16:17]
	v_lshrrev_b16_e32 v19, 8, v9
	v_cmp_ne_u16_e64 s[0:1], 0, v19
	s_and_saveexec_b64 s[16:17], s[0:1]
	s_cbranch_execz .LBB314_613
; %bb.608:                              ;   in Loop: Header=BB314_376 Depth=1
	v_cmp_ne_u16_e64 s[0:1], s28, v19
	v_bfrev_b32_e32 v30, 1
	s_and_saveexec_b64 s[18:19], s[0:1]
	s_cbranch_execz .LBB314_612
; %bb.609:                              ;   in Loop: Header=BB314_376 Depth=1
	v_and_b32_e32 v33, 0x7f, v19
	v_cmp_ne_u32_e64 s[0:1], s29, v33
	v_mov_b32_e32 v30, 0x7f800001
	s_and_saveexec_b64 s[20:21], s[0:1]
	s_cbranch_execz .LBB314_611
; %bb.610:                              ;   in Loop: Header=BB314_376 Depth=1
	v_and_b32_e32 v30, 7, v19
	v_lshrrev_b32_e32 v39, 3, v33
	v_cmp_gt_u32_e64 s[0:1], 8, v33
	v_ffbh_u32_e32 v33, v30
	v_min_u32_e32 v40, 32, v33
	v_subrev_u32_e32 v33, 28, v40
	v_lshlrev_b64 v[33:34], v33, v[19:20]
	v_sub_u32_e32 v19, 29, v40
	v_and_b32_e32 v33, 7, v33
	v_cndmask_b32_e64 v19, v39, v19, s[0:1]
	v_cndmask_b32_e64 v30, v30, v33, s[0:1]
	v_lshlrev_b32_e32 v9, 16, v9
	v_bfrev_b32_e32 v0, 60
	v_lshlrev_b32_e32 v30, 20, v30
	v_and_b32_e32 v9, 0x80000000, v9
	v_lshl_add_u32 v19, v19, 23, v0
	v_or3_b32 v30, v9, v19, v30
.LBB314_611:                            ;   in Loop: Header=BB314_376 Depth=1
	s_or_b64 exec, exec, s[20:21]
.LBB314_612:                            ;   in Loop: Header=BB314_376 Depth=1
	s_or_b64 exec, exec, s[18:19]
.LBB314_613:                            ;   in Loop: Header=BB314_376 Depth=1
	s_or_b64 exec, exec, s[16:17]
	v_lshrrev_b32_e32 v9, 16, v18
	v_cmp_ne_u16_sdwa s[0:1], v9, v10 src0_sel:BYTE_0 src1_sel:DWORD
	v_mov_b32_e32 v19, 0
	v_mov_b32_e32 v33, 0
	s_and_saveexec_b64 s[16:17], s[0:1]
	s_cbranch_execz .LBB314_619
; %bb.614:                              ;   in Loop: Header=BB314_376 Depth=1
	v_cmp_ne_u16_sdwa s[0:1], v9, s28 src0_sel:BYTE_0 src1_sel:DWORD
	v_bfrev_b32_e32 v33, 1
	s_and_saveexec_b64 s[18:19], s[0:1]
	s_cbranch_execz .LBB314_618
; %bb.615:                              ;   in Loop: Header=BB314_376 Depth=1
	v_bfe_u32 v34, v18, 16, 7
	v_cmp_ne_u32_e64 s[0:1], s29, v34
	v_mov_b32_e32 v33, 0x7f800001
	s_and_saveexec_b64 s[20:21], s[0:1]
	s_cbranch_execz .LBB314_617
; %bb.616:                              ;   in Loop: Header=BB314_376 Depth=1
	v_and_b32_e32 v39, 7, v9
	v_ffbh_u32_e32 v33, v39
	v_min_u32_e32 v41, 32, v33
	v_subrev_u32_e32 v33, 28, v41
	v_lshrrev_b32_e32 v40, 3, v34
	v_cmp_gt_u32_e64 s[0:1], 8, v34
	v_lshlrev_b64 v[33:34], v33, v[9:10]
	v_sub_u32_e32 v34, 29, v41
	v_and_b32_e32 v33, 7, v33
	v_cndmask_b32_e64 v34, v40, v34, s[0:1]
	v_cndmask_b32_e64 v33, v39, v33, s[0:1]
	v_lshlrev_b32_e32 v9, 24, v9
	v_bfrev_b32_e32 v0, 60
	v_lshlrev_b32_e32 v33, 20, v33
	v_and_b32_e32 v9, 0x80000000, v9
	v_lshl_add_u32 v34, v34, 23, v0
	v_or3_b32 v33, v9, v34, v33
.LBB314_617:                            ;   in Loop: Header=BB314_376 Depth=1
	s_or_b64 exec, exec, s[20:21]
.LBB314_618:                            ;   in Loop: Header=BB314_376 Depth=1
	s_or_b64 exec, exec, s[18:19]
.LBB314_619:                            ;   in Loop: Header=BB314_376 Depth=1
	s_or_b64 exec, exec, s[16:17]
	v_cmp_lt_u64_e64 s[0:1], s[4:5], v[17:18]
	s_and_saveexec_b64 s[16:17], s[0:1]
	s_cbranch_execz .LBB314_625
; %bb.620:                              ;   in Loop: Header=BB314_376 Depth=1
	v_lshrrev_b32_e32 v9, 24, v18
	v_cmp_ne_u32_e64 s[0:1], s28, v9
	v_bfrev_b32_e32 v19, 1
	s_and_saveexec_b64 s[18:19], s[0:1]
	s_cbranch_execz .LBB314_624
; %bb.621:                              ;   in Loop: Header=BB314_376 Depth=1
	v_bfe_u32 v17, v18, 24, 7
	v_cmp_ne_u32_e64 s[0:1], s29, v17
	v_mov_b32_e32 v19, 0x7f800001
	s_and_saveexec_b64 s[20:21], s[0:1]
	s_cbranch_execz .LBB314_623
; %bb.622:                              ;   in Loop: Header=BB314_376 Depth=1
	v_and_b32_e32 v19, 7, v9
	v_lshrrev_b32_e32 v34, 3, v17
	v_cmp_gt_u32_e64 s[0:1], 8, v17
	v_ffbh_u32_e32 v17, v19
	v_min_u32_e32 v39, 32, v17
	v_subrev_u32_e32 v17, 28, v39
	v_lshlrev_b64 v[17:18], v17, v[9:10]
	v_sub_u32_e32 v18, 29, v39
	v_and_b32_e32 v17, 7, v17
	v_cndmask_b32_e64 v18, v34, v18, s[0:1]
	v_cndmask_b32_e64 v17, v19, v17, s[0:1]
	v_lshlrev_b32_e32 v9, 24, v9
	v_bfrev_b32_e32 v0, 60
	v_lshlrev_b32_e32 v17, 20, v17
	v_and_b32_e32 v9, 0x80000000, v9
	v_lshl_add_u32 v18, v18, 23, v0
	v_or3_b32 v19, v9, v18, v17
.LBB314_623:                            ;   in Loop: Header=BB314_376 Depth=1
	s_or_b64 exec, exec, s[20:21]
.LBB314_624:                            ;   in Loop: Header=BB314_376 Depth=1
	s_or_b64 exec, exec, s[18:19]
.LBB314_625:                            ;   in Loop: Header=BB314_376 Depth=1
	s_or_b64 exec, exec, s[16:17]
	v_mul_f32_e32 v9, s31, v30
	v_bfe_u32 v17, v9, 16, 1
	v_add3_u32 v17, v17, v9, s30
	v_or_b32_e32 v18, 0x400000, v9
	v_cmp_u_f32_e64 s[0:1], v9, v9
	v_cndmask_b32_e64 v9, v17, v18, s[0:1]
	v_lshrrev_b32_e32 v30, 16, v9
	v_mul_f32_e32 v9, s31, v28
	v_bfe_u32 v17, v9, 16, 1
	v_add3_u32 v17, v17, v9, s30
	v_or_b32_e32 v18, 0x400000, v9
	v_cmp_u_f32_e64 s[0:1], v9, v9
	v_cndmask_b32_e64 v9, v17, v18, s[0:1]
	v_lshrrev_b32_e32 v28, 16, v9
	;; [unrolled: 7-line block ×8, first 2 shown]
	s_and_saveexec_b64 s[16:17], vcc
	s_cbranch_execz .LBB314_627
; %bb.626:                              ;   in Loop: Header=BB314_376 Depth=1
	v_cmp_gt_i32_e64 s[0:1], s33, v45
	v_cndmask_b32_e64 v40, 0, v40, s[0:1]
	v_cmp_gt_i32_e64 s[0:1], s33, v48
	v_cndmask_b32_e64 v41, 0, v41, s[0:1]
	;; [unrolled: 2-line block ×6, first 2 shown]
	v_cmp_gt_i32_e64 s[0:1], s33, v49
	v_add_u32_e32 v0, 7, v45
	v_cndmask_b32_e64 v31, 0, v31, s[0:1]
	v_cmp_gt_i32_e64 s[0:1], s33, v0
	v_cndmask_b32_e64 v39, 0, v39, s[0:1]
.LBB314_627:                            ;   in Loop: Header=BB314_376 Depth=1
	s_or_b64 exec, exec, s[16:17]
	global_load_dwordx2 v[17:18], v[15:16], off offset:2560
	v_mov_b32_e32 v43, 0
	v_mov_b32_e32 v42, 0
	s_waitcnt vmcnt(0)
	v_cmp_ne_u16_sdwa s[0:1], v17, v10 src0_sel:BYTE_0 src1_sel:DWORD
	s_and_saveexec_b64 s[16:17], s[0:1]
	s_cbranch_execz .LBB314_633
; %bb.628:                              ;   in Loop: Header=BB314_376 Depth=1
	v_cmp_ne_u16_sdwa s[0:1], v17, s28 src0_sel:BYTE_0 src1_sel:DWORD
	v_bfrev_b32_e32 v42, 1
	s_and_saveexec_b64 s[18:19], s[0:1]
	s_cbranch_execz .LBB314_632
; %bb.629:                              ;   in Loop: Header=BB314_376 Depth=1
	v_and_b32_e32 v9, 0x7f, v17
	v_cmp_ne_u32_e64 s[0:1], s29, v9
	v_mov_b32_e32 v42, 0x7f800001
	s_and_saveexec_b64 s[20:21], s[0:1]
	s_cbranch_execz .LBB314_631
; %bb.630:                              ;   in Loop: Header=BB314_376 Depth=1
	v_and_b32_e32 v19, 7, v17
	v_lshrrev_b32_e32 v33, 3, v9
	v_cmp_gt_u32_e64 s[0:1], 8, v9
	v_ffbh_u32_e32 v9, v19
	v_min_u32_e32 v9, 32, v9
	v_subrev_u32_e32 v19, 28, v9
	v_sub_u32_e32 v9, 29, v9
	v_cndmask_b32_e64 v19, 0, v19, s[0:1]
	v_cndmask_b32_e64 v9, v33, v9, s[0:1]
	v_lshlrev_b64 v[33:34], v19, v[17:18]
	v_bfrev_b32_e32 v0, 60
	v_lshlrev_b32_e32 v19, 20, v33
	v_lshlrev_b32_e32 v33, 24, v17
	v_and_b32_e32 v19, 0x700000, v19
	v_and_b32_e32 v33, 0x80000000, v33
	v_lshl_add_u32 v9, v9, 23, v0
	v_or3_b32 v42, v33, v9, v19
.LBB314_631:                            ;   in Loop: Header=BB314_376 Depth=1
	s_or_b64 exec, exec, s[20:21]
.LBB314_632:                            ;   in Loop: Header=BB314_376 Depth=1
	s_or_b64 exec, exec, s[18:19]
.LBB314_633:                            ;   in Loop: Header=BB314_376 Depth=1
	s_or_b64 exec, exec, s[16:17]
	v_lshrrev_b16_e32 v9, 8, v17
	v_cmp_ne_u16_e64 s[0:1], 0, v9
	s_and_saveexec_b64 s[16:17], s[0:1]
	s_cbranch_execz .LBB314_639
; %bb.634:                              ;   in Loop: Header=BB314_376 Depth=1
	v_cmp_ne_u16_e64 s[0:1], s28, v9
	v_bfrev_b32_e32 v43, 1
	s_and_saveexec_b64 s[18:19], s[0:1]
	s_cbranch_execz .LBB314_638
; %bb.635:                              ;   in Loop: Header=BB314_376 Depth=1
	v_and_b32_e32 v19, 0x7f, v9
	v_cmp_ne_u32_e64 s[0:1], s29, v19
	v_mov_b32_e32 v43, 0x7f800001
	s_and_saveexec_b64 s[20:21], s[0:1]
	s_cbranch_execz .LBB314_637
; %bb.636:                              ;   in Loop: Header=BB314_376 Depth=1
	v_and_b32_e32 v36, 7, v9
	v_lshrrev_b32_e32 v43, 3, v19
	v_cmp_gt_u32_e64 s[0:1], 8, v19
	v_ffbh_u32_e32 v19, v36
	v_min_u32_e32 v19, 32, v19
	v_subrev_u32_e32 v33, 28, v19
	v_lshlrev_b64 v[33:34], v33, v[9:10]
	v_sub_u32_e32 v9, 29, v19
	v_and_b32_e32 v19, 7, v33
	v_cndmask_b32_e64 v9, v43, v9, s[0:1]
	v_cndmask_b32_e64 v19, v36, v19, s[0:1]
	v_lshlrev_b32_e32 v33, 16, v17
	v_bfrev_b32_e32 v0, 60
	v_lshlrev_b32_e32 v19, 20, v19
	v_and_b32_e32 v33, 0x80000000, v33
	v_lshl_add_u32 v9, v9, 23, v0
	v_or3_b32 v43, v33, v9, v19
.LBB314_637:                            ;   in Loop: Header=BB314_376 Depth=1
	s_or_b64 exec, exec, s[20:21]
.LBB314_638:                            ;   in Loop: Header=BB314_376 Depth=1
	s_or_b64 exec, exec, s[18:19]
.LBB314_639:                            ;   in Loop: Header=BB314_376 Depth=1
	s_or_b64 exec, exec, s[16:17]
	v_lshrrev_b32_e32 v9, 16, v17
	v_cmp_ne_u16_sdwa s[0:1], v9, v10 src0_sel:BYTE_0 src1_sel:DWORD
	v_mov_b32_e32 v44, 0
	v_mov_b32_e32 v36, 0
	s_and_saveexec_b64 s[16:17], s[0:1]
	s_cbranch_execz .LBB314_645
; %bb.640:                              ;   in Loop: Header=BB314_376 Depth=1
	v_cmp_ne_u16_sdwa s[0:1], v9, s28 src0_sel:BYTE_0 src1_sel:DWORD
	v_bfrev_b32_e32 v36, 1
	s_and_saveexec_b64 s[18:19], s[0:1]
	s_cbranch_execz .LBB314_644
; %bb.641:                              ;   in Loop: Header=BB314_376 Depth=1
	v_bfe_u32 v19, v17, 16, 7
	v_cmp_ne_u32_e64 s[0:1], s29, v19
	v_mov_b32_e32 v36, 0x7f800001
	s_and_saveexec_b64 s[20:21], s[0:1]
	s_cbranch_execz .LBB314_643
; %bb.642:                              ;   in Loop: Header=BB314_376 Depth=1
	v_and_b32_e32 v36, 7, v9
	v_lshrrev_b32_e32 v46, 3, v19
	v_cmp_gt_u32_e64 s[0:1], 8, v19
	v_ffbh_u32_e32 v19, v36
	v_min_u32_e32 v19, 32, v19
	v_subrev_u32_e32 v33, 28, v19
	v_lshlrev_b64 v[33:34], v33, v[9:10]
	v_sub_u32_e32 v19, 29, v19
	v_and_b32_e32 v33, 7, v33
	v_cndmask_b32_e64 v19, v46, v19, s[0:1]
	v_cndmask_b32_e64 v33, v36, v33, s[0:1]
	v_lshlrev_b32_e32 v9, 24, v9
	v_bfrev_b32_e32 v0, 60
	v_lshlrev_b32_e32 v33, 20, v33
	v_and_b32_e32 v9, 0x80000000, v9
	v_lshl_add_u32 v19, v19, 23, v0
	v_or3_b32 v36, v9, v19, v33
.LBB314_643:                            ;   in Loop: Header=BB314_376 Depth=1
	s_or_b64 exec, exec, s[20:21]
.LBB314_644:                            ;   in Loop: Header=BB314_376 Depth=1
	s_or_b64 exec, exec, s[18:19]
.LBB314_645:                            ;   in Loop: Header=BB314_376 Depth=1
	s_or_b64 exec, exec, s[16:17]
	v_cmp_lt_u32_e64 s[0:1], s5, v17
	s_and_saveexec_b64 s[16:17], s[0:1]
	s_cbranch_execz .LBB314_651
; %bb.646:                              ;   in Loop: Header=BB314_376 Depth=1
	v_lshrrev_b32_e32 v9, 24, v17
	v_cmp_ne_u32_e64 s[0:1], s28, v9
	v_bfrev_b32_e32 v44, 1
	s_and_saveexec_b64 s[18:19], s[0:1]
	s_cbranch_execz .LBB314_650
; %bb.647:                              ;   in Loop: Header=BB314_376 Depth=1
	v_bfe_u32 v19, v17, 24, 7
	v_cmp_ne_u32_e64 s[0:1], s29, v19
	v_mov_b32_e32 v44, 0x7f800001
	s_and_saveexec_b64 s[20:21], s[0:1]
	s_cbranch_execz .LBB314_649
; %bb.648:                              ;   in Loop: Header=BB314_376 Depth=1
	v_and_b32_e32 v44, 7, v9
	v_lshrrev_b32_e32 v46, 3, v19
	v_cmp_gt_u32_e64 s[0:1], 8, v19
	v_ffbh_u32_e32 v19, v44
	v_min_u32_e32 v19, 32, v19
	v_subrev_u32_e32 v33, 28, v19
	v_lshlrev_b64 v[33:34], v33, v[9:10]
	v_sub_u32_e32 v19, 29, v19
	v_and_b32_e32 v33, 7, v33
	v_cndmask_b32_e64 v19, v46, v19, s[0:1]
	v_cndmask_b32_e64 v33, v44, v33, s[0:1]
	v_lshlrev_b32_e32 v9, 24, v9
	v_bfrev_b32_e32 v0, 60
	v_lshlrev_b32_e32 v33, 20, v33
	v_and_b32_e32 v9, 0x80000000, v9
	v_lshl_add_u32 v19, v19, 23, v0
	v_or3_b32 v44, v9, v19, v33
.LBB314_649:                            ;   in Loop: Header=BB314_376 Depth=1
	s_or_b64 exec, exec, s[20:21]
.LBB314_650:                            ;   in Loop: Header=BB314_376 Depth=1
	s_or_b64 exec, exec, s[18:19]
.LBB314_651:                            ;   in Loop: Header=BB314_376 Depth=1
	s_or_b64 exec, exec, s[16:17]
	v_mov_b32_e32 v9, v18
	v_cmp_ne_u16_sdwa s[0:1], v18, v10 src0_sel:BYTE_0 src1_sel:DWORD
	v_mov_b32_e32 v34, 0
	v_mov_b32_e32 v33, 0
	s_and_saveexec_b64 s[16:17], s[0:1]
	s_cbranch_execz .LBB314_657
; %bb.652:                              ;   in Loop: Header=BB314_376 Depth=1
	v_cmp_ne_u16_sdwa s[0:1], v18, s28 src0_sel:BYTE_0 src1_sel:DWORD
	v_bfrev_b32_e32 v33, 1
	s_and_saveexec_b64 s[18:19], s[0:1]
	s_cbranch_execz .LBB314_656
; %bb.653:                              ;   in Loop: Header=BB314_376 Depth=1
	v_and_b32_e32 v19, 0x7f, v18
	v_cmp_ne_u32_e64 s[0:1], s29, v19
	v_mov_b32_e32 v33, 0x7f800001
	s_and_saveexec_b64 s[20:21], s[0:1]
	s_cbranch_execz .LBB314_655
; %bb.654:                              ;   in Loop: Header=BB314_376 Depth=1
	v_and_b32_e32 v33, 7, v18
	v_lshrrev_b32_e32 v46, 3, v19
	v_cmp_gt_u32_e64 s[0:1], 8, v19
	v_ffbh_u32_e32 v19, v33
	v_min_u32_e32 v19, 32, v19
	v_subrev_u32_e32 v33, 28, v19
	v_sub_u32_e32 v19, 29, v19
	v_cndmask_b32_e64 v33, 0, v33, s[0:1]
	v_cndmask_b32_e64 v19, v46, v19, s[0:1]
	v_lshlrev_b64 v[46:47], v33, v[9:10]
	v_bfrev_b32_e32 v0, 60
	v_lshlrev_b32_e32 v33, 20, v46
	v_lshlrev_b32_e32 v46, 24, v9
	v_and_b32_e32 v33, 0x700000, v33
	v_and_b32_e32 v46, 0x80000000, v46
	v_lshl_add_u32 v19, v19, 23, v0
	v_or3_b32 v33, v46, v19, v33
.LBB314_655:                            ;   in Loop: Header=BB314_376 Depth=1
	s_or_b64 exec, exec, s[20:21]
.LBB314_656:                            ;   in Loop: Header=BB314_376 Depth=1
	s_or_b64 exec, exec, s[18:19]
.LBB314_657:                            ;   in Loop: Header=BB314_376 Depth=1
	s_or_b64 exec, exec, s[16:17]
	v_lshrrev_b16_e32 v19, 8, v9
	v_cmp_ne_u16_e64 s[0:1], 0, v19
	s_and_saveexec_b64 s[16:17], s[0:1]
	s_cbranch_execz .LBB314_663
; %bb.658:                              ;   in Loop: Header=BB314_376 Depth=1
	v_cmp_ne_u16_e64 s[0:1], s28, v19
	v_bfrev_b32_e32 v34, 1
	s_and_saveexec_b64 s[18:19], s[0:1]
	s_cbranch_execz .LBB314_662
; %bb.659:                              ;   in Loop: Header=BB314_376 Depth=1
	v_and_b32_e32 v46, 0x7f, v19
	v_cmp_ne_u32_e64 s[0:1], s29, v46
	v_mov_b32_e32 v34, 0x7f800001
	s_and_saveexec_b64 s[20:21], s[0:1]
	s_cbranch_execz .LBB314_661
; %bb.660:                              ;   in Loop: Header=BB314_376 Depth=1
	v_and_b32_e32 v34, 7, v19
	v_lshrrev_b32_e32 v53, 3, v46
	v_cmp_gt_u32_e64 s[0:1], 8, v46
	v_ffbh_u32_e32 v46, v34
	v_min_u32_e32 v56, 32, v46
	v_subrev_u32_e32 v46, 28, v56
	v_lshlrev_b64 v[46:47], v46, v[19:20]
	v_sub_u32_e32 v19, 29, v56
	v_and_b32_e32 v46, 7, v46
	v_cndmask_b32_e64 v19, v53, v19, s[0:1]
	v_cndmask_b32_e64 v34, v34, v46, s[0:1]
	v_lshlrev_b32_e32 v9, 16, v9
	v_bfrev_b32_e32 v0, 60
	v_lshlrev_b32_e32 v34, 20, v34
	v_and_b32_e32 v9, 0x80000000, v9
	v_lshl_add_u32 v19, v19, 23, v0
	v_or3_b32 v34, v9, v19, v34
.LBB314_661:                            ;   in Loop: Header=BB314_376 Depth=1
	s_or_b64 exec, exec, s[20:21]
.LBB314_662:                            ;   in Loop: Header=BB314_376 Depth=1
	s_or_b64 exec, exec, s[18:19]
.LBB314_663:                            ;   in Loop: Header=BB314_376 Depth=1
	s_or_b64 exec, exec, s[16:17]
	v_lshrrev_b32_e32 v9, 16, v18
	v_cmp_ne_u16_sdwa s[0:1], v9, v10 src0_sel:BYTE_0 src1_sel:DWORD
	v_mov_b32_e32 v53, 0
	v_mov_b32_e32 v56, 0
	s_and_saveexec_b64 s[16:17], s[0:1]
	s_cbranch_execz .LBB314_669
; %bb.664:                              ;   in Loop: Header=BB314_376 Depth=1
	v_cmp_ne_u16_sdwa s[0:1], v9, s28 src0_sel:BYTE_0 src1_sel:DWORD
	v_bfrev_b32_e32 v56, 1
	s_and_saveexec_b64 s[18:19], s[0:1]
	s_cbranch_execz .LBB314_668
; %bb.665:                              ;   in Loop: Header=BB314_376 Depth=1
	v_bfe_u32 v19, v18, 16, 7
	v_cmp_ne_u32_e64 s[0:1], s29, v19
	v_mov_b32_e32 v56, 0x7f800001
	s_and_saveexec_b64 s[20:21], s[0:1]
	s_cbranch_execz .LBB314_667
; %bb.666:                              ;   in Loop: Header=BB314_376 Depth=1
	v_and_b32_e32 v56, 7, v9
	v_lshrrev_b32_e32 v57, 3, v19
	v_cmp_gt_u32_e64 s[0:1], 8, v19
	v_ffbh_u32_e32 v19, v56
	v_min_u32_e32 v19, 32, v19
	v_subrev_u32_e32 v46, 28, v19
	v_lshlrev_b64 v[46:47], v46, v[9:10]
	v_sub_u32_e32 v19, 29, v19
	v_and_b32_e32 v46, 7, v46
	v_cndmask_b32_e64 v19, v57, v19, s[0:1]
	v_cndmask_b32_e64 v46, v56, v46, s[0:1]
	v_lshlrev_b32_e32 v9, 24, v9
	v_bfrev_b32_e32 v0, 60
	v_lshlrev_b32_e32 v46, 20, v46
	v_and_b32_e32 v9, 0x80000000, v9
	v_lshl_add_u32 v19, v19, 23, v0
	v_or3_b32 v56, v9, v19, v46
.LBB314_667:                            ;   in Loop: Header=BB314_376 Depth=1
	s_or_b64 exec, exec, s[20:21]
.LBB314_668:                            ;   in Loop: Header=BB314_376 Depth=1
	s_or_b64 exec, exec, s[18:19]
.LBB314_669:                            ;   in Loop: Header=BB314_376 Depth=1
	s_or_b64 exec, exec, s[16:17]
	v_cmp_lt_u64_e64 s[0:1], s[4:5], v[17:18]
	s_and_saveexec_b64 s[16:17], s[0:1]
	s_cbranch_execz .LBB314_675
; %bb.670:                              ;   in Loop: Header=BB314_376 Depth=1
	v_lshrrev_b32_e32 v9, 24, v18
	v_cmp_ne_u32_e64 s[0:1], s28, v9
	v_bfrev_b32_e32 v53, 1
	s_and_saveexec_b64 s[18:19], s[0:1]
	s_cbranch_execz .LBB314_674
; %bb.671:                              ;   in Loop: Header=BB314_376 Depth=1
	v_bfe_u32 v17, v18, 24, 7
	v_cmp_ne_u32_e64 s[0:1], s29, v17
	v_mov_b32_e32 v53, 0x7f800001
	s_and_saveexec_b64 s[20:21], s[0:1]
	s_cbranch_execz .LBB314_673
; %bb.672:                              ;   in Loop: Header=BB314_376 Depth=1
	v_and_b32_e32 v19, 7, v9
	v_lshrrev_b32_e32 v46, 3, v17
	v_cmp_gt_u32_e64 s[0:1], 8, v17
	v_ffbh_u32_e32 v17, v19
	v_min_u32_e32 v47, 32, v17
	v_subrev_u32_e32 v17, 28, v47
	v_lshlrev_b64 v[17:18], v17, v[9:10]
	v_sub_u32_e32 v18, 29, v47
	v_and_b32_e32 v17, 7, v17
	v_cndmask_b32_e64 v18, v46, v18, s[0:1]
	v_cndmask_b32_e64 v17, v19, v17, s[0:1]
	v_lshlrev_b32_e32 v9, 24, v9
	v_bfrev_b32_e32 v0, 60
	v_lshlrev_b32_e32 v17, 20, v17
	v_and_b32_e32 v9, 0x80000000, v9
	v_lshl_add_u32 v18, v18, 23, v0
	v_or3_b32 v53, v9, v18, v17
.LBB314_673:                            ;   in Loop: Header=BB314_376 Depth=1
	s_or_b64 exec, exec, s[20:21]
.LBB314_674:                            ;   in Loop: Header=BB314_376 Depth=1
	s_or_b64 exec, exec, s[18:19]
.LBB314_675:                            ;   in Loop: Header=BB314_376 Depth=1
	s_or_b64 exec, exec, s[16:17]
	v_mul_f32_e32 v9, s31, v34
	v_bfe_u32 v17, v9, 16, 1
	v_add3_u32 v17, v17, v9, s30
	v_or_b32_e32 v18, 0x400000, v9
	v_cmp_u_f32_e64 s[0:1], v9, v9
	v_cndmask_b32_e64 v9, v17, v18, s[0:1]
	v_lshrrev_b32_e32 v19, 16, v9
	v_mul_f32_e32 v9, s31, v33
	v_bfe_u32 v17, v9, 16, 1
	v_add3_u32 v17, v17, v9, s30
	v_or_b32_e32 v18, 0x400000, v9
	v_cmp_u_f32_e64 s[0:1], v9, v9
	v_cndmask_b32_e64 v9, v17, v18, s[0:1]
	v_lshrrev_b32_e32 v18, 16, v9
	;; [unrolled: 7-line block ×8, first 2 shown]
	s_and_saveexec_b64 s[16:17], vcc
	s_cbranch_execz .LBB314_677
; %bb.676:                              ;   in Loop: Header=BB314_376 Depth=1
	v_cmp_gt_i32_e64 s[0:1], s33, v45
	v_cndmask_b32_e64 v46, 0, v46, s[0:1]
	v_cmp_gt_i32_e64 s[0:1], s33, v48
	v_cndmask_b32_e64 v47, 0, v47, s[0:1]
	v_cmp_gt_i32_e64 s[0:1], s33, v54
	v_cndmask_b32_e64 v36, 0, v36, s[0:1]
	v_cmp_gt_i32_e64 s[0:1], s33, v52
	v_cndmask_b32_e64 v44, 0, v44, s[0:1]
	v_cmp_gt_i32_e64 s[0:1], s33, v51
	v_cndmask_b32_e64 v18, 0, v18, s[0:1]
	v_cmp_gt_i32_e64 s[0:1], s33, v50
	v_cndmask_b32_e64 v19, 0, v19, s[0:1]
	v_cmp_gt_i32_e64 s[0:1], s33, v49
	v_add_u32_e32 v0, 7, v45
	v_cndmask_b32_e64 v42, 0, v42, s[0:1]
	v_cmp_gt_i32_e64 s[0:1], s33, v0
	v_cndmask_b32_e64 v43, 0, v43, s[0:1]
.LBB314_677:                            ;   in Loop: Header=BB314_376 Depth=1
	s_or_b64 exec, exec, s[16:17]
	global_load_dwordx2 v[15:16], v[15:16], off offset:3072
	v_mov_b32_e32 v57, 0
	v_mov_b32_e32 v53, 0
	s_waitcnt vmcnt(0)
	v_cmp_ne_u16_sdwa s[0:1], v15, v10 src0_sel:BYTE_0 src1_sel:DWORD
	s_and_saveexec_b64 s[16:17], s[0:1]
	s_cbranch_execz .LBB314_683
; %bb.678:                              ;   in Loop: Header=BB314_376 Depth=1
	v_cmp_ne_u16_sdwa s[0:1], v15, s28 src0_sel:BYTE_0 src1_sel:DWORD
	v_bfrev_b32_e32 v53, 1
	s_and_saveexec_b64 s[18:19], s[0:1]
	s_cbranch_execz .LBB314_682
; %bb.679:                              ;   in Loop: Header=BB314_376 Depth=1
	v_and_b32_e32 v9, 0x7f, v15
	v_cmp_ne_u32_e64 s[0:1], s29, v9
	v_mov_b32_e32 v53, 0x7f800001
	s_and_saveexec_b64 s[20:21], s[0:1]
	s_cbranch_execz .LBB314_681
; %bb.680:                              ;   in Loop: Header=BB314_376 Depth=1
	v_and_b32_e32 v17, 7, v15
	v_lshrrev_b32_e32 v33, 3, v9
	v_cmp_gt_u32_e64 s[0:1], 8, v9
	v_ffbh_u32_e32 v9, v17
	v_min_u32_e32 v9, 32, v9
	v_subrev_u32_e32 v17, 28, v9
	v_sub_u32_e32 v9, 29, v9
	v_cndmask_b32_e64 v17, 0, v17, s[0:1]
	v_cndmask_b32_e64 v9, v33, v9, s[0:1]
	v_lshlrev_b64 v[33:34], v17, v[15:16]
	v_bfrev_b32_e32 v0, 60
	v_lshlrev_b32_e32 v17, 20, v33
	v_lshlrev_b32_e32 v33, 24, v15
	v_and_b32_e32 v17, 0x700000, v17
	v_and_b32_e32 v33, 0x80000000, v33
	v_lshl_add_u32 v9, v9, 23, v0
	v_or3_b32 v53, v33, v9, v17
.LBB314_681:                            ;   in Loop: Header=BB314_376 Depth=1
	s_or_b64 exec, exec, s[20:21]
.LBB314_682:                            ;   in Loop: Header=BB314_376 Depth=1
	s_or_b64 exec, exec, s[18:19]
.LBB314_683:                            ;   in Loop: Header=BB314_376 Depth=1
	s_or_b64 exec, exec, s[16:17]
	v_lshrrev_b16_e32 v9, 8, v15
	v_cmp_ne_u16_e64 s[0:1], 0, v9
	s_and_saveexec_b64 s[16:17], s[0:1]
	s_cbranch_execz .LBB314_689
; %bb.684:                              ;   in Loop: Header=BB314_376 Depth=1
	v_cmp_ne_u16_e64 s[0:1], s28, v9
	v_bfrev_b32_e32 v57, 1
	s_and_saveexec_b64 s[18:19], s[0:1]
	s_cbranch_execz .LBB314_688
; %bb.685:                              ;   in Loop: Header=BB314_376 Depth=1
	v_and_b32_e32 v17, 0x7f, v9
	v_cmp_ne_u32_e64 s[0:1], s29, v17
	v_mov_b32_e32 v57, 0x7f800001
	s_and_saveexec_b64 s[20:21], s[0:1]
	s_cbranch_execz .LBB314_687
; %bb.686:                              ;   in Loop: Header=BB314_376 Depth=1
	v_and_b32_e32 v56, 7, v9
	v_lshrrev_b32_e32 v57, 3, v17
	v_cmp_gt_u32_e64 s[0:1], 8, v17
	v_ffbh_u32_e32 v17, v56
	v_min_u32_e32 v17, 32, v17
	v_subrev_u32_e32 v33, 28, v17
	v_lshlrev_b64 v[33:34], v33, v[9:10]
	v_sub_u32_e32 v9, 29, v17
	v_and_b32_e32 v17, 7, v33
	v_cndmask_b32_e64 v9, v57, v9, s[0:1]
	v_cndmask_b32_e64 v17, v56, v17, s[0:1]
	v_lshlrev_b32_e32 v33, 16, v15
	v_bfrev_b32_e32 v0, 60
	v_lshlrev_b32_e32 v17, 20, v17
	v_and_b32_e32 v33, 0x80000000, v33
	v_lshl_add_u32 v9, v9, 23, v0
	v_or3_b32 v57, v33, v9, v17
.LBB314_687:                            ;   in Loop: Header=BB314_376 Depth=1
	s_or_b64 exec, exec, s[20:21]
.LBB314_688:                            ;   in Loop: Header=BB314_376 Depth=1
	s_or_b64 exec, exec, s[18:19]
.LBB314_689:                            ;   in Loop: Header=BB314_376 Depth=1
	s_or_b64 exec, exec, s[16:17]
	v_lshrrev_b32_e32 v9, 16, v15
	v_cmp_ne_u16_sdwa s[0:1], v9, v10 src0_sel:BYTE_0 src1_sel:DWORD
	v_mov_b32_e32 v58, 0
	v_mov_b32_e32 v56, 0
	s_and_saveexec_b64 s[16:17], s[0:1]
	s_cbranch_execz .LBB314_695
; %bb.690:                              ;   in Loop: Header=BB314_376 Depth=1
	v_cmp_ne_u16_sdwa s[0:1], v9, s28 src0_sel:BYTE_0 src1_sel:DWORD
	v_bfrev_b32_e32 v56, 1
	s_and_saveexec_b64 s[18:19], s[0:1]
	s_cbranch_execz .LBB314_694
; %bb.691:                              ;   in Loop: Header=BB314_376 Depth=1
	v_bfe_u32 v17, v15, 16, 7
	v_cmp_ne_u32_e64 s[0:1], s29, v17
	v_mov_b32_e32 v56, 0x7f800001
	s_and_saveexec_b64 s[20:21], s[0:1]
	s_cbranch_execz .LBB314_693
; %bb.692:                              ;   in Loop: Header=BB314_376 Depth=1
	v_and_b32_e32 v56, 7, v9
	v_lshrrev_b32_e32 v59, 3, v17
	v_cmp_gt_u32_e64 s[0:1], 8, v17
	v_ffbh_u32_e32 v17, v56
	v_min_u32_e32 v17, 32, v17
	v_subrev_u32_e32 v33, 28, v17
	v_lshlrev_b64 v[33:34], v33, v[9:10]
	v_sub_u32_e32 v17, 29, v17
	v_and_b32_e32 v33, 7, v33
	v_cndmask_b32_e64 v17, v59, v17, s[0:1]
	v_cndmask_b32_e64 v33, v56, v33, s[0:1]
	v_lshlrev_b32_e32 v9, 24, v9
	v_bfrev_b32_e32 v0, 60
	v_lshlrev_b32_e32 v33, 20, v33
	v_and_b32_e32 v9, 0x80000000, v9
	v_lshl_add_u32 v17, v17, 23, v0
	v_or3_b32 v56, v9, v17, v33
.LBB314_693:                            ;   in Loop: Header=BB314_376 Depth=1
	s_or_b64 exec, exec, s[20:21]
.LBB314_694:                            ;   in Loop: Header=BB314_376 Depth=1
	s_or_b64 exec, exec, s[18:19]
.LBB314_695:                            ;   in Loop: Header=BB314_376 Depth=1
	s_or_b64 exec, exec, s[16:17]
	v_cmp_lt_u32_e64 s[0:1], s5, v15
	s_and_saveexec_b64 s[16:17], s[0:1]
	s_cbranch_execz .LBB314_701
; %bb.696:                              ;   in Loop: Header=BB314_376 Depth=1
	v_lshrrev_b32_e32 v9, 24, v15
	v_cmp_ne_u32_e64 s[0:1], s28, v9
	v_bfrev_b32_e32 v58, 1
	s_and_saveexec_b64 s[18:19], s[0:1]
	s_cbranch_execz .LBB314_700
; %bb.697:                              ;   in Loop: Header=BB314_376 Depth=1
	v_bfe_u32 v17, v15, 24, 7
	v_cmp_ne_u32_e64 s[0:1], s29, v17
	v_mov_b32_e32 v58, 0x7f800001
	s_and_saveexec_b64 s[20:21], s[0:1]
	s_cbranch_execz .LBB314_699
; %bb.698:                              ;   in Loop: Header=BB314_376 Depth=1
	v_and_b32_e32 v58, 7, v9
	v_lshrrev_b32_e32 v59, 3, v17
	v_cmp_gt_u32_e64 s[0:1], 8, v17
	v_ffbh_u32_e32 v17, v58
	v_min_u32_e32 v17, 32, v17
	v_subrev_u32_e32 v33, 28, v17
	v_lshlrev_b64 v[33:34], v33, v[9:10]
	v_sub_u32_e32 v17, 29, v17
	v_and_b32_e32 v33, 7, v33
	v_cndmask_b32_e64 v17, v59, v17, s[0:1]
	v_cndmask_b32_e64 v33, v58, v33, s[0:1]
	v_lshlrev_b32_e32 v9, 24, v9
	v_bfrev_b32_e32 v0, 60
	v_lshlrev_b32_e32 v33, 20, v33
	v_and_b32_e32 v9, 0x80000000, v9
	v_lshl_add_u32 v17, v17, 23, v0
	v_or3_b32 v58, v9, v17, v33
.LBB314_699:                            ;   in Loop: Header=BB314_376 Depth=1
	s_or_b64 exec, exec, s[20:21]
.LBB314_700:                            ;   in Loop: Header=BB314_376 Depth=1
	s_or_b64 exec, exec, s[18:19]
.LBB314_701:                            ;   in Loop: Header=BB314_376 Depth=1
	s_or_b64 exec, exec, s[16:17]
	v_mov_b32_e32 v9, v16
	v_cmp_ne_u16_sdwa s[0:1], v16, v10 src0_sel:BYTE_0 src1_sel:DWORD
	v_mov_b32_e32 v34, 0
	v_mov_b32_e32 v33, 0
	s_and_saveexec_b64 s[16:17], s[0:1]
	s_cbranch_execz .LBB314_707
; %bb.702:                              ;   in Loop: Header=BB314_376 Depth=1
	v_cmp_ne_u16_sdwa s[0:1], v16, s28 src0_sel:BYTE_0 src1_sel:DWORD
	v_bfrev_b32_e32 v33, 1
	s_and_saveexec_b64 s[18:19], s[0:1]
	s_cbranch_execz .LBB314_706
; %bb.703:                              ;   in Loop: Header=BB314_376 Depth=1
	v_and_b32_e32 v17, 0x7f, v16
	v_cmp_ne_u32_e64 s[0:1], s29, v17
	v_mov_b32_e32 v33, 0x7f800001
	s_and_saveexec_b64 s[20:21], s[0:1]
	s_cbranch_execz .LBB314_705
; %bb.704:                              ;   in Loop: Header=BB314_376 Depth=1
	v_and_b32_e32 v33, 7, v16
	v_lshrrev_b32_e32 v59, 3, v17
	v_cmp_gt_u32_e64 s[0:1], 8, v17
	v_ffbh_u32_e32 v17, v33
	v_min_u32_e32 v17, 32, v17
	v_subrev_u32_e32 v33, 28, v17
	v_sub_u32_e32 v17, 29, v17
	v_cndmask_b32_e64 v33, 0, v33, s[0:1]
	v_cndmask_b32_e64 v17, v59, v17, s[0:1]
	v_mov_b32_e32 v0, v60
	v_lshlrev_b64 v[59:60], v33, v[9:10]
	v_mov_b32_e32 v60, v0
	v_lshlrev_b32_e32 v33, 20, v59
	v_lshlrev_b32_e32 v59, 24, v9
	v_bfrev_b32_e32 v0, 60
	v_and_b32_e32 v33, 0x700000, v33
	v_and_b32_e32 v59, 0x80000000, v59
	v_lshl_add_u32 v17, v17, 23, v0
	v_or3_b32 v33, v59, v17, v33
.LBB314_705:                            ;   in Loop: Header=BB314_376 Depth=1
	s_or_b64 exec, exec, s[20:21]
.LBB314_706:                            ;   in Loop: Header=BB314_376 Depth=1
	s_or_b64 exec, exec, s[18:19]
.LBB314_707:                            ;   in Loop: Header=BB314_376 Depth=1
	s_or_b64 exec, exec, s[16:17]
	v_lshrrev_b16_e32 v17, 8, v9
	v_cmp_ne_u16_e64 s[0:1], 0, v17
	s_mov_b64 s[16:17], exec
	s_and_b64 s[0:1], s[16:17], s[0:1]
	v_mov_b32_e32 v32, v20
	s_mov_b64 exec, s[0:1]
	s_cbranch_execz .LBB314_713
; %bb.708:                              ;   in Loop: Header=BB314_376 Depth=1
	v_cmp_ne_u16_e64 s[0:1], s28, v17
	v_bfrev_b32_e32 v34, 1
	s_and_saveexec_b64 s[18:19], s[0:1]
	s_cbranch_execz .LBB314_712
; %bb.709:                              ;   in Loop: Header=BB314_376 Depth=1
	v_and_b32_e32 v59, 0x7f, v17
	v_cmp_ne_u32_e64 s[0:1], s29, v59
	v_mov_b32_e32 v34, 0x7f800001
	s_and_saveexec_b64 s[20:21], s[0:1]
	s_cbranch_execz .LBB314_711
; %bb.710:                              ;   in Loop: Header=BB314_376 Depth=1
	v_and_b32_e32 v34, 7, v17
	v_mov_b32_e32 v21, v23
	v_mov_b32_e32 v23, v61
	v_lshrrev_b32_e32 v61, 3, v59
	v_cmp_gt_u32_e64 s[0:1], 8, v59
	v_ffbh_u32_e32 v59, v34
	v_mov_b32_e32 v20, v62
	v_min_u32_e32 v62, 32, v59
	v_subrev_u32_e32 v59, 28, v62
	v_mov_b32_e32 v0, v60
	v_lshlrev_b64 v[59:60], v59, v[17:18]
	v_sub_u32_e32 v17, 29, v62
	v_and_b32_e32 v59, 7, v59
	v_mov_b32_e32 v60, v0
	v_cndmask_b32_e64 v17, v61, v17, s[0:1]
	v_cndmask_b32_e64 v34, v34, v59, s[0:1]
	v_lshlrev_b32_e32 v9, 16, v9
	v_bfrev_b32_e32 v0, 60
	v_lshlrev_b32_e32 v34, 20, v34
	v_and_b32_e32 v9, 0x80000000, v9
	v_lshl_add_u32 v17, v17, 23, v0
	v_mov_b32_e32 v62, v20
	v_mov_b32_e32 v61, v23
	;; [unrolled: 1-line block ×3, first 2 shown]
	v_or3_b32 v34, v9, v17, v34
.LBB314_711:                            ;   in Loop: Header=BB314_376 Depth=1
	s_or_b64 exec, exec, s[20:21]
.LBB314_712:                            ;   in Loop: Header=BB314_376 Depth=1
	s_or_b64 exec, exec, s[18:19]
.LBB314_713:                            ;   in Loop: Header=BB314_376 Depth=1
	s_or_b64 exec, exec, s[16:17]
	v_lshrrev_b32_e32 v9, 16, v16
	v_cmp_ne_u16_sdwa s[0:1], v9, v10 src0_sel:BYTE_0 src1_sel:DWORD
	v_mov_b32_e32 v59, 0
	v_mov_b32_e32 v17, 0
	s_and_saveexec_b64 s[16:17], s[0:1]
	s_cbranch_execz .LBB314_719
; %bb.714:                              ;   in Loop: Header=BB314_376 Depth=1
	v_cmp_ne_u16_sdwa s[0:1], v9, s28 src0_sel:BYTE_0 src1_sel:DWORD
	v_bfrev_b32_e32 v17, 1
	s_and_saveexec_b64 s[18:19], s[0:1]
	s_cbranch_execz .LBB314_718
; %bb.715:                              ;   in Loop: Header=BB314_376 Depth=1
	v_mov_b32_e32 v21, v60
	v_bfe_u32 v60, v16, 16, 7
	v_cmp_ne_u32_e64 s[0:1], s29, v60
	v_mov_b32_e32 v17, 0x7f800001
	s_and_saveexec_b64 s[20:21], s[0:1]
	s_cbranch_execz .LBB314_717
; %bb.716:                              ;   in Loop: Header=BB314_376 Depth=1
	v_and_b32_e32 v17, 7, v9
	v_mov_b32_e32 v20, v62
	v_lshrrev_b32_e32 v62, 3, v60
	v_cmp_gt_u32_e64 s[0:1], 8, v60
	v_ffbh_u32_e32 v60, v17
	v_mov_b32_e32 v27, v63
	v_min_u32_e32 v63, 32, v60
	v_subrev_u32_e32 v60, 28, v63
	v_mov_b32_e32 v0, v29
	v_mov_b32_e32 v29, v61
	v_lshlrev_b64 v[60:61], v60, v[9:10]
	v_sub_u32_e32 v61, 29, v63
	v_and_b32_e32 v60, 7, v60
	v_cndmask_b32_e64 v61, v62, v61, s[0:1]
	v_mov_b32_e32 v62, v20
	v_cndmask_b32_e64 v17, v17, v60, s[0:1]
	v_lshlrev_b32_e32 v9, 24, v9
	v_bfrev_b32_e32 v20, 60
	v_mov_b32_e32 v55, v54
	v_mov_b32_e32 v54, v52
	;; [unrolled: 1-line block ×3, first 2 shown]
	v_lshlrev_b32_e32 v17, 20, v17
	v_and_b32_e32 v9, 0x80000000, v9
	v_lshl_add_u32 v60, v61, 23, v20
	v_mov_b32_e32 v51, v52
	v_mov_b32_e32 v52, v54
	;; [unrolled: 1-line block ×6, first 2 shown]
	v_or3_b32 v17, v9, v60, v17
.LBB314_717:                            ;   in Loop: Header=BB314_376 Depth=1
	s_or_b64 exec, exec, s[20:21]
	v_mov_b32_e32 v60, v21
.LBB314_718:                            ;   in Loop: Header=BB314_376 Depth=1
	s_or_b64 exec, exec, s[18:19]
.LBB314_719:                            ;   in Loop: Header=BB314_376 Depth=1
	s_or_b64 exec, exec, s[16:17]
	v_cmp_lt_u64_e64 s[0:1], s[4:5], v[15:16]
	s_and_saveexec_b64 s[16:17], s[0:1]
	s_cbranch_execz .LBB314_725
; %bb.720:                              ;   in Loop: Header=BB314_376 Depth=1
	v_lshrrev_b32_e32 v9, 24, v16
	v_cmp_ne_u32_e64 s[0:1], s28, v9
	v_bfrev_b32_e32 v59, 1
	s_and_saveexec_b64 s[18:19], s[0:1]
	s_cbranch_execz .LBB314_724
; %bb.721:                              ;   in Loop: Header=BB314_376 Depth=1
	v_bfe_u32 v15, v16, 24, 7
	v_cmp_ne_u32_e64 s[0:1], s29, v15
	v_mov_b32_e32 v59, 0x7f800001
	s_and_saveexec_b64 s[20:21], s[0:1]
	s_cbranch_execz .LBB314_723
; %bb.722:                              ;   in Loop: Header=BB314_376 Depth=1
	v_and_b32_e32 v59, 7, v9
	v_mov_b32_e32 v0, v60
	v_lshrrev_b32_e32 v60, 3, v15
	v_cmp_gt_u32_e64 s[0:1], 8, v15
	v_ffbh_u32_e32 v15, v59
	v_mov_b32_e32 v20, v61
	v_min_u32_e32 v61, 32, v15
	v_subrev_u32_e32 v15, 28, v61
	v_lshlrev_b64 v[15:16], v15, v[9:10]
	v_sub_u32_e32 v16, 29, v61
	v_and_b32_e32 v15, 7, v15
	v_cndmask_b32_e64 v16, v60, v16, s[0:1]
	v_mov_b32_e32 v60, v0
	v_cndmask_b32_e64 v15, v59, v15, s[0:1]
	v_lshlrev_b32_e32 v9, 24, v9
	v_bfrev_b32_e32 v0, 60
	v_lshlrev_b32_e32 v15, 20, v15
	v_and_b32_e32 v9, 0x80000000, v9
	v_lshl_add_u32 v16, v16, 23, v0
	v_mov_b32_e32 v61, v20
	v_or3_b32 v59, v9, v16, v15
.LBB314_723:                            ;   in Loop: Header=BB314_376 Depth=1
	s_or_b64 exec, exec, s[20:21]
.LBB314_724:                            ;   in Loop: Header=BB314_376 Depth=1
	s_or_b64 exec, exec, s[18:19]
.LBB314_725:                            ;   in Loop: Header=BB314_376 Depth=1
	s_or_b64 exec, exec, s[16:17]
	v_mul_f32_e32 v9, s31, v34
	v_bfe_u32 v15, v9, 16, 1
	v_add3_u32 v15, v15, v9, s30
	v_or_b32_e32 v16, 0x400000, v9
	v_cmp_u_f32_e64 s[0:1], v9, v9
	v_cndmask_b32_e64 v9, v15, v16, s[0:1]
	v_mul_f32_e32 v15, s31, v33
	v_bfe_u32 v16, v15, 16, 1
	v_add3_u32 v16, v16, v15, s30
	v_or_b32_e32 v33, 0x400000, v15
	v_cmp_u_f32_e64 s[0:1], v15, v15
	v_cndmask_b32_e64 v15, v16, v33, s[0:1]
	;; [unrolled: 6-line block ×4, first 2 shown]
	v_lshrrev_b32_e32 v56, 16, v33
	v_mul_f32_e32 v33, s31, v57
	v_bfe_u32 v34, v33, 16, 1
	v_add3_u32 v34, v34, v33, s30
	v_or_b32_e32 v57, 0x400000, v33
	v_cmp_u_f32_e64 s[0:1], v33, v33
	v_cndmask_b32_e64 v33, v34, v57, s[0:1]
	v_lshrrev_b32_e32 v57, 16, v33
	v_mul_f32_e32 v33, s31, v53
	v_bfe_u32 v34, v33, 16, 1
	v_add3_u32 v34, v34, v33, s30
	v_or_b32_e32 v53, 0x400000, v33
	v_cmp_u_f32_e64 s[0:1], v33, v33
	v_cndmask_b32_e64 v33, v34, v53, s[0:1]
	v_mul_f32_e32 v17, s31, v17
	v_lshrrev_b32_e32 v58, 16, v33
	v_bfe_u32 v33, v17, 16, 1
	v_add3_u32 v33, v33, v17, s30
	v_or_b32_e32 v34, 0x400000, v17
	v_cmp_u_f32_e64 s[0:1], v17, v17
	v_cndmask_b32_e64 v17, v33, v34, s[0:1]
	v_mul_f32_e32 v33, s31, v59
	v_bfe_u32 v34, v33, 16, 1
	v_add3_u32 v34, v34, v33, s30
	v_or_b32_e32 v53, 0x400000, v33
	v_cmp_u_f32_e64 s[0:1], v33, v33
	v_cndmask_b32_e64 v33, v34, v53, s[0:1]
	v_mov_b32_e32 v21, v26
	v_mov_b32_e32 v20, v24
	;; [unrolled: 1-line block ×3, first 2 shown]
	v_lshrrev_b32_e32 v9, 16, v9
	v_lshrrev_b32_e32 v15, 16, v15
	;; [unrolled: 1-line block ×5, first 2 shown]
	s_and_saveexec_b64 s[0:1], vcc
	s_cbranch_execz .LBB314_374
; %bb.726:                              ;   in Loop: Header=BB314_376 Depth=1
	buffer_load_dword v12, off, s[60:63], 0 offset:152 ; 4-byte Folded Reload
	v_cmp_gt_i32_e32 vcc, s33, v45
	v_cndmask_b32_e32 v58, 0, v58, vcc
	v_cmp_gt_i32_e32 vcc, s33, v48
	v_cndmask_b32_e32 v57, 0, v57, vcc
	;; [unrolled: 2-line block ×7, first 2 shown]
	s_waitcnt vmcnt(0)
	v_cmp_gt_i32_e32 vcc, s33, v12
	v_cndmask_b32_e32 v53, 0, v53, vcc
	s_branch .LBB314_374
.LBB314_727:
	s_or_b64 exec, exec, s[6:7]
	buffer_load_dword v14, off, s[60:63], 0 offset:168 ; 4-byte Folded Reload
	buffer_load_dword v15, off, s[60:63], 0 offset:172 ; 4-byte Folded Reload
	;; [unrolled: 1-line block ×5, first 2 shown]
.LBB314_728:
	s_or_b64 exec, exec, s[2:3]
	s_waitcnt vmcnt(0)
	ds_bpermute_b32 v1, v15, v3
	ds_bpermute_b32 v5, v15, v29
	buffer_load_dword v12, off, s[60:63], 0 offset:136 ; 4-byte Folded Reload
	s_waitcnt vmcnt(0) lgkmcnt(0)
	s_barrier
	v_add_f32_e32 v1, v3, v1
	ds_bpermute_b32 v4, v16, v1
	s_waitcnt lgkmcnt(0)
	ds_bpermute_b32 v0, v15, v18
	ds_bpermute_b32 v2, v15, v60
	v_add_f32_e32 v1, v1, v4
	v_add_f32_e32 v4, v29, v5
	ds_bpermute_b32 v5, v15, v62
	ds_bpermute_b32 v7, v16, v4
	s_waitcnt lgkmcnt(3)
	v_add_f32_e32 v0, v18, v0
	ds_bpermute_b32 v3, v16, v0
	s_waitcnt lgkmcnt(3)
	v_add_f32_e32 v2, v60, v2
	s_waitcnt lgkmcnt(2)
	v_add_f32_e32 v10, v62, v5
	;; [unrolled: 2-line block ×3, first 2 shown]
	buffer_load_dword v7, off, s[60:63], 0 offset:260 ; 4-byte Folded Reload
	s_waitcnt lgkmcnt(0)
	v_add_f32_e32 v3, v0, v3
	ds_bpermute_b32 v0, v15, v61
	ds_bpermute_b32 v6, v16, v2
	;; [unrolled: 1-line block ×3, first 2 shown]
	s_waitcnt lgkmcnt(2)
	v_add_f32_e32 v0, v61, v0
	ds_bpermute_b32 v9, v16, v0
	s_waitcnt lgkmcnt(2)
	v_add_f32_e32 v6, v2, v6
	s_waitcnt lgkmcnt(1)
	v_add_f32_e32 v2, v10, v11
	;; [unrolled: 2-line block ×3, first 2 shown]
	ds_bpermute_b32 v8, v15, v12
	s_waitcnt lgkmcnt(0)
	v_add_f32_e32 v8, v12, v8
	ds_bpermute_b32 v12, v16, v8
	s_waitcnt lgkmcnt(0)
	v_add_f32_e32 v0, v8, v12
	s_waitcnt vmcnt(0)
	v_and_b32_e32 v8, 0x3c3, v7
	v_cmp_eq_u32_e32 vcc, 64, v8
	s_and_saveexec_b64 s[0:1], vcc
	s_cbranch_execz .LBB314_730
; %bb.729:
	v_add_u32_e32 v7, 0xf0, v14
	ds_write2_b32 v7, v3, v1 offset1:16
	ds_write2_b32 v7, v6, v5 offset0:32 offset1:48
	ds_write2_b32 v7, v4, v2 offset0:64 offset1:80
	ds_write_b32 v7, v0 offset:384
.LBB314_730:
	s_or_b64 exec, exec, s[0:1]
	buffer_load_dword v7, off, s[60:63], 0 offset:260 ; 4-byte Folded Reload
	s_waitcnt vmcnt(0) lgkmcnt(0)
	s_barrier
	v_cmp_gt_u32_e32 vcc, 64, v7
	v_lshrrev_b32_e32 v7, 2, v7
	s_and_saveexec_b64 s[0:1], vcc
	s_cbranch_execz .LBB314_740
; %bb.731:
	v_mov_b32_e32 v9, 0xf0
	v_cmp_eq_u32_e32 vcc, 0, v17
	v_lshl_add_u32 v9, v7, 2, v9
	s_and_saveexec_b64 s[2:3], vcc
	s_cbranch_execnz .LBB314_743
; %bb.732:
	s_or_b64 exec, exec, s[2:3]
	s_and_saveexec_b64 s[2:3], vcc
	s_cbranch_execnz .LBB314_744
.LBB314_733:
	s_or_b64 exec, exec, s[2:3]
	s_and_saveexec_b64 s[2:3], vcc
	s_cbranch_execnz .LBB314_745
.LBB314_734:
	s_or_b64 exec, exec, s[2:3]
	s_and_saveexec_b64 s[2:3], vcc
	s_cbranch_execnz .LBB314_746
.LBB314_735:
	s_or_b64 exec, exec, s[2:3]
	s_and_saveexec_b64 s[2:3], vcc
	s_cbranch_execnz .LBB314_747
.LBB314_736:
	s_or_b64 exec, exec, s[2:3]
	s_and_saveexec_b64 s[2:3], vcc
	s_cbranch_execnz .LBB314_748
.LBB314_737:
	s_or_b64 exec, exec, s[2:3]
	s_and_saveexec_b64 s[2:3], vcc
	s_cbranch_execz .LBB314_739
.LBB314_738:
	ds_read_b32 v9, v9 offset:384
	s_waitcnt lgkmcnt(0)
	v_add_f32_e32 v0, v0, v9
.LBB314_739:
	s_or_b64 exec, exec, s[2:3]
.LBB314_740:
	s_or_b64 exec, exec, s[0:1]
	v_cmp_eq_u32_e32 vcc, 0, v8
	s_barrier
	s_and_saveexec_b64 s[0:1], vcc
	s_cbranch_execz .LBB314_742
; %bb.741:
	s_mul_i32 s0, s10, s11
	s_mul_i32 s0, s0, s9
	s_mulk_i32 s0, 0x70
	s_ashr_i32 s1, s0, 31
	s_lshl_b64 s[0:1], s[0:1], 1
	s_add_u32 s2, s26, s0
	s_mul_i32 s0, s11, s24
	s_addc_u32 s3, s27, s1
	s_ashr_i32 s1, s0, 31
	s_lshl_b64 s[0:1], s[0:1], 1
	s_add_u32 s2, s2, s0
	s_mul_i32 s0, s8, 0x70
	s_addc_u32 s3, s3, s1
	s_ashr_i32 s1, s0, 31
	s_lshl_b64 s[0:1], s[0:1], 1
	s_add_u32 s0, s2, s0
	v_bfe_u32 v8, v3, 16, 1
	s_movk_i32 s2, 0x7fff
	v_add3_u32 v8, v8, v3, s2
	v_or_b32_e32 v9, 0x400000, v3
	v_cmp_u_f32_e32 vcc, v3, v3
	s_addc_u32 s1, s3, s1
	v_lshlrev_b32_e32 v7, 1, v7
	v_cndmask_b32_e32 v3, v8, v9, vcc
	global_store_short_d16_hi v7, v3, s[0:1]
	v_bfe_u32 v3, v1, 16, 1
	v_add3_u32 v3, v3, v1, s2
	v_or_b32_e32 v8, 0x400000, v1
	v_cmp_u_f32_e32 vcc, v1, v1
	v_cndmask_b32_e32 v1, v3, v8, vcc
	global_store_short_d16_hi v7, v1, s[0:1] offset:32
	v_bfe_u32 v1, v6, 16, 1
	v_add3_u32 v1, v1, v6, s2
	v_or_b32_e32 v3, 0x400000, v6
	v_cmp_u_f32_e32 vcc, v6, v6
	v_cndmask_b32_e32 v1, v1, v3, vcc
	global_store_short_d16_hi v7, v1, s[0:1] offset:64
	v_bfe_u32 v1, v5, 16, 1
	v_add3_u32 v1, v1, v5, s2
	v_or_b32_e32 v3, 0x400000, v5
	v_cmp_u_f32_e32 vcc, v5, v5
	v_cndmask_b32_e32 v1, v1, v3, vcc
	global_store_short_d16_hi v7, v1, s[0:1] offset:96
	v_bfe_u32 v1, v4, 16, 1
	v_add3_u32 v1, v1, v4, s2
	v_or_b32_e32 v3, 0x400000, v4
	v_cmp_u_f32_e32 vcc, v4, v4
	v_cndmask_b32_e32 v1, v1, v3, vcc
	global_store_short_d16_hi v7, v1, s[0:1] offset:128
	v_bfe_u32 v1, v2, 16, 1
	v_add3_u32 v1, v1, v2, s2
	v_or_b32_e32 v3, 0x400000, v2
	v_cmp_u_f32_e32 vcc, v2, v2
	v_cndmask_b32_e32 v1, v1, v3, vcc
	global_store_short_d16_hi v7, v1, s[0:1] offset:160
	v_bfe_u32 v1, v0, 16, 1
	v_add3_u32 v1, v1, v0, s2
	v_or_b32_e32 v2, 0x400000, v0
	v_cmp_u_f32_e32 vcc, v0, v0
	v_cndmask_b32_e32 v0, v1, v2, vcc
	global_store_short_d16_hi v7, v0, s[0:1] offset:192
.LBB314_742:
	s_endpgm
.LBB314_743:
	ds_read_b32 v10, v9
	s_waitcnt lgkmcnt(0)
	v_add_f32_e32 v3, v3, v10
	s_or_b64 exec, exec, s[2:3]
	s_and_saveexec_b64 s[2:3], vcc
	s_cbranch_execz .LBB314_733
.LBB314_744:
	ds_read_b32 v10, v9 offset:64
	s_waitcnt lgkmcnt(0)
	v_add_f32_e32 v1, v1, v10
	s_or_b64 exec, exec, s[2:3]
	s_and_saveexec_b64 s[2:3], vcc
	s_cbranch_execz .LBB314_734
.LBB314_745:
	ds_read_b32 v10, v9 offset:128
	s_waitcnt lgkmcnt(0)
	v_add_f32_e32 v6, v6, v10
	s_or_b64 exec, exec, s[2:3]
	s_and_saveexec_b64 s[2:3], vcc
	s_cbranch_execz .LBB314_735
.LBB314_746:
	ds_read_b32 v10, v9 offset:192
	s_waitcnt lgkmcnt(0)
	v_add_f32_e32 v5, v5, v10
	s_or_b64 exec, exec, s[2:3]
	s_and_saveexec_b64 s[2:3], vcc
	s_cbranch_execz .LBB314_736
.LBB314_747:
	ds_read_b32 v10, v9 offset:256
	s_waitcnt lgkmcnt(0)
	v_add_f32_e32 v4, v4, v10
	s_or_b64 exec, exec, s[2:3]
	s_and_saveexec_b64 s[2:3], vcc
	s_cbranch_execz .LBB314_737
.LBB314_748:
	ds_read_b32 v10, v9 offset:320
	s_waitcnt lgkmcnt(0)
	v_add_f32_e32 v2, v2, v10
	s_or_b64 exec, exec, s[2:3]
	s_and_saveexec_b64 s[2:3], vcc
	s_cbranch_execnz .LBB314_738
	s_branch .LBB314_739
	.section	.rodata,"a",@progbits
	.p2align	6, 0x0
	.amdhsa_kernel _ZN4vllm25paged_attention_v1_kernelI14__hip_bfloat16hLi112ELi32ELi128ELNS_18Fp8KVCacheDataTypeE1ELb1EEEvPT_PKS3_PKT0_S9_ifPKiSB_iPKfiiiSD_SD_iiiii
		.amdhsa_group_segment_fixed_size 240
		.amdhsa_private_segment_fixed_size 304
		.amdhsa_kernarg_size 384
		.amdhsa_user_sgpr_count 6
		.amdhsa_user_sgpr_private_segment_buffer 1
		.amdhsa_user_sgpr_dispatch_ptr 0
		.amdhsa_user_sgpr_queue_ptr 0
		.amdhsa_user_sgpr_kernarg_segment_ptr 1
		.amdhsa_user_sgpr_dispatch_id 0
		.amdhsa_user_sgpr_flat_scratch_init 0
		.amdhsa_user_sgpr_private_segment_size 0
		.amdhsa_uses_dynamic_stack 0
		.amdhsa_system_sgpr_private_segment_wavefront_offset 1
		.amdhsa_system_sgpr_workgroup_id_x 1
		.amdhsa_system_sgpr_workgroup_id_y 1
		.amdhsa_system_sgpr_workgroup_id_z 1
		.amdhsa_system_sgpr_workgroup_info 0
		.amdhsa_system_vgpr_workitem_id 0
		.amdhsa_next_free_vgpr 64
		.amdhsa_next_free_sgpr 64
		.amdhsa_reserve_vcc 1
		.amdhsa_reserve_flat_scratch 0
		.amdhsa_float_round_mode_32 0
		.amdhsa_float_round_mode_16_64 0
		.amdhsa_float_denorm_mode_32 3
		.amdhsa_float_denorm_mode_16_64 3
		.amdhsa_dx10_clamp 1
		.amdhsa_ieee_mode 1
		.amdhsa_fp16_overflow 0
		.amdhsa_exception_fp_ieee_invalid_op 0
		.amdhsa_exception_fp_denorm_src 0
		.amdhsa_exception_fp_ieee_div_zero 0
		.amdhsa_exception_fp_ieee_overflow 0
		.amdhsa_exception_fp_ieee_underflow 0
		.amdhsa_exception_fp_ieee_inexact 0
		.amdhsa_exception_int_div_zero 0
	.end_amdhsa_kernel
	.section	.text._ZN4vllm25paged_attention_v1_kernelI14__hip_bfloat16hLi112ELi32ELi128ELNS_18Fp8KVCacheDataTypeE1ELb1EEEvPT_PKS3_PKT0_S9_ifPKiSB_iPKfiiiSD_SD_iiiii,"axG",@progbits,_ZN4vllm25paged_attention_v1_kernelI14__hip_bfloat16hLi112ELi32ELi128ELNS_18Fp8KVCacheDataTypeE1ELb1EEEvPT_PKS3_PKT0_S9_ifPKiSB_iPKfiiiSD_SD_iiiii,comdat
.Lfunc_end314:
	.size	_ZN4vllm25paged_attention_v1_kernelI14__hip_bfloat16hLi112ELi32ELi128ELNS_18Fp8KVCacheDataTypeE1ELb1EEEvPT_PKS3_PKT0_S9_ifPKiSB_iPKfiiiSD_SD_iiiii, .Lfunc_end314-_ZN4vllm25paged_attention_v1_kernelI14__hip_bfloat16hLi112ELi32ELi128ELNS_18Fp8KVCacheDataTypeE1ELb1EEEvPT_PKS3_PKT0_S9_ifPKiSB_iPKfiiiSD_SD_iiiii
                                        ; -- End function
	.set _ZN4vllm25paged_attention_v1_kernelI14__hip_bfloat16hLi112ELi32ELi128ELNS_18Fp8KVCacheDataTypeE1ELb1EEEvPT_PKS3_PKT0_S9_ifPKiSB_iPKfiiiSD_SD_iiiii.num_vgpr, 64
	.set _ZN4vllm25paged_attention_v1_kernelI14__hip_bfloat16hLi112ELi32ELi128ELNS_18Fp8KVCacheDataTypeE1ELb1EEEvPT_PKS3_PKT0_S9_ifPKiSB_iPKfiiiSD_SD_iiiii.num_agpr, 0
	.set _ZN4vllm25paged_attention_v1_kernelI14__hip_bfloat16hLi112ELi32ELi128ELNS_18Fp8KVCacheDataTypeE1ELb1EEEvPT_PKS3_PKT0_S9_ifPKiSB_iPKfiiiSD_SD_iiiii.numbered_sgpr, 64
	.set _ZN4vllm25paged_attention_v1_kernelI14__hip_bfloat16hLi112ELi32ELi128ELNS_18Fp8KVCacheDataTypeE1ELb1EEEvPT_PKS3_PKT0_S9_ifPKiSB_iPKfiiiSD_SD_iiiii.num_named_barrier, 0
	.set _ZN4vllm25paged_attention_v1_kernelI14__hip_bfloat16hLi112ELi32ELi128ELNS_18Fp8KVCacheDataTypeE1ELb1EEEvPT_PKS3_PKT0_S9_ifPKiSB_iPKfiiiSD_SD_iiiii.private_seg_size, 304
	.set _ZN4vllm25paged_attention_v1_kernelI14__hip_bfloat16hLi112ELi32ELi128ELNS_18Fp8KVCacheDataTypeE1ELb1EEEvPT_PKS3_PKT0_S9_ifPKiSB_iPKfiiiSD_SD_iiiii.uses_vcc, 1
	.set _ZN4vllm25paged_attention_v1_kernelI14__hip_bfloat16hLi112ELi32ELi128ELNS_18Fp8KVCacheDataTypeE1ELb1EEEvPT_PKS3_PKT0_S9_ifPKiSB_iPKfiiiSD_SD_iiiii.uses_flat_scratch, 0
	.set _ZN4vllm25paged_attention_v1_kernelI14__hip_bfloat16hLi112ELi32ELi128ELNS_18Fp8KVCacheDataTypeE1ELb1EEEvPT_PKS3_PKT0_S9_ifPKiSB_iPKfiiiSD_SD_iiiii.has_dyn_sized_stack, 0
	.set _ZN4vllm25paged_attention_v1_kernelI14__hip_bfloat16hLi112ELi32ELi128ELNS_18Fp8KVCacheDataTypeE1ELb1EEEvPT_PKS3_PKT0_S9_ifPKiSB_iPKfiiiSD_SD_iiiii.has_recursion, 0
	.set _ZN4vllm25paged_attention_v1_kernelI14__hip_bfloat16hLi112ELi32ELi128ELNS_18Fp8KVCacheDataTypeE1ELb1EEEvPT_PKS3_PKT0_S9_ifPKiSB_iPKfiiiSD_SD_iiiii.has_indirect_call, 0
	.section	.AMDGPU.csdata,"",@progbits
; Kernel info:
; codeLenInByte = 38556
; TotalNumSgprs: 68
; NumVgprs: 64
; ScratchSize: 304
; MemoryBound: 0
; FloatMode: 240
; IeeeMode: 1
; LDSByteSize: 240 bytes/workgroup (compile time only)
; SGPRBlocks: 8
; VGPRBlocks: 15
; NumSGPRsForWavesPerEU: 68
; NumVGPRsForWavesPerEU: 64
; Occupancy: 4
; WaveLimiterHint : 1
; COMPUTE_PGM_RSRC2:SCRATCH_EN: 1
; COMPUTE_PGM_RSRC2:USER_SGPR: 6
; COMPUTE_PGM_RSRC2:TRAP_HANDLER: 0
; COMPUTE_PGM_RSRC2:TGID_X_EN: 1
; COMPUTE_PGM_RSRC2:TGID_Y_EN: 1
; COMPUTE_PGM_RSRC2:TGID_Z_EN: 1
; COMPUTE_PGM_RSRC2:TIDIG_COMP_CNT: 0
	.section	.text._ZN4vllm25paged_attention_v1_kernelI14__hip_bfloat16hLi120ELi32ELi128ELNS_18Fp8KVCacheDataTypeE1ELb1EEEvPT_PKS3_PKT0_S9_ifPKiSB_iPKfiiiSD_SD_iiiii,"axG",@progbits,_ZN4vllm25paged_attention_v1_kernelI14__hip_bfloat16hLi120ELi32ELi128ELNS_18Fp8KVCacheDataTypeE1ELb1EEEvPT_PKS3_PKT0_S9_ifPKiSB_iPKfiiiSD_SD_iiiii,comdat
	.protected	_ZN4vllm25paged_attention_v1_kernelI14__hip_bfloat16hLi120ELi32ELi128ELNS_18Fp8KVCacheDataTypeE1ELb1EEEvPT_PKS3_PKT0_S9_ifPKiSB_iPKfiiiSD_SD_iiiii ; -- Begin function _ZN4vllm25paged_attention_v1_kernelI14__hip_bfloat16hLi120ELi32ELi128ELNS_18Fp8KVCacheDataTypeE1ELb1EEEvPT_PKS3_PKT0_S9_ifPKiSB_iPKfiiiSD_SD_iiiii
	.globl	_ZN4vllm25paged_attention_v1_kernelI14__hip_bfloat16hLi120ELi32ELi128ELNS_18Fp8KVCacheDataTypeE1ELb1EEEvPT_PKS3_PKT0_S9_ifPKiSB_iPKfiiiSD_SD_iiiii
	.p2align	8
	.type	_ZN4vllm25paged_attention_v1_kernelI14__hip_bfloat16hLi120ELi32ELi128ELNS_18Fp8KVCacheDataTypeE1ELb1EEEvPT_PKS3_PKT0_S9_ifPKiSB_iPKfiiiSD_SD_iiiii,@function
_ZN4vllm25paged_attention_v1_kernelI14__hip_bfloat16hLi120ELi32ELi128ELNS_18Fp8KVCacheDataTypeE1ELb1EEEvPT_PKS3_PKT0_S9_ifPKiSB_iPKfiiiSD_SD_iiiii: ; @_ZN4vllm25paged_attention_v1_kernelI14__hip_bfloat16hLi120ELi32ELi128ELNS_18Fp8KVCacheDataTypeE1ELb1EEEvPT_PKS3_PKT0_S9_ifPKiSB_iPKfiiiSD_SD_iiiii
; %bb.0:
	s_mov_b64 s[62:63], s[2:3]
	s_mov_b64 s[60:61], s[0:1]
	s_add_u32 s60, s60, s9
	s_addc_u32 s61, s61, 0
	buffer_store_dword v0, off, s[60:63], 0 offset:280 ; 4-byte Folded Spill
	s_load_dword s9, s[4:5], 0x80
	s_load_dwordx2 s[0:1], s[4:5], 0x30
	s_load_dwordx2 s[36:37], s[4:5], 0x20
	s_mov_b32 s10, s7
	s_ashr_i32 s11, s7, 31
	s_lshl_b64 s[2:3], s[10:11], 2
	s_waitcnt lgkmcnt(0)
	s_add_u32 s0, s0, s2
	s_addc_u32 s1, s1, s3
	s_abs_i32 s2, s36
	v_cvt_f32_u32_e32 v0, s2
	s_sub_i32 s11, 0, s2
	s_abs_i32 s7, s9
	s_xor_b32 s3, s9, s36
	v_rcp_iflag_f32_e32 v0, v0
	s_ashr_i32 s3, s3, 31
	s_mov_b32 s49, 0
	v_mul_f32_e32 v0, 0x4f7ffffe, v0
	v_cvt_u32_f32_e32 v0, v0
	v_readfirstlane_b32 s12, v0
	s_mul_i32 s11, s11, s12
	s_mul_hi_u32 s11, s12, s11
	s_add_i32 s12, s12, s11
	s_mul_hi_u32 s11, s7, s12
	s_mul_i32 s12, s11, s2
	s_sub_i32 s7, s7, s12
	s_add_i32 s12, s11, 1
	s_sub_i32 s13, s7, s2
	s_cmp_ge_u32 s7, s2
	s_cselect_b32 s11, s12, s11
	s_cselect_b32 s7, s13, s7
	s_add_i32 s12, s11, 1
	s_cmp_ge_u32 s7, s2
	s_cselect_b32 s2, s12, s11
	s_xor_b32 s2, s2, s3
	s_sub_i32 s14, s2, s3
	s_abs_i32 s11, s14
	v_cvt_f32_u32_e32 v0, s11
	s_load_dwordx2 s[2:3], s[4:5], 0x40
	s_sub_i32 s7, 0, s11
	s_abs_i32 s12, s6
	v_rcp_iflag_f32_e32 v0, v0
	v_mul_f32_e32 v0, 0x4f7ffffe, v0
	v_cvt_u32_f32_e32 v0, v0
	v_readfirstlane_b32 s13, v0
	s_mul_i32 s7, s7, s13
	s_mul_hi_u32 s7, s13, s7
	s_add_i32 s13, s13, s7
	s_waitcnt lgkmcnt(0)
	s_cmp_eq_u64 s[2:3], 0
	s_mul_hi_u32 s13, s12, s13
	s_cbranch_scc1 .LBB315_2
; %bb.1:
	s_ashr_i32 s7, s6, 31
	s_lshl_b64 s[16:17], s[6:7], 2
	s_add_u32 s2, s2, s16
	s_addc_u32 s3, s3, s17
	s_load_dword s49, s[2:3], 0x0
.LBB315_2:
	buffer_load_dword v1, off, s[60:63], 0 offset:280 ; 4-byte Folded Reload
	s_load_dword s33, s[0:1], 0x0
	s_load_dwordx4 s[16:19], s[4:5], 0x48
	s_ashr_i32 s2, s6, 31
	s_ashr_i32 s7, s14, 31
	s_movk_i32 s3, 0x78
	s_mul_i32 s24, s6, 0x78
	s_waitcnt vmcnt(0)
	v_and_b32_e32 v0, 1, v1
	v_cmp_gt_u32_e32 vcc, 30, v1
	v_lshlrev_b32_e32 v16, 3, v1
	s_and_saveexec_b64 s[0:1], vcc
	s_cbranch_execz .LBB315_4
; %bb.3:
	s_load_dwordx2 s[14:15], s[4:5], 0x8
	s_waitcnt lgkmcnt(0)
	s_mul_i32 s20, s16, s10
	s_ashr_i32 s21, s20, 31
	s_lshl_b64 s[20:21], s[20:21], 1
	buffer_load_dword v3, off, s[60:63], 0 offset:280 ; 4-byte Folded Reload
	s_add_u32 s16, s14, s20
	s_addc_u32 s19, s15, s21
	s_ashr_i32 s25, s24, 31
	s_lshl_b64 s[14:15], s[24:25], 1
	s_add_u32 s14, s16, s14
	s_addc_u32 s15, s19, s15
	global_load_dwordx2 v[1:2], v16, s[14:15]
	s_waitcnt vmcnt(1)
	v_lshlrev_b32_e32 v3, 2, v3
	v_and_b32_e32 v3, 0xff8, v3
	v_mad_u32_u24 v3, v0, s3, v3
	s_waitcnt vmcnt(0)
	ds_write_b64 v3, v[1:2]
.LBB315_4:
	s_or_b64 exec, exec, s[0:1]
	s_mul_i32 s1, s13, s11
	s_sub_i32 s1, s12, s1
	s_xor_b32 s0, s2, s7
	s_add_i32 s2, s13, 1
	s_sub_i32 s7, s1, s11
	s_load_dwordx4 s[20:23], s[4:5], 0x68
	s_load_dword s3, s[4:5], 0x78
	s_cmp_ge_u32 s1, s11
	s_cselect_b32 s2, s2, s13
	s_cselect_b32 s1, s7, s1
	s_add_i32 s7, s2, 1
	s_cmp_ge_u32 s1, s11
	s_cselect_b32 s1, s7, s2
	s_waitcnt lgkmcnt(0)
	s_abs_i32 s25, s23
	v_cvt_f32_u32_e32 v1, s25
	s_xor_b32 s1, s1, s0
	s_sub_i32 s2, s1, s0
	s_sub_i32 s0, 0, s25
	v_rcp_iflag_f32_e32 v1, v1
	s_add_i32 s11, s33, -1
	s_abs_i32 s7, s11
	v_mul_f32_e32 v1, 0x4f7ffffe, v1
	v_cvt_u32_f32_e32 v1, v1
	s_barrier
	v_readfirstlane_b32 s46, v1
	s_mul_i32 s0, s0, s46
	s_mul_hi_u32 s0, s46, s0
	s_add_i32 s46, s46, s0
	s_cmp_lt_i32 s3, 0
	s_mul_hi_u32 s16, s7, s46
	s_cbranch_scc0 .LBB315_6
; %bb.5:
	s_mul_i32 s0, s20, s36
	s_add_i32 s0, s2, s0
	s_mul_i32 s0, s0, s3
	s_sub_i32 s36, 1, s0
	s_mov_b64 s[0:1], 0
	s_branch .LBB315_7
.LBB315_6:
	s_mov_b64 s[0:1], -1
                                        ; implicit-def: $sgpr36
.LBB315_7:
	s_load_dwordx2 s[28:29], s[4:5], 0x28
	s_ashr_i32 s19, s11, 31
	s_andn2_b64 vcc, exec, s[0:1]
	s_ashr_i32 s47, s23, 31
	s_cbranch_vccnz .LBB315_9
; %bb.8:
	s_mul_i32 s0, s9, s20
	s_add_i32 s0, s0, s6
	s_mul_i32 s0, s0, s3
	s_add_i32 s36, s0, 1
.LBB315_9:
	s_load_dword s0, s[4:5], 0x38
	s_load_dwordx2 s[26:27], s[4:5], 0x0
	s_load_dwordx2 s[34:35], s[4:5], 0x18
	s_load_dword s11, s[4:5], 0x88
	s_load_dwordx4 s[12:15], s[4:5], 0x58
	buffer_load_dword v1, off, s[60:63], 0 offset:280 ; 4-byte Folded Reload
	s_mul_i32 s1, s16, s25
	s_waitcnt lgkmcnt(0)
	s_mul_i32 s30, s0, s10
	s_sub_i32 s1, s7, s1
	s_ashr_i32 s31, s30, 31
	s_xor_b32 s0, s19, s47
	s_add_i32 s3, s16, 1
	s_sub_i32 s6, s1, s25
	s_cmp_ge_u32 s1, s25
	s_cselect_b32 s3, s3, s16
	s_cselect_b32 s1, s6, s1
	s_add_i32 s6, s3, 1
	s_cmp_ge_u32 s1, s25
	s_cselect_b32 s1, s6, s3
	s_xor_b32 s1, s1, s0
	s_sub_i32 s16, s1, s0
	s_add_i32 s0, s33, 31
	s_ashr_i32 s1, s0, 31
	s_lshr_b32 s1, s1, 27
	s_add_i32 s0, s0, s1
	s_ashr_i32 s48, s0, 5
	v_mov_b32_e32 v3, 0xff7fffff
	s_mul_i32 s20, s2, s18
	v_mbcnt_lo_u32_b32 v5, -1, 0
	s_waitcnt vmcnt(0)
	v_lshrrev_b32_e32 v2, 6, v1
	v_cmp_le_i32_e64 s[0:1], s48, v2
	v_cmp_gt_i32_e32 vcc, s48, v2
	v_lshrrev_b32_e32 v17, 4, v1
	v_lshlrev_b32_e32 v1, 5, v2
	buffer_store_dword v2, off, s[60:63], 0 ; 4-byte Folded Spill
	buffer_store_dword v1, off, s[60:63], 0 offset:12 ; 4-byte Folded Spill
	s_and_saveexec_b64 s[18:19], vcc
	s_cbranch_execz .LBB315_381
; %bb.10:
	buffer_load_dword v2, off, s[60:63], 0 offset:280 ; 4-byte Folded Reload
	s_load_dwordx2 s[2:3], s[4:5], 0x10
	s_sub_i32 s23, s16, s21
	s_ashr_i32 s4, s20, 31
	v_cmp_eq_u32_e32 vcc, 0, v0
	v_mul_u32_u24_e32 v36, 0x78, v0
	s_waitcnt lgkmcnt(0)
	s_add_u32 s5, s2, s20
	s_addc_u32 s4, s3, s4
	s_abs_i32 s50, s22
	v_cvt_f32_u32_e32 v1, s50
	s_sub_i32 s2, 0, s50
	v_mov_b32_e32 v4, s4
	buffer_store_dword v16, off, s[60:63], 0 offset:312 ; 4-byte Folded Spill
	v_rcp_iflag_f32_e32 v1, v1
	s_mov_b32 s51, s17
	s_mov_b64 s[38:39], 0
	s_movk_i32 s52, 0x80
	v_mul_f32_e32 v1, 0x4f7ffffe, v1
	v_cvt_u32_f32_e32 v1, v1
	s_movk_i32 s53, 0x7f
	s_mov_b32 s54, 0xffffff
	s_movk_i32 s55, 0x7fff
	v_mov_b32_e32 v45, 0
	s_waitcnt vmcnt(1)
	v_bfe_u32 v6, v2, 1, 5
	v_lshlrev_b32_e32 v2, 2, v0
	v_mul_lo_u32 v0, s2, v1
	v_lshlrev_b32_e32 v3, 4, v6
	v_add_co_u32_e64 v3, s[4:5], s5, v3
	v_mul_hi_u32 v0, v1, v0
	v_addc_co_u32_e64 v4, s[4:5], 0, v4, s[4:5]
	v_cmp_neq_f32_e64 s[2:3], s49, 0
	v_add_u32_e32 v0, v1, v0
	buffer_store_dword v0, off, s[60:63], 0 offset:76 ; 4-byte Folded Spill
	v_add_co_u32_e64 v0, s[4:5], v3, v2
	v_addc_co_u32_e64 v1, s[4:5], 0, v4, s[4:5]
	buffer_store_dword v0, off, s[60:63], 0 offset:292 ; 4-byte Folded Spill
	s_nop 0
	buffer_store_dword v1, off, s[60:63], 0 offset:296 ; 4-byte Folded Spill
	buffer_store_dword v17, off, s[60:63], 0 offset:316 ; 4-byte Folded Spill
	buffer_load_dword v48, off, s[60:63], 0 ; 4-byte Folded Reload
	s_lshl_b64 s[4:5], s[30:31], 2
	s_add_u32 s4, s28, s4
	v_and_b32_e32 v0, 60, v17
	s_addc_u32 s5, s29, s5
	v_mov_b32_e32 v1, s5
	v_add_co_u32_e64 v27, s[4:5], s4, v0
	v_subrev_u32_e32 v0, s33, v6
	v_add_u32_e32 v0, 1, v0
	buffer_store_dword v0, off, s[60:63], 0 offset:308 ; 4-byte Folded Spill
	buffer_store_dword v6, off, s[60:63], 0 offset:304 ; 4-byte Folded Spill
	v_lshlrev_b32_e32 v0, 2, v6
	v_addc_co_u32_e64 v28, s[4:5], 0, v1, s[4:5]
	s_waitcnt vmcnt(2)
	v_lshl_or_b32 v0, v48, 7, v0
	v_add_u32_e32 v0, 0x100, v0
	buffer_store_dword v0, off, s[60:63], 0 offset:4 ; 4-byte Folded Spill
	v_mbcnt_hi_u32_b32 v0, -1, v5
	v_lshlrev_b32_e32 v42, 5, v48
	buffer_store_dword v0, off, s[60:63], 0 offset:300 ; 4-byte Folded Spill
	v_mov_b32_e32 v0, 0xff7fffff
	buffer_store_dword v0, off, s[60:63], 0 offset:284 ; 4-byte Folded Spill
	buffer_store_dword v36, off, s[60:63], 0 offset:288 ; 4-byte Folded Spill
	s_branch .LBB315_13
.LBB315_11:                             ;   in Loop: Header=BB315_13 Depth=1
	s_or_b64 exec, exec, s[6:7]
.LBB315_12:                             ;   in Loop: Header=BB315_13 Depth=1
	s_or_b64 exec, exec, s[40:41]
	buffer_load_dword v48, off, s[60:63], 0 offset:8 ; 4-byte Folded Reload
	buffer_load_dword v0, off, s[60:63], 0 offset:4 ; 4-byte Folded Reload
	v_add_co_u32_e64 v27, s[4:5], 8, v27
	v_addc_co_u32_e64 v28, s[4:5], 0, v28, s[4:5]
	v_add_u32_e32 v42, 64, v42
	s_waitcnt vmcnt(1)
	v_add_u32_e32 v48, 2, v48
	v_cmp_le_i32_e64 s[4:5], s48, v48
	s_or_b64 s[38:39], s[4:5], s[38:39]
	s_waitcnt vmcnt(0)
	v_add_u32_e32 v0, 0x100, v0
	buffer_store_dword v0, off, s[60:63], 0 offset:4 ; 4-byte Folded Spill
	s_andn2_b64 exec, exec, s[38:39]
	s_cbranch_execz .LBB315_380
.LBB315_13:                             ; =>This Inner Loop Header: Depth=1
	buffer_load_dword v3, off, s[60:63], 0 offset:76 ; 4-byte Folded Reload
	v_mul_hi_u32 v0, v42, s46
	buffer_store_dword v48, off, s[60:63], 0 offset:8 ; 4-byte Folded Spill
	s_waitcnt lgkmcnt(0)
	v_mul_lo_u32 v1, v0, s25
	v_add_u32_e32 v2, 1, v0
	v_sub_u32_e32 v1, v42, v1
	v_cmp_le_u32_e64 s[4:5], s25, v1
	v_cndmask_b32_e64 v0, v0, v2, s[4:5]
	v_subrev_u32_e32 v2, s25, v1
	v_cndmask_b32_e64 v1, v1, v2, s[4:5]
	v_add_u32_e32 v2, 1, v0
	v_cmp_le_u32_e64 s[4:5], s25, v1
	v_cndmask_b32_e64 v0, v0, v2, s[4:5]
	v_xor_b32_e32 v0, s47, v0
	v_subrev_u32_e32 v0, s47, v0
	v_add_u32_e32 v1, s36, v0
	v_sub_u32_e32 v2, 0, v1
	v_max_i32_e32 v2, v1, v2
	v_ashrrev_i32_e32 v1, 31, v1
	v_cmp_ge_i32_e64 s[6:7], s23, v0
	s_waitcnt vmcnt(1)
	v_mul_hi_u32 v3, v2, v3
	v_mul_lo_u32 v3, v3, s50
	v_sub_u32_e32 v2, v2, v3
	v_subrev_u32_e32 v3, s50, v2
	v_cmp_le_u32_e64 s[4:5], s50, v2
	v_cndmask_b32_e64 v2, v2, v3, s[4:5]
	v_subrev_u32_e32 v3, s50, v2
	v_cmp_le_u32_e64 s[4:5], s50, v2
	v_cndmask_b32_e64 v2, v2, v3, s[4:5]
	v_xor_b32_e32 v2, v2, v1
	v_sub_u32_e32 v1, v2, v1
	v_cmp_ne_u32_e64 s[4:5], 0, v1
	s_and_b64 s[4:5], s[4:5], s[6:7]
	s_and_saveexec_b64 s[6:7], s[4:5]
	s_xor_b64 s[4:5], exec, s[6:7]
	s_cbranch_execz .LBB315_17
; %bb.14:                               ;   in Loop: Header=BB315_13 Depth=1
	s_and_saveexec_b64 s[6:7], vcc
	s_cbranch_execz .LBB315_16
; %bb.15:                               ;   in Loop: Header=BB315_13 Depth=1
	buffer_load_dword v1, off, s[60:63], 0 offset:4 ; 4-byte Folded Reload
	v_mov_b32_e32 v0, 0xff7fffff
	s_waitcnt vmcnt(0)
	ds_write_b32 v1, v0
.LBB315_16:                             ;   in Loop: Header=BB315_13 Depth=1
	s_or_b64 exec, exec, s[6:7]
.LBB315_17:                             ;   in Loop: Header=BB315_13 Depth=1
	s_andn2_saveexec_b64 s[40:41], s[4:5]
	s_cbranch_execz .LBB315_12
; %bb.18:                               ;   in Loop: Header=BB315_13 Depth=1
	global_load_dword v0, v[27:28], off
	buffer_load_dword v1, off, s[60:63], 0 offset:292 ; 4-byte Folded Reload
	buffer_load_dword v2, off, s[60:63], 0 offset:296 ; 4-byte Folded Reload
	s_waitcnt vmcnt(0)
	v_mad_i64_i32 v[29:30], s[4:5], v0, s51, v[1:2]
	global_load_dword v31, v[29:30], off
	ds_read2_b64 v[59:62], v36 offset1:1
	ds_read2_b64 v[55:58], v36 offset0:2 offset1:3
	ds_read_b32 v0, v36 offset:96
	s_load_dword s56, s[12:13], 0x0
	s_waitcnt lgkmcnt(0)
	buffer_store_dword v0, off, s[60:63], 0 offset:80 ; 4-byte Folded Spill
	ds_read_u16 v0, v36 offset:100
	s_waitcnt lgkmcnt(0)
	buffer_store_dword v0, off, s[60:63], 0 offset:84 ; 4-byte Folded Spill
	ds_read2_b64 v[51:54], v36 offset0:4 offset1:5
	ds_read2_b64 v[0:3], v36 offset0:6 offset1:7
	s_waitcnt lgkmcnt(0)
	buffer_store_dword v0, off, s[60:63], 0 offset:120 ; 4-byte Folded Spill
	s_nop 0
	buffer_store_dword v1, off, s[60:63], 0 offset:124 ; 4-byte Folded Spill
	buffer_store_dword v2, off, s[60:63], 0 offset:128 ; 4-byte Folded Spill
	;; [unrolled: 1-line block ×3, first 2 shown]
	ds_read2_b64 v[3:6], v36 offset0:8 offset1:9
	v_mov_b32_e32 v2, 0
	s_waitcnt lgkmcnt(0)
	buffer_store_dword v3, off, s[60:63], 0 offset:104 ; 4-byte Folded Spill
	s_nop 0
	buffer_store_dword v4, off, s[60:63], 0 offset:108 ; 4-byte Folded Spill
	buffer_store_dword v5, off, s[60:63], 0 offset:112 ; 4-byte Folded Spill
	;; [unrolled: 1-line block ×3, first 2 shown]
	ds_read2_b64 v[3:6], v36 offset0:10 offset1:11
	s_waitcnt lgkmcnt(0)
	buffer_store_dword v3, off, s[60:63], 0 offset:88 ; 4-byte Folded Spill
	s_nop 0
	buffer_store_dword v4, off, s[60:63], 0 offset:92 ; 4-byte Folded Spill
	buffer_store_dword v5, off, s[60:63], 0 offset:96 ; 4-byte Folded Spill
	;; [unrolled: 1-line block ×3, first 2 shown]
	v_mov_b32_e32 v3, 0
	s_waitcnt vmcnt(14)
	v_cmp_ne_u16_sdwa s[4:5], v31, v45 src0_sel:BYTE_0 src1_sel:DWORD
	s_and_saveexec_b64 s[6:7], s[4:5]
	s_cbranch_execz .LBB315_24
; %bb.19:                               ;   in Loop: Header=BB315_13 Depth=1
	v_cmp_ne_u16_sdwa s[4:5], v31, s52 src0_sel:BYTE_0 src1_sel:DWORD
	v_bfrev_b32_e32 v3, 1
	s_and_saveexec_b64 s[42:43], s[4:5]
	s_cbranch_execz .LBB315_23
; %bb.20:                               ;   in Loop: Header=BB315_13 Depth=1
	v_and_b32_e32 v0, 0x7f, v31
	v_cmp_ne_u32_e64 s[4:5], s53, v0
	v_mov_b32_e32 v3, 0x7f800001
	s_and_saveexec_b64 s[44:45], s[4:5]
	s_cbranch_execz .LBB315_22
; %bb.21:                               ;   in Loop: Header=BB315_13 Depth=1
	v_and_b32_e32 v32, 7, v31
	v_ffbh_u32_e32 v25, v32
	v_min_u32_e32 v34, 32, v25
	v_subrev_u32_e32 v25, 28, v34
	v_lshlrev_b64 v[25:26], v25, v[31:32]
	v_lshrrev_b32_e32 v33, 3, v0
	v_sub_u32_e32 v26, 29, v34
	v_and_b32_e32 v25, 7, v25
	v_cmp_gt_u32_e64 s[4:5], 8, v0
	v_cndmask_b32_e64 v0, v33, v26, s[4:5]
	v_cndmask_b32_e64 v25, v32, v25, s[4:5]
	v_lshlrev_b32_e32 v26, 24, v31
	v_bfrev_b32_e32 v1, 60
	v_lshlrev_b32_e32 v25, 20, v25
	v_and_b32_e32 v26, 0x80000000, v26
	v_lshl_add_u32 v0, v0, 23, v1
	v_or3_b32 v3, v26, v0, v25
.LBB315_22:                             ;   in Loop: Header=BB315_13 Depth=1
	s_or_b64 exec, exec, s[44:45]
.LBB315_23:                             ;   in Loop: Header=BB315_13 Depth=1
	s_or_b64 exec, exec, s[42:43]
.LBB315_24:                             ;   in Loop: Header=BB315_13 Depth=1
	s_or_b64 exec, exec, s[6:7]
	v_lshrrev_b16_e32 v32, 8, v31
	v_cmp_ne_u16_e64 s[4:5], 0, v32
	s_and_saveexec_b64 s[6:7], s[4:5]
	s_cbranch_execz .LBB315_30
; %bb.25:                               ;   in Loop: Header=BB315_13 Depth=1
	v_cmp_ne_u16_e64 s[4:5], s52, v32
	v_bfrev_b32_e32 v2, 1
	s_and_saveexec_b64 s[42:43], s[4:5]
	s_cbranch_execz .LBB315_29
; %bb.26:                               ;   in Loop: Header=BB315_13 Depth=1
	v_and_b32_e32 v0, 0x7f, v32
	v_cmp_ne_u32_e64 s[4:5], s53, v0
	v_mov_b32_e32 v2, 0x7f800001
	s_and_saveexec_b64 s[44:45], s[4:5]
	s_cbranch_execz .LBB315_28
; %bb.27:                               ;   in Loop: Header=BB315_13 Depth=1
	v_and_b32_e32 v33, 7, v32
	v_ffbh_u32_e32 v25, v33
	v_min_u32_e32 v35, 32, v25
	v_subrev_u32_e32 v25, 28, v35
	v_lshlrev_b64 v[25:26], v25, v[32:33]
	v_lshrrev_b32_e32 v34, 3, v0
	v_sub_u32_e32 v26, 29, v35
	v_and_b32_e32 v25, 7, v25
	v_cmp_gt_u32_e64 s[4:5], 8, v0
	v_cndmask_b32_e64 v0, v34, v26, s[4:5]
	v_cndmask_b32_e64 v25, v33, v25, s[4:5]
	v_lshlrev_b32_e32 v26, 16, v31
	v_bfrev_b32_e32 v1, 60
	v_lshlrev_b32_e32 v25, 20, v25
	v_and_b32_e32 v26, 0x80000000, v26
	v_lshl_add_u32 v0, v0, 23, v1
	v_or3_b32 v2, v26, v0, v25
.LBB315_28:                             ;   in Loop: Header=BB315_13 Depth=1
	s_or_b64 exec, exec, s[44:45]
.LBB315_29:                             ;   in Loop: Header=BB315_13 Depth=1
	s_or_b64 exec, exec, s[42:43]
.LBB315_30:                             ;   in Loop: Header=BB315_13 Depth=1
	s_or_b64 exec, exec, s[6:7]
	v_lshrrev_b32_e32 v32, 16, v31
	v_cmp_ne_u16_sdwa s[4:5], v32, v45 src0_sel:BYTE_0 src1_sel:DWORD
	v_mov_b32_e32 v4, 0
	v_mov_b32_e32 v6, 0
	s_and_saveexec_b64 s[6:7], s[4:5]
	s_cbranch_execz .LBB315_36
; %bb.31:                               ;   in Loop: Header=BB315_13 Depth=1
	v_cmp_ne_u16_sdwa s[4:5], v32, s52 src0_sel:BYTE_0 src1_sel:DWORD
	v_bfrev_b32_e32 v6, 1
	s_and_saveexec_b64 s[42:43], s[4:5]
	s_cbranch_execz .LBB315_35
; %bb.32:                               ;   in Loop: Header=BB315_13 Depth=1
	v_bfe_u32 v0, v31, 16, 7
	v_cmp_ne_u32_e64 s[4:5], s53, v0
	v_mov_b32_e32 v6, 0x7f800001
	s_and_saveexec_b64 s[44:45], s[4:5]
	s_cbranch_execz .LBB315_34
; %bb.33:                               ;   in Loop: Header=BB315_13 Depth=1
	v_and_b32_e32 v33, 7, v32
	v_ffbh_u32_e32 v25, v33
	v_min_u32_e32 v35, 32, v25
	v_subrev_u32_e32 v25, 28, v35
	v_lshlrev_b64 v[25:26], v25, v[32:33]
	v_lshrrev_b32_e32 v34, 3, v0
	v_sub_u32_e32 v26, 29, v35
	v_and_b32_e32 v25, 7, v25
	v_cmp_gt_u32_e64 s[4:5], 8, v0
	v_cndmask_b32_e64 v0, v34, v26, s[4:5]
	v_cndmask_b32_e64 v25, v33, v25, s[4:5]
	v_lshlrev_b32_e32 v26, 24, v32
	v_bfrev_b32_e32 v1, 60
	v_lshlrev_b32_e32 v25, 20, v25
	v_and_b32_e32 v26, 0x80000000, v26
	v_lshl_add_u32 v0, v0, 23, v1
	v_or3_b32 v6, v26, v0, v25
.LBB315_34:                             ;   in Loop: Header=BB315_13 Depth=1
	s_or_b64 exec, exec, s[44:45]
.LBB315_35:                             ;   in Loop: Header=BB315_13 Depth=1
	s_or_b64 exec, exec, s[42:43]
.LBB315_36:                             ;   in Loop: Header=BB315_13 Depth=1
	s_or_b64 exec, exec, s[6:7]
	v_cmp_lt_u32_e64 s[4:5], s54, v31
	s_and_saveexec_b64 s[6:7], s[4:5]
	s_cbranch_execz .LBB315_42
; %bb.37:                               ;   in Loop: Header=BB315_13 Depth=1
	v_lshrrev_b32_e32 v32, 24, v31
	v_cmp_ne_u32_e64 s[4:5], s52, v32
	v_bfrev_b32_e32 v4, 1
	s_and_saveexec_b64 s[42:43], s[4:5]
	s_cbranch_execz .LBB315_41
; %bb.38:                               ;   in Loop: Header=BB315_13 Depth=1
	v_bfe_u32 v0, v31, 24, 7
	v_cmp_ne_u32_e64 s[4:5], s53, v0
	v_mov_b32_e32 v4, 0x7f800001
	s_and_saveexec_b64 s[44:45], s[4:5]
	s_cbranch_execz .LBB315_40
; %bb.39:                               ;   in Loop: Header=BB315_13 Depth=1
	v_and_b32_e32 v31, 7, v32
	v_ffbh_u32_e32 v25, v31
	v_min_u32_e32 v34, 32, v25
	v_lshrrev_b32_e32 v33, 3, v0
	v_subrev_u32_e32 v25, 28, v34
	v_lshlrev_b64 v[25:26], v25, v[32:33]
	v_sub_u32_e32 v26, 29, v34
	v_and_b32_e32 v25, 7, v25
	v_cmp_gt_u32_e64 s[4:5], 8, v0
	v_cndmask_b32_e64 v0, v33, v26, s[4:5]
	v_cndmask_b32_e64 v25, v31, v25, s[4:5]
	v_lshlrev_b32_e32 v26, 24, v32
	v_bfrev_b32_e32 v1, 60
	v_lshlrev_b32_e32 v25, 20, v25
	v_and_b32_e32 v26, 0x80000000, v26
	v_lshl_add_u32 v0, v0, 23, v1
	v_or3_b32 v4, v26, v0, v25
.LBB315_40:                             ;   in Loop: Header=BB315_13 Depth=1
	s_or_b64 exec, exec, s[44:45]
.LBB315_41:                             ;   in Loop: Header=BB315_13 Depth=1
	s_or_b64 exec, exec, s[42:43]
.LBB315_42:                             ;   in Loop: Header=BB315_13 Depth=1
	s_or_b64 exec, exec, s[6:7]
	global_load_dword v31, v[29:30], off offset:8
	v_mov_b32_e32 v11, 0
	v_mov_b32_e32 v49, 0
	s_waitcnt vmcnt(0)
	v_cmp_ne_u16_sdwa s[4:5], v31, v45 src0_sel:BYTE_0 src1_sel:DWORD
	s_and_saveexec_b64 s[6:7], s[4:5]
	s_cbranch_execz .LBB315_48
; %bb.43:                               ;   in Loop: Header=BB315_13 Depth=1
	v_cmp_ne_u16_sdwa s[4:5], v31, s52 src0_sel:BYTE_0 src1_sel:DWORD
	v_bfrev_b32_e32 v49, 1
	s_and_saveexec_b64 s[42:43], s[4:5]
	s_cbranch_execz .LBB315_47
; %bb.44:                               ;   in Loop: Header=BB315_13 Depth=1
	v_and_b32_e32 v0, 0x7f, v31
	v_cmp_ne_u32_e64 s[4:5], s53, v0
	v_mov_b32_e32 v49, 0x7f800001
	s_and_saveexec_b64 s[44:45], s[4:5]
	s_cbranch_execz .LBB315_46
; %bb.45:                               ;   in Loop: Header=BB315_13 Depth=1
	v_and_b32_e32 v32, 7, v31
	v_ffbh_u32_e32 v25, v32
	v_min_u32_e32 v34, 32, v25
	v_subrev_u32_e32 v25, 28, v34
	v_lshlrev_b64 v[25:26], v25, v[31:32]
	v_lshrrev_b32_e32 v33, 3, v0
	v_sub_u32_e32 v26, 29, v34
	v_and_b32_e32 v25, 7, v25
	v_cmp_gt_u32_e64 s[4:5], 8, v0
	v_cndmask_b32_e64 v0, v33, v26, s[4:5]
	v_cndmask_b32_e64 v25, v32, v25, s[4:5]
	v_lshlrev_b32_e32 v26, 24, v31
	v_bfrev_b32_e32 v1, 60
	v_lshlrev_b32_e32 v25, 20, v25
	v_and_b32_e32 v26, 0x80000000, v26
	v_lshl_add_u32 v0, v0, 23, v1
	v_or3_b32 v49, v26, v0, v25
.LBB315_46:                             ;   in Loop: Header=BB315_13 Depth=1
	s_or_b64 exec, exec, s[44:45]
.LBB315_47:                             ;   in Loop: Header=BB315_13 Depth=1
	s_or_b64 exec, exec, s[42:43]
.LBB315_48:                             ;   in Loop: Header=BB315_13 Depth=1
	s_or_b64 exec, exec, s[6:7]
	v_lshrrev_b16_e32 v32, 8, v31
	v_cmp_ne_u16_e64 s[4:5], 0, v32
	s_and_saveexec_b64 s[6:7], s[4:5]
	s_cbranch_execz .LBB315_54
; %bb.49:                               ;   in Loop: Header=BB315_13 Depth=1
	v_cmp_ne_u16_e64 s[4:5], s52, v32
	v_bfrev_b32_e32 v11, 1
	s_and_saveexec_b64 s[42:43], s[4:5]
	s_cbranch_execz .LBB315_53
; %bb.50:                               ;   in Loop: Header=BB315_13 Depth=1
	v_and_b32_e32 v0, 0x7f, v32
	v_cmp_ne_u32_e64 s[4:5], s53, v0
	v_mov_b32_e32 v11, 0x7f800001
	s_and_saveexec_b64 s[44:45], s[4:5]
	s_cbranch_execz .LBB315_52
; %bb.51:                               ;   in Loop: Header=BB315_13 Depth=1
	v_and_b32_e32 v33, 7, v32
	v_ffbh_u32_e32 v25, v33
	v_min_u32_e32 v35, 32, v25
	v_subrev_u32_e32 v25, 28, v35
	v_lshlrev_b64 v[25:26], v25, v[32:33]
	v_lshrrev_b32_e32 v34, 3, v0
	v_sub_u32_e32 v26, 29, v35
	v_and_b32_e32 v25, 7, v25
	v_cmp_gt_u32_e64 s[4:5], 8, v0
	v_cndmask_b32_e64 v0, v34, v26, s[4:5]
	v_cndmask_b32_e64 v25, v33, v25, s[4:5]
	v_lshlrev_b32_e32 v26, 16, v31
	v_bfrev_b32_e32 v1, 60
	v_lshlrev_b32_e32 v25, 20, v25
	v_and_b32_e32 v26, 0x80000000, v26
	v_lshl_add_u32 v0, v0, 23, v1
	v_or3_b32 v11, v26, v0, v25
.LBB315_52:                             ;   in Loop: Header=BB315_13 Depth=1
	s_or_b64 exec, exec, s[44:45]
.LBB315_53:                             ;   in Loop: Header=BB315_13 Depth=1
	s_or_b64 exec, exec, s[42:43]
.LBB315_54:                             ;   in Loop: Header=BB315_13 Depth=1
	s_or_b64 exec, exec, s[6:7]
	v_lshrrev_b32_e32 v32, 16, v31
	v_cmp_ne_u16_sdwa s[4:5], v32, v45 src0_sel:BYTE_0 src1_sel:DWORD
	v_mov_b32_e32 v12, 0
	v_mov_b32_e32 v13, 0
	s_and_saveexec_b64 s[6:7], s[4:5]
	s_cbranch_execz .LBB315_60
; %bb.55:                               ;   in Loop: Header=BB315_13 Depth=1
	v_cmp_ne_u16_sdwa s[4:5], v32, s52 src0_sel:BYTE_0 src1_sel:DWORD
	v_bfrev_b32_e32 v13, 1
	s_and_saveexec_b64 s[42:43], s[4:5]
	s_cbranch_execz .LBB315_59
; %bb.56:                               ;   in Loop: Header=BB315_13 Depth=1
	v_bfe_u32 v0, v31, 16, 7
	v_cmp_ne_u32_e64 s[4:5], s53, v0
	v_mov_b32_e32 v13, 0x7f800001
	s_and_saveexec_b64 s[44:45], s[4:5]
	s_cbranch_execz .LBB315_58
; %bb.57:                               ;   in Loop: Header=BB315_13 Depth=1
	v_and_b32_e32 v33, 7, v32
	v_lshrrev_b32_e32 v34, 3, v0
	v_cmp_gt_u32_e64 s[4:5], 8, v0
	v_ffbh_u32_e32 v0, v33
	v_min_u32_e32 v0, 32, v0
	v_subrev_u32_e32 v25, 28, v0
	v_lshlrev_b64 v[25:26], v25, v[32:33]
	v_sub_u32_e32 v0, 29, v0
	v_and_b32_e32 v25, 7, v25
	v_cndmask_b32_e64 v0, v34, v0, s[4:5]
	v_cndmask_b32_e64 v25, v33, v25, s[4:5]
	v_lshlrev_b32_e32 v26, 24, v32
	v_bfrev_b32_e32 v1, 60
	v_lshlrev_b32_e32 v25, 20, v25
	v_and_b32_e32 v26, 0x80000000, v26
	v_lshl_add_u32 v0, v0, 23, v1
	v_or3_b32 v13, v26, v0, v25
.LBB315_58:                             ;   in Loop: Header=BB315_13 Depth=1
	s_or_b64 exec, exec, s[44:45]
.LBB315_59:                             ;   in Loop: Header=BB315_13 Depth=1
	s_or_b64 exec, exec, s[42:43]
.LBB315_60:                             ;   in Loop: Header=BB315_13 Depth=1
	s_or_b64 exec, exec, s[6:7]
	v_cmp_lt_u32_e64 s[4:5], s54, v31
	s_and_saveexec_b64 s[6:7], s[4:5]
	s_cbranch_execz .LBB315_66
; %bb.61:                               ;   in Loop: Header=BB315_13 Depth=1
	v_lshrrev_b32_e32 v32, 24, v31
	v_cmp_ne_u32_e64 s[4:5], s52, v32
	v_bfrev_b32_e32 v12, 1
	s_and_saveexec_b64 s[42:43], s[4:5]
	s_cbranch_execz .LBB315_65
; %bb.62:                               ;   in Loop: Header=BB315_13 Depth=1
	v_bfe_u32 v0, v31, 24, 7
	v_cmp_ne_u32_e64 s[4:5], s53, v0
	v_mov_b32_e32 v12, 0x7f800001
	s_and_saveexec_b64 s[44:45], s[4:5]
	s_cbranch_execz .LBB315_64
; %bb.63:                               ;   in Loop: Header=BB315_13 Depth=1
	v_and_b32_e32 v31, 7, v32
	v_lshrrev_b32_e32 v33, 3, v0
	v_cmp_gt_u32_e64 s[4:5], 8, v0
	v_ffbh_u32_e32 v0, v31
	v_min_u32_e32 v0, 32, v0
	v_subrev_u32_e32 v25, 28, v0
	v_lshlrev_b64 v[25:26], v25, v[32:33]
	v_sub_u32_e32 v0, 29, v0
	v_and_b32_e32 v25, 7, v25
	v_cndmask_b32_e64 v0, v33, v0, s[4:5]
	v_cndmask_b32_e64 v25, v31, v25, s[4:5]
	v_lshlrev_b32_e32 v26, 24, v32
	v_bfrev_b32_e32 v1, 60
	v_lshlrev_b32_e32 v25, 20, v25
	v_and_b32_e32 v26, 0x80000000, v26
	v_lshl_add_u32 v0, v0, 23, v1
	v_or3_b32 v12, v26, v0, v25
.LBB315_64:                             ;   in Loop: Header=BB315_13 Depth=1
	s_or_b64 exec, exec, s[44:45]
.LBB315_65:                             ;   in Loop: Header=BB315_13 Depth=1
	s_or_b64 exec, exec, s[42:43]
.LBB315_66:                             ;   in Loop: Header=BB315_13 Depth=1
	s_or_b64 exec, exec, s[6:7]
	global_load_dword v31, v[29:30], off offset:512
	v_mov_b32_e32 v14, 0
	v_mov_b32_e32 v15, 0
	s_waitcnt vmcnt(0)
	v_cmp_ne_u16_sdwa s[4:5], v31, v45 src0_sel:BYTE_0 src1_sel:DWORD
	s_and_saveexec_b64 s[6:7], s[4:5]
	s_cbranch_execz .LBB315_72
; %bb.67:                               ;   in Loop: Header=BB315_13 Depth=1
	v_cmp_ne_u16_sdwa s[4:5], v31, s52 src0_sel:BYTE_0 src1_sel:DWORD
	v_bfrev_b32_e32 v15, 1
	s_and_saveexec_b64 s[42:43], s[4:5]
	s_cbranch_execz .LBB315_71
; %bb.68:                               ;   in Loop: Header=BB315_13 Depth=1
	v_and_b32_e32 v0, 0x7f, v31
	v_cmp_ne_u32_e64 s[4:5], s53, v0
	v_mov_b32_e32 v15, 0x7f800001
	s_and_saveexec_b64 s[44:45], s[4:5]
	s_cbranch_execz .LBB315_70
; %bb.69:                               ;   in Loop: Header=BB315_13 Depth=1
	v_and_b32_e32 v32, 7, v31
	v_lshrrev_b32_e32 v33, 3, v0
	v_cmp_gt_u32_e64 s[4:5], 8, v0
	v_ffbh_u32_e32 v0, v32
	v_min_u32_e32 v0, 32, v0
	v_subrev_u32_e32 v25, 28, v0
	v_lshlrev_b64 v[25:26], v25, v[31:32]
	v_sub_u32_e32 v0, 29, v0
	v_and_b32_e32 v25, 7, v25
	v_cndmask_b32_e64 v0, v33, v0, s[4:5]
	v_cndmask_b32_e64 v25, v32, v25, s[4:5]
	v_lshlrev_b32_e32 v26, 24, v31
	v_bfrev_b32_e32 v1, 60
	v_lshlrev_b32_e32 v25, 20, v25
	v_and_b32_e32 v26, 0x80000000, v26
	v_lshl_add_u32 v0, v0, 23, v1
	v_or3_b32 v15, v26, v0, v25
.LBB315_70:                             ;   in Loop: Header=BB315_13 Depth=1
	s_or_b64 exec, exec, s[44:45]
.LBB315_71:                             ;   in Loop: Header=BB315_13 Depth=1
	s_or_b64 exec, exec, s[42:43]
.LBB315_72:                             ;   in Loop: Header=BB315_13 Depth=1
	s_or_b64 exec, exec, s[6:7]
	v_lshrrev_b16_e32 v32, 8, v31
	v_cmp_ne_u16_e64 s[4:5], 0, v32
	s_and_saveexec_b64 s[6:7], s[4:5]
	s_cbranch_execz .LBB315_78
; %bb.73:                               ;   in Loop: Header=BB315_13 Depth=1
	v_cmp_ne_u16_e64 s[4:5], s52, v32
	v_bfrev_b32_e32 v14, 1
	s_and_saveexec_b64 s[42:43], s[4:5]
	s_cbranch_execz .LBB315_77
; %bb.74:                               ;   in Loop: Header=BB315_13 Depth=1
	v_and_b32_e32 v0, 0x7f, v32
	v_cmp_ne_u32_e64 s[4:5], s53, v0
	v_mov_b32_e32 v14, 0x7f800001
	s_and_saveexec_b64 s[44:45], s[4:5]
	s_cbranch_execz .LBB315_76
; %bb.75:                               ;   in Loop: Header=BB315_13 Depth=1
	v_and_b32_e32 v33, 7, v32
	v_lshrrev_b32_e32 v34, 3, v0
	v_cmp_gt_u32_e64 s[4:5], 8, v0
	v_ffbh_u32_e32 v0, v33
	v_min_u32_e32 v0, 32, v0
	v_subrev_u32_e32 v25, 28, v0
	v_lshlrev_b64 v[25:26], v25, v[32:33]
	v_sub_u32_e32 v0, 29, v0
	v_and_b32_e32 v25, 7, v25
	v_cndmask_b32_e64 v0, v34, v0, s[4:5]
	v_cndmask_b32_e64 v25, v33, v25, s[4:5]
	v_lshlrev_b32_e32 v26, 16, v31
	v_bfrev_b32_e32 v1, 60
	v_lshlrev_b32_e32 v25, 20, v25
	v_and_b32_e32 v26, 0x80000000, v26
	v_lshl_add_u32 v0, v0, 23, v1
	v_or3_b32 v14, v26, v0, v25
.LBB315_76:                             ;   in Loop: Header=BB315_13 Depth=1
	s_or_b64 exec, exec, s[44:45]
.LBB315_77:                             ;   in Loop: Header=BB315_13 Depth=1
	s_or_b64 exec, exec, s[42:43]
.LBB315_78:                             ;   in Loop: Header=BB315_13 Depth=1
	s_or_b64 exec, exec, s[6:7]
	v_lshrrev_b32_e32 v32, 16, v31
	v_cmp_ne_u16_sdwa s[4:5], v32, v45 src0_sel:BYTE_0 src1_sel:DWORD
	v_mov_b32_e32 v16, 0
	v_mov_b32_e32 v5, 0
	s_and_saveexec_b64 s[6:7], s[4:5]
	s_cbranch_execz .LBB315_84
; %bb.79:                               ;   in Loop: Header=BB315_13 Depth=1
	v_cmp_ne_u16_sdwa s[4:5], v32, s52 src0_sel:BYTE_0 src1_sel:DWORD
	v_bfrev_b32_e32 v5, 1
	s_and_saveexec_b64 s[42:43], s[4:5]
	s_cbranch_execz .LBB315_83
; %bb.80:                               ;   in Loop: Header=BB315_13 Depth=1
	v_bfe_u32 v0, v31, 16, 7
	v_cmp_ne_u32_e64 s[4:5], s53, v0
	v_mov_b32_e32 v5, 0x7f800001
	s_and_saveexec_b64 s[44:45], s[4:5]
	s_cbranch_execz .LBB315_82
; %bb.81:                               ;   in Loop: Header=BB315_13 Depth=1
	v_and_b32_e32 v33, 7, v32
	v_lshrrev_b32_e32 v34, 3, v0
	v_cmp_gt_u32_e64 s[4:5], 8, v0
	v_ffbh_u32_e32 v0, v33
	v_min_u32_e32 v0, 32, v0
	v_subrev_u32_e32 v25, 28, v0
	v_lshlrev_b64 v[25:26], v25, v[32:33]
	v_sub_u32_e32 v0, 29, v0
	v_and_b32_e32 v25, 7, v25
	v_cndmask_b32_e64 v0, v34, v0, s[4:5]
	v_cndmask_b32_e64 v25, v33, v25, s[4:5]
	v_lshlrev_b32_e32 v26, 24, v32
	v_bfrev_b32_e32 v1, 60
	v_lshlrev_b32_e32 v25, 20, v25
	v_and_b32_e32 v26, 0x80000000, v26
	v_lshl_add_u32 v0, v0, 23, v1
	v_or3_b32 v5, v26, v0, v25
.LBB315_82:                             ;   in Loop: Header=BB315_13 Depth=1
	s_or_b64 exec, exec, s[44:45]
.LBB315_83:                             ;   in Loop: Header=BB315_13 Depth=1
	s_or_b64 exec, exec, s[42:43]
.LBB315_84:                             ;   in Loop: Header=BB315_13 Depth=1
	s_or_b64 exec, exec, s[6:7]
	v_cmp_lt_u32_e64 s[4:5], s54, v31
	s_and_saveexec_b64 s[6:7], s[4:5]
	s_cbranch_execz .LBB315_90
; %bb.85:                               ;   in Loop: Header=BB315_13 Depth=1
	v_lshrrev_b32_e32 v32, 24, v31
	v_cmp_ne_u32_e64 s[4:5], s52, v32
	v_bfrev_b32_e32 v16, 1
	s_and_saveexec_b64 s[42:43], s[4:5]
	s_cbranch_execz .LBB315_89
; %bb.86:                               ;   in Loop: Header=BB315_13 Depth=1
	v_bfe_u32 v0, v31, 24, 7
	v_cmp_ne_u32_e64 s[4:5], s53, v0
	v_mov_b32_e32 v16, 0x7f800001
	s_and_saveexec_b64 s[44:45], s[4:5]
	s_cbranch_execz .LBB315_88
; %bb.87:                               ;   in Loop: Header=BB315_13 Depth=1
	v_and_b32_e32 v31, 7, v32
	v_lshrrev_b32_e32 v33, 3, v0
	v_cmp_gt_u32_e64 s[4:5], 8, v0
	v_ffbh_u32_e32 v0, v31
	v_min_u32_e32 v0, 32, v0
	v_subrev_u32_e32 v25, 28, v0
	v_lshlrev_b64 v[25:26], v25, v[32:33]
	v_sub_u32_e32 v0, 29, v0
	v_and_b32_e32 v25, 7, v25
	v_cndmask_b32_e64 v0, v33, v0, s[4:5]
	v_cndmask_b32_e64 v25, v31, v25, s[4:5]
	v_lshlrev_b32_e32 v26, 24, v32
	v_bfrev_b32_e32 v1, 60
	v_lshlrev_b32_e32 v25, 20, v25
	v_and_b32_e32 v26, 0x80000000, v26
	v_lshl_add_u32 v0, v0, 23, v1
	v_or3_b32 v16, v26, v0, v25
.LBB315_88:                             ;   in Loop: Header=BB315_13 Depth=1
	s_or_b64 exec, exec, s[44:45]
.LBB315_89:                             ;   in Loop: Header=BB315_13 Depth=1
	s_or_b64 exec, exec, s[42:43]
.LBB315_90:                             ;   in Loop: Header=BB315_13 Depth=1
	s_or_b64 exec, exec, s[6:7]
	global_load_dword v31, v[29:30], off offset:520
	v_mov_b32_e32 v7, 0
	v_mov_b32_e32 v17, 0
	s_waitcnt vmcnt(0)
	v_cmp_ne_u16_sdwa s[4:5], v31, v45 src0_sel:BYTE_0 src1_sel:DWORD
	s_and_saveexec_b64 s[6:7], s[4:5]
	s_cbranch_execz .LBB315_96
; %bb.91:                               ;   in Loop: Header=BB315_13 Depth=1
	v_cmp_ne_u16_sdwa s[4:5], v31, s52 src0_sel:BYTE_0 src1_sel:DWORD
	v_bfrev_b32_e32 v17, 1
	s_and_saveexec_b64 s[42:43], s[4:5]
	s_cbranch_execz .LBB315_95
; %bb.92:                               ;   in Loop: Header=BB315_13 Depth=1
	v_and_b32_e32 v0, 0x7f, v31
	v_cmp_ne_u32_e64 s[4:5], s53, v0
	v_mov_b32_e32 v17, 0x7f800001
	s_and_saveexec_b64 s[44:45], s[4:5]
	s_cbranch_execz .LBB315_94
; %bb.93:                               ;   in Loop: Header=BB315_13 Depth=1
	v_and_b32_e32 v32, 7, v31
	v_lshrrev_b32_e32 v33, 3, v0
	v_cmp_gt_u32_e64 s[4:5], 8, v0
	v_ffbh_u32_e32 v0, v32
	v_min_u32_e32 v0, 32, v0
	v_subrev_u32_e32 v25, 28, v0
	v_lshlrev_b64 v[25:26], v25, v[31:32]
	v_sub_u32_e32 v0, 29, v0
	v_and_b32_e32 v25, 7, v25
	v_cndmask_b32_e64 v0, v33, v0, s[4:5]
	v_cndmask_b32_e64 v25, v32, v25, s[4:5]
	v_lshlrev_b32_e32 v26, 24, v31
	v_bfrev_b32_e32 v1, 60
	v_lshlrev_b32_e32 v25, 20, v25
	v_and_b32_e32 v26, 0x80000000, v26
	v_lshl_add_u32 v0, v0, 23, v1
	v_or3_b32 v17, v26, v0, v25
.LBB315_94:                             ;   in Loop: Header=BB315_13 Depth=1
	s_or_b64 exec, exec, s[44:45]
.LBB315_95:                             ;   in Loop: Header=BB315_13 Depth=1
	s_or_b64 exec, exec, s[42:43]
.LBB315_96:                             ;   in Loop: Header=BB315_13 Depth=1
	s_or_b64 exec, exec, s[6:7]
	v_lshrrev_b16_e32 v32, 8, v31
	v_cmp_ne_u16_e64 s[4:5], 0, v32
	s_and_saveexec_b64 s[6:7], s[4:5]
	s_cbranch_execz .LBB315_102
; %bb.97:                               ;   in Loop: Header=BB315_13 Depth=1
	v_cmp_ne_u16_e64 s[4:5], s52, v32
	v_bfrev_b32_e32 v7, 1
	s_and_saveexec_b64 s[42:43], s[4:5]
	s_cbranch_execz .LBB315_101
; %bb.98:                               ;   in Loop: Header=BB315_13 Depth=1
	v_and_b32_e32 v0, 0x7f, v32
	v_cmp_ne_u32_e64 s[4:5], s53, v0
	v_mov_b32_e32 v7, 0x7f800001
	s_and_saveexec_b64 s[44:45], s[4:5]
	s_cbranch_execz .LBB315_100
; %bb.99:                               ;   in Loop: Header=BB315_13 Depth=1
	v_and_b32_e32 v33, 7, v32
	v_lshrrev_b32_e32 v34, 3, v0
	v_cmp_gt_u32_e64 s[4:5], 8, v0
	v_ffbh_u32_e32 v0, v33
	v_min_u32_e32 v0, 32, v0
	v_subrev_u32_e32 v25, 28, v0
	v_lshlrev_b64 v[25:26], v25, v[32:33]
	v_sub_u32_e32 v0, 29, v0
	v_and_b32_e32 v25, 7, v25
	v_cndmask_b32_e64 v0, v34, v0, s[4:5]
	v_cndmask_b32_e64 v25, v33, v25, s[4:5]
	v_lshlrev_b32_e32 v26, 16, v31
	v_bfrev_b32_e32 v1, 60
	v_lshlrev_b32_e32 v25, 20, v25
	v_and_b32_e32 v26, 0x80000000, v26
	v_lshl_add_u32 v0, v0, 23, v1
	v_or3_b32 v7, v26, v0, v25
.LBB315_100:                            ;   in Loop: Header=BB315_13 Depth=1
	s_or_b64 exec, exec, s[44:45]
.LBB315_101:                            ;   in Loop: Header=BB315_13 Depth=1
	s_or_b64 exec, exec, s[42:43]
.LBB315_102:                            ;   in Loop: Header=BB315_13 Depth=1
	s_or_b64 exec, exec, s[6:7]
	v_lshrrev_b32_e32 v32, 16, v31
	v_cmp_ne_u16_sdwa s[4:5], v32, v45 src0_sel:BYTE_0 src1_sel:DWORD
	v_mov_b32_e32 v18, 0
	v_mov_b32_e32 v8, 0
	s_and_saveexec_b64 s[6:7], s[4:5]
	s_cbranch_execz .LBB315_108
; %bb.103:                              ;   in Loop: Header=BB315_13 Depth=1
	v_cmp_ne_u16_sdwa s[4:5], v32, s52 src0_sel:BYTE_0 src1_sel:DWORD
	v_bfrev_b32_e32 v8, 1
	s_and_saveexec_b64 s[42:43], s[4:5]
	s_cbranch_execz .LBB315_107
; %bb.104:                              ;   in Loop: Header=BB315_13 Depth=1
	v_bfe_u32 v0, v31, 16, 7
	v_cmp_ne_u32_e64 s[4:5], s53, v0
	v_mov_b32_e32 v8, 0x7f800001
	s_and_saveexec_b64 s[44:45], s[4:5]
	s_cbranch_execz .LBB315_106
; %bb.105:                              ;   in Loop: Header=BB315_13 Depth=1
	v_and_b32_e32 v33, 7, v32
	v_lshrrev_b32_e32 v34, 3, v0
	v_cmp_gt_u32_e64 s[4:5], 8, v0
	v_ffbh_u32_e32 v0, v33
	v_min_u32_e32 v0, 32, v0
	v_subrev_u32_e32 v25, 28, v0
	v_lshlrev_b64 v[25:26], v25, v[32:33]
	v_sub_u32_e32 v0, 29, v0
	v_and_b32_e32 v25, 7, v25
	v_cndmask_b32_e64 v0, v34, v0, s[4:5]
	v_cndmask_b32_e64 v25, v33, v25, s[4:5]
	v_lshlrev_b32_e32 v26, 24, v32
	v_bfrev_b32_e32 v1, 60
	v_lshlrev_b32_e32 v25, 20, v25
	v_and_b32_e32 v26, 0x80000000, v26
	v_lshl_add_u32 v0, v0, 23, v1
	v_or3_b32 v8, v26, v0, v25
.LBB315_106:                            ;   in Loop: Header=BB315_13 Depth=1
	s_or_b64 exec, exec, s[44:45]
.LBB315_107:                            ;   in Loop: Header=BB315_13 Depth=1
	s_or_b64 exec, exec, s[42:43]
.LBB315_108:                            ;   in Loop: Header=BB315_13 Depth=1
	s_or_b64 exec, exec, s[6:7]
	v_cmp_lt_u32_e64 s[4:5], s54, v31
	s_and_saveexec_b64 s[6:7], s[4:5]
	s_cbranch_execz .LBB315_114
; %bb.109:                              ;   in Loop: Header=BB315_13 Depth=1
	v_lshrrev_b32_e32 v32, 24, v31
	v_cmp_ne_u32_e64 s[4:5], s52, v32
	v_bfrev_b32_e32 v18, 1
	s_and_saveexec_b64 s[42:43], s[4:5]
	s_cbranch_execz .LBB315_113
; %bb.110:                              ;   in Loop: Header=BB315_13 Depth=1
	v_bfe_u32 v0, v31, 24, 7
	v_cmp_ne_u32_e64 s[4:5], s53, v0
	v_mov_b32_e32 v18, 0x7f800001
	s_and_saveexec_b64 s[44:45], s[4:5]
	s_cbranch_execz .LBB315_112
; %bb.111:                              ;   in Loop: Header=BB315_13 Depth=1
	v_and_b32_e32 v31, 7, v32
	v_lshrrev_b32_e32 v33, 3, v0
	v_cmp_gt_u32_e64 s[4:5], 8, v0
	v_ffbh_u32_e32 v0, v31
	v_min_u32_e32 v0, 32, v0
	v_subrev_u32_e32 v25, 28, v0
	v_lshlrev_b64 v[25:26], v25, v[32:33]
	v_sub_u32_e32 v0, 29, v0
	v_and_b32_e32 v25, 7, v25
	v_cndmask_b32_e64 v0, v33, v0, s[4:5]
	v_cndmask_b32_e64 v25, v31, v25, s[4:5]
	v_lshlrev_b32_e32 v26, 24, v32
	v_bfrev_b32_e32 v1, 60
	v_lshlrev_b32_e32 v25, 20, v25
	v_and_b32_e32 v26, 0x80000000, v26
	v_lshl_add_u32 v0, v0, 23, v1
	v_or3_b32 v18, v26, v0, v25
.LBB315_112:                            ;   in Loop: Header=BB315_13 Depth=1
	s_or_b64 exec, exec, s[44:45]
.LBB315_113:                            ;   in Loop: Header=BB315_13 Depth=1
	s_or_b64 exec, exec, s[42:43]
.LBB315_114:                            ;   in Loop: Header=BB315_13 Depth=1
	s_or_b64 exec, exec, s[6:7]
	global_load_dword v31, v[29:30], off offset:1024
	v_mov_b32_e32 v9, 0
	v_mov_b32_e32 v19, 0
	s_waitcnt vmcnt(0)
	v_cmp_ne_u16_sdwa s[4:5], v31, v45 src0_sel:BYTE_0 src1_sel:DWORD
	s_and_saveexec_b64 s[6:7], s[4:5]
	s_cbranch_execz .LBB315_120
; %bb.115:                              ;   in Loop: Header=BB315_13 Depth=1
	v_cmp_ne_u16_sdwa s[4:5], v31, s52 src0_sel:BYTE_0 src1_sel:DWORD
	v_bfrev_b32_e32 v19, 1
	s_and_saveexec_b64 s[42:43], s[4:5]
	s_cbranch_execz .LBB315_119
; %bb.116:                              ;   in Loop: Header=BB315_13 Depth=1
	v_and_b32_e32 v0, 0x7f, v31
	v_cmp_ne_u32_e64 s[4:5], s53, v0
	v_mov_b32_e32 v19, 0x7f800001
	s_and_saveexec_b64 s[44:45], s[4:5]
	s_cbranch_execz .LBB315_118
; %bb.117:                              ;   in Loop: Header=BB315_13 Depth=1
	v_and_b32_e32 v32, 7, v31
	v_lshrrev_b32_e32 v33, 3, v0
	v_cmp_gt_u32_e64 s[4:5], 8, v0
	v_ffbh_u32_e32 v0, v32
	v_min_u32_e32 v0, 32, v0
	v_subrev_u32_e32 v25, 28, v0
	v_lshlrev_b64 v[25:26], v25, v[31:32]
	v_sub_u32_e32 v0, 29, v0
	v_and_b32_e32 v25, 7, v25
	v_cndmask_b32_e64 v0, v33, v0, s[4:5]
	v_cndmask_b32_e64 v25, v32, v25, s[4:5]
	v_lshlrev_b32_e32 v26, 24, v31
	v_bfrev_b32_e32 v1, 60
	v_lshlrev_b32_e32 v25, 20, v25
	v_and_b32_e32 v26, 0x80000000, v26
	v_lshl_add_u32 v0, v0, 23, v1
	v_or3_b32 v19, v26, v0, v25
.LBB315_118:                            ;   in Loop: Header=BB315_13 Depth=1
	s_or_b64 exec, exec, s[44:45]
.LBB315_119:                            ;   in Loop: Header=BB315_13 Depth=1
	s_or_b64 exec, exec, s[42:43]
.LBB315_120:                            ;   in Loop: Header=BB315_13 Depth=1
	s_or_b64 exec, exec, s[6:7]
	v_lshrrev_b16_e32 v32, 8, v31
	v_cmp_ne_u16_e64 s[4:5], 0, v32
	s_and_saveexec_b64 s[6:7], s[4:5]
	s_cbranch_execz .LBB315_126
; %bb.121:                              ;   in Loop: Header=BB315_13 Depth=1
	v_cmp_ne_u16_e64 s[4:5], s52, v32
	v_bfrev_b32_e32 v9, 1
	s_and_saveexec_b64 s[42:43], s[4:5]
	s_cbranch_execz .LBB315_125
; %bb.122:                              ;   in Loop: Header=BB315_13 Depth=1
	v_and_b32_e32 v0, 0x7f, v32
	v_cmp_ne_u32_e64 s[4:5], s53, v0
	v_mov_b32_e32 v9, 0x7f800001
	s_and_saveexec_b64 s[44:45], s[4:5]
	s_cbranch_execz .LBB315_124
; %bb.123:                              ;   in Loop: Header=BB315_13 Depth=1
	v_and_b32_e32 v33, 7, v32
	v_lshrrev_b32_e32 v34, 3, v0
	v_cmp_gt_u32_e64 s[4:5], 8, v0
	v_ffbh_u32_e32 v0, v33
	v_min_u32_e32 v0, 32, v0
	v_subrev_u32_e32 v25, 28, v0
	v_lshlrev_b64 v[25:26], v25, v[32:33]
	v_sub_u32_e32 v0, 29, v0
	v_and_b32_e32 v25, 7, v25
	v_cndmask_b32_e64 v0, v34, v0, s[4:5]
	v_cndmask_b32_e64 v25, v33, v25, s[4:5]
	v_lshlrev_b32_e32 v26, 16, v31
	v_bfrev_b32_e32 v1, 60
	v_lshlrev_b32_e32 v25, 20, v25
	v_and_b32_e32 v26, 0x80000000, v26
	v_lshl_add_u32 v0, v0, 23, v1
	v_or3_b32 v9, v26, v0, v25
.LBB315_124:                            ;   in Loop: Header=BB315_13 Depth=1
	s_or_b64 exec, exec, s[44:45]
.LBB315_125:                            ;   in Loop: Header=BB315_13 Depth=1
	s_or_b64 exec, exec, s[42:43]
.LBB315_126:                            ;   in Loop: Header=BB315_13 Depth=1
	s_or_b64 exec, exec, s[6:7]
	v_lshrrev_b32_e32 v32, 16, v31
	v_cmp_ne_u16_sdwa s[4:5], v32, v45 src0_sel:BYTE_0 src1_sel:DWORD
	v_mov_b32_e32 v20, 0
	v_mov_b32_e32 v21, 0
	s_and_saveexec_b64 s[6:7], s[4:5]
	s_cbranch_execz .LBB315_132
; %bb.127:                              ;   in Loop: Header=BB315_13 Depth=1
	v_cmp_ne_u16_sdwa s[4:5], v32, s52 src0_sel:BYTE_0 src1_sel:DWORD
	v_bfrev_b32_e32 v21, 1
	s_and_saveexec_b64 s[42:43], s[4:5]
	s_cbranch_execz .LBB315_131
; %bb.128:                              ;   in Loop: Header=BB315_13 Depth=1
	v_bfe_u32 v0, v31, 16, 7
	v_cmp_ne_u32_e64 s[4:5], s53, v0
	v_mov_b32_e32 v21, 0x7f800001
	s_and_saveexec_b64 s[44:45], s[4:5]
	s_cbranch_execz .LBB315_130
; %bb.129:                              ;   in Loop: Header=BB315_13 Depth=1
	v_and_b32_e32 v33, 7, v32
	v_lshrrev_b32_e32 v34, 3, v0
	v_cmp_gt_u32_e64 s[4:5], 8, v0
	v_ffbh_u32_e32 v0, v33
	v_min_u32_e32 v0, 32, v0
	v_subrev_u32_e32 v25, 28, v0
	v_lshlrev_b64 v[25:26], v25, v[32:33]
	v_sub_u32_e32 v0, 29, v0
	v_and_b32_e32 v25, 7, v25
	v_cndmask_b32_e64 v0, v34, v0, s[4:5]
	v_cndmask_b32_e64 v25, v33, v25, s[4:5]
	v_lshlrev_b32_e32 v26, 24, v32
	v_bfrev_b32_e32 v1, 60
	v_lshlrev_b32_e32 v25, 20, v25
	v_and_b32_e32 v26, 0x80000000, v26
	v_lshl_add_u32 v0, v0, 23, v1
	v_or3_b32 v21, v26, v0, v25
.LBB315_130:                            ;   in Loop: Header=BB315_13 Depth=1
	s_or_b64 exec, exec, s[44:45]
.LBB315_131:                            ;   in Loop: Header=BB315_13 Depth=1
	s_or_b64 exec, exec, s[42:43]
.LBB315_132:                            ;   in Loop: Header=BB315_13 Depth=1
	s_or_b64 exec, exec, s[6:7]
	v_cmp_lt_u32_e64 s[4:5], s54, v31
	s_and_saveexec_b64 s[6:7], s[4:5]
	s_cbranch_execz .LBB315_138
; %bb.133:                              ;   in Loop: Header=BB315_13 Depth=1
	v_lshrrev_b32_e32 v32, 24, v31
	v_cmp_ne_u32_e64 s[4:5], s52, v32
	v_bfrev_b32_e32 v20, 1
	s_and_saveexec_b64 s[42:43], s[4:5]
	s_cbranch_execz .LBB315_137
; %bb.134:                              ;   in Loop: Header=BB315_13 Depth=1
	v_bfe_u32 v0, v31, 24, 7
	v_cmp_ne_u32_e64 s[4:5], s53, v0
	v_mov_b32_e32 v20, 0x7f800001
	s_and_saveexec_b64 s[44:45], s[4:5]
	s_cbranch_execz .LBB315_136
; %bb.135:                              ;   in Loop: Header=BB315_13 Depth=1
	v_and_b32_e32 v31, 7, v32
	v_lshrrev_b32_e32 v33, 3, v0
	v_cmp_gt_u32_e64 s[4:5], 8, v0
	v_ffbh_u32_e32 v0, v31
	v_min_u32_e32 v0, 32, v0
	v_subrev_u32_e32 v25, 28, v0
	v_lshlrev_b64 v[25:26], v25, v[32:33]
	v_sub_u32_e32 v0, 29, v0
	v_and_b32_e32 v25, 7, v25
	v_cndmask_b32_e64 v0, v33, v0, s[4:5]
	v_cndmask_b32_e64 v25, v31, v25, s[4:5]
	v_lshlrev_b32_e32 v26, 24, v32
	v_bfrev_b32_e32 v1, 60
	v_lshlrev_b32_e32 v25, 20, v25
	v_and_b32_e32 v26, 0x80000000, v26
	v_lshl_add_u32 v0, v0, 23, v1
	v_or3_b32 v20, v26, v0, v25
.LBB315_136:                            ;   in Loop: Header=BB315_13 Depth=1
	s_or_b64 exec, exec, s[44:45]
.LBB315_137:                            ;   in Loop: Header=BB315_13 Depth=1
	s_or_b64 exec, exec, s[42:43]
.LBB315_138:                            ;   in Loop: Header=BB315_13 Depth=1
	s_or_b64 exec, exec, s[6:7]
	global_load_dword v31, v[29:30], off offset:1032
	v_mov_b32_e32 v22, 0
	v_mov_b32_e32 v23, 0
	s_waitcnt vmcnt(0)
	v_cmp_ne_u16_sdwa s[4:5], v31, v45 src0_sel:BYTE_0 src1_sel:DWORD
	s_and_saveexec_b64 s[6:7], s[4:5]
	s_cbranch_execz .LBB315_144
; %bb.139:                              ;   in Loop: Header=BB315_13 Depth=1
	v_cmp_ne_u16_sdwa s[4:5], v31, s52 src0_sel:BYTE_0 src1_sel:DWORD
	v_bfrev_b32_e32 v23, 1
	s_and_saveexec_b64 s[42:43], s[4:5]
	s_cbranch_execz .LBB315_143
; %bb.140:                              ;   in Loop: Header=BB315_13 Depth=1
	v_and_b32_e32 v0, 0x7f, v31
	v_cmp_ne_u32_e64 s[4:5], s53, v0
	v_mov_b32_e32 v23, 0x7f800001
	s_and_saveexec_b64 s[44:45], s[4:5]
	s_cbranch_execz .LBB315_142
; %bb.141:                              ;   in Loop: Header=BB315_13 Depth=1
	v_and_b32_e32 v32, 7, v31
	v_lshrrev_b32_e32 v33, 3, v0
	v_cmp_gt_u32_e64 s[4:5], 8, v0
	v_ffbh_u32_e32 v0, v32
	v_min_u32_e32 v0, 32, v0
	v_subrev_u32_e32 v25, 28, v0
	v_lshlrev_b64 v[25:26], v25, v[31:32]
	v_sub_u32_e32 v0, 29, v0
	v_and_b32_e32 v25, 7, v25
	v_cndmask_b32_e64 v0, v33, v0, s[4:5]
	v_cndmask_b32_e64 v25, v32, v25, s[4:5]
	v_lshlrev_b32_e32 v26, 24, v31
	v_bfrev_b32_e32 v1, 60
	v_lshlrev_b32_e32 v25, 20, v25
	v_and_b32_e32 v26, 0x80000000, v26
	v_lshl_add_u32 v0, v0, 23, v1
	v_or3_b32 v23, v26, v0, v25
.LBB315_142:                            ;   in Loop: Header=BB315_13 Depth=1
	s_or_b64 exec, exec, s[44:45]
.LBB315_143:                            ;   in Loop: Header=BB315_13 Depth=1
	s_or_b64 exec, exec, s[42:43]
.LBB315_144:                            ;   in Loop: Header=BB315_13 Depth=1
	s_or_b64 exec, exec, s[6:7]
	v_lshrrev_b16_e32 v32, 8, v31
	v_cmp_ne_u16_e64 s[4:5], 0, v32
	s_and_saveexec_b64 s[6:7], s[4:5]
	s_cbranch_execz .LBB315_150
; %bb.145:                              ;   in Loop: Header=BB315_13 Depth=1
	v_cmp_ne_u16_e64 s[4:5], s52, v32
	v_bfrev_b32_e32 v22, 1
	s_and_saveexec_b64 s[42:43], s[4:5]
	s_cbranch_execz .LBB315_149
; %bb.146:                              ;   in Loop: Header=BB315_13 Depth=1
	v_and_b32_e32 v0, 0x7f, v32
	v_cmp_ne_u32_e64 s[4:5], s53, v0
	v_mov_b32_e32 v22, 0x7f800001
	s_and_saveexec_b64 s[44:45], s[4:5]
	s_cbranch_execz .LBB315_148
; %bb.147:                              ;   in Loop: Header=BB315_13 Depth=1
	v_and_b32_e32 v33, 7, v32
	v_lshrrev_b32_e32 v34, 3, v0
	v_cmp_gt_u32_e64 s[4:5], 8, v0
	v_ffbh_u32_e32 v0, v33
	v_min_u32_e32 v0, 32, v0
	v_subrev_u32_e32 v25, 28, v0
	v_lshlrev_b64 v[25:26], v25, v[32:33]
	v_sub_u32_e32 v0, 29, v0
	v_and_b32_e32 v25, 7, v25
	v_cndmask_b32_e64 v0, v34, v0, s[4:5]
	v_cndmask_b32_e64 v25, v33, v25, s[4:5]
	v_lshlrev_b32_e32 v26, 16, v31
	v_bfrev_b32_e32 v1, 60
	v_lshlrev_b32_e32 v25, 20, v25
	v_and_b32_e32 v26, 0x80000000, v26
	v_lshl_add_u32 v0, v0, 23, v1
	v_or3_b32 v22, v26, v0, v25
.LBB315_148:                            ;   in Loop: Header=BB315_13 Depth=1
	s_or_b64 exec, exec, s[44:45]
.LBB315_149:                            ;   in Loop: Header=BB315_13 Depth=1
	s_or_b64 exec, exec, s[42:43]
.LBB315_150:                            ;   in Loop: Header=BB315_13 Depth=1
	s_or_b64 exec, exec, s[6:7]
	v_lshrrev_b32_e32 v32, 16, v31
	v_cmp_ne_u16_sdwa s[4:5], v32, v45 src0_sel:BYTE_0 src1_sel:DWORD
	v_mov_b32_e32 v35, 0
	v_mov_b32_e32 v37, 0
	s_and_saveexec_b64 s[6:7], s[4:5]
	s_cbranch_execz .LBB315_156
; %bb.151:                              ;   in Loop: Header=BB315_13 Depth=1
	v_cmp_ne_u16_sdwa s[4:5], v32, s52 src0_sel:BYTE_0 src1_sel:DWORD
	v_bfrev_b32_e32 v37, 1
	s_and_saveexec_b64 s[42:43], s[4:5]
	s_cbranch_execz .LBB315_155
; %bb.152:                              ;   in Loop: Header=BB315_13 Depth=1
	v_bfe_u32 v0, v31, 16, 7
	v_cmp_ne_u32_e64 s[4:5], s53, v0
	v_mov_b32_e32 v37, 0x7f800001
	s_and_saveexec_b64 s[44:45], s[4:5]
	s_cbranch_execz .LBB315_154
; %bb.153:                              ;   in Loop: Header=BB315_13 Depth=1
	v_and_b32_e32 v33, 7, v32
	v_lshrrev_b32_e32 v34, 3, v0
	v_cmp_gt_u32_e64 s[4:5], 8, v0
	v_ffbh_u32_e32 v0, v33
	v_min_u32_e32 v0, 32, v0
	v_subrev_u32_e32 v25, 28, v0
	v_lshlrev_b64 v[25:26], v25, v[32:33]
	v_sub_u32_e32 v0, 29, v0
	v_and_b32_e32 v25, 7, v25
	v_cndmask_b32_e64 v0, v34, v0, s[4:5]
	v_cndmask_b32_e64 v25, v33, v25, s[4:5]
	v_lshlrev_b32_e32 v26, 24, v32
	v_bfrev_b32_e32 v1, 60
	v_lshlrev_b32_e32 v25, 20, v25
	v_and_b32_e32 v26, 0x80000000, v26
	v_lshl_add_u32 v0, v0, 23, v1
	v_or3_b32 v37, v26, v0, v25
.LBB315_154:                            ;   in Loop: Header=BB315_13 Depth=1
	s_or_b64 exec, exec, s[44:45]
.LBB315_155:                            ;   in Loop: Header=BB315_13 Depth=1
	s_or_b64 exec, exec, s[42:43]
.LBB315_156:                            ;   in Loop: Header=BB315_13 Depth=1
	s_or_b64 exec, exec, s[6:7]
	v_cmp_lt_u32_e64 s[4:5], s54, v31
	s_and_saveexec_b64 s[6:7], s[4:5]
	s_cbranch_execz .LBB315_162
; %bb.157:                              ;   in Loop: Header=BB315_13 Depth=1
	v_lshrrev_b32_e32 v32, 24, v31
	v_cmp_ne_u32_e64 s[4:5], s52, v32
	v_bfrev_b32_e32 v35, 1
	s_and_saveexec_b64 s[42:43], s[4:5]
	s_cbranch_execz .LBB315_161
; %bb.158:                              ;   in Loop: Header=BB315_13 Depth=1
	v_bfe_u32 v0, v31, 24, 7
	v_cmp_ne_u32_e64 s[4:5], s53, v0
	v_mov_b32_e32 v35, 0x7f800001
	s_and_saveexec_b64 s[44:45], s[4:5]
	s_cbranch_execz .LBB315_160
; %bb.159:                              ;   in Loop: Header=BB315_13 Depth=1
	v_and_b32_e32 v31, 7, v32
	v_lshrrev_b32_e32 v33, 3, v0
	v_cmp_gt_u32_e64 s[4:5], 8, v0
	v_ffbh_u32_e32 v0, v31
	v_min_u32_e32 v0, 32, v0
	v_subrev_u32_e32 v25, 28, v0
	v_lshlrev_b64 v[25:26], v25, v[32:33]
	v_sub_u32_e32 v0, 29, v0
	v_and_b32_e32 v25, 7, v25
	v_cndmask_b32_e64 v0, v33, v0, s[4:5]
	v_cndmask_b32_e64 v25, v31, v25, s[4:5]
	v_lshlrev_b32_e32 v26, 24, v32
	v_bfrev_b32_e32 v1, 60
	v_lshlrev_b32_e32 v25, 20, v25
	v_and_b32_e32 v26, 0x80000000, v26
	v_lshl_add_u32 v0, v0, 23, v1
	v_or3_b32 v35, v26, v0, v25
.LBB315_160:                            ;   in Loop: Header=BB315_13 Depth=1
	s_or_b64 exec, exec, s[44:45]
.LBB315_161:                            ;   in Loop: Header=BB315_13 Depth=1
	s_or_b64 exec, exec, s[42:43]
.LBB315_162:                            ;   in Loop: Header=BB315_13 Depth=1
	s_or_b64 exec, exec, s[6:7]
	global_load_dword v31, v[29:30], off offset:1536
	v_mov_b32_e32 v38, 0
	v_mov_b32_e32 v39, 0
	s_waitcnt vmcnt(0)
	v_cmp_ne_u16_sdwa s[4:5], v31, v45 src0_sel:BYTE_0 src1_sel:DWORD
	s_and_saveexec_b64 s[6:7], s[4:5]
	s_cbranch_execz .LBB315_168
; %bb.163:                              ;   in Loop: Header=BB315_13 Depth=1
	v_cmp_ne_u16_sdwa s[4:5], v31, s52 src0_sel:BYTE_0 src1_sel:DWORD
	v_bfrev_b32_e32 v39, 1
	s_and_saveexec_b64 s[42:43], s[4:5]
	s_cbranch_execz .LBB315_167
; %bb.164:                              ;   in Loop: Header=BB315_13 Depth=1
	v_and_b32_e32 v0, 0x7f, v31
	v_cmp_ne_u32_e64 s[4:5], s53, v0
	v_mov_b32_e32 v39, 0x7f800001
	s_and_saveexec_b64 s[44:45], s[4:5]
	s_cbranch_execz .LBB315_166
; %bb.165:                              ;   in Loop: Header=BB315_13 Depth=1
	v_and_b32_e32 v32, 7, v31
	v_lshrrev_b32_e32 v33, 3, v0
	v_cmp_gt_u32_e64 s[4:5], 8, v0
	v_ffbh_u32_e32 v0, v32
	v_min_u32_e32 v0, 32, v0
	v_subrev_u32_e32 v25, 28, v0
	v_lshlrev_b64 v[25:26], v25, v[31:32]
	v_sub_u32_e32 v0, 29, v0
	v_and_b32_e32 v25, 7, v25
	v_cndmask_b32_e64 v0, v33, v0, s[4:5]
	v_cndmask_b32_e64 v25, v32, v25, s[4:5]
	v_lshlrev_b32_e32 v26, 24, v31
	v_bfrev_b32_e32 v1, 60
	v_lshlrev_b32_e32 v25, 20, v25
	v_and_b32_e32 v26, 0x80000000, v26
	v_lshl_add_u32 v0, v0, 23, v1
	v_or3_b32 v39, v26, v0, v25
.LBB315_166:                            ;   in Loop: Header=BB315_13 Depth=1
	s_or_b64 exec, exec, s[44:45]
.LBB315_167:                            ;   in Loop: Header=BB315_13 Depth=1
	s_or_b64 exec, exec, s[42:43]
.LBB315_168:                            ;   in Loop: Header=BB315_13 Depth=1
	s_or_b64 exec, exec, s[6:7]
	v_lshrrev_b16_e32 v32, 8, v31
	v_cmp_ne_u16_e64 s[4:5], 0, v32
	s_and_saveexec_b64 s[6:7], s[4:5]
	s_cbranch_execz .LBB315_174
; %bb.169:                              ;   in Loop: Header=BB315_13 Depth=1
	v_cmp_ne_u16_e64 s[4:5], s52, v32
	v_bfrev_b32_e32 v38, 1
	s_and_saveexec_b64 s[42:43], s[4:5]
	s_cbranch_execz .LBB315_173
; %bb.170:                              ;   in Loop: Header=BB315_13 Depth=1
	v_and_b32_e32 v0, 0x7f, v32
	v_cmp_ne_u32_e64 s[4:5], s53, v0
	v_mov_b32_e32 v38, 0x7f800001
	s_and_saveexec_b64 s[44:45], s[4:5]
	s_cbranch_execz .LBB315_172
; %bb.171:                              ;   in Loop: Header=BB315_13 Depth=1
	v_and_b32_e32 v33, 7, v32
	v_lshrrev_b32_e32 v34, 3, v0
	v_cmp_gt_u32_e64 s[4:5], 8, v0
	v_ffbh_u32_e32 v0, v33
	v_min_u32_e32 v0, 32, v0
	v_subrev_u32_e32 v25, 28, v0
	v_lshlrev_b64 v[25:26], v25, v[32:33]
	v_sub_u32_e32 v0, 29, v0
	v_and_b32_e32 v25, 7, v25
	v_cndmask_b32_e64 v0, v34, v0, s[4:5]
	v_cndmask_b32_e64 v25, v33, v25, s[4:5]
	v_lshlrev_b32_e32 v26, 16, v31
	v_bfrev_b32_e32 v1, 60
	v_lshlrev_b32_e32 v25, 20, v25
	v_and_b32_e32 v26, 0x80000000, v26
	v_lshl_add_u32 v0, v0, 23, v1
	v_or3_b32 v38, v26, v0, v25
.LBB315_172:                            ;   in Loop: Header=BB315_13 Depth=1
	s_or_b64 exec, exec, s[44:45]
.LBB315_173:                            ;   in Loop: Header=BB315_13 Depth=1
	s_or_b64 exec, exec, s[42:43]
.LBB315_174:                            ;   in Loop: Header=BB315_13 Depth=1
	s_or_b64 exec, exec, s[6:7]
	v_lshrrev_b32_e32 v32, 16, v31
	v_cmp_ne_u16_sdwa s[4:5], v32, v45 src0_sel:BYTE_0 src1_sel:DWORD
	v_mov_b32_e32 v41, 0
	v_mov_b32_e32 v43, 0
	s_and_saveexec_b64 s[6:7], s[4:5]
	s_cbranch_execz .LBB315_180
; %bb.175:                              ;   in Loop: Header=BB315_13 Depth=1
	v_cmp_ne_u16_sdwa s[4:5], v32, s52 src0_sel:BYTE_0 src1_sel:DWORD
	v_bfrev_b32_e32 v43, 1
	s_and_saveexec_b64 s[42:43], s[4:5]
	s_cbranch_execz .LBB315_179
; %bb.176:                              ;   in Loop: Header=BB315_13 Depth=1
	v_bfe_u32 v0, v31, 16, 7
	v_cmp_ne_u32_e64 s[4:5], s53, v0
	v_mov_b32_e32 v43, 0x7f800001
	s_and_saveexec_b64 s[44:45], s[4:5]
	s_cbranch_execz .LBB315_178
; %bb.177:                              ;   in Loop: Header=BB315_13 Depth=1
	v_and_b32_e32 v33, 7, v32
	v_lshrrev_b32_e32 v34, 3, v0
	v_cmp_gt_u32_e64 s[4:5], 8, v0
	v_ffbh_u32_e32 v0, v33
	v_min_u32_e32 v0, 32, v0
	v_subrev_u32_e32 v25, 28, v0
	v_lshlrev_b64 v[25:26], v25, v[32:33]
	v_sub_u32_e32 v0, 29, v0
	v_and_b32_e32 v25, 7, v25
	v_cndmask_b32_e64 v0, v34, v0, s[4:5]
	v_cndmask_b32_e64 v25, v33, v25, s[4:5]
	v_lshlrev_b32_e32 v26, 24, v32
	v_bfrev_b32_e32 v1, 60
	v_lshlrev_b32_e32 v25, 20, v25
	v_and_b32_e32 v26, 0x80000000, v26
	v_lshl_add_u32 v0, v0, 23, v1
	v_or3_b32 v43, v26, v0, v25
.LBB315_178:                            ;   in Loop: Header=BB315_13 Depth=1
	s_or_b64 exec, exec, s[44:45]
.LBB315_179:                            ;   in Loop: Header=BB315_13 Depth=1
	s_or_b64 exec, exec, s[42:43]
.LBB315_180:                            ;   in Loop: Header=BB315_13 Depth=1
	s_or_b64 exec, exec, s[6:7]
	v_cmp_lt_u32_e64 s[4:5], s54, v31
	s_and_saveexec_b64 s[6:7], s[4:5]
	s_cbranch_execz .LBB315_186
; %bb.181:                              ;   in Loop: Header=BB315_13 Depth=1
	v_lshrrev_b32_e32 v32, 24, v31
	v_cmp_ne_u32_e64 s[4:5], s52, v32
	v_bfrev_b32_e32 v41, 1
	s_and_saveexec_b64 s[42:43], s[4:5]
	s_cbranch_execz .LBB315_185
; %bb.182:                              ;   in Loop: Header=BB315_13 Depth=1
	v_bfe_u32 v0, v31, 24, 7
	v_cmp_ne_u32_e64 s[4:5], s53, v0
	v_mov_b32_e32 v41, 0x7f800001
	s_and_saveexec_b64 s[44:45], s[4:5]
	s_cbranch_execz .LBB315_184
; %bb.183:                              ;   in Loop: Header=BB315_13 Depth=1
	v_and_b32_e32 v31, 7, v32
	v_lshrrev_b32_e32 v33, 3, v0
	v_cmp_gt_u32_e64 s[4:5], 8, v0
	v_ffbh_u32_e32 v0, v31
	v_min_u32_e32 v0, 32, v0
	v_subrev_u32_e32 v25, 28, v0
	v_lshlrev_b64 v[25:26], v25, v[32:33]
	v_sub_u32_e32 v0, 29, v0
	v_and_b32_e32 v25, 7, v25
	v_cndmask_b32_e64 v0, v33, v0, s[4:5]
	v_cndmask_b32_e64 v25, v31, v25, s[4:5]
	v_lshlrev_b32_e32 v26, 24, v32
	v_bfrev_b32_e32 v1, 60
	v_lshlrev_b32_e32 v25, 20, v25
	v_and_b32_e32 v26, 0x80000000, v26
	v_lshl_add_u32 v0, v0, 23, v1
	v_or3_b32 v41, v26, v0, v25
.LBB315_184:                            ;   in Loop: Header=BB315_13 Depth=1
	s_or_b64 exec, exec, s[44:45]
.LBB315_185:                            ;   in Loop: Header=BB315_13 Depth=1
	s_or_b64 exec, exec, s[42:43]
.LBB315_186:                            ;   in Loop: Header=BB315_13 Depth=1
	s_or_b64 exec, exec, s[6:7]
	global_load_dword v31, v[29:30], off offset:1544
	v_mov_b32_e32 v40, 0
	v_mov_b32_e32 v24, 0
	s_waitcnt vmcnt(0)
	v_cmp_ne_u16_sdwa s[4:5], v31, v45 src0_sel:BYTE_0 src1_sel:DWORD
	s_and_saveexec_b64 s[6:7], s[4:5]
	s_cbranch_execz .LBB315_192
; %bb.187:                              ;   in Loop: Header=BB315_13 Depth=1
	v_cmp_ne_u16_sdwa s[4:5], v31, s52 src0_sel:BYTE_0 src1_sel:DWORD
	v_bfrev_b32_e32 v24, 1
	s_and_saveexec_b64 s[42:43], s[4:5]
	s_cbranch_execz .LBB315_191
; %bb.188:                              ;   in Loop: Header=BB315_13 Depth=1
	v_and_b32_e32 v0, 0x7f, v31
	v_cmp_ne_u32_e64 s[4:5], s53, v0
	v_mov_b32_e32 v24, 0x7f800001
	s_and_saveexec_b64 s[44:45], s[4:5]
	s_cbranch_execz .LBB315_190
; %bb.189:                              ;   in Loop: Header=BB315_13 Depth=1
	v_and_b32_e32 v32, 7, v31
	v_lshrrev_b32_e32 v33, 3, v0
	v_cmp_gt_u32_e64 s[4:5], 8, v0
	v_ffbh_u32_e32 v0, v32
	v_min_u32_e32 v0, 32, v0
	v_subrev_u32_e32 v25, 28, v0
	v_lshlrev_b64 v[25:26], v25, v[31:32]
	v_sub_u32_e32 v0, 29, v0
	v_and_b32_e32 v25, 7, v25
	v_cndmask_b32_e64 v0, v33, v0, s[4:5]
	v_cndmask_b32_e64 v25, v32, v25, s[4:5]
	v_lshlrev_b32_e32 v26, 24, v31
	v_bfrev_b32_e32 v1, 60
	v_lshlrev_b32_e32 v25, 20, v25
	v_and_b32_e32 v26, 0x80000000, v26
	v_lshl_add_u32 v0, v0, 23, v1
	v_or3_b32 v24, v26, v0, v25
.LBB315_190:                            ;   in Loop: Header=BB315_13 Depth=1
	s_or_b64 exec, exec, s[44:45]
.LBB315_191:                            ;   in Loop: Header=BB315_13 Depth=1
	s_or_b64 exec, exec, s[42:43]
.LBB315_192:                            ;   in Loop: Header=BB315_13 Depth=1
	s_or_b64 exec, exec, s[6:7]
	v_lshrrev_b16_e32 v32, 8, v31
	v_cmp_ne_u16_e64 s[4:5], 0, v32
	s_and_saveexec_b64 s[6:7], s[4:5]
	s_cbranch_execz .LBB315_198
; %bb.193:                              ;   in Loop: Header=BB315_13 Depth=1
	v_cmp_ne_u16_e64 s[4:5], s52, v32
	v_bfrev_b32_e32 v40, 1
	s_and_saveexec_b64 s[42:43], s[4:5]
	s_cbranch_execz .LBB315_197
; %bb.194:                              ;   in Loop: Header=BB315_13 Depth=1
	v_and_b32_e32 v0, 0x7f, v32
	v_cmp_ne_u32_e64 s[4:5], s53, v0
	v_mov_b32_e32 v40, 0x7f800001
	s_and_saveexec_b64 s[44:45], s[4:5]
	s_cbranch_execz .LBB315_196
; %bb.195:                              ;   in Loop: Header=BB315_13 Depth=1
	v_and_b32_e32 v33, 7, v32
	v_lshrrev_b32_e32 v34, 3, v0
	v_cmp_gt_u32_e64 s[4:5], 8, v0
	v_ffbh_u32_e32 v0, v33
	v_min_u32_e32 v0, 32, v0
	v_subrev_u32_e32 v25, 28, v0
	v_lshlrev_b64 v[25:26], v25, v[32:33]
	v_sub_u32_e32 v0, 29, v0
	v_and_b32_e32 v25, 7, v25
	v_cndmask_b32_e64 v0, v34, v0, s[4:5]
	v_cndmask_b32_e64 v25, v33, v25, s[4:5]
	v_lshlrev_b32_e32 v26, 16, v31
	v_bfrev_b32_e32 v1, 60
	v_lshlrev_b32_e32 v25, 20, v25
	v_and_b32_e32 v26, 0x80000000, v26
	v_lshl_add_u32 v0, v0, 23, v1
	v_or3_b32 v40, v26, v0, v25
.LBB315_196:                            ;   in Loop: Header=BB315_13 Depth=1
	s_or_b64 exec, exec, s[44:45]
.LBB315_197:                            ;   in Loop: Header=BB315_13 Depth=1
	s_or_b64 exec, exec, s[42:43]
.LBB315_198:                            ;   in Loop: Header=BB315_13 Depth=1
	s_or_b64 exec, exec, s[6:7]
	v_lshrrev_b32_e32 v32, 16, v31
	v_cmp_ne_u16_sdwa s[4:5], v32, v45 src0_sel:BYTE_0 src1_sel:DWORD
	v_mov_b32_e32 v44, 0
	v_mov_b32_e32 v47, 0
	s_and_saveexec_b64 s[6:7], s[4:5]
	s_cbranch_execz .LBB315_204
; %bb.199:                              ;   in Loop: Header=BB315_13 Depth=1
	v_cmp_ne_u16_sdwa s[4:5], v32, s52 src0_sel:BYTE_0 src1_sel:DWORD
	v_bfrev_b32_e32 v47, 1
	s_and_saveexec_b64 s[42:43], s[4:5]
	s_cbranch_execz .LBB315_203
; %bb.200:                              ;   in Loop: Header=BB315_13 Depth=1
	v_bfe_u32 v0, v31, 16, 7
	v_cmp_ne_u32_e64 s[4:5], s53, v0
	v_mov_b32_e32 v47, 0x7f800001
	s_and_saveexec_b64 s[44:45], s[4:5]
	s_cbranch_execz .LBB315_202
; %bb.201:                              ;   in Loop: Header=BB315_13 Depth=1
	v_and_b32_e32 v33, 7, v32
	v_lshrrev_b32_e32 v34, 3, v0
	v_cmp_gt_u32_e64 s[4:5], 8, v0
	v_ffbh_u32_e32 v0, v33
	v_min_u32_e32 v0, 32, v0
	v_subrev_u32_e32 v25, 28, v0
	v_lshlrev_b64 v[25:26], v25, v[32:33]
	v_sub_u32_e32 v0, 29, v0
	v_and_b32_e32 v25, 7, v25
	v_cndmask_b32_e64 v0, v34, v0, s[4:5]
	v_cndmask_b32_e64 v25, v33, v25, s[4:5]
	v_lshlrev_b32_e32 v26, 24, v32
	v_bfrev_b32_e32 v1, 60
	v_lshlrev_b32_e32 v25, 20, v25
	v_and_b32_e32 v26, 0x80000000, v26
	v_lshl_add_u32 v0, v0, 23, v1
	v_or3_b32 v47, v26, v0, v25
.LBB315_202:                            ;   in Loop: Header=BB315_13 Depth=1
	s_or_b64 exec, exec, s[44:45]
.LBB315_203:                            ;   in Loop: Header=BB315_13 Depth=1
	s_or_b64 exec, exec, s[42:43]
.LBB315_204:                            ;   in Loop: Header=BB315_13 Depth=1
	s_or_b64 exec, exec, s[6:7]
	v_cmp_lt_u32_e64 s[4:5], s54, v31
	s_and_saveexec_b64 s[6:7], s[4:5]
	s_cbranch_execz .LBB315_210
; %bb.205:                              ;   in Loop: Header=BB315_13 Depth=1
	v_lshrrev_b32_e32 v32, 24, v31
	v_cmp_ne_u32_e64 s[4:5], s52, v32
	v_bfrev_b32_e32 v44, 1
	s_and_saveexec_b64 s[42:43], s[4:5]
	s_cbranch_execz .LBB315_209
; %bb.206:                              ;   in Loop: Header=BB315_13 Depth=1
	v_bfe_u32 v0, v31, 24, 7
	v_cmp_ne_u32_e64 s[4:5], s53, v0
	v_mov_b32_e32 v44, 0x7f800001
	s_and_saveexec_b64 s[44:45], s[4:5]
	s_cbranch_execz .LBB315_208
; %bb.207:                              ;   in Loop: Header=BB315_13 Depth=1
	v_and_b32_e32 v31, 7, v32
	v_lshrrev_b32_e32 v33, 3, v0
	v_cmp_gt_u32_e64 s[4:5], 8, v0
	v_ffbh_u32_e32 v0, v31
	v_min_u32_e32 v0, 32, v0
	v_subrev_u32_e32 v25, 28, v0
	v_lshlrev_b64 v[25:26], v25, v[32:33]
	v_sub_u32_e32 v0, 29, v0
	v_and_b32_e32 v25, 7, v25
	v_cndmask_b32_e64 v0, v33, v0, s[4:5]
	v_cndmask_b32_e64 v25, v31, v25, s[4:5]
	v_lshlrev_b32_e32 v26, 24, v32
	v_bfrev_b32_e32 v1, 60
	v_lshlrev_b32_e32 v25, 20, v25
	v_and_b32_e32 v26, 0x80000000, v26
	v_lshl_add_u32 v0, v0, 23, v1
	v_or3_b32 v44, v26, v0, v25
.LBB315_208:                            ;   in Loop: Header=BB315_13 Depth=1
	s_or_b64 exec, exec, s[44:45]
.LBB315_209:                            ;   in Loop: Header=BB315_13 Depth=1
	s_or_b64 exec, exec, s[42:43]
.LBB315_210:                            ;   in Loop: Header=BB315_13 Depth=1
	s_or_b64 exec, exec, s[6:7]
	global_load_dword v31, v[29:30], off offset:2048
	v_mov_b32_e32 v50, 0
	v_mov_b32_e32 v48, 0
	s_waitcnt vmcnt(0)
	v_cmp_ne_u16_sdwa s[4:5], v31, v45 src0_sel:BYTE_0 src1_sel:DWORD
	s_and_saveexec_b64 s[6:7], s[4:5]
	s_cbranch_execz .LBB315_216
; %bb.211:                              ;   in Loop: Header=BB315_13 Depth=1
	v_cmp_ne_u16_sdwa s[4:5], v31, s52 src0_sel:BYTE_0 src1_sel:DWORD
	v_bfrev_b32_e32 v48, 1
	s_and_saveexec_b64 s[42:43], s[4:5]
	s_cbranch_execz .LBB315_215
; %bb.212:                              ;   in Loop: Header=BB315_13 Depth=1
	v_and_b32_e32 v0, 0x7f, v31
	v_cmp_ne_u32_e64 s[4:5], s53, v0
	v_mov_b32_e32 v48, 0x7f800001
	s_and_saveexec_b64 s[44:45], s[4:5]
	s_cbranch_execz .LBB315_214
; %bb.213:                              ;   in Loop: Header=BB315_13 Depth=1
	v_and_b32_e32 v32, 7, v31
	v_lshrrev_b32_e32 v33, 3, v0
	v_cmp_gt_u32_e64 s[4:5], 8, v0
	v_ffbh_u32_e32 v0, v32
	v_min_u32_e32 v0, 32, v0
	v_subrev_u32_e32 v25, 28, v0
	v_lshlrev_b64 v[25:26], v25, v[31:32]
	v_sub_u32_e32 v0, 29, v0
	v_and_b32_e32 v25, 7, v25
	v_cndmask_b32_e64 v0, v33, v0, s[4:5]
	v_cndmask_b32_e64 v25, v32, v25, s[4:5]
	v_lshlrev_b32_e32 v26, 24, v31
	v_bfrev_b32_e32 v1, 60
	v_lshlrev_b32_e32 v25, 20, v25
	v_and_b32_e32 v26, 0x80000000, v26
	v_lshl_add_u32 v0, v0, 23, v1
	v_or3_b32 v48, v26, v0, v25
.LBB315_214:                            ;   in Loop: Header=BB315_13 Depth=1
	s_or_b64 exec, exec, s[44:45]
.LBB315_215:                            ;   in Loop: Header=BB315_13 Depth=1
	s_or_b64 exec, exec, s[42:43]
.LBB315_216:                            ;   in Loop: Header=BB315_13 Depth=1
	s_or_b64 exec, exec, s[6:7]
	v_lshrrev_b16_e32 v32, 8, v31
	v_cmp_ne_u16_e64 s[4:5], 0, v32
	s_and_saveexec_b64 s[6:7], s[4:5]
	s_cbranch_execz .LBB315_222
; %bb.217:                              ;   in Loop: Header=BB315_13 Depth=1
	v_cmp_ne_u16_e64 s[4:5], s52, v32
	v_bfrev_b32_e32 v50, 1
	s_and_saveexec_b64 s[42:43], s[4:5]
	s_cbranch_execz .LBB315_221
; %bb.218:                              ;   in Loop: Header=BB315_13 Depth=1
	v_and_b32_e32 v0, 0x7f, v32
	v_cmp_ne_u32_e64 s[4:5], s53, v0
	v_mov_b32_e32 v50, 0x7f800001
	s_and_saveexec_b64 s[44:45], s[4:5]
	s_cbranch_execz .LBB315_220
; %bb.219:                              ;   in Loop: Header=BB315_13 Depth=1
	v_and_b32_e32 v33, 7, v32
	v_lshrrev_b32_e32 v34, 3, v0
	v_cmp_gt_u32_e64 s[4:5], 8, v0
	v_ffbh_u32_e32 v0, v33
	v_min_u32_e32 v0, 32, v0
	v_subrev_u32_e32 v25, 28, v0
	v_lshlrev_b64 v[25:26], v25, v[32:33]
	v_sub_u32_e32 v0, 29, v0
	v_and_b32_e32 v25, 7, v25
	v_cndmask_b32_e64 v0, v34, v0, s[4:5]
	v_cndmask_b32_e64 v25, v33, v25, s[4:5]
	v_lshlrev_b32_e32 v26, 16, v31
	v_bfrev_b32_e32 v1, 60
	v_lshlrev_b32_e32 v25, 20, v25
	v_and_b32_e32 v26, 0x80000000, v26
	v_lshl_add_u32 v0, v0, 23, v1
	v_or3_b32 v50, v26, v0, v25
.LBB315_220:                            ;   in Loop: Header=BB315_13 Depth=1
	s_or_b64 exec, exec, s[44:45]
.LBB315_221:                            ;   in Loop: Header=BB315_13 Depth=1
	s_or_b64 exec, exec, s[42:43]
.LBB315_222:                            ;   in Loop: Header=BB315_13 Depth=1
	s_or_b64 exec, exec, s[6:7]
	v_lshrrev_b32_e32 v32, 16, v31
	v_cmp_ne_u16_sdwa s[4:5], v32, v45 src0_sel:BYTE_0 src1_sel:DWORD
	v_mov_b32_e32 v63, 0
	v_mov_b32_e32 v0, 0
	buffer_store_dword v0, off, s[60:63], 0 offset:16 ; 4-byte Folded Spill
	s_and_saveexec_b64 s[6:7], s[4:5]
	s_cbranch_execz .LBB315_228
; %bb.223:                              ;   in Loop: Header=BB315_13 Depth=1
	v_cmp_ne_u16_sdwa s[4:5], v32, s52 src0_sel:BYTE_0 src1_sel:DWORD
	v_bfrev_b32_e32 v0, 1
	buffer_store_dword v0, off, s[60:63], 0 offset:16 ; 4-byte Folded Spill
	s_and_saveexec_b64 s[42:43], s[4:5]
	s_cbranch_execz .LBB315_227
; %bb.224:                              ;   in Loop: Header=BB315_13 Depth=1
	v_bfe_u32 v0, v31, 16, 7
	v_cmp_ne_u32_e64 s[4:5], s53, v0
	v_mov_b32_e32 v1, 0x7f800001
	buffer_store_dword v1, off, s[60:63], 0 offset:16 ; 4-byte Folded Spill
	s_and_saveexec_b64 s[44:45], s[4:5]
	s_cbranch_execz .LBB315_226
; %bb.225:                              ;   in Loop: Header=BB315_13 Depth=1
	v_and_b32_e32 v33, 7, v32
	v_lshrrev_b32_e32 v34, 3, v0
	v_cmp_gt_u32_e64 s[4:5], 8, v0
	v_ffbh_u32_e32 v0, v33
	v_min_u32_e32 v0, 32, v0
	v_subrev_u32_e32 v25, 28, v0
	v_lshlrev_b64 v[25:26], v25, v[32:33]
	v_sub_u32_e32 v0, 29, v0
	v_and_b32_e32 v25, 7, v25
	v_cndmask_b32_e64 v0, v34, v0, s[4:5]
	v_cndmask_b32_e64 v25, v33, v25, s[4:5]
	v_lshlrev_b32_e32 v26, 24, v32
	v_bfrev_b32_e32 v1, 60
	v_lshlrev_b32_e32 v25, 20, v25
	v_and_b32_e32 v26, 0x80000000, v26
	v_lshl_add_u32 v0, v0, 23, v1
	v_or3_b32 v0, v26, v0, v25
	buffer_store_dword v0, off, s[60:63], 0 offset:16 ; 4-byte Folded Spill
.LBB315_226:                            ;   in Loop: Header=BB315_13 Depth=1
	s_or_b64 exec, exec, s[44:45]
.LBB315_227:                            ;   in Loop: Header=BB315_13 Depth=1
	s_or_b64 exec, exec, s[42:43]
.LBB315_228:                            ;   in Loop: Header=BB315_13 Depth=1
	s_or_b64 exec, exec, s[6:7]
	v_cmp_lt_u32_e64 s[4:5], s54, v31
	s_and_saveexec_b64 s[6:7], s[4:5]
	s_cbranch_execz .LBB315_234
; %bb.229:                              ;   in Loop: Header=BB315_13 Depth=1
	v_lshrrev_b32_e32 v32, 24, v31
	v_cmp_ne_u32_e64 s[4:5], s52, v32
	v_bfrev_b32_e32 v63, 1
	s_and_saveexec_b64 s[42:43], s[4:5]
	s_cbranch_execz .LBB315_233
; %bb.230:                              ;   in Loop: Header=BB315_13 Depth=1
	v_bfe_u32 v0, v31, 24, 7
	v_cmp_ne_u32_e64 s[4:5], s53, v0
	v_mov_b32_e32 v63, 0x7f800001
	s_and_saveexec_b64 s[44:45], s[4:5]
	s_cbranch_execz .LBB315_232
; %bb.231:                              ;   in Loop: Header=BB315_13 Depth=1
	v_and_b32_e32 v31, 7, v32
	v_lshrrev_b32_e32 v33, 3, v0
	v_cmp_gt_u32_e64 s[4:5], 8, v0
	v_ffbh_u32_e32 v0, v31
	v_min_u32_e32 v0, 32, v0
	v_subrev_u32_e32 v25, 28, v0
	v_lshlrev_b64 v[25:26], v25, v[32:33]
	v_sub_u32_e32 v0, 29, v0
	v_and_b32_e32 v25, 7, v25
	v_cndmask_b32_e64 v0, v33, v0, s[4:5]
	v_cndmask_b32_e64 v25, v31, v25, s[4:5]
	v_lshlrev_b32_e32 v26, 24, v32
	v_bfrev_b32_e32 v1, 60
	v_lshlrev_b32_e32 v25, 20, v25
	v_and_b32_e32 v26, 0x80000000, v26
	v_lshl_add_u32 v0, v0, 23, v1
	v_or3_b32 v63, v26, v0, v25
.LBB315_232:                            ;   in Loop: Header=BB315_13 Depth=1
	s_or_b64 exec, exec, s[44:45]
.LBB315_233:                            ;   in Loop: Header=BB315_13 Depth=1
	s_or_b64 exec, exec, s[42:43]
.LBB315_234:                            ;   in Loop: Header=BB315_13 Depth=1
	s_or_b64 exec, exec, s[6:7]
	global_load_dword v31, v[29:30], off offset:2056
	v_mov_b32_e32 v0, 0
	buffer_store_dword v0, off, s[60:63], 0 offset:24 ; 4-byte Folded Spill
	v_mov_b32_e32 v0, 0
	buffer_store_dword v0, off, s[60:63], 0 offset:20 ; 4-byte Folded Spill
	s_waitcnt vmcnt(2)
	v_cmp_ne_u16_sdwa s[4:5], v31, v45 src0_sel:BYTE_0 src1_sel:DWORD
	s_and_saveexec_b64 s[6:7], s[4:5]
	s_cbranch_execz .LBB315_240
; %bb.235:                              ;   in Loop: Header=BB315_13 Depth=1
	v_cmp_ne_u16_sdwa s[4:5], v31, s52 src0_sel:BYTE_0 src1_sel:DWORD
	v_bfrev_b32_e32 v0, 1
	buffer_store_dword v0, off, s[60:63], 0 offset:20 ; 4-byte Folded Spill
	s_and_saveexec_b64 s[42:43], s[4:5]
	s_cbranch_execz .LBB315_239
; %bb.236:                              ;   in Loop: Header=BB315_13 Depth=1
	v_and_b32_e32 v0, 0x7f, v31
	v_cmp_ne_u32_e64 s[4:5], s53, v0
	v_mov_b32_e32 v1, 0x7f800001
	buffer_store_dword v1, off, s[60:63], 0 offset:20 ; 4-byte Folded Spill
	s_and_saveexec_b64 s[44:45], s[4:5]
	s_cbranch_execz .LBB315_238
; %bb.237:                              ;   in Loop: Header=BB315_13 Depth=1
	v_and_b32_e32 v32, 7, v31
	v_lshrrev_b32_e32 v33, 3, v0
	v_cmp_gt_u32_e64 s[4:5], 8, v0
	v_ffbh_u32_e32 v0, v32
	v_min_u32_e32 v0, 32, v0
	v_subrev_u32_e32 v25, 28, v0
	v_lshlrev_b64 v[25:26], v25, v[31:32]
	v_sub_u32_e32 v0, 29, v0
	v_and_b32_e32 v25, 7, v25
	v_cndmask_b32_e64 v0, v33, v0, s[4:5]
	v_cndmask_b32_e64 v25, v32, v25, s[4:5]
	v_lshlrev_b32_e32 v26, 24, v31
	v_bfrev_b32_e32 v1, 60
	v_lshlrev_b32_e32 v25, 20, v25
	v_and_b32_e32 v26, 0x80000000, v26
	v_lshl_add_u32 v0, v0, 23, v1
	v_or3_b32 v0, v26, v0, v25
	buffer_store_dword v0, off, s[60:63], 0 offset:20 ; 4-byte Folded Spill
.LBB315_238:                            ;   in Loop: Header=BB315_13 Depth=1
	s_or_b64 exec, exec, s[44:45]
.LBB315_239:                            ;   in Loop: Header=BB315_13 Depth=1
	s_or_b64 exec, exec, s[42:43]
.LBB315_240:                            ;   in Loop: Header=BB315_13 Depth=1
	s_or_b64 exec, exec, s[6:7]
	v_lshrrev_b16_e32 v32, 8, v31
	v_cmp_ne_u16_e64 s[4:5], 0, v32
	s_and_saveexec_b64 s[6:7], s[4:5]
	s_cbranch_execz .LBB315_246
; %bb.241:                              ;   in Loop: Header=BB315_13 Depth=1
	v_cmp_ne_u16_e64 s[4:5], s52, v32
	v_bfrev_b32_e32 v0, 1
	buffer_store_dword v0, off, s[60:63], 0 offset:24 ; 4-byte Folded Spill
	s_and_saveexec_b64 s[42:43], s[4:5]
	s_cbranch_execz .LBB315_245
; %bb.242:                              ;   in Loop: Header=BB315_13 Depth=1
	v_and_b32_e32 v0, 0x7f, v32
	v_cmp_ne_u32_e64 s[4:5], s53, v0
	v_mov_b32_e32 v1, 0x7f800001
	buffer_store_dword v1, off, s[60:63], 0 offset:24 ; 4-byte Folded Spill
	s_and_saveexec_b64 s[44:45], s[4:5]
	s_cbranch_execz .LBB315_244
; %bb.243:                              ;   in Loop: Header=BB315_13 Depth=1
	v_and_b32_e32 v33, 7, v32
	v_lshrrev_b32_e32 v34, 3, v0
	v_cmp_gt_u32_e64 s[4:5], 8, v0
	v_ffbh_u32_e32 v0, v33
	v_min_u32_e32 v0, 32, v0
	v_subrev_u32_e32 v25, 28, v0
	v_lshlrev_b64 v[25:26], v25, v[32:33]
	v_sub_u32_e32 v0, 29, v0
	v_and_b32_e32 v25, 7, v25
	v_cndmask_b32_e64 v0, v34, v0, s[4:5]
	v_cndmask_b32_e64 v25, v33, v25, s[4:5]
	v_lshlrev_b32_e32 v26, 16, v31
	v_bfrev_b32_e32 v1, 60
	v_lshlrev_b32_e32 v25, 20, v25
	v_and_b32_e32 v26, 0x80000000, v26
	v_lshl_add_u32 v0, v0, 23, v1
	v_or3_b32 v0, v26, v0, v25
	buffer_store_dword v0, off, s[60:63], 0 offset:24 ; 4-byte Folded Spill
.LBB315_244:                            ;   in Loop: Header=BB315_13 Depth=1
	s_or_b64 exec, exec, s[44:45]
.LBB315_245:                            ;   in Loop: Header=BB315_13 Depth=1
	s_or_b64 exec, exec, s[42:43]
.LBB315_246:                            ;   in Loop: Header=BB315_13 Depth=1
	s_or_b64 exec, exec, s[6:7]
	v_lshrrev_b32_e32 v32, 16, v31
	v_mov_b32_e32 v0, 0
	v_cmp_ne_u16_sdwa s[4:5], v32, v45 src0_sel:BYTE_0 src1_sel:DWORD
	buffer_store_dword v0, off, s[60:63], 0 offset:60 ; 4-byte Folded Spill
	v_mov_b32_e32 v0, 0
	buffer_store_dword v0, off, s[60:63], 0 offset:28 ; 4-byte Folded Spill
	s_and_saveexec_b64 s[6:7], s[4:5]
	s_cbranch_execz .LBB315_252
; %bb.247:                              ;   in Loop: Header=BB315_13 Depth=1
	v_cmp_ne_u16_sdwa s[4:5], v32, s52 src0_sel:BYTE_0 src1_sel:DWORD
	v_bfrev_b32_e32 v0, 1
	buffer_store_dword v0, off, s[60:63], 0 offset:28 ; 4-byte Folded Spill
	s_and_saveexec_b64 s[42:43], s[4:5]
	s_cbranch_execz .LBB315_251
; %bb.248:                              ;   in Loop: Header=BB315_13 Depth=1
	v_bfe_u32 v0, v31, 16, 7
	v_cmp_ne_u32_e64 s[4:5], s53, v0
	v_mov_b32_e32 v1, 0x7f800001
	buffer_store_dword v1, off, s[60:63], 0 offset:28 ; 4-byte Folded Spill
	s_and_saveexec_b64 s[44:45], s[4:5]
	s_cbranch_execz .LBB315_250
; %bb.249:                              ;   in Loop: Header=BB315_13 Depth=1
	v_and_b32_e32 v33, 7, v32
	v_lshrrev_b32_e32 v34, 3, v0
	v_cmp_gt_u32_e64 s[4:5], 8, v0
	v_ffbh_u32_e32 v0, v33
	v_min_u32_e32 v0, 32, v0
	v_subrev_u32_e32 v25, 28, v0
	v_lshlrev_b64 v[25:26], v25, v[32:33]
	v_sub_u32_e32 v0, 29, v0
	v_and_b32_e32 v25, 7, v25
	v_cndmask_b32_e64 v0, v34, v0, s[4:5]
	v_cndmask_b32_e64 v25, v33, v25, s[4:5]
	v_lshlrev_b32_e32 v26, 24, v32
	v_bfrev_b32_e32 v1, 60
	v_lshlrev_b32_e32 v25, 20, v25
	v_and_b32_e32 v26, 0x80000000, v26
	v_lshl_add_u32 v0, v0, 23, v1
	v_or3_b32 v0, v26, v0, v25
	buffer_store_dword v0, off, s[60:63], 0 offset:28 ; 4-byte Folded Spill
.LBB315_250:                            ;   in Loop: Header=BB315_13 Depth=1
	s_or_b64 exec, exec, s[44:45]
.LBB315_251:                            ;   in Loop: Header=BB315_13 Depth=1
	s_or_b64 exec, exec, s[42:43]
.LBB315_252:                            ;   in Loop: Header=BB315_13 Depth=1
	s_or_b64 exec, exec, s[6:7]
	v_cmp_lt_u32_e64 s[4:5], s54, v31
	s_and_saveexec_b64 s[6:7], s[4:5]
	s_cbranch_execz .LBB315_258
; %bb.253:                              ;   in Loop: Header=BB315_13 Depth=1
	v_lshrrev_b32_e32 v32, 24, v31
	v_cmp_ne_u32_e64 s[4:5], s52, v32
	v_bfrev_b32_e32 v0, 1
	buffer_store_dword v0, off, s[60:63], 0 offset:60 ; 4-byte Folded Spill
	s_and_saveexec_b64 s[42:43], s[4:5]
	s_cbranch_execz .LBB315_257
; %bb.254:                              ;   in Loop: Header=BB315_13 Depth=1
	v_bfe_u32 v0, v31, 24, 7
	v_cmp_ne_u32_e64 s[4:5], s53, v0
	v_mov_b32_e32 v1, 0x7f800001
	s_and_saveexec_b64 s[44:45], s[4:5]
	s_cbranch_execz .LBB315_256
; %bb.255:                              ;   in Loop: Header=BB315_13 Depth=1
	v_and_b32_e32 v31, 7, v32
	v_lshrrev_b32_e32 v33, 3, v0
	v_cmp_gt_u32_e64 s[4:5], 8, v0
	v_ffbh_u32_e32 v0, v31
	v_min_u32_e32 v0, 32, v0
	v_subrev_u32_e32 v25, 28, v0
	v_lshlrev_b64 v[25:26], v25, v[32:33]
	v_sub_u32_e32 v0, 29, v0
	v_and_b32_e32 v25, 7, v25
	v_cndmask_b32_e64 v0, v33, v0, s[4:5]
	v_cndmask_b32_e64 v25, v31, v25, s[4:5]
	v_lshlrev_b32_e32 v26, 24, v32
	v_bfrev_b32_e32 v1, 60
	v_lshlrev_b32_e32 v25, 20, v25
	v_and_b32_e32 v26, 0x80000000, v26
	v_lshl_add_u32 v0, v0, 23, v1
	v_or3_b32 v1, v26, v0, v25
.LBB315_256:                            ;   in Loop: Header=BB315_13 Depth=1
	s_or_b64 exec, exec, s[44:45]
	buffer_store_dword v1, off, s[60:63], 0 offset:60 ; 4-byte Folded Spill
.LBB315_257:                            ;   in Loop: Header=BB315_13 Depth=1
	s_or_b64 exec, exec, s[42:43]
.LBB315_258:                            ;   in Loop: Header=BB315_13 Depth=1
	s_or_b64 exec, exec, s[6:7]
	global_load_dword v31, v[29:30], off offset:2560
	v_mov_b32_e32 v0, 0
	buffer_store_dword v0, off, s[60:63], 0 offset:36 ; 4-byte Folded Spill
	v_mov_b32_e32 v0, 0
	buffer_store_dword v0, off, s[60:63], 0 offset:32 ; 4-byte Folded Spill
	s_waitcnt vmcnt(2)
	v_cmp_ne_u16_sdwa s[4:5], v31, v45 src0_sel:BYTE_0 src1_sel:DWORD
	s_and_saveexec_b64 s[6:7], s[4:5]
	s_cbranch_execz .LBB315_264
; %bb.259:                              ;   in Loop: Header=BB315_13 Depth=1
	v_cmp_ne_u16_sdwa s[4:5], v31, s52 src0_sel:BYTE_0 src1_sel:DWORD
	v_bfrev_b32_e32 v0, 1
	buffer_store_dword v0, off, s[60:63], 0 offset:32 ; 4-byte Folded Spill
	s_and_saveexec_b64 s[42:43], s[4:5]
	s_cbranch_execz .LBB315_263
; %bb.260:                              ;   in Loop: Header=BB315_13 Depth=1
	v_and_b32_e32 v0, 0x7f, v31
	v_cmp_ne_u32_e64 s[4:5], s53, v0
	v_mov_b32_e32 v1, 0x7f800001
	buffer_store_dword v1, off, s[60:63], 0 offset:32 ; 4-byte Folded Spill
	s_and_saveexec_b64 s[44:45], s[4:5]
	s_cbranch_execz .LBB315_262
; %bb.261:                              ;   in Loop: Header=BB315_13 Depth=1
	v_and_b32_e32 v32, 7, v31
	v_lshrrev_b32_e32 v33, 3, v0
	v_cmp_gt_u32_e64 s[4:5], 8, v0
	v_ffbh_u32_e32 v0, v32
	v_min_u32_e32 v0, 32, v0
	v_subrev_u32_e32 v25, 28, v0
	v_lshlrev_b64 v[25:26], v25, v[31:32]
	v_sub_u32_e32 v0, 29, v0
	v_and_b32_e32 v25, 7, v25
	v_cndmask_b32_e64 v0, v33, v0, s[4:5]
	v_cndmask_b32_e64 v25, v32, v25, s[4:5]
	v_lshlrev_b32_e32 v26, 24, v31
	v_bfrev_b32_e32 v1, 60
	v_lshlrev_b32_e32 v25, 20, v25
	v_and_b32_e32 v26, 0x80000000, v26
	v_lshl_add_u32 v0, v0, 23, v1
	v_or3_b32 v0, v26, v0, v25
	buffer_store_dword v0, off, s[60:63], 0 offset:32 ; 4-byte Folded Spill
.LBB315_262:                            ;   in Loop: Header=BB315_13 Depth=1
	s_or_b64 exec, exec, s[44:45]
.LBB315_263:                            ;   in Loop: Header=BB315_13 Depth=1
	s_or_b64 exec, exec, s[42:43]
.LBB315_264:                            ;   in Loop: Header=BB315_13 Depth=1
	s_or_b64 exec, exec, s[6:7]
	v_lshrrev_b16_e32 v32, 8, v31
	v_cmp_ne_u16_e64 s[4:5], 0, v32
	s_and_saveexec_b64 s[6:7], s[4:5]
	s_cbranch_execz .LBB315_270
; %bb.265:                              ;   in Loop: Header=BB315_13 Depth=1
	v_cmp_ne_u16_e64 s[4:5], s52, v32
	v_bfrev_b32_e32 v0, 1
	buffer_store_dword v0, off, s[60:63], 0 offset:36 ; 4-byte Folded Spill
	s_and_saveexec_b64 s[42:43], s[4:5]
	s_cbranch_execz .LBB315_269
; %bb.266:                              ;   in Loop: Header=BB315_13 Depth=1
	v_and_b32_e32 v0, 0x7f, v32
	v_cmp_ne_u32_e64 s[4:5], s53, v0
	v_mov_b32_e32 v1, 0x7f800001
	buffer_store_dword v1, off, s[60:63], 0 offset:36 ; 4-byte Folded Spill
	s_and_saveexec_b64 s[44:45], s[4:5]
	s_cbranch_execz .LBB315_268
; %bb.267:                              ;   in Loop: Header=BB315_13 Depth=1
	v_and_b32_e32 v33, 7, v32
	v_lshrrev_b32_e32 v34, 3, v0
	v_cmp_gt_u32_e64 s[4:5], 8, v0
	v_ffbh_u32_e32 v0, v33
	v_min_u32_e32 v0, 32, v0
	v_subrev_u32_e32 v25, 28, v0
	v_lshlrev_b64 v[25:26], v25, v[32:33]
	v_sub_u32_e32 v0, 29, v0
	v_and_b32_e32 v25, 7, v25
	v_cndmask_b32_e64 v0, v34, v0, s[4:5]
	v_cndmask_b32_e64 v25, v33, v25, s[4:5]
	v_lshlrev_b32_e32 v26, 16, v31
	v_bfrev_b32_e32 v1, 60
	v_lshlrev_b32_e32 v25, 20, v25
	v_and_b32_e32 v26, 0x80000000, v26
	v_lshl_add_u32 v0, v0, 23, v1
	v_or3_b32 v0, v26, v0, v25
	buffer_store_dword v0, off, s[60:63], 0 offset:36 ; 4-byte Folded Spill
.LBB315_268:                            ;   in Loop: Header=BB315_13 Depth=1
	s_or_b64 exec, exec, s[44:45]
.LBB315_269:                            ;   in Loop: Header=BB315_13 Depth=1
	s_or_b64 exec, exec, s[42:43]
.LBB315_270:                            ;   in Loop: Header=BB315_13 Depth=1
	s_or_b64 exec, exec, s[6:7]
	v_lshrrev_b32_e32 v32, 16, v31
	v_mov_b32_e32 v0, 0
	v_cmp_ne_u16_sdwa s[4:5], v32, v45 src0_sel:BYTE_0 src1_sel:DWORD
	buffer_store_dword v0, off, s[60:63], 0 offset:64 ; 4-byte Folded Spill
	v_mov_b32_e32 v0, 0
	buffer_store_dword v0, off, s[60:63], 0 offset:40 ; 4-byte Folded Spill
	s_and_saveexec_b64 s[6:7], s[4:5]
	s_cbranch_execz .LBB315_276
; %bb.271:                              ;   in Loop: Header=BB315_13 Depth=1
	v_cmp_ne_u16_sdwa s[4:5], v32, s52 src0_sel:BYTE_0 src1_sel:DWORD
	v_bfrev_b32_e32 v0, 1
	buffer_store_dword v0, off, s[60:63], 0 offset:40 ; 4-byte Folded Spill
	s_and_saveexec_b64 s[42:43], s[4:5]
	s_cbranch_execz .LBB315_275
; %bb.272:                              ;   in Loop: Header=BB315_13 Depth=1
	v_bfe_u32 v0, v31, 16, 7
	v_cmp_ne_u32_e64 s[4:5], s53, v0
	v_mov_b32_e32 v1, 0x7f800001
	buffer_store_dword v1, off, s[60:63], 0 offset:40 ; 4-byte Folded Spill
	s_and_saveexec_b64 s[44:45], s[4:5]
	s_cbranch_execz .LBB315_274
; %bb.273:                              ;   in Loop: Header=BB315_13 Depth=1
	v_and_b32_e32 v33, 7, v32
	v_lshrrev_b32_e32 v34, 3, v0
	v_cmp_gt_u32_e64 s[4:5], 8, v0
	v_ffbh_u32_e32 v0, v33
	v_min_u32_e32 v0, 32, v0
	v_subrev_u32_e32 v25, 28, v0
	v_lshlrev_b64 v[25:26], v25, v[32:33]
	v_sub_u32_e32 v0, 29, v0
	v_and_b32_e32 v25, 7, v25
	v_cndmask_b32_e64 v0, v34, v0, s[4:5]
	v_cndmask_b32_e64 v25, v33, v25, s[4:5]
	v_lshlrev_b32_e32 v26, 24, v32
	v_bfrev_b32_e32 v1, 60
	v_lshlrev_b32_e32 v25, 20, v25
	v_and_b32_e32 v26, 0x80000000, v26
	v_lshl_add_u32 v0, v0, 23, v1
	v_or3_b32 v0, v26, v0, v25
	buffer_store_dword v0, off, s[60:63], 0 offset:40 ; 4-byte Folded Spill
.LBB315_274:                            ;   in Loop: Header=BB315_13 Depth=1
	s_or_b64 exec, exec, s[44:45]
.LBB315_275:                            ;   in Loop: Header=BB315_13 Depth=1
	s_or_b64 exec, exec, s[42:43]
.LBB315_276:                            ;   in Loop: Header=BB315_13 Depth=1
	s_or_b64 exec, exec, s[6:7]
	v_cmp_lt_u32_e64 s[4:5], s54, v31
	s_and_saveexec_b64 s[6:7], s[4:5]
	s_cbranch_execz .LBB315_282
; %bb.277:                              ;   in Loop: Header=BB315_13 Depth=1
	v_lshrrev_b32_e32 v32, 24, v31
	v_cmp_ne_u32_e64 s[4:5], s52, v32
	v_bfrev_b32_e32 v0, 1
	buffer_store_dword v0, off, s[60:63], 0 offset:64 ; 4-byte Folded Spill
	s_and_saveexec_b64 s[42:43], s[4:5]
	s_cbranch_execz .LBB315_281
; %bb.278:                              ;   in Loop: Header=BB315_13 Depth=1
	v_bfe_u32 v0, v31, 24, 7
	v_cmp_ne_u32_e64 s[4:5], s53, v0
	v_mov_b32_e32 v1, 0x7f800001
	s_and_saveexec_b64 s[44:45], s[4:5]
	s_cbranch_execz .LBB315_280
; %bb.279:                              ;   in Loop: Header=BB315_13 Depth=1
	v_and_b32_e32 v31, 7, v32
	v_lshrrev_b32_e32 v33, 3, v0
	v_cmp_gt_u32_e64 s[4:5], 8, v0
	v_ffbh_u32_e32 v0, v31
	v_min_u32_e32 v0, 32, v0
	v_subrev_u32_e32 v25, 28, v0
	v_lshlrev_b64 v[25:26], v25, v[32:33]
	v_sub_u32_e32 v0, 29, v0
	v_and_b32_e32 v25, 7, v25
	v_cndmask_b32_e64 v0, v33, v0, s[4:5]
	v_cndmask_b32_e64 v25, v31, v25, s[4:5]
	v_lshlrev_b32_e32 v26, 24, v32
	v_bfrev_b32_e32 v1, 60
	v_lshlrev_b32_e32 v25, 20, v25
	v_and_b32_e32 v26, 0x80000000, v26
	v_lshl_add_u32 v0, v0, 23, v1
	v_or3_b32 v1, v26, v0, v25
.LBB315_280:                            ;   in Loop: Header=BB315_13 Depth=1
	s_or_b64 exec, exec, s[44:45]
	buffer_store_dword v1, off, s[60:63], 0 offset:64 ; 4-byte Folded Spill
.LBB315_281:                            ;   in Loop: Header=BB315_13 Depth=1
	s_or_b64 exec, exec, s[42:43]
.LBB315_282:                            ;   in Loop: Header=BB315_13 Depth=1
	s_or_b64 exec, exec, s[6:7]
	global_load_dword v31, v[29:30], off offset:2568
	v_mov_b32_e32 v0, 0
	buffer_store_dword v0, off, s[60:63], 0 offset:48 ; 4-byte Folded Spill
	v_mov_b32_e32 v0, 0
	buffer_store_dword v0, off, s[60:63], 0 offset:44 ; 4-byte Folded Spill
	s_waitcnt vmcnt(2)
	v_cmp_ne_u16_sdwa s[4:5], v31, v45 src0_sel:BYTE_0 src1_sel:DWORD
	s_and_saveexec_b64 s[6:7], s[4:5]
	s_cbranch_execz .LBB315_288
; %bb.283:                              ;   in Loop: Header=BB315_13 Depth=1
	v_cmp_ne_u16_sdwa s[4:5], v31, s52 src0_sel:BYTE_0 src1_sel:DWORD
	v_bfrev_b32_e32 v0, 1
	buffer_store_dword v0, off, s[60:63], 0 offset:44 ; 4-byte Folded Spill
	s_and_saveexec_b64 s[42:43], s[4:5]
	s_cbranch_execz .LBB315_287
; %bb.284:                              ;   in Loop: Header=BB315_13 Depth=1
	v_and_b32_e32 v0, 0x7f, v31
	v_cmp_ne_u32_e64 s[4:5], s53, v0
	v_mov_b32_e32 v1, 0x7f800001
	buffer_store_dword v1, off, s[60:63], 0 offset:44 ; 4-byte Folded Spill
	s_and_saveexec_b64 s[44:45], s[4:5]
	s_cbranch_execz .LBB315_286
; %bb.285:                              ;   in Loop: Header=BB315_13 Depth=1
	v_and_b32_e32 v32, 7, v31
	v_lshrrev_b32_e32 v33, 3, v0
	v_cmp_gt_u32_e64 s[4:5], 8, v0
	v_ffbh_u32_e32 v0, v32
	v_min_u32_e32 v0, 32, v0
	v_subrev_u32_e32 v25, 28, v0
	v_lshlrev_b64 v[25:26], v25, v[31:32]
	v_sub_u32_e32 v0, 29, v0
	v_and_b32_e32 v25, 7, v25
	v_cndmask_b32_e64 v0, v33, v0, s[4:5]
	v_cndmask_b32_e64 v25, v32, v25, s[4:5]
	v_lshlrev_b32_e32 v26, 24, v31
	v_bfrev_b32_e32 v1, 60
	v_lshlrev_b32_e32 v25, 20, v25
	v_and_b32_e32 v26, 0x80000000, v26
	v_lshl_add_u32 v0, v0, 23, v1
	v_or3_b32 v0, v26, v0, v25
	buffer_store_dword v0, off, s[60:63], 0 offset:44 ; 4-byte Folded Spill
.LBB315_286:                            ;   in Loop: Header=BB315_13 Depth=1
	s_or_b64 exec, exec, s[44:45]
.LBB315_287:                            ;   in Loop: Header=BB315_13 Depth=1
	s_or_b64 exec, exec, s[42:43]
.LBB315_288:                            ;   in Loop: Header=BB315_13 Depth=1
	s_or_b64 exec, exec, s[6:7]
	v_lshrrev_b16_e32 v32, 8, v31
	v_cmp_ne_u16_e64 s[4:5], 0, v32
	s_and_saveexec_b64 s[6:7], s[4:5]
	s_cbranch_execz .LBB315_294
; %bb.289:                              ;   in Loop: Header=BB315_13 Depth=1
	v_cmp_ne_u16_e64 s[4:5], s52, v32
	v_bfrev_b32_e32 v0, 1
	buffer_store_dword v0, off, s[60:63], 0 offset:48 ; 4-byte Folded Spill
	s_and_saveexec_b64 s[42:43], s[4:5]
	s_cbranch_execz .LBB315_293
; %bb.290:                              ;   in Loop: Header=BB315_13 Depth=1
	v_and_b32_e32 v0, 0x7f, v32
	v_cmp_ne_u32_e64 s[4:5], s53, v0
	v_mov_b32_e32 v1, 0x7f800001
	buffer_store_dword v1, off, s[60:63], 0 offset:48 ; 4-byte Folded Spill
	s_and_saveexec_b64 s[44:45], s[4:5]
	s_cbranch_execz .LBB315_292
; %bb.291:                              ;   in Loop: Header=BB315_13 Depth=1
	v_and_b32_e32 v33, 7, v32
	v_lshrrev_b32_e32 v34, 3, v0
	v_cmp_gt_u32_e64 s[4:5], 8, v0
	v_ffbh_u32_e32 v0, v33
	v_min_u32_e32 v0, 32, v0
	v_subrev_u32_e32 v25, 28, v0
	v_lshlrev_b64 v[25:26], v25, v[32:33]
	v_sub_u32_e32 v0, 29, v0
	v_and_b32_e32 v25, 7, v25
	v_cndmask_b32_e64 v0, v34, v0, s[4:5]
	v_cndmask_b32_e64 v25, v33, v25, s[4:5]
	v_lshlrev_b32_e32 v26, 16, v31
	v_bfrev_b32_e32 v1, 60
	v_lshlrev_b32_e32 v25, 20, v25
	v_and_b32_e32 v26, 0x80000000, v26
	v_lshl_add_u32 v0, v0, 23, v1
	v_or3_b32 v0, v26, v0, v25
	buffer_store_dword v0, off, s[60:63], 0 offset:48 ; 4-byte Folded Spill
.LBB315_292:                            ;   in Loop: Header=BB315_13 Depth=1
	s_or_b64 exec, exec, s[44:45]
.LBB315_293:                            ;   in Loop: Header=BB315_13 Depth=1
	s_or_b64 exec, exec, s[42:43]
.LBB315_294:                            ;   in Loop: Header=BB315_13 Depth=1
	s_or_b64 exec, exec, s[6:7]
	v_lshrrev_b32_e32 v32, 16, v31
	v_mov_b32_e32 v0, 0
	v_cmp_ne_u16_sdwa s[4:5], v32, v45 src0_sel:BYTE_0 src1_sel:DWORD
	buffer_store_dword v0, off, s[60:63], 0 offset:68 ; 4-byte Folded Spill
	v_mov_b32_e32 v0, 0
	buffer_store_dword v0, off, s[60:63], 0 offset:52 ; 4-byte Folded Spill
	s_and_saveexec_b64 s[6:7], s[4:5]
	s_cbranch_execz .LBB315_300
; %bb.295:                              ;   in Loop: Header=BB315_13 Depth=1
	v_cmp_ne_u16_sdwa s[4:5], v32, s52 src0_sel:BYTE_0 src1_sel:DWORD
	v_bfrev_b32_e32 v0, 1
	buffer_store_dword v0, off, s[60:63], 0 offset:52 ; 4-byte Folded Spill
	s_and_saveexec_b64 s[42:43], s[4:5]
	s_cbranch_execz .LBB315_299
; %bb.296:                              ;   in Loop: Header=BB315_13 Depth=1
	v_bfe_u32 v0, v31, 16, 7
	v_cmp_ne_u32_e64 s[4:5], s53, v0
	v_mov_b32_e32 v1, 0x7f800001
	buffer_store_dword v1, off, s[60:63], 0 offset:52 ; 4-byte Folded Spill
	s_and_saveexec_b64 s[44:45], s[4:5]
	s_cbranch_execz .LBB315_298
; %bb.297:                              ;   in Loop: Header=BB315_13 Depth=1
	v_and_b32_e32 v33, 7, v32
	v_lshrrev_b32_e32 v34, 3, v0
	v_cmp_gt_u32_e64 s[4:5], 8, v0
	v_ffbh_u32_e32 v0, v33
	v_min_u32_e32 v0, 32, v0
	v_subrev_u32_e32 v25, 28, v0
	v_lshlrev_b64 v[25:26], v25, v[32:33]
	v_sub_u32_e32 v0, 29, v0
	v_and_b32_e32 v25, 7, v25
	v_cndmask_b32_e64 v0, v34, v0, s[4:5]
	v_cndmask_b32_e64 v25, v33, v25, s[4:5]
	v_lshlrev_b32_e32 v26, 24, v32
	v_bfrev_b32_e32 v1, 60
	v_lshlrev_b32_e32 v25, 20, v25
	v_and_b32_e32 v26, 0x80000000, v26
	v_lshl_add_u32 v0, v0, 23, v1
	v_or3_b32 v0, v26, v0, v25
	buffer_store_dword v0, off, s[60:63], 0 offset:52 ; 4-byte Folded Spill
.LBB315_298:                            ;   in Loop: Header=BB315_13 Depth=1
	s_or_b64 exec, exec, s[44:45]
.LBB315_299:                            ;   in Loop: Header=BB315_13 Depth=1
	s_or_b64 exec, exec, s[42:43]
.LBB315_300:                            ;   in Loop: Header=BB315_13 Depth=1
	s_or_b64 exec, exec, s[6:7]
	v_cmp_lt_u32_e64 s[4:5], s54, v31
	s_and_saveexec_b64 s[6:7], s[4:5]
	s_cbranch_execz .LBB315_306
; %bb.301:                              ;   in Loop: Header=BB315_13 Depth=1
	v_lshrrev_b32_e32 v32, 24, v31
	v_cmp_ne_u32_e64 s[4:5], s52, v32
	v_bfrev_b32_e32 v0, 1
	buffer_store_dword v0, off, s[60:63], 0 offset:68 ; 4-byte Folded Spill
	s_and_saveexec_b64 s[42:43], s[4:5]
	s_cbranch_execz .LBB315_305
; %bb.302:                              ;   in Loop: Header=BB315_13 Depth=1
	v_bfe_u32 v0, v31, 24, 7
	v_cmp_ne_u32_e64 s[4:5], s53, v0
	v_mov_b32_e32 v1, 0x7f800001
	s_and_saveexec_b64 s[44:45], s[4:5]
	s_cbranch_execz .LBB315_304
; %bb.303:                              ;   in Loop: Header=BB315_13 Depth=1
	v_and_b32_e32 v31, 7, v32
	v_lshrrev_b32_e32 v33, 3, v0
	v_cmp_gt_u32_e64 s[4:5], 8, v0
	v_ffbh_u32_e32 v0, v31
	v_min_u32_e32 v0, 32, v0
	v_subrev_u32_e32 v25, 28, v0
	v_lshlrev_b64 v[25:26], v25, v[32:33]
	v_sub_u32_e32 v0, 29, v0
	v_and_b32_e32 v25, 7, v25
	v_cndmask_b32_e64 v0, v33, v0, s[4:5]
	v_cndmask_b32_e64 v25, v31, v25, s[4:5]
	v_lshlrev_b32_e32 v26, 24, v32
	v_bfrev_b32_e32 v1, 60
	v_lshlrev_b32_e32 v25, 20, v25
	v_and_b32_e32 v26, 0x80000000, v26
	v_lshl_add_u32 v0, v0, 23, v1
	v_or3_b32 v1, v26, v0, v25
.LBB315_304:                            ;   in Loop: Header=BB315_13 Depth=1
	s_or_b64 exec, exec, s[44:45]
	buffer_store_dword v1, off, s[60:63], 0 offset:68 ; 4-byte Folded Spill
.LBB315_305:                            ;   in Loop: Header=BB315_13 Depth=1
	s_or_b64 exec, exec, s[42:43]
.LBB315_306:                            ;   in Loop: Header=BB315_13 Depth=1
	s_or_b64 exec, exec, s[6:7]
	global_load_dword v31, v[29:30], off offset:3072
	v_mov_b32_e32 v10, 0
	v_mov_b32_e32 v0, 0
	buffer_store_dword v0, off, s[60:63], 0 offset:56 ; 4-byte Folded Spill
	s_waitcnt vmcnt(1)
	v_cmp_ne_u16_sdwa s[4:5], v31, v45 src0_sel:BYTE_0 src1_sel:DWORD
	s_and_saveexec_b64 s[6:7], s[4:5]
	s_cbranch_execz .LBB315_312
; %bb.307:                              ;   in Loop: Header=BB315_13 Depth=1
	v_cmp_ne_u16_sdwa s[4:5], v31, s52 src0_sel:BYTE_0 src1_sel:DWORD
	v_bfrev_b32_e32 v0, 1
	buffer_store_dword v0, off, s[60:63], 0 offset:56 ; 4-byte Folded Spill
	s_and_saveexec_b64 s[42:43], s[4:5]
	s_cbranch_execz .LBB315_311
; %bb.308:                              ;   in Loop: Header=BB315_13 Depth=1
	v_and_b32_e32 v0, 0x7f, v31
	v_cmp_ne_u32_e64 s[4:5], s53, v0
	v_mov_b32_e32 v1, 0x7f800001
	buffer_store_dword v1, off, s[60:63], 0 offset:56 ; 4-byte Folded Spill
	s_and_saveexec_b64 s[44:45], s[4:5]
	s_cbranch_execz .LBB315_310
; %bb.309:                              ;   in Loop: Header=BB315_13 Depth=1
	v_and_b32_e32 v32, 7, v31
	v_lshrrev_b32_e32 v33, 3, v0
	v_cmp_gt_u32_e64 s[4:5], 8, v0
	v_ffbh_u32_e32 v0, v32
	v_min_u32_e32 v0, 32, v0
	v_subrev_u32_e32 v25, 28, v0
	v_lshlrev_b64 v[25:26], v25, v[31:32]
	v_sub_u32_e32 v0, 29, v0
	v_and_b32_e32 v25, 7, v25
	v_cndmask_b32_e64 v0, v33, v0, s[4:5]
	v_cndmask_b32_e64 v25, v32, v25, s[4:5]
	v_lshlrev_b32_e32 v26, 24, v31
	v_bfrev_b32_e32 v1, 60
	v_lshlrev_b32_e32 v25, 20, v25
	v_and_b32_e32 v26, 0x80000000, v26
	v_lshl_add_u32 v0, v0, 23, v1
	v_or3_b32 v0, v26, v0, v25
	buffer_store_dword v0, off, s[60:63], 0 offset:56 ; 4-byte Folded Spill
.LBB315_310:                            ;   in Loop: Header=BB315_13 Depth=1
	s_or_b64 exec, exec, s[44:45]
.LBB315_311:                            ;   in Loop: Header=BB315_13 Depth=1
	s_or_b64 exec, exec, s[42:43]
.LBB315_312:                            ;   in Loop: Header=BB315_13 Depth=1
	s_or_b64 exec, exec, s[6:7]
	v_lshrrev_b16_e32 v32, 8, v31
	v_cmp_ne_u16_e64 s[4:5], 0, v32
	s_and_saveexec_b64 s[6:7], s[4:5]
	s_cbranch_execz .LBB315_318
; %bb.313:                              ;   in Loop: Header=BB315_13 Depth=1
	v_cmp_ne_u16_e64 s[4:5], s52, v32
	v_bfrev_b32_e32 v10, 1
	s_and_saveexec_b64 s[42:43], s[4:5]
	s_cbranch_execz .LBB315_317
; %bb.314:                              ;   in Loop: Header=BB315_13 Depth=1
	v_and_b32_e32 v0, 0x7f, v32
	v_cmp_ne_u32_e64 s[4:5], s53, v0
	v_mov_b32_e32 v10, 0x7f800001
	s_and_saveexec_b64 s[44:45], s[4:5]
	s_cbranch_execz .LBB315_316
; %bb.315:                              ;   in Loop: Header=BB315_13 Depth=1
	v_and_b32_e32 v33, 7, v32
	v_lshrrev_b32_e32 v34, 3, v0
	v_cmp_gt_u32_e64 s[4:5], 8, v0
	v_ffbh_u32_e32 v0, v33
	v_min_u32_e32 v0, 32, v0
	v_subrev_u32_e32 v25, 28, v0
	v_lshlrev_b64 v[25:26], v25, v[32:33]
	v_sub_u32_e32 v0, 29, v0
	v_and_b32_e32 v25, 7, v25
	v_cndmask_b32_e64 v0, v34, v0, s[4:5]
	v_cndmask_b32_e64 v25, v33, v25, s[4:5]
	v_lshlrev_b32_e32 v26, 16, v31
	v_bfrev_b32_e32 v1, 60
	v_lshlrev_b32_e32 v25, 20, v25
	v_and_b32_e32 v26, 0x80000000, v26
	v_lshl_add_u32 v0, v0, 23, v1
	v_or3_b32 v10, v26, v0, v25
.LBB315_316:                            ;   in Loop: Header=BB315_13 Depth=1
	s_or_b64 exec, exec, s[44:45]
.LBB315_317:                            ;   in Loop: Header=BB315_13 Depth=1
	s_or_b64 exec, exec, s[42:43]
.LBB315_318:                            ;   in Loop: Header=BB315_13 Depth=1
	s_or_b64 exec, exec, s[6:7]
	v_lshrrev_b32_e32 v32, 16, v31
	buffer_store_dword v10, off, s[60:63], 0 offset:200 ; 4-byte Folded Spill
	v_cmp_ne_u16_sdwa s[4:5], v32, v45 src0_sel:BYTE_0 src1_sel:DWORD
	v_mov_b32_e32 v0, 0
	v_mov_b32_e32 v10, 0
	buffer_store_dword v0, off, s[60:63], 0 offset:72 ; 4-byte Folded Spill
	s_and_saveexec_b64 s[6:7], s[4:5]
	s_cbranch_execz .LBB315_324
; %bb.319:                              ;   in Loop: Header=BB315_13 Depth=1
	v_cmp_ne_u16_sdwa s[4:5], v32, s52 src0_sel:BYTE_0 src1_sel:DWORD
	v_bfrev_b32_e32 v10, 1
	s_and_saveexec_b64 s[42:43], s[4:5]
	s_cbranch_execz .LBB315_323
; %bb.320:                              ;   in Loop: Header=BB315_13 Depth=1
	v_bfe_u32 v0, v31, 16, 7
	v_cmp_ne_u32_e64 s[4:5], s53, v0
	v_mov_b32_e32 v10, 0x7f800001
	s_and_saveexec_b64 s[44:45], s[4:5]
	s_cbranch_execz .LBB315_322
; %bb.321:                              ;   in Loop: Header=BB315_13 Depth=1
	v_and_b32_e32 v33, 7, v32
	v_lshrrev_b32_e32 v34, 3, v0
	v_cmp_gt_u32_e64 s[4:5], 8, v0
	v_ffbh_u32_e32 v0, v33
	v_min_u32_e32 v0, 32, v0
	v_subrev_u32_e32 v25, 28, v0
	v_lshlrev_b64 v[25:26], v25, v[32:33]
	v_sub_u32_e32 v0, 29, v0
	v_and_b32_e32 v25, 7, v25
	v_cndmask_b32_e64 v0, v34, v0, s[4:5]
	v_cndmask_b32_e64 v25, v33, v25, s[4:5]
	v_lshlrev_b32_e32 v26, 24, v32
	v_bfrev_b32_e32 v1, 60
	v_lshlrev_b32_e32 v25, 20, v25
	v_and_b32_e32 v26, 0x80000000, v26
	v_lshl_add_u32 v0, v0, 23, v1
	v_or3_b32 v10, v26, v0, v25
.LBB315_322:                            ;   in Loop: Header=BB315_13 Depth=1
	s_or_b64 exec, exec, s[44:45]
.LBB315_323:                            ;   in Loop: Header=BB315_13 Depth=1
	s_or_b64 exec, exec, s[42:43]
.LBB315_324:                            ;   in Loop: Header=BB315_13 Depth=1
	s_or_b64 exec, exec, s[6:7]
	v_cmp_lt_u32_e64 s[4:5], s54, v31
	s_and_saveexec_b64 s[6:7], s[4:5]
	s_cbranch_execz .LBB315_330
; %bb.325:                              ;   in Loop: Header=BB315_13 Depth=1
	v_lshrrev_b32_e32 v32, 24, v31
	v_cmp_ne_u32_e64 s[4:5], s52, v32
	v_bfrev_b32_e32 v0, 1
	buffer_store_dword v0, off, s[60:63], 0 offset:72 ; 4-byte Folded Spill
	s_and_saveexec_b64 s[42:43], s[4:5]
	s_cbranch_execz .LBB315_329
; %bb.326:                              ;   in Loop: Header=BB315_13 Depth=1
	v_bfe_u32 v0, v31, 24, 7
	v_cmp_ne_u32_e64 s[4:5], s53, v0
	v_mov_b32_e32 v1, 0x7f800001
	s_and_saveexec_b64 s[44:45], s[4:5]
	s_cbranch_execz .LBB315_328
; %bb.327:                              ;   in Loop: Header=BB315_13 Depth=1
	v_and_b32_e32 v31, 7, v32
	v_lshrrev_b32_e32 v33, 3, v0
	v_cmp_gt_u32_e64 s[4:5], 8, v0
	v_ffbh_u32_e32 v0, v31
	v_min_u32_e32 v0, 32, v0
	v_subrev_u32_e32 v25, 28, v0
	v_lshlrev_b64 v[25:26], v25, v[32:33]
	v_sub_u32_e32 v0, 29, v0
	v_and_b32_e32 v25, 7, v25
	v_cndmask_b32_e64 v0, v33, v0, s[4:5]
	v_cndmask_b32_e64 v25, v31, v25, s[4:5]
	v_lshlrev_b32_e32 v26, 24, v32
	v_bfrev_b32_e32 v1, 60
	v_lshlrev_b32_e32 v25, 20, v25
	v_and_b32_e32 v26, 0x80000000, v26
	v_lshl_add_u32 v0, v0, 23, v1
	v_or3_b32 v1, v26, v0, v25
.LBB315_328:                            ;   in Loop: Header=BB315_13 Depth=1
	s_or_b64 exec, exec, s[44:45]
	buffer_store_dword v1, off, s[60:63], 0 offset:72 ; 4-byte Folded Spill
.LBB315_329:                            ;   in Loop: Header=BB315_13 Depth=1
	s_or_b64 exec, exec, s[42:43]
.LBB315_330:                            ;   in Loop: Header=BB315_13 Depth=1
	s_or_b64 exec, exec, s[6:7]
	global_load_dword v31, v[29:30], off offset:3080
	v_mov_b32_e32 v34, 0
	v_mov_b32_e32 v1, 0
	s_waitcnt vmcnt(0)
	v_cmp_ne_u16_sdwa s[4:5], v31, v45 src0_sel:BYTE_0 src1_sel:DWORD
	s_and_saveexec_b64 s[6:7], s[4:5]
	s_cbranch_execz .LBB315_336
; %bb.331:                              ;   in Loop: Header=BB315_13 Depth=1
	v_cmp_ne_u16_sdwa s[4:5], v31, s52 src0_sel:BYTE_0 src1_sel:DWORD
	v_bfrev_b32_e32 v1, 1
	s_and_saveexec_b64 s[42:43], s[4:5]
	s_cbranch_execz .LBB315_335
; %bb.332:                              ;   in Loop: Header=BB315_13 Depth=1
	v_and_b32_e32 v0, 0x7f, v31
	v_cmp_ne_u32_e64 s[4:5], s53, v0
	v_mov_b32_e32 v1, 0x7f800001
	s_and_saveexec_b64 s[44:45], s[4:5]
	s_cbranch_execz .LBB315_334
; %bb.333:                              ;   in Loop: Header=BB315_13 Depth=1
	v_and_b32_e32 v32, 7, v31
	v_lshrrev_b32_e32 v33, 3, v0
	v_cmp_gt_u32_e64 s[4:5], 8, v0
	v_ffbh_u32_e32 v0, v32
	v_min_u32_e32 v0, 32, v0
	v_subrev_u32_e32 v25, 28, v0
	v_lshlrev_b64 v[25:26], v25, v[31:32]
	v_sub_u32_e32 v0, 29, v0
	v_and_b32_e32 v25, 7, v25
	v_cndmask_b32_e64 v0, v33, v0, s[4:5]
	v_cndmask_b32_e64 v25, v32, v25, s[4:5]
	v_lshlrev_b32_e32 v26, 24, v31
	v_bfrev_b32_e32 v1, 60
	v_lshlrev_b32_e32 v25, 20, v25
	v_and_b32_e32 v26, 0x80000000, v26
	v_lshl_add_u32 v0, v0, 23, v1
	v_or3_b32 v1, v26, v0, v25
.LBB315_334:                            ;   in Loop: Header=BB315_13 Depth=1
	s_or_b64 exec, exec, s[44:45]
.LBB315_335:                            ;   in Loop: Header=BB315_13 Depth=1
	s_or_b64 exec, exec, s[42:43]
.LBB315_336:                            ;   in Loop: Header=BB315_13 Depth=1
	s_or_b64 exec, exec, s[6:7]
	v_lshrrev_b16_e32 v32, 8, v31
	buffer_store_dword v1, off, s[60:63], 0 offset:208 ; 4-byte Folded Spill
	v_cmp_ne_u16_e64 s[4:5], 0, v32
	s_mov_b64 s[6:7], exec
	s_and_b64 s[4:5], s[6:7], s[4:5]
	buffer_store_dword v10, off, s[60:63], 0 offset:204 ; 4-byte Folded Spill
	s_mov_b64 exec, s[4:5]
	s_cbranch_execz .LBB315_342
; %bb.337:                              ;   in Loop: Header=BB315_13 Depth=1
	v_cmp_ne_u16_e64 s[4:5], s52, v32
	v_bfrev_b32_e32 v34, 1
	s_and_saveexec_b64 s[42:43], s[4:5]
	s_cbranch_execz .LBB315_341
; %bb.338:                              ;   in Loop: Header=BB315_13 Depth=1
	v_and_b32_e32 v0, 0x7f, v32
	v_cmp_ne_u32_e64 s[4:5], s53, v0
	v_mov_b32_e32 v34, 0x7f800001
	s_and_saveexec_b64 s[44:45], s[4:5]
	s_cbranch_execz .LBB315_340
; %bb.339:                              ;   in Loop: Header=BB315_13 Depth=1
	v_and_b32_e32 v33, 7, v32
	v_lshrrev_b32_e32 v34, 3, v0
	v_cmp_gt_u32_e64 s[4:5], 8, v0
	v_ffbh_u32_e32 v0, v33
	v_min_u32_e32 v0, 32, v0
	v_subrev_u32_e32 v25, 28, v0
	v_lshlrev_b64 v[25:26], v25, v[32:33]
	v_sub_u32_e32 v0, 29, v0
	v_and_b32_e32 v25, 7, v25
	v_cndmask_b32_e64 v0, v34, v0, s[4:5]
	v_cndmask_b32_e64 v25, v33, v25, s[4:5]
	v_lshlrev_b32_e32 v26, 16, v31
	v_bfrev_b32_e32 v1, 60
	v_lshlrev_b32_e32 v25, 20, v25
	v_and_b32_e32 v26, 0x80000000, v26
	v_lshl_add_u32 v0, v0, 23, v1
	v_or3_b32 v34, v26, v0, v25
.LBB315_340:                            ;   in Loop: Header=BB315_13 Depth=1
	s_or_b64 exec, exec, s[44:45]
.LBB315_341:                            ;   in Loop: Header=BB315_13 Depth=1
	s_or_b64 exec, exec, s[42:43]
.LBB315_342:                            ;   in Loop: Header=BB315_13 Depth=1
	s_or_b64 exec, exec, s[6:7]
	v_lshrrev_b32_e32 v32, 16, v31
	buffer_store_dword v34, off, s[60:63], 0 offset:212 ; 4-byte Folded Spill
	v_cmp_ne_u16_sdwa s[4:5], v32, v45 src0_sel:BYTE_0 src1_sel:DWORD
	v_mov_b32_e32 v34, 0
	v_mov_b32_e32 v1, 0
	s_and_saveexec_b64 s[6:7], s[4:5]
	s_cbranch_execz .LBB315_348
; %bb.343:                              ;   in Loop: Header=BB315_13 Depth=1
	v_cmp_ne_u16_sdwa s[4:5], v32, s52 src0_sel:BYTE_0 src1_sel:DWORD
	v_bfrev_b32_e32 v1, 1
	s_and_saveexec_b64 s[42:43], s[4:5]
	s_cbranch_execz .LBB315_347
; %bb.344:                              ;   in Loop: Header=BB315_13 Depth=1
	v_bfe_u32 v0, v31, 16, 7
	v_cmp_ne_u32_e64 s[4:5], s53, v0
	v_mov_b32_e32 v1, 0x7f800001
	s_and_saveexec_b64 s[44:45], s[4:5]
	s_cbranch_execz .LBB315_346
; %bb.345:                              ;   in Loop: Header=BB315_13 Depth=1
	v_and_b32_e32 v33, 7, v32
	v_lshrrev_b32_e32 v34, 3, v0
	v_cmp_gt_u32_e64 s[4:5], 8, v0
	v_ffbh_u32_e32 v0, v33
	v_min_u32_e32 v0, 32, v0
	v_subrev_u32_e32 v25, 28, v0
	v_lshlrev_b64 v[25:26], v25, v[32:33]
	v_sub_u32_e32 v0, 29, v0
	v_and_b32_e32 v25, 7, v25
	v_cndmask_b32_e64 v0, v34, v0, s[4:5]
	v_cndmask_b32_e64 v25, v33, v25, s[4:5]
	v_lshlrev_b32_e32 v26, 24, v32
	v_bfrev_b32_e32 v1, 60
	v_lshlrev_b32_e32 v25, 20, v25
	v_and_b32_e32 v26, 0x80000000, v26
	v_lshl_add_u32 v0, v0, 23, v1
	v_mov_b32_e32 v34, 0
	v_or3_b32 v1, v26, v0, v25
.LBB315_346:                            ;   in Loop: Header=BB315_13 Depth=1
	s_or_b64 exec, exec, s[44:45]
.LBB315_347:                            ;   in Loop: Header=BB315_13 Depth=1
	s_or_b64 exec, exec, s[42:43]
.LBB315_348:                            ;   in Loop: Header=BB315_13 Depth=1
	s_or_b64 exec, exec, s[6:7]
	v_cmp_lt_u32_e64 s[4:5], s54, v31
	buffer_store_dword v1, off, s[60:63], 0 offset:224 ; 4-byte Folded Spill
	s_and_saveexec_b64 s[6:7], s[4:5]
	s_cbranch_execz .LBB315_354
; %bb.349:                              ;   in Loop: Header=BB315_13 Depth=1
	v_lshrrev_b32_e32 v32, 24, v31
	v_cmp_ne_u32_e64 s[4:5], s52, v32
	v_bfrev_b32_e32 v34, 1
	s_and_saveexec_b64 s[42:43], s[4:5]
	s_cbranch_execz .LBB315_353
; %bb.350:                              ;   in Loop: Header=BB315_13 Depth=1
	v_bfe_u32 v0, v31, 24, 7
	v_cmp_ne_u32_e64 s[4:5], s53, v0
	v_mov_b32_e32 v34, 0x7f800001
	s_and_saveexec_b64 s[44:45], s[4:5]
	s_cbranch_execz .LBB315_352
; %bb.351:                              ;   in Loop: Header=BB315_13 Depth=1
	v_and_b32_e32 v31, 7, v32
	v_lshrrev_b32_e32 v33, 3, v0
	v_cmp_gt_u32_e64 s[4:5], 8, v0
	v_ffbh_u32_e32 v0, v31
	v_min_u32_e32 v0, 32, v0
	v_subrev_u32_e32 v25, 28, v0
	v_lshlrev_b64 v[25:26], v25, v[32:33]
	v_sub_u32_e32 v0, 29, v0
	v_and_b32_e32 v25, 7, v25
	v_cndmask_b32_e64 v0, v33, v0, s[4:5]
	v_cndmask_b32_e64 v25, v31, v25, s[4:5]
	v_lshlrev_b32_e32 v26, 24, v32
	v_bfrev_b32_e32 v1, 60
	v_lshlrev_b32_e32 v25, 20, v25
	v_and_b32_e32 v26, 0x80000000, v26
	v_lshl_add_u32 v0, v0, 23, v1
	v_or3_b32 v34, v26, v0, v25
.LBB315_352:                            ;   in Loop: Header=BB315_13 Depth=1
	s_or_b64 exec, exec, s[44:45]
.LBB315_353:                            ;   in Loop: Header=BB315_13 Depth=1
	s_or_b64 exec, exec, s[42:43]
.LBB315_354:                            ;   in Loop: Header=BB315_13 Depth=1
	s_or_b64 exec, exec, s[6:7]
	global_load_dword v29, v[29:30], off offset:3584
	v_mov_b32_e32 v46, 0
	v_mov_b32_e32 v10, 0
	s_waitcnt vmcnt(0)
	v_cmp_ne_u16_sdwa s[4:5], v29, v45 src0_sel:BYTE_0 src1_sel:DWORD
	s_and_saveexec_b64 s[6:7], s[4:5]
	s_cbranch_execz .LBB315_360
; %bb.355:                              ;   in Loop: Header=BB315_13 Depth=1
	v_cmp_ne_u16_sdwa s[4:5], v29, s52 src0_sel:BYTE_0 src1_sel:DWORD
	v_bfrev_b32_e32 v10, 1
	s_and_saveexec_b64 s[42:43], s[4:5]
	s_cbranch_execz .LBB315_359
; %bb.356:                              ;   in Loop: Header=BB315_13 Depth=1
	v_and_b32_e32 v0, 0x7f, v29
	v_cmp_ne_u32_e64 s[4:5], s53, v0
	v_mov_b32_e32 v10, 0x7f800001
	s_and_saveexec_b64 s[44:45], s[4:5]
	s_cbranch_execz .LBB315_358
; %bb.357:                              ;   in Loop: Header=BB315_13 Depth=1
	v_and_b32_e32 v30, 7, v29
	v_lshrrev_b32_e32 v31, 3, v0
	v_cmp_gt_u32_e64 s[4:5], 8, v0
	v_ffbh_u32_e32 v0, v30
	v_min_u32_e32 v0, 32, v0
	v_subrev_u32_e32 v25, 28, v0
	v_lshlrev_b64 v[25:26], v25, v[29:30]
	v_sub_u32_e32 v0, 29, v0
	v_and_b32_e32 v25, 7, v25
	v_cndmask_b32_e64 v0, v31, v0, s[4:5]
	v_cndmask_b32_e64 v25, v30, v25, s[4:5]
	v_lshlrev_b32_e32 v26, 24, v29
	v_bfrev_b32_e32 v1, 60
	v_lshlrev_b32_e32 v25, 20, v25
	v_and_b32_e32 v26, 0x80000000, v26
	v_lshl_add_u32 v0, v0, 23, v1
	v_or3_b32 v10, v26, v0, v25
.LBB315_358:                            ;   in Loop: Header=BB315_13 Depth=1
	s_or_b64 exec, exec, s[44:45]
.LBB315_359:                            ;   in Loop: Header=BB315_13 Depth=1
	s_or_b64 exec, exec, s[42:43]
.LBB315_360:                            ;   in Loop: Header=BB315_13 Depth=1
	s_or_b64 exec, exec, s[6:7]
	v_lshrrev_b16_e32 v30, 8, v29
	v_cmp_ne_u16_e64 s[4:5], 0, v30
	s_and_saveexec_b64 s[6:7], s[4:5]
	s_cbranch_execz .LBB315_366
; %bb.361:                              ;   in Loop: Header=BB315_13 Depth=1
	v_cmp_ne_u16_e64 s[4:5], s52, v30
	v_bfrev_b32_e32 v46, 1
	s_and_saveexec_b64 s[42:43], s[4:5]
	s_cbranch_execz .LBB315_365
; %bb.362:                              ;   in Loop: Header=BB315_13 Depth=1
	v_and_b32_e32 v0, 0x7f, v30
	v_cmp_ne_u32_e64 s[4:5], s53, v0
	v_mov_b32_e32 v46, 0x7f800001
	s_and_saveexec_b64 s[44:45], s[4:5]
	s_cbranch_execz .LBB315_364
; %bb.363:                              ;   in Loop: Header=BB315_13 Depth=1
	v_and_b32_e32 v31, 7, v30
	v_lshrrev_b32_e32 v32, 3, v0
	v_cmp_gt_u32_e64 s[4:5], 8, v0
	v_ffbh_u32_e32 v0, v31
	v_min_u32_e32 v0, 32, v0
	v_subrev_u32_e32 v25, 28, v0
	v_lshlrev_b64 v[25:26], v25, v[30:31]
	v_sub_u32_e32 v0, 29, v0
	v_and_b32_e32 v25, 7, v25
	v_cndmask_b32_e64 v0, v32, v0, s[4:5]
	v_cndmask_b32_e64 v25, v31, v25, s[4:5]
	v_lshlrev_b32_e32 v26, 16, v29
	v_bfrev_b32_e32 v1, 60
	v_lshlrev_b32_e32 v25, 20, v25
	v_and_b32_e32 v26, 0x80000000, v26
	v_lshl_add_u32 v0, v0, 23, v1
	v_or3_b32 v46, v26, v0, v25
.LBB315_364:                            ;   in Loop: Header=BB315_13 Depth=1
	s_or_b64 exec, exec, s[44:45]
.LBB315_365:                            ;   in Loop: Header=BB315_13 Depth=1
	s_or_b64 exec, exec, s[42:43]
.LBB315_366:                            ;   in Loop: Header=BB315_13 Depth=1
	s_or_b64 exec, exec, s[6:7]
	v_lshrrev_b32_e32 v30, 16, v29
	v_cmp_ne_u16_sdwa s[4:5], v30, v45 src0_sel:BYTE_0 src1_sel:DWORD
	v_mov_b32_e32 v31, 0
	v_mov_b32_e32 v1, 0
	s_and_saveexec_b64 s[6:7], s[4:5]
	s_cbranch_execz .LBB315_372
; %bb.367:                              ;   in Loop: Header=BB315_13 Depth=1
	v_cmp_ne_u16_sdwa s[4:5], v30, s52 src0_sel:BYTE_0 src1_sel:DWORD
	v_bfrev_b32_e32 v1, 1
	s_and_saveexec_b64 s[42:43], s[4:5]
	s_cbranch_execz .LBB315_371
; %bb.368:                              ;   in Loop: Header=BB315_13 Depth=1
	v_bfe_u32 v0, v29, 16, 7
	v_cmp_ne_u32_e64 s[4:5], s53, v0
	v_mov_b32_e32 v1, 0x7f800001
	s_and_saveexec_b64 s[44:45], s[4:5]
	s_cbranch_execz .LBB315_370
; %bb.369:                              ;   in Loop: Header=BB315_13 Depth=1
	v_and_b32_e32 v32, 7, v30
	v_lshrrev_b32_e32 v33, 3, v0
	v_cmp_gt_u32_e64 s[4:5], 8, v0
	v_ffbh_u32_e32 v0, v32
	v_min_u32_e32 v0, 32, v0
	v_subrev_u32_e32 v25, 28, v0
	v_lshlrev_b64 v[25:26], v25, v[30:31]
	v_sub_u32_e32 v0, 29, v0
	v_and_b32_e32 v25, 7, v25
	v_cndmask_b32_e64 v0, v33, v0, s[4:5]
	v_cndmask_b32_e64 v25, v32, v25, s[4:5]
	v_lshlrev_b32_e32 v26, 24, v30
	v_bfrev_b32_e32 v1, 60
	v_lshlrev_b32_e32 v25, 20, v25
	v_and_b32_e32 v26, 0x80000000, v26
	v_lshl_add_u32 v0, v0, 23, v1
	v_or3_b32 v1, v26, v0, v25
.LBB315_370:                            ;   in Loop: Header=BB315_13 Depth=1
	s_or_b64 exec, exec, s[44:45]
.LBB315_371:                            ;   in Loop: Header=BB315_13 Depth=1
	s_or_b64 exec, exec, s[42:43]
.LBB315_372:                            ;   in Loop: Header=BB315_13 Depth=1
	s_or_b64 exec, exec, s[6:7]
	buffer_store_dword v34, off, s[60:63], 0 offset:220 ; 4-byte Folded Spill
	buffer_store_dword v1, off, s[60:63], 0 offset:216 ; 4-byte Folded Spill
	;; [unrolled: 1-line block ×17, first 2 shown]
	v_mov_b32_e32 v48, v21
	v_mov_b32_e32 v23, v19
	;; [unrolled: 1-line block ×13, first 2 shown]
	v_cmp_lt_u32_e64 s[4:5], s54, v29
	buffer_store_dword v20, off, s[60:63], 0 offset:136 ; 4-byte Folded Spill
	s_and_saveexec_b64 s[6:7], s[4:5]
	s_cbranch_execz .LBB315_378
; %bb.373:                              ;   in Loop: Header=BB315_13 Depth=1
	v_lshrrev_b32_e32 v30, 24, v29
	v_cmp_ne_u32_e64 s[4:5], s52, v30
	v_bfrev_b32_e32 v31, 1
	s_and_saveexec_b64 s[42:43], s[4:5]
	s_cbranch_execz .LBB315_377
; %bb.374:                              ;   in Loop: Header=BB315_13 Depth=1
	v_bfe_u32 v0, v29, 24, 7
	v_cmp_ne_u32_e64 s[4:5], s53, v0
	v_mov_b32_e32 v31, 0x7f800001
	s_and_saveexec_b64 s[44:45], s[4:5]
	s_cbranch_execz .LBB315_376
; %bb.375:                              ;   in Loop: Header=BB315_13 Depth=1
	v_and_b32_e32 v29, 7, v30
	v_lshrrev_b32_e32 v31, 3, v0
	v_cmp_gt_u32_e64 s[4:5], 8, v0
	v_ffbh_u32_e32 v0, v29
	v_min_u32_e32 v0, 32, v0
	v_subrev_u32_e32 v25, 28, v0
	v_lshlrev_b64 v[25:26], v25, v[30:31]
	v_sub_u32_e32 v0, 29, v0
	v_and_b32_e32 v25, 7, v25
	v_cndmask_b32_e64 v0, v31, v0, s[4:5]
	v_cndmask_b32_e64 v25, v29, v25, s[4:5]
	v_lshlrev_b32_e32 v26, 24, v30
	v_bfrev_b32_e32 v1, 60
	v_lshlrev_b32_e32 v25, 20, v25
	v_and_b32_e32 v26, 0x80000000, v26
	v_lshl_add_u32 v0, v0, 23, v1
	v_or3_b32 v31, v26, v0, v25
.LBB315_376:                            ;   in Loop: Header=BB315_13 Depth=1
	s_or_b64 exec, exec, s[44:45]
.LBB315_377:                            ;   in Loop: Header=BB315_13 Depth=1
	s_or_b64 exec, exec, s[42:43]
.LBB315_378:                            ;   in Loop: Header=BB315_13 Depth=1
	s_or_b64 exec, exec, s[6:7]
	buffer_load_dword v18, off, s[60:63], 0 offset:120 ; 4-byte Folded Reload
	buffer_load_dword v19, off, s[60:63], 0 offset:124 ; 4-byte Folded Reload
	;; [unrolled: 1-line block ×4, first 2 shown]
	v_lshlrev_b32_e32 v40, 16, v59
	v_lshlrev_b32_e32 v43, 16, v60
	;; [unrolled: 1-line block ×4, first 2 shown]
	v_and_b32_e32 v4, 0xffff0000, v59
	v_and_b32_e32 v0, 0xffff0000, v60
	;; [unrolled: 1-line block ×4, first 2 shown]
	v_lshlrev_b32_e32 v35, 16, v57
	v_lshlrev_b32_e32 v63, 16, v58
	v_and_b32_e32 v37, 0xffff0000, v57
	v_and_b32_e32 v62, 0xffff0000, v58
	v_lshlrev_b32_e32 v39, 16, v51
	v_lshlrev_b32_e32 v33, 16, v52
	;; [unrolled: 1-line block ×4, first 2 shown]
	v_and_b32_e32 v34, 0xffff0000, v51
	v_and_b32_e32 v61, 0xffff0000, v52
	;; [unrolled: 1-line block ×4, first 2 shown]
	v_lshlrev_b32_e32 v47, 16, v55
	v_lshlrev_b32_e32 v38, 16, v56
	v_and_b32_e32 v26, 0xffff0000, v55
	v_and_b32_e32 v36, 0xffff0000, v56
	s_waitcnt vmcnt(3)
	v_lshlrev_b32_e32 v56, 16, v18
	s_waitcnt vmcnt(2)
	v_lshlrev_b32_e32 v30, 16, v19
	v_and_b32_e32 v29, 0xffff0000, v19
	s_waitcnt vmcnt(0)
	v_lshlrev_b32_e32 v1, 16, v21
	buffer_store_dword v1, off, s[60:63], 0 offset:276 ; 4-byte Folded Spill
	buffer_load_dword v51, off, s[60:63], 0 offset:104 ; 4-byte Folded Reload
	buffer_load_dword v52, off, s[60:63], 0 offset:108 ; 4-byte Folded Reload
	;; [unrolled: 1-line block ×4, first 2 shown]
	v_lshlrev_b32_e32 v24, 16, v20
	v_and_b32_e32 v55, 0xffff0000, v18
	v_and_b32_e32 v18, 0xffff0000, v20
	;; [unrolled: 1-line block ×3, first 2 shown]
	s_waitcnt vmcnt(3)
	v_lshlrev_b32_e32 v19, 16, v51
	s_waitcnt vmcnt(2)
	v_lshlrev_b32_e32 v1, 16, v52
	buffer_store_dword v1, off, s[60:63], 0 offset:264 ; 4-byte Folded Spill
	s_waitcnt vmcnt(2)
	v_lshlrev_b32_e32 v1, 16, v53
	buffer_store_dword v1, off, s[60:63], 0 offset:256 ; 4-byte Folded Spill
	s_waitcnt vmcnt(2)
	v_lshlrev_b32_e32 v1, 16, v54
	buffer_store_dword v1, off, s[60:63], 0 offset:244 ; 4-byte Folded Spill
	v_and_b32_e32 v1, 0xffff0000, v51
	buffer_store_dword v1, off, s[60:63], 0 offset:272 ; 4-byte Folded Spill
	v_and_b32_e32 v1, 0xffff0000, v52
	buffer_store_dword v1, off, s[60:63], 0 offset:268 ; 4-byte Folded Spill
	;; [unrolled: 2-line block ×4, first 2 shown]
	buffer_load_dword v51, off, s[60:63], 0 offset:88 ; 4-byte Folded Reload
	buffer_load_dword v52, off, s[60:63], 0 offset:92 ; 4-byte Folded Reload
	;; [unrolled: 1-line block ×4, first 2 shown]
	s_waitcnt vmcnt(3)
	v_lshlrev_b32_e32 v1, 16, v51
	buffer_store_dword v1, off, s[60:63], 0 offset:240 ; 4-byte Folded Spill
	s_waitcnt vmcnt(3)
	v_lshlrev_b32_e32 v1, 16, v52
	buffer_store_dword v1, off, s[60:63], 0 offset:232 ; 4-byte Folded Spill
	;; [unrolled: 3-line block ×4, first 2 shown]
	v_and_b32_e32 v1, 0xffff0000, v51
	buffer_store_dword v1, off, s[60:63], 0 offset:248 ; 4-byte Folded Spill
	v_and_b32_e32 v1, 0xffff0000, v52
	buffer_store_dword v1, off, s[60:63], 0 offset:236 ; 4-byte Folded Spill
	v_and_b32_e32 v1, 0xffff0000, v53
	buffer_store_dword v1, off, s[60:63], 0 offset:228 ; 4-byte Folded Spill
	v_and_b32_e32 v1, 0xffff0000, v54
	buffer_store_dword v1, off, s[60:63], 0 offset:88 ; 4-byte Folded Spill
	v_mul_f32_e32 v1, s56, v49
	v_bfe_u32 v20, v1, 16, 1
	v_add3_u32 v20, v20, v1, s55
	v_or_b32_e32 v49, 0x400000, v1
	v_cmp_u_f32_e64 s[4:5], v1, v1
	v_cndmask_b32_e64 v1, v20, v49, s[4:5]
	v_mul_f32_e32 v20, s56, v3
	v_bfe_u32 v49, v20, 16, 1
	v_add3_u32 v49, v49, v20, s55
	v_or_b32_e32 v3, 0x400000, v20
	v_cmp_u_f32_e64 s[4:5], v20, v20
	v_cndmask_b32_e64 v3, v49, v3, s[4:5]
	v_and_b32_e32 v1, 0xffff0000, v1
	v_mul_f32_e32 v1, v50, v1
	v_and_b32_e32 v3, 0xffff0000, v3
	v_fmac_f32_e32 v1, v40, v3
	v_mul_f32_e32 v3, s56, v11
	v_bfe_u32 v20, v3, 16, 1
	v_add3_u32 v20, v20, v3, s55
	v_or_b32_e32 v40, 0x400000, v3
	v_cmp_u_f32_e64 s[4:5], v3, v3
	v_cndmask_b32_e64 v3, v20, v40, s[4:5]
	v_mul_f32_e32 v20, s56, v6
	v_bfe_u32 v40, v20, 16, 1
	v_add3_u32 v40, v40, v20, s55
	v_or_b32_e32 v49, 0x400000, v20
	v_cmp_u_f32_e64 s[4:5], v20, v20
	v_cndmask_b32_e64 v20, v40, v49, s[4:5]
	v_and_b32_e32 v3, 0xffff0000, v3
	v_mul_f32_e32 v2, v2, v3
	v_and_b32_e32 v3, 0xffff0000, v20
	v_fmac_f32_e32 v2, v4, v3
	;; [unrolled: 16-line block ×4, first 2 shown]
	v_mul_f32_e32 v0, s56, v17
	v_bfe_u32 v3, v0, 16, 1
	v_add3_u32 v3, v3, v0, s55
	v_or_b32_e32 v25, 0x400000, v0
	v_cmp_u_f32_e64 s[4:5], v0, v0
	v_cndmask_b32_e64 v0, v3, v25, s[4:5]
	v_and_b32_e32 v0, 0xffff0000, v0
	v_fmac_f32_e32 v1, v47, v0
	v_mul_f32_e32 v0, s56, v16
	v_bfe_u32 v3, v0, 16, 1
	v_add3_u32 v3, v3, v0, s55
	v_or_b32_e32 v25, 0x400000, v0
	v_cmp_u_f32_e64 s[4:5], v0, v0
	v_cndmask_b32_e64 v0, v3, v25, s[4:5]
	v_and_b32_e32 v0, 0xffff0000, v0
	v_fmac_f32_e32 v2, v26, v0
	;; [unrolled: 8-line block ×11, first 2 shown]
	buffer_load_dword v0, off, s[60:63], 0 offset:136 ; 4-byte Folded Reload
	buffer_load_dword v6, off, s[60:63], 0 offset:276 ; 4-byte Folded Reload
	s_waitcnt vmcnt(1)
	v_mul_f32_e32 v0, s56, v0
	v_bfe_u32 v3, v0, 16, 1
	v_add3_u32 v3, v3, v0, s55
	v_or_b32_e32 v25, 0x400000, v0
	v_cmp_u_f32_e64 s[4:5], v0, v0
	v_cndmask_b32_e64 v0, v3, v25, s[4:5]
	v_and_b32_e32 v0, 0xffff0000, v0
	v_fmac_f32_e32 v20, v61, v0
	buffer_load_dword v0, off, s[60:63], 0 offset:144 ; 4-byte Folded Reload
	s_waitcnt vmcnt(0)
	v_mul_f32_e32 v0, s56, v0
	v_bfe_u32 v3, v0, 16, 1
	v_add3_u32 v3, v3, v0, s55
	v_or_b32_e32 v25, 0x400000, v0
	v_cmp_u_f32_e64 s[4:5], v0, v0
	v_cndmask_b32_e64 v0, v3, v25, s[4:5]
	v_and_b32_e32 v0, 0xffff0000, v0
	v_fmac_f32_e32 v1, v60, v0
	;; [unrolled: 10-line block ×9, first 2 shown]
	v_mul_f32_e32 v0, s56, v46
	v_bfe_u32 v3, v0, 16, 1
	v_add3_u32 v3, v3, v0, s55
	v_or_b32_e32 v25, 0x400000, v0
	v_cmp_u_f32_e64 s[4:5], v0, v0
	v_mul_f32_e32 v0, s56, v10
	v_cndmask_b32_e64 v29, v3, v25, s[4:5]
	v_bfe_u32 v3, v0, 16, 1
	v_add3_u32 v3, v3, v0, s55
	v_or_b32_e32 v25, 0x400000, v0
	v_cmp_u_f32_e64 s[4:5], v0, v0
	buffer_load_dword v0, off, s[60:63], 0 offset:224 ; 4-byte Folded Reload
	v_cndmask_b32_e64 v30, v3, v25, s[4:5]
	s_waitcnt vmcnt(0)
	v_mul_f32_e32 v0, s56, v0
	v_bfe_u32 v3, v0, 16, 1
	v_add3_u32 v3, v3, v0, s55
	v_or_b32_e32 v25, 0x400000, v0
	v_cmp_u_f32_e64 s[4:5], v0, v0
	buffer_load_dword v0, off, s[60:63], 0 offset:220 ; 4-byte Folded Reload
	v_cndmask_b32_e64 v46, v3, v25, s[4:5]
	s_waitcnt vmcnt(0)
	v_mul_f32_e32 v0, s56, v0
	;; [unrolled: 8-line block ×6, first 2 shown]
	v_bfe_u32 v3, v0, 16, 1
	v_add3_u32 v3, v3, v0, s55
	v_or_b32_e32 v5, 0x400000, v0
	v_cmp_u_f32_e64 s[4:5], v0, v0
	buffer_load_dword v0, off, s[60:63], 0 offset:200 ; 4-byte Folded Reload
	v_cndmask_b32_e64 v40, v3, v5, s[4:5]
	v_and_b32_e32 v10, 0xffff0000, v40
	s_waitcnt vmcnt(0)
	v_mul_f32_e32 v0, s56, v0
	v_bfe_u32 v3, v0, 16, 1
	v_add3_u32 v3, v3, v0, s55
	v_or_b32_e32 v5, 0x400000, v0
	v_cmp_u_f32_e64 s[4:5], v0, v0
	buffer_load_dword v0, off, s[60:63], 0 offset:56 ; 4-byte Folded Reload
	v_cndmask_b32_e64 v41, v3, v5, s[4:5]
	v_and_b32_e32 v9, 0xffff0000, v41
	s_waitcnt vmcnt(0)
	v_mul_f32_e32 v0, s56, v0
	v_bfe_u32 v3, v0, 16, 1
	v_add3_u32 v3, v3, v0, s55
	v_or_b32_e32 v5, 0x400000, v0
	v_cmp_u_f32_e64 s[4:5], v0, v0
	v_cndmask_b32_e64 v0, v3, v5, s[4:5]
	buffer_load_dword v3, off, s[60:63], 0 offset:52 ; 4-byte Folded Reload
	v_and_b32_e32 v0, 0xffff0000, v0
	s_waitcnt vmcnt(0)
	v_mul_f32_e32 v3, s56, v3
	v_bfe_u32 v5, v3, 16, 1
	v_add3_u32 v5, v5, v3, s55
	v_or_b32_e32 v25, 0x400000, v3
	v_cmp_u_f32_e64 s[4:5], v3, v3
	buffer_load_dword v3, off, s[60:63], 0 offset:68 ; 4-byte Folded Reload
	v_cndmask_b32_e64 v47, v5, v25, s[4:5]
	s_waitcnt vmcnt(0)
	v_mul_f32_e32 v3, s56, v3
	v_bfe_u32 v5, v3, 16, 1
	v_add3_u32 v5, v5, v3, s55
	v_or_b32_e32 v25, 0x400000, v3
	v_cmp_u_f32_e64 s[4:5], v3, v3
	buffer_load_dword v3, off, s[60:63], 0 offset:48 ; 4-byte Folded Reload
	v_cndmask_b32_e64 v26, v5, v25, s[4:5]
	;; [unrolled: 8-line block ×19, first 2 shown]
	s_waitcnt vmcnt(0)
	v_mul_f32_e32 v3, s56, v3
	v_bfe_u32 v5, v3, 16, 1
	v_add3_u32 v5, v5, v3, s55
	v_or_b32_e32 v55, 0x400000, v3
	v_cmp_u_f32_e64 s[4:5], v3, v3
	v_cndmask_b32_e64 v3, v5, v55, s[4:5]
	buffer_load_dword v55, off, s[60:63], 0 offset:300 ; 4-byte Folded Reload
	v_and_b32_e32 v3, 0xffff0000, v3
	v_fmac_f32_e32 v1, v24, v3
	s_waitcnt vmcnt(0)
	v_and_b32_e32 v5, 64, v55
	v_xor_b32_e32 v3, 1, v55
	v_add_u32_e32 v5, 64, v5
	v_cmp_lt_i32_e64 s[4:5], v3, v5
	buffer_load_dword v5, off, s[60:63], 0 offset:216 ; 4-byte Folded Reload
	v_cndmask_b32_e64 v3, v55, v3, s[4:5]
	s_waitcnt vmcnt(0)
	v_mul_f32_e32 v5, s56, v5
	v_bfe_u32 v24, v5, 16, 1
	v_add3_u32 v24, v24, v5, s55
	v_or_b32_e32 v32, 0x400000, v5
	v_cmp_u_f32_e64 s[6:7], v5, v5
	v_mul_f32_e32 v5, s56, v31
	v_bfe_u32 v31, v5, 16, 1
	v_cndmask_b32_e64 v24, v24, v32, s[6:7]
	v_add3_u32 v31, v31, v5, s55
	v_or_b32_e32 v32, 0x400000, v5
	v_cmp_u_f32_e64 s[6:7], v5, v5
	buffer_load_dword v5, off, s[60:63], 0 offset:80 ; 4-byte Folded Reload
	v_cndmask_b32_e64 v32, v31, v32, s[6:7]
	v_lshlrev_b32_e32 v31, 2, v3
	v_and_b32_e32 v3, 0xffff0000, v39
	v_fmac_f32_e32 v2, v18, v3
	v_and_b32_e32 v3, 0xffff0000, v33
	v_fmac_f32_e32 v4, v6, v3
	buffer_load_dword v6, off, s[60:63], 0 offset:264 ; 4-byte Folded Reload
	v_and_b32_e32 v3, 0xffff0000, v56
	v_fmac_f32_e32 v1, v19, v3
	buffer_load_dword v3, off, s[60:63], 0 offset:272 ; 4-byte Folded Reload
	s_waitcnt vmcnt(2)
	v_and_b32_e32 v62, 0xffff0000, v5
	v_lshlrev_b32_e32 v63, 16, v5
	buffer_load_dword v5, off, s[60:63], 0 offset:84 ; 4-byte Folded Reload
	s_waitcnt vmcnt(0)
	v_lshlrev_b32_e32 v55, 16, v5
	v_and_b32_e32 v5, 0xffff0000, v34
	v_fmac_f32_e32 v20, v21, v5
	v_and_b32_e32 v5, 0xffff0000, v57
	v_fmac_f32_e32 v2, v3, v5
	;; [unrolled: 2-line block ×3, first 2 shown]
	buffer_load_dword v3, off, s[60:63], 0 offset:268 ; 4-byte Folded Reload
	buffer_load_dword v6, off, s[60:63], 0 offset:256 ; 4-byte Folded Reload
	v_and_b32_e32 v5, 0xffff0000, v58
	s_waitcnt vmcnt(1)
	v_fmac_f32_e32 v20, v3, v5
	v_and_b32_e32 v3, 0xffff0000, v60
	s_waitcnt vmcnt(0)
	v_fmac_f32_e32 v1, v6, v3
	buffer_load_dword v3, off, s[60:63], 0 offset:260 ; 4-byte Folded Reload
	buffer_load_dword v6, off, s[60:63], 0 offset:244 ; 4-byte Folded Reload
	v_and_b32_e32 v5, 0xffff0000, v61
	s_waitcnt vmcnt(1)
	v_fmac_f32_e32 v2, v3, v5
	v_and_b32_e32 v3, 0xffff0000, v53
	s_waitcnt vmcnt(0)
	v_fmac_f32_e32 v4, v6, v3
	;; [unrolled: 8-line block ×4, first 2 shown]
	buffer_load_dword v3, off, s[60:63], 0 offset:236 ; 4-byte Folded Reload
	buffer_load_dword v6, off, s[60:63], 0 offset:120 ; 4-byte Folded Reload
	v_and_b32_e32 v5, 0xffff0000, v36
	buffer_load_dword v36, off, s[60:63], 0 offset:288 ; 4-byte Folded Reload
	s_waitcnt vmcnt(2)
	v_fmac_f32_e32 v20, v3, v5
	v_and_b32_e32 v3, 0xffff0000, v43
	s_waitcnt vmcnt(1)
	v_fmac_f32_e32 v1, v6, v3
	buffer_load_dword v3, off, s[60:63], 0 offset:228 ; 4-byte Folded Reload
	buffer_load_dword v6, off, s[60:63], 0 offset:104 ; 4-byte Folded Reload
	v_and_b32_e32 v5, 0xffff0000, v25
	v_fmac_f32_e32 v1, v63, v0
	s_waitcnt vmcnt(1)
	v_fmac_f32_e32 v2, v3, v5
	v_and_b32_e32 v3, 0xffff0000, v47
	s_waitcnt vmcnt(0)
	v_fmac_f32_e32 v4, v6, v3
	buffer_load_dword v3, off, s[60:63], 0 offset:88 ; 4-byte Folded Reload
	v_and_b32_e32 v5, 0xffff0000, v26
	v_fmac_f32_e32 v2, v62, v9
	v_and_b32_e32 v9, 0xffff0000, v50
	v_fmac_f32_e32 v4, v55, v9
	v_and_b32_e32 v9, 0xffff0000, v49
	s_waitcnt vmcnt(0)
	v_fmac_f32_e32 v20, v3, v5
	ds_read_b128 v[5:8], v36 offset:102
	ds_read_u16 v3, v36 offset:118
	s_waitcnt lgkmcnt(1)
	v_lshlrev_b32_e32 v0, 16, v5
	v_fmac_f32_e32 v20, v10, v0
	v_and_b32_e32 v0, 0xffff0000, v5
	v_lshlrev_b32_e32 v5, 16, v6
	v_and_b32_e32 v10, 0xffff0000, v51
	v_fmac_f32_e32 v1, v9, v0
	v_fmac_f32_e32 v2, v10, v5
	v_and_b32_e32 v0, 0xffff0000, v6
	v_lshlrev_b32_e32 v5, 16, v7
	v_and_b32_e32 v6, 0xffff0000, v46
	v_and_b32_e32 v9, 0xffff0000, v52
	v_fmac_f32_e32 v4, v6, v0
	v_fmac_f32_e32 v20, v9, v5
	v_and_b32_e32 v0, 0xffff0000, v7
	v_lshlrev_b32_e32 v5, 16, v8
	v_and_b32_e32 v6, 0xffff0000, v30
	v_and_b32_e32 v7, 0xffff0000, v29
	v_fmac_f32_e32 v1, v6, v0
	v_fmac_f32_e32 v2, v7, v5
	v_and_b32_e32 v0, 0xffff0000, v8
	v_and_b32_e32 v5, 0xffff0000, v24
	s_waitcnt lgkmcnt(0)
	v_lshlrev_b32_e32 v3, 16, v3
	v_and_b32_e32 v6, 0xffff0000, v32
	v_fmac_f32_e32 v4, v5, v0
	v_add_f32_e32 v0, v1, v2
	v_fmac_f32_e32 v20, v6, v3
	v_add_f32_e32 v0, v0, v4
	v_add_f32_e32 v0, v20, v0
	ds_bpermute_b32 v1, v31, v0
	s_and_saveexec_b64 s[6:7], vcc
	s_cbranch_execz .LBB315_11
; %bb.379:                              ;   in Loop: Header=BB315_13 Depth=1
	buffer_load_dword v2, off, s[60:63], 0 offset:308 ; 4-byte Folded Reload
	buffer_load_dword v3, off, s[60:63], 0 offset:304 ; 4-byte Folded Reload
	s_waitcnt lgkmcnt(0)
	v_add_f32_e32 v0, v0, v1
	s_waitcnt vmcnt(1)
	v_add_u32_e32 v2, v2, v42
	v_cvt_f32_i32_e32 v2, v2
	v_mul_f32_e32 v1, s49, v2
	buffer_load_dword v2, off, s[60:63], 0 offset:4 ; 4-byte Folded Reload
	s_waitcnt vmcnt(1)
	v_add_u32_e32 v3, v3, v42
	v_cndmask_b32_e64 v1, 0, v1, s[2:3]
	v_fmac_f32_e32 v1, s37, v0
	v_cmp_gt_i32_e64 s[4:5], s33, v3
	v_cndmask_b32_e64 v0, 0, v1, s[4:5]
	s_waitcnt vmcnt(0)
	ds_write_b32 v2, v0
	buffer_load_dword v2, off, s[60:63], 0 offset:284 ; 4-byte Folded Reload
	s_waitcnt vmcnt(0)
	v_max_f32_e32 v0, v2, v2
	v_max_f32_e32 v0, v0, v1
	v_cndmask_b32_e64 v2, v2, v0, s[4:5]
	buffer_store_dword v2, off, s[60:63], 0 offset:284 ; 4-byte Folded Spill
	s_branch .LBB315_11
.LBB315_380:
	s_or_b64 exec, exec, s[38:39]
	buffer_load_dword v16, off, s[60:63], 0 offset:312 ; 4-byte Folded Reload
	buffer_load_dword v17, off, s[60:63], 0 offset:316 ; 4-byte Folded Reload
	;; [unrolled: 1-line block ×3, first 2 shown]
	v_mbcnt_lo_u32_b32 v5, -1, 0
.LBB315_381:
	s_or_b64 exec, exec, s[18:19]
	s_waitcnt lgkmcnt(0)
	v_mbcnt_hi_u32_b32 v1, -1, v5
	v_and_b32_e32 v8, 64, v1
	v_add_u32_e32 v9, 64, v8
	v_xor_b32_e32 v0, 32, v1
	v_cmp_lt_i32_e32 vcc, v0, v9
	v_cndmask_b32_e32 v0, v1, v0, vcc
	v_lshlrev_b32_e32 v2, 2, v0
	s_waitcnt vmcnt(0)
	ds_bpermute_b32 v0, v2, v3
	v_xor_b32_e32 v4, 16, v1
	v_max_f32_e32 v3, v3, v3
	v_cmp_lt_i32_e32 vcc, v4, v9
	v_xor_b32_e32 v5, 8, v1
	s_waitcnt lgkmcnt(0)
	v_max_f32_e32 v0, v0, v0
	v_max_f32_e32 v0, v3, v0
	v_cndmask_b32_e32 v3, v1, v4, vcc
	v_lshlrev_b32_e32 v3, 2, v3
	ds_bpermute_b32 v4, v3, v0
	v_cmp_lt_i32_e32 vcc, v5, v9
	v_xor_b32_e32 v6, 4, v1
	v_xor_b32_e32 v10, 2, v1
	s_waitcnt lgkmcnt(0)
	v_max_f32_e32 v4, v4, v4
	v_max_f32_e32 v0, v0, v4
	v_cndmask_b32_e32 v4, v1, v5, vcc
	v_lshlrev_b32_e32 v4, 2, v4
	ds_bpermute_b32 v5, v4, v0
	v_cmp_lt_i32_e32 vcc, v6, v9
	s_waitcnt lgkmcnt(0)
	v_max_f32_e32 v5, v5, v5
	v_max_f32_e32 v0, v0, v5
	v_cndmask_b32_e32 v5, v1, v6, vcc
	v_lshlrev_b32_e32 v5, 2, v5
	ds_bpermute_b32 v6, v5, v0
	v_cmp_lt_i32_e32 vcc, v10, v9
	s_waitcnt lgkmcnt(0)
	v_max_f32_e32 v6, v6, v6
	v_max_f32_e32 v7, v0, v6
	v_cndmask_b32_e32 v0, v1, v10, vcc
	v_lshlrev_b32_e32 v13, 2, v0
	buffer_load_dword v0, off, s[60:63], 0 offset:280 ; 4-byte Folded Reload
	buffer_load_dword v6, off, s[60:63], 0  ; 4-byte Folded Reload
	ds_bpermute_b32 v10, v13, v7
	s_waitcnt vmcnt(1)
	v_and_b32_e32 v0, 63, v0
	v_cmp_eq_u32_e32 vcc, 0, v0
	s_waitcnt vmcnt(0)
	v_lshlrev_b32_e32 v6, 2, v6
	s_and_saveexec_b64 s[2:3], vcc
	s_cbranch_execz .LBB315_383
; %bb.382:
	s_waitcnt lgkmcnt(0)
	v_max_f32_e32 v10, v10, v10
	v_max_f32_e32 v7, v7, v7
	;; [unrolled: 1-line block ×3, first 2 shown]
	ds_write_b32 v6, v7 offset:240
.LBB315_383:
	s_or_b64 exec, exec, s[2:3]
	v_cmp_gt_u32_e64 s[2:3], 2, v0
	s_waitcnt lgkmcnt(0)
	v_mov_b32_e32 v10, 0xff7fffff
	v_lshlrev_b32_e32 v7, 2, v0
	s_barrier
	s_and_saveexec_b64 s[4:5], s[2:3]
; %bb.384:
	ds_read_b32 v10, v7 offset:240
; %bb.385:
	s_or_b64 exec, exec, s[4:5]
	v_xor_b32_e32 v11, 1, v1
	v_cmp_lt_i32_e64 s[4:5], v11, v9
	v_cndmask_b32_e64 v9, v1, v11, s[4:5]
	v_lshlrev_b32_e32 v14, 2, v9
	s_waitcnt lgkmcnt(0)
	ds_bpermute_b32 v9, v14, v10
	v_max_f32_e32 v10, v10, v10
	v_lshlrev_b32_e32 v8, 2, v8
	s_lshl_b32 s4, s48, 5
	s_min_i32 s23, s4, s33
	s_waitcnt lgkmcnt(0)
	v_max_f32_e32 v9, v9, v9
	v_max_f32_e32 v9, v10, v9
	ds_bpermute_b32 v9, v8, v9
	buffer_load_dword v8, off, s[60:63], 0 offset:280 ; 4-byte Folded Reload
	s_waitcnt vmcnt(0)
	v_cmp_gt_i32_e64 s[4:5], s23, v8
	v_mov_b32_e32 v8, 0
	s_and_saveexec_b64 s[12:13], s[4:5]
	s_cbranch_execz .LBB315_389
; %bb.386:
	buffer_load_dword v11, off, s[60:63], 0 offset:280 ; 4-byte Folded Reload
	v_mov_b32_e32 v8, 0x100
	s_mov_b64 s[18:19], 0
	s_waitcnt vmcnt(0)
	v_lshl_add_u32 v10, v11, 2, v8
	v_mov_b32_e32 v8, 0
.LBB315_387:                            ; =>This Inner Loop Header: Depth=1
	ds_read_b32 v12, v10
	v_add_u32_e32 v11, 0x80, v11
	v_cmp_le_i32_e64 s[6:7], s23, v11
	s_or_b64 s[18:19], s[6:7], s[18:19]
	s_waitcnt lgkmcnt(0)
	v_sub_f32_e32 v12, v12, v9
	v_mul_f32_e32 v12, 0x3fb8aa3b, v12
	v_exp_f32_e32 v12, v12
	ds_write_b32 v10, v12
	v_add_f32_e32 v8, v8, v12
	v_add_u32_e32 v10, 0x200, v10
	s_andn2_b64 exec, exec, s[18:19]
	s_cbranch_execnz .LBB315_387
; %bb.388:
	s_or_b64 exec, exec, s[18:19]
.LBB315_389:
	s_or_b64 exec, exec, s[12:13]
	ds_bpermute_b32 v2, v2, v8
	s_waitcnt lgkmcnt(0)
	v_add_f32_e32 v2, v8, v2
	ds_bpermute_b32 v3, v3, v2
	s_waitcnt lgkmcnt(0)
	v_add_f32_e32 v2, v2, v3
	;; [unrolled: 3-line block ×6, first 2 shown]
	s_and_saveexec_b64 s[6:7], vcc
; %bb.390:
	ds_write_b32 v6, v2 offset:248
; %bb.391:
	s_or_b64 exec, exec, s[6:7]
	s_waitcnt lgkmcnt(0)
	s_barrier
	s_and_saveexec_b64 s[6:7], s[2:3]
; %bb.392:
	ds_read_b32 v2, v7 offset:248
; %bb.393:
	s_or_b64 exec, exec, s[6:7]
	s_waitcnt lgkmcnt(0)
	ds_bpermute_b32 v3, v14, v2
	v_lshlrev_b32_e32 v1, 2, v1
	v_and_b32_e32 v1, 0x100, v1
	s_waitcnt lgkmcnt(0)
	v_add_f32_e32 v2, v2, v3
	ds_bpermute_b32 v1, v1, v2
	s_and_saveexec_b64 s[2:3], s[4:5]
	s_cbranch_execz .LBB315_396
; %bb.394:
	s_waitcnt lgkmcnt(0)
	v_add_f32_e32 v2, 0x358637bd, v1
	v_div_scale_f32 v1, s[4:5], v2, v2, 1.0
	v_div_scale_f32 v3, vcc, 1.0, v2, 1.0
	s_mov_b64 s[4:5], 0
	v_rcp_f32_e32 v4, v1
	v_fma_f32 v5, -v1, v4, 1.0
	v_fmac_f32_e32 v4, v5, v4
	v_mul_f32_e32 v5, v3, v4
	v_fma_f32 v6, -v1, v5, v3
	v_fmac_f32_e32 v5, v6, v4
	v_fma_f32 v1, -v1, v5, v3
	v_div_fmas_f32 v3, v1, v4, v5
	buffer_load_dword v4, off, s[60:63], 0 offset:280 ; 4-byte Folded Reload
	v_mov_b32_e32 v1, 0x100
	v_div_fixup_f32 v2, v3, v2, 1.0
	s_waitcnt vmcnt(0)
	v_lshl_add_u32 v1, v4, 2, v1
	v_mov_b32_e32 v3, v4
.LBB315_395:                            ; =>This Inner Loop Header: Depth=1
	ds_read_b32 v4, v1
	v_add_u32_e32 v3, 0x80, v3
	v_cmp_le_i32_e32 vcc, s23, v3
	s_or_b64 s[4:5], vcc, s[4:5]
	s_waitcnt lgkmcnt(0)
	v_mul_f32_e32 v4, v2, v4
	ds_write_b32 v1, v4
	v_add_u32_e32 v1, 0x200, v1
	s_andn2_b64 exec, exec, s[4:5]
	s_cbranch_execnz .LBB315_395
.LBB315_396:
	s_or_b64 exec, exec, s[2:3]
	v_lshrrev_b32_e32 v55, 2, v0
	s_waitcnt lgkmcnt(0)
	s_barrier
	s_mov_b64 s[2:3], exec
	buffer_load_dword v4, off, s[60:63], 0 offset:12 ; 4-byte Folded Reload
	s_and_b64 s[4:5], s[2:3], s[0:1]
	s_xor_b64 s[0:1], s[4:5], s[2:3]
	s_mov_b64 exec, s[4:5]
; %bb.397:
	v_lshrrev_b32_e32 v55, 2, v0
                                        ; implicit-def: $vgpr4
                                        ; implicit-def: $vgpr0
                                        ; kill: killed $vgpr0
                                        ; implicit-def: $vgpr16
                                        ; implicit-def: $vgpr17
; %bb.398:
	s_or_saveexec_b64 s[4:5], s[0:1]
	buffer_load_dword v0, off, s[60:63], 0 offset:280 ; 4-byte Folded Reload
	v_mov_b32_e32 v63, 0
	v_mov_b32_e32 v54, 0
	;; [unrolled: 1-line block ×8, first 2 shown]
	s_waitcnt vmcnt(0)
	v_and_b32_e32 v15, 3, v0
	s_xor_b64 exec, exec, s[4:5]
	s_cbranch_execz .LBB315_806
; %bb.399:
	s_sub_i32 s37, s16, s21
	s_ashr_i32 s0, s20, 31
	s_add_u32 s6, s34, s20
	s_addc_u32 s7, s35, s0
	s_abs_i32 s34, s22
	v_cvt_f32_u32_e32 v0, s34
	s_sub_i32 s1, 0, s34
	v_and_b32_e32 v61, 24, v16
	v_or_b32_e32 v1, 0x70, v55
	v_rcp_iflag_f32_e32 v0, v0
	s_movk_i32 s0, 0x78
	v_cmp_gt_u32_e32 vcc, s0, v1
	v_lshl_or_b32 v1, v1, 5, v61
	v_mul_f32_e32 v0, 0x4f7ffffe, v0
	v_cvt_u32_f32_e32 v0, v0
	buffer_store_dword v14, off, s[60:63], 0 offset:156 ; 4-byte Folded Spill
	buffer_store_dword v13, off, s[60:63], 0 offset:152 ; 4-byte Folded Spill
	;; [unrolled: 1-line block ×3, first 2 shown]
	s_add_i32 s38, s48, -1
	v_mul_lo_u32 v2, s1, v0
	s_lshl_b64 s[0:1], s[30:31], 2
	s_add_u32 s0, s28, s0
	v_and_b32_e32 v3, 60, v17
	v_mul_hi_u32 v1, v0, v2
	s_addc_u32 s1, s29, s1
	s_mov_b32 s12, -1
	s_mov_b32 s35, s17
	v_add_u32_e32 v53, v0, v1
	buffer_load_dword v1, off, s[60:63], 0  ; 4-byte Folded Reload
	v_mov_b32_e32 v0, s1
	v_add_co_u32_e64 v11, s[0:1], s0, v3
	v_addc_co_u32_e64 v12, s[0:1], 0, v0, s[0:1]
	v_lshlrev_b32_e32 v0, 5, v15
	s_mov_b32 s13, 0xffffff
	v_mov_b32_e32 v10, 0
	s_mov_b64 s[16:17], 0
	s_movk_i32 s39, 0x80
	s_movk_i32 s40, 0x7f
	;; [unrolled: 1-line block ×3, first 2 shown]
	s_mov_b32 s42, 0x7060302
	v_bfrev_b32_e32 v52, 60
	v_mov_b32_e32 v57, 0
	v_mov_b32_e32 v56, 0
	;; [unrolled: 1-line block ×8, first 2 shown]
	buffer_store_dword v15, off, s[60:63], 0 offset:160 ; 4-byte Folded Spill
	buffer_store_dword v53, off, s[60:63], 0 offset:148 ; 4-byte Folded Spill
	s_waitcnt vmcnt(2)
	v_lshl_or_b32 v0, v1, 7, v0
	v_add_u32_e32 v37, 0x100, v0
	s_branch .LBB315_403
.LBB315_400:                            ;   in Loop: Header=BB315_403 Depth=1
	s_or_b64 exec, exec, s[2:3]
	v_lshlrev_b32_e32 v9, 16, v7
	v_lshlrev_b32_e32 v34, 16, v34
	v_mul_f32_e32 v9, v9, v34
	v_bfe_u32 v34, v9, 16, 1
	v_add3_u32 v34, v34, v9, s41
	v_or_b32_e32 v47, 0x400000, v9
	v_cmp_u_f32_e64 s[0:1], v9, v9
	v_cndmask_b32_e64 v9, v34, v47, s[0:1]
	v_and_b32_e32 v34, 0xffff0000, v7
	v_lshlrev_b32_e32 v33, 16, v33
	v_mul_f32_e32 v33, v34, v33
	v_bfe_u32 v34, v33, 16, 1
	v_add3_u32 v34, v34, v33, s41
	v_or_b32_e32 v47, 0x400000, v33
	v_cmp_u_f32_e64 s[0:1], v33, v33
	v_cndmask_b32_e64 v33, v34, v47, s[0:1]
	v_lshlrev_b32_e32 v34, 16, v6
	v_lshlrev_b32_e32 v14, 16, v14
	v_mul_f32_e32 v14, v34, v14
	v_bfe_u32 v34, v14, 16, 1
	v_add3_u32 v34, v34, v14, s41
	v_or_b32_e32 v47, 0x400000, v14
	v_cmp_u_f32_e64 s[0:1], v14, v14
	v_cndmask_b32_e64 v14, v34, v47, s[0:1]
	v_and_b32_e32 v34, 0xffff0000, v6
	v_lshlrev_b32_e32 v3, 16, v3
	v_mul_f32_e32 v3, v34, v3
	v_bfe_u32 v34, v3, 16, 1
	v_add3_u32 v34, v34, v3, s41
	v_or_b32_e32 v47, 0x400000, v3
	v_cmp_u_f32_e64 s[0:1], v3, v3
	v_cndmask_b32_e64 v3, v34, v47, s[0:1]
	;; [unrolled: 16-line block ×3, first 2 shown]
	v_lshlrev_b32_e32 v34, 16, v4
	v_lshlrev_b32_e32 v13, 16, v13
	v_mul_f32_e32 v13, v34, v13
	v_bfe_u32 v34, v13, 16, 1
	v_add3_u32 v34, v34, v13, s41
	v_or_b32_e32 v47, 0x400000, v13
	v_cmp_u_f32_e64 s[0:1], v13, v13
	v_cndmask_b32_e64 v13, v34, v47, s[0:1]
	v_and_b32_e32 v34, 0xffff0000, v4
	v_lshlrev_b32_e32 v8, 16, v8
	v_mul_f32_e32 v8, v34, v8
	v_bfe_u32 v34, v8, 16, 1
	v_and_b32_e32 v33, 0xffff0000, v33
	v_and_b32_e32 v9, 0xffff0000, v9
	v_and_b32_e32 v3, 0xffff0000, v3
	v_and_b32_e32 v14, 0xffff0000, v14
	v_add3_u32 v34, v34, v8, s41
	v_or_b32_e32 v47, 0x400000, v8
	v_cmp_u_f32_e64 s[0:1], v8, v8
	v_add_f32_e32 v9, v9, v33
	v_add_f32_e32 v3, v14, v3
	v_and_b32_e32 v1, 0xffff0000, v1
	v_and_b32_e32 v2, 0xffff0000, v2
	v_cndmask_b32_e64 v8, v34, v47, s[0:1]
	v_add_f32_e32 v3, v3, v9
	v_add_f32_e32 v1, v2, v1
	v_add_f32_e32 v1, v1, v3
	v_and_b32_e32 v2, 0xffff0000, v8
	v_and_b32_e32 v3, 0xffff0000, v13
	v_add_f32_e32 v2, v3, v2
	v_add_f32_e32 v1, v2, v1
	;; [unrolled: 1-line block ×3, first 2 shown]
.LBB315_401:                            ;   in Loop: Header=BB315_403 Depth=1
	s_or_b64 exec, exec, s[20:21]
	v_lshlrev_b32_e32 v2, 16, v49
	v_and_b32_e32 v1, 0xffff0000, v7
	v_mul_f32_e32 v2, v1, v2
	v_bfe_u32 v3, v2, 16, 1
	v_add3_u32 v3, v3, v2, s41
	v_or_b32_e32 v8, 0x400000, v2
	v_cmp_u_f32_e64 s[0:1], v2, v2
	v_cndmask_b32_e64 v9, v3, v8, s[0:1]
	v_lshlrev_b32_e32 v2, 16, v7
	v_lshlrev_b32_e32 v3, 16, v48
	v_mul_f32_e32 v3, v2, v3
	v_bfe_u32 v7, v3, 16, 1
	v_add3_u32 v7, v7, v3, s41
	v_or_b32_e32 v8, 0x400000, v3
	v_cmp_u_f32_e64 s[0:1], v3, v3
	v_cndmask_b32_e64 v13, v7, v8, s[0:1]
	v_lshlrev_b32_e32 v7, 16, v38
	v_and_b32_e32 v3, 0xffff0000, v6
	v_mul_f32_e32 v7, v3, v7
	v_bfe_u32 v8, v7, 16, 1
	v_add3_u32 v8, v8, v7, s41
	v_or_b32_e32 v14, 0x400000, v7
	v_cmp_u_f32_e64 s[0:1], v7, v7
	v_lshlrev_b32_e32 v6, 16, v6
	v_lshlrev_b32_e32 v7, 16, v45
	v_mul_f32_e32 v7, v6, v7
	v_cndmask_b32_e64 v14, v8, v14, s[0:1]
	v_bfe_u32 v8, v7, 16, 1
	v_add3_u32 v8, v8, v7, s41
	v_or_b32_e32 v33, 0x400000, v7
	v_cmp_u_f32_e64 s[0:1], v7, v7
	v_cndmask_b32_e64 v33, v8, v33, s[0:1]
	v_lshlrev_b32_e32 v8, 16, v16
	v_and_b32_e32 v7, 0xffff0000, v5
	v_mul_f32_e32 v8, v7, v8
	v_bfe_u32 v16, v8, 16, 1
	v_add3_u32 v16, v16, v8, s41
	v_or_b32_e32 v34, 0x400000, v8
	v_cmp_u_f32_e64 s[0:1], v8, v8
	v_lshlrev_b32_e32 v5, 16, v5
	v_lshlrev_b32_e32 v8, 16, v15
	v_mul_f32_e32 v8, v5, v8
	v_bfe_u32 v15, v8, 16, 1
	v_cndmask_b32_e64 v16, v16, v34, s[0:1]
	v_add3_u32 v15, v15, v8, s41
	v_or_b32_e32 v34, 0x400000, v8
	v_cmp_u_f32_e64 s[0:1], v8, v8
	v_cndmask_b32_e64 v15, v15, v34, s[0:1]
	v_lshlrev_b32_e32 v34, 16, v46
	v_and_b32_e32 v8, 0xffff0000, v4
	v_mul_f32_e32 v34, v8, v34
	v_bfe_u32 v38, v34, 16, 1
	v_lshlrev_b32_e32 v4, 16, v4
	v_lshlrev_b32_e32 v17, 16, v17
	v_and_b32_e32 v13, 0xffff0000, v13
	v_and_b32_e32 v9, 0xffff0000, v9
	v_add3_u32 v38, v38, v34, s41
	v_or_b32_e32 v45, 0x400000, v34
	v_cmp_u_f32_e64 s[0:1], v34, v34
	v_mul_f32_e32 v17, v4, v17
	v_add_f32_e32 v9, v13, v9
	v_and_b32_e32 v13, 0xffff0000, v33
	v_and_b32_e32 v14, 0xffff0000, v14
	v_cndmask_b32_e64 v34, v38, v45, s[0:1]
	v_bfe_u32 v38, v17, 16, 1
	v_add_f32_e32 v13, v13, v14
	v_add3_u32 v38, v38, v17, s41
	v_or_b32_e32 v45, 0x400000, v17
	v_cmp_u_f32_e64 s[0:1], v17, v17
	v_add_f32_e32 v9, v13, v9
	v_and_b32_e32 v13, 0xffff0000, v15
	v_and_b32_e32 v14, 0xffff0000, v16
	v_cndmask_b32_e64 v17, v38, v45, s[0:1]
	v_add_f32_e32 v13, v13, v14
	v_add_f32_e32 v9, v13, v9
	v_and_b32_e32 v13, 0xffff0000, v17
	v_and_b32_e32 v14, 0xffff0000, v34
	v_add_f32_e32 v13, v13, v14
	v_add_f32_e32 v9, v13, v9
	;; [unrolled: 1-line block ×3, first 2 shown]
	s_waitcnt vmcnt(1)
	v_lshlrev_b32_e32 v9, 16, v44
	v_mul_f32_e32 v9, v1, v9
	v_bfe_u32 v13, v9, 16, 1
	v_add3_u32 v13, v13, v9, s41
	v_or_b32_e32 v14, 0x400000, v9
	v_cmp_u_f32_e64 s[0:1], v9, v9
	v_cndmask_b32_e64 v9, v13, v14, s[0:1]
	v_lshlrev_b32_e32 v13, 16, v43
	v_mul_f32_e32 v13, v2, v13
	v_bfe_u32 v14, v13, 16, 1
	v_add3_u32 v14, v14, v13, s41
	v_or_b32_e32 v15, 0x400000, v13
	v_cmp_u_f32_e64 s[0:1], v13, v13
	v_cndmask_b32_e64 v13, v14, v15, s[0:1]
	;; [unrolled: 7-line block ×7, first 2 shown]
	v_lshlrev_b32_e32 v19, 16, v39
	v_and_b32_e32 v13, 0xffff0000, v13
	v_and_b32_e32 v9, 0xffff0000, v9
	v_mul_f32_e32 v19, v4, v19
	v_add_f32_e32 v9, v13, v9
	v_and_b32_e32 v13, 0xffff0000, v15
	v_and_b32_e32 v14, 0xffff0000, v14
	v_bfe_u32 v33, v19, 16, 1
	v_add_f32_e32 v13, v13, v14
	v_add3_u32 v33, v33, v19, s41
	v_or_b32_e32 v34, 0x400000, v19
	v_cmp_u_f32_e64 s[0:1], v19, v19
	v_add_f32_e32 v9, v13, v9
	v_and_b32_e32 v13, 0xffff0000, v17
	v_and_b32_e32 v14, 0xffff0000, v16
	v_cndmask_b32_e64 v19, v33, v34, s[0:1]
	v_add_f32_e32 v13, v13, v14
	v_add_f32_e32 v9, v13, v9
	v_and_b32_e32 v13, 0xffff0000, v19
	v_and_b32_e32 v14, 0xffff0000, v18
	v_add_f32_e32 v13, v13, v14
	v_add_f32_e32 v9, v13, v9
	;; [unrolled: 1-line block ×3, first 2 shown]
	v_lshlrev_b32_e32 v9, 16, v27
	v_mul_f32_e32 v9, v1, v9
	v_bfe_u32 v13, v9, 16, 1
	v_add3_u32 v13, v13, v9, s41
	v_or_b32_e32 v14, 0x400000, v9
	v_cmp_u_f32_e64 s[0:1], v9, v9
	v_cndmask_b32_e64 v9, v13, v14, s[0:1]
	v_lshlrev_b32_e32 v13, 16, v32
	v_mul_f32_e32 v13, v2, v13
	v_bfe_u32 v14, v13, 16, 1
	v_add3_u32 v14, v14, v13, s41
	v_or_b32_e32 v15, 0x400000, v13
	v_cmp_u_f32_e64 s[0:1], v13, v13
	v_cndmask_b32_e64 v13, v14, v15, s[0:1]
	;; [unrolled: 7-line block ×7, first 2 shown]
	v_lshlrev_b32_e32 v19, 16, v26
	v_and_b32_e32 v13, 0xffff0000, v13
	v_and_b32_e32 v9, 0xffff0000, v9
	v_mul_f32_e32 v19, v4, v19
	v_add_f32_e32 v9, v13, v9
	v_and_b32_e32 v13, 0xffff0000, v15
	v_and_b32_e32 v14, 0xffff0000, v14
	v_bfe_u32 v24, v19, 16, 1
	v_add_f32_e32 v13, v13, v14
	v_add3_u32 v24, v24, v19, s41
	v_or_b32_e32 v26, 0x400000, v19
	v_cmp_u_f32_e64 s[0:1], v19, v19
	v_add_f32_e32 v9, v13, v9
	v_and_b32_e32 v13, 0xffff0000, v17
	v_and_b32_e32 v14, 0xffff0000, v16
	v_cndmask_b32_e64 v19, v24, v26, s[0:1]
	v_add_f32_e32 v13, v13, v14
	v_add_f32_e32 v9, v13, v9
	v_and_b32_e32 v13, 0xffff0000, v19
	v_and_b32_e32 v14, 0xffff0000, v18
	v_add_f32_e32 v13, v13, v14
	v_add_f32_e32 v9, v13, v9
	;; [unrolled: 1-line block ×3, first 2 shown]
	buffer_load_dword v9, off, s[60:63], 0 offset:136 ; 4-byte Folded Reload
	v_lshlrev_b32_e32 v0, 16, v0
	v_mul_f32_e32 v0, v7, v0
	s_waitcnt vmcnt(0)
	v_lshlrev_b32_e32 v9, 16, v9
	v_mul_f32_e32 v9, v1, v9
	v_bfe_u32 v13, v9, 16, 1
	v_add3_u32 v13, v13, v9, s41
	v_or_b32_e32 v14, 0x400000, v9
	v_cmp_u_f32_e64 s[0:1], v9, v9
	v_cndmask_b32_e64 v9, v13, v14, s[0:1]
	buffer_load_dword v13, off, s[60:63], 0 offset:140 ; 4-byte Folded Reload
	v_and_b32_e32 v9, 0xffff0000, v9
	s_waitcnt vmcnt(0)
	v_lshlrev_b32_e32 v13, 16, v13
	v_mul_f32_e32 v13, v2, v13
	v_bfe_u32 v14, v13, 16, 1
	v_add3_u32 v14, v14, v13, s41
	v_or_b32_e32 v15, 0x400000, v13
	v_cmp_u_f32_e64 s[0:1], v13, v13
	v_cndmask_b32_e64 v13, v14, v15, s[0:1]
	v_lshlrev_b32_e32 v14, 16, v25
	v_mul_f32_e32 v14, v3, v14
	v_bfe_u32 v15, v14, 16, 1
	v_add3_u32 v15, v15, v14, s41
	v_or_b32_e32 v16, 0x400000, v14
	v_cmp_u_f32_e64 s[0:1], v14, v14
	v_cndmask_b32_e64 v14, v15, v16, s[0:1]
	;; [unrolled: 7-line block ×3, first 2 shown]
	v_bfe_u32 v16, v0, 16, 1
	v_add3_u32 v16, v16, v0, s41
	v_or_b32_e32 v17, 0x400000, v0
	v_cmp_u_f32_e64 s[0:1], v0, v0
	v_cndmask_b32_e64 v0, v16, v17, s[0:1]
	v_lshlrev_b32_e32 v16, 16, v23
	v_mul_f32_e32 v16, v5, v16
	v_bfe_u32 v17, v16, 16, 1
	v_add3_u32 v17, v17, v16, s41
	v_or_b32_e32 v18, 0x400000, v16
	v_cmp_u_f32_e64 s[0:1], v16, v16
	v_cndmask_b32_e64 v16, v17, v18, s[0:1]
	v_lshlrev_b32_e32 v17, 16, v20
	v_mul_f32_e32 v17, v8, v17
	v_bfe_u32 v18, v17, 16, 1
	v_add3_u32 v18, v18, v17, s41
	v_or_b32_e32 v19, 0x400000, v17
	v_cmp_u_f32_e64 s[0:1], v17, v17
	v_cndmask_b32_e64 v17, v18, v19, s[0:1]
	v_lshlrev_b32_e32 v18, 16, v21
	v_and_b32_e32 v13, 0xffff0000, v13
	v_mul_f32_e32 v18, v4, v18
	v_add_f32_e32 v9, v13, v9
	v_and_b32_e32 v13, 0xffff0000, v15
	v_and_b32_e32 v14, 0xffff0000, v14
	v_bfe_u32 v19, v18, 16, 1
	v_add_f32_e32 v13, v13, v14
	v_add3_u32 v19, v19, v18, s41
	v_or_b32_e32 v20, 0x400000, v18
	v_cmp_u_f32_e64 s[0:1], v18, v18
	v_add_f32_e32 v9, v13, v9
	v_and_b32_e32 v13, 0xffff0000, v16
	v_and_b32_e32 v0, 0xffff0000, v0
	v_cndmask_b32_e64 v18, v19, v20, s[0:1]
	v_add_f32_e32 v0, v13, v0
	v_add_f32_e32 v0, v0, v9
	v_and_b32_e32 v9, 0xffff0000, v18
	v_and_b32_e32 v13, 0xffff0000, v17
	v_add_f32_e32 v9, v9, v13
	v_add_f32_e32 v0, v9, v0
	;; [unrolled: 1-line block ×3, first 2 shown]
	buffer_load_dword v0, off, s[60:63], 0 offset:104 ; 4-byte Folded Reload
	s_waitcnt vmcnt(0)
	v_lshlrev_b32_e32 v0, 16, v0
	v_mul_f32_e32 v0, v1, v0
	v_bfe_u32 v9, v0, 16, 1
	v_add3_u32 v9, v9, v0, s41
	v_or_b32_e32 v13, 0x400000, v0
	v_cmp_u_f32_e64 s[0:1], v0, v0
	v_cndmask_b32_e64 v0, v9, v13, s[0:1]
	buffer_load_dword v9, off, s[60:63], 0 offset:120 ; 4-byte Folded Reload
	v_and_b32_e32 v0, 0xffff0000, v0
	s_waitcnt vmcnt(0)
	v_lshlrev_b32_e32 v9, 16, v9
	v_mul_f32_e32 v9, v2, v9
	v_bfe_u32 v13, v9, 16, 1
	v_add3_u32 v13, v13, v9, s41
	v_or_b32_e32 v14, 0x400000, v9
	v_cmp_u_f32_e64 s[0:1], v9, v9
	v_cndmask_b32_e64 v9, v13, v14, s[0:1]
	buffer_load_dword v13, off, s[60:63], 0 offset:80 ; 4-byte Folded Reload
	v_and_b32_e32 v9, 0xffff0000, v9
	v_add_f32_e32 v0, v9, v0
	s_waitcnt vmcnt(0)
	v_lshlrev_b32_e32 v13, 16, v13
	v_mul_f32_e32 v13, v3, v13
	v_bfe_u32 v14, v13, 16, 1
	v_add3_u32 v14, v14, v13, s41
	v_or_b32_e32 v15, 0x400000, v13
	v_cmp_u_f32_e64 s[0:1], v13, v13
	v_cndmask_b32_e64 v13, v14, v15, s[0:1]
	buffer_load_dword v14, off, s[60:63], 0 offset:84 ; 4-byte Folded Reload
	v_and_b32_e32 v13, 0xffff0000, v13
	s_waitcnt vmcnt(0)
	v_lshlrev_b32_e32 v14, 16, v14
	v_mul_f32_e32 v14, v6, v14
	v_bfe_u32 v15, v14, 16, 1
	v_add3_u32 v15, v15, v14, s41
	v_or_b32_e32 v16, 0x400000, v14
	v_cmp_u_f32_e64 s[0:1], v14, v14
	v_cndmask_b32_e64 v14, v15, v16, s[0:1]
	buffer_load_dword v15, off, s[60:63], 0 offset:68 ; 4-byte Folded Reload
	v_and_b32_e32 v9, 0xffff0000, v14
	v_add_f32_e32 v9, v9, v13
	v_add_f32_e32 v0, v9, v0
	s_waitcnt vmcnt(0)
	v_lshlrev_b32_e32 v15, 16, v15
	v_mul_f32_e32 v15, v7, v15
	v_bfe_u32 v16, v15, 16, 1
	v_add3_u32 v16, v16, v15, s41
	v_or_b32_e32 v17, 0x400000, v15
	v_cmp_u_f32_e64 s[0:1], v15, v15
	v_cndmask_b32_e64 v15, v16, v17, s[0:1]
	buffer_load_dword v16, off, s[60:63], 0 offset:72 ; 4-byte Folded Reload
	v_and_b32_e32 v13, 0xffff0000, v15
	s_waitcnt vmcnt(0)
	v_lshlrev_b32_e32 v16, 16, v16
	v_mul_f32_e32 v16, v5, v16
	v_bfe_u32 v17, v16, 16, 1
	v_add3_u32 v17, v17, v16, s41
	v_or_b32_e32 v18, 0x400000, v16
	v_cmp_u_f32_e64 s[0:1], v16, v16
	v_cndmask_b32_e64 v16, v17, v18, s[0:1]
	buffer_load_dword v17, off, s[60:63], 0 offset:88 ; 4-byte Folded Reload
	v_and_b32_e32 v9, 0xffff0000, v16
	v_add_f32_e32 v9, v9, v13
	v_add_f32_e32 v0, v9, v0
	s_waitcnt vmcnt(0)
	v_lshlrev_b32_e32 v17, 16, v17
	v_mul_f32_e32 v17, v8, v17
	v_bfe_u32 v18, v17, 16, 1
	v_add3_u32 v18, v18, v17, s41
	v_or_b32_e32 v19, 0x400000, v17
	v_cmp_u_f32_e64 s[0:1], v17, v17
	v_cndmask_b32_e64 v17, v18, v19, s[0:1]
	buffer_load_dword v18, off, s[60:63], 0 offset:76 ; 4-byte Folded Reload
	v_and_b32_e32 v13, 0xffff0000, v17
	s_waitcnt vmcnt(0)
	v_lshlrev_b32_e32 v18, 16, v18
	v_mul_f32_e32 v18, v4, v18
	v_bfe_u32 v19, v18, 16, 1
	v_add3_u32 v19, v19, v18, s41
	v_or_b32_e32 v20, 0x400000, v18
	v_cmp_u_f32_e64 s[0:1], v18, v18
	v_cndmask_b32_e64 v18, v19, v20, s[0:1]
	v_and_b32_e32 v9, 0xffff0000, v18
	v_add_f32_e32 v9, v9, v13
	v_add_f32_e32 v0, v9, v0
	;; [unrolled: 1-line block ×3, first 2 shown]
	buffer_load_dword v0, off, s[60:63], 0 offset:60 ; 4-byte Folded Reload
	s_waitcnt vmcnt(0)
	v_lshlrev_b32_e32 v0, 16, v0
	v_mul_f32_e32 v0, v1, v0
	v_bfe_u32 v9, v0, 16, 1
	v_add3_u32 v9, v9, v0, s41
	v_or_b32_e32 v13, 0x400000, v0
	v_cmp_u_f32_e64 s[0:1], v0, v0
	v_cndmask_b32_e64 v0, v9, v13, s[0:1]
	buffer_load_dword v9, off, s[60:63], 0 offset:64 ; 4-byte Folded Reload
	v_and_b32_e32 v0, 0xffff0000, v0
	s_waitcnt vmcnt(0)
	v_lshlrev_b32_e32 v9, 16, v9
	v_mul_f32_e32 v9, v2, v9
	v_bfe_u32 v13, v9, 16, 1
	v_add3_u32 v13, v13, v9, s41
	v_or_b32_e32 v14, 0x400000, v9
	v_cmp_u_f32_e64 s[0:1], v9, v9
	v_cndmask_b32_e64 v9, v13, v14, s[0:1]
	buffer_load_dword v13, off, s[60:63], 0 offset:48 ; 4-byte Folded Reload
	v_and_b32_e32 v9, 0xffff0000, v9
	v_add_f32_e32 v0, v9, v0
	s_waitcnt vmcnt(0)
	v_lshlrev_b32_e32 v13, 16, v13
	v_mul_f32_e32 v13, v3, v13
	v_bfe_u32 v14, v13, 16, 1
	v_add3_u32 v14, v14, v13, s41
	v_or_b32_e32 v15, 0x400000, v13
	v_cmp_u_f32_e64 s[0:1], v13, v13
	v_cndmask_b32_e64 v13, v14, v15, s[0:1]
	buffer_load_dword v14, off, s[60:63], 0 offset:52 ; 4-byte Folded Reload
	v_and_b32_e32 v13, 0xffff0000, v13
	s_waitcnt vmcnt(0)
	v_lshlrev_b32_e32 v14, 16, v14
	v_mul_f32_e32 v14, v6, v14
	v_bfe_u32 v15, v14, 16, 1
	v_add3_u32 v15, v15, v14, s41
	v_or_b32_e32 v16, 0x400000, v14
	v_cmp_u_f32_e64 s[0:1], v14, v14
	v_cndmask_b32_e64 v14, v15, v16, s[0:1]
	buffer_load_dword v15, off, s[60:63], 0 offset:36 ; 4-byte Folded Reload
	v_and_b32_e32 v9, 0xffff0000, v14
	v_add_f32_e32 v9, v9, v13
	v_add_f32_e32 v0, v9, v0
	s_waitcnt vmcnt(0)
	v_lshlrev_b32_e32 v15, 16, v15
	v_mul_f32_e32 v15, v7, v15
	v_bfe_u32 v16, v15, 16, 1
	v_add3_u32 v16, v16, v15, s41
	v_or_b32_e32 v17, 0x400000, v15
	v_cmp_u_f32_e64 s[0:1], v15, v15
	v_cndmask_b32_e64 v15, v16, v17, s[0:1]
	buffer_load_dword v16, off, s[60:63], 0 offset:40 ; 4-byte Folded Reload
	v_and_b32_e32 v13, 0xffff0000, v15
	s_waitcnt vmcnt(0)
	v_lshlrev_b32_e32 v16, 16, v16
	v_mul_f32_e32 v16, v5, v16
	v_bfe_u32 v17, v16, 16, 1
	v_add3_u32 v17, v17, v16, s41
	v_or_b32_e32 v18, 0x400000, v16
	v_cmp_u_f32_e64 s[0:1], v16, v16
	v_cndmask_b32_e64 v16, v17, v18, s[0:1]
	buffer_load_dword v17, off, s[60:63], 0 offset:56 ; 4-byte Folded Reload
	v_and_b32_e32 v9, 0xffff0000, v16
	v_add_f32_e32 v9, v9, v13
	v_add_f32_e32 v0, v9, v0
	s_waitcnt vmcnt(0)
	v_lshlrev_b32_e32 v17, 16, v17
	v_mul_f32_e32 v17, v8, v17
	v_bfe_u32 v18, v17, 16, 1
	v_add3_u32 v18, v18, v17, s41
	v_or_b32_e32 v19, 0x400000, v17
	v_cmp_u_f32_e64 s[0:1], v17, v17
	v_cndmask_b32_e64 v17, v18, v19, s[0:1]
	buffer_load_dword v18, off, s[60:63], 0 offset:44 ; 4-byte Folded Reload
	v_and_b32_e32 v13, 0xffff0000, v17
	s_waitcnt vmcnt(0)
	v_lshlrev_b32_e32 v18, 16, v18
	v_mul_f32_e32 v18, v4, v18
	v_bfe_u32 v19, v18, 16, 1
	v_add3_u32 v19, v19, v18, s41
	v_or_b32_e32 v20, 0x400000, v18
	v_cmp_u_f32_e64 s[0:1], v18, v18
	v_cndmask_b32_e64 v18, v19, v20, s[0:1]
	v_and_b32_e32 v9, 0xffff0000, v18
	v_add_f32_e32 v9, v9, v13
	v_add_f32_e32 v0, v9, v0
	;; [unrolled: 1-line block ×3, first 2 shown]
	buffer_load_dword v0, off, s[60:63], 0 offset:28 ; 4-byte Folded Reload
	s_waitcnt vmcnt(0)
	v_lshlrev_b32_e32 v0, 16, v0
	v_mul_f32_e32 v0, v1, v0
	v_bfe_u32 v1, v0, 16, 1
	v_add3_u32 v1, v1, v0, s41
	v_or_b32_e32 v9, 0x400000, v0
	v_cmp_u_f32_e64 s[0:1], v0, v0
	v_cndmask_b32_e64 v0, v1, v9, s[0:1]
	buffer_load_dword v1, off, s[60:63], 0 offset:32 ; 4-byte Folded Reload
	v_and_b32_e32 v0, 0xffff0000, v0
	s_waitcnt vmcnt(0)
	v_lshlrev_b32_e32 v1, 16, v1
	v_mul_f32_e32 v1, v2, v1
	v_bfe_u32 v2, v1, 16, 1
	v_add3_u32 v2, v2, v1, s41
	v_or_b32_e32 v9, 0x400000, v1
	v_cmp_u_f32_e64 s[0:1], v1, v1
	v_cndmask_b32_e64 v1, v2, v9, s[0:1]
	buffer_load_dword v2, off, s[60:63], 0 offset:16 ; 4-byte Folded Reload
	v_and_b32_e32 v1, 0xffff0000, v1
	v_add_f32_e32 v0, v1, v0
	s_waitcnt vmcnt(0)
	v_lshlrev_b32_e32 v2, 16, v2
	v_mul_f32_e32 v2, v3, v2
	v_bfe_u32 v3, v2, 16, 1
	v_add3_u32 v3, v3, v2, s41
	v_or_b32_e32 v9, 0x400000, v2
	v_cmp_u_f32_e64 s[0:1], v2, v2
	v_cndmask_b32_e64 v2, v3, v9, s[0:1]
	buffer_load_dword v3, off, s[60:63], 0 offset:20 ; 4-byte Folded Reload
	v_and_b32_e32 v2, 0xffff0000, v2
	s_waitcnt vmcnt(0)
	v_lshlrev_b32_e32 v3, 16, v3
	v_mul_f32_e32 v3, v6, v3
	v_bfe_u32 v6, v3, 16, 1
	v_add3_u32 v6, v6, v3, s41
	v_or_b32_e32 v9, 0x400000, v3
	v_cmp_u_f32_e64 s[0:1], v3, v3
	v_cndmask_b32_e64 v3, v6, v9, s[0:1]
	v_lshlrev_b32_e32 v6, 16, v35
	v_mul_f32_e32 v6, v7, v6
	v_bfe_u32 v7, v6, 16, 1
	v_add3_u32 v7, v7, v6, s41
	v_or_b32_e32 v9, 0x400000, v6
	v_cmp_u_f32_e64 s[0:1], v6, v6
	v_cndmask_b32_e64 v6, v7, v9, s[0:1]
	buffer_load_dword v7, off, s[60:63], 0 offset:4 ; 4-byte Folded Reload
	v_and_b32_e32 v1, 0xffff0000, v3
	v_add_f32_e32 v1, v1, v2
	v_add_f32_e32 v0, v1, v0
	v_and_b32_e32 v2, 0xffff0000, v6
	s_waitcnt vmcnt(0)
	v_lshlrev_b32_e32 v7, 16, v7
	v_mul_f32_e32 v5, v5, v7
	v_bfe_u32 v7, v5, 16, 1
	v_add3_u32 v7, v7, v5, s41
	v_or_b32_e32 v9, 0x400000, v5
	v_cmp_u_f32_e64 s[0:1], v5, v5
	v_cndmask_b32_e64 v5, v7, v9, s[0:1]
	buffer_load_dword v7, off, s[60:63], 0 offset:24 ; 4-byte Folded Reload
	v_and_b32_e32 v1, 0xffff0000, v5
	v_add_f32_e32 v1, v1, v2
	v_add_f32_e32 v0, v1, v0
	s_waitcnt vmcnt(0)
	v_lshlrev_b32_e32 v7, 16, v7
	v_mul_f32_e32 v7, v8, v7
	v_bfe_u32 v8, v7, 16, 1
	v_add3_u32 v8, v8, v7, s41
	v_or_b32_e32 v9, 0x400000, v7
	v_cmp_u_f32_e64 s[0:1], v7, v7
	v_cndmask_b32_e64 v7, v8, v9, s[0:1]
	buffer_load_dword v8, off, s[60:63], 0 offset:8 ; 4-byte Folded Reload
	v_and_b32_e32 v2, 0xffff0000, v7
	s_waitcnt vmcnt(0)
	v_lshlrev_b32_e32 v8, 16, v8
	v_mul_f32_e32 v4, v4, v8
	v_bfe_u32 v8, v4, 16, 1
	v_add3_u32 v8, v8, v4, s41
	v_or_b32_e32 v9, 0x400000, v4
	v_cmp_u_f32_e64 s[0:1], v4, v4
	v_cndmask_b32_e64 v4, v8, v9, s[0:1]
	v_and_b32_e32 v1, 0xffff0000, v4
	buffer_load_dword v4, off, s[60:63], 0 offset:12 ; 4-byte Folded Reload
	v_add_f32_e32 v1, v1, v2
	v_add_f32_e32 v0, v1, v0
	;; [unrolled: 1-line block ×3, first 2 shown]
.LBB315_402:                            ;   in Loop: Header=BB315_403 Depth=1
	s_or_b64 exec, exec, s[18:19]
	buffer_load_dword v0, off, s[60:63], 0  ; 4-byte Folded Reload
	v_add_co_u32_e64 v11, s[0:1], 8, v11
	v_addc_co_u32_e64 v12, s[0:1], 0, v12, s[0:1]
	s_waitcnt vmcnt(1)
	v_add_u32_e32 v4, 64, v4
	v_add_u32_e32 v37, 0x100, v37
	s_waitcnt vmcnt(0)
	v_add_u32_e32 v0, 2, v0
	v_cmp_le_i32_e64 s[0:1], s48, v0
	s_or_b64 s[16:17], s[0:1], s[16:17]
	buffer_store_dword v0, off, s[60:63], 0 ; 4-byte Folded Spill
	s_andn2_b64 exec, exec, s[16:17]
	s_cbranch_execz .LBB315_805
.LBB315_403:                            ; =>This Inner Loop Header: Depth=1
	v_mul_hi_u32 v0, v4, s46
	v_mul_lo_u32 v1, v0, s25
	v_add_u32_e32 v2, 1, v0
	v_sub_u32_e32 v1, v4, v1
	v_cmp_le_u32_e64 s[0:1], s25, v1
	v_cndmask_b32_e64 v0, v0, v2, s[0:1]
	v_subrev_u32_e32 v2, s25, v1
	v_cndmask_b32_e64 v1, v1, v2, s[0:1]
	v_add_u32_e32 v2, 1, v0
	v_cmp_le_u32_e64 s[0:1], s25, v1
	v_cndmask_b32_e64 v0, v0, v2, s[0:1]
	v_xor_b32_e32 v0, s47, v0
	v_subrev_u32_e32 v0, s47, v0
	v_add_u32_e32 v1, s36, v0
	v_sub_u32_e32 v2, 0, v1
	v_max_i32_e32 v2, v1, v2
	v_mul_hi_u32 v3, v2, v53
	v_ashrrev_i32_e32 v1, 31, v1
	v_cmp_lt_i32_e64 s[2:3], s37, v0
	v_mul_lo_u32 v3, v3, s34
	v_sub_u32_e32 v2, v2, v3
	v_subrev_u32_e32 v3, s34, v2
	v_cmp_le_u32_e64 s[0:1], s34, v2
	v_cndmask_b32_e64 v2, v2, v3, s[0:1]
	v_subrev_u32_e32 v3, s34, v2
	v_cmp_le_u32_e64 s[0:1], s34, v2
	v_cndmask_b32_e64 v2, v2, v3, s[0:1]
	v_xor_b32_e32 v2, v2, v1
	v_sub_u32_e32 v1, v2, v1
	v_cmp_eq_u32_e64 s[0:1], 0, v1
	s_or_b64 s[0:1], s[0:1], s[2:3]
	s_and_saveexec_b64 s[18:19], s[0:1]
	s_cbranch_execz .LBB315_402
; %bb.404:                              ;   in Loop: Header=BB315_403 Depth=1
	global_load_dword v2, v[11:12], off
	v_mov_b32_e32 v0, s6
	v_mov_b32_e32 v1, s7
	buffer_store_dword v4, off, s[60:63], 0 offset:12 ; 4-byte Folded Spill
	v_mov_b32_e32 v20, 0
	s_waitcnt vmcnt(1)
	v_mad_i64_i32 v[13:14], s[0:1], v2, s35, v[0:1]
	v_lshl_or_b32 v0, v55, 5, v61
	v_add_co_u32_e64 v15, s[0:1], v13, v0
	v_addc_co_u32_e64 v16, s[0:1], 0, v14, s[0:1]
	global_load_dwordx2 v[17:18], v[15:16], off
	ds_read2_b64 v[5:8], v37 offset1:1
	ds_read2_b64 v[1:4], v37 offset0:2 offset1:3
	s_load_dword s43, s[14:15], 0x0
	v_mov_b32_e32 v0, 0
	s_waitcnt vmcnt(0)
	v_cmp_ne_u16_sdwa s[0:1], v17, v10 src0_sel:BYTE_0 src1_sel:DWORD
	s_and_saveexec_b64 s[2:3], s[0:1]
	s_cbranch_execz .LBB315_410
; %bb.405:                              ;   in Loop: Header=BB315_403 Depth=1
	v_cmp_ne_u16_sdwa s[0:1], v17, s39 src0_sel:BYTE_0 src1_sel:DWORD
	v_bfrev_b32_e32 v0, 1
	s_and_saveexec_b64 s[20:21], s[0:1]
	s_cbranch_execz .LBB315_409
; %bb.406:                              ;   in Loop: Header=BB315_403 Depth=1
	v_and_b32_e32 v9, 0x7f, v17
	v_cmp_ne_u32_e64 s[0:1], s40, v9
	v_mov_b32_e32 v0, 0x7f800001
	s_and_saveexec_b64 s[22:23], s[0:1]
	s_cbranch_execz .LBB315_408
; %bb.407:                              ;   in Loop: Header=BB315_403 Depth=1
	v_and_b32_e32 v0, 7, v17
	v_ffbh_u32_e32 v0, v0
	v_min_u32_e32 v0, 32, v0
	v_subrev_u32_e32 v21, 28, v0
	v_cmp_gt_u32_e64 s[0:1], 8, v9
	v_lshrrev_b32_e32 v19, 3, v9
	v_cndmask_b32_e64 v9, 0, v21, s[0:1]
	v_lshlrev_b64 v[21:22], v9, v[17:18]
	v_sub_u32_e32 v0, 29, v0
	v_cndmask_b32_e64 v0, v19, v0, s[0:1]
	v_lshlrev_b32_e32 v9, 20, v21
	v_lshlrev_b32_e32 v19, 24, v17
	v_and_b32_e32 v9, 0x700000, v9
	v_and_b32_e32 v19, 0x80000000, v19
	v_lshl_add_u32 v0, v0, 23, v52
	v_or3_b32 v0, v19, v0, v9
.LBB315_408:                            ;   in Loop: Header=BB315_403 Depth=1
	s_or_b64 exec, exec, s[22:23]
.LBB315_409:                            ;   in Loop: Header=BB315_403 Depth=1
	s_or_b64 exec, exec, s[20:21]
.LBB315_410:                            ;   in Loop: Header=BB315_403 Depth=1
	s_or_b64 exec, exec, s[2:3]
	v_lshrrev_b16_e32 v9, 8, v17
	v_cmp_ne_u16_e64 s[0:1], 0, v9
	s_and_saveexec_b64 s[2:3], s[0:1]
	s_cbranch_execz .LBB315_416
; %bb.411:                              ;   in Loop: Header=BB315_403 Depth=1
	v_cmp_ne_u16_e64 s[0:1], s39, v9
	v_bfrev_b32_e32 v20, 1
	s_and_saveexec_b64 s[20:21], s[0:1]
	s_cbranch_execz .LBB315_415
; %bb.412:                              ;   in Loop: Header=BB315_403 Depth=1
	v_and_b32_e32 v19, 0x7f, v9
	v_cmp_ne_u32_e64 s[0:1], s40, v19
	v_mov_b32_e32 v20, 0x7f800001
	s_and_saveexec_b64 s[22:23], s[0:1]
	s_cbranch_execz .LBB315_414
; %bb.413:                              ;   in Loop: Header=BB315_403 Depth=1
	v_and_b32_e32 v22, 7, v9
	v_ffbh_u32_e32 v20, v22
	v_min_u32_e32 v24, 32, v20
	v_subrev_u32_e32 v20, 28, v24
	v_lshlrev_b64 v[20:21], v20, v[9:10]
	v_lshrrev_b32_e32 v23, 3, v19
	v_sub_u32_e32 v9, 29, v24
	v_and_b32_e32 v20, 7, v20
	v_cmp_gt_u32_e64 s[0:1], 8, v19
	v_cndmask_b32_e64 v9, v23, v9, s[0:1]
	v_cndmask_b32_e64 v19, v22, v20, s[0:1]
	v_lshlrev_b32_e32 v20, 16, v17
	v_lshlrev_b32_e32 v19, 20, v19
	v_and_b32_e32 v20, 0x80000000, v20
	v_lshl_add_u32 v9, v9, 23, v52
	v_or3_b32 v20, v20, v9, v19
.LBB315_414:                            ;   in Loop: Header=BB315_403 Depth=1
	s_or_b64 exec, exec, s[22:23]
.LBB315_415:                            ;   in Loop: Header=BB315_403 Depth=1
	s_or_b64 exec, exec, s[20:21]
.LBB315_416:                            ;   in Loop: Header=BB315_403 Depth=1
	s_or_b64 exec, exec, s[2:3]
	v_lshrrev_b32_e32 v9, 16, v17
	v_cmp_ne_u16_sdwa s[0:1], v9, v10 src0_sel:BYTE_0 src1_sel:DWORD
	v_mov_b32_e32 v22, 0
	v_mov_b32_e32 v21, 0
	s_and_saveexec_b64 s[2:3], s[0:1]
	s_cbranch_execz .LBB315_422
; %bb.417:                              ;   in Loop: Header=BB315_403 Depth=1
	v_cmp_ne_u16_sdwa s[0:1], v9, s39 src0_sel:BYTE_0 src1_sel:DWORD
	v_bfrev_b32_e32 v21, 1
	s_and_saveexec_b64 s[20:21], s[0:1]
	s_cbranch_execz .LBB315_421
; %bb.418:                              ;   in Loop: Header=BB315_403 Depth=1
	v_bfe_u32 v19, v17, 16, 7
	v_cmp_ne_u32_e64 s[0:1], s40, v19
	v_mov_b32_e32 v21, 0x7f800001
	s_and_saveexec_b64 s[22:23], s[0:1]
	s_cbranch_execz .LBB315_420
; %bb.419:                              ;   in Loop: Header=BB315_403 Depth=1
	v_and_b32_e32 v21, 7, v9
	v_ffbh_u32_e32 v23, v21
	v_min_u32_e32 v26, 32, v23
	v_subrev_u32_e32 v23, 28, v26
	v_lshlrev_b64 v[23:24], v23, v[9:10]
	v_lshrrev_b32_e32 v25, 3, v19
	v_sub_u32_e32 v24, 29, v26
	v_and_b32_e32 v23, 7, v23
	v_cmp_gt_u32_e64 s[0:1], 8, v19
	v_cndmask_b32_e64 v19, v25, v24, s[0:1]
	v_cndmask_b32_e64 v21, v21, v23, s[0:1]
	v_lshlrev_b32_e32 v9, 24, v9
	v_lshlrev_b32_e32 v21, 20, v21
	v_and_b32_e32 v9, 0x80000000, v9
	v_lshl_add_u32 v19, v19, 23, v52
	v_or3_b32 v21, v9, v19, v21
.LBB315_420:                            ;   in Loop: Header=BB315_403 Depth=1
	s_or_b64 exec, exec, s[22:23]
.LBB315_421:                            ;   in Loop: Header=BB315_403 Depth=1
	s_or_b64 exec, exec, s[20:21]
.LBB315_422:                            ;   in Loop: Header=BB315_403 Depth=1
	s_or_b64 exec, exec, s[2:3]
	v_cmp_lt_u32_e64 s[0:1], s13, v17
	s_and_saveexec_b64 s[2:3], s[0:1]
	s_cbranch_execz .LBB315_428
; %bb.423:                              ;   in Loop: Header=BB315_403 Depth=1
	v_lshrrev_b32_e32 v9, 24, v17
	v_cmp_ne_u32_e64 s[0:1], s39, v9
	v_bfrev_b32_e32 v22, 1
	s_and_saveexec_b64 s[20:21], s[0:1]
	s_cbranch_execz .LBB315_427
; %bb.424:                              ;   in Loop: Header=BB315_403 Depth=1
	v_bfe_u32 v19, v17, 24, 7
	v_cmp_ne_u32_e64 s[0:1], s40, v19
	v_mov_b32_e32 v22, 0x7f800001
	s_and_saveexec_b64 s[22:23], s[0:1]
	s_cbranch_execz .LBB315_426
; %bb.425:                              ;   in Loop: Header=BB315_403 Depth=1
	v_and_b32_e32 v24, 7, v9
	v_ffbh_u32_e32 v22, v24
	v_min_u32_e32 v26, 32, v22
	v_subrev_u32_e32 v22, 28, v26
	v_lshlrev_b64 v[22:23], v22, v[9:10]
	v_lshrrev_b32_e32 v25, 3, v19
	v_sub_u32_e32 v23, 29, v26
	v_and_b32_e32 v22, 7, v22
	v_cmp_gt_u32_e64 s[0:1], 8, v19
	v_cndmask_b32_e64 v19, v25, v23, s[0:1]
	v_cndmask_b32_e64 v22, v24, v22, s[0:1]
	v_lshlrev_b32_e32 v9, 24, v9
	v_lshlrev_b32_e32 v22, 20, v22
	v_and_b32_e32 v9, 0x80000000, v9
	v_lshl_add_u32 v19, v19, 23, v52
	v_or3_b32 v22, v9, v19, v22
.LBB315_426:                            ;   in Loop: Header=BB315_403 Depth=1
	s_or_b64 exec, exec, s[22:23]
.LBB315_427:                            ;   in Loop: Header=BB315_403 Depth=1
	s_or_b64 exec, exec, s[20:21]
.LBB315_428:                            ;   in Loop: Header=BB315_403 Depth=1
	s_or_b64 exec, exec, s[2:3]
	v_mov_b32_e32 v9, v18
	v_cmp_ne_u16_sdwa s[0:1], v18, v10 src0_sel:BYTE_0 src1_sel:DWORD
	v_mov_b32_e32 v24, 0
	v_mov_b32_e32 v23, 0
	s_and_saveexec_b64 s[2:3], s[0:1]
	s_cbranch_execz .LBB315_434
; %bb.429:                              ;   in Loop: Header=BB315_403 Depth=1
	v_cmp_ne_u16_sdwa s[0:1], v18, s39 src0_sel:BYTE_0 src1_sel:DWORD
	v_bfrev_b32_e32 v23, 1
	s_and_saveexec_b64 s[20:21], s[0:1]
	s_cbranch_execz .LBB315_433
; %bb.430:                              ;   in Loop: Header=BB315_403 Depth=1
	v_and_b32_e32 v19, 0x7f, v18
	v_cmp_ne_u32_e64 s[0:1], s40, v19
	v_mov_b32_e32 v23, 0x7f800001
	s_and_saveexec_b64 s[22:23], s[0:1]
	s_cbranch_execz .LBB315_432
; %bb.431:                              ;   in Loop: Header=BB315_403 Depth=1
	v_and_b32_e32 v23, 7, v18
	v_ffbh_u32_e32 v23, v23
	v_min_u32_e32 v23, 32, v23
	v_lshrrev_b32_e32 v25, 3, v19
	v_subrev_u32_e32 v26, 28, v23
	v_sub_u32_e32 v23, 29, v23
	v_cmp_gt_u32_e64 s[0:1], 8, v19
	v_cndmask_b32_e64 v19, v25, v23, s[0:1]
	v_cndmask_b32_e64 v23, 0, v26, s[0:1]
	v_lshlrev_b64 v[25:26], v23, v[9:10]
	v_lshl_add_u32 v19, v19, 23, v52
	v_lshlrev_b32_e32 v23, 20, v25
	v_lshlrev_b32_e32 v25, 24, v9
	v_and_b32_e32 v23, 0x700000, v23
	v_and_b32_e32 v25, 0x80000000, v25
	v_or3_b32 v23, v25, v19, v23
.LBB315_432:                            ;   in Loop: Header=BB315_403 Depth=1
	s_or_b64 exec, exec, s[22:23]
.LBB315_433:                            ;   in Loop: Header=BB315_403 Depth=1
	s_or_b64 exec, exec, s[20:21]
.LBB315_434:                            ;   in Loop: Header=BB315_403 Depth=1
	s_or_b64 exec, exec, s[2:3]
	v_lshrrev_b16_e32 v19, 8, v9
	v_cmp_ne_u16_e64 s[0:1], 0, v19
	s_and_saveexec_b64 s[2:3], s[0:1]
	s_cbranch_execz .LBB315_440
; %bb.435:                              ;   in Loop: Header=BB315_403 Depth=1
	v_cmp_ne_u16_e64 s[0:1], s39, v19
	v_bfrev_b32_e32 v24, 1
	s_and_saveexec_b64 s[20:21], s[0:1]
	s_cbranch_execz .LBB315_439
; %bb.436:                              ;   in Loop: Header=BB315_403 Depth=1
	v_and_b32_e32 v25, 0x7f, v19
	v_cmp_ne_u32_e64 s[0:1], s40, v25
	v_mov_b32_e32 v24, 0x7f800001
	s_and_saveexec_b64 s[22:23], s[0:1]
	s_cbranch_execz .LBB315_438
; %bb.437:                              ;   in Loop: Header=BB315_403 Depth=1
	v_and_b32_e32 v24, 7, v19
	v_ffbh_u32_e32 v26, v24
	v_min_u32_e32 v29, 32, v26
	v_subrev_u32_e32 v26, 28, v29
	v_lshlrev_b64 v[26:27], v26, v[19:20]
	v_lshrrev_b32_e32 v28, 3, v25
	v_sub_u32_e32 v19, 29, v29
	v_and_b32_e32 v26, 7, v26
	v_cmp_gt_u32_e64 s[0:1], 8, v25
	v_cndmask_b32_e64 v19, v28, v19, s[0:1]
	v_cndmask_b32_e64 v24, v24, v26, s[0:1]
	v_lshlrev_b32_e32 v9, 16, v9
	v_lshlrev_b32_e32 v24, 20, v24
	v_and_b32_e32 v9, 0x80000000, v9
	v_lshl_add_u32 v19, v19, 23, v52
	v_or3_b32 v24, v9, v19, v24
.LBB315_438:                            ;   in Loop: Header=BB315_403 Depth=1
	s_or_b64 exec, exec, s[22:23]
.LBB315_439:                            ;   in Loop: Header=BB315_403 Depth=1
	s_or_b64 exec, exec, s[20:21]
.LBB315_440:                            ;   in Loop: Header=BB315_403 Depth=1
	s_or_b64 exec, exec, s[2:3]
	v_lshrrev_b32_e32 v9, 16, v18
	v_cmp_ne_u16_sdwa s[0:1], v9, v10 src0_sel:BYTE_0 src1_sel:DWORD
	v_mov_b32_e32 v19, 0
	v_mov_b32_e32 v25, 0
	s_and_saveexec_b64 s[2:3], s[0:1]
	s_cbranch_execz .LBB315_446
; %bb.441:                              ;   in Loop: Header=BB315_403 Depth=1
	v_cmp_ne_u16_sdwa s[0:1], v9, s39 src0_sel:BYTE_0 src1_sel:DWORD
	v_bfrev_b32_e32 v25, 1
	s_and_saveexec_b64 s[20:21], s[0:1]
	s_cbranch_execz .LBB315_445
; %bb.442:                              ;   in Loop: Header=BB315_403 Depth=1
	v_bfe_u32 v26, v18, 16, 7
	v_cmp_ne_u32_e64 s[0:1], s40, v26
	v_mov_b32_e32 v25, 0x7f800001
	s_and_saveexec_b64 s[22:23], s[0:1]
	s_cbranch_execz .LBB315_444
; %bb.443:                              ;   in Loop: Header=BB315_403 Depth=1
	v_and_b32_e32 v25, 7, v9
	v_ffbh_u32_e32 v27, v25
	v_min_u32_e32 v30, 32, v27
	v_subrev_u32_e32 v27, 28, v30
	v_lshlrev_b64 v[27:28], v27, v[9:10]
	v_lshrrev_b32_e32 v29, 3, v26
	v_sub_u32_e32 v28, 29, v30
	v_and_b32_e32 v27, 7, v27
	v_cmp_gt_u32_e64 s[0:1], 8, v26
	v_cndmask_b32_e64 v26, v29, v28, s[0:1]
	v_cndmask_b32_e64 v25, v25, v27, s[0:1]
	v_lshlrev_b32_e32 v9, 24, v9
	v_lshlrev_b32_e32 v25, 20, v25
	v_and_b32_e32 v9, 0x80000000, v9
	v_lshl_add_u32 v26, v26, 23, v52
	v_or3_b32 v25, v9, v26, v25
.LBB315_444:                            ;   in Loop: Header=BB315_403 Depth=1
	s_or_b64 exec, exec, s[22:23]
.LBB315_445:                            ;   in Loop: Header=BB315_403 Depth=1
	s_or_b64 exec, exec, s[20:21]
.LBB315_446:                            ;   in Loop: Header=BB315_403 Depth=1
	s_or_b64 exec, exec, s[2:3]
	v_cmp_lt_u64_e64 s[0:1], s[12:13], v[17:18]
	s_and_saveexec_b64 s[2:3], s[0:1]
	s_cbranch_execz .LBB315_452
; %bb.447:                              ;   in Loop: Header=BB315_403 Depth=1
	v_lshrrev_b32_e32 v9, 24, v18
	v_cmp_ne_u32_e64 s[0:1], s39, v9
	v_bfrev_b32_e32 v19, 1
	s_and_saveexec_b64 s[20:21], s[0:1]
	s_cbranch_execz .LBB315_451
; %bb.448:                              ;   in Loop: Header=BB315_403 Depth=1
	v_bfe_u32 v17, v18, 24, 7
	v_cmp_ne_u32_e64 s[0:1], s40, v17
	v_mov_b32_e32 v19, 0x7f800001
	s_and_saveexec_b64 s[22:23], s[0:1]
	s_cbranch_execz .LBB315_450
; %bb.449:                              ;   in Loop: Header=BB315_403 Depth=1
	v_and_b32_e32 v26, 7, v9
	v_ffbh_u32_e32 v18, v26
	v_min_u32_e32 v28, 32, v18
	v_subrev_u32_e32 v18, 28, v28
	v_lshlrev_b64 v[18:19], v18, v[9:10]
	v_lshrrev_b32_e32 v27, 3, v17
	v_sub_u32_e32 v19, 29, v28
	v_and_b32_e32 v18, 7, v18
	v_cmp_gt_u32_e64 s[0:1], 8, v17
	v_cndmask_b32_e64 v17, v27, v19, s[0:1]
	v_cndmask_b32_e64 v18, v26, v18, s[0:1]
	v_lshlrev_b32_e32 v9, 24, v9
	v_lshlrev_b32_e32 v18, 20, v18
	v_and_b32_e32 v9, 0x80000000, v9
	v_lshl_add_u32 v17, v17, 23, v52
	v_or3_b32 v19, v9, v17, v18
.LBB315_450:                            ;   in Loop: Header=BB315_403 Depth=1
	s_or_b64 exec, exec, s[22:23]
.LBB315_451:                            ;   in Loop: Header=BB315_403 Depth=1
	s_or_b64 exec, exec, s[20:21]
.LBB315_452:                            ;   in Loop: Header=BB315_403 Depth=1
	s_or_b64 exec, exec, s[2:3]
	buffer_load_dword v9, off, s[60:63], 0 offset:12 ; 4-byte Folded Reload
	s_waitcnt lgkmcnt(0)
	v_mul_f32_e32 v0, s43, v0
	s_waitcnt vmcnt(0)
	v_add_u32_e32 v47, v61, v9
	buffer_load_dword v9, off, s[60:63], 0  ; 4-byte Folded Reload
	s_waitcnt vmcnt(0)
	v_cmp_eq_u32_e64 s[0:1], s38, v9
	v_mul_f32_e32 v9, s43, v24
	v_bfe_u32 v17, v9, 16, 1
	v_add3_u32 v17, v17, v9, s41
	v_or_b32_e32 v18, 0x400000, v9
	v_cmp_u_f32_e64 s[2:3], v9, v9
	v_cndmask_b32_e64 v9, v17, v18, s[2:3]
	v_lshrrev_b32_e32 v35, 16, v9
	v_mul_f32_e32 v9, s43, v23
	v_bfe_u32 v17, v9, 16, 1
	v_add3_u32 v17, v17, v9, s41
	v_or_b32_e32 v18, 0x400000, v9
	v_cmp_u_f32_e64 s[2:3], v9, v9
	v_cndmask_b32_e64 v9, v17, v18, s[2:3]
	v_lshrrev_b32_e32 v9, 16, v9
	buffer_store_dword v9, off, s[60:63], 0 offset:4 ; 4-byte Folded Spill
	v_mul_f32_e32 v9, s43, v22
	v_bfe_u32 v17, v9, 16, 1
	v_add3_u32 v17, v17, v9, s41
	v_or_b32_e32 v18, 0x400000, v9
	v_cmp_u_f32_e64 s[2:3], v9, v9
	v_cndmask_b32_e64 v9, v17, v18, s[2:3]
	v_lshrrev_b32_e32 v9, 16, v9
	buffer_store_dword v9, off, s[60:63], 0 offset:16 ; 4-byte Folded Spill
	;; [unrolled: 8-line block ×4, first 2 shown]
	v_bfe_u32 v9, v0, 16, 1
	v_add3_u32 v9, v9, v0, s41
	v_or_b32_e32 v17, 0x400000, v0
	v_cmp_u_f32_e64 s[2:3], v0, v0
	v_cndmask_b32_e64 v0, v9, v17, s[2:3]
	v_lshrrev_b32_e32 v0, 16, v0
	buffer_store_dword v0, off, s[60:63], 0 offset:32 ; 4-byte Folded Spill
	v_mul_f32_e32 v0, s43, v25
	v_bfe_u32 v9, v0, 16, 1
	v_add3_u32 v9, v9, v0, s41
	v_or_b32_e32 v17, 0x400000, v0
	v_cmp_u_f32_e64 s[2:3], v0, v0
	v_cndmask_b32_e64 v0, v9, v17, s[2:3]
	v_lshrrev_b32_e32 v0, 16, v0
	buffer_store_dword v0, off, s[60:63], 0 offset:8 ; 4-byte Folded Spill
	v_mul_f32_e32 v0, s43, v19
	v_bfe_u32 v9, v0, 16, 1
	v_add3_u32 v9, v9, v0, s41
	v_or_b32_e32 v17, 0x400000, v0
	v_cmp_u_f32_e64 s[2:3], v0, v0
	v_cndmask_b32_e64 v0, v9, v17, s[2:3]
	v_lshrrev_b32_e32 v0, 16, v0
	buffer_store_dword v0, off, s[60:63], 0 offset:24 ; 4-byte Folded Spill
	s_and_saveexec_b64 s[20:21], s[0:1]
	s_cbranch_execz .LBB315_454
; %bb.453:                              ;   in Loop: Header=BB315_403 Depth=1
	buffer_load_dword v0, off, s[60:63], 0 offset:32 ; 4-byte Folded Reload
	v_cmp_gt_i32_e64 s[2:3], s33, v47
	s_waitcnt vmcnt(0)
	v_cndmask_b32_e64 v0, 0, v0, s[2:3]
	buffer_store_dword v0, off, s[60:63], 0 offset:32 ; 4-byte Folded Spill
	v_add_u32_e32 v0, 1, v47
	v_cmp_gt_i32_e64 s[2:3], s33, v0
	buffer_load_dword v0, off, s[60:63], 0 offset:28 ; 4-byte Folded Reload
	s_waitcnt vmcnt(0)
	v_cndmask_b32_e64 v0, 0, v0, s[2:3]
	buffer_store_dword v0, off, s[60:63], 0 offset:28 ; 4-byte Folded Spill
	v_add_u32_e32 v0, 2, v47
	v_cmp_gt_i32_e64 s[2:3], s33, v0
	buffer_load_dword v0, off, s[60:63], 0 offset:20 ; 4-byte Folded Reload
	;; [unrolled: 6-line block ×4, first 2 shown]
	s_waitcnt vmcnt(0)
	v_cndmask_b32_e64 v0, 0, v0, s[2:3]
	buffer_store_dword v0, off, s[60:63], 0 offset:4 ; 4-byte Folded Spill
	v_add_u32_e32 v0, 5, v47
	v_cmp_gt_i32_e64 s[2:3], s33, v0
	v_add_u32_e32 v0, 6, v47
	v_cndmask_b32_e64 v35, 0, v35, s[2:3]
	v_cmp_gt_i32_e64 s[2:3], s33, v0
	buffer_load_dword v0, off, s[60:63], 0 offset:8 ; 4-byte Folded Reload
	s_waitcnt vmcnt(0)
	v_cndmask_b32_e64 v0, 0, v0, s[2:3]
	buffer_store_dword v0, off, s[60:63], 0 offset:8 ; 4-byte Folded Spill
	v_add_u32_e32 v0, 7, v47
	v_cmp_gt_i32_e64 s[2:3], s33, v0
	buffer_load_dword v0, off, s[60:63], 0 offset:24 ; 4-byte Folded Reload
	s_waitcnt vmcnt(0)
	v_cndmask_b32_e64 v0, 0, v0, s[2:3]
	buffer_store_dword v0, off, s[60:63], 0 offset:24 ; 4-byte Folded Spill
.LBB315_454:                            ;   in Loop: Header=BB315_403 Depth=1
	s_or_b64 exec, exec, s[20:21]
	global_load_dwordx2 v[17:18], v[15:16], off offset:512
	v_mov_b32_e32 v20, 0
	v_mov_b32_e32 v0, 0
	s_waitcnt vmcnt(0)
	v_cmp_ne_u16_sdwa s[2:3], v17, v10 src0_sel:BYTE_0 src1_sel:DWORD
	s_and_saveexec_b64 s[20:21], s[2:3]
	s_cbranch_execz .LBB315_460
; %bb.455:                              ;   in Loop: Header=BB315_403 Depth=1
	v_cmp_ne_u16_sdwa s[2:3], v17, s39 src0_sel:BYTE_0 src1_sel:DWORD
	v_bfrev_b32_e32 v0, 1
	s_and_saveexec_b64 s[22:23], s[2:3]
	s_cbranch_execz .LBB315_459
; %bb.456:                              ;   in Loop: Header=BB315_403 Depth=1
	v_and_b32_e32 v9, 0x7f, v17
	v_cmp_ne_u32_e64 s[2:3], s40, v9
	v_mov_b32_e32 v0, 0x7f800001
	s_and_saveexec_b64 s[28:29], s[2:3]
	s_cbranch_execz .LBB315_458
; %bb.457:                              ;   in Loop: Header=BB315_403 Depth=1
	v_and_b32_e32 v0, 7, v17
	v_ffbh_u32_e32 v0, v0
	v_min_u32_e32 v0, 32, v0
	v_subrev_u32_e32 v21, 28, v0
	v_cmp_gt_u32_e64 s[2:3], 8, v9
	v_lshrrev_b32_e32 v19, 3, v9
	v_cndmask_b32_e64 v9, 0, v21, s[2:3]
	v_lshlrev_b64 v[21:22], v9, v[17:18]
	v_sub_u32_e32 v0, 29, v0
	v_cndmask_b32_e64 v0, v19, v0, s[2:3]
	v_lshlrev_b32_e32 v9, 20, v21
	v_lshlrev_b32_e32 v19, 24, v17
	v_and_b32_e32 v9, 0x700000, v9
	v_and_b32_e32 v19, 0x80000000, v19
	v_lshl_add_u32 v0, v0, 23, v52
	v_or3_b32 v0, v19, v0, v9
.LBB315_458:                            ;   in Loop: Header=BB315_403 Depth=1
	s_or_b64 exec, exec, s[28:29]
.LBB315_459:                            ;   in Loop: Header=BB315_403 Depth=1
	s_or_b64 exec, exec, s[22:23]
.LBB315_460:                            ;   in Loop: Header=BB315_403 Depth=1
	s_or_b64 exec, exec, s[20:21]
	v_lshrrev_b16_e32 v9, 8, v17
	v_cmp_ne_u16_e64 s[2:3], 0, v9
	s_and_saveexec_b64 s[20:21], s[2:3]
	s_cbranch_execz .LBB315_466
; %bb.461:                              ;   in Loop: Header=BB315_403 Depth=1
	v_cmp_ne_u16_e64 s[2:3], s39, v9
	v_bfrev_b32_e32 v20, 1
	s_and_saveexec_b64 s[22:23], s[2:3]
	s_cbranch_execz .LBB315_465
; %bb.462:                              ;   in Loop: Header=BB315_403 Depth=1
	v_and_b32_e32 v19, 0x7f, v9
	v_cmp_ne_u32_e64 s[2:3], s40, v19
	v_mov_b32_e32 v20, 0x7f800001
	s_and_saveexec_b64 s[28:29], s[2:3]
	s_cbranch_execz .LBB315_464
; %bb.463:                              ;   in Loop: Header=BB315_403 Depth=1
	v_and_b32_e32 v22, 7, v9
	v_ffbh_u32_e32 v20, v22
	v_min_u32_e32 v24, 32, v20
	v_subrev_u32_e32 v20, 28, v24
	v_lshlrev_b64 v[20:21], v20, v[9:10]
	v_lshrrev_b32_e32 v23, 3, v19
	v_sub_u32_e32 v9, 29, v24
	v_and_b32_e32 v20, 7, v20
	v_cmp_gt_u32_e64 s[2:3], 8, v19
	v_cndmask_b32_e64 v9, v23, v9, s[2:3]
	v_cndmask_b32_e64 v19, v22, v20, s[2:3]
	v_lshlrev_b32_e32 v20, 16, v17
	v_lshlrev_b32_e32 v19, 20, v19
	v_and_b32_e32 v20, 0x80000000, v20
	v_lshl_add_u32 v9, v9, 23, v52
	v_or3_b32 v20, v20, v9, v19
.LBB315_464:                            ;   in Loop: Header=BB315_403 Depth=1
	s_or_b64 exec, exec, s[28:29]
.LBB315_465:                            ;   in Loop: Header=BB315_403 Depth=1
	s_or_b64 exec, exec, s[22:23]
.LBB315_466:                            ;   in Loop: Header=BB315_403 Depth=1
	s_or_b64 exec, exec, s[20:21]
	v_lshrrev_b32_e32 v9, 16, v17
	v_cmp_ne_u16_sdwa s[2:3], v9, v10 src0_sel:BYTE_0 src1_sel:DWORD
	v_mov_b32_e32 v22, 0
	v_mov_b32_e32 v21, 0
	s_and_saveexec_b64 s[20:21], s[2:3]
	s_cbranch_execz .LBB315_472
; %bb.467:                              ;   in Loop: Header=BB315_403 Depth=1
	v_cmp_ne_u16_sdwa s[2:3], v9, s39 src0_sel:BYTE_0 src1_sel:DWORD
	v_bfrev_b32_e32 v21, 1
	s_and_saveexec_b64 s[22:23], s[2:3]
	s_cbranch_execz .LBB315_471
; %bb.468:                              ;   in Loop: Header=BB315_403 Depth=1
	v_bfe_u32 v19, v17, 16, 7
	v_cmp_ne_u32_e64 s[2:3], s40, v19
	v_mov_b32_e32 v21, 0x7f800001
	s_and_saveexec_b64 s[28:29], s[2:3]
	s_cbranch_execz .LBB315_470
; %bb.469:                              ;   in Loop: Header=BB315_403 Depth=1
	v_and_b32_e32 v21, 7, v9
	v_ffbh_u32_e32 v23, v21
	v_min_u32_e32 v26, 32, v23
	v_subrev_u32_e32 v23, 28, v26
	v_lshlrev_b64 v[23:24], v23, v[9:10]
	v_lshrrev_b32_e32 v25, 3, v19
	v_sub_u32_e32 v24, 29, v26
	v_and_b32_e32 v23, 7, v23
	v_cmp_gt_u32_e64 s[2:3], 8, v19
	v_cndmask_b32_e64 v19, v25, v24, s[2:3]
	v_cndmask_b32_e64 v21, v21, v23, s[2:3]
	v_lshlrev_b32_e32 v9, 24, v9
	v_lshlrev_b32_e32 v21, 20, v21
	v_and_b32_e32 v9, 0x80000000, v9
	v_lshl_add_u32 v19, v19, 23, v52
	v_or3_b32 v21, v9, v19, v21
.LBB315_470:                            ;   in Loop: Header=BB315_403 Depth=1
	s_or_b64 exec, exec, s[28:29]
.LBB315_471:                            ;   in Loop: Header=BB315_403 Depth=1
	s_or_b64 exec, exec, s[22:23]
.LBB315_472:                            ;   in Loop: Header=BB315_403 Depth=1
	s_or_b64 exec, exec, s[20:21]
	v_cmp_lt_u32_e64 s[2:3], s13, v17
	s_and_saveexec_b64 s[20:21], s[2:3]
	s_cbranch_execz .LBB315_478
; %bb.473:                              ;   in Loop: Header=BB315_403 Depth=1
	v_lshrrev_b32_e32 v9, 24, v17
	v_cmp_ne_u32_e64 s[2:3], s39, v9
	v_bfrev_b32_e32 v22, 1
	s_and_saveexec_b64 s[22:23], s[2:3]
	s_cbranch_execz .LBB315_477
; %bb.474:                              ;   in Loop: Header=BB315_403 Depth=1
	v_bfe_u32 v19, v17, 24, 7
	v_cmp_ne_u32_e64 s[2:3], s40, v19
	v_mov_b32_e32 v22, 0x7f800001
	s_and_saveexec_b64 s[28:29], s[2:3]
	s_cbranch_execz .LBB315_476
; %bb.475:                              ;   in Loop: Header=BB315_403 Depth=1
	v_and_b32_e32 v24, 7, v9
	v_ffbh_u32_e32 v22, v24
	v_min_u32_e32 v26, 32, v22
	v_subrev_u32_e32 v22, 28, v26
	v_lshlrev_b64 v[22:23], v22, v[9:10]
	v_lshrrev_b32_e32 v25, 3, v19
	v_sub_u32_e32 v23, 29, v26
	v_and_b32_e32 v22, 7, v22
	v_cmp_gt_u32_e64 s[2:3], 8, v19
	v_cndmask_b32_e64 v19, v25, v23, s[2:3]
	v_cndmask_b32_e64 v22, v24, v22, s[2:3]
	v_lshlrev_b32_e32 v9, 24, v9
	v_lshlrev_b32_e32 v22, 20, v22
	v_and_b32_e32 v9, 0x80000000, v9
	v_lshl_add_u32 v19, v19, 23, v52
	v_or3_b32 v22, v9, v19, v22
.LBB315_476:                            ;   in Loop: Header=BB315_403 Depth=1
	s_or_b64 exec, exec, s[28:29]
.LBB315_477:                            ;   in Loop: Header=BB315_403 Depth=1
	s_or_b64 exec, exec, s[22:23]
.LBB315_478:                            ;   in Loop: Header=BB315_403 Depth=1
	s_or_b64 exec, exec, s[20:21]
	v_mov_b32_e32 v9, v18
	v_cmp_ne_u16_sdwa s[2:3], v18, v10 src0_sel:BYTE_0 src1_sel:DWORD
	v_mov_b32_e32 v24, 0
	v_mov_b32_e32 v23, 0
	s_and_saveexec_b64 s[20:21], s[2:3]
	s_cbranch_execz .LBB315_484
; %bb.479:                              ;   in Loop: Header=BB315_403 Depth=1
	v_cmp_ne_u16_sdwa s[2:3], v18, s39 src0_sel:BYTE_0 src1_sel:DWORD
	v_bfrev_b32_e32 v23, 1
	s_and_saveexec_b64 s[22:23], s[2:3]
	s_cbranch_execz .LBB315_483
; %bb.480:                              ;   in Loop: Header=BB315_403 Depth=1
	v_and_b32_e32 v19, 0x7f, v18
	v_cmp_ne_u32_e64 s[2:3], s40, v19
	v_mov_b32_e32 v23, 0x7f800001
	s_and_saveexec_b64 s[28:29], s[2:3]
	s_cbranch_execz .LBB315_482
; %bb.481:                              ;   in Loop: Header=BB315_403 Depth=1
	v_and_b32_e32 v23, 7, v18
	v_ffbh_u32_e32 v23, v23
	v_min_u32_e32 v23, 32, v23
	v_lshrrev_b32_e32 v25, 3, v19
	v_subrev_u32_e32 v26, 28, v23
	v_sub_u32_e32 v23, 29, v23
	v_cmp_gt_u32_e64 s[2:3], 8, v19
	v_cndmask_b32_e64 v19, v25, v23, s[2:3]
	v_cndmask_b32_e64 v23, 0, v26, s[2:3]
	v_lshlrev_b64 v[25:26], v23, v[9:10]
	v_lshl_add_u32 v19, v19, 23, v52
	v_lshlrev_b32_e32 v23, 20, v25
	v_lshlrev_b32_e32 v25, 24, v9
	v_and_b32_e32 v23, 0x700000, v23
	v_and_b32_e32 v25, 0x80000000, v25
	v_or3_b32 v23, v25, v19, v23
.LBB315_482:                            ;   in Loop: Header=BB315_403 Depth=1
	s_or_b64 exec, exec, s[28:29]
.LBB315_483:                            ;   in Loop: Header=BB315_403 Depth=1
	s_or_b64 exec, exec, s[22:23]
.LBB315_484:                            ;   in Loop: Header=BB315_403 Depth=1
	s_or_b64 exec, exec, s[20:21]
	v_lshrrev_b16_e32 v19, 8, v9
	v_cmp_ne_u16_e64 s[2:3], 0, v19
	s_and_saveexec_b64 s[20:21], s[2:3]
	s_cbranch_execz .LBB315_490
; %bb.485:                              ;   in Loop: Header=BB315_403 Depth=1
	v_cmp_ne_u16_e64 s[2:3], s39, v19
	v_bfrev_b32_e32 v24, 1
	s_and_saveexec_b64 s[22:23], s[2:3]
	s_cbranch_execz .LBB315_489
; %bb.486:                              ;   in Loop: Header=BB315_403 Depth=1
	v_and_b32_e32 v25, 0x7f, v19
	v_cmp_ne_u32_e64 s[2:3], s40, v25
	v_mov_b32_e32 v24, 0x7f800001
	s_and_saveexec_b64 s[28:29], s[2:3]
	s_cbranch_execz .LBB315_488
; %bb.487:                              ;   in Loop: Header=BB315_403 Depth=1
	v_and_b32_e32 v24, 7, v19
	v_ffbh_u32_e32 v26, v24
	v_min_u32_e32 v29, 32, v26
	v_subrev_u32_e32 v26, 28, v29
	v_lshlrev_b64 v[26:27], v26, v[19:20]
	v_lshrrev_b32_e32 v28, 3, v25
	v_sub_u32_e32 v19, 29, v29
	v_and_b32_e32 v26, 7, v26
	v_cmp_gt_u32_e64 s[2:3], 8, v25
	v_cndmask_b32_e64 v19, v28, v19, s[2:3]
	v_cndmask_b32_e64 v24, v24, v26, s[2:3]
	v_lshlrev_b32_e32 v9, 16, v9
	v_lshlrev_b32_e32 v24, 20, v24
	v_and_b32_e32 v9, 0x80000000, v9
	v_lshl_add_u32 v19, v19, 23, v52
	v_or3_b32 v24, v9, v19, v24
.LBB315_488:                            ;   in Loop: Header=BB315_403 Depth=1
	s_or_b64 exec, exec, s[28:29]
.LBB315_489:                            ;   in Loop: Header=BB315_403 Depth=1
	s_or_b64 exec, exec, s[22:23]
.LBB315_490:                            ;   in Loop: Header=BB315_403 Depth=1
	s_or_b64 exec, exec, s[20:21]
	v_lshrrev_b32_e32 v9, 16, v18
	v_cmp_ne_u16_sdwa s[2:3], v9, v10 src0_sel:BYTE_0 src1_sel:DWORD
	v_mov_b32_e32 v19, 0
	v_mov_b32_e32 v25, 0
	s_and_saveexec_b64 s[20:21], s[2:3]
	s_cbranch_execz .LBB315_496
; %bb.491:                              ;   in Loop: Header=BB315_403 Depth=1
	v_cmp_ne_u16_sdwa s[2:3], v9, s39 src0_sel:BYTE_0 src1_sel:DWORD
	v_bfrev_b32_e32 v25, 1
	s_and_saveexec_b64 s[22:23], s[2:3]
	s_cbranch_execz .LBB315_495
; %bb.492:                              ;   in Loop: Header=BB315_403 Depth=1
	v_bfe_u32 v26, v18, 16, 7
	v_cmp_ne_u32_e64 s[2:3], s40, v26
	v_mov_b32_e32 v25, 0x7f800001
	s_and_saveexec_b64 s[28:29], s[2:3]
	s_cbranch_execz .LBB315_494
; %bb.493:                              ;   in Loop: Header=BB315_403 Depth=1
	v_and_b32_e32 v25, 7, v9
	v_ffbh_u32_e32 v27, v25
	v_min_u32_e32 v30, 32, v27
	v_subrev_u32_e32 v27, 28, v30
	v_lshlrev_b64 v[27:28], v27, v[9:10]
	v_lshrrev_b32_e32 v29, 3, v26
	v_sub_u32_e32 v28, 29, v30
	v_and_b32_e32 v27, 7, v27
	v_cmp_gt_u32_e64 s[2:3], 8, v26
	v_cndmask_b32_e64 v26, v29, v28, s[2:3]
	v_cndmask_b32_e64 v25, v25, v27, s[2:3]
	v_lshlrev_b32_e32 v9, 24, v9
	v_lshlrev_b32_e32 v25, 20, v25
	v_and_b32_e32 v9, 0x80000000, v9
	v_lshl_add_u32 v26, v26, 23, v52
	v_or3_b32 v25, v9, v26, v25
.LBB315_494:                            ;   in Loop: Header=BB315_403 Depth=1
	s_or_b64 exec, exec, s[28:29]
.LBB315_495:                            ;   in Loop: Header=BB315_403 Depth=1
	s_or_b64 exec, exec, s[22:23]
.LBB315_496:                            ;   in Loop: Header=BB315_403 Depth=1
	s_or_b64 exec, exec, s[20:21]
	v_cmp_lt_u64_e64 s[2:3], s[12:13], v[17:18]
	s_and_saveexec_b64 s[20:21], s[2:3]
	s_cbranch_execz .LBB315_502
; %bb.497:                              ;   in Loop: Header=BB315_403 Depth=1
	v_lshrrev_b32_e32 v9, 24, v18
	v_cmp_ne_u32_e64 s[2:3], s39, v9
	v_bfrev_b32_e32 v19, 1
	s_and_saveexec_b64 s[22:23], s[2:3]
	s_cbranch_execz .LBB315_501
; %bb.498:                              ;   in Loop: Header=BB315_403 Depth=1
	v_bfe_u32 v17, v18, 24, 7
	v_cmp_ne_u32_e64 s[2:3], s40, v17
	v_mov_b32_e32 v19, 0x7f800001
	s_and_saveexec_b64 s[28:29], s[2:3]
	s_cbranch_execz .LBB315_500
; %bb.499:                              ;   in Loop: Header=BB315_403 Depth=1
	v_and_b32_e32 v26, 7, v9
	v_ffbh_u32_e32 v18, v26
	v_min_u32_e32 v28, 32, v18
	v_subrev_u32_e32 v18, 28, v28
	v_lshlrev_b64 v[18:19], v18, v[9:10]
	v_lshrrev_b32_e32 v27, 3, v17
	v_sub_u32_e32 v19, 29, v28
	v_and_b32_e32 v18, 7, v18
	v_cmp_gt_u32_e64 s[2:3], 8, v17
	v_cndmask_b32_e64 v17, v27, v19, s[2:3]
	v_cndmask_b32_e64 v18, v26, v18, s[2:3]
	v_lshlrev_b32_e32 v9, 24, v9
	v_lshlrev_b32_e32 v18, 20, v18
	v_and_b32_e32 v9, 0x80000000, v9
	v_lshl_add_u32 v17, v17, 23, v52
	v_or3_b32 v19, v9, v17, v18
.LBB315_500:                            ;   in Loop: Header=BB315_403 Depth=1
	s_or_b64 exec, exec, s[28:29]
.LBB315_501:                            ;   in Loop: Header=BB315_403 Depth=1
	s_or_b64 exec, exec, s[22:23]
.LBB315_502:                            ;   in Loop: Header=BB315_403 Depth=1
	s_or_b64 exec, exec, s[20:21]
	v_mul_f32_e32 v9, s43, v24
	v_bfe_u32 v17, v9, 16, 1
	v_add3_u32 v17, v17, v9, s41
	v_or_b32_e32 v18, 0x400000, v9
	v_cmp_u_f32_e64 s[2:3], v9, v9
	v_cndmask_b32_e64 v9, v17, v18, s[2:3]
	v_lshrrev_b32_e32 v9, 16, v9
	buffer_store_dword v9, off, s[60:63], 0 offset:36 ; 4-byte Folded Spill
	v_mul_f32_e32 v9, s43, v23
	v_bfe_u32 v17, v9, 16, 1
	v_add3_u32 v17, v17, v9, s41
	v_or_b32_e32 v18, 0x400000, v9
	v_cmp_u_f32_e64 s[2:3], v9, v9
	v_cndmask_b32_e64 v9, v17, v18, s[2:3]
	v_lshrrev_b32_e32 v9, 16, v9
	buffer_store_dword v9, off, s[60:63], 0 offset:40 ; 4-byte Folded Spill
	;; [unrolled: 8-line block ×4, first 2 shown]
	v_mul_f32_e32 v9, s43, v20
	v_bfe_u32 v17, v9, 16, 1
	v_add3_u32 v17, v17, v9, s41
	v_or_b32_e32 v18, 0x400000, v9
	v_cmp_u_f32_e64 s[2:3], v9, v9
	v_cndmask_b32_e64 v9, v17, v18, s[2:3]
	v_lshrrev_b32_e32 v9, 16, v9
	v_mul_f32_e32 v0, s43, v0
	buffer_store_dword v9, off, s[60:63], 0 offset:60 ; 4-byte Folded Spill
	v_bfe_u32 v9, v0, 16, 1
	v_add3_u32 v9, v9, v0, s41
	v_or_b32_e32 v17, 0x400000, v0
	v_cmp_u_f32_e64 s[2:3], v0, v0
	v_cndmask_b32_e64 v0, v9, v17, s[2:3]
	v_lshrrev_b32_e32 v0, 16, v0
	buffer_store_dword v0, off, s[60:63], 0 offset:64 ; 4-byte Folded Spill
	v_mul_f32_e32 v0, s43, v25
	v_bfe_u32 v9, v0, 16, 1
	v_add3_u32 v9, v9, v0, s41
	v_or_b32_e32 v17, 0x400000, v0
	v_cmp_u_f32_e64 s[2:3], v0, v0
	v_cndmask_b32_e64 v0, v9, v17, s[2:3]
	v_lshrrev_b32_e32 v0, 16, v0
	buffer_store_dword v0, off, s[60:63], 0 offset:44 ; 4-byte Folded Spill
	v_mul_f32_e32 v0, s43, v19
	v_bfe_u32 v9, v0, 16, 1
	v_add3_u32 v9, v9, v0, s41
	v_or_b32_e32 v17, 0x400000, v0
	v_cmp_u_f32_e64 s[2:3], v0, v0
	v_cndmask_b32_e64 v0, v9, v17, s[2:3]
	v_lshrrev_b32_e32 v0, 16, v0
	buffer_store_dword v0, off, s[60:63], 0 offset:56 ; 4-byte Folded Spill
	s_and_saveexec_b64 s[20:21], s[0:1]
	s_cbranch_execz .LBB315_504
; %bb.503:                              ;   in Loop: Header=BB315_403 Depth=1
	buffer_load_dword v0, off, s[60:63], 0 offset:64 ; 4-byte Folded Reload
	v_cmp_gt_i32_e64 s[2:3], s33, v47
	s_waitcnt vmcnt(0)
	v_cndmask_b32_e64 v0, 0, v0, s[2:3]
	buffer_store_dword v0, off, s[60:63], 0 offset:64 ; 4-byte Folded Spill
	v_add_u32_e32 v0, 1, v47
	v_cmp_gt_i32_e64 s[2:3], s33, v0
	buffer_load_dword v0, off, s[60:63], 0 offset:60 ; 4-byte Folded Reload
	s_waitcnt vmcnt(0)
	v_cndmask_b32_e64 v0, 0, v0, s[2:3]
	buffer_store_dword v0, off, s[60:63], 0 offset:60 ; 4-byte Folded Spill
	v_add_u32_e32 v0, 2, v47
	v_cmp_gt_i32_e64 s[2:3], s33, v0
	buffer_load_dword v0, off, s[60:63], 0 offset:52 ; 4-byte Folded Reload
	;; [unrolled: 6-line block ×7, first 2 shown]
	s_waitcnt vmcnt(0)
	v_cndmask_b32_e64 v0, 0, v0, s[2:3]
	buffer_store_dword v0, off, s[60:63], 0 offset:56 ; 4-byte Folded Spill
.LBB315_504:                            ;   in Loop: Header=BB315_403 Depth=1
	s_or_b64 exec, exec, s[20:21]
	global_load_dwordx2 v[17:18], v[15:16], off offset:1024
	v_mov_b32_e32 v20, 0
	v_mov_b32_e32 v0, 0
	s_waitcnt vmcnt(0)
	v_cmp_ne_u16_sdwa s[2:3], v17, v10 src0_sel:BYTE_0 src1_sel:DWORD
	s_and_saveexec_b64 s[20:21], s[2:3]
	s_cbranch_execz .LBB315_510
; %bb.505:                              ;   in Loop: Header=BB315_403 Depth=1
	v_cmp_ne_u16_sdwa s[2:3], v17, s39 src0_sel:BYTE_0 src1_sel:DWORD
	v_bfrev_b32_e32 v0, 1
	s_and_saveexec_b64 s[22:23], s[2:3]
	s_cbranch_execz .LBB315_509
; %bb.506:                              ;   in Loop: Header=BB315_403 Depth=1
	v_and_b32_e32 v9, 0x7f, v17
	v_cmp_ne_u32_e64 s[2:3], s40, v9
	v_mov_b32_e32 v0, 0x7f800001
	s_and_saveexec_b64 s[28:29], s[2:3]
	s_cbranch_execz .LBB315_508
; %bb.507:                              ;   in Loop: Header=BB315_403 Depth=1
	v_and_b32_e32 v0, 7, v17
	v_ffbh_u32_e32 v0, v0
	v_min_u32_e32 v0, 32, v0
	v_subrev_u32_e32 v21, 28, v0
	v_cmp_gt_u32_e64 s[2:3], 8, v9
	v_lshrrev_b32_e32 v19, 3, v9
	v_cndmask_b32_e64 v9, 0, v21, s[2:3]
	v_lshlrev_b64 v[21:22], v9, v[17:18]
	v_sub_u32_e32 v0, 29, v0
	v_cndmask_b32_e64 v0, v19, v0, s[2:3]
	v_lshlrev_b32_e32 v9, 20, v21
	v_lshlrev_b32_e32 v19, 24, v17
	v_and_b32_e32 v9, 0x700000, v9
	v_and_b32_e32 v19, 0x80000000, v19
	v_lshl_add_u32 v0, v0, 23, v52
	v_or3_b32 v0, v19, v0, v9
.LBB315_508:                            ;   in Loop: Header=BB315_403 Depth=1
	s_or_b64 exec, exec, s[28:29]
.LBB315_509:                            ;   in Loop: Header=BB315_403 Depth=1
	s_or_b64 exec, exec, s[22:23]
.LBB315_510:                            ;   in Loop: Header=BB315_403 Depth=1
	s_or_b64 exec, exec, s[20:21]
	v_lshrrev_b16_e32 v9, 8, v17
	v_cmp_ne_u16_e64 s[2:3], 0, v9
	s_and_saveexec_b64 s[20:21], s[2:3]
	s_cbranch_execz .LBB315_516
; %bb.511:                              ;   in Loop: Header=BB315_403 Depth=1
	v_cmp_ne_u16_e64 s[2:3], s39, v9
	v_bfrev_b32_e32 v20, 1
	s_and_saveexec_b64 s[22:23], s[2:3]
	s_cbranch_execz .LBB315_515
; %bb.512:                              ;   in Loop: Header=BB315_403 Depth=1
	v_and_b32_e32 v19, 0x7f, v9
	v_cmp_ne_u32_e64 s[2:3], s40, v19
	v_mov_b32_e32 v20, 0x7f800001
	s_and_saveexec_b64 s[28:29], s[2:3]
	s_cbranch_execz .LBB315_514
; %bb.513:                              ;   in Loop: Header=BB315_403 Depth=1
	v_and_b32_e32 v22, 7, v9
	v_ffbh_u32_e32 v20, v22
	v_min_u32_e32 v24, 32, v20
	v_subrev_u32_e32 v20, 28, v24
	v_lshlrev_b64 v[20:21], v20, v[9:10]
	v_lshrrev_b32_e32 v23, 3, v19
	v_sub_u32_e32 v9, 29, v24
	v_and_b32_e32 v20, 7, v20
	v_cmp_gt_u32_e64 s[2:3], 8, v19
	v_cndmask_b32_e64 v9, v23, v9, s[2:3]
	v_cndmask_b32_e64 v19, v22, v20, s[2:3]
	v_lshlrev_b32_e32 v20, 16, v17
	v_lshlrev_b32_e32 v19, 20, v19
	v_and_b32_e32 v20, 0x80000000, v20
	v_lshl_add_u32 v9, v9, 23, v52
	v_or3_b32 v20, v20, v9, v19
.LBB315_514:                            ;   in Loop: Header=BB315_403 Depth=1
	s_or_b64 exec, exec, s[28:29]
.LBB315_515:                            ;   in Loop: Header=BB315_403 Depth=1
	s_or_b64 exec, exec, s[22:23]
.LBB315_516:                            ;   in Loop: Header=BB315_403 Depth=1
	s_or_b64 exec, exec, s[20:21]
	v_lshrrev_b32_e32 v9, 16, v17
	v_cmp_ne_u16_sdwa s[2:3], v9, v10 src0_sel:BYTE_0 src1_sel:DWORD
	v_mov_b32_e32 v22, 0
	v_mov_b32_e32 v21, 0
	s_and_saveexec_b64 s[20:21], s[2:3]
	s_cbranch_execz .LBB315_522
; %bb.517:                              ;   in Loop: Header=BB315_403 Depth=1
	v_cmp_ne_u16_sdwa s[2:3], v9, s39 src0_sel:BYTE_0 src1_sel:DWORD
	v_bfrev_b32_e32 v21, 1
	s_and_saveexec_b64 s[22:23], s[2:3]
	s_cbranch_execz .LBB315_521
; %bb.518:                              ;   in Loop: Header=BB315_403 Depth=1
	v_bfe_u32 v19, v17, 16, 7
	v_cmp_ne_u32_e64 s[2:3], s40, v19
	v_mov_b32_e32 v21, 0x7f800001
	s_and_saveexec_b64 s[28:29], s[2:3]
	s_cbranch_execz .LBB315_520
; %bb.519:                              ;   in Loop: Header=BB315_403 Depth=1
	v_and_b32_e32 v21, 7, v9
	v_lshrrev_b32_e32 v25, 3, v19
	v_cmp_gt_u32_e64 s[2:3], 8, v19
	v_ffbh_u32_e32 v19, v21
	v_min_u32_e32 v19, 32, v19
	v_subrev_u32_e32 v23, 28, v19
	v_lshlrev_b64 v[23:24], v23, v[9:10]
	v_sub_u32_e32 v19, 29, v19
	v_and_b32_e32 v23, 7, v23
	v_cndmask_b32_e64 v19, v25, v19, s[2:3]
	v_cndmask_b32_e64 v21, v21, v23, s[2:3]
	v_lshlrev_b32_e32 v9, 24, v9
	v_lshlrev_b32_e32 v21, 20, v21
	v_and_b32_e32 v9, 0x80000000, v9
	v_lshl_add_u32 v19, v19, 23, v52
	v_or3_b32 v21, v9, v19, v21
.LBB315_520:                            ;   in Loop: Header=BB315_403 Depth=1
	s_or_b64 exec, exec, s[28:29]
.LBB315_521:                            ;   in Loop: Header=BB315_403 Depth=1
	s_or_b64 exec, exec, s[22:23]
.LBB315_522:                            ;   in Loop: Header=BB315_403 Depth=1
	s_or_b64 exec, exec, s[20:21]
	v_cmp_lt_u32_e64 s[2:3], s13, v17
	s_and_saveexec_b64 s[20:21], s[2:3]
	s_cbranch_execz .LBB315_528
; %bb.523:                              ;   in Loop: Header=BB315_403 Depth=1
	v_lshrrev_b32_e32 v9, 24, v17
	v_cmp_ne_u32_e64 s[2:3], s39, v9
	v_bfrev_b32_e32 v22, 1
	s_and_saveexec_b64 s[22:23], s[2:3]
	s_cbranch_execz .LBB315_527
; %bb.524:                              ;   in Loop: Header=BB315_403 Depth=1
	v_bfe_u32 v19, v17, 24, 7
	v_cmp_ne_u32_e64 s[2:3], s40, v19
	v_mov_b32_e32 v22, 0x7f800001
	s_and_saveexec_b64 s[28:29], s[2:3]
	s_cbranch_execz .LBB315_526
; %bb.525:                              ;   in Loop: Header=BB315_403 Depth=1
	v_and_b32_e32 v24, 7, v9
	v_lshrrev_b32_e32 v25, 3, v19
	v_cmp_gt_u32_e64 s[2:3], 8, v19
	v_ffbh_u32_e32 v19, v24
	v_min_u32_e32 v19, 32, v19
	v_subrev_u32_e32 v22, 28, v19
	v_lshlrev_b64 v[22:23], v22, v[9:10]
	v_sub_u32_e32 v19, 29, v19
	v_and_b32_e32 v22, 7, v22
	v_cndmask_b32_e64 v19, v25, v19, s[2:3]
	v_cndmask_b32_e64 v22, v24, v22, s[2:3]
	v_lshlrev_b32_e32 v9, 24, v9
	v_lshlrev_b32_e32 v22, 20, v22
	v_and_b32_e32 v9, 0x80000000, v9
	v_lshl_add_u32 v19, v19, 23, v52
	v_or3_b32 v22, v9, v19, v22
.LBB315_526:                            ;   in Loop: Header=BB315_403 Depth=1
	s_or_b64 exec, exec, s[28:29]
.LBB315_527:                            ;   in Loop: Header=BB315_403 Depth=1
	s_or_b64 exec, exec, s[22:23]
.LBB315_528:                            ;   in Loop: Header=BB315_403 Depth=1
	s_or_b64 exec, exec, s[20:21]
	v_mov_b32_e32 v9, v18
	v_cmp_ne_u16_sdwa s[2:3], v18, v10 src0_sel:BYTE_0 src1_sel:DWORD
	v_mov_b32_e32 v24, 0
	v_mov_b32_e32 v23, 0
	s_and_saveexec_b64 s[20:21], s[2:3]
	s_cbranch_execz .LBB315_534
; %bb.529:                              ;   in Loop: Header=BB315_403 Depth=1
	v_cmp_ne_u16_sdwa s[2:3], v18, s39 src0_sel:BYTE_0 src1_sel:DWORD
	v_bfrev_b32_e32 v23, 1
	s_and_saveexec_b64 s[22:23], s[2:3]
	s_cbranch_execz .LBB315_533
; %bb.530:                              ;   in Loop: Header=BB315_403 Depth=1
	v_and_b32_e32 v19, 0x7f, v18
	v_cmp_ne_u32_e64 s[2:3], s40, v19
	v_mov_b32_e32 v23, 0x7f800001
	s_and_saveexec_b64 s[28:29], s[2:3]
	s_cbranch_execz .LBB315_532
; %bb.531:                              ;   in Loop: Header=BB315_403 Depth=1
	v_and_b32_e32 v23, 7, v18
	v_lshrrev_b32_e32 v25, 3, v19
	v_cmp_gt_u32_e64 s[2:3], 8, v19
	v_ffbh_u32_e32 v19, v23
	v_min_u32_e32 v19, 32, v19
	v_subrev_u32_e32 v23, 28, v19
	v_sub_u32_e32 v19, 29, v19
	v_cndmask_b32_e64 v23, 0, v23, s[2:3]
	v_cndmask_b32_e64 v19, v25, v19, s[2:3]
	v_lshlrev_b64 v[25:26], v23, v[9:10]
	v_lshl_add_u32 v19, v19, 23, v52
	v_lshlrev_b32_e32 v23, 20, v25
	v_lshlrev_b32_e32 v25, 24, v9
	v_and_b32_e32 v23, 0x700000, v23
	v_and_b32_e32 v25, 0x80000000, v25
	v_or3_b32 v23, v25, v19, v23
.LBB315_532:                            ;   in Loop: Header=BB315_403 Depth=1
	s_or_b64 exec, exec, s[28:29]
.LBB315_533:                            ;   in Loop: Header=BB315_403 Depth=1
	s_or_b64 exec, exec, s[22:23]
.LBB315_534:                            ;   in Loop: Header=BB315_403 Depth=1
	s_or_b64 exec, exec, s[20:21]
	v_lshrrev_b16_e32 v19, 8, v9
	v_cmp_ne_u16_e64 s[2:3], 0, v19
	s_and_saveexec_b64 s[20:21], s[2:3]
	s_cbranch_execz .LBB315_540
; %bb.535:                              ;   in Loop: Header=BB315_403 Depth=1
	v_cmp_ne_u16_e64 s[2:3], s39, v19
	v_bfrev_b32_e32 v24, 1
	s_and_saveexec_b64 s[22:23], s[2:3]
	s_cbranch_execz .LBB315_539
; %bb.536:                              ;   in Loop: Header=BB315_403 Depth=1
	v_and_b32_e32 v25, 0x7f, v19
	v_cmp_ne_u32_e64 s[2:3], s40, v25
	v_mov_b32_e32 v24, 0x7f800001
	s_and_saveexec_b64 s[28:29], s[2:3]
	s_cbranch_execz .LBB315_538
; %bb.537:                              ;   in Loop: Header=BB315_403 Depth=1
	v_and_b32_e32 v26, 7, v19
	v_ffbh_u32_e32 v24, v26
	v_min_u32_e32 v28, 32, v24
	v_subrev_u32_e32 v24, 28, v28
	v_lshrrev_b32_e32 v27, 3, v25
	v_cmp_gt_u32_e64 s[2:3], 8, v25
	v_lshlrev_b64 v[24:25], v24, v[19:20]
	v_sub_u32_e32 v19, 29, v28
	v_and_b32_e32 v24, 7, v24
	v_cndmask_b32_e64 v19, v27, v19, s[2:3]
	v_cndmask_b32_e64 v24, v26, v24, s[2:3]
	v_lshlrev_b32_e32 v9, 16, v9
	v_lshlrev_b32_e32 v24, 20, v24
	v_and_b32_e32 v9, 0x80000000, v9
	v_lshl_add_u32 v19, v19, 23, v52
	v_or3_b32 v24, v9, v19, v24
.LBB315_538:                            ;   in Loop: Header=BB315_403 Depth=1
	s_or_b64 exec, exec, s[28:29]
.LBB315_539:                            ;   in Loop: Header=BB315_403 Depth=1
	s_or_b64 exec, exec, s[22:23]
.LBB315_540:                            ;   in Loop: Header=BB315_403 Depth=1
	s_or_b64 exec, exec, s[20:21]
	v_lshrrev_b32_e32 v9, 16, v18
	v_cmp_ne_u16_sdwa s[2:3], v9, v10 src0_sel:BYTE_0 src1_sel:DWORD
	v_mov_b32_e32 v19, 0
	v_mov_b32_e32 v25, 0
	s_and_saveexec_b64 s[20:21], s[2:3]
	s_cbranch_execz .LBB315_546
; %bb.541:                              ;   in Loop: Header=BB315_403 Depth=1
	v_cmp_ne_u16_sdwa s[2:3], v9, s39 src0_sel:BYTE_0 src1_sel:DWORD
	v_bfrev_b32_e32 v25, 1
	s_and_saveexec_b64 s[22:23], s[2:3]
	s_cbranch_execz .LBB315_545
; %bb.542:                              ;   in Loop: Header=BB315_403 Depth=1
	v_bfe_u32 v26, v18, 16, 7
	v_cmp_ne_u32_e64 s[2:3], s40, v26
	v_mov_b32_e32 v25, 0x7f800001
	s_and_saveexec_b64 s[28:29], s[2:3]
	s_cbranch_execz .LBB315_544
; %bb.543:                              ;   in Loop: Header=BB315_403 Depth=1
	v_and_b32_e32 v27, 7, v9
	v_ffbh_u32_e32 v25, v27
	v_min_u32_e32 v29, 32, v25
	v_subrev_u32_e32 v25, 28, v29
	v_lshrrev_b32_e32 v28, 3, v26
	v_cmp_gt_u32_e64 s[2:3], 8, v26
	v_lshlrev_b64 v[25:26], v25, v[9:10]
	v_sub_u32_e32 v26, 29, v29
	v_and_b32_e32 v25, 7, v25
	v_cndmask_b32_e64 v26, v28, v26, s[2:3]
	v_cndmask_b32_e64 v25, v27, v25, s[2:3]
	v_lshlrev_b32_e32 v9, 24, v9
	v_lshlrev_b32_e32 v25, 20, v25
	v_and_b32_e32 v9, 0x80000000, v9
	v_lshl_add_u32 v26, v26, 23, v52
	v_or3_b32 v25, v9, v26, v25
.LBB315_544:                            ;   in Loop: Header=BB315_403 Depth=1
	s_or_b64 exec, exec, s[28:29]
.LBB315_545:                            ;   in Loop: Header=BB315_403 Depth=1
	s_or_b64 exec, exec, s[22:23]
.LBB315_546:                            ;   in Loop: Header=BB315_403 Depth=1
	s_or_b64 exec, exec, s[20:21]
	v_cmp_lt_u64_e64 s[2:3], s[12:13], v[17:18]
	s_and_saveexec_b64 s[20:21], s[2:3]
	s_cbranch_execz .LBB315_552
; %bb.547:                              ;   in Loop: Header=BB315_403 Depth=1
	v_lshrrev_b32_e32 v9, 24, v18
	v_cmp_ne_u32_e64 s[2:3], s39, v9
	v_bfrev_b32_e32 v19, 1
	s_and_saveexec_b64 s[22:23], s[2:3]
	s_cbranch_execz .LBB315_551
; %bb.548:                              ;   in Loop: Header=BB315_403 Depth=1
	v_bfe_u32 v17, v18, 24, 7
	v_cmp_ne_u32_e64 s[2:3], s40, v17
	v_mov_b32_e32 v19, 0x7f800001
	s_and_saveexec_b64 s[28:29], s[2:3]
	s_cbranch_execz .LBB315_550
; %bb.549:                              ;   in Loop: Header=BB315_403 Depth=1
	v_and_b32_e32 v19, 7, v9
	v_lshrrev_b32_e32 v26, 3, v17
	v_cmp_gt_u32_e64 s[2:3], 8, v17
	v_ffbh_u32_e32 v17, v19
	v_min_u32_e32 v27, 32, v17
	v_subrev_u32_e32 v17, 28, v27
	v_lshlrev_b64 v[17:18], v17, v[9:10]
	v_sub_u32_e32 v18, 29, v27
	v_and_b32_e32 v17, 7, v17
	v_cndmask_b32_e64 v18, v26, v18, s[2:3]
	v_cndmask_b32_e64 v17, v19, v17, s[2:3]
	v_lshlrev_b32_e32 v9, 24, v9
	v_lshlrev_b32_e32 v17, 20, v17
	v_and_b32_e32 v9, 0x80000000, v9
	v_lshl_add_u32 v18, v18, 23, v52
	v_or3_b32 v19, v9, v18, v17
.LBB315_550:                            ;   in Loop: Header=BB315_403 Depth=1
	s_or_b64 exec, exec, s[28:29]
.LBB315_551:                            ;   in Loop: Header=BB315_403 Depth=1
	s_or_b64 exec, exec, s[22:23]
.LBB315_552:                            ;   in Loop: Header=BB315_403 Depth=1
	s_or_b64 exec, exec, s[20:21]
	v_mul_f32_e32 v9, s43, v24
	v_bfe_u32 v17, v9, 16, 1
	v_add3_u32 v17, v17, v9, s41
	v_or_b32_e32 v18, 0x400000, v9
	v_cmp_u_f32_e64 s[2:3], v9, v9
	v_cndmask_b32_e64 v9, v17, v18, s[2:3]
	v_lshrrev_b32_e32 v9, 16, v9
	buffer_store_dword v9, off, s[60:63], 0 offset:68 ; 4-byte Folded Spill
	v_mul_f32_e32 v9, s43, v23
	v_bfe_u32 v17, v9, 16, 1
	v_add3_u32 v17, v17, v9, s41
	v_or_b32_e32 v18, 0x400000, v9
	v_cmp_u_f32_e64 s[2:3], v9, v9
	v_cndmask_b32_e64 v9, v17, v18, s[2:3]
	v_lshrrev_b32_e32 v9, 16, v9
	buffer_store_dword v9, off, s[60:63], 0 offset:72 ; 4-byte Folded Spill
	;; [unrolled: 8-line block ×4, first 2 shown]
	v_mul_f32_e32 v9, s43, v20
	v_bfe_u32 v17, v9, 16, 1
	v_add3_u32 v17, v17, v9, s41
	v_or_b32_e32 v18, 0x400000, v9
	v_cmp_u_f32_e64 s[2:3], v9, v9
	v_cndmask_b32_e64 v9, v17, v18, s[2:3]
	v_lshrrev_b32_e32 v9, 16, v9
	v_mul_f32_e32 v0, s43, v0
	buffer_store_dword v9, off, s[60:63], 0 offset:104 ; 4-byte Folded Spill
	v_bfe_u32 v9, v0, 16, 1
	v_add3_u32 v9, v9, v0, s41
	v_or_b32_e32 v17, 0x400000, v0
	v_cmp_u_f32_e64 s[2:3], v0, v0
	v_cndmask_b32_e64 v0, v9, v17, s[2:3]
	v_lshrrev_b32_e32 v0, 16, v0
	buffer_store_dword v0, off, s[60:63], 0 offset:120 ; 4-byte Folded Spill
	v_mul_f32_e32 v0, s43, v25
	v_bfe_u32 v9, v0, 16, 1
	v_add3_u32 v9, v9, v0, s41
	v_or_b32_e32 v17, 0x400000, v0
	v_cmp_u_f32_e64 s[2:3], v0, v0
	v_cndmask_b32_e64 v0, v9, v17, s[2:3]
	v_lshrrev_b32_e32 v0, 16, v0
	buffer_store_dword v0, off, s[60:63], 0 offset:76 ; 4-byte Folded Spill
	v_mul_f32_e32 v0, s43, v19
	v_bfe_u32 v9, v0, 16, 1
	v_add3_u32 v9, v9, v0, s41
	v_or_b32_e32 v17, 0x400000, v0
	v_cmp_u_f32_e64 s[2:3], v0, v0
	v_cndmask_b32_e64 v0, v9, v17, s[2:3]
	v_lshrrev_b32_e32 v0, 16, v0
	buffer_store_dword v0, off, s[60:63], 0 offset:88 ; 4-byte Folded Spill
	s_and_saveexec_b64 s[20:21], s[0:1]
	s_cbranch_execz .LBB315_554
; %bb.553:                              ;   in Loop: Header=BB315_403 Depth=1
	buffer_load_dword v0, off, s[60:63], 0 offset:120 ; 4-byte Folded Reload
	v_cmp_gt_i32_e64 s[2:3], s33, v47
	s_waitcnt vmcnt(0)
	v_cndmask_b32_e64 v0, 0, v0, s[2:3]
	buffer_store_dword v0, off, s[60:63], 0 offset:120 ; 4-byte Folded Spill
	v_add_u32_e32 v0, 1, v47
	v_cmp_gt_i32_e64 s[2:3], s33, v0
	buffer_load_dword v0, off, s[60:63], 0 offset:104 ; 4-byte Folded Reload
	s_waitcnt vmcnt(0)
	v_cndmask_b32_e64 v0, 0, v0, s[2:3]
	buffer_store_dword v0, off, s[60:63], 0 offset:104 ; 4-byte Folded Spill
	v_add_u32_e32 v0, 2, v47
	v_cmp_gt_i32_e64 s[2:3], s33, v0
	buffer_load_dword v0, off, s[60:63], 0 offset:84 ; 4-byte Folded Reload
	;; [unrolled: 6-line block ×7, first 2 shown]
	s_waitcnt vmcnt(0)
	v_cndmask_b32_e64 v0, 0, v0, s[2:3]
	buffer_store_dword v0, off, s[60:63], 0 offset:88 ; 4-byte Folded Spill
.LBB315_554:                            ;   in Loop: Header=BB315_403 Depth=1
	s_or_b64 exec, exec, s[20:21]
	global_load_dwordx2 v[17:18], v[15:16], off offset:1536
	v_mov_b32_e32 v24, 0
	v_mov_b32_e32 v21, 0
	s_waitcnt vmcnt(0)
	v_cmp_ne_u16_sdwa s[2:3], v17, v10 src0_sel:BYTE_0 src1_sel:DWORD
	s_and_saveexec_b64 s[20:21], s[2:3]
	s_cbranch_execz .LBB315_560
; %bb.555:                              ;   in Loop: Header=BB315_403 Depth=1
	v_cmp_ne_u16_sdwa s[2:3], v17, s39 src0_sel:BYTE_0 src1_sel:DWORD
	v_bfrev_b32_e32 v21, 1
	s_and_saveexec_b64 s[22:23], s[2:3]
	s_cbranch_execz .LBB315_559
; %bb.556:                              ;   in Loop: Header=BB315_403 Depth=1
	v_and_b32_e32 v0, 0x7f, v17
	v_cmp_ne_u32_e64 s[2:3], s40, v0
	v_mov_b32_e32 v21, 0x7f800001
	s_and_saveexec_b64 s[28:29], s[2:3]
	s_cbranch_execz .LBB315_558
; %bb.557:                              ;   in Loop: Header=BB315_403 Depth=1
	v_and_b32_e32 v9, 7, v17
	v_lshrrev_b32_e32 v19, 3, v0
	v_cmp_gt_u32_e64 s[2:3], 8, v0
	v_ffbh_u32_e32 v0, v9
	v_min_u32_e32 v0, 32, v0
	v_subrev_u32_e32 v9, 28, v0
	v_sub_u32_e32 v0, 29, v0
	v_cndmask_b32_e64 v9, 0, v9, s[2:3]
	v_cndmask_b32_e64 v0, v19, v0, s[2:3]
	v_lshlrev_b64 v[19:20], v9, v[17:18]
	v_lshl_add_u32 v0, v0, 23, v52
	v_lshlrev_b32_e32 v9, 20, v19
	v_lshlrev_b32_e32 v19, 24, v17
	v_and_b32_e32 v9, 0x700000, v9
	v_and_b32_e32 v19, 0x80000000, v19
	v_or3_b32 v21, v19, v0, v9
.LBB315_558:                            ;   in Loop: Header=BB315_403 Depth=1
	s_or_b64 exec, exec, s[28:29]
.LBB315_559:                            ;   in Loop: Header=BB315_403 Depth=1
	s_or_b64 exec, exec, s[22:23]
.LBB315_560:                            ;   in Loop: Header=BB315_403 Depth=1
	s_or_b64 exec, exec, s[20:21]
	v_lshrrev_b16_e32 v9, 8, v17
	v_cmp_ne_u16_e64 s[2:3], 0, v9
	s_and_saveexec_b64 s[20:21], s[2:3]
	s_cbranch_execz .LBB315_566
; %bb.561:                              ;   in Loop: Header=BB315_403 Depth=1
	v_cmp_ne_u16_e64 s[2:3], s39, v9
	v_bfrev_b32_e32 v24, 1
	s_and_saveexec_b64 s[22:23], s[2:3]
	s_cbranch_execz .LBB315_565
; %bb.562:                              ;   in Loop: Header=BB315_403 Depth=1
	v_and_b32_e32 v0, 0x7f, v9
	v_cmp_ne_u32_e64 s[2:3], s40, v0
	v_mov_b32_e32 v24, 0x7f800001
	s_and_saveexec_b64 s[28:29], s[2:3]
	s_cbranch_execz .LBB315_564
; %bb.563:                              ;   in Loop: Header=BB315_403 Depth=1
	v_and_b32_e32 v22, 7, v9
	v_lshrrev_b32_e32 v23, 3, v0
	v_cmp_gt_u32_e64 s[2:3], 8, v0
	v_ffbh_u32_e32 v0, v22
	v_min_u32_e32 v0, 32, v0
	v_subrev_u32_e32 v19, 28, v0
	v_lshlrev_b64 v[19:20], v19, v[9:10]
	v_sub_u32_e32 v0, 29, v0
	v_and_b32_e32 v9, 7, v19
	v_cndmask_b32_e64 v0, v23, v0, s[2:3]
	v_cndmask_b32_e64 v9, v22, v9, s[2:3]
	v_lshlrev_b32_e32 v19, 16, v17
	v_lshlrev_b32_e32 v9, 20, v9
	v_and_b32_e32 v19, 0x80000000, v19
	v_lshl_add_u32 v0, v0, 23, v52
	v_or3_b32 v24, v19, v0, v9
.LBB315_564:                            ;   in Loop: Header=BB315_403 Depth=1
	s_or_b64 exec, exec, s[28:29]
.LBB315_565:                            ;   in Loop: Header=BB315_403 Depth=1
	s_or_b64 exec, exec, s[22:23]
.LBB315_566:                            ;   in Loop: Header=BB315_403 Depth=1
	s_or_b64 exec, exec, s[20:21]
	v_lshrrev_b32_e32 v9, 16, v17
	v_cmp_ne_u16_sdwa s[2:3], v9, v10 src0_sel:BYTE_0 src1_sel:DWORD
	v_mov_b32_e32 v20, 0
	v_mov_b32_e32 v22, 0
	s_and_saveexec_b64 s[20:21], s[2:3]
	s_cbranch_execz .LBB315_572
; %bb.567:                              ;   in Loop: Header=BB315_403 Depth=1
	v_cmp_ne_u16_sdwa s[2:3], v9, s39 src0_sel:BYTE_0 src1_sel:DWORD
	v_bfrev_b32_e32 v22, 1
	s_and_saveexec_b64 s[22:23], s[2:3]
	s_cbranch_execz .LBB315_571
; %bb.568:                              ;   in Loop: Header=BB315_403 Depth=1
	v_bfe_u32 v0, v17, 16, 7
	v_cmp_ne_u32_e64 s[2:3], s40, v0
	v_mov_b32_e32 v22, 0x7f800001
	s_and_saveexec_b64 s[28:29], s[2:3]
	s_cbranch_execz .LBB315_570
; %bb.569:                              ;   in Loop: Header=BB315_403 Depth=1
	v_and_b32_e32 v19, 7, v9
	v_lshrrev_b32_e32 v25, 3, v0
	v_cmp_gt_u32_e64 s[2:3], 8, v0
	v_ffbh_u32_e32 v0, v19
	v_min_u32_e32 v0, 32, v0
	v_subrev_u32_e32 v22, 28, v0
	v_lshlrev_b64 v[22:23], v22, v[9:10]
	v_sub_u32_e32 v0, 29, v0
	v_and_b32_e32 v22, 7, v22
	v_cndmask_b32_e64 v0, v25, v0, s[2:3]
	v_cndmask_b32_e64 v19, v19, v22, s[2:3]
	v_lshlrev_b32_e32 v9, 24, v9
	v_lshlrev_b32_e32 v19, 20, v19
	v_and_b32_e32 v9, 0x80000000, v9
	v_lshl_add_u32 v0, v0, 23, v52
	v_or3_b32 v22, v9, v0, v19
.LBB315_570:                            ;   in Loop: Header=BB315_403 Depth=1
	s_or_b64 exec, exec, s[28:29]
.LBB315_571:                            ;   in Loop: Header=BB315_403 Depth=1
	s_or_b64 exec, exec, s[22:23]
.LBB315_572:                            ;   in Loop: Header=BB315_403 Depth=1
	s_or_b64 exec, exec, s[20:21]
	v_cmp_lt_u32_e64 s[2:3], s13, v17
	s_and_saveexec_b64 s[20:21], s[2:3]
	s_cbranch_execz .LBB315_578
; %bb.573:                              ;   in Loop: Header=BB315_403 Depth=1
	v_lshrrev_b32_e32 v9, 24, v17
	v_cmp_ne_u32_e64 s[2:3], s39, v9
	v_bfrev_b32_e32 v20, 1
	s_and_saveexec_b64 s[22:23], s[2:3]
	s_cbranch_execz .LBB315_577
; %bb.574:                              ;   in Loop: Header=BB315_403 Depth=1
	v_bfe_u32 v0, v17, 24, 7
	v_cmp_ne_u32_e64 s[2:3], s40, v0
	v_mov_b32_e32 v20, 0x7f800001
	s_and_saveexec_b64 s[28:29], s[2:3]
	s_cbranch_execz .LBB315_576
; %bb.575:                              ;   in Loop: Header=BB315_403 Depth=1
	v_and_b32_e32 v23, 7, v9
	v_lshrrev_b32_e32 v25, 3, v0
	v_cmp_gt_u32_e64 s[2:3], 8, v0
	v_ffbh_u32_e32 v0, v23
	v_min_u32_e32 v0, 32, v0
	v_subrev_u32_e32 v19, 28, v0
	v_lshlrev_b64 v[19:20], v19, v[9:10]
	v_sub_u32_e32 v0, 29, v0
	v_and_b32_e32 v19, 7, v19
	v_cndmask_b32_e64 v0, v25, v0, s[2:3]
	v_cndmask_b32_e64 v19, v23, v19, s[2:3]
	v_lshlrev_b32_e32 v9, 24, v9
	v_lshlrev_b32_e32 v19, 20, v19
	v_and_b32_e32 v9, 0x80000000, v9
	v_lshl_add_u32 v0, v0, 23, v52
	v_or3_b32 v20, v9, v0, v19
.LBB315_576:                            ;   in Loop: Header=BB315_403 Depth=1
	s_or_b64 exec, exec, s[28:29]
.LBB315_577:                            ;   in Loop: Header=BB315_403 Depth=1
	s_or_b64 exec, exec, s[22:23]
.LBB315_578:                            ;   in Loop: Header=BB315_403 Depth=1
	s_or_b64 exec, exec, s[20:21]
	v_mov_b32_e32 v9, v18
	v_cmp_ne_u16_sdwa s[2:3], v18, v10 src0_sel:BYTE_0 src1_sel:DWORD
	v_mov_b32_e32 v0, 0
	v_mov_b32_e32 v23, 0
	s_and_saveexec_b64 s[20:21], s[2:3]
	s_cbranch_execz .LBB315_584
; %bb.579:                              ;   in Loop: Header=BB315_403 Depth=1
	v_cmp_ne_u16_sdwa s[2:3], v18, s39 src0_sel:BYTE_0 src1_sel:DWORD
	v_bfrev_b32_e32 v23, 1
	s_and_saveexec_b64 s[22:23], s[2:3]
	s_cbranch_execz .LBB315_583
; %bb.580:                              ;   in Loop: Header=BB315_403 Depth=1
	v_and_b32_e32 v19, 0x7f, v18
	v_cmp_ne_u32_e64 s[2:3], s40, v19
	v_mov_b32_e32 v23, 0x7f800001
	s_and_saveexec_b64 s[28:29], s[2:3]
	s_cbranch_execz .LBB315_582
; %bb.581:                              ;   in Loop: Header=BB315_403 Depth=1
	v_and_b32_e32 v23, 7, v18
	v_lshrrev_b32_e32 v25, 3, v19
	v_cmp_gt_u32_e64 s[2:3], 8, v19
	v_ffbh_u32_e32 v19, v23
	v_min_u32_e32 v19, 32, v19
	v_subrev_u32_e32 v23, 28, v19
	v_sub_u32_e32 v19, 29, v19
	v_cndmask_b32_e64 v23, 0, v23, s[2:3]
	v_cndmask_b32_e64 v19, v25, v19, s[2:3]
	v_lshlrev_b64 v[25:26], v23, v[9:10]
	v_lshl_add_u32 v19, v19, 23, v52
	v_lshlrev_b32_e32 v23, 20, v25
	v_lshlrev_b32_e32 v25, 24, v9
	v_and_b32_e32 v23, 0x700000, v23
	v_and_b32_e32 v25, 0x80000000, v25
	v_or3_b32 v23, v25, v19, v23
.LBB315_582:                            ;   in Loop: Header=BB315_403 Depth=1
	s_or_b64 exec, exec, s[28:29]
.LBB315_583:                            ;   in Loop: Header=BB315_403 Depth=1
	s_or_b64 exec, exec, s[22:23]
.LBB315_584:                            ;   in Loop: Header=BB315_403 Depth=1
	s_or_b64 exec, exec, s[20:21]
	v_lshrrev_b16_e32 v19, 8, v9
	v_cmp_ne_u16_e64 s[2:3], 0, v19
	s_and_saveexec_b64 s[20:21], s[2:3]
	s_cbranch_execz .LBB315_590
; %bb.585:                              ;   in Loop: Header=BB315_403 Depth=1
	v_cmp_ne_u16_e64 s[2:3], s39, v19
	v_bfrev_b32_e32 v0, 1
	s_and_saveexec_b64 s[22:23], s[2:3]
	s_cbranch_execz .LBB315_589
; %bb.586:                              ;   in Loop: Header=BB315_403 Depth=1
	v_and_b32_e32 v25, 0x7f, v19
	v_cmp_ne_u32_e64 s[2:3], s40, v25
	v_mov_b32_e32 v0, 0x7f800001
	s_and_saveexec_b64 s[28:29], s[2:3]
	s_cbranch_execz .LBB315_588
; %bb.587:                              ;   in Loop: Header=BB315_403 Depth=1
	v_and_b32_e32 v0, 7, v19
	v_lshrrev_b32_e32 v27, 3, v25
	v_cmp_gt_u32_e64 s[2:3], 8, v25
	v_ffbh_u32_e32 v25, v0
	v_min_u32_e32 v28, 32, v25
	v_subrev_u32_e32 v25, 28, v28
	v_lshlrev_b64 v[25:26], v25, v[19:20]
	v_sub_u32_e32 v19, 29, v28
	v_and_b32_e32 v25, 7, v25
	v_cndmask_b32_e64 v19, v27, v19, s[2:3]
	v_cndmask_b32_e64 v0, v0, v25, s[2:3]
	v_lshlrev_b32_e32 v9, 16, v9
	v_lshlrev_b32_e32 v0, 20, v0
	v_and_b32_e32 v9, 0x80000000, v9
	v_lshl_add_u32 v19, v19, 23, v52
	v_or3_b32 v0, v9, v19, v0
.LBB315_588:                            ;   in Loop: Header=BB315_403 Depth=1
	s_or_b64 exec, exec, s[28:29]
.LBB315_589:                            ;   in Loop: Header=BB315_403 Depth=1
	s_or_b64 exec, exec, s[22:23]
.LBB315_590:                            ;   in Loop: Header=BB315_403 Depth=1
	s_or_b64 exec, exec, s[20:21]
	v_lshrrev_b32_e32 v9, 16, v18
	v_cmp_ne_u16_sdwa s[2:3], v9, v10 src0_sel:BYTE_0 src1_sel:DWORD
	v_mov_b32_e32 v19, 0
	v_mov_b32_e32 v26, 0
	s_and_saveexec_b64 s[20:21], s[2:3]
	s_cbranch_execz .LBB315_596
; %bb.591:                              ;   in Loop: Header=BB315_403 Depth=1
	v_cmp_ne_u16_sdwa s[2:3], v9, s39 src0_sel:BYTE_0 src1_sel:DWORD
	v_bfrev_b32_e32 v26, 1
	s_and_saveexec_b64 s[22:23], s[2:3]
	s_cbranch_execz .LBB315_595
; %bb.592:                              ;   in Loop: Header=BB315_403 Depth=1
	v_bfe_u32 v25, v18, 16, 7
	v_cmp_ne_u32_e64 s[2:3], s40, v25
	v_mov_b32_e32 v26, 0x7f800001
	s_and_saveexec_b64 s[28:29], s[2:3]
	s_cbranch_execz .LBB315_594
; %bb.593:                              ;   in Loop: Header=BB315_403 Depth=1
	v_and_b32_e32 v27, 7, v9
	v_lshrrev_b32_e32 v28, 3, v25
	v_cmp_gt_u32_e64 s[2:3], 8, v25
	v_ffbh_u32_e32 v25, v27
	v_min_u32_e32 v29, 32, v25
	v_subrev_u32_e32 v25, 28, v29
	v_lshlrev_b64 v[25:26], v25, v[9:10]
	v_sub_u32_e32 v26, 29, v29
	v_and_b32_e32 v25, 7, v25
	v_cndmask_b32_e64 v26, v28, v26, s[2:3]
	v_cndmask_b32_e64 v25, v27, v25, s[2:3]
	v_lshlrev_b32_e32 v9, 24, v9
	v_lshlrev_b32_e32 v25, 20, v25
	v_and_b32_e32 v9, 0x80000000, v9
	v_lshl_add_u32 v26, v26, 23, v52
	v_or3_b32 v26, v9, v26, v25
.LBB315_594:                            ;   in Loop: Header=BB315_403 Depth=1
	s_or_b64 exec, exec, s[28:29]
.LBB315_595:                            ;   in Loop: Header=BB315_403 Depth=1
	s_or_b64 exec, exec, s[22:23]
.LBB315_596:                            ;   in Loop: Header=BB315_403 Depth=1
	s_or_b64 exec, exec, s[20:21]
	v_cmp_lt_u64_e64 s[2:3], s[12:13], v[17:18]
	s_and_saveexec_b64 s[20:21], s[2:3]
	s_cbranch_execz .LBB315_602
; %bb.597:                              ;   in Loop: Header=BB315_403 Depth=1
	v_lshrrev_b32_e32 v9, 24, v18
	v_cmp_ne_u32_e64 s[2:3], s39, v9
	v_bfrev_b32_e32 v19, 1
	s_and_saveexec_b64 s[22:23], s[2:3]
	s_cbranch_execz .LBB315_601
; %bb.598:                              ;   in Loop: Header=BB315_403 Depth=1
	v_bfe_u32 v17, v18, 24, 7
	v_cmp_ne_u32_e64 s[2:3], s40, v17
	v_mov_b32_e32 v19, 0x7f800001
	s_and_saveexec_b64 s[28:29], s[2:3]
	s_cbranch_execz .LBB315_600
; %bb.599:                              ;   in Loop: Header=BB315_403 Depth=1
	v_and_b32_e32 v19, 7, v9
	v_lshrrev_b32_e32 v25, 3, v17
	v_cmp_gt_u32_e64 s[2:3], 8, v17
	v_ffbh_u32_e32 v17, v19
	v_min_u32_e32 v27, 32, v17
	v_subrev_u32_e32 v17, 28, v27
	v_lshlrev_b64 v[17:18], v17, v[9:10]
	v_sub_u32_e32 v18, 29, v27
	v_and_b32_e32 v17, 7, v17
	v_cndmask_b32_e64 v18, v25, v18, s[2:3]
	v_cndmask_b32_e64 v17, v19, v17, s[2:3]
	v_lshlrev_b32_e32 v9, 24, v9
	v_lshlrev_b32_e32 v17, 20, v17
	v_and_b32_e32 v9, 0x80000000, v9
	v_lshl_add_u32 v18, v18, 23, v52
	v_or3_b32 v19, v9, v18, v17
.LBB315_600:                            ;   in Loop: Header=BB315_403 Depth=1
	s_or_b64 exec, exec, s[28:29]
.LBB315_601:                            ;   in Loop: Header=BB315_403 Depth=1
	s_or_b64 exec, exec, s[22:23]
.LBB315_602:                            ;   in Loop: Header=BB315_403 Depth=1
	s_or_b64 exec, exec, s[20:21]
	v_mul_f32_e32 v0, s43, v0
	v_bfe_u32 v9, v0, 16, 1
	v_add3_u32 v9, v9, v0, s41
	v_or_b32_e32 v17, 0x400000, v0
	v_cmp_u_f32_e64 s[2:3], v0, v0
	v_cndmask_b32_e64 v0, v9, v17, s[2:3]
	v_mul_f32_e32 v9, s43, v23
	v_bfe_u32 v17, v9, 16, 1
	v_add3_u32 v17, v17, v9, s41
	v_or_b32_e32 v18, 0x400000, v9
	v_cmp_u_f32_e64 s[2:3], v9, v9
	v_cndmask_b32_e64 v9, v17, v18, s[2:3]
	v_lshrrev_b32_e32 v23, 16, v9
	v_mul_f32_e32 v9, s43, v20
	v_bfe_u32 v17, v9, 16, 1
	v_add3_u32 v17, v17, v9, s41
	v_or_b32_e32 v18, 0x400000, v9
	v_cmp_u_f32_e64 s[2:3], v9, v9
	v_cndmask_b32_e64 v9, v17, v18, s[2:3]
	v_lshrrev_b32_e32 v25, 16, v9
	;; [unrolled: 7-line block ×4, first 2 shown]
	buffer_store_dword v9, off, s[60:63], 0 offset:136 ; 4-byte Folded Spill
	v_mul_f32_e32 v9, s43, v21
	v_bfe_u32 v17, v9, 16, 1
	v_add3_u32 v17, v17, v9, s41
	v_or_b32_e32 v18, 0x400000, v9
	v_cmp_u_f32_e64 s[2:3], v9, v9
	v_cndmask_b32_e64 v9, v17, v18, s[2:3]
	v_lshrrev_b32_e32 v9, 16, v9
	buffer_store_dword v9, off, s[60:63], 0 offset:140 ; 4-byte Folded Spill
	v_mul_f32_e32 v9, s43, v26
	v_bfe_u32 v17, v9, 16, 1
	v_add3_u32 v17, v17, v9, s41
	v_or_b32_e32 v18, 0x400000, v9
	v_cmp_u_f32_e64 s[2:3], v9, v9
	v_cndmask_b32_e64 v9, v17, v18, s[2:3]
	v_lshrrev_b32_e32 v21, 16, v9
	v_mul_f32_e32 v9, s43, v19
	v_bfe_u32 v17, v9, 16, 1
	v_add3_u32 v17, v17, v9, s41
	v_or_b32_e32 v18, 0x400000, v9
	v_cmp_u_f32_e64 s[2:3], v9, v9
	v_cndmask_b32_e64 v9, v17, v18, s[2:3]
	v_lshrrev_b32_e32 v0, 16, v0
	v_lshrrev_b32_e32 v20, 16, v9
	s_and_saveexec_b64 s[20:21], s[0:1]
	s_cbranch_execz .LBB315_604
; %bb.603:                              ;   in Loop: Header=BB315_403 Depth=1
	buffer_load_dword v9, off, s[60:63], 0 offset:140 ; 4-byte Folded Reload
	v_cmp_gt_i32_e64 s[2:3], s33, v47
	s_waitcnt vmcnt(0)
	v_cndmask_b32_e64 v9, 0, v9, s[2:3]
	buffer_store_dword v9, off, s[60:63], 0 offset:140 ; 4-byte Folded Spill
	v_add_u32_e32 v9, 1, v47
	v_cmp_gt_i32_e64 s[2:3], s33, v9
	buffer_load_dword v9, off, s[60:63], 0 offset:136 ; 4-byte Folded Reload
	s_waitcnt vmcnt(0)
	v_cndmask_b32_e64 v9, 0, v9, s[2:3]
	buffer_store_dword v9, off, s[60:63], 0 offset:136 ; 4-byte Folded Spill
	v_add_u32_e32 v9, 2, v47
	v_cmp_gt_i32_e64 s[2:3], s33, v9
	v_add_u32_e32 v9, 3, v47
	v_cndmask_b32_e64 v36, 0, v36, s[2:3]
	v_cmp_gt_i32_e64 s[2:3], s33, v9
	v_add_u32_e32 v9, 4, v47
	v_cndmask_b32_e64 v25, 0, v25, s[2:3]
	;; [unrolled: 3-line block ×5, first 2 shown]
	v_cmp_gt_i32_e64 s[2:3], s33, v9
	v_cndmask_b32_e64 v20, 0, v20, s[2:3]
.LBB315_604:                            ;   in Loop: Header=BB315_403 Depth=1
	s_or_b64 exec, exec, s[20:21]
	global_load_dwordx2 v[17:18], v[15:16], off offset:2048
	v_mov_b32_e32 v30, 0
	v_mov_b32_e32 v26, 0
	s_waitcnt vmcnt(0)
	v_cmp_ne_u16_sdwa s[2:3], v17, v10 src0_sel:BYTE_0 src1_sel:DWORD
	s_and_saveexec_b64 s[20:21], s[2:3]
	s_cbranch_execz .LBB315_610
; %bb.605:                              ;   in Loop: Header=BB315_403 Depth=1
	v_cmp_ne_u16_sdwa s[2:3], v17, s39 src0_sel:BYTE_0 src1_sel:DWORD
	v_bfrev_b32_e32 v26, 1
	s_and_saveexec_b64 s[22:23], s[2:3]
	s_cbranch_execz .LBB315_609
; %bb.606:                              ;   in Loop: Header=BB315_403 Depth=1
	v_and_b32_e32 v9, 0x7f, v17
	v_cmp_ne_u32_e64 s[2:3], s40, v9
	v_mov_b32_e32 v26, 0x7f800001
	s_and_saveexec_b64 s[28:29], s[2:3]
	s_cbranch_execz .LBB315_608
; %bb.607:                              ;   in Loop: Header=BB315_403 Depth=1
	v_and_b32_e32 v19, 7, v17
	v_lshrrev_b32_e32 v24, 3, v9
	v_cmp_gt_u32_e64 s[2:3], 8, v9
	v_ffbh_u32_e32 v9, v19
	v_min_u32_e32 v9, 32, v9
	v_subrev_u32_e32 v19, 28, v9
	v_cndmask_b32_e64 v19, 0, v19, s[2:3]
	v_lshlrev_b64 v[26:27], v19, v[17:18]
	v_sub_u32_e32 v9, 29, v9
	v_cndmask_b32_e64 v9, v24, v9, s[2:3]
	v_lshlrev_b32_e32 v19, 20, v26
	v_lshlrev_b32_e32 v24, 24, v17
	v_and_b32_e32 v19, 0x700000, v19
	v_and_b32_e32 v24, 0x80000000, v24
	v_lshl_add_u32 v9, v9, 23, v52
	v_or3_b32 v26, v24, v9, v19
.LBB315_608:                            ;   in Loop: Header=BB315_403 Depth=1
	s_or_b64 exec, exec, s[28:29]
.LBB315_609:                            ;   in Loop: Header=BB315_403 Depth=1
	s_or_b64 exec, exec, s[22:23]
.LBB315_610:                            ;   in Loop: Header=BB315_403 Depth=1
	s_or_b64 exec, exec, s[20:21]
	v_lshrrev_b16_e32 v9, 8, v17
	v_cmp_ne_u16_e64 s[2:3], 0, v9
	s_and_saveexec_b64 s[20:21], s[2:3]
	s_cbranch_execz .LBB315_616
; %bb.611:                              ;   in Loop: Header=BB315_403 Depth=1
	v_cmp_ne_u16_e64 s[2:3], s39, v9
	v_bfrev_b32_e32 v30, 1
	s_and_saveexec_b64 s[22:23], s[2:3]
	s_cbranch_execz .LBB315_615
; %bb.612:                              ;   in Loop: Header=BB315_403 Depth=1
	v_and_b32_e32 v19, 0x7f, v9
	v_cmp_ne_u32_e64 s[2:3], s40, v19
	v_mov_b32_e32 v30, 0x7f800001
	s_and_saveexec_b64 s[28:29], s[2:3]
	s_cbranch_execz .LBB315_614
; %bb.613:                              ;   in Loop: Header=BB315_403 Depth=1
	v_and_b32_e32 v24, 7, v9
	v_lshrrev_b32_e32 v29, 3, v19
	v_cmp_gt_u32_e64 s[2:3], 8, v19
	v_ffbh_u32_e32 v19, v24
	v_min_u32_e32 v19, 32, v19
	v_subrev_u32_e32 v27, 28, v19
	v_lshlrev_b64 v[27:28], v27, v[9:10]
	v_sub_u32_e32 v9, 29, v19
	v_and_b32_e32 v19, 7, v27
	v_cndmask_b32_e64 v9, v29, v9, s[2:3]
	v_cndmask_b32_e64 v19, v24, v19, s[2:3]
	v_lshlrev_b32_e32 v24, 16, v17
	v_lshlrev_b32_e32 v19, 20, v19
	v_and_b32_e32 v24, 0x80000000, v24
	v_lshl_add_u32 v9, v9, 23, v52
	v_or3_b32 v30, v24, v9, v19
.LBB315_614:                            ;   in Loop: Header=BB315_403 Depth=1
	s_or_b64 exec, exec, s[28:29]
.LBB315_615:                            ;   in Loop: Header=BB315_403 Depth=1
	s_or_b64 exec, exec, s[22:23]
.LBB315_616:                            ;   in Loop: Header=BB315_403 Depth=1
	s_or_b64 exec, exec, s[20:21]
	v_lshrrev_b32_e32 v9, 16, v17
	v_cmp_ne_u16_sdwa s[2:3], v9, v10 src0_sel:BYTE_0 src1_sel:DWORD
	v_mov_b32_e32 v28, 0
	v_mov_b32_e32 v27, 0
	s_and_saveexec_b64 s[20:21], s[2:3]
	s_cbranch_execz .LBB315_622
; %bb.617:                              ;   in Loop: Header=BB315_403 Depth=1
	v_cmp_ne_u16_sdwa s[2:3], v9, s39 src0_sel:BYTE_0 src1_sel:DWORD
	v_bfrev_b32_e32 v27, 1
	s_and_saveexec_b64 s[22:23], s[2:3]
	s_cbranch_execz .LBB315_621
; %bb.618:                              ;   in Loop: Header=BB315_403 Depth=1
	v_bfe_u32 v19, v17, 16, 7
	v_cmp_ne_u32_e64 s[2:3], s40, v19
	v_mov_b32_e32 v27, 0x7f800001
	s_and_saveexec_b64 s[28:29], s[2:3]
	s_cbranch_execz .LBB315_620
; %bb.619:                              ;   in Loop: Header=BB315_403 Depth=1
	v_and_b32_e32 v24, 7, v9
	v_lshrrev_b32_e32 v27, 3, v19
	v_cmp_gt_u32_e64 s[2:3], 8, v19
	v_ffbh_u32_e32 v19, v24
	v_min_u32_e32 v19, 32, v19
	v_subrev_u32_e32 v29, 28, v19
	v_lshlrev_b64 v[31:32], v29, v[9:10]
	v_sub_u32_e32 v19, 29, v19
	v_and_b32_e32 v29, 7, v31
	v_cndmask_b32_e64 v19, v27, v19, s[2:3]
	v_cndmask_b32_e64 v24, v24, v29, s[2:3]
	v_lshlrev_b32_e32 v9, 24, v9
	v_lshlrev_b32_e32 v24, 20, v24
	v_and_b32_e32 v9, 0x80000000, v9
	v_lshl_add_u32 v19, v19, 23, v52
	v_or3_b32 v27, v9, v19, v24
.LBB315_620:                            ;   in Loop: Header=BB315_403 Depth=1
	s_or_b64 exec, exec, s[28:29]
.LBB315_621:                            ;   in Loop: Header=BB315_403 Depth=1
	s_or_b64 exec, exec, s[22:23]
.LBB315_622:                            ;   in Loop: Header=BB315_403 Depth=1
	s_or_b64 exec, exec, s[20:21]
	v_cmp_lt_u32_e64 s[2:3], s13, v17
	s_and_saveexec_b64 s[20:21], s[2:3]
	s_cbranch_execz .LBB315_628
; %bb.623:                              ;   in Loop: Header=BB315_403 Depth=1
	v_lshrrev_b32_e32 v9, 24, v17
	v_cmp_ne_u32_e64 s[2:3], s39, v9
	v_bfrev_b32_e32 v28, 1
	s_and_saveexec_b64 s[22:23], s[2:3]
	s_cbranch_execz .LBB315_627
; %bb.624:                              ;   in Loop: Header=BB315_403 Depth=1
	v_bfe_u32 v19, v17, 24, 7
	v_cmp_ne_u32_e64 s[2:3], s40, v19
	v_mov_b32_e32 v28, 0x7f800001
	s_and_saveexec_b64 s[28:29], s[2:3]
	s_cbranch_execz .LBB315_626
; %bb.625:                              ;   in Loop: Header=BB315_403 Depth=1
	v_and_b32_e32 v24, 7, v9
	v_lshrrev_b32_e32 v31, 3, v19
	v_cmp_gt_u32_e64 s[2:3], 8, v19
	v_ffbh_u32_e32 v19, v24
	v_min_u32_e32 v19, 32, v19
	v_subrev_u32_e32 v28, 28, v19
	v_lshlrev_b64 v[28:29], v28, v[9:10]
	v_sub_u32_e32 v19, 29, v19
	v_and_b32_e32 v28, 7, v28
	v_cndmask_b32_e64 v19, v31, v19, s[2:3]
	v_cndmask_b32_e64 v24, v24, v28, s[2:3]
	v_lshlrev_b32_e32 v9, 24, v9
	v_lshlrev_b32_e32 v24, 20, v24
	v_and_b32_e32 v9, 0x80000000, v9
	v_lshl_add_u32 v19, v19, 23, v52
	v_or3_b32 v28, v9, v19, v24
.LBB315_626:                            ;   in Loop: Header=BB315_403 Depth=1
	s_or_b64 exec, exec, s[28:29]
.LBB315_627:                            ;   in Loop: Header=BB315_403 Depth=1
	s_or_b64 exec, exec, s[22:23]
.LBB315_628:                            ;   in Loop: Header=BB315_403 Depth=1
	s_or_b64 exec, exec, s[20:21]
	v_mov_b32_e32 v9, v18
	v_cmp_ne_u16_sdwa s[2:3], v18, v10 src0_sel:BYTE_0 src1_sel:DWORD
	v_mov_b32_e32 v24, 0
	v_mov_b32_e32 v29, 0
	s_and_saveexec_b64 s[20:21], s[2:3]
	s_cbranch_execz .LBB315_634
; %bb.629:                              ;   in Loop: Header=BB315_403 Depth=1
	v_cmp_ne_u16_sdwa s[2:3], v18, s39 src0_sel:BYTE_0 src1_sel:DWORD
	v_bfrev_b32_e32 v29, 1
	s_and_saveexec_b64 s[22:23], s[2:3]
	s_cbranch_execz .LBB315_633
; %bb.630:                              ;   in Loop: Header=BB315_403 Depth=1
	v_and_b32_e32 v19, 0x7f, v18
	v_cmp_ne_u32_e64 s[2:3], s40, v19
	v_mov_b32_e32 v29, 0x7f800001
	s_and_saveexec_b64 s[28:29], s[2:3]
	s_cbranch_execz .LBB315_632
; %bb.631:                              ;   in Loop: Header=BB315_403 Depth=1
	v_and_b32_e32 v29, 7, v18
	v_lshrrev_b32_e32 v31, 3, v19
	v_cmp_gt_u32_e64 s[2:3], 8, v19
	v_ffbh_u32_e32 v19, v29
	v_min_u32_e32 v19, 32, v19
	v_subrev_u32_e32 v29, 28, v19
	v_sub_u32_e32 v19, 29, v19
	v_cndmask_b32_e64 v29, 0, v29, s[2:3]
	v_cndmask_b32_e64 v19, v31, v19, s[2:3]
	v_lshlrev_b64 v[31:32], v29, v[9:10]
	v_lshl_add_u32 v19, v19, 23, v52
	v_lshlrev_b32_e32 v29, 20, v31
	v_lshlrev_b32_e32 v31, 24, v9
	v_and_b32_e32 v29, 0x700000, v29
	v_and_b32_e32 v31, 0x80000000, v31
	v_or3_b32 v29, v31, v19, v29
.LBB315_632:                            ;   in Loop: Header=BB315_403 Depth=1
	s_or_b64 exec, exec, s[28:29]
.LBB315_633:                            ;   in Loop: Header=BB315_403 Depth=1
	s_or_b64 exec, exec, s[22:23]
.LBB315_634:                            ;   in Loop: Header=BB315_403 Depth=1
	s_or_b64 exec, exec, s[20:21]
	v_lshrrev_b16_e32 v19, 8, v9
	v_cmp_ne_u16_e64 s[2:3], 0, v19
	s_and_saveexec_b64 s[20:21], s[2:3]
	s_cbranch_execz .LBB315_640
; %bb.635:                              ;   in Loop: Header=BB315_403 Depth=1
	v_cmp_ne_u16_e64 s[2:3], s39, v19
	v_bfrev_b32_e32 v24, 1
	s_and_saveexec_b64 s[22:23], s[2:3]
	s_cbranch_execz .LBB315_639
; %bb.636:                              ;   in Loop: Header=BB315_403 Depth=1
	v_and_b32_e32 v31, 0x7f, v19
	v_cmp_ne_u32_e64 s[2:3], s40, v31
	v_mov_b32_e32 v24, 0x7f800001
	s_and_saveexec_b64 s[28:29], s[2:3]
	s_cbranch_execz .LBB315_638
; %bb.637:                              ;   in Loop: Header=BB315_403 Depth=1
	v_and_b32_e32 v24, 7, v19
	v_lshrrev_b32_e32 v33, 3, v31
	v_cmp_gt_u32_e64 s[2:3], 8, v31
	v_ffbh_u32_e32 v31, v24
	v_min_u32_e32 v34, 32, v31
	v_subrev_u32_e32 v31, 28, v34
	v_lshlrev_b64 v[31:32], v31, v[19:20]
	v_sub_u32_e32 v19, 29, v34
	v_and_b32_e32 v31, 7, v31
	v_cndmask_b32_e64 v19, v33, v19, s[2:3]
	v_cndmask_b32_e64 v24, v24, v31, s[2:3]
	v_lshlrev_b32_e32 v9, 16, v9
	v_lshlrev_b32_e32 v24, 20, v24
	v_and_b32_e32 v9, 0x80000000, v9
	v_lshl_add_u32 v19, v19, 23, v52
	v_or3_b32 v24, v9, v19, v24
.LBB315_638:                            ;   in Loop: Header=BB315_403 Depth=1
	s_or_b64 exec, exec, s[28:29]
.LBB315_639:                            ;   in Loop: Header=BB315_403 Depth=1
	s_or_b64 exec, exec, s[22:23]
.LBB315_640:                            ;   in Loop: Header=BB315_403 Depth=1
	s_or_b64 exec, exec, s[20:21]
	v_lshrrev_b32_e32 v9, 16, v18
	v_cmp_ne_u16_sdwa s[2:3], v9, v10 src0_sel:BYTE_0 src1_sel:DWORD
	v_mov_b32_e32 v19, 0
	v_mov_b32_e32 v33, 0
	s_and_saveexec_b64 s[20:21], s[2:3]
	s_cbranch_execz .LBB315_646
; %bb.641:                              ;   in Loop: Header=BB315_403 Depth=1
	v_cmp_ne_u16_sdwa s[2:3], v9, s39 src0_sel:BYTE_0 src1_sel:DWORD
	v_bfrev_b32_e32 v33, 1
	s_and_saveexec_b64 s[22:23], s[2:3]
	s_cbranch_execz .LBB315_645
; %bb.642:                              ;   in Loop: Header=BB315_403 Depth=1
	v_bfe_u32 v31, v18, 16, 7
	v_cmp_ne_u32_e64 s[2:3], s40, v31
	v_mov_b32_e32 v33, 0x7f800001
	s_and_saveexec_b64 s[28:29], s[2:3]
	s_cbranch_execz .LBB315_644
; %bb.643:                              ;   in Loop: Header=BB315_403 Depth=1
	v_and_b32_e32 v33, 7, v9
	v_lshrrev_b32_e32 v34, 3, v31
	v_cmp_gt_u32_e64 s[2:3], 8, v31
	v_ffbh_u32_e32 v31, v33
	v_min_u32_e32 v38, 32, v31
	v_subrev_u32_e32 v31, 28, v38
	v_lshlrev_b64 v[31:32], v31, v[9:10]
	v_sub_u32_e32 v32, 29, v38
	v_and_b32_e32 v31, 7, v31
	v_cndmask_b32_e64 v32, v34, v32, s[2:3]
	v_cndmask_b32_e64 v31, v33, v31, s[2:3]
	v_lshlrev_b32_e32 v9, 24, v9
	v_lshlrev_b32_e32 v31, 20, v31
	v_and_b32_e32 v9, 0x80000000, v9
	v_lshl_add_u32 v32, v32, 23, v52
	v_or3_b32 v33, v9, v32, v31
.LBB315_644:                            ;   in Loop: Header=BB315_403 Depth=1
	s_or_b64 exec, exec, s[28:29]
.LBB315_645:                            ;   in Loop: Header=BB315_403 Depth=1
	s_or_b64 exec, exec, s[22:23]
.LBB315_646:                            ;   in Loop: Header=BB315_403 Depth=1
	s_or_b64 exec, exec, s[20:21]
	v_cmp_lt_u64_e64 s[2:3], s[12:13], v[17:18]
	s_and_saveexec_b64 s[20:21], s[2:3]
	s_cbranch_execz .LBB315_652
; %bb.647:                              ;   in Loop: Header=BB315_403 Depth=1
	v_lshrrev_b32_e32 v9, 24, v18
	v_cmp_ne_u32_e64 s[2:3], s39, v9
	v_bfrev_b32_e32 v19, 1
	s_and_saveexec_b64 s[22:23], s[2:3]
	s_cbranch_execz .LBB315_651
; %bb.648:                              ;   in Loop: Header=BB315_403 Depth=1
	v_bfe_u32 v17, v18, 24, 7
	v_cmp_ne_u32_e64 s[2:3], s40, v17
	v_mov_b32_e32 v19, 0x7f800001
	s_and_saveexec_b64 s[28:29], s[2:3]
	s_cbranch_execz .LBB315_650
; %bb.649:                              ;   in Loop: Header=BB315_403 Depth=1
	v_and_b32_e32 v19, 7, v9
	v_lshrrev_b32_e32 v31, 3, v17
	v_cmp_gt_u32_e64 s[2:3], 8, v17
	v_ffbh_u32_e32 v17, v19
	v_min_u32_e32 v32, 32, v17
	v_subrev_u32_e32 v17, 28, v32
	v_lshlrev_b64 v[17:18], v17, v[9:10]
	v_sub_u32_e32 v18, 29, v32
	v_and_b32_e32 v17, 7, v17
	v_cndmask_b32_e64 v18, v31, v18, s[2:3]
	v_cndmask_b32_e64 v17, v19, v17, s[2:3]
	v_lshlrev_b32_e32 v9, 24, v9
	v_lshlrev_b32_e32 v17, 20, v17
	v_and_b32_e32 v9, 0x80000000, v9
	v_lshl_add_u32 v18, v18, 23, v52
	v_or3_b32 v19, v9, v18, v17
.LBB315_650:                            ;   in Loop: Header=BB315_403 Depth=1
	s_or_b64 exec, exec, s[28:29]
.LBB315_651:                            ;   in Loop: Header=BB315_403 Depth=1
	s_or_b64 exec, exec, s[22:23]
.LBB315_652:                            ;   in Loop: Header=BB315_403 Depth=1
	s_or_b64 exec, exec, s[20:21]
	v_mul_f32_e32 v9, s43, v24
	v_bfe_u32 v17, v9, 16, 1
	v_add3_u32 v17, v17, v9, s41
	v_or_b32_e32 v18, 0x400000, v9
	v_cmp_u_f32_e64 s[2:3], v9, v9
	v_cndmask_b32_e64 v9, v17, v18, s[2:3]
	v_lshrrev_b32_e32 v24, 16, v9
	v_mul_f32_e32 v9, s43, v29
	v_bfe_u32 v17, v9, 16, 1
	v_add3_u32 v17, v17, v9, s41
	v_or_b32_e32 v18, 0x400000, v9
	v_cmp_u_f32_e64 s[2:3], v9, v9
	v_cndmask_b32_e64 v9, v17, v18, s[2:3]
	v_lshrrev_b32_e32 v29, 16, v9
	;; [unrolled: 7-line block ×7, first 2 shown]
	v_mul_f32_e32 v9, s43, v19
	v_bfe_u32 v17, v9, 16, 1
	v_add3_u32 v17, v17, v9, s41
	v_or_b32_e32 v18, 0x400000, v9
	v_cmp_u_f32_e64 s[2:3], v9, v9
	v_cndmask_b32_e64 v9, v17, v18, s[2:3]
	v_mov_b32_e32 v30, v22
	v_lshrrev_b32_e32 v31, 16, v9
	s_and_saveexec_b64 s[20:21], s[0:1]
	s_cbranch_execz .LBB315_654
; %bb.653:                              ;   in Loop: Header=BB315_403 Depth=1
	v_cmp_gt_i32_e64 s[2:3], s33, v47
	v_add_u32_e32 v9, 1, v47
	v_cndmask_b32_e64 v32, 0, v32, s[2:3]
	v_cmp_gt_i32_e64 s[2:3], s33, v9
	v_add_u32_e32 v9, 2, v47
	v_cndmask_b32_e64 v27, 0, v27, s[2:3]
	;; [unrolled: 3-line block ×7, first 2 shown]
	v_cmp_gt_i32_e64 s[2:3], s33, v9
	v_cndmask_b32_e64 v31, 0, v31, s[2:3]
.LBB315_654:                            ;   in Loop: Header=BB315_403 Depth=1
	s_or_b64 exec, exec, s[20:21]
	global_load_dwordx2 v[17:18], v[15:16], off offset:2560
	v_mov_b32_e32 v39, 0
	v_mov_b32_e32 v38, 0
	s_waitcnt vmcnt(0)
	v_cmp_ne_u16_sdwa s[2:3], v17, v10 src0_sel:BYTE_0 src1_sel:DWORD
	s_and_saveexec_b64 s[20:21], s[2:3]
	s_cbranch_execz .LBB315_660
; %bb.655:                              ;   in Loop: Header=BB315_403 Depth=1
	v_cmp_ne_u16_sdwa s[2:3], v17, s39 src0_sel:BYTE_0 src1_sel:DWORD
	v_bfrev_b32_e32 v38, 1
	s_and_saveexec_b64 s[22:23], s[2:3]
	s_cbranch_execz .LBB315_659
; %bb.656:                              ;   in Loop: Header=BB315_403 Depth=1
	v_and_b32_e32 v9, 0x7f, v17
	v_cmp_ne_u32_e64 s[2:3], s40, v9
	v_mov_b32_e32 v38, 0x7f800001
	s_and_saveexec_b64 s[28:29], s[2:3]
	s_cbranch_execz .LBB315_658
; %bb.657:                              ;   in Loop: Header=BB315_403 Depth=1
	v_and_b32_e32 v19, 7, v17
	v_lshrrev_b32_e32 v33, 3, v9
	v_cmp_gt_u32_e64 s[2:3], 8, v9
	v_ffbh_u32_e32 v9, v19
	v_min_u32_e32 v9, 32, v9
	v_subrev_u32_e32 v19, 28, v9
	v_sub_u32_e32 v9, 29, v9
	v_cndmask_b32_e64 v19, 0, v19, s[2:3]
	v_cndmask_b32_e64 v9, v33, v9, s[2:3]
	v_lshlrev_b64 v[33:34], v19, v[17:18]
	v_lshl_add_u32 v9, v9, 23, v52
	v_lshlrev_b32_e32 v19, 20, v33
	v_lshlrev_b32_e32 v33, 24, v17
	v_and_b32_e32 v19, 0x700000, v19
	v_and_b32_e32 v33, 0x80000000, v33
	v_or3_b32 v38, v33, v9, v19
.LBB315_658:                            ;   in Loop: Header=BB315_403 Depth=1
	s_or_b64 exec, exec, s[28:29]
.LBB315_659:                            ;   in Loop: Header=BB315_403 Depth=1
	s_or_b64 exec, exec, s[22:23]
.LBB315_660:                            ;   in Loop: Header=BB315_403 Depth=1
	s_or_b64 exec, exec, s[20:21]
	v_lshrrev_b16_e32 v9, 8, v17
	v_cmp_ne_u16_e64 s[2:3], 0, v9
	s_and_saveexec_b64 s[20:21], s[2:3]
	s_cbranch_execz .LBB315_666
; %bb.661:                              ;   in Loop: Header=BB315_403 Depth=1
	v_cmp_ne_u16_e64 s[2:3], s39, v9
	v_bfrev_b32_e32 v39, 1
	s_and_saveexec_b64 s[22:23], s[2:3]
	s_cbranch_execz .LBB315_665
; %bb.662:                              ;   in Loop: Header=BB315_403 Depth=1
	v_and_b32_e32 v19, 0x7f, v9
	v_cmp_ne_u32_e64 s[2:3], s40, v19
	v_mov_b32_e32 v39, 0x7f800001
	s_and_saveexec_b64 s[28:29], s[2:3]
	s_cbranch_execz .LBB315_664
; %bb.663:                              ;   in Loop: Header=BB315_403 Depth=1
	v_and_b32_e32 v39, 7, v9
	v_lshrrev_b32_e32 v40, 3, v19
	v_cmp_gt_u32_e64 s[2:3], 8, v19
	v_ffbh_u32_e32 v19, v39
	v_min_u32_e32 v19, 32, v19
	v_subrev_u32_e32 v33, 28, v19
	v_lshlrev_b64 v[33:34], v33, v[9:10]
	v_sub_u32_e32 v9, 29, v19
	v_and_b32_e32 v19, 7, v33
	v_cndmask_b32_e64 v9, v40, v9, s[2:3]
	v_cndmask_b32_e64 v19, v39, v19, s[2:3]
	v_lshlrev_b32_e32 v33, 16, v17
	v_lshlrev_b32_e32 v19, 20, v19
	v_and_b32_e32 v33, 0x80000000, v33
	v_lshl_add_u32 v9, v9, 23, v52
	v_or3_b32 v39, v33, v9, v19
.LBB315_664:                            ;   in Loop: Header=BB315_403 Depth=1
	s_or_b64 exec, exec, s[28:29]
.LBB315_665:                            ;   in Loop: Header=BB315_403 Depth=1
	s_or_b64 exec, exec, s[22:23]
.LBB315_666:                            ;   in Loop: Header=BB315_403 Depth=1
	s_or_b64 exec, exec, s[20:21]
	v_lshrrev_b32_e32 v9, 16, v17
	v_cmp_ne_u16_sdwa s[2:3], v9, v10 src0_sel:BYTE_0 src1_sel:DWORD
	v_mov_b32_e32 v41, 0
	v_mov_b32_e32 v40, 0
	s_and_saveexec_b64 s[20:21], s[2:3]
	s_cbranch_execz .LBB315_672
; %bb.667:                              ;   in Loop: Header=BB315_403 Depth=1
	v_cmp_ne_u16_sdwa s[2:3], v9, s39 src0_sel:BYTE_0 src1_sel:DWORD
	v_bfrev_b32_e32 v40, 1
	s_and_saveexec_b64 s[22:23], s[2:3]
	s_cbranch_execz .LBB315_671
; %bb.668:                              ;   in Loop: Header=BB315_403 Depth=1
	v_bfe_u32 v19, v17, 16, 7
	v_cmp_ne_u32_e64 s[2:3], s40, v19
	v_mov_b32_e32 v40, 0x7f800001
	s_and_saveexec_b64 s[28:29], s[2:3]
	s_cbranch_execz .LBB315_670
; %bb.669:                              ;   in Loop: Header=BB315_403 Depth=1
	v_and_b32_e32 v40, 7, v9
	v_lshrrev_b32_e32 v42, 3, v19
	v_cmp_gt_u32_e64 s[2:3], 8, v19
	v_ffbh_u32_e32 v19, v40
	v_min_u32_e32 v19, 32, v19
	v_subrev_u32_e32 v33, 28, v19
	v_lshlrev_b64 v[33:34], v33, v[9:10]
	v_sub_u32_e32 v19, 29, v19
	v_and_b32_e32 v33, 7, v33
	v_cndmask_b32_e64 v19, v42, v19, s[2:3]
	v_cndmask_b32_e64 v33, v40, v33, s[2:3]
	v_lshlrev_b32_e32 v9, 24, v9
	v_lshlrev_b32_e32 v33, 20, v33
	v_and_b32_e32 v9, 0x80000000, v9
	v_lshl_add_u32 v19, v19, 23, v52
	v_or3_b32 v40, v9, v19, v33
.LBB315_670:                            ;   in Loop: Header=BB315_403 Depth=1
	s_or_b64 exec, exec, s[28:29]
.LBB315_671:                            ;   in Loop: Header=BB315_403 Depth=1
	s_or_b64 exec, exec, s[22:23]
.LBB315_672:                            ;   in Loop: Header=BB315_403 Depth=1
	s_or_b64 exec, exec, s[20:21]
	v_cmp_lt_u32_e64 s[2:3], s13, v17
	s_and_saveexec_b64 s[20:21], s[2:3]
	s_cbranch_execz .LBB315_678
; %bb.673:                              ;   in Loop: Header=BB315_403 Depth=1
	v_lshrrev_b32_e32 v9, 24, v17
	v_cmp_ne_u32_e64 s[2:3], s39, v9
	v_bfrev_b32_e32 v41, 1
	s_and_saveexec_b64 s[22:23], s[2:3]
	s_cbranch_execz .LBB315_677
; %bb.674:                              ;   in Loop: Header=BB315_403 Depth=1
	v_bfe_u32 v19, v17, 24, 7
	v_cmp_ne_u32_e64 s[2:3], s40, v19
	v_mov_b32_e32 v41, 0x7f800001
	s_and_saveexec_b64 s[28:29], s[2:3]
	s_cbranch_execz .LBB315_676
; %bb.675:                              ;   in Loop: Header=BB315_403 Depth=1
	v_and_b32_e32 v41, 7, v9
	v_lshrrev_b32_e32 v42, 3, v19
	v_cmp_gt_u32_e64 s[2:3], 8, v19
	v_ffbh_u32_e32 v19, v41
	v_min_u32_e32 v19, 32, v19
	v_subrev_u32_e32 v33, 28, v19
	v_lshlrev_b64 v[33:34], v33, v[9:10]
	v_sub_u32_e32 v19, 29, v19
	v_and_b32_e32 v33, 7, v33
	v_cndmask_b32_e64 v19, v42, v19, s[2:3]
	v_cndmask_b32_e64 v33, v41, v33, s[2:3]
	v_lshlrev_b32_e32 v9, 24, v9
	v_lshlrev_b32_e32 v33, 20, v33
	v_and_b32_e32 v9, 0x80000000, v9
	v_lshl_add_u32 v19, v19, 23, v52
	v_or3_b32 v41, v9, v19, v33
.LBB315_676:                            ;   in Loop: Header=BB315_403 Depth=1
	s_or_b64 exec, exec, s[28:29]
.LBB315_677:                            ;   in Loop: Header=BB315_403 Depth=1
	s_or_b64 exec, exec, s[22:23]
.LBB315_678:                            ;   in Loop: Header=BB315_403 Depth=1
	s_or_b64 exec, exec, s[20:21]
	v_mov_b32_e32 v9, v18
	v_cmp_ne_u16_sdwa s[2:3], v18, v10 src0_sel:BYTE_0 src1_sel:DWORD
	v_mov_b32_e32 v34, 0
	v_mov_b32_e32 v33, 0
	s_and_saveexec_b64 s[20:21], s[2:3]
	s_cbranch_execz .LBB315_684
; %bb.679:                              ;   in Loop: Header=BB315_403 Depth=1
	v_cmp_ne_u16_sdwa s[2:3], v18, s39 src0_sel:BYTE_0 src1_sel:DWORD
	v_bfrev_b32_e32 v33, 1
	s_and_saveexec_b64 s[22:23], s[2:3]
	s_cbranch_execz .LBB315_683
; %bb.680:                              ;   in Loop: Header=BB315_403 Depth=1
	v_and_b32_e32 v19, 0x7f, v18
	v_cmp_ne_u32_e64 s[2:3], s40, v19
	v_mov_b32_e32 v33, 0x7f800001
	s_and_saveexec_b64 s[28:29], s[2:3]
	s_cbranch_execz .LBB315_682
; %bb.681:                              ;   in Loop: Header=BB315_403 Depth=1
	v_and_b32_e32 v33, 7, v18
	v_lshrrev_b32_e32 v42, 3, v19
	v_cmp_gt_u32_e64 s[2:3], 8, v19
	v_ffbh_u32_e32 v19, v33
	v_min_u32_e32 v19, 32, v19
	v_subrev_u32_e32 v33, 28, v19
	v_sub_u32_e32 v19, 29, v19
	v_cndmask_b32_e64 v33, 0, v33, s[2:3]
	v_cndmask_b32_e64 v19, v42, v19, s[2:3]
	v_lshlrev_b64 v[42:43], v33, v[9:10]
	v_lshl_add_u32 v19, v19, 23, v52
	v_lshlrev_b32_e32 v33, 20, v42
	v_lshlrev_b32_e32 v42, 24, v9
	v_and_b32_e32 v33, 0x700000, v33
	v_and_b32_e32 v42, 0x80000000, v42
	v_or3_b32 v33, v42, v19, v33
.LBB315_682:                            ;   in Loop: Header=BB315_403 Depth=1
	s_or_b64 exec, exec, s[28:29]
.LBB315_683:                            ;   in Loop: Header=BB315_403 Depth=1
	s_or_b64 exec, exec, s[22:23]
.LBB315_684:                            ;   in Loop: Header=BB315_403 Depth=1
	s_or_b64 exec, exec, s[20:21]
	v_lshrrev_b16_e32 v19, 8, v9
	v_cmp_ne_u16_e64 s[2:3], 0, v19
	s_and_saveexec_b64 s[20:21], s[2:3]
	s_cbranch_execz .LBB315_690
; %bb.685:                              ;   in Loop: Header=BB315_403 Depth=1
	v_cmp_ne_u16_e64 s[2:3], s39, v19
	v_bfrev_b32_e32 v34, 1
	s_and_saveexec_b64 s[22:23], s[2:3]
	s_cbranch_execz .LBB315_689
; %bb.686:                              ;   in Loop: Header=BB315_403 Depth=1
	v_and_b32_e32 v42, 0x7f, v19
	v_cmp_ne_u32_e64 s[2:3], s40, v42
	v_mov_b32_e32 v34, 0x7f800001
	s_and_saveexec_b64 s[28:29], s[2:3]
	s_cbranch_execz .LBB315_688
; %bb.687:                              ;   in Loop: Header=BB315_403 Depth=1
	v_and_b32_e32 v34, 7, v19
	v_lshrrev_b32_e32 v44, 3, v42
	v_cmp_gt_u32_e64 s[2:3], 8, v42
	v_ffbh_u32_e32 v42, v34
	v_min_u32_e32 v45, 32, v42
	v_subrev_u32_e32 v42, 28, v45
	v_lshlrev_b64 v[42:43], v42, v[19:20]
	v_sub_u32_e32 v19, 29, v45
	v_and_b32_e32 v42, 7, v42
	v_cndmask_b32_e64 v19, v44, v19, s[2:3]
	v_cndmask_b32_e64 v34, v34, v42, s[2:3]
	v_lshlrev_b32_e32 v9, 16, v9
	v_lshlrev_b32_e32 v34, 20, v34
	v_and_b32_e32 v9, 0x80000000, v9
	v_lshl_add_u32 v19, v19, 23, v52
	v_or3_b32 v34, v9, v19, v34
.LBB315_688:                            ;   in Loop: Header=BB315_403 Depth=1
	s_or_b64 exec, exec, s[28:29]
.LBB315_689:                            ;   in Loop: Header=BB315_403 Depth=1
	s_or_b64 exec, exec, s[22:23]
.LBB315_690:                            ;   in Loop: Header=BB315_403 Depth=1
	s_or_b64 exec, exec, s[20:21]
	v_lshrrev_b32_e32 v9, 16, v18
	v_cmp_ne_u16_sdwa s[2:3], v9, v10 src0_sel:BYTE_0 src1_sel:DWORD
	v_mov_b32_e32 v42, 0
	v_mov_b32_e32 v45, 0
	s_and_saveexec_b64 s[20:21], s[2:3]
	s_cbranch_execz .LBB315_696
; %bb.691:                              ;   in Loop: Header=BB315_403 Depth=1
	v_cmp_ne_u16_sdwa s[2:3], v9, s39 src0_sel:BYTE_0 src1_sel:DWORD
	v_bfrev_b32_e32 v45, 1
	s_and_saveexec_b64 s[22:23], s[2:3]
	s_cbranch_execz .LBB315_695
; %bb.692:                              ;   in Loop: Header=BB315_403 Depth=1
	v_bfe_u32 v19, v18, 16, 7
	v_cmp_ne_u32_e64 s[2:3], s40, v19
	v_mov_b32_e32 v45, 0x7f800001
	s_and_saveexec_b64 s[28:29], s[2:3]
	s_cbranch_execz .LBB315_694
; %bb.693:                              ;   in Loop: Header=BB315_403 Depth=1
	v_and_b32_e32 v45, 7, v9
	v_lshrrev_b32_e32 v46, 3, v19
	v_cmp_gt_u32_e64 s[2:3], 8, v19
	v_ffbh_u32_e32 v19, v45
	v_min_u32_e32 v19, 32, v19
	v_subrev_u32_e32 v43, 28, v19
	v_lshlrev_b64 v[43:44], v43, v[9:10]
	v_sub_u32_e32 v19, 29, v19
	v_and_b32_e32 v43, 7, v43
	v_cndmask_b32_e64 v19, v46, v19, s[2:3]
	v_cndmask_b32_e64 v43, v45, v43, s[2:3]
	v_lshlrev_b32_e32 v9, 24, v9
	v_lshlrev_b32_e32 v43, 20, v43
	v_and_b32_e32 v9, 0x80000000, v9
	v_lshl_add_u32 v19, v19, 23, v52
	v_or3_b32 v45, v9, v19, v43
.LBB315_694:                            ;   in Loop: Header=BB315_403 Depth=1
	s_or_b64 exec, exec, s[28:29]
.LBB315_695:                            ;   in Loop: Header=BB315_403 Depth=1
	s_or_b64 exec, exec, s[22:23]
.LBB315_696:                            ;   in Loop: Header=BB315_403 Depth=1
	s_or_b64 exec, exec, s[20:21]
	v_cmp_lt_u64_e64 s[2:3], s[12:13], v[17:18]
	s_and_saveexec_b64 s[20:21], s[2:3]
	s_cbranch_execz .LBB315_702
; %bb.697:                              ;   in Loop: Header=BB315_403 Depth=1
	v_lshrrev_b32_e32 v9, 24, v18
	v_cmp_ne_u32_e64 s[2:3], s39, v9
	v_bfrev_b32_e32 v42, 1
	s_and_saveexec_b64 s[22:23], s[2:3]
	s_cbranch_execz .LBB315_701
; %bb.698:                              ;   in Loop: Header=BB315_403 Depth=1
	v_bfe_u32 v17, v18, 24, 7
	v_cmp_ne_u32_e64 s[2:3], s40, v17
	v_mov_b32_e32 v42, 0x7f800001
	s_and_saveexec_b64 s[28:29], s[2:3]
	s_cbranch_execz .LBB315_700
; %bb.699:                              ;   in Loop: Header=BB315_403 Depth=1
	v_and_b32_e32 v19, 7, v9
	v_lshrrev_b32_e32 v42, 3, v17
	v_cmp_gt_u32_e64 s[2:3], 8, v17
	v_ffbh_u32_e32 v17, v19
	v_min_u32_e32 v43, 32, v17
	v_subrev_u32_e32 v17, 28, v43
	v_lshlrev_b64 v[17:18], v17, v[9:10]
	v_sub_u32_e32 v18, 29, v43
	v_and_b32_e32 v17, 7, v17
	v_cndmask_b32_e64 v18, v42, v18, s[2:3]
	v_cndmask_b32_e64 v17, v19, v17, s[2:3]
	v_lshlrev_b32_e32 v9, 24, v9
	v_lshlrev_b32_e32 v17, 20, v17
	v_and_b32_e32 v9, 0x80000000, v9
	v_lshl_add_u32 v18, v18, 23, v52
	v_or3_b32 v42, v9, v18, v17
.LBB315_700:                            ;   in Loop: Header=BB315_403 Depth=1
	s_or_b64 exec, exec, s[28:29]
.LBB315_701:                            ;   in Loop: Header=BB315_403 Depth=1
	s_or_b64 exec, exec, s[22:23]
.LBB315_702:                            ;   in Loop: Header=BB315_403 Depth=1
	s_or_b64 exec, exec, s[20:21]
	v_mul_f32_e32 v9, s43, v34
	v_bfe_u32 v17, v9, 16, 1
	v_add3_u32 v17, v17, v9, s41
	v_or_b32_e32 v18, 0x400000, v9
	v_cmp_u_f32_e64 s[2:3], v9, v9
	v_cndmask_b32_e64 v9, v17, v18, s[2:3]
	v_lshrrev_b32_e32 v19, 16, v9
	v_mul_f32_e32 v9, s43, v33
	v_bfe_u32 v17, v9, 16, 1
	v_add3_u32 v17, v17, v9, s41
	v_or_b32_e32 v18, 0x400000, v9
	v_cmp_u_f32_e64 s[2:3], v9, v9
	v_cndmask_b32_e64 v9, v17, v18, s[2:3]
	v_lshrrev_b32_e32 v18, 16, v9
	;; [unrolled: 7-line block ×8, first 2 shown]
	s_and_saveexec_b64 s[20:21], s[0:1]
	s_cbranch_execz .LBB315_704
; %bb.703:                              ;   in Loop: Header=BB315_403 Depth=1
	v_cmp_gt_i32_e64 s[2:3], s33, v47
	v_add_u32_e32 v9, 1, v47
	v_cndmask_b32_e64 v43, 0, v43, s[2:3]
	v_cmp_gt_i32_e64 s[2:3], s33, v9
	v_add_u32_e32 v9, 2, v47
	v_cndmask_b32_e64 v44, 0, v44, s[2:3]
	v_cmp_gt_i32_e64 s[2:3], s33, v9
	v_add_u32_e32 v9, 3, v47
	v_cndmask_b32_e64 v40, 0, v40, s[2:3]
	v_cmp_gt_i32_e64 s[2:3], s33, v9
	v_add_u32_e32 v9, 4, v47
	v_cndmask_b32_e64 v41, 0, v41, s[2:3]
	v_cmp_gt_i32_e64 s[2:3], s33, v9
	v_add_u32_e32 v9, 5, v47
	v_cndmask_b32_e64 v18, 0, v18, s[2:3]
	v_cmp_gt_i32_e64 s[2:3], s33, v9
	v_add_u32_e32 v9, 6, v47
	v_cndmask_b32_e64 v19, 0, v19, s[2:3]
	v_cmp_gt_i32_e64 s[2:3], s33, v9
	v_add_u32_e32 v9, 7, v47
	v_cndmask_b32_e64 v39, 0, v39, s[2:3]
	v_cmp_gt_i32_e64 s[2:3], s33, v9
	v_cndmask_b32_e64 v42, 0, v42, s[2:3]
.LBB315_704:                            ;   in Loop: Header=BB315_403 Depth=1
	s_or_b64 exec, exec, s[20:21]
	global_load_dwordx2 v[15:16], v[15:16], off offset:3072
	v_mov_b32_e32 v48, 0
	v_mov_b32_e32 v46, 0
	s_waitcnt vmcnt(0)
	v_cmp_ne_u16_sdwa s[2:3], v15, v10 src0_sel:BYTE_0 src1_sel:DWORD
	s_and_saveexec_b64 s[20:21], s[2:3]
	s_cbranch_execz .LBB315_710
; %bb.705:                              ;   in Loop: Header=BB315_403 Depth=1
	v_cmp_ne_u16_sdwa s[2:3], v15, s39 src0_sel:BYTE_0 src1_sel:DWORD
	v_bfrev_b32_e32 v46, 1
	s_and_saveexec_b64 s[22:23], s[2:3]
	s_cbranch_execz .LBB315_709
; %bb.706:                              ;   in Loop: Header=BB315_403 Depth=1
	v_and_b32_e32 v9, 0x7f, v15
	v_cmp_ne_u32_e64 s[2:3], s40, v9
	v_mov_b32_e32 v46, 0x7f800001
	s_and_saveexec_b64 s[28:29], s[2:3]
	s_cbranch_execz .LBB315_708
; %bb.707:                              ;   in Loop: Header=BB315_403 Depth=1
	v_and_b32_e32 v17, 7, v15
	v_lshrrev_b32_e32 v33, 3, v9
	v_cmp_gt_u32_e64 s[2:3], 8, v9
	v_ffbh_u32_e32 v9, v17
	v_min_u32_e32 v9, 32, v9
	v_subrev_u32_e32 v17, 28, v9
	v_sub_u32_e32 v9, 29, v9
	v_cndmask_b32_e64 v17, 0, v17, s[2:3]
	v_cndmask_b32_e64 v9, v33, v9, s[2:3]
	v_lshlrev_b64 v[33:34], v17, v[15:16]
	v_lshl_add_u32 v9, v9, 23, v52
	v_lshlrev_b32_e32 v17, 20, v33
	v_lshlrev_b32_e32 v33, 24, v15
	v_and_b32_e32 v17, 0x700000, v17
	v_and_b32_e32 v33, 0x80000000, v33
	v_or3_b32 v46, v33, v9, v17
.LBB315_708:                            ;   in Loop: Header=BB315_403 Depth=1
	s_or_b64 exec, exec, s[28:29]
.LBB315_709:                            ;   in Loop: Header=BB315_403 Depth=1
	s_or_b64 exec, exec, s[22:23]
.LBB315_710:                            ;   in Loop: Header=BB315_403 Depth=1
	s_or_b64 exec, exec, s[20:21]
	v_lshrrev_b16_e32 v9, 8, v15
	v_cmp_ne_u16_e64 s[2:3], 0, v9
	s_and_saveexec_b64 s[20:21], s[2:3]
	s_cbranch_execz .LBB315_716
; %bb.711:                              ;   in Loop: Header=BB315_403 Depth=1
	v_cmp_ne_u16_e64 s[2:3], s39, v9
	v_bfrev_b32_e32 v48, 1
	s_and_saveexec_b64 s[22:23], s[2:3]
	s_cbranch_execz .LBB315_715
; %bb.712:                              ;   in Loop: Header=BB315_403 Depth=1
	v_and_b32_e32 v17, 0x7f, v9
	v_cmp_ne_u32_e64 s[2:3], s40, v17
	v_mov_b32_e32 v48, 0x7f800001
	s_and_saveexec_b64 s[28:29], s[2:3]
	s_cbranch_execz .LBB315_714
; %bb.713:                              ;   in Loop: Header=BB315_403 Depth=1
	v_and_b32_e32 v38, 7, v9
	v_lshrrev_b32_e32 v45, 3, v17
	v_cmp_gt_u32_e64 s[2:3], 8, v17
	v_ffbh_u32_e32 v17, v38
	v_min_u32_e32 v17, 32, v17
	v_subrev_u32_e32 v33, 28, v17
	v_lshlrev_b64 v[33:34], v33, v[9:10]
	v_sub_u32_e32 v9, 29, v17
	v_and_b32_e32 v17, 7, v33
	v_cndmask_b32_e64 v9, v45, v9, s[2:3]
	v_cndmask_b32_e64 v17, v38, v17, s[2:3]
	v_lshlrev_b32_e32 v33, 16, v15
	v_lshlrev_b32_e32 v17, 20, v17
	v_and_b32_e32 v33, 0x80000000, v33
	v_lshl_add_u32 v9, v9, 23, v52
	v_or3_b32 v48, v33, v9, v17
.LBB315_714:                            ;   in Loop: Header=BB315_403 Depth=1
	s_or_b64 exec, exec, s[28:29]
.LBB315_715:                            ;   in Loop: Header=BB315_403 Depth=1
	s_or_b64 exec, exec, s[22:23]
.LBB315_716:                            ;   in Loop: Header=BB315_403 Depth=1
	s_or_b64 exec, exec, s[20:21]
	v_lshrrev_b32_e32 v9, 16, v15
	v_cmp_ne_u16_sdwa s[2:3], v9, v10 src0_sel:BYTE_0 src1_sel:DWORD
	v_mov_b32_e32 v38, 0
	v_mov_b32_e32 v45, 0
	s_and_saveexec_b64 s[20:21], s[2:3]
	s_cbranch_execz .LBB315_722
; %bb.717:                              ;   in Loop: Header=BB315_403 Depth=1
	v_cmp_ne_u16_sdwa s[2:3], v9, s39 src0_sel:BYTE_0 src1_sel:DWORD
	v_bfrev_b32_e32 v45, 1
	s_and_saveexec_b64 s[22:23], s[2:3]
	s_cbranch_execz .LBB315_721
; %bb.718:                              ;   in Loop: Header=BB315_403 Depth=1
	v_bfe_u32 v17, v15, 16, 7
	v_cmp_ne_u32_e64 s[2:3], s40, v17
	v_mov_b32_e32 v45, 0x7f800001
	s_and_saveexec_b64 s[28:29], s[2:3]
	s_cbranch_execz .LBB315_720
; %bb.719:                              ;   in Loop: Header=BB315_403 Depth=1
	v_and_b32_e32 v45, 7, v9
	v_lshrrev_b32_e32 v49, 3, v17
	v_cmp_gt_u32_e64 s[2:3], 8, v17
	v_ffbh_u32_e32 v17, v45
	v_min_u32_e32 v17, 32, v17
	v_subrev_u32_e32 v33, 28, v17
	v_lshlrev_b64 v[33:34], v33, v[9:10]
	v_sub_u32_e32 v17, 29, v17
	v_and_b32_e32 v33, 7, v33
	v_cndmask_b32_e64 v17, v49, v17, s[2:3]
	v_cndmask_b32_e64 v33, v45, v33, s[2:3]
	v_lshlrev_b32_e32 v9, 24, v9
	v_lshlrev_b32_e32 v33, 20, v33
	v_and_b32_e32 v9, 0x80000000, v9
	v_lshl_add_u32 v17, v17, 23, v52
	v_or3_b32 v45, v9, v17, v33
.LBB315_720:                            ;   in Loop: Header=BB315_403 Depth=1
	s_or_b64 exec, exec, s[28:29]
.LBB315_721:                            ;   in Loop: Header=BB315_403 Depth=1
	s_or_b64 exec, exec, s[22:23]
.LBB315_722:                            ;   in Loop: Header=BB315_403 Depth=1
	s_or_b64 exec, exec, s[20:21]
	v_cmp_lt_u32_e64 s[2:3], s13, v15
	s_and_saveexec_b64 s[20:21], s[2:3]
	s_cbranch_execz .LBB315_728
; %bb.723:                              ;   in Loop: Header=BB315_403 Depth=1
	v_lshrrev_b32_e32 v9, 24, v15
	v_cmp_ne_u32_e64 s[2:3], s39, v9
	v_bfrev_b32_e32 v38, 1
	s_and_saveexec_b64 s[22:23], s[2:3]
	s_cbranch_execz .LBB315_727
; %bb.724:                              ;   in Loop: Header=BB315_403 Depth=1
	v_bfe_u32 v17, v15, 24, 7
	v_cmp_ne_u32_e64 s[2:3], s40, v17
	v_mov_b32_e32 v38, 0x7f800001
	s_and_saveexec_b64 s[28:29], s[2:3]
	s_cbranch_execz .LBB315_726
; %bb.725:                              ;   in Loop: Header=BB315_403 Depth=1
	v_and_b32_e32 v38, 7, v9
	v_lshrrev_b32_e32 v49, 3, v17
	v_cmp_gt_u32_e64 s[2:3], 8, v17
	v_ffbh_u32_e32 v17, v38
	v_min_u32_e32 v17, 32, v17
	v_subrev_u32_e32 v33, 28, v17
	v_lshlrev_b64 v[33:34], v33, v[9:10]
	v_sub_u32_e32 v17, 29, v17
	v_and_b32_e32 v33, 7, v33
	v_cndmask_b32_e64 v17, v49, v17, s[2:3]
	v_cndmask_b32_e64 v33, v38, v33, s[2:3]
	v_lshlrev_b32_e32 v9, 24, v9
	v_lshlrev_b32_e32 v33, 20, v33
	v_and_b32_e32 v9, 0x80000000, v9
	v_lshl_add_u32 v17, v17, 23, v52
	v_or3_b32 v38, v9, v17, v33
.LBB315_726:                            ;   in Loop: Header=BB315_403 Depth=1
	s_or_b64 exec, exec, s[28:29]
.LBB315_727:                            ;   in Loop: Header=BB315_403 Depth=1
	s_or_b64 exec, exec, s[22:23]
.LBB315_728:                            ;   in Loop: Header=BB315_403 Depth=1
	s_or_b64 exec, exec, s[20:21]
	v_mov_b32_e32 v9, v16
	v_cmp_ne_u16_sdwa s[2:3], v16, v10 src0_sel:BYTE_0 src1_sel:DWORD
	v_mov_b32_e32 v34, 0
	v_mov_b32_e32 v33, 0
	s_and_saveexec_b64 s[20:21], s[2:3]
	s_cbranch_execz .LBB315_734
; %bb.729:                              ;   in Loop: Header=BB315_403 Depth=1
	v_cmp_ne_u16_sdwa s[2:3], v16, s39 src0_sel:BYTE_0 src1_sel:DWORD
	v_bfrev_b32_e32 v33, 1
	s_and_saveexec_b64 s[22:23], s[2:3]
	s_cbranch_execz .LBB315_733
; %bb.730:                              ;   in Loop: Header=BB315_403 Depth=1
	v_and_b32_e32 v17, 0x7f, v16
	v_cmp_ne_u32_e64 s[2:3], s40, v17
	v_mov_b32_e32 v33, 0x7f800001
	s_and_saveexec_b64 s[28:29], s[2:3]
	s_cbranch_execz .LBB315_732
; %bb.731:                              ;   in Loop: Header=BB315_403 Depth=1
	v_and_b32_e32 v33, 7, v16
	v_lshrrev_b32_e32 v49, 3, v17
	v_cmp_gt_u32_e64 s[2:3], 8, v17
	v_ffbh_u32_e32 v17, v33
	v_min_u32_e32 v17, 32, v17
	v_subrev_u32_e32 v33, 28, v17
	v_sub_u32_e32 v17, 29, v17
	v_cndmask_b32_e64 v33, 0, v33, s[2:3]
	v_cndmask_b32_e64 v17, v49, v17, s[2:3]
	v_lshlrev_b64 v[49:50], v33, v[9:10]
	v_lshl_add_u32 v17, v17, 23, v52
	v_lshlrev_b32_e32 v33, 20, v49
	v_lshlrev_b32_e32 v49, 24, v9
	v_and_b32_e32 v33, 0x700000, v33
	v_and_b32_e32 v49, 0x80000000, v49
	v_or3_b32 v33, v49, v17, v33
.LBB315_732:                            ;   in Loop: Header=BB315_403 Depth=1
	s_or_b64 exec, exec, s[28:29]
.LBB315_733:                            ;   in Loop: Header=BB315_403 Depth=1
	s_or_b64 exec, exec, s[22:23]
.LBB315_734:                            ;   in Loop: Header=BB315_403 Depth=1
	s_or_b64 exec, exec, s[20:21]
	v_lshrrev_b16_e32 v17, 8, v9
	v_cmp_ne_u16_e64 s[2:3], 0, v17
	s_and_saveexec_b64 s[20:21], s[2:3]
	s_cbranch_execz .LBB315_740
; %bb.735:                              ;   in Loop: Header=BB315_403 Depth=1
	v_cmp_ne_u16_e64 s[2:3], s39, v17
	v_bfrev_b32_e32 v34, 1
	s_and_saveexec_b64 s[22:23], s[2:3]
	s_cbranch_execz .LBB315_739
; %bb.736:                              ;   in Loop: Header=BB315_403 Depth=1
	v_and_b32_e32 v49, 0x7f, v17
	v_cmp_ne_u32_e64 s[2:3], s40, v49
	v_mov_b32_e32 v34, 0x7f800001
	s_and_saveexec_b64 s[28:29], s[2:3]
	s_cbranch_execz .LBB315_738
; %bb.737:                              ;   in Loop: Header=BB315_403 Depth=1
	v_and_b32_e32 v34, 7, v17
	v_lshrrev_b32_e32 v51, 3, v49
	v_cmp_gt_u32_e64 s[2:3], 8, v49
	v_ffbh_u32_e32 v49, v34
	v_min_u32_e32 v52, 32, v49
	v_subrev_u32_e32 v49, 28, v52
	v_lshlrev_b64 v[49:50], v49, v[17:18]
	v_sub_u32_e32 v17, 29, v52
	v_and_b32_e32 v49, 7, v49
	v_bfrev_b32_e32 v52, 60
	v_cndmask_b32_e64 v17, v51, v17, s[2:3]
	v_cndmask_b32_e64 v34, v34, v49, s[2:3]
	v_lshlrev_b32_e32 v9, 16, v9
	v_lshlrev_b32_e32 v34, 20, v34
	v_and_b32_e32 v9, 0x80000000, v9
	v_lshl_add_u32 v17, v17, 23, v52
	v_or3_b32 v34, v9, v17, v34
.LBB315_738:                            ;   in Loop: Header=BB315_403 Depth=1
	s_or_b64 exec, exec, s[28:29]
.LBB315_739:                            ;   in Loop: Header=BB315_403 Depth=1
	s_or_b64 exec, exec, s[22:23]
.LBB315_740:                            ;   in Loop: Header=BB315_403 Depth=1
	s_or_b64 exec, exec, s[20:21]
	v_lshrrev_b32_e32 v9, 16, v16
	v_cmp_ne_u16_sdwa s[2:3], v9, v10 src0_sel:BYTE_0 src1_sel:DWORD
	v_mov_b32_e32 v50, 0
	v_mov_b32_e32 v17, 0
	s_and_saveexec_b64 s[20:21], s[2:3]
	s_cbranch_execz .LBB315_746
; %bb.741:                              ;   in Loop: Header=BB315_403 Depth=1
	v_cmp_ne_u16_sdwa s[2:3], v9, s39 src0_sel:BYTE_0 src1_sel:DWORD
	v_bfrev_b32_e32 v17, 1
	s_and_saveexec_b64 s[22:23], s[2:3]
	s_cbranch_execz .LBB315_745
; %bb.742:                              ;   in Loop: Header=BB315_403 Depth=1
	v_bfe_u32 v49, v16, 16, 7
	v_cmp_ne_u32_e64 s[2:3], s40, v49
	v_mov_b32_e32 v17, 0x7f800001
	s_and_saveexec_b64 s[28:29], s[2:3]
	s_cbranch_execz .LBB315_744
; %bb.743:                              ;   in Loop: Header=BB315_403 Depth=1
	v_and_b32_e32 v17, 7, v9
	v_lshrrev_b32_e32 v53, 3, v49
	v_cmp_gt_u32_e64 s[2:3], 8, v49
	v_ffbh_u32_e32 v49, v17
	v_min_u32_e32 v49, 32, v49
	v_subrev_u32_e32 v51, 28, v49
	v_sub_u32_e32 v49, 29, v49
	v_cndmask_b32_e64 v49, v53, v49, s[2:3]
	buffer_load_dword v53, off, s[60:63], 0 offset:148 ; 4-byte Folded Reload
	v_lshlrev_b64 v[51:52], v51, v[9:10]
	v_bfrev_b32_e32 v52, 60
	v_and_b32_e32 v51, 7, v51
	v_cndmask_b32_e64 v17, v17, v51, s[2:3]
	v_lshlrev_b32_e32 v9, 24, v9
	v_lshlrev_b32_e32 v17, 20, v17
	v_and_b32_e32 v9, 0x80000000, v9
	v_lshl_add_u32 v49, v49, 23, v52
	v_or3_b32 v17, v9, v49, v17
.LBB315_744:                            ;   in Loop: Header=BB315_403 Depth=1
	s_or_b64 exec, exec, s[28:29]
.LBB315_745:                            ;   in Loop: Header=BB315_403 Depth=1
	s_or_b64 exec, exec, s[22:23]
.LBB315_746:                            ;   in Loop: Header=BB315_403 Depth=1
	s_or_b64 exec, exec, s[20:21]
	v_cmp_lt_u64_e64 s[2:3], s[12:13], v[15:16]
	s_and_saveexec_b64 s[20:21], s[2:3]
	s_cbranch_execz .LBB315_752
; %bb.747:                              ;   in Loop: Header=BB315_403 Depth=1
	v_lshrrev_b32_e32 v9, 24, v16
	v_cmp_ne_u32_e64 s[2:3], s39, v9
	v_bfrev_b32_e32 v50, 1
	s_and_saveexec_b64 s[22:23], s[2:3]
	s_cbranch_execz .LBB315_751
; %bb.748:                              ;   in Loop: Header=BB315_403 Depth=1
	v_bfe_u32 v15, v16, 24, 7
	v_cmp_ne_u32_e64 s[2:3], s40, v15
	v_mov_b32_e32 v50, 0x7f800001
	s_and_saveexec_b64 s[28:29], s[2:3]
	s_cbranch_execz .LBB315_750
; %bb.749:                              ;   in Loop: Header=BB315_403 Depth=1
	v_and_b32_e32 v49, 7, v9
	v_lshrrev_b32_e32 v50, 3, v15
	v_cmp_gt_u32_e64 s[2:3], 8, v15
	v_ffbh_u32_e32 v15, v49
	v_min_u32_e32 v51, 32, v15
	v_subrev_u32_e32 v15, 28, v51
	v_lshlrev_b64 v[15:16], v15, v[9:10]
	v_sub_u32_e32 v16, 29, v51
	v_and_b32_e32 v15, 7, v15
	v_cndmask_b32_e64 v16, v50, v16, s[2:3]
	v_cndmask_b32_e64 v15, v49, v15, s[2:3]
	v_lshlrev_b32_e32 v9, 24, v9
	v_lshlrev_b32_e32 v15, 20, v15
	v_and_b32_e32 v9, 0x80000000, v9
	v_lshl_add_u32 v16, v16, 23, v52
	v_or3_b32 v50, v9, v16, v15
.LBB315_750:                            ;   in Loop: Header=BB315_403 Depth=1
	s_or_b64 exec, exec, s[28:29]
.LBB315_751:                            ;   in Loop: Header=BB315_403 Depth=1
	s_or_b64 exec, exec, s[22:23]
.LBB315_752:                            ;   in Loop: Header=BB315_403 Depth=1
	s_or_b64 exec, exec, s[20:21]
	v_mul_f32_e32 v9, s43, v34
	v_bfe_u32 v15, v9, 16, 1
	v_add3_u32 v15, v15, v9, s41
	v_or_b32_e32 v16, 0x400000, v9
	v_cmp_u_f32_e64 s[2:3], v9, v9
	v_cndmask_b32_e64 v9, v15, v16, s[2:3]
	v_lshrrev_b32_e32 v16, 16, v9
	v_mul_f32_e32 v9, s43, v33
	v_bfe_u32 v15, v9, 16, 1
	v_add3_u32 v15, v15, v9, s41
	v_or_b32_e32 v33, 0x400000, v9
	v_cmp_u_f32_e64 s[2:3], v9, v9
	v_cndmask_b32_e64 v9, v15, v33, s[2:3]
	v_lshrrev_b32_e32 v15, 16, v9
	;; [unrolled: 7-line block ×8, first 2 shown]
	s_and_saveexec_b64 s[20:21], s[0:1]
	s_cbranch_execz .LBB315_754
; %bb.753:                              ;   in Loop: Header=BB315_403 Depth=1
	v_cmp_gt_i32_e64 s[2:3], s33, v47
	v_add_u32_e32 v9, 1, v47
	v_cndmask_b32_e64 v48, 0, v48, s[2:3]
	v_cmp_gt_i32_e64 s[2:3], s33, v9
	v_add_u32_e32 v9, 2, v47
	v_cndmask_b32_e64 v49, 0, v49, s[2:3]
	;; [unrolled: 3-line block ×7, first 2 shown]
	v_cmp_gt_i32_e64 s[2:3], s33, v9
	v_cndmask_b32_e64 v46, 0, v46, s[2:3]
.LBB315_754:                            ;   in Loop: Header=BB315_403 Depth=1
	s_or_b64 exec, exec, s[20:21]
	v_bfe_u32 v9, v5, 16, 1
	v_add3_u32 v9, v9, v5, s41
	v_or_b32_e32 v33, 0x400000, v5
	v_cmp_u_f32_e64 s[2:3], v5, v5
	v_cndmask_b32_e64 v5, v9, v33, s[2:3]
	v_bfe_u32 v9, v6, 16, 1
	v_add3_u32 v9, v9, v6, s41
	v_or_b32_e32 v33, 0x400000, v6
	v_cmp_u_f32_e64 s[2:3], v6, v6
	v_cndmask_b32_e64 v6, v9, v33, s[2:3]
	v_bfe_u32 v9, v7, 16, 1
	v_add3_u32 v9, v9, v7, s41
	v_or_b32_e32 v33, 0x400000, v7
	v_cmp_u_f32_e64 s[2:3], v7, v7
	v_bfe_u32 v7, v8, 16, 1
	v_cndmask_b32_e64 v9, v9, v33, s[2:3]
	v_add3_u32 v7, v7, v8, s41
	v_or_b32_e32 v33, 0x400000, v8
	v_cmp_u_f32_e64 s[2:3], v8, v8
	v_cndmask_b32_e64 v8, v7, v33, s[2:3]
	v_bfe_u32 v7, v1, 16, 1
	v_add3_u32 v7, v7, v1, s41
	v_or_b32_e32 v33, 0x400000, v1
	v_cmp_u_f32_e64 s[2:3], v1, v1
	v_cndmask_b32_e64 v1, v7, v33, s[2:3]
	v_bfe_u32 v7, v2, 16, 1
	;; [unrolled: 5-line block ×4, first 2 shown]
	v_add3_u32 v7, v7, v4, s41
	v_or_b32_e32 v33, 0x400000, v4
	v_cmp_u_f32_e64 s[2:3], v4, v4
	v_cndmask_b32_e64 v4, v7, v33, s[2:3]
	v_perm_b32 v7, v6, v5, s42
	v_perm_b32 v6, v8, v9, s42
	v_perm_b32 v5, v2, v1, s42
	v_perm_b32 v4, v4, v3, s42
	s_and_saveexec_b64 s[20:21], vcc
	s_cbranch_execz .LBB315_401
; %bb.755:                              ;   in Loop: Header=BB315_403 Depth=1
	v_mov_b32_e32 v22, v0
	buffer_load_dword v0, off, s[60:63], 0 offset:144 ; 4-byte Folded Reload
	v_mov_b32_e32 v8, 0
	s_waitcnt vmcnt(0)
	v_add_co_u32_e64 v1, s[2:3], v13, v0
	v_addc_co_u32_e64 v2, s[2:3], 0, v14, s[2:3]
	global_load_dwordx2 v[1:2], v[1:2], off
	v_mov_b32_e32 v13, 0
	s_waitcnt vmcnt(0)
	v_cmp_ne_u16_sdwa s[2:3], v1, v10 src0_sel:BYTE_0 src1_sel:DWORD
	s_and_saveexec_b64 s[22:23], s[2:3]
	s_cbranch_execz .LBB315_761
; %bb.756:                              ;   in Loop: Header=BB315_403 Depth=1
	v_cmp_ne_u16_sdwa s[2:3], v1, s39 src0_sel:BYTE_0 src1_sel:DWORD
	v_bfrev_b32_e32 v8, 1
	s_and_saveexec_b64 s[28:29], s[2:3]
	s_cbranch_execz .LBB315_760
; %bb.757:                              ;   in Loop: Header=BB315_403 Depth=1
	v_and_b32_e32 v3, 0x7f, v1
	v_cmp_ne_u32_e64 s[2:3], s40, v3
	v_mov_b32_e32 v8, 0x7f800001
	s_and_saveexec_b64 s[30:31], s[2:3]
	s_cbranch_execz .LBB315_759
; %bb.758:                              ;   in Loop: Header=BB315_403 Depth=1
	v_and_b32_e32 v8, 7, v1
	v_lshrrev_b32_e32 v9, 3, v3
	v_cmp_gt_u32_e64 s[2:3], 8, v3
	v_ffbh_u32_e32 v3, v8
	v_min_u32_e32 v3, 32, v3
	v_subrev_u32_e32 v8, 28, v3
	v_sub_u32_e32 v3, 29, v3
	v_cndmask_b32_e64 v8, 0, v8, s[2:3]
	v_cndmask_b32_e64 v3, v9, v3, s[2:3]
	v_lshlrev_b64 v[8:9], v8, v[1:2]
	v_lshlrev_b32_e32 v9, 24, v1
	v_lshlrev_b32_e32 v8, 20, v8
	v_and_b32_e32 v8, 0x700000, v8
	v_and_b32_e32 v9, 0x80000000, v9
	v_lshl_add_u32 v3, v3, 23, v52
	v_or3_b32 v8, v9, v3, v8
.LBB315_759:                            ;   in Loop: Header=BB315_403 Depth=1
	s_or_b64 exec, exec, s[30:31]
.LBB315_760:                            ;   in Loop: Header=BB315_403 Depth=1
	s_or_b64 exec, exec, s[28:29]
.LBB315_761:                            ;   in Loop: Header=BB315_403 Depth=1
	s_or_b64 exec, exec, s[22:23]
	v_lshrrev_b16_e32 v3, 8, v1
	v_cmp_ne_u16_e64 s[2:3], 0, v3
	s_mov_b64 s[22:23], exec
	s_and_b64 s[2:3], s[22:23], s[2:3]
	v_mov_b32_e32 v0, v22
	s_mov_b64 exec, s[2:3]
	s_cbranch_execz .LBB315_767
; %bb.762:                              ;   in Loop: Header=BB315_403 Depth=1
	v_cmp_ne_u16_e64 s[2:3], s39, v3
	v_bfrev_b32_e32 v13, 1
	s_and_saveexec_b64 s[28:29], s[2:3]
	s_cbranch_execz .LBB315_766
; %bb.763:                              ;   in Loop: Header=BB315_403 Depth=1
	v_and_b32_e32 v9, 0x7f, v3
	v_cmp_ne_u32_e64 s[2:3], s40, v9
	v_mov_b32_e32 v13, 0x7f800001
	s_and_saveexec_b64 s[30:31], s[2:3]
	s_cbranch_execz .LBB315_765
; %bb.764:                              ;   in Loop: Header=BB315_403 Depth=1
	v_and_b32_e32 v33, 7, v3
	v_lshrrev_b32_e32 v34, 3, v9
	v_cmp_gt_u32_e64 s[2:3], 8, v9
	v_ffbh_u32_e32 v9, v33
	v_min_u32_e32 v9, 32, v9
	v_subrev_u32_e32 v13, 28, v9
	v_lshlrev_b64 v[13:14], v13, v[3:4]
	v_sub_u32_e32 v3, 29, v9
	v_and_b32_e32 v9, 7, v13
	v_cndmask_b32_e64 v3, v34, v3, s[2:3]
	v_cndmask_b32_e64 v9, v33, v9, s[2:3]
	v_lshlrev_b32_e32 v13, 16, v1
	v_lshlrev_b32_e32 v9, 20, v9
	v_and_b32_e32 v13, 0x80000000, v13
	v_lshl_add_u32 v3, v3, 23, v52
	v_or3_b32 v13, v13, v3, v9
.LBB315_765:                            ;   in Loop: Header=BB315_403 Depth=1
	s_or_b64 exec, exec, s[30:31]
.LBB315_766:                            ;   in Loop: Header=BB315_403 Depth=1
	s_or_b64 exec, exec, s[28:29]
.LBB315_767:                            ;   in Loop: Header=BB315_403 Depth=1
	s_or_b64 exec, exec, s[22:23]
	v_lshrrev_b32_e32 v3, 16, v1
	v_cmp_ne_u16_sdwa s[2:3], v3, v10 src0_sel:BYTE_0 src1_sel:DWORD
	v_mov_b32_e32 v50, 0
	v_mov_b32_e32 v14, 0
	s_and_saveexec_b64 s[22:23], s[2:3]
	s_cbranch_execz .LBB315_773
; %bb.768:                              ;   in Loop: Header=BB315_403 Depth=1
	v_cmp_ne_u16_sdwa s[2:3], v3, s39 src0_sel:BYTE_0 src1_sel:DWORD
	v_bfrev_b32_e32 v14, 1
	s_and_saveexec_b64 s[28:29], s[2:3]
	s_cbranch_execz .LBB315_772
; %bb.769:                              ;   in Loop: Header=BB315_403 Depth=1
	v_bfe_u32 v9, v1, 16, 7
	v_cmp_ne_u32_e64 s[2:3], s40, v9
	v_mov_b32_e32 v14, 0x7f800001
	s_and_saveexec_b64 s[30:31], s[2:3]
	s_cbranch_execz .LBB315_771
; %bb.770:                              ;   in Loop: Header=BB315_403 Depth=1
	v_and_b32_e32 v14, 7, v3
	v_lshrrev_b32_e32 v51, 3, v9
	v_cmp_gt_u32_e64 s[2:3], 8, v9
	v_ffbh_u32_e32 v9, v14
	v_min_u32_e32 v9, 32, v9
	v_subrev_u32_e32 v33, 28, v9
	v_lshlrev_b64 v[33:34], v33, v[3:4]
	v_sub_u32_e32 v9, 29, v9
	v_and_b32_e32 v33, 7, v33
	v_cndmask_b32_e64 v9, v51, v9, s[2:3]
	v_cndmask_b32_e64 v14, v14, v33, s[2:3]
	v_lshlrev_b32_e32 v3, 24, v3
	v_lshlrev_b32_e32 v14, 20, v14
	v_and_b32_e32 v3, 0x80000000, v3
	v_lshl_add_u32 v9, v9, 23, v52
	v_or3_b32 v14, v3, v9, v14
.LBB315_771:                            ;   in Loop: Header=BB315_403 Depth=1
	s_or_b64 exec, exec, s[30:31]
.LBB315_772:                            ;   in Loop: Header=BB315_403 Depth=1
	s_or_b64 exec, exec, s[28:29]
.LBB315_773:                            ;   in Loop: Header=BB315_403 Depth=1
	s_or_b64 exec, exec, s[22:23]
	v_cmp_lt_u32_e64 s[2:3], s13, v1
	s_and_saveexec_b64 s[22:23], s[2:3]
	s_cbranch_execz .LBB315_779
; %bb.774:                              ;   in Loop: Header=BB315_403 Depth=1
	v_lshrrev_b32_e32 v3, 24, v1
	v_cmp_ne_u32_e64 s[2:3], s39, v3
	v_bfrev_b32_e32 v50, 1
	s_and_saveexec_b64 s[28:29], s[2:3]
	s_cbranch_execz .LBB315_778
; %bb.775:                              ;   in Loop: Header=BB315_403 Depth=1
	v_bfe_u32 v9, v1, 24, 7
	v_cmp_ne_u32_e64 s[2:3], s40, v9
	v_mov_b32_e32 v50, 0x7f800001
	s_and_saveexec_b64 s[30:31], s[2:3]
	s_cbranch_execz .LBB315_777
; %bb.776:                              ;   in Loop: Header=BB315_403 Depth=1
	v_and_b32_e32 v50, 7, v3
	v_lshrrev_b32_e32 v51, 3, v9
	v_cmp_gt_u32_e64 s[2:3], 8, v9
	v_ffbh_u32_e32 v9, v50
	v_min_u32_e32 v9, 32, v9
	v_subrev_u32_e32 v33, 28, v9
	v_lshlrev_b64 v[33:34], v33, v[3:4]
	v_sub_u32_e32 v9, 29, v9
	v_and_b32_e32 v33, 7, v33
	v_cndmask_b32_e64 v9, v51, v9, s[2:3]
	v_cndmask_b32_e64 v33, v50, v33, s[2:3]
	v_lshlrev_b32_e32 v3, 24, v3
	v_lshlrev_b32_e32 v33, 20, v33
	v_and_b32_e32 v3, 0x80000000, v3
	v_lshl_add_u32 v9, v9, 23, v52
	v_or3_b32 v50, v3, v9, v33
.LBB315_777:                            ;   in Loop: Header=BB315_403 Depth=1
	s_or_b64 exec, exec, s[30:31]
.LBB315_778:                            ;   in Loop: Header=BB315_403 Depth=1
	s_or_b64 exec, exec, s[28:29]
.LBB315_779:                            ;   in Loop: Header=BB315_403 Depth=1
	s_or_b64 exec, exec, s[22:23]
	v_mov_b32_e32 v9, v2
	v_cmp_ne_u16_sdwa s[2:3], v2, v10 src0_sel:BYTE_0 src1_sel:DWORD
	v_mov_b32_e32 v34, 0
	v_mov_b32_e32 v33, 0
	s_and_saveexec_b64 s[22:23], s[2:3]
	s_cbranch_execz .LBB315_785
; %bb.780:                              ;   in Loop: Header=BB315_403 Depth=1
	v_cmp_ne_u16_sdwa s[2:3], v2, s39 src0_sel:BYTE_0 src1_sel:DWORD
	v_bfrev_b32_e32 v33, 1
	s_and_saveexec_b64 s[28:29], s[2:3]
	s_cbranch_execz .LBB315_784
; %bb.781:                              ;   in Loop: Header=BB315_403 Depth=1
	v_and_b32_e32 v3, 0x7f, v2
	v_cmp_ne_u32_e64 s[2:3], s40, v3
	v_mov_b32_e32 v33, 0x7f800001
	s_and_saveexec_b64 s[30:31], s[2:3]
	s_cbranch_execz .LBB315_783
; %bb.782:                              ;   in Loop: Header=BB315_403 Depth=1
	v_and_b32_e32 v33, 7, v2
	v_lshrrev_b32_e32 v51, 3, v3
	v_cmp_gt_u32_e64 s[2:3], 8, v3
	v_ffbh_u32_e32 v3, v33
	v_min_u32_e32 v3, 32, v3
	v_subrev_u32_e32 v33, 28, v3
	v_sub_u32_e32 v3, 29, v3
	v_cndmask_b32_e64 v33, 0, v33, s[2:3]
	v_cndmask_b32_e64 v3, v51, v3, s[2:3]
	v_lshlrev_b64 v[51:52], v33, v[9:10]
	v_bfrev_b32_e32 v52, 60
	v_lshlrev_b32_e32 v33, 20, v51
	v_lshlrev_b32_e32 v51, 24, v9
	v_and_b32_e32 v33, 0x700000, v33
	v_and_b32_e32 v51, 0x80000000, v51
	v_lshl_add_u32 v3, v3, 23, v52
	v_or3_b32 v33, v51, v3, v33
.LBB315_783:                            ;   in Loop: Header=BB315_403 Depth=1
	s_or_b64 exec, exec, s[30:31]
.LBB315_784:                            ;   in Loop: Header=BB315_403 Depth=1
	s_or_b64 exec, exec, s[28:29]
.LBB315_785:                            ;   in Loop: Header=BB315_403 Depth=1
	s_or_b64 exec, exec, s[22:23]
	v_lshrrev_b16_e32 v3, 8, v9
	v_cmp_ne_u16_e64 s[2:3], 0, v3
	s_and_saveexec_b64 s[22:23], s[2:3]
	s_cbranch_execz .LBB315_791
; %bb.786:                              ;   in Loop: Header=BB315_403 Depth=1
	v_cmp_ne_u16_e64 s[2:3], s39, v3
	v_bfrev_b32_e32 v34, 1
	s_and_saveexec_b64 s[28:29], s[2:3]
	s_cbranch_execz .LBB315_790
; %bb.787:                              ;   in Loop: Header=BB315_403 Depth=1
	v_and_b32_e32 v51, 0x7f, v3
	v_cmp_ne_u32_e64 s[2:3], s40, v51
	v_mov_b32_e32 v34, 0x7f800001
	s_and_saveexec_b64 s[30:31], s[2:3]
	s_cbranch_execz .LBB315_789
; %bb.788:                              ;   in Loop: Header=BB315_403 Depth=1
	v_and_b32_e32 v34, 7, v3
	v_lshrrev_b32_e32 v53, 3, v51
	v_cmp_gt_u32_e64 s[2:3], 8, v51
	v_ffbh_u32_e32 v51, v34
	v_mov_b32_e32 v0, v54
	v_min_u32_e32 v54, 32, v51
	v_subrev_u32_e32 v51, 28, v54
	v_lshlrev_b64 v[51:52], v51, v[3:4]
	v_sub_u32_e32 v3, 29, v54
	v_cndmask_b32_e64 v3, v53, v3, s[2:3]
	buffer_load_dword v53, off, s[60:63], 0 offset:148 ; 4-byte Folded Reload
	v_and_b32_e32 v51, 7, v51
	v_bfrev_b32_e32 v52, 60
	v_cndmask_b32_e64 v34, v34, v51, s[2:3]
	v_lshlrev_b32_e32 v9, 16, v9
	v_lshlrev_b32_e32 v34, 20, v34
	v_and_b32_e32 v9, 0x80000000, v9
	v_lshl_add_u32 v3, v3, 23, v52
	v_mov_b32_e32 v54, v0
	v_mov_b32_e32 v0, v22
	v_or3_b32 v34, v9, v3, v34
.LBB315_789:                            ;   in Loop: Header=BB315_403 Depth=1
	s_or_b64 exec, exec, s[30:31]
.LBB315_790:                            ;   in Loop: Header=BB315_403 Depth=1
	s_or_b64 exec, exec, s[28:29]
.LBB315_791:                            ;   in Loop: Header=BB315_403 Depth=1
	s_or_b64 exec, exec, s[22:23]
	v_lshrrev_b32_e32 v3, 16, v2
	v_cmp_ne_u16_sdwa s[2:3], v3, v10 src0_sel:BYTE_0 src1_sel:DWORD
	v_mov_b32_e32 v9, 0
	v_mov_b32_e32 v51, 0
	s_and_saveexec_b64 s[22:23], s[2:3]
	s_cbranch_execz .LBB315_797
; %bb.792:                              ;   in Loop: Header=BB315_403 Depth=1
	v_cmp_ne_u16_sdwa s[2:3], v3, s39 src0_sel:BYTE_0 src1_sel:DWORD
	v_bfrev_b32_e32 v51, 1
	s_and_saveexec_b64 s[28:29], s[2:3]
	s_cbranch_execz .LBB315_796
; %bb.793:                              ;   in Loop: Header=BB315_403 Depth=1
	v_bfe_u32 v52, v2, 16, 7
	v_cmp_ne_u32_e64 s[2:3], s40, v52
	v_mov_b32_e32 v51, 0x7f800001
	s_and_saveexec_b64 s[30:31], s[2:3]
	s_cbranch_execz .LBB315_795
; %bb.794:                              ;   in Loop: Header=BB315_403 Depth=1
	s_waitcnt vmcnt(0)
	v_and_b32_e32 v53, 7, v3
	v_ffbh_u32_e32 v51, v53
	v_mov_b32_e32 v0, v63
	v_mov_b32_e32 v63, v62
	;; [unrolled: 1-line block ×9, first 2 shown]
	v_min_u32_e32 v55, 32, v51
	v_subrev_u32_e32 v51, 28, v55
	buffer_store_dword v44, off, s[60:63], 0 offset:164 ; 4-byte Folded Spill
	v_mov_b32_e32 v44, v43
	v_mov_b32_e32 v43, v42
	;; [unrolled: 1-line block ×19, first 2 shown]
	v_lshrrev_b32_e32 v54, 3, v52
	v_cmp_gt_u32_e64 s[2:3], 8, v52
	v_lshlrev_b64 v[51:52], v51, v[3:4]
	v_sub_u32_e32 v52, 29, v55
	v_and_b32_e32 v51, 7, v51
	v_cndmask_b32_e64 v52, v54, v52, s[2:3]
	v_mov_b32_e32 v54, v23
	v_mov_b32_e32 v23, v21
	;; [unrolled: 1-line block ×19, first 2 shown]
	buffer_load_dword v44, off, s[60:63], 0 offset:164 ; 4-byte Folded Reload
	v_cndmask_b32_e64 v51, v53, v51, s[2:3]
	buffer_load_dword v53, off, s[60:63], 0 offset:148 ; 4-byte Folded Reload
	v_mov_b32_e32 v55, v56
	v_mov_b32_e32 v56, v57
	;; [unrolled: 1-line block ×10, first 2 shown]
	v_lshlrev_b32_e32 v3, 24, v3
	v_bfrev_b32_e32 v22, 60
	v_lshlrev_b32_e32 v51, 20, v51
	v_and_b32_e32 v3, 0x80000000, v3
	v_lshl_add_u32 v52, v52, 23, v22
	v_or3_b32 v51, v3, v52, v51
.LBB315_795:                            ;   in Loop: Header=BB315_403 Depth=1
	s_or_b64 exec, exec, s[30:31]
	v_bfrev_b32_e32 v52, 60
.LBB315_796:                            ;   in Loop: Header=BB315_403 Depth=1
	s_or_b64 exec, exec, s[28:29]
.LBB315_797:                            ;   in Loop: Header=BB315_403 Depth=1
	s_or_b64 exec, exec, s[22:23]
	v_cmp_lt_u64_e64 s[2:3], s[12:13], v[1:2]
	s_and_saveexec_b64 s[22:23], s[2:3]
	s_cbranch_execz .LBB315_803
; %bb.798:                              ;   in Loop: Header=BB315_403 Depth=1
	v_lshrrev_b32_e32 v1, 24, v2
	v_cmp_ne_u32_e64 s[2:3], s39, v1
	v_bfrev_b32_e32 v9, 1
	s_and_saveexec_b64 s[28:29], s[2:3]
	s_cbranch_execz .LBB315_802
; %bb.799:                              ;   in Loop: Header=BB315_403 Depth=1
	v_bfe_u32 v2, v2, 24, 7
	v_cmp_ne_u32_e64 s[2:3], s40, v2
	v_mov_b32_e32 v9, 0x7f800001
	s_and_saveexec_b64 s[30:31], s[2:3]
	s_cbranch_execz .LBB315_801
; %bb.800:                              ;   in Loop: Header=BB315_403 Depth=1
	v_and_b32_e32 v9, 7, v1
	v_lshrrev_b32_e32 v52, 3, v2
	v_cmp_gt_u32_e64 s[2:3], 8, v2
	v_ffbh_u32_e32 v2, v9
	s_waitcnt vmcnt(0)
	v_min_u32_e32 v53, 32, v2
	v_subrev_u32_e32 v2, 28, v53
	v_lshlrev_b64 v[2:3], v2, v[1:2]
	v_sub_u32_e32 v3, 29, v53
	buffer_load_dword v53, off, s[60:63], 0 offset:148 ; 4-byte Folded Reload
	v_and_b32_e32 v2, 7, v2
	v_cndmask_b32_e64 v3, v52, v3, s[2:3]
	v_bfrev_b32_e32 v52, 60
	v_cndmask_b32_e64 v2, v9, v2, s[2:3]
	v_lshlrev_b32_e32 v1, 24, v1
	v_lshlrev_b32_e32 v2, 20, v2
	v_and_b32_e32 v1, 0x80000000, v1
	v_lshl_add_u32 v3, v3, 23, v52
	v_or3_b32 v9, v1, v3, v2
.LBB315_801:                            ;   in Loop: Header=BB315_403 Depth=1
	s_or_b64 exec, exec, s[30:31]
.LBB315_802:                            ;   in Loop: Header=BB315_403 Depth=1
	s_or_b64 exec, exec, s[28:29]
.LBB315_803:                            ;   in Loop: Header=BB315_403 Depth=1
	s_or_b64 exec, exec, s[22:23]
	v_mul_f32_e32 v1, s43, v34
	v_bfe_u32 v2, v1, 16, 1
	v_add3_u32 v2, v2, v1, s41
	v_or_b32_e32 v3, 0x400000, v1
	v_cmp_u_f32_e64 s[2:3], v1, v1
	v_cndmask_b32_e64 v1, v2, v3, s[2:3]
	v_mul_f32_e32 v2, s43, v33
	v_bfe_u32 v3, v2, 16, 1
	v_add3_u32 v3, v3, v2, s41
	v_or_b32_e32 v33, 0x400000, v2
	v_cmp_u_f32_e64 s[2:3], v2, v2
	v_cndmask_b32_e64 v2, v3, v33, s[2:3]
	v_mul_f32_e32 v3, s43, v50
	v_bfe_u32 v33, v3, 16, 1
	v_add3_u32 v33, v33, v3, s41
	v_or_b32_e32 v34, 0x400000, v3
	v_cmp_u_f32_e64 s[2:3], v3, v3
	v_mul_f32_e32 v14, s43, v14
	v_cndmask_b32_e64 v3, v33, v34, s[2:3]
	v_bfe_u32 v33, v14, 16, 1
	v_add3_u32 v33, v33, v14, s41
	v_or_b32_e32 v34, 0x400000, v14
	v_cmp_u_f32_e64 s[2:3], v14, v14
	v_mul_f32_e32 v13, s43, v13
	v_cndmask_b32_e64 v14, v33, v34, s[2:3]
	v_bfe_u32 v33, v13, 16, 1
	v_add3_u32 v33, v33, v13, s41
	v_or_b32_e32 v34, 0x400000, v13
	v_cmp_u_f32_e64 s[2:3], v13, v13
	v_cndmask_b32_e64 v13, v33, v34, s[2:3]
	v_mul_f32_e32 v8, s43, v8
	v_lshrrev_b32_e32 v33, 16, v13
	v_bfe_u32 v13, v8, 16, 1
	v_add3_u32 v13, v13, v8, s41
	v_or_b32_e32 v34, 0x400000, v8
	v_cmp_u_f32_e64 s[2:3], v8, v8
	v_cndmask_b32_e64 v8, v13, v34, s[2:3]
	v_lshrrev_b32_e32 v34, 16, v8
	v_mul_f32_e32 v8, s43, v51
	v_bfe_u32 v13, v8, 16, 1
	v_add3_u32 v13, v13, v8, s41
	v_or_b32_e32 v50, 0x400000, v8
	v_cmp_u_f32_e64 s[2:3], v8, v8
	v_cndmask_b32_e64 v8, v13, v50, s[2:3]
	v_lshrrev_b32_e32 v13, 16, v8
	v_mul_f32_e32 v8, s43, v9
	v_bfe_u32 v9, v8, 16, 1
	v_add3_u32 v9, v9, v8, s41
	v_or_b32_e32 v50, 0x400000, v8
	v_cmp_u_f32_e64 s[2:3], v8, v8
	v_cndmask_b32_e64 v8, v9, v50, s[2:3]
	v_lshrrev_b32_e32 v1, 16, v1
	v_lshrrev_b32_e32 v2, 16, v2
	;; [unrolled: 1-line block ×5, first 2 shown]
	s_and_saveexec_b64 s[2:3], s[0:1]
	s_cbranch_execz .LBB315_400
; %bb.804:                              ;   in Loop: Header=BB315_403 Depth=1
	v_cmp_gt_i32_e64 s[0:1], s33, v47
	v_add_u32_e32 v9, 1, v47
	v_cndmask_b32_e64 v34, 0, v34, s[0:1]
	v_cmp_gt_i32_e64 s[0:1], s33, v9
	v_add_u32_e32 v9, 2, v47
	v_cndmask_b32_e64 v33, 0, v33, s[0:1]
	;; [unrolled: 3-line block ×7, first 2 shown]
	v_cmp_gt_i32_e64 s[0:1], s33, v9
	v_cndmask_b32_e64 v8, 0, v8, s[0:1]
	s_branch .LBB315_400
.LBB315_805:
	s_or_b64 exec, exec, s[16:17]
	buffer_load_dword v13, off, s[60:63], 0 offset:152 ; 4-byte Folded Reload
	buffer_load_dword v14, off, s[60:63], 0 offset:156 ; 4-byte Folded Reload
	;; [unrolled: 1-line block ×3, first 2 shown]
.LBB315_806:
	s_or_b64 exec, exec, s[4:5]
	s_waitcnt vmcnt(2)
	ds_bpermute_b32 v1, v13, v54
	ds_bpermute_b32 v2, v13, v62
	;; [unrolled: 1-line block ×4, first 2 shown]
	s_waitcnt lgkmcnt(0)
	v_add_f32_e32 v1, v54, v1
	s_waitcnt vmcnt(1)
	ds_bpermute_b32 v4, v14, v1
	v_add_f32_e32 v2, v62, v2
	ds_bpermute_b32 v5, v14, v2
	v_add_f32_e32 v0, v63, v0
	ds_bpermute_b32 v3, v14, v0
	s_waitcnt lgkmcnt(2)
	v_add_f32_e32 v7, v1, v4
	ds_bpermute_b32 v4, v13, v56
	v_add_f32_e32 v1, v60, v6
	s_waitcnt lgkmcnt(2)
	v_add_f32_e32 v5, v2, v5
	ds_bpermute_b32 v2, v14, v1
	ds_bpermute_b32 v6, v13, v57
	s_waitcnt lgkmcnt(2)
	v_add_f32_e32 v4, v56, v4
	ds_bpermute_b32 v12, v14, v4
	v_add_f32_e32 v8, v0, v3
	ds_bpermute_b32 v0, v13, v59
	ds_bpermute_b32 v3, v13, v58
	s_waitcnt lgkmcnt(3)
	v_add_f32_e32 v13, v57, v6
	v_add_f32_e32 v6, v1, v2
	s_waitcnt lgkmcnt(2)
	v_add_f32_e32 v1, v4, v12
	s_waitcnt vmcnt(0) lgkmcnt(0)
	s_barrier
	buffer_load_dword v4, off, s[60:63], 0 offset:280 ; 4-byte Folded Reload
	v_add_f32_e32 v0, v59, v0
	v_add_f32_e32 v10, v58, v3
	ds_bpermute_b32 v9, v14, v0
	ds_bpermute_b32 v11, v14, v10
	;; [unrolled: 1-line block ×3, first 2 shown]
	v_cmp_eq_u32_e32 vcc, 0, v15
	s_waitcnt lgkmcnt(2)
	v_add_f32_e32 v3, v0, v9
	s_waitcnt lgkmcnt(1)
	v_add_f32_e32 v2, v10, v11
	;; [unrolled: 2-line block ×3, first 2 shown]
	s_waitcnt vmcnt(0)
	v_and_b32_e32 v4, 0x3c0, v4
	v_cmp_eq_u32_e64 s[0:1], 64, v4
	s_and_saveexec_b64 s[2:3], s[0:1]
	s_cbranch_execz .LBB315_811
; %bb.807:
	s_and_saveexec_b64 s[0:1], vcc
	s_cbranch_execz .LBB315_809
; %bb.808:
	v_mov_b32_e32 v4, 0x100
	v_lshl_add_u32 v4, v55, 2, v4
	ds_write2_b32 v4, v8, v7 offset1:16
	ds_write2_b32 v4, v5, v6 offset0:32 offset1:48
	ds_write2_b32 v4, v3, v2 offset0:64 offset1:80
	ds_write_b32 v4, v1 offset:384
.LBB315_809:
	s_or_b64 exec, exec, s[0:1]
	v_or_b32_e32 v4, 0x70, v55
	s_movk_i32 s0, 0x78
	v_cmp_gt_u32_e64 s[0:1], s0, v4
	s_and_b64 s[0:1], vcc, s[0:1]
	s_and_b64 exec, exec, s[0:1]
; %bb.810:
	v_mov_b32_e32 v4, 0x100
	v_lshl_add_u32 v4, v55, 2, v4
	ds_write_b32 v4, v0 offset:448
.LBB315_811:
	s_or_b64 exec, exec, s[2:3]
	buffer_load_dword v4, off, s[60:63], 0 offset:280 ; 4-byte Folded Reload
	s_waitcnt vmcnt(0) lgkmcnt(0)
	s_barrier
	v_cmp_gt_u32_e64 s[0:1], 64, v4
	v_lshrrev_b32_e32 v4, 2, v4
	s_and_saveexec_b64 s[4:5], s[0:1]
	s_cbranch_execz .LBB315_829
; %bb.812:
	s_and_saveexec_b64 s[2:3], vcc
	s_cbranch_execz .LBB315_814
; %bb.813:
	v_mov_b32_e32 v9, 0x100
	v_lshl_add_u32 v9, v4, 2, v9
	ds_read_b32 v9, v9
	s_waitcnt lgkmcnt(0)
	v_add_f32_e32 v8, v8, v9
.LBB315_814:
	s_or_b64 exec, exec, s[2:3]
	v_or_b32_e32 v9, 16, v4
	s_movk_i32 s6, 0x78
	v_cmp_gt_u32_e64 s[2:3], s6, v9
	s_and_b64 s[12:13], vcc, s[2:3]
	s_and_saveexec_b64 s[2:3], s[12:13]
	s_cbranch_execz .LBB315_816
; %bb.815:
	v_mov_b32_e32 v9, 0x100
	v_lshl_add_u32 v9, v4, 2, v9
	ds_read_b32 v9, v9 offset:64
	s_waitcnt lgkmcnt(0)
	v_add_f32_e32 v7, v7, v9
.LBB315_816:
	s_or_b64 exec, exec, s[2:3]
	v_or_b32_e32 v9, 32, v4
	v_cmp_gt_u32_e64 s[2:3], s6, v9
	s_and_b64 s[6:7], vcc, s[2:3]
	s_and_saveexec_b64 s[2:3], s[6:7]
	s_cbranch_execz .LBB315_818
; %bb.817:
	v_mov_b32_e32 v9, 0x100
	v_lshl_add_u32 v9, v4, 2, v9
	ds_read_b32 v9, v9 offset:128
	s_waitcnt lgkmcnt(0)
	v_add_f32_e32 v5, v5, v9
.LBB315_818:
	s_or_b64 exec, exec, s[2:3]
	v_or_b32_e32 v9, 48, v4
	s_movk_i32 s6, 0x78
	v_cmp_gt_u32_e64 s[2:3], s6, v9
	s_and_b64 s[12:13], vcc, s[2:3]
	s_and_saveexec_b64 s[2:3], s[12:13]
	s_cbranch_execz .LBB315_820
; %bb.819:
	v_mov_b32_e32 v9, 0x100
	v_lshl_add_u32 v9, v4, 2, v9
	ds_read_b32 v9, v9 offset:192
	s_waitcnt lgkmcnt(0)
	v_add_f32_e32 v6, v6, v9
.LBB315_820:
	s_or_b64 exec, exec, s[2:3]
	v_or_b32_e32 v9, 64, v4
	v_cmp_gt_u32_e64 s[2:3], s6, v9
	s_and_b64 s[6:7], vcc, s[2:3]
	s_and_saveexec_b64 s[2:3], s[6:7]
	s_cbranch_execz .LBB315_822
; %bb.821:
	v_mov_b32_e32 v9, 0x100
	v_lshl_add_u32 v9, v4, 2, v9
	ds_read_b32 v9, v9 offset:256
	s_waitcnt lgkmcnt(0)
	v_add_f32_e32 v3, v3, v9
.LBB315_822:
	;; [unrolled: 27-line block ×3, first 2 shown]
	s_or_b64 exec, exec, s[2:3]
	v_or_b32_e32 v9, 0x70, v4
	s_movk_i32 s2, 0x78
	v_cmp_gt_u32_e64 s[2:3], s2, v9
	s_and_b64 s[6:7], vcc, s[2:3]
	s_and_saveexec_b64 s[2:3], s[6:7]
	s_cbranch_execz .LBB315_828
; %bb.827:
	v_mov_b32_e32 v9, 0x100
	v_lshl_add_u32 v9, v4, 2, v9
	ds_read_b32 v9, v9 offset:448
	s_waitcnt lgkmcnt(0)
	v_add_f32_e32 v0, v0, v9
.LBB315_828:
	s_or_b64 exec, exec, s[2:3]
.LBB315_829:
	s_or_b64 exec, exec, s[4:5]
	s_barrier
	s_and_saveexec_b64 s[2:3], s[0:1]
	s_cbranch_execz .LBB315_846
; %bb.830:
	s_mul_i32 s0, s10, s11
	s_mul_i32 s0, s0, s9
	s_mulk_i32 s0, 0x78
	s_ashr_i32 s1, s0, 31
	s_lshl_b64 s[0:1], s[0:1], 1
	s_add_u32 s2, s26, s0
	s_mul_i32 s0, s11, s24
	s_addc_u32 s3, s27, s1
	s_ashr_i32 s1, s0, 31
	s_lshl_b64 s[0:1], s[0:1], 1
	s_add_u32 s2, s2, s0
	s_mul_i32 s0, s8, 0x78
	s_addc_u32 s3, s3, s1
	s_ashr_i32 s1, s0, 31
	s_lshl_b64 s[0:1], s[0:1], 1
	s_add_u32 s2, s2, s0
	s_movk_i32 s6, 0x78
	s_addc_u32 s3, s3, s1
	v_lshlrev_b32_e32 v9, 1, v4
	s_and_saveexec_b64 s[4:5], vcc
	s_cbranch_execz .LBB315_832
; %bb.831:
	v_bfe_u32 v10, v8, 16, 1
	s_movk_i32 s0, 0x7fff
	v_add3_u32 v10, v10, v8, s0
	v_or_b32_e32 v11, 0x400000, v8
	v_cmp_u_f32_e64 s[0:1], v8, v8
	v_cndmask_b32_e64 v8, v10, v11, s[0:1]
	global_store_short_d16_hi v9, v8, s[2:3]
.LBB315_832:
	s_or_b64 exec, exec, s[4:5]
	v_or_b32_e32 v8, 16, v4
	v_cmp_gt_u32_e64 s[0:1], s6, v8
	s_and_b64 s[0:1], vcc, s[0:1]
	s_and_saveexec_b64 s[4:5], s[0:1]
	s_cbranch_execz .LBB315_834
; %bb.833:
	v_bfe_u32 v8, v7, 16, 1
	s_movk_i32 s0, 0x7fff
	v_add3_u32 v8, v8, v7, s0
	v_or_b32_e32 v10, 0x400000, v7
	v_cmp_u_f32_e64 s[0:1], v7, v7
	v_cndmask_b32_e64 v7, v8, v10, s[0:1]
	global_store_short_d16_hi v9, v7, s[2:3] offset:32
.LBB315_834:
	s_or_b64 exec, exec, s[4:5]
	v_or_b32_e32 v7, 32, v4
	v_cmp_gt_u32_e64 s[0:1], s6, v7
	s_and_b64 s[0:1], vcc, s[0:1]
	s_and_saveexec_b64 s[4:5], s[0:1]
	s_cbranch_execz .LBB315_836
; %bb.835:
	v_bfe_u32 v7, v5, 16, 1
	s_movk_i32 s0, 0x7fff
	v_add3_u32 v7, v7, v5, s0
	v_or_b32_e32 v8, 0x400000, v5
	v_cmp_u_f32_e64 s[0:1], v5, v5
	v_cndmask_b32_e64 v5, v7, v8, s[0:1]
	global_store_short_d16_hi v9, v5, s[2:3] offset:64
.LBB315_836:
	;; [unrolled: 15-line block ×6, first 2 shown]
	s_or_b64 exec, exec, s[4:5]
	v_or_b32_e32 v1, 0x70, v4
	v_cmp_gt_u32_e64 s[0:1], s6, v1
	s_and_b64 s[0:1], vcc, s[0:1]
	s_and_b64 exec, exec, s[0:1]
	s_cbranch_execz .LBB315_846
; %bb.845:
	v_bfe_u32 v1, v0, 16, 1
	s_movk_i32 s0, 0x7fff
	v_add3_u32 v1, v1, v0, s0
	v_or_b32_e32 v2, 0x400000, v0
	v_cmp_u_f32_e32 vcc, v0, v0
	v_cndmask_b32_e32 v0, v1, v2, vcc
	global_store_short_d16_hi v9, v0, s[2:3] offset:224
.LBB315_846:
	s_endpgm
	.section	.rodata,"a",@progbits
	.p2align	6, 0x0
	.amdhsa_kernel _ZN4vllm25paged_attention_v1_kernelI14__hip_bfloat16hLi120ELi32ELi128ELNS_18Fp8KVCacheDataTypeE1ELb1EEEvPT_PKS3_PKT0_S9_ifPKiSB_iPKfiiiSD_SD_iiiii
		.amdhsa_group_segment_fixed_size 256
		.amdhsa_private_segment_fixed_size 324
		.amdhsa_kernarg_size 384
		.amdhsa_user_sgpr_count 6
		.amdhsa_user_sgpr_private_segment_buffer 1
		.amdhsa_user_sgpr_dispatch_ptr 0
		.amdhsa_user_sgpr_queue_ptr 0
		.amdhsa_user_sgpr_kernarg_segment_ptr 1
		.amdhsa_user_sgpr_dispatch_id 0
		.amdhsa_user_sgpr_flat_scratch_init 0
		.amdhsa_user_sgpr_private_segment_size 0
		.amdhsa_uses_dynamic_stack 0
		.amdhsa_system_sgpr_private_segment_wavefront_offset 1
		.amdhsa_system_sgpr_workgroup_id_x 1
		.amdhsa_system_sgpr_workgroup_id_y 1
		.amdhsa_system_sgpr_workgroup_id_z 1
		.amdhsa_system_sgpr_workgroup_info 0
		.amdhsa_system_vgpr_workitem_id 0
		.amdhsa_next_free_vgpr 64
		.amdhsa_next_free_sgpr 64
		.amdhsa_reserve_vcc 1
		.amdhsa_reserve_flat_scratch 0
		.amdhsa_float_round_mode_32 0
		.amdhsa_float_round_mode_16_64 0
		.amdhsa_float_denorm_mode_32 3
		.amdhsa_float_denorm_mode_16_64 3
		.amdhsa_dx10_clamp 1
		.amdhsa_ieee_mode 1
		.amdhsa_fp16_overflow 0
		.amdhsa_exception_fp_ieee_invalid_op 0
		.amdhsa_exception_fp_denorm_src 0
		.amdhsa_exception_fp_ieee_div_zero 0
		.amdhsa_exception_fp_ieee_overflow 0
		.amdhsa_exception_fp_ieee_underflow 0
		.amdhsa_exception_fp_ieee_inexact 0
		.amdhsa_exception_int_div_zero 0
	.end_amdhsa_kernel
	.section	.text._ZN4vllm25paged_attention_v1_kernelI14__hip_bfloat16hLi120ELi32ELi128ELNS_18Fp8KVCacheDataTypeE1ELb1EEEvPT_PKS3_PKT0_S9_ifPKiSB_iPKfiiiSD_SD_iiiii,"axG",@progbits,_ZN4vllm25paged_attention_v1_kernelI14__hip_bfloat16hLi120ELi32ELi128ELNS_18Fp8KVCacheDataTypeE1ELb1EEEvPT_PKS3_PKT0_S9_ifPKiSB_iPKfiiiSD_SD_iiiii,comdat
.Lfunc_end315:
	.size	_ZN4vllm25paged_attention_v1_kernelI14__hip_bfloat16hLi120ELi32ELi128ELNS_18Fp8KVCacheDataTypeE1ELb1EEEvPT_PKS3_PKT0_S9_ifPKiSB_iPKfiiiSD_SD_iiiii, .Lfunc_end315-_ZN4vllm25paged_attention_v1_kernelI14__hip_bfloat16hLi120ELi32ELi128ELNS_18Fp8KVCacheDataTypeE1ELb1EEEvPT_PKS3_PKT0_S9_ifPKiSB_iPKfiiiSD_SD_iiiii
                                        ; -- End function
	.set _ZN4vllm25paged_attention_v1_kernelI14__hip_bfloat16hLi120ELi32ELi128ELNS_18Fp8KVCacheDataTypeE1ELb1EEEvPT_PKS3_PKT0_S9_ifPKiSB_iPKfiiiSD_SD_iiiii.num_vgpr, 64
	.set _ZN4vllm25paged_attention_v1_kernelI14__hip_bfloat16hLi120ELi32ELi128ELNS_18Fp8KVCacheDataTypeE1ELb1EEEvPT_PKS3_PKT0_S9_ifPKiSB_iPKfiiiSD_SD_iiiii.num_agpr, 0
	.set _ZN4vllm25paged_attention_v1_kernelI14__hip_bfloat16hLi120ELi32ELi128ELNS_18Fp8KVCacheDataTypeE1ELb1EEEvPT_PKS3_PKT0_S9_ifPKiSB_iPKfiiiSD_SD_iiiii.numbered_sgpr, 64
	.set _ZN4vllm25paged_attention_v1_kernelI14__hip_bfloat16hLi120ELi32ELi128ELNS_18Fp8KVCacheDataTypeE1ELb1EEEvPT_PKS3_PKT0_S9_ifPKiSB_iPKfiiiSD_SD_iiiii.num_named_barrier, 0
	.set _ZN4vllm25paged_attention_v1_kernelI14__hip_bfloat16hLi120ELi32ELi128ELNS_18Fp8KVCacheDataTypeE1ELb1EEEvPT_PKS3_PKT0_S9_ifPKiSB_iPKfiiiSD_SD_iiiii.private_seg_size, 324
	.set _ZN4vllm25paged_attention_v1_kernelI14__hip_bfloat16hLi120ELi32ELi128ELNS_18Fp8KVCacheDataTypeE1ELb1EEEvPT_PKS3_PKT0_S9_ifPKiSB_iPKfiiiSD_SD_iiiii.uses_vcc, 1
	.set _ZN4vllm25paged_attention_v1_kernelI14__hip_bfloat16hLi120ELi32ELi128ELNS_18Fp8KVCacheDataTypeE1ELb1EEEvPT_PKS3_PKT0_S9_ifPKiSB_iPKfiiiSD_SD_iiiii.uses_flat_scratch, 0
	.set _ZN4vllm25paged_attention_v1_kernelI14__hip_bfloat16hLi120ELi32ELi128ELNS_18Fp8KVCacheDataTypeE1ELb1EEEvPT_PKS3_PKT0_S9_ifPKiSB_iPKfiiiSD_SD_iiiii.has_dyn_sized_stack, 0
	.set _ZN4vllm25paged_attention_v1_kernelI14__hip_bfloat16hLi120ELi32ELi128ELNS_18Fp8KVCacheDataTypeE1ELb1EEEvPT_PKS3_PKT0_S9_ifPKiSB_iPKfiiiSD_SD_iiiii.has_recursion, 0
	.set _ZN4vllm25paged_attention_v1_kernelI14__hip_bfloat16hLi120ELi32ELi128ELNS_18Fp8KVCacheDataTypeE1ELb1EEEvPT_PKS3_PKT0_S9_ifPKiSB_iPKfiiiSD_SD_iiiii.has_indirect_call, 0
	.section	.AMDGPU.csdata,"",@progbits
; Kernel info:
; codeLenInByte = 43760
; TotalNumSgprs: 68
; NumVgprs: 64
; ScratchSize: 324
; MemoryBound: 0
; FloatMode: 240
; IeeeMode: 1
; LDSByteSize: 256 bytes/workgroup (compile time only)
; SGPRBlocks: 8
; VGPRBlocks: 15
; NumSGPRsForWavesPerEU: 68
; NumVGPRsForWavesPerEU: 64
; Occupancy: 4
; WaveLimiterHint : 1
; COMPUTE_PGM_RSRC2:SCRATCH_EN: 1
; COMPUTE_PGM_RSRC2:USER_SGPR: 6
; COMPUTE_PGM_RSRC2:TRAP_HANDLER: 0
; COMPUTE_PGM_RSRC2:TGID_X_EN: 1
; COMPUTE_PGM_RSRC2:TGID_Y_EN: 1
; COMPUTE_PGM_RSRC2:TGID_Z_EN: 1
; COMPUTE_PGM_RSRC2:TIDIG_COMP_CNT: 0
	.section	.text._ZN4vllm25paged_attention_v1_kernelI14__hip_bfloat16hLi128ELi32ELi128ELNS_18Fp8KVCacheDataTypeE1ELb1EEEvPT_PKS3_PKT0_S9_ifPKiSB_iPKfiiiSD_SD_iiiii,"axG",@progbits,_ZN4vllm25paged_attention_v1_kernelI14__hip_bfloat16hLi128ELi32ELi128ELNS_18Fp8KVCacheDataTypeE1ELb1EEEvPT_PKS3_PKT0_S9_ifPKiSB_iPKfiiiSD_SD_iiiii,comdat
	.protected	_ZN4vllm25paged_attention_v1_kernelI14__hip_bfloat16hLi128ELi32ELi128ELNS_18Fp8KVCacheDataTypeE1ELb1EEEvPT_PKS3_PKT0_S9_ifPKiSB_iPKfiiiSD_SD_iiiii ; -- Begin function _ZN4vllm25paged_attention_v1_kernelI14__hip_bfloat16hLi128ELi32ELi128ELNS_18Fp8KVCacheDataTypeE1ELb1EEEvPT_PKS3_PKT0_S9_ifPKiSB_iPKfiiiSD_SD_iiiii
	.globl	_ZN4vllm25paged_attention_v1_kernelI14__hip_bfloat16hLi128ELi32ELi128ELNS_18Fp8KVCacheDataTypeE1ELb1EEEvPT_PKS3_PKT0_S9_ifPKiSB_iPKfiiiSD_SD_iiiii
	.p2align	8
	.type	_ZN4vllm25paged_attention_v1_kernelI14__hip_bfloat16hLi128ELi32ELi128ELNS_18Fp8KVCacheDataTypeE1ELb1EEEvPT_PKS3_PKT0_S9_ifPKiSB_iPKfiiiSD_SD_iiiii,@function
_ZN4vllm25paged_attention_v1_kernelI14__hip_bfloat16hLi128ELi32ELi128ELNS_18Fp8KVCacheDataTypeE1ELb1EEEvPT_PKS3_PKT0_S9_ifPKiSB_iPKfiiiSD_SD_iiiii: ; @_ZN4vllm25paged_attention_v1_kernelI14__hip_bfloat16hLi128ELi32ELi128ELNS_18Fp8KVCacheDataTypeE1ELb1EEEvPT_PKS3_PKT0_S9_ifPKiSB_iPKfiiiSD_SD_iiiii
; %bb.0:
	s_mov_b64 s[62:63], s[2:3]
	s_mov_b64 s[60:61], s[0:1]
	s_add_u32 s60, s60, s9
	s_addc_u32 s61, s61, 0
	buffer_store_dword v0, off, s[60:63], 0 offset:300 ; 4-byte Folded Spill
	s_load_dword s9, s[4:5], 0x80
	s_load_dwordx2 s[0:1], s[4:5], 0x30
	s_load_dwordx2 s[36:37], s[4:5], 0x20
	s_mov_b32 s10, s7
	s_ashr_i32 s11, s7, 31
	s_lshl_b64 s[2:3], s[10:11], 2
	s_waitcnt lgkmcnt(0)
	s_add_u32 s0, s0, s2
	s_addc_u32 s1, s1, s3
	s_abs_i32 s2, s36
	v_cvt_f32_u32_e32 v0, s2
	s_sub_i32 s11, 0, s2
	s_abs_i32 s7, s9
	s_xor_b32 s3, s9, s36
	v_rcp_iflag_f32_e32 v0, v0
	s_ashr_i32 s3, s3, 31
	s_mov_b32 s48, 0
	v_mul_f32_e32 v0, 0x4f7ffffe, v0
	v_cvt_u32_f32_e32 v0, v0
	v_readfirstlane_b32 s12, v0
	s_mul_i32 s11, s11, s12
	s_mul_hi_u32 s11, s12, s11
	s_add_i32 s12, s12, s11
	s_mul_hi_u32 s11, s7, s12
	s_mul_i32 s12, s11, s2
	s_sub_i32 s7, s7, s12
	s_add_i32 s12, s11, 1
	s_sub_i32 s13, s7, s2
	s_cmp_ge_u32 s7, s2
	s_cselect_b32 s11, s12, s11
	s_cselect_b32 s7, s13, s7
	s_add_i32 s12, s11, 1
	s_cmp_ge_u32 s7, s2
	s_cselect_b32 s2, s12, s11
	s_xor_b32 s2, s2, s3
	s_sub_i32 s14, s2, s3
	s_abs_i32 s11, s14
	v_cvt_f32_u32_e32 v0, s11
	s_load_dwordx2 s[2:3], s[4:5], 0x40
	s_sub_i32 s7, 0, s11
	s_abs_i32 s12, s6
	v_rcp_iflag_f32_e32 v0, v0
	v_mul_f32_e32 v0, 0x4f7ffffe, v0
	v_cvt_u32_f32_e32 v0, v0
	v_readfirstlane_b32 s13, v0
	s_mul_i32 s7, s7, s13
	s_mul_hi_u32 s7, s13, s7
	s_add_i32 s13, s13, s7
	s_waitcnt lgkmcnt(0)
	s_cmp_eq_u64 s[2:3], 0
	s_mul_hi_u32 s13, s12, s13
	s_cbranch_scc1 .LBB316_2
; %bb.1:
	s_ashr_i32 s7, s6, 31
	s_lshl_b64 s[16:17], s[6:7], 2
	s_add_u32 s2, s2, s16
	s_addc_u32 s3, s3, s17
	s_load_dword s48, s[2:3], 0x0
.LBB316_2:
	buffer_load_dword v1, off, s[60:63], 0 offset:300 ; 4-byte Folded Reload
	s_load_dword s33, s[0:1], 0x0
	s_load_dwordx4 s[16:19], s[4:5], 0x48
	s_ashr_i32 s2, s6, 31
	s_ashr_i32 s7, s14, 31
	s_lshl_b32 s24, s6, 7
	s_waitcnt vmcnt(0)
	v_and_b32_e32 v0, 1, v1
	v_cmp_gt_u32_e32 vcc, 32, v1
	v_lshlrev_b32_e32 v12, 3, v1
	s_and_saveexec_b64 s[0:1], vcc
	s_cbranch_execz .LBB316_4
; %bb.3:
	s_load_dwordx2 s[14:15], s[4:5], 0x8
	s_waitcnt lgkmcnt(0)
	s_mul_i32 s20, s16, s10
	s_ashr_i32 s21, s20, 31
	s_lshl_b64 s[20:21], s[20:21], 1
	buffer_load_dword v3, off, s[60:63], 0 offset:300 ; 4-byte Folded Reload
	s_add_u32 s3, s14, s20
	s_addc_u32 s16, s15, s21
	s_ashr_i32 s25, s24, 31
	s_lshl_b64 s[14:15], s[24:25], 1
	s_add_u32 s14, s3, s14
	s_addc_u32 s15, s16, s15
	global_load_dwordx2 v[1:2], v12, s[14:15]
	s_waitcnt vmcnt(1)
	v_lshlrev_b32_e32 v3, 2, v3
	v_and_b32_e32 v3, 0xff8, v3
	v_lshl_add_u32 v3, v0, 7, v3
	s_waitcnt vmcnt(0)
	ds_write_b64 v3, v[1:2]
.LBB316_4:
	s_or_b64 exec, exec, s[0:1]
	s_mul_i32 s1, s13, s11
	s_sub_i32 s1, s12, s1
	s_xor_b32 s0, s2, s7
	s_add_i32 s2, s13, 1
	s_sub_i32 s7, s1, s11
	s_load_dwordx4 s[20:23], s[4:5], 0x68
	s_load_dword s3, s[4:5], 0x78
	s_cmp_ge_u32 s1, s11
	s_cselect_b32 s2, s2, s13
	s_cselect_b32 s1, s7, s1
	s_add_i32 s7, s2, 1
	s_cmp_ge_u32 s1, s11
	s_cselect_b32 s1, s7, s2
	s_waitcnt lgkmcnt(0)
	s_abs_i32 s25, s23
	v_cvt_f32_u32_e32 v1, s25
	s_xor_b32 s1, s1, s0
	s_sub_i32 s2, s1, s0
	s_sub_i32 s0, 0, s25
	v_rcp_iflag_f32_e32 v1, v1
	s_add_i32 s11, s33, -1
	s_abs_i32 s7, s11
	v_mul_f32_e32 v1, 0x4f7ffffe, v1
	v_cvt_u32_f32_e32 v1, v1
	s_barrier
	v_readfirstlane_b32 s46, v1
	s_mul_i32 s0, s0, s46
	s_mul_hi_u32 s0, s46, s0
	s_add_i32 s46, s46, s0
	s_cmp_lt_i32 s3, 0
	s_mul_hi_u32 s16, s7, s46
	s_cbranch_scc0 .LBB316_6
; %bb.5:
	s_mul_i32 s0, s20, s36
	s_add_i32 s0, s2, s0
	s_mul_i32 s0, s0, s3
	s_sub_i32 s36, 1, s0
	s_mov_b64 s[0:1], 0
	s_branch .LBB316_7
.LBB316_6:
	s_mov_b64 s[0:1], -1
                                        ; implicit-def: $sgpr36
.LBB316_7:
	s_load_dwordx2 s[28:29], s[4:5], 0x28
	s_ashr_i32 s19, s11, 31
	s_andn2_b64 vcc, exec, s[0:1]
	s_ashr_i32 s23, s23, 31
	s_cbranch_vccnz .LBB316_9
; %bb.8:
	s_mul_i32 s0, s9, s20
	s_add_i32 s0, s0, s6
	s_mul_i32 s0, s0, s3
	s_add_i32 s36, s0, 1
.LBB316_9:
	s_load_dword s0, s[4:5], 0x38
	s_load_dwordx2 s[26:27], s[4:5], 0x0
	s_load_dwordx2 s[34:35], s[4:5], 0x18
	s_load_dword s11, s[4:5], 0x88
	s_load_dwordx4 s[12:15], s[4:5], 0x58
	buffer_load_dword v1, off, s[60:63], 0 offset:300 ; 4-byte Folded Reload
	s_mul_i32 s1, s16, s25
	s_waitcnt lgkmcnt(0)
	s_mul_i32 s30, s0, s10
	s_sub_i32 s1, s7, s1
	s_ashr_i32 s31, s30, 31
	s_xor_b32 s0, s19, s23
	s_add_i32 s3, s16, 1
	s_sub_i32 s6, s1, s25
	s_cmp_ge_u32 s1, s25
	s_cselect_b32 s3, s3, s16
	s_cselect_b32 s1, s6, s1
	s_add_i32 s6, s3, 1
	s_cmp_ge_u32 s1, s25
	s_cselect_b32 s1, s6, s3
	s_xor_b32 s1, s1, s0
	s_sub_i32 s16, s1, s0
	s_add_i32 s0, s33, 31
	s_ashr_i32 s1, s0, 31
	s_lshr_b32 s1, s1, 27
	s_add_i32 s0, s0, s1
	s_ashr_i32 s47, s0, 5
	v_mov_b32_e32 v3, 0xff7fffff
	s_mul_i32 s20, s2, s18
	v_mbcnt_lo_u32_b32 v5, -1, 0
	s_waitcnt vmcnt(0)
	v_lshrrev_b32_e32 v2, 6, v1
	v_cmp_gt_i32_e64 s[0:1], s47, v2
	v_lshrrev_b32_e32 v13, 4, v1
	v_lshlrev_b32_e32 v1, 5, v2
	buffer_store_dword v2, off, s[60:63], 0 ; 4-byte Folded Spill
	buffer_store_dword v1, off, s[60:63], 0 offset:4 ; 4-byte Folded Spill
	s_and_saveexec_b64 s[18:19], s[0:1]
	s_cbranch_execz .LBB316_405
; %bb.10:
	buffer_load_dword v2, off, s[60:63], 0 offset:300 ; 4-byte Folded Reload
	s_load_dwordx2 s[2:3], s[4:5], 0x10
	s_sub_i32 s49, s16, s21
	s_ashr_i32 s4, s20, 31
	v_cmp_eq_u32_e32 vcc, 0, v0
	v_lshlrev_b32_e32 v36, 7, v0
	s_waitcnt lgkmcnt(0)
	s_add_u32 s5, s2, s20
	s_addc_u32 s4, s3, s4
	s_abs_i32 s50, s22
	v_cvt_f32_u32_e32 v1, s50
	s_sub_i32 s2, 0, s50
	v_mov_b32_e32 v4, s4
	buffer_store_dword v12, off, s[60:63], 0 offset:332 ; 4-byte Folded Spill
	v_rcp_iflag_f32_e32 v1, v1
	s_mov_b32 s51, s17
	s_mov_b64 s[38:39], 0
	s_movk_i32 s52, 0x80
	v_mul_f32_e32 v1, 0x4f7ffffe, v1
	v_cvt_u32_f32_e32 v1, v1
	s_movk_i32 s53, 0x7f
	s_mov_b32 s54, 0xffffff
	s_movk_i32 s55, 0x7fff
	v_mov_b32_e32 v45, 0
	s_waitcnt vmcnt(1)
	v_bfe_u32 v6, v2, 1, 5
	v_lshlrev_b32_e32 v2, 2, v0
	v_mul_lo_u32 v0, s2, v1
	v_lshlrev_b32_e32 v3, 4, v6
	v_add_co_u32_e64 v3, s[4:5], s5, v3
	v_mul_hi_u32 v0, v1, v0
	v_addc_co_u32_e64 v4, s[4:5], 0, v4, s[4:5]
	v_cmp_neq_f32_e64 s[2:3], s48, 0
	v_add_u32_e32 v0, v1, v0
	buffer_store_dword v0, off, s[60:63], 0 offset:100 ; 4-byte Folded Spill
	v_add_co_u32_e64 v0, s[4:5], v3, v2
	v_addc_co_u32_e64 v1, s[4:5], 0, v4, s[4:5]
	buffer_store_dword v0, off, s[60:63], 0 offset:312 ; 4-byte Folded Spill
	s_nop 0
	buffer_store_dword v1, off, s[60:63], 0 offset:316 ; 4-byte Folded Spill
	buffer_store_dword v13, off, s[60:63], 0 offset:336 ; 4-byte Folded Spill
	buffer_load_dword v48, off, s[60:63], 0 ; 4-byte Folded Reload
	s_lshl_b64 s[4:5], s[30:31], 2
	s_add_u32 s4, s28, s4
	v_and_b32_e32 v0, 60, v13
	s_addc_u32 s5, s29, s5
	v_mov_b32_e32 v1, s5
	v_add_co_u32_e64 v27, s[4:5], s4, v0
	v_subrev_u32_e32 v0, s33, v6
	v_add_u32_e32 v0, 1, v0
	buffer_store_dword v0, off, s[60:63], 0 offset:328 ; 4-byte Folded Spill
	buffer_store_dword v6, off, s[60:63], 0 offset:324 ; 4-byte Folded Spill
	v_lshlrev_b32_e32 v0, 2, v6
	v_addc_co_u32_e64 v28, s[4:5], 0, v1, s[4:5]
	s_waitcnt vmcnt(2)
	v_lshl_or_b32 v0, v48, 7, v0
	v_add_u32_e32 v0, 0x110, v0
	buffer_store_dword v0, off, s[60:63], 0 offset:8 ; 4-byte Folded Spill
	v_mbcnt_hi_u32_b32 v0, -1, v5
	v_lshlrev_b32_e32 v42, 5, v48
	buffer_store_dword v0, off, s[60:63], 0 offset:320 ; 4-byte Folded Spill
	v_mov_b32_e32 v0, 0xff7fffff
	buffer_store_dword v0, off, s[60:63], 0 offset:304 ; 4-byte Folded Spill
	buffer_store_dword v36, off, s[60:63], 0 offset:308 ; 4-byte Folded Spill
	s_branch .LBB316_13
.LBB316_11:                             ;   in Loop: Header=BB316_13 Depth=1
	s_or_b64 exec, exec, s[6:7]
.LBB316_12:                             ;   in Loop: Header=BB316_13 Depth=1
	s_or_b64 exec, exec, s[40:41]
	buffer_load_dword v48, off, s[60:63], 0 offset:12 ; 4-byte Folded Reload
	buffer_load_dword v0, off, s[60:63], 0 offset:8 ; 4-byte Folded Reload
	v_add_co_u32_e64 v27, s[4:5], 8, v27
	v_addc_co_u32_e64 v28, s[4:5], 0, v28, s[4:5]
	v_add_u32_e32 v42, 64, v42
	s_waitcnt vmcnt(1)
	v_add_u32_e32 v48, 2, v48
	v_cmp_le_i32_e64 s[4:5], s47, v48
	s_or_b64 s[38:39], s[4:5], s[38:39]
	s_waitcnt vmcnt(0)
	v_add_u32_e32 v0, 0x100, v0
	buffer_store_dword v0, off, s[60:63], 0 offset:8 ; 4-byte Folded Spill
	s_andn2_b64 exec, exec, s[38:39]
	s_cbranch_execz .LBB316_404
.LBB316_13:                             ; =>This Inner Loop Header: Depth=1
	buffer_load_dword v3, off, s[60:63], 0 offset:100 ; 4-byte Folded Reload
	v_mul_hi_u32 v0, v42, s46
	buffer_store_dword v48, off, s[60:63], 0 offset:12 ; 4-byte Folded Spill
	s_waitcnt lgkmcnt(0)
	v_mul_lo_u32 v1, v0, s25
	v_add_u32_e32 v2, 1, v0
	v_sub_u32_e32 v1, v42, v1
	v_cmp_le_u32_e64 s[4:5], s25, v1
	v_cndmask_b32_e64 v0, v0, v2, s[4:5]
	v_subrev_u32_e32 v2, s25, v1
	v_cndmask_b32_e64 v1, v1, v2, s[4:5]
	v_add_u32_e32 v2, 1, v0
	v_cmp_le_u32_e64 s[4:5], s25, v1
	v_cndmask_b32_e64 v0, v0, v2, s[4:5]
	v_xor_b32_e32 v0, s23, v0
	v_subrev_u32_e32 v0, s23, v0
	v_add_u32_e32 v1, s36, v0
	v_sub_u32_e32 v2, 0, v1
	v_max_i32_e32 v2, v1, v2
	v_ashrrev_i32_e32 v1, 31, v1
	v_cmp_ge_i32_e64 s[6:7], s49, v0
	s_waitcnt vmcnt(1)
	v_mul_hi_u32 v3, v2, v3
	v_mul_lo_u32 v3, v3, s50
	v_sub_u32_e32 v2, v2, v3
	v_subrev_u32_e32 v3, s50, v2
	v_cmp_le_u32_e64 s[4:5], s50, v2
	v_cndmask_b32_e64 v2, v2, v3, s[4:5]
	v_subrev_u32_e32 v3, s50, v2
	v_cmp_le_u32_e64 s[4:5], s50, v2
	v_cndmask_b32_e64 v2, v2, v3, s[4:5]
	v_xor_b32_e32 v2, v2, v1
	v_sub_u32_e32 v1, v2, v1
	v_cmp_ne_u32_e64 s[4:5], 0, v1
	s_and_b64 s[4:5], s[4:5], s[6:7]
	s_and_saveexec_b64 s[6:7], s[4:5]
	s_xor_b64 s[4:5], exec, s[6:7]
	s_cbranch_execz .LBB316_17
; %bb.14:                               ;   in Loop: Header=BB316_13 Depth=1
	s_and_saveexec_b64 s[6:7], vcc
	s_cbranch_execz .LBB316_16
; %bb.15:                               ;   in Loop: Header=BB316_13 Depth=1
	buffer_load_dword v1, off, s[60:63], 0 offset:8 ; 4-byte Folded Reload
	v_mov_b32_e32 v0, 0xff7fffff
	s_waitcnt vmcnt(0)
	ds_write_b32 v1, v0
.LBB316_16:                             ;   in Loop: Header=BB316_13 Depth=1
	s_or_b64 exec, exec, s[6:7]
.LBB316_17:                             ;   in Loop: Header=BB316_13 Depth=1
	s_andn2_saveexec_b64 s[40:41], s[4:5]
	s_cbranch_execz .LBB316_12
; %bb.18:                               ;   in Loop: Header=BB316_13 Depth=1
	global_load_dword v0, v[27:28], off
	buffer_load_dword v1, off, s[60:63], 0 offset:312 ; 4-byte Folded Reload
	buffer_load_dword v2, off, s[60:63], 0 offset:316 ; 4-byte Folded Reload
	s_waitcnt vmcnt(0)
	v_mad_i64_i32 v[29:30], s[4:5], v0, s51, v[1:2]
	v_mov_b32_e32 v2, 0
	global_load_dword v31, v[29:30], off
	ds_read_b128 v[14:17], v36
	ds_read_b128 v[59:62], v36 offset:16
	ds_read_b32 v0, v36 offset:96
	s_load_dword s56, s[12:13], 0x0
	s_waitcnt lgkmcnt(0)
	buffer_store_dword v0, off, s[60:63], 0 offset:104 ; 4-byte Folded Spill
	ds_read_u16 v0, v36 offset:100
	s_waitcnt lgkmcnt(0)
	buffer_store_dword v0, off, s[60:63], 0 offset:108 ; 4-byte Folded Spill
	ds_read_b128 v[54:57], v36 offset:32
	ds_read_b128 v[3:6], v36 offset:48
	s_waitcnt lgkmcnt(0)
	buffer_store_dword v3, off, s[60:63], 0 offset:144 ; 4-byte Folded Spill
	s_nop 0
	buffer_store_dword v4, off, s[60:63], 0 offset:148 ; 4-byte Folded Spill
	buffer_store_dword v5, off, s[60:63], 0 offset:152 ; 4-byte Folded Spill
	buffer_store_dword v6, off, s[60:63], 0 offset:156 ; 4-byte Folded Spill
	ds_read_b128 v[3:6], v36 offset:64
	s_waitcnt lgkmcnt(0)
	buffer_store_dword v3, off, s[60:63], 0 offset:128 ; 4-byte Folded Spill
	s_nop 0
	buffer_store_dword v4, off, s[60:63], 0 offset:132 ; 4-byte Folded Spill
	buffer_store_dword v5, off, s[60:63], 0 offset:136 ; 4-byte Folded Spill
	buffer_store_dword v6, off, s[60:63], 0 offset:140 ; 4-byte Folded Spill
	;; [unrolled: 7-line block ×3, first 2 shown]
	v_mov_b32_e32 v3, 0
	s_waitcnt vmcnt(14)
	v_cmp_ne_u16_sdwa s[4:5], v31, v45 src0_sel:BYTE_0 src1_sel:DWORD
	s_and_saveexec_b64 s[6:7], s[4:5]
	s_cbranch_execz .LBB316_24
; %bb.19:                               ;   in Loop: Header=BB316_13 Depth=1
	v_cmp_ne_u16_sdwa s[4:5], v31, s52 src0_sel:BYTE_0 src1_sel:DWORD
	v_bfrev_b32_e32 v3, 1
	s_and_saveexec_b64 s[42:43], s[4:5]
	s_cbranch_execz .LBB316_23
; %bb.20:                               ;   in Loop: Header=BB316_13 Depth=1
	v_and_b32_e32 v0, 0x7f, v31
	v_cmp_ne_u32_e64 s[4:5], s53, v0
	v_mov_b32_e32 v3, 0x7f800001
	s_and_saveexec_b64 s[44:45], s[4:5]
	s_cbranch_execz .LBB316_22
; %bb.21:                               ;   in Loop: Header=BB316_13 Depth=1
	v_and_b32_e32 v32, 7, v31
	v_ffbh_u32_e32 v25, v32
	v_min_u32_e32 v34, 32, v25
	v_subrev_u32_e32 v25, 28, v34
	v_lshlrev_b64 v[25:26], v25, v[31:32]
	v_lshrrev_b32_e32 v33, 3, v0
	v_sub_u32_e32 v26, 29, v34
	v_and_b32_e32 v25, 7, v25
	v_cmp_gt_u32_e64 s[4:5], 8, v0
	v_cndmask_b32_e64 v0, v33, v26, s[4:5]
	v_cndmask_b32_e64 v25, v32, v25, s[4:5]
	v_lshlrev_b32_e32 v26, 24, v31
	v_bfrev_b32_e32 v1, 60
	v_lshlrev_b32_e32 v25, 20, v25
	v_and_b32_e32 v26, 0x80000000, v26
	v_lshl_add_u32 v0, v0, 23, v1
	v_or3_b32 v3, v26, v0, v25
.LBB316_22:                             ;   in Loop: Header=BB316_13 Depth=1
	s_or_b64 exec, exec, s[44:45]
.LBB316_23:                             ;   in Loop: Header=BB316_13 Depth=1
	s_or_b64 exec, exec, s[42:43]
.LBB316_24:                             ;   in Loop: Header=BB316_13 Depth=1
	s_or_b64 exec, exec, s[6:7]
	v_lshrrev_b16_e32 v32, 8, v31
	v_cmp_ne_u16_e64 s[4:5], 0, v32
	s_and_saveexec_b64 s[6:7], s[4:5]
	s_cbranch_execz .LBB316_30
; %bb.25:                               ;   in Loop: Header=BB316_13 Depth=1
	v_cmp_ne_u16_e64 s[4:5], s52, v32
	v_bfrev_b32_e32 v2, 1
	s_and_saveexec_b64 s[42:43], s[4:5]
	s_cbranch_execz .LBB316_29
; %bb.26:                               ;   in Loop: Header=BB316_13 Depth=1
	v_and_b32_e32 v0, 0x7f, v32
	v_cmp_ne_u32_e64 s[4:5], s53, v0
	v_mov_b32_e32 v2, 0x7f800001
	s_and_saveexec_b64 s[44:45], s[4:5]
	s_cbranch_execz .LBB316_28
; %bb.27:                               ;   in Loop: Header=BB316_13 Depth=1
	v_and_b32_e32 v33, 7, v32
	v_ffbh_u32_e32 v25, v33
	v_min_u32_e32 v35, 32, v25
	v_subrev_u32_e32 v25, 28, v35
	v_lshlrev_b64 v[25:26], v25, v[32:33]
	v_lshrrev_b32_e32 v34, 3, v0
	v_sub_u32_e32 v26, 29, v35
	v_and_b32_e32 v25, 7, v25
	v_cmp_gt_u32_e64 s[4:5], 8, v0
	v_cndmask_b32_e64 v0, v34, v26, s[4:5]
	v_cndmask_b32_e64 v25, v33, v25, s[4:5]
	v_lshlrev_b32_e32 v26, 16, v31
	v_bfrev_b32_e32 v1, 60
	v_lshlrev_b32_e32 v25, 20, v25
	v_and_b32_e32 v26, 0x80000000, v26
	v_lshl_add_u32 v0, v0, 23, v1
	v_or3_b32 v2, v26, v0, v25
.LBB316_28:                             ;   in Loop: Header=BB316_13 Depth=1
	s_or_b64 exec, exec, s[44:45]
.LBB316_29:                             ;   in Loop: Header=BB316_13 Depth=1
	s_or_b64 exec, exec, s[42:43]
.LBB316_30:                             ;   in Loop: Header=BB316_13 Depth=1
	s_or_b64 exec, exec, s[6:7]
	v_lshrrev_b32_e32 v32, 16, v31
	v_cmp_ne_u16_sdwa s[4:5], v32, v45 src0_sel:BYTE_0 src1_sel:DWORD
	v_mov_b32_e32 v4, 0
	v_mov_b32_e32 v6, 0
	s_and_saveexec_b64 s[6:7], s[4:5]
	s_cbranch_execz .LBB316_36
; %bb.31:                               ;   in Loop: Header=BB316_13 Depth=1
	v_cmp_ne_u16_sdwa s[4:5], v32, s52 src0_sel:BYTE_0 src1_sel:DWORD
	v_bfrev_b32_e32 v6, 1
	s_and_saveexec_b64 s[42:43], s[4:5]
	s_cbranch_execz .LBB316_35
; %bb.32:                               ;   in Loop: Header=BB316_13 Depth=1
	v_bfe_u32 v0, v31, 16, 7
	v_cmp_ne_u32_e64 s[4:5], s53, v0
	v_mov_b32_e32 v6, 0x7f800001
	s_and_saveexec_b64 s[44:45], s[4:5]
	s_cbranch_execz .LBB316_34
; %bb.33:                               ;   in Loop: Header=BB316_13 Depth=1
	v_and_b32_e32 v33, 7, v32
	v_ffbh_u32_e32 v25, v33
	v_min_u32_e32 v35, 32, v25
	v_subrev_u32_e32 v25, 28, v35
	v_lshlrev_b64 v[25:26], v25, v[32:33]
	v_lshrrev_b32_e32 v34, 3, v0
	v_sub_u32_e32 v26, 29, v35
	v_and_b32_e32 v25, 7, v25
	v_cmp_gt_u32_e64 s[4:5], 8, v0
	v_cndmask_b32_e64 v0, v34, v26, s[4:5]
	v_cndmask_b32_e64 v25, v33, v25, s[4:5]
	v_lshlrev_b32_e32 v26, 24, v32
	v_bfrev_b32_e32 v1, 60
	v_lshlrev_b32_e32 v25, 20, v25
	v_and_b32_e32 v26, 0x80000000, v26
	v_lshl_add_u32 v0, v0, 23, v1
	v_or3_b32 v6, v26, v0, v25
.LBB316_34:                             ;   in Loop: Header=BB316_13 Depth=1
	s_or_b64 exec, exec, s[44:45]
.LBB316_35:                             ;   in Loop: Header=BB316_13 Depth=1
	s_or_b64 exec, exec, s[42:43]
.LBB316_36:                             ;   in Loop: Header=BB316_13 Depth=1
	s_or_b64 exec, exec, s[6:7]
	v_cmp_lt_u32_e64 s[4:5], s54, v31
	s_and_saveexec_b64 s[6:7], s[4:5]
	s_cbranch_execz .LBB316_42
; %bb.37:                               ;   in Loop: Header=BB316_13 Depth=1
	v_lshrrev_b32_e32 v32, 24, v31
	v_cmp_ne_u32_e64 s[4:5], s52, v32
	v_bfrev_b32_e32 v4, 1
	s_and_saveexec_b64 s[42:43], s[4:5]
	s_cbranch_execz .LBB316_41
; %bb.38:                               ;   in Loop: Header=BB316_13 Depth=1
	v_bfe_u32 v0, v31, 24, 7
	v_cmp_ne_u32_e64 s[4:5], s53, v0
	v_mov_b32_e32 v4, 0x7f800001
	s_and_saveexec_b64 s[44:45], s[4:5]
	s_cbranch_execz .LBB316_40
; %bb.39:                               ;   in Loop: Header=BB316_13 Depth=1
	v_and_b32_e32 v31, 7, v32
	v_ffbh_u32_e32 v25, v31
	v_min_u32_e32 v34, 32, v25
	v_lshrrev_b32_e32 v33, 3, v0
	v_subrev_u32_e32 v25, 28, v34
	v_lshlrev_b64 v[25:26], v25, v[32:33]
	v_sub_u32_e32 v26, 29, v34
	v_and_b32_e32 v25, 7, v25
	v_cmp_gt_u32_e64 s[4:5], 8, v0
	v_cndmask_b32_e64 v0, v33, v26, s[4:5]
	v_cndmask_b32_e64 v25, v31, v25, s[4:5]
	v_lshlrev_b32_e32 v26, 24, v32
	v_bfrev_b32_e32 v1, 60
	v_lshlrev_b32_e32 v25, 20, v25
	v_and_b32_e32 v26, 0x80000000, v26
	v_lshl_add_u32 v0, v0, 23, v1
	v_or3_b32 v4, v26, v0, v25
.LBB316_40:                             ;   in Loop: Header=BB316_13 Depth=1
	s_or_b64 exec, exec, s[44:45]
.LBB316_41:                             ;   in Loop: Header=BB316_13 Depth=1
	s_or_b64 exec, exec, s[42:43]
.LBB316_42:                             ;   in Loop: Header=BB316_13 Depth=1
	s_or_b64 exec, exec, s[6:7]
	global_load_dword v31, v[29:30], off offset:8
	v_mov_b32_e32 v10, 0
	v_mov_b32_e32 v11, 0
	s_waitcnt vmcnt(0)
	v_cmp_ne_u16_sdwa s[4:5], v31, v45 src0_sel:BYTE_0 src1_sel:DWORD
	s_and_saveexec_b64 s[6:7], s[4:5]
	s_cbranch_execz .LBB316_48
; %bb.43:                               ;   in Loop: Header=BB316_13 Depth=1
	v_cmp_ne_u16_sdwa s[4:5], v31, s52 src0_sel:BYTE_0 src1_sel:DWORD
	v_bfrev_b32_e32 v11, 1
	s_and_saveexec_b64 s[42:43], s[4:5]
	s_cbranch_execz .LBB316_47
; %bb.44:                               ;   in Loop: Header=BB316_13 Depth=1
	v_and_b32_e32 v0, 0x7f, v31
	v_cmp_ne_u32_e64 s[4:5], s53, v0
	v_mov_b32_e32 v11, 0x7f800001
	s_and_saveexec_b64 s[44:45], s[4:5]
	s_cbranch_execz .LBB316_46
; %bb.45:                               ;   in Loop: Header=BB316_13 Depth=1
	v_and_b32_e32 v32, 7, v31
	v_ffbh_u32_e32 v25, v32
	v_min_u32_e32 v34, 32, v25
	v_subrev_u32_e32 v25, 28, v34
	v_lshlrev_b64 v[25:26], v25, v[31:32]
	v_lshrrev_b32_e32 v33, 3, v0
	v_sub_u32_e32 v26, 29, v34
	v_and_b32_e32 v25, 7, v25
	v_cmp_gt_u32_e64 s[4:5], 8, v0
	v_cndmask_b32_e64 v0, v33, v26, s[4:5]
	v_cndmask_b32_e64 v25, v32, v25, s[4:5]
	v_lshlrev_b32_e32 v26, 24, v31
	v_bfrev_b32_e32 v1, 60
	v_lshlrev_b32_e32 v25, 20, v25
	v_and_b32_e32 v26, 0x80000000, v26
	v_lshl_add_u32 v0, v0, 23, v1
	v_or3_b32 v11, v26, v0, v25
.LBB316_46:                             ;   in Loop: Header=BB316_13 Depth=1
	s_or_b64 exec, exec, s[44:45]
.LBB316_47:                             ;   in Loop: Header=BB316_13 Depth=1
	s_or_b64 exec, exec, s[42:43]
.LBB316_48:                             ;   in Loop: Header=BB316_13 Depth=1
	s_or_b64 exec, exec, s[6:7]
	v_lshrrev_b16_e32 v32, 8, v31
	v_cmp_ne_u16_e64 s[4:5], 0, v32
	s_and_saveexec_b64 s[6:7], s[4:5]
	s_cbranch_execz .LBB316_54
; %bb.49:                               ;   in Loop: Header=BB316_13 Depth=1
	v_cmp_ne_u16_e64 s[4:5], s52, v32
	v_bfrev_b32_e32 v10, 1
	s_and_saveexec_b64 s[42:43], s[4:5]
	s_cbranch_execz .LBB316_53
; %bb.50:                               ;   in Loop: Header=BB316_13 Depth=1
	v_and_b32_e32 v0, 0x7f, v32
	v_cmp_ne_u32_e64 s[4:5], s53, v0
	v_mov_b32_e32 v10, 0x7f800001
	s_and_saveexec_b64 s[44:45], s[4:5]
	s_cbranch_execz .LBB316_52
; %bb.51:                               ;   in Loop: Header=BB316_13 Depth=1
	v_and_b32_e32 v33, 7, v32
	v_ffbh_u32_e32 v25, v33
	v_min_u32_e32 v35, 32, v25
	v_subrev_u32_e32 v25, 28, v35
	v_lshlrev_b64 v[25:26], v25, v[32:33]
	v_lshrrev_b32_e32 v34, 3, v0
	v_sub_u32_e32 v26, 29, v35
	v_and_b32_e32 v25, 7, v25
	v_cmp_gt_u32_e64 s[4:5], 8, v0
	v_cndmask_b32_e64 v0, v34, v26, s[4:5]
	v_cndmask_b32_e64 v25, v33, v25, s[4:5]
	v_lshlrev_b32_e32 v26, 16, v31
	v_bfrev_b32_e32 v1, 60
	v_lshlrev_b32_e32 v25, 20, v25
	v_and_b32_e32 v26, 0x80000000, v26
	v_lshl_add_u32 v0, v0, 23, v1
	v_or3_b32 v10, v26, v0, v25
.LBB316_52:                             ;   in Loop: Header=BB316_13 Depth=1
	s_or_b64 exec, exec, s[44:45]
.LBB316_53:                             ;   in Loop: Header=BB316_13 Depth=1
	s_or_b64 exec, exec, s[42:43]
.LBB316_54:                             ;   in Loop: Header=BB316_13 Depth=1
	s_or_b64 exec, exec, s[6:7]
	v_lshrrev_b32_e32 v32, 16, v31
	v_cmp_ne_u16_sdwa s[4:5], v32, v45 src0_sel:BYTE_0 src1_sel:DWORD
	v_mov_b32_e32 v12, 0
	v_mov_b32_e32 v13, 0
	s_and_saveexec_b64 s[6:7], s[4:5]
	s_cbranch_execz .LBB316_60
; %bb.55:                               ;   in Loop: Header=BB316_13 Depth=1
	v_cmp_ne_u16_sdwa s[4:5], v32, s52 src0_sel:BYTE_0 src1_sel:DWORD
	v_bfrev_b32_e32 v13, 1
	s_and_saveexec_b64 s[42:43], s[4:5]
	s_cbranch_execz .LBB316_59
; %bb.56:                               ;   in Loop: Header=BB316_13 Depth=1
	v_bfe_u32 v0, v31, 16, 7
	v_cmp_ne_u32_e64 s[4:5], s53, v0
	v_mov_b32_e32 v13, 0x7f800001
	s_and_saveexec_b64 s[44:45], s[4:5]
	s_cbranch_execz .LBB316_58
; %bb.57:                               ;   in Loop: Header=BB316_13 Depth=1
	v_and_b32_e32 v33, 7, v32
	v_lshrrev_b32_e32 v34, 3, v0
	v_cmp_gt_u32_e64 s[4:5], 8, v0
	v_ffbh_u32_e32 v0, v33
	v_min_u32_e32 v0, 32, v0
	v_subrev_u32_e32 v25, 28, v0
	v_lshlrev_b64 v[25:26], v25, v[32:33]
	v_sub_u32_e32 v0, 29, v0
	v_and_b32_e32 v25, 7, v25
	v_cndmask_b32_e64 v0, v34, v0, s[4:5]
	v_cndmask_b32_e64 v25, v33, v25, s[4:5]
	v_lshlrev_b32_e32 v26, 24, v32
	v_bfrev_b32_e32 v1, 60
	v_lshlrev_b32_e32 v25, 20, v25
	v_and_b32_e32 v26, 0x80000000, v26
	v_lshl_add_u32 v0, v0, 23, v1
	v_or3_b32 v13, v26, v0, v25
.LBB316_58:                             ;   in Loop: Header=BB316_13 Depth=1
	s_or_b64 exec, exec, s[44:45]
.LBB316_59:                             ;   in Loop: Header=BB316_13 Depth=1
	s_or_b64 exec, exec, s[42:43]
.LBB316_60:                             ;   in Loop: Header=BB316_13 Depth=1
	s_or_b64 exec, exec, s[6:7]
	v_cmp_lt_u32_e64 s[4:5], s54, v31
	s_and_saveexec_b64 s[6:7], s[4:5]
	s_cbranch_execz .LBB316_66
; %bb.61:                               ;   in Loop: Header=BB316_13 Depth=1
	v_lshrrev_b32_e32 v32, 24, v31
	v_cmp_ne_u32_e64 s[4:5], s52, v32
	v_bfrev_b32_e32 v12, 1
	s_and_saveexec_b64 s[42:43], s[4:5]
	s_cbranch_execz .LBB316_65
; %bb.62:                               ;   in Loop: Header=BB316_13 Depth=1
	v_bfe_u32 v0, v31, 24, 7
	v_cmp_ne_u32_e64 s[4:5], s53, v0
	v_mov_b32_e32 v12, 0x7f800001
	s_and_saveexec_b64 s[44:45], s[4:5]
	s_cbranch_execz .LBB316_64
; %bb.63:                               ;   in Loop: Header=BB316_13 Depth=1
	v_and_b32_e32 v31, 7, v32
	v_lshrrev_b32_e32 v33, 3, v0
	v_cmp_gt_u32_e64 s[4:5], 8, v0
	v_ffbh_u32_e32 v0, v31
	v_min_u32_e32 v0, 32, v0
	v_subrev_u32_e32 v25, 28, v0
	v_lshlrev_b64 v[25:26], v25, v[32:33]
	v_sub_u32_e32 v0, 29, v0
	v_and_b32_e32 v25, 7, v25
	v_cndmask_b32_e64 v0, v33, v0, s[4:5]
	v_cndmask_b32_e64 v25, v31, v25, s[4:5]
	v_lshlrev_b32_e32 v26, 24, v32
	v_bfrev_b32_e32 v1, 60
	v_lshlrev_b32_e32 v25, 20, v25
	v_and_b32_e32 v26, 0x80000000, v26
	v_lshl_add_u32 v0, v0, 23, v1
	v_or3_b32 v12, v26, v0, v25
.LBB316_64:                             ;   in Loop: Header=BB316_13 Depth=1
	s_or_b64 exec, exec, s[44:45]
.LBB316_65:                             ;   in Loop: Header=BB316_13 Depth=1
	s_or_b64 exec, exec, s[42:43]
.LBB316_66:                             ;   in Loop: Header=BB316_13 Depth=1
	s_or_b64 exec, exec, s[6:7]
	global_load_dword v31, v[29:30], off offset:512
	v_mov_b32_e32 v5, 0
	v_mov_b32_e32 v7, 0
	s_waitcnt vmcnt(0)
	v_cmp_ne_u16_sdwa s[4:5], v31, v45 src0_sel:BYTE_0 src1_sel:DWORD
	s_and_saveexec_b64 s[6:7], s[4:5]
	s_cbranch_execz .LBB316_72
; %bb.67:                               ;   in Loop: Header=BB316_13 Depth=1
	v_cmp_ne_u16_sdwa s[4:5], v31, s52 src0_sel:BYTE_0 src1_sel:DWORD
	v_bfrev_b32_e32 v7, 1
	s_and_saveexec_b64 s[42:43], s[4:5]
	s_cbranch_execz .LBB316_71
; %bb.68:                               ;   in Loop: Header=BB316_13 Depth=1
	v_and_b32_e32 v0, 0x7f, v31
	v_cmp_ne_u32_e64 s[4:5], s53, v0
	v_mov_b32_e32 v7, 0x7f800001
	s_and_saveexec_b64 s[44:45], s[4:5]
	s_cbranch_execz .LBB316_70
; %bb.69:                               ;   in Loop: Header=BB316_13 Depth=1
	v_and_b32_e32 v32, 7, v31
	v_lshrrev_b32_e32 v33, 3, v0
	v_cmp_gt_u32_e64 s[4:5], 8, v0
	v_ffbh_u32_e32 v0, v32
	v_min_u32_e32 v0, 32, v0
	v_subrev_u32_e32 v25, 28, v0
	v_lshlrev_b64 v[25:26], v25, v[31:32]
	v_sub_u32_e32 v0, 29, v0
	v_and_b32_e32 v25, 7, v25
	v_cndmask_b32_e64 v0, v33, v0, s[4:5]
	v_cndmask_b32_e64 v25, v32, v25, s[4:5]
	v_lshlrev_b32_e32 v26, 24, v31
	v_bfrev_b32_e32 v1, 60
	v_lshlrev_b32_e32 v25, 20, v25
	v_and_b32_e32 v26, 0x80000000, v26
	v_lshl_add_u32 v0, v0, 23, v1
	v_or3_b32 v7, v26, v0, v25
.LBB316_70:                             ;   in Loop: Header=BB316_13 Depth=1
	s_or_b64 exec, exec, s[44:45]
.LBB316_71:                             ;   in Loop: Header=BB316_13 Depth=1
	s_or_b64 exec, exec, s[42:43]
.LBB316_72:                             ;   in Loop: Header=BB316_13 Depth=1
	s_or_b64 exec, exec, s[6:7]
	v_lshrrev_b16_e32 v32, 8, v31
	v_cmp_ne_u16_e64 s[4:5], 0, v32
	s_and_saveexec_b64 s[6:7], s[4:5]
	s_cbranch_execz .LBB316_78
; %bb.73:                               ;   in Loop: Header=BB316_13 Depth=1
	v_cmp_ne_u16_e64 s[4:5], s52, v32
	v_bfrev_b32_e32 v5, 1
	s_and_saveexec_b64 s[42:43], s[4:5]
	s_cbranch_execz .LBB316_77
; %bb.74:                               ;   in Loop: Header=BB316_13 Depth=1
	v_and_b32_e32 v0, 0x7f, v32
	v_cmp_ne_u32_e64 s[4:5], s53, v0
	v_mov_b32_e32 v5, 0x7f800001
	s_and_saveexec_b64 s[44:45], s[4:5]
	s_cbranch_execz .LBB316_76
; %bb.75:                               ;   in Loop: Header=BB316_13 Depth=1
	v_and_b32_e32 v33, 7, v32
	v_lshrrev_b32_e32 v34, 3, v0
	v_cmp_gt_u32_e64 s[4:5], 8, v0
	v_ffbh_u32_e32 v0, v33
	v_min_u32_e32 v0, 32, v0
	v_subrev_u32_e32 v25, 28, v0
	v_lshlrev_b64 v[25:26], v25, v[32:33]
	v_sub_u32_e32 v0, 29, v0
	v_and_b32_e32 v25, 7, v25
	v_cndmask_b32_e64 v0, v34, v0, s[4:5]
	v_cndmask_b32_e64 v25, v33, v25, s[4:5]
	v_lshlrev_b32_e32 v26, 16, v31
	v_bfrev_b32_e32 v1, 60
	v_lshlrev_b32_e32 v25, 20, v25
	v_and_b32_e32 v26, 0x80000000, v26
	v_lshl_add_u32 v0, v0, 23, v1
	v_or3_b32 v5, v26, v0, v25
.LBB316_76:                             ;   in Loop: Header=BB316_13 Depth=1
	s_or_b64 exec, exec, s[44:45]
.LBB316_77:                             ;   in Loop: Header=BB316_13 Depth=1
	s_or_b64 exec, exec, s[42:43]
.LBB316_78:                             ;   in Loop: Header=BB316_13 Depth=1
	s_or_b64 exec, exec, s[6:7]
	v_lshrrev_b32_e32 v32, 16, v31
	v_cmp_ne_u16_sdwa s[4:5], v32, v45 src0_sel:BYTE_0 src1_sel:DWORD
	v_mov_b32_e32 v18, 0
	v_mov_b32_e32 v19, 0
	s_and_saveexec_b64 s[6:7], s[4:5]
	s_cbranch_execz .LBB316_84
; %bb.79:                               ;   in Loop: Header=BB316_13 Depth=1
	v_cmp_ne_u16_sdwa s[4:5], v32, s52 src0_sel:BYTE_0 src1_sel:DWORD
	v_bfrev_b32_e32 v19, 1
	s_and_saveexec_b64 s[42:43], s[4:5]
	s_cbranch_execz .LBB316_83
; %bb.80:                               ;   in Loop: Header=BB316_13 Depth=1
	v_bfe_u32 v0, v31, 16, 7
	v_cmp_ne_u32_e64 s[4:5], s53, v0
	v_mov_b32_e32 v19, 0x7f800001
	s_and_saveexec_b64 s[44:45], s[4:5]
	s_cbranch_execz .LBB316_82
; %bb.81:                               ;   in Loop: Header=BB316_13 Depth=1
	v_and_b32_e32 v33, 7, v32
	v_lshrrev_b32_e32 v34, 3, v0
	v_cmp_gt_u32_e64 s[4:5], 8, v0
	v_ffbh_u32_e32 v0, v33
	v_min_u32_e32 v0, 32, v0
	v_subrev_u32_e32 v25, 28, v0
	v_lshlrev_b64 v[25:26], v25, v[32:33]
	v_sub_u32_e32 v0, 29, v0
	v_and_b32_e32 v25, 7, v25
	v_cndmask_b32_e64 v0, v34, v0, s[4:5]
	v_cndmask_b32_e64 v25, v33, v25, s[4:5]
	v_lshlrev_b32_e32 v26, 24, v32
	v_bfrev_b32_e32 v1, 60
	v_lshlrev_b32_e32 v25, 20, v25
	v_and_b32_e32 v26, 0x80000000, v26
	v_lshl_add_u32 v0, v0, 23, v1
	v_or3_b32 v19, v26, v0, v25
.LBB316_82:                             ;   in Loop: Header=BB316_13 Depth=1
	s_or_b64 exec, exec, s[44:45]
.LBB316_83:                             ;   in Loop: Header=BB316_13 Depth=1
	s_or_b64 exec, exec, s[42:43]
.LBB316_84:                             ;   in Loop: Header=BB316_13 Depth=1
	s_or_b64 exec, exec, s[6:7]
	v_cmp_lt_u32_e64 s[4:5], s54, v31
	s_and_saveexec_b64 s[6:7], s[4:5]
	s_cbranch_execz .LBB316_90
; %bb.85:                               ;   in Loop: Header=BB316_13 Depth=1
	v_lshrrev_b32_e32 v32, 24, v31
	v_cmp_ne_u32_e64 s[4:5], s52, v32
	v_bfrev_b32_e32 v18, 1
	s_and_saveexec_b64 s[42:43], s[4:5]
	s_cbranch_execz .LBB316_89
; %bb.86:                               ;   in Loop: Header=BB316_13 Depth=1
	v_bfe_u32 v0, v31, 24, 7
	v_cmp_ne_u32_e64 s[4:5], s53, v0
	v_mov_b32_e32 v18, 0x7f800001
	s_and_saveexec_b64 s[44:45], s[4:5]
	s_cbranch_execz .LBB316_88
; %bb.87:                               ;   in Loop: Header=BB316_13 Depth=1
	v_and_b32_e32 v31, 7, v32
	v_lshrrev_b32_e32 v33, 3, v0
	v_cmp_gt_u32_e64 s[4:5], 8, v0
	v_ffbh_u32_e32 v0, v31
	v_min_u32_e32 v0, 32, v0
	v_subrev_u32_e32 v25, 28, v0
	v_lshlrev_b64 v[25:26], v25, v[32:33]
	v_sub_u32_e32 v0, 29, v0
	v_and_b32_e32 v25, 7, v25
	v_cndmask_b32_e64 v0, v33, v0, s[4:5]
	v_cndmask_b32_e64 v25, v31, v25, s[4:5]
	v_lshlrev_b32_e32 v26, 24, v32
	v_bfrev_b32_e32 v1, 60
	v_lshlrev_b32_e32 v25, 20, v25
	v_and_b32_e32 v26, 0x80000000, v26
	v_lshl_add_u32 v0, v0, 23, v1
	v_or3_b32 v18, v26, v0, v25
.LBB316_88:                             ;   in Loop: Header=BB316_13 Depth=1
	s_or_b64 exec, exec, s[44:45]
.LBB316_89:                             ;   in Loop: Header=BB316_13 Depth=1
	s_or_b64 exec, exec, s[42:43]
.LBB316_90:                             ;   in Loop: Header=BB316_13 Depth=1
	s_or_b64 exec, exec, s[6:7]
	global_load_dword v31, v[29:30], off offset:520
	v_mov_b32_e32 v20, 0
	v_mov_b32_e32 v8, 0
	s_waitcnt vmcnt(0)
	v_cmp_ne_u16_sdwa s[4:5], v31, v45 src0_sel:BYTE_0 src1_sel:DWORD
	s_and_saveexec_b64 s[6:7], s[4:5]
	s_cbranch_execz .LBB316_96
; %bb.91:                               ;   in Loop: Header=BB316_13 Depth=1
	v_cmp_ne_u16_sdwa s[4:5], v31, s52 src0_sel:BYTE_0 src1_sel:DWORD
	v_bfrev_b32_e32 v8, 1
	s_and_saveexec_b64 s[42:43], s[4:5]
	s_cbranch_execz .LBB316_95
; %bb.92:                               ;   in Loop: Header=BB316_13 Depth=1
	v_and_b32_e32 v0, 0x7f, v31
	v_cmp_ne_u32_e64 s[4:5], s53, v0
	v_mov_b32_e32 v8, 0x7f800001
	s_and_saveexec_b64 s[44:45], s[4:5]
	s_cbranch_execz .LBB316_94
; %bb.93:                               ;   in Loop: Header=BB316_13 Depth=1
	v_and_b32_e32 v32, 7, v31
	v_lshrrev_b32_e32 v33, 3, v0
	v_cmp_gt_u32_e64 s[4:5], 8, v0
	v_ffbh_u32_e32 v0, v32
	v_min_u32_e32 v0, 32, v0
	v_subrev_u32_e32 v25, 28, v0
	v_lshlrev_b64 v[25:26], v25, v[31:32]
	v_sub_u32_e32 v0, 29, v0
	v_and_b32_e32 v25, 7, v25
	v_cndmask_b32_e64 v0, v33, v0, s[4:5]
	v_cndmask_b32_e64 v25, v32, v25, s[4:5]
	v_lshlrev_b32_e32 v26, 24, v31
	v_bfrev_b32_e32 v1, 60
	v_lshlrev_b32_e32 v25, 20, v25
	v_and_b32_e32 v26, 0x80000000, v26
	v_lshl_add_u32 v0, v0, 23, v1
	v_or3_b32 v8, v26, v0, v25
.LBB316_94:                             ;   in Loop: Header=BB316_13 Depth=1
	s_or_b64 exec, exec, s[44:45]
.LBB316_95:                             ;   in Loop: Header=BB316_13 Depth=1
	s_or_b64 exec, exec, s[42:43]
.LBB316_96:                             ;   in Loop: Header=BB316_13 Depth=1
	s_or_b64 exec, exec, s[6:7]
	v_lshrrev_b16_e32 v32, 8, v31
	v_cmp_ne_u16_e64 s[4:5], 0, v32
	s_and_saveexec_b64 s[6:7], s[4:5]
	s_cbranch_execz .LBB316_102
; %bb.97:                               ;   in Loop: Header=BB316_13 Depth=1
	v_cmp_ne_u16_e64 s[4:5], s52, v32
	v_bfrev_b32_e32 v20, 1
	s_and_saveexec_b64 s[42:43], s[4:5]
	s_cbranch_execz .LBB316_101
; %bb.98:                               ;   in Loop: Header=BB316_13 Depth=1
	v_and_b32_e32 v0, 0x7f, v32
	v_cmp_ne_u32_e64 s[4:5], s53, v0
	v_mov_b32_e32 v20, 0x7f800001
	s_and_saveexec_b64 s[44:45], s[4:5]
	s_cbranch_execz .LBB316_100
; %bb.99:                               ;   in Loop: Header=BB316_13 Depth=1
	v_and_b32_e32 v33, 7, v32
	v_lshrrev_b32_e32 v34, 3, v0
	v_cmp_gt_u32_e64 s[4:5], 8, v0
	v_ffbh_u32_e32 v0, v33
	v_min_u32_e32 v0, 32, v0
	v_subrev_u32_e32 v25, 28, v0
	v_lshlrev_b64 v[25:26], v25, v[32:33]
	v_sub_u32_e32 v0, 29, v0
	v_and_b32_e32 v25, 7, v25
	v_cndmask_b32_e64 v0, v34, v0, s[4:5]
	v_cndmask_b32_e64 v25, v33, v25, s[4:5]
	v_lshlrev_b32_e32 v26, 16, v31
	v_bfrev_b32_e32 v1, 60
	v_lshlrev_b32_e32 v25, 20, v25
	v_and_b32_e32 v26, 0x80000000, v26
	v_lshl_add_u32 v0, v0, 23, v1
	v_or3_b32 v20, v26, v0, v25
.LBB316_100:                            ;   in Loop: Header=BB316_13 Depth=1
	s_or_b64 exec, exec, s[44:45]
.LBB316_101:                            ;   in Loop: Header=BB316_13 Depth=1
	s_or_b64 exec, exec, s[42:43]
.LBB316_102:                            ;   in Loop: Header=BB316_13 Depth=1
	s_or_b64 exec, exec, s[6:7]
	v_lshrrev_b32_e32 v32, 16, v31
	v_cmp_ne_u16_sdwa s[4:5], v32, v45 src0_sel:BYTE_0 src1_sel:DWORD
	v_mov_b32_e32 v35, 0
	v_mov_b32_e32 v9, 0
	s_and_saveexec_b64 s[6:7], s[4:5]
	s_cbranch_execz .LBB316_108
; %bb.103:                              ;   in Loop: Header=BB316_13 Depth=1
	v_cmp_ne_u16_sdwa s[4:5], v32, s52 src0_sel:BYTE_0 src1_sel:DWORD
	v_bfrev_b32_e32 v9, 1
	s_and_saveexec_b64 s[42:43], s[4:5]
	s_cbranch_execz .LBB316_107
; %bb.104:                              ;   in Loop: Header=BB316_13 Depth=1
	v_bfe_u32 v0, v31, 16, 7
	v_cmp_ne_u32_e64 s[4:5], s53, v0
	v_mov_b32_e32 v9, 0x7f800001
	s_and_saveexec_b64 s[44:45], s[4:5]
	s_cbranch_execz .LBB316_106
; %bb.105:                              ;   in Loop: Header=BB316_13 Depth=1
	v_and_b32_e32 v33, 7, v32
	v_lshrrev_b32_e32 v34, 3, v0
	v_cmp_gt_u32_e64 s[4:5], 8, v0
	v_ffbh_u32_e32 v0, v33
	v_min_u32_e32 v0, 32, v0
	v_subrev_u32_e32 v25, 28, v0
	v_lshlrev_b64 v[25:26], v25, v[32:33]
	v_sub_u32_e32 v0, 29, v0
	v_and_b32_e32 v25, 7, v25
	v_cndmask_b32_e64 v0, v34, v0, s[4:5]
	v_cndmask_b32_e64 v25, v33, v25, s[4:5]
	v_lshlrev_b32_e32 v26, 24, v32
	v_bfrev_b32_e32 v1, 60
	v_lshlrev_b32_e32 v25, 20, v25
	v_and_b32_e32 v26, 0x80000000, v26
	v_lshl_add_u32 v0, v0, 23, v1
	v_or3_b32 v9, v26, v0, v25
.LBB316_106:                            ;   in Loop: Header=BB316_13 Depth=1
	s_or_b64 exec, exec, s[44:45]
.LBB316_107:                            ;   in Loop: Header=BB316_13 Depth=1
	s_or_b64 exec, exec, s[42:43]
.LBB316_108:                            ;   in Loop: Header=BB316_13 Depth=1
	s_or_b64 exec, exec, s[6:7]
	v_cmp_lt_u32_e64 s[4:5], s54, v31
	s_and_saveexec_b64 s[6:7], s[4:5]
	s_cbranch_execz .LBB316_114
; %bb.109:                              ;   in Loop: Header=BB316_13 Depth=1
	v_lshrrev_b32_e32 v32, 24, v31
	v_cmp_ne_u32_e64 s[4:5], s52, v32
	v_bfrev_b32_e32 v35, 1
	s_and_saveexec_b64 s[42:43], s[4:5]
	s_cbranch_execz .LBB316_113
; %bb.110:                              ;   in Loop: Header=BB316_13 Depth=1
	v_bfe_u32 v0, v31, 24, 7
	v_cmp_ne_u32_e64 s[4:5], s53, v0
	v_mov_b32_e32 v35, 0x7f800001
	s_and_saveexec_b64 s[44:45], s[4:5]
	s_cbranch_execz .LBB316_112
; %bb.111:                              ;   in Loop: Header=BB316_13 Depth=1
	v_and_b32_e32 v31, 7, v32
	v_lshrrev_b32_e32 v33, 3, v0
	v_cmp_gt_u32_e64 s[4:5], 8, v0
	v_ffbh_u32_e32 v0, v31
	v_min_u32_e32 v0, 32, v0
	v_subrev_u32_e32 v25, 28, v0
	v_lshlrev_b64 v[25:26], v25, v[32:33]
	v_sub_u32_e32 v0, 29, v0
	v_and_b32_e32 v25, 7, v25
	v_cndmask_b32_e64 v0, v33, v0, s[4:5]
	v_cndmask_b32_e64 v25, v31, v25, s[4:5]
	v_lshlrev_b32_e32 v26, 24, v32
	v_bfrev_b32_e32 v1, 60
	v_lshlrev_b32_e32 v25, 20, v25
	v_and_b32_e32 v26, 0x80000000, v26
	v_lshl_add_u32 v0, v0, 23, v1
	v_or3_b32 v35, v26, v0, v25
.LBB316_112:                            ;   in Loop: Header=BB316_13 Depth=1
	s_or_b64 exec, exec, s[44:45]
.LBB316_113:                            ;   in Loop: Header=BB316_13 Depth=1
	s_or_b64 exec, exec, s[42:43]
.LBB316_114:                            ;   in Loop: Header=BB316_13 Depth=1
	s_or_b64 exec, exec, s[6:7]
	global_load_dword v31, v[29:30], off offset:1024
	v_mov_b32_e32 v21, 0
	v_mov_b32_e32 v22, 0
	s_waitcnt vmcnt(0)
	v_cmp_ne_u16_sdwa s[4:5], v31, v45 src0_sel:BYTE_0 src1_sel:DWORD
	s_and_saveexec_b64 s[6:7], s[4:5]
	s_cbranch_execz .LBB316_120
; %bb.115:                              ;   in Loop: Header=BB316_13 Depth=1
	v_cmp_ne_u16_sdwa s[4:5], v31, s52 src0_sel:BYTE_0 src1_sel:DWORD
	v_bfrev_b32_e32 v22, 1
	s_and_saveexec_b64 s[42:43], s[4:5]
	s_cbranch_execz .LBB316_119
; %bb.116:                              ;   in Loop: Header=BB316_13 Depth=1
	v_and_b32_e32 v0, 0x7f, v31
	v_cmp_ne_u32_e64 s[4:5], s53, v0
	v_mov_b32_e32 v22, 0x7f800001
	s_and_saveexec_b64 s[44:45], s[4:5]
	s_cbranch_execz .LBB316_118
; %bb.117:                              ;   in Loop: Header=BB316_13 Depth=1
	v_and_b32_e32 v32, 7, v31
	v_lshrrev_b32_e32 v33, 3, v0
	v_cmp_gt_u32_e64 s[4:5], 8, v0
	v_ffbh_u32_e32 v0, v32
	v_min_u32_e32 v0, 32, v0
	v_subrev_u32_e32 v25, 28, v0
	v_lshlrev_b64 v[25:26], v25, v[31:32]
	v_sub_u32_e32 v0, 29, v0
	v_and_b32_e32 v25, 7, v25
	v_cndmask_b32_e64 v0, v33, v0, s[4:5]
	v_cndmask_b32_e64 v25, v32, v25, s[4:5]
	v_lshlrev_b32_e32 v26, 24, v31
	v_bfrev_b32_e32 v1, 60
	v_lshlrev_b32_e32 v25, 20, v25
	v_and_b32_e32 v26, 0x80000000, v26
	v_lshl_add_u32 v0, v0, 23, v1
	v_or3_b32 v22, v26, v0, v25
.LBB316_118:                            ;   in Loop: Header=BB316_13 Depth=1
	s_or_b64 exec, exec, s[44:45]
.LBB316_119:                            ;   in Loop: Header=BB316_13 Depth=1
	s_or_b64 exec, exec, s[42:43]
.LBB316_120:                            ;   in Loop: Header=BB316_13 Depth=1
	s_or_b64 exec, exec, s[6:7]
	v_lshrrev_b16_e32 v32, 8, v31
	v_cmp_ne_u16_e64 s[4:5], 0, v32
	s_and_saveexec_b64 s[6:7], s[4:5]
	s_cbranch_execz .LBB316_126
; %bb.121:                              ;   in Loop: Header=BB316_13 Depth=1
	v_cmp_ne_u16_e64 s[4:5], s52, v32
	v_bfrev_b32_e32 v21, 1
	s_and_saveexec_b64 s[42:43], s[4:5]
	s_cbranch_execz .LBB316_125
; %bb.122:                              ;   in Loop: Header=BB316_13 Depth=1
	v_and_b32_e32 v0, 0x7f, v32
	v_cmp_ne_u32_e64 s[4:5], s53, v0
	v_mov_b32_e32 v21, 0x7f800001
	s_and_saveexec_b64 s[44:45], s[4:5]
	s_cbranch_execz .LBB316_124
; %bb.123:                              ;   in Loop: Header=BB316_13 Depth=1
	v_and_b32_e32 v33, 7, v32
	v_lshrrev_b32_e32 v34, 3, v0
	v_cmp_gt_u32_e64 s[4:5], 8, v0
	v_ffbh_u32_e32 v0, v33
	v_min_u32_e32 v0, 32, v0
	v_subrev_u32_e32 v25, 28, v0
	v_lshlrev_b64 v[25:26], v25, v[32:33]
	v_sub_u32_e32 v0, 29, v0
	v_and_b32_e32 v25, 7, v25
	v_cndmask_b32_e64 v0, v34, v0, s[4:5]
	v_cndmask_b32_e64 v25, v33, v25, s[4:5]
	v_lshlrev_b32_e32 v26, 16, v31
	v_bfrev_b32_e32 v1, 60
	v_lshlrev_b32_e32 v25, 20, v25
	v_and_b32_e32 v26, 0x80000000, v26
	v_lshl_add_u32 v0, v0, 23, v1
	v_or3_b32 v21, v26, v0, v25
.LBB316_124:                            ;   in Loop: Header=BB316_13 Depth=1
	s_or_b64 exec, exec, s[44:45]
.LBB316_125:                            ;   in Loop: Header=BB316_13 Depth=1
	s_or_b64 exec, exec, s[42:43]
.LBB316_126:                            ;   in Loop: Header=BB316_13 Depth=1
	s_or_b64 exec, exec, s[6:7]
	v_lshrrev_b32_e32 v32, 16, v31
	v_cmp_ne_u16_sdwa s[4:5], v32, v45 src0_sel:BYTE_0 src1_sel:DWORD
	v_mov_b32_e32 v23, 0
	v_mov_b32_e32 v24, 0
	s_and_saveexec_b64 s[6:7], s[4:5]
	s_cbranch_execz .LBB316_132
; %bb.127:                              ;   in Loop: Header=BB316_13 Depth=1
	v_cmp_ne_u16_sdwa s[4:5], v32, s52 src0_sel:BYTE_0 src1_sel:DWORD
	v_bfrev_b32_e32 v24, 1
	s_and_saveexec_b64 s[42:43], s[4:5]
	s_cbranch_execz .LBB316_131
; %bb.128:                              ;   in Loop: Header=BB316_13 Depth=1
	v_bfe_u32 v0, v31, 16, 7
	v_cmp_ne_u32_e64 s[4:5], s53, v0
	v_mov_b32_e32 v24, 0x7f800001
	s_and_saveexec_b64 s[44:45], s[4:5]
	s_cbranch_execz .LBB316_130
; %bb.129:                              ;   in Loop: Header=BB316_13 Depth=1
	v_and_b32_e32 v33, 7, v32
	v_lshrrev_b32_e32 v34, 3, v0
	v_cmp_gt_u32_e64 s[4:5], 8, v0
	v_ffbh_u32_e32 v0, v33
	v_min_u32_e32 v0, 32, v0
	v_subrev_u32_e32 v25, 28, v0
	v_lshlrev_b64 v[25:26], v25, v[32:33]
	v_sub_u32_e32 v0, 29, v0
	v_and_b32_e32 v25, 7, v25
	v_cndmask_b32_e64 v0, v34, v0, s[4:5]
	v_cndmask_b32_e64 v25, v33, v25, s[4:5]
	v_lshlrev_b32_e32 v26, 24, v32
	v_bfrev_b32_e32 v1, 60
	v_lshlrev_b32_e32 v25, 20, v25
	v_and_b32_e32 v26, 0x80000000, v26
	v_lshl_add_u32 v0, v0, 23, v1
	v_or3_b32 v24, v26, v0, v25
.LBB316_130:                            ;   in Loop: Header=BB316_13 Depth=1
	s_or_b64 exec, exec, s[44:45]
.LBB316_131:                            ;   in Loop: Header=BB316_13 Depth=1
	s_or_b64 exec, exec, s[42:43]
.LBB316_132:                            ;   in Loop: Header=BB316_13 Depth=1
	s_or_b64 exec, exec, s[6:7]
	v_cmp_lt_u32_e64 s[4:5], s54, v31
	s_and_saveexec_b64 s[6:7], s[4:5]
	s_cbranch_execz .LBB316_138
; %bb.133:                              ;   in Loop: Header=BB316_13 Depth=1
	v_lshrrev_b32_e32 v32, 24, v31
	v_cmp_ne_u32_e64 s[4:5], s52, v32
	v_bfrev_b32_e32 v23, 1
	s_and_saveexec_b64 s[42:43], s[4:5]
	s_cbranch_execz .LBB316_137
; %bb.134:                              ;   in Loop: Header=BB316_13 Depth=1
	v_bfe_u32 v0, v31, 24, 7
	v_cmp_ne_u32_e64 s[4:5], s53, v0
	v_mov_b32_e32 v23, 0x7f800001
	s_and_saveexec_b64 s[44:45], s[4:5]
	s_cbranch_execz .LBB316_136
; %bb.135:                              ;   in Loop: Header=BB316_13 Depth=1
	v_and_b32_e32 v31, 7, v32
	v_lshrrev_b32_e32 v33, 3, v0
	v_cmp_gt_u32_e64 s[4:5], 8, v0
	v_ffbh_u32_e32 v0, v31
	v_min_u32_e32 v0, 32, v0
	v_subrev_u32_e32 v25, 28, v0
	v_lshlrev_b64 v[25:26], v25, v[32:33]
	v_sub_u32_e32 v0, 29, v0
	v_and_b32_e32 v25, 7, v25
	v_cndmask_b32_e64 v0, v33, v0, s[4:5]
	v_cndmask_b32_e64 v25, v31, v25, s[4:5]
	v_lshlrev_b32_e32 v26, 24, v32
	v_bfrev_b32_e32 v1, 60
	v_lshlrev_b32_e32 v25, 20, v25
	v_and_b32_e32 v26, 0x80000000, v26
	v_lshl_add_u32 v0, v0, 23, v1
	v_or3_b32 v23, v26, v0, v25
.LBB316_136:                            ;   in Loop: Header=BB316_13 Depth=1
	s_or_b64 exec, exec, s[44:45]
.LBB316_137:                            ;   in Loop: Header=BB316_13 Depth=1
	s_or_b64 exec, exec, s[42:43]
.LBB316_138:                            ;   in Loop: Header=BB316_13 Depth=1
	s_or_b64 exec, exec, s[6:7]
	global_load_dword v31, v[29:30], off offset:1032
	v_mov_b32_e32 v37, 0
	v_mov_b32_e32 v38, 0
	s_waitcnt vmcnt(0)
	v_cmp_ne_u16_sdwa s[4:5], v31, v45 src0_sel:BYTE_0 src1_sel:DWORD
	s_and_saveexec_b64 s[6:7], s[4:5]
	s_cbranch_execz .LBB316_144
; %bb.139:                              ;   in Loop: Header=BB316_13 Depth=1
	v_cmp_ne_u16_sdwa s[4:5], v31, s52 src0_sel:BYTE_0 src1_sel:DWORD
	v_bfrev_b32_e32 v38, 1
	s_and_saveexec_b64 s[42:43], s[4:5]
	s_cbranch_execz .LBB316_143
; %bb.140:                              ;   in Loop: Header=BB316_13 Depth=1
	v_and_b32_e32 v0, 0x7f, v31
	v_cmp_ne_u32_e64 s[4:5], s53, v0
	v_mov_b32_e32 v38, 0x7f800001
	s_and_saveexec_b64 s[44:45], s[4:5]
	s_cbranch_execz .LBB316_142
; %bb.141:                              ;   in Loop: Header=BB316_13 Depth=1
	v_and_b32_e32 v32, 7, v31
	v_lshrrev_b32_e32 v33, 3, v0
	v_cmp_gt_u32_e64 s[4:5], 8, v0
	v_ffbh_u32_e32 v0, v32
	v_min_u32_e32 v0, 32, v0
	v_subrev_u32_e32 v25, 28, v0
	v_lshlrev_b64 v[25:26], v25, v[31:32]
	v_sub_u32_e32 v0, 29, v0
	v_and_b32_e32 v25, 7, v25
	v_cndmask_b32_e64 v0, v33, v0, s[4:5]
	v_cndmask_b32_e64 v25, v32, v25, s[4:5]
	v_lshlrev_b32_e32 v26, 24, v31
	v_bfrev_b32_e32 v1, 60
	v_lshlrev_b32_e32 v25, 20, v25
	v_and_b32_e32 v26, 0x80000000, v26
	v_lshl_add_u32 v0, v0, 23, v1
	v_or3_b32 v38, v26, v0, v25
.LBB316_142:                            ;   in Loop: Header=BB316_13 Depth=1
	s_or_b64 exec, exec, s[44:45]
.LBB316_143:                            ;   in Loop: Header=BB316_13 Depth=1
	s_or_b64 exec, exec, s[42:43]
.LBB316_144:                            ;   in Loop: Header=BB316_13 Depth=1
	s_or_b64 exec, exec, s[6:7]
	v_lshrrev_b16_e32 v32, 8, v31
	v_cmp_ne_u16_e64 s[4:5], 0, v32
	s_and_saveexec_b64 s[6:7], s[4:5]
	s_cbranch_execz .LBB316_150
; %bb.145:                              ;   in Loop: Header=BB316_13 Depth=1
	v_cmp_ne_u16_e64 s[4:5], s52, v32
	v_bfrev_b32_e32 v37, 1
	s_and_saveexec_b64 s[42:43], s[4:5]
	s_cbranch_execz .LBB316_149
; %bb.146:                              ;   in Loop: Header=BB316_13 Depth=1
	v_and_b32_e32 v0, 0x7f, v32
	v_cmp_ne_u32_e64 s[4:5], s53, v0
	v_mov_b32_e32 v37, 0x7f800001
	s_and_saveexec_b64 s[44:45], s[4:5]
	s_cbranch_execz .LBB316_148
; %bb.147:                              ;   in Loop: Header=BB316_13 Depth=1
	v_and_b32_e32 v33, 7, v32
	v_lshrrev_b32_e32 v34, 3, v0
	v_cmp_gt_u32_e64 s[4:5], 8, v0
	v_ffbh_u32_e32 v0, v33
	v_min_u32_e32 v0, 32, v0
	v_subrev_u32_e32 v25, 28, v0
	v_lshlrev_b64 v[25:26], v25, v[32:33]
	v_sub_u32_e32 v0, 29, v0
	v_and_b32_e32 v25, 7, v25
	v_cndmask_b32_e64 v0, v34, v0, s[4:5]
	v_cndmask_b32_e64 v25, v33, v25, s[4:5]
	v_lshlrev_b32_e32 v26, 16, v31
	v_bfrev_b32_e32 v1, 60
	v_lshlrev_b32_e32 v25, 20, v25
	v_and_b32_e32 v26, 0x80000000, v26
	v_lshl_add_u32 v0, v0, 23, v1
	v_or3_b32 v37, v26, v0, v25
.LBB316_148:                            ;   in Loop: Header=BB316_13 Depth=1
	s_or_b64 exec, exec, s[44:45]
.LBB316_149:                            ;   in Loop: Header=BB316_13 Depth=1
	s_or_b64 exec, exec, s[42:43]
.LBB316_150:                            ;   in Loop: Header=BB316_13 Depth=1
	s_or_b64 exec, exec, s[6:7]
	v_lshrrev_b32_e32 v32, 16, v31
	v_cmp_ne_u16_sdwa s[4:5], v32, v45 src0_sel:BYTE_0 src1_sel:DWORD
	v_mov_b32_e32 v39, 0
	v_mov_b32_e32 v40, 0
	s_and_saveexec_b64 s[6:7], s[4:5]
	s_cbranch_execz .LBB316_156
; %bb.151:                              ;   in Loop: Header=BB316_13 Depth=1
	v_cmp_ne_u16_sdwa s[4:5], v32, s52 src0_sel:BYTE_0 src1_sel:DWORD
	v_bfrev_b32_e32 v40, 1
	s_and_saveexec_b64 s[42:43], s[4:5]
	s_cbranch_execz .LBB316_155
; %bb.152:                              ;   in Loop: Header=BB316_13 Depth=1
	v_bfe_u32 v0, v31, 16, 7
	v_cmp_ne_u32_e64 s[4:5], s53, v0
	v_mov_b32_e32 v40, 0x7f800001
	s_and_saveexec_b64 s[44:45], s[4:5]
	s_cbranch_execz .LBB316_154
; %bb.153:                              ;   in Loop: Header=BB316_13 Depth=1
	v_and_b32_e32 v33, 7, v32
	v_lshrrev_b32_e32 v34, 3, v0
	v_cmp_gt_u32_e64 s[4:5], 8, v0
	v_ffbh_u32_e32 v0, v33
	v_min_u32_e32 v0, 32, v0
	v_subrev_u32_e32 v25, 28, v0
	v_lshlrev_b64 v[25:26], v25, v[32:33]
	v_sub_u32_e32 v0, 29, v0
	v_and_b32_e32 v25, 7, v25
	v_cndmask_b32_e64 v0, v34, v0, s[4:5]
	v_cndmask_b32_e64 v25, v33, v25, s[4:5]
	v_lshlrev_b32_e32 v26, 24, v32
	v_bfrev_b32_e32 v1, 60
	v_lshlrev_b32_e32 v25, 20, v25
	v_and_b32_e32 v26, 0x80000000, v26
	v_lshl_add_u32 v0, v0, 23, v1
	v_or3_b32 v40, v26, v0, v25
.LBB316_154:                            ;   in Loop: Header=BB316_13 Depth=1
	s_or_b64 exec, exec, s[44:45]
.LBB316_155:                            ;   in Loop: Header=BB316_13 Depth=1
	s_or_b64 exec, exec, s[42:43]
.LBB316_156:                            ;   in Loop: Header=BB316_13 Depth=1
	s_or_b64 exec, exec, s[6:7]
	v_cmp_lt_u32_e64 s[4:5], s54, v31
	s_and_saveexec_b64 s[6:7], s[4:5]
	s_cbranch_execz .LBB316_162
; %bb.157:                              ;   in Loop: Header=BB316_13 Depth=1
	v_lshrrev_b32_e32 v32, 24, v31
	v_cmp_ne_u32_e64 s[4:5], s52, v32
	v_bfrev_b32_e32 v39, 1
	s_and_saveexec_b64 s[42:43], s[4:5]
	s_cbranch_execz .LBB316_161
; %bb.158:                              ;   in Loop: Header=BB316_13 Depth=1
	v_bfe_u32 v0, v31, 24, 7
	v_cmp_ne_u32_e64 s[4:5], s53, v0
	v_mov_b32_e32 v39, 0x7f800001
	s_and_saveexec_b64 s[44:45], s[4:5]
	s_cbranch_execz .LBB316_160
; %bb.159:                              ;   in Loop: Header=BB316_13 Depth=1
	v_and_b32_e32 v31, 7, v32
	v_lshrrev_b32_e32 v33, 3, v0
	v_cmp_gt_u32_e64 s[4:5], 8, v0
	v_ffbh_u32_e32 v0, v31
	v_min_u32_e32 v0, 32, v0
	v_subrev_u32_e32 v25, 28, v0
	v_lshlrev_b64 v[25:26], v25, v[32:33]
	v_sub_u32_e32 v0, 29, v0
	v_and_b32_e32 v25, 7, v25
	v_cndmask_b32_e64 v0, v33, v0, s[4:5]
	v_cndmask_b32_e64 v25, v31, v25, s[4:5]
	v_lshlrev_b32_e32 v26, 24, v32
	v_bfrev_b32_e32 v1, 60
	v_lshlrev_b32_e32 v25, 20, v25
	v_and_b32_e32 v26, 0x80000000, v26
	v_lshl_add_u32 v0, v0, 23, v1
	v_or3_b32 v39, v26, v0, v25
.LBB316_160:                            ;   in Loop: Header=BB316_13 Depth=1
	s_or_b64 exec, exec, s[44:45]
.LBB316_161:                            ;   in Loop: Header=BB316_13 Depth=1
	s_or_b64 exec, exec, s[42:43]
.LBB316_162:                            ;   in Loop: Header=BB316_13 Depth=1
	s_or_b64 exec, exec, s[6:7]
	global_load_dword v31, v[29:30], off offset:1536
	v_mov_b32_e32 v44, 0
	v_mov_b32_e32 v47, 0
	s_waitcnt vmcnt(0)
	v_cmp_ne_u16_sdwa s[4:5], v31, v45 src0_sel:BYTE_0 src1_sel:DWORD
	s_and_saveexec_b64 s[6:7], s[4:5]
	s_cbranch_execz .LBB316_168
; %bb.163:                              ;   in Loop: Header=BB316_13 Depth=1
	v_cmp_ne_u16_sdwa s[4:5], v31, s52 src0_sel:BYTE_0 src1_sel:DWORD
	v_bfrev_b32_e32 v47, 1
	s_and_saveexec_b64 s[42:43], s[4:5]
	s_cbranch_execz .LBB316_167
; %bb.164:                              ;   in Loop: Header=BB316_13 Depth=1
	v_and_b32_e32 v0, 0x7f, v31
	v_cmp_ne_u32_e64 s[4:5], s53, v0
	v_mov_b32_e32 v47, 0x7f800001
	s_and_saveexec_b64 s[44:45], s[4:5]
	s_cbranch_execz .LBB316_166
; %bb.165:                              ;   in Loop: Header=BB316_13 Depth=1
	v_and_b32_e32 v32, 7, v31
	v_lshrrev_b32_e32 v33, 3, v0
	v_cmp_gt_u32_e64 s[4:5], 8, v0
	v_ffbh_u32_e32 v0, v32
	v_min_u32_e32 v0, 32, v0
	v_subrev_u32_e32 v25, 28, v0
	v_lshlrev_b64 v[25:26], v25, v[31:32]
	v_sub_u32_e32 v0, 29, v0
	v_and_b32_e32 v25, 7, v25
	v_cndmask_b32_e64 v0, v33, v0, s[4:5]
	v_cndmask_b32_e64 v25, v32, v25, s[4:5]
	v_lshlrev_b32_e32 v26, 24, v31
	v_bfrev_b32_e32 v1, 60
	v_lshlrev_b32_e32 v25, 20, v25
	v_and_b32_e32 v26, 0x80000000, v26
	v_lshl_add_u32 v0, v0, 23, v1
	v_or3_b32 v47, v26, v0, v25
.LBB316_166:                            ;   in Loop: Header=BB316_13 Depth=1
	s_or_b64 exec, exec, s[44:45]
.LBB316_167:                            ;   in Loop: Header=BB316_13 Depth=1
	s_or_b64 exec, exec, s[42:43]
.LBB316_168:                            ;   in Loop: Header=BB316_13 Depth=1
	s_or_b64 exec, exec, s[6:7]
	v_lshrrev_b16_e32 v32, 8, v31
	v_cmp_ne_u16_e64 s[4:5], 0, v32
	s_and_saveexec_b64 s[6:7], s[4:5]
	s_cbranch_execz .LBB316_174
; %bb.169:                              ;   in Loop: Header=BB316_13 Depth=1
	v_cmp_ne_u16_e64 s[4:5], s52, v32
	v_bfrev_b32_e32 v44, 1
	s_and_saveexec_b64 s[42:43], s[4:5]
	s_cbranch_execz .LBB316_173
; %bb.170:                              ;   in Loop: Header=BB316_13 Depth=1
	v_and_b32_e32 v0, 0x7f, v32
	v_cmp_ne_u32_e64 s[4:5], s53, v0
	v_mov_b32_e32 v44, 0x7f800001
	s_and_saveexec_b64 s[44:45], s[4:5]
	s_cbranch_execz .LBB316_172
; %bb.171:                              ;   in Loop: Header=BB316_13 Depth=1
	v_and_b32_e32 v33, 7, v32
	v_lshrrev_b32_e32 v34, 3, v0
	v_cmp_gt_u32_e64 s[4:5], 8, v0
	v_ffbh_u32_e32 v0, v33
	v_min_u32_e32 v0, 32, v0
	v_subrev_u32_e32 v25, 28, v0
	v_lshlrev_b64 v[25:26], v25, v[32:33]
	v_sub_u32_e32 v0, 29, v0
	v_and_b32_e32 v25, 7, v25
	v_cndmask_b32_e64 v0, v34, v0, s[4:5]
	v_cndmask_b32_e64 v25, v33, v25, s[4:5]
	v_lshlrev_b32_e32 v26, 16, v31
	v_bfrev_b32_e32 v1, 60
	v_lshlrev_b32_e32 v25, 20, v25
	v_and_b32_e32 v26, 0x80000000, v26
	v_lshl_add_u32 v0, v0, 23, v1
	v_or3_b32 v44, v26, v0, v25
.LBB316_172:                            ;   in Loop: Header=BB316_13 Depth=1
	s_or_b64 exec, exec, s[44:45]
.LBB316_173:                            ;   in Loop: Header=BB316_13 Depth=1
	s_or_b64 exec, exec, s[42:43]
.LBB316_174:                            ;   in Loop: Header=BB316_13 Depth=1
	s_or_b64 exec, exec, s[6:7]
	v_lshrrev_b32_e32 v32, 16, v31
	v_cmp_ne_u16_sdwa s[4:5], v32, v45 src0_sel:BYTE_0 src1_sel:DWORD
	v_mov_b32_e32 v48, 0
	v_mov_b32_e32 v49, 0
	s_and_saveexec_b64 s[6:7], s[4:5]
	s_cbranch_execz .LBB316_180
; %bb.175:                              ;   in Loop: Header=BB316_13 Depth=1
	v_cmp_ne_u16_sdwa s[4:5], v32, s52 src0_sel:BYTE_0 src1_sel:DWORD
	v_bfrev_b32_e32 v49, 1
	s_and_saveexec_b64 s[42:43], s[4:5]
	s_cbranch_execz .LBB316_179
; %bb.176:                              ;   in Loop: Header=BB316_13 Depth=1
	v_bfe_u32 v0, v31, 16, 7
	v_cmp_ne_u32_e64 s[4:5], s53, v0
	v_mov_b32_e32 v49, 0x7f800001
	s_and_saveexec_b64 s[44:45], s[4:5]
	s_cbranch_execz .LBB316_178
; %bb.177:                              ;   in Loop: Header=BB316_13 Depth=1
	v_and_b32_e32 v33, 7, v32
	v_lshrrev_b32_e32 v34, 3, v0
	v_cmp_gt_u32_e64 s[4:5], 8, v0
	v_ffbh_u32_e32 v0, v33
	v_min_u32_e32 v0, 32, v0
	v_subrev_u32_e32 v25, 28, v0
	v_lshlrev_b64 v[25:26], v25, v[32:33]
	v_sub_u32_e32 v0, 29, v0
	v_and_b32_e32 v25, 7, v25
	v_cndmask_b32_e64 v0, v34, v0, s[4:5]
	v_cndmask_b32_e64 v25, v33, v25, s[4:5]
	v_lshlrev_b32_e32 v26, 24, v32
	v_bfrev_b32_e32 v1, 60
	v_lshlrev_b32_e32 v25, 20, v25
	v_and_b32_e32 v26, 0x80000000, v26
	v_lshl_add_u32 v0, v0, 23, v1
	v_or3_b32 v49, v26, v0, v25
.LBB316_178:                            ;   in Loop: Header=BB316_13 Depth=1
	s_or_b64 exec, exec, s[44:45]
.LBB316_179:                            ;   in Loop: Header=BB316_13 Depth=1
	s_or_b64 exec, exec, s[42:43]
.LBB316_180:                            ;   in Loop: Header=BB316_13 Depth=1
	s_or_b64 exec, exec, s[6:7]
	v_cmp_lt_u32_e64 s[4:5], s54, v31
	s_and_saveexec_b64 s[6:7], s[4:5]
	s_cbranch_execz .LBB316_186
; %bb.181:                              ;   in Loop: Header=BB316_13 Depth=1
	v_lshrrev_b32_e32 v32, 24, v31
	v_cmp_ne_u32_e64 s[4:5], s52, v32
	v_bfrev_b32_e32 v48, 1
	s_and_saveexec_b64 s[42:43], s[4:5]
	s_cbranch_execz .LBB316_185
; %bb.182:                              ;   in Loop: Header=BB316_13 Depth=1
	v_bfe_u32 v0, v31, 24, 7
	v_cmp_ne_u32_e64 s[4:5], s53, v0
	v_mov_b32_e32 v48, 0x7f800001
	s_and_saveexec_b64 s[44:45], s[4:5]
	s_cbranch_execz .LBB316_184
; %bb.183:                              ;   in Loop: Header=BB316_13 Depth=1
	v_and_b32_e32 v31, 7, v32
	v_lshrrev_b32_e32 v33, 3, v0
	v_cmp_gt_u32_e64 s[4:5], 8, v0
	v_ffbh_u32_e32 v0, v31
	v_min_u32_e32 v0, 32, v0
	v_subrev_u32_e32 v25, 28, v0
	v_lshlrev_b64 v[25:26], v25, v[32:33]
	v_sub_u32_e32 v0, 29, v0
	v_and_b32_e32 v25, 7, v25
	v_cndmask_b32_e64 v0, v33, v0, s[4:5]
	v_cndmask_b32_e64 v25, v31, v25, s[4:5]
	v_lshlrev_b32_e32 v26, 24, v32
	v_bfrev_b32_e32 v1, 60
	v_lshlrev_b32_e32 v25, 20, v25
	v_and_b32_e32 v26, 0x80000000, v26
	v_lshl_add_u32 v0, v0, 23, v1
	v_or3_b32 v48, v26, v0, v25
.LBB316_184:                            ;   in Loop: Header=BB316_13 Depth=1
	s_or_b64 exec, exec, s[44:45]
.LBB316_185:                            ;   in Loop: Header=BB316_13 Depth=1
	s_or_b64 exec, exec, s[42:43]
.LBB316_186:                            ;   in Loop: Header=BB316_13 Depth=1
	s_or_b64 exec, exec, s[6:7]
	global_load_dword v31, v[29:30], off offset:1544
	v_mov_b32_e32 v50, 0
	v_mov_b32_e32 v51, 0
	s_waitcnt vmcnt(0)
	v_cmp_ne_u16_sdwa s[4:5], v31, v45 src0_sel:BYTE_0 src1_sel:DWORD
	s_and_saveexec_b64 s[6:7], s[4:5]
	s_cbranch_execz .LBB316_192
; %bb.187:                              ;   in Loop: Header=BB316_13 Depth=1
	v_cmp_ne_u16_sdwa s[4:5], v31, s52 src0_sel:BYTE_0 src1_sel:DWORD
	v_bfrev_b32_e32 v51, 1
	s_and_saveexec_b64 s[42:43], s[4:5]
	s_cbranch_execz .LBB316_191
; %bb.188:                              ;   in Loop: Header=BB316_13 Depth=1
	v_and_b32_e32 v0, 0x7f, v31
	v_cmp_ne_u32_e64 s[4:5], s53, v0
	v_mov_b32_e32 v51, 0x7f800001
	s_and_saveexec_b64 s[44:45], s[4:5]
	s_cbranch_execz .LBB316_190
; %bb.189:                              ;   in Loop: Header=BB316_13 Depth=1
	v_and_b32_e32 v32, 7, v31
	v_lshrrev_b32_e32 v33, 3, v0
	v_cmp_gt_u32_e64 s[4:5], 8, v0
	v_ffbh_u32_e32 v0, v32
	v_min_u32_e32 v0, 32, v0
	v_subrev_u32_e32 v25, 28, v0
	v_lshlrev_b64 v[25:26], v25, v[31:32]
	v_sub_u32_e32 v0, 29, v0
	v_and_b32_e32 v25, 7, v25
	v_cndmask_b32_e64 v0, v33, v0, s[4:5]
	v_cndmask_b32_e64 v25, v32, v25, s[4:5]
	v_lshlrev_b32_e32 v26, 24, v31
	v_bfrev_b32_e32 v1, 60
	v_lshlrev_b32_e32 v25, 20, v25
	v_and_b32_e32 v26, 0x80000000, v26
	v_lshl_add_u32 v0, v0, 23, v1
	v_or3_b32 v51, v26, v0, v25
.LBB316_190:                            ;   in Loop: Header=BB316_13 Depth=1
	s_or_b64 exec, exec, s[44:45]
.LBB316_191:                            ;   in Loop: Header=BB316_13 Depth=1
	s_or_b64 exec, exec, s[42:43]
.LBB316_192:                            ;   in Loop: Header=BB316_13 Depth=1
	s_or_b64 exec, exec, s[6:7]
	v_lshrrev_b16_e32 v32, 8, v31
	v_cmp_ne_u16_e64 s[4:5], 0, v32
	s_and_saveexec_b64 s[6:7], s[4:5]
	s_cbranch_execz .LBB316_198
; %bb.193:                              ;   in Loop: Header=BB316_13 Depth=1
	v_cmp_ne_u16_e64 s[4:5], s52, v32
	v_bfrev_b32_e32 v50, 1
	s_and_saveexec_b64 s[42:43], s[4:5]
	s_cbranch_execz .LBB316_197
; %bb.194:                              ;   in Loop: Header=BB316_13 Depth=1
	v_and_b32_e32 v0, 0x7f, v32
	v_cmp_ne_u32_e64 s[4:5], s53, v0
	v_mov_b32_e32 v50, 0x7f800001
	s_and_saveexec_b64 s[44:45], s[4:5]
	s_cbranch_execz .LBB316_196
; %bb.195:                              ;   in Loop: Header=BB316_13 Depth=1
	v_and_b32_e32 v33, 7, v32
	v_lshrrev_b32_e32 v34, 3, v0
	v_cmp_gt_u32_e64 s[4:5], 8, v0
	v_ffbh_u32_e32 v0, v33
	v_min_u32_e32 v0, 32, v0
	v_subrev_u32_e32 v25, 28, v0
	v_lshlrev_b64 v[25:26], v25, v[32:33]
	v_sub_u32_e32 v0, 29, v0
	v_and_b32_e32 v25, 7, v25
	v_cndmask_b32_e64 v0, v34, v0, s[4:5]
	v_cndmask_b32_e64 v25, v33, v25, s[4:5]
	v_lshlrev_b32_e32 v26, 16, v31
	v_bfrev_b32_e32 v1, 60
	v_lshlrev_b32_e32 v25, 20, v25
	v_and_b32_e32 v26, 0x80000000, v26
	v_lshl_add_u32 v0, v0, 23, v1
	v_or3_b32 v50, v26, v0, v25
.LBB316_196:                            ;   in Loop: Header=BB316_13 Depth=1
	s_or_b64 exec, exec, s[44:45]
.LBB316_197:                            ;   in Loop: Header=BB316_13 Depth=1
	s_or_b64 exec, exec, s[42:43]
.LBB316_198:                            ;   in Loop: Header=BB316_13 Depth=1
	s_or_b64 exec, exec, s[6:7]
	v_lshrrev_b32_e32 v32, 16, v31
	v_cmp_ne_u16_sdwa s[4:5], v32, v45 src0_sel:BYTE_0 src1_sel:DWORD
	v_mov_b32_e32 v41, 0
	v_mov_b32_e32 v43, 0
	s_and_saveexec_b64 s[6:7], s[4:5]
	s_cbranch_execz .LBB316_204
; %bb.199:                              ;   in Loop: Header=BB316_13 Depth=1
	v_cmp_ne_u16_sdwa s[4:5], v32, s52 src0_sel:BYTE_0 src1_sel:DWORD
	v_bfrev_b32_e32 v43, 1
	s_and_saveexec_b64 s[42:43], s[4:5]
	s_cbranch_execz .LBB316_203
; %bb.200:                              ;   in Loop: Header=BB316_13 Depth=1
	v_bfe_u32 v0, v31, 16, 7
	v_cmp_ne_u32_e64 s[4:5], s53, v0
	v_mov_b32_e32 v43, 0x7f800001
	s_and_saveexec_b64 s[44:45], s[4:5]
	s_cbranch_execz .LBB316_202
; %bb.201:                              ;   in Loop: Header=BB316_13 Depth=1
	v_and_b32_e32 v33, 7, v32
	v_lshrrev_b32_e32 v34, 3, v0
	v_cmp_gt_u32_e64 s[4:5], 8, v0
	v_ffbh_u32_e32 v0, v33
	v_min_u32_e32 v0, 32, v0
	v_subrev_u32_e32 v25, 28, v0
	v_lshlrev_b64 v[25:26], v25, v[32:33]
	v_sub_u32_e32 v0, 29, v0
	v_and_b32_e32 v25, 7, v25
	v_cndmask_b32_e64 v0, v34, v0, s[4:5]
	v_cndmask_b32_e64 v25, v33, v25, s[4:5]
	v_lshlrev_b32_e32 v26, 24, v32
	v_bfrev_b32_e32 v1, 60
	v_lshlrev_b32_e32 v25, 20, v25
	v_and_b32_e32 v26, 0x80000000, v26
	v_lshl_add_u32 v0, v0, 23, v1
	v_or3_b32 v43, v26, v0, v25
.LBB316_202:                            ;   in Loop: Header=BB316_13 Depth=1
	s_or_b64 exec, exec, s[44:45]
.LBB316_203:                            ;   in Loop: Header=BB316_13 Depth=1
	s_or_b64 exec, exec, s[42:43]
.LBB316_204:                            ;   in Loop: Header=BB316_13 Depth=1
	s_or_b64 exec, exec, s[6:7]
	v_cmp_lt_u32_e64 s[4:5], s54, v31
	s_and_saveexec_b64 s[6:7], s[4:5]
	s_cbranch_execz .LBB316_210
; %bb.205:                              ;   in Loop: Header=BB316_13 Depth=1
	v_lshrrev_b32_e32 v32, 24, v31
	v_cmp_ne_u32_e64 s[4:5], s52, v32
	v_bfrev_b32_e32 v41, 1
	s_and_saveexec_b64 s[42:43], s[4:5]
	s_cbranch_execz .LBB316_209
; %bb.206:                              ;   in Loop: Header=BB316_13 Depth=1
	v_bfe_u32 v0, v31, 24, 7
	v_cmp_ne_u32_e64 s[4:5], s53, v0
	v_mov_b32_e32 v41, 0x7f800001
	s_and_saveexec_b64 s[44:45], s[4:5]
	s_cbranch_execz .LBB316_208
; %bb.207:                              ;   in Loop: Header=BB316_13 Depth=1
	v_and_b32_e32 v31, 7, v32
	v_lshrrev_b32_e32 v33, 3, v0
	v_cmp_gt_u32_e64 s[4:5], 8, v0
	v_ffbh_u32_e32 v0, v31
	v_min_u32_e32 v0, 32, v0
	v_subrev_u32_e32 v25, 28, v0
	v_lshlrev_b64 v[25:26], v25, v[32:33]
	v_sub_u32_e32 v0, 29, v0
	v_and_b32_e32 v25, 7, v25
	v_cndmask_b32_e64 v0, v33, v0, s[4:5]
	v_cndmask_b32_e64 v25, v31, v25, s[4:5]
	v_lshlrev_b32_e32 v26, 24, v32
	v_bfrev_b32_e32 v1, 60
	v_lshlrev_b32_e32 v25, 20, v25
	v_and_b32_e32 v26, 0x80000000, v26
	v_lshl_add_u32 v0, v0, 23, v1
	v_or3_b32 v41, v26, v0, v25
.LBB316_208:                            ;   in Loop: Header=BB316_13 Depth=1
	s_or_b64 exec, exec, s[44:45]
.LBB316_209:                            ;   in Loop: Header=BB316_13 Depth=1
	s_or_b64 exec, exec, s[42:43]
.LBB316_210:                            ;   in Loop: Header=BB316_13 Depth=1
	s_or_b64 exec, exec, s[6:7]
	global_load_dword v31, v[29:30], off offset:2048
	v_mov_b32_e32 v53, 0
	v_mov_b32_e32 v52, 0
	s_waitcnt vmcnt(0)
	v_cmp_ne_u16_sdwa s[4:5], v31, v45 src0_sel:BYTE_0 src1_sel:DWORD
	s_and_saveexec_b64 s[6:7], s[4:5]
	s_cbranch_execz .LBB316_216
; %bb.211:                              ;   in Loop: Header=BB316_13 Depth=1
	v_cmp_ne_u16_sdwa s[4:5], v31, s52 src0_sel:BYTE_0 src1_sel:DWORD
	v_bfrev_b32_e32 v52, 1
	s_and_saveexec_b64 s[42:43], s[4:5]
	s_cbranch_execz .LBB316_215
; %bb.212:                              ;   in Loop: Header=BB316_13 Depth=1
	v_and_b32_e32 v0, 0x7f, v31
	v_cmp_ne_u32_e64 s[4:5], s53, v0
	v_mov_b32_e32 v52, 0x7f800001
	s_and_saveexec_b64 s[44:45], s[4:5]
	s_cbranch_execz .LBB316_214
; %bb.213:                              ;   in Loop: Header=BB316_13 Depth=1
	v_and_b32_e32 v32, 7, v31
	v_lshrrev_b32_e32 v33, 3, v0
	v_cmp_gt_u32_e64 s[4:5], 8, v0
	v_ffbh_u32_e32 v0, v32
	v_min_u32_e32 v0, 32, v0
	v_subrev_u32_e32 v25, 28, v0
	v_lshlrev_b64 v[25:26], v25, v[31:32]
	v_sub_u32_e32 v0, 29, v0
	v_and_b32_e32 v25, 7, v25
	v_cndmask_b32_e64 v0, v33, v0, s[4:5]
	v_cndmask_b32_e64 v25, v32, v25, s[4:5]
	v_lshlrev_b32_e32 v26, 24, v31
	v_bfrev_b32_e32 v1, 60
	v_lshlrev_b32_e32 v25, 20, v25
	v_and_b32_e32 v26, 0x80000000, v26
	v_lshl_add_u32 v0, v0, 23, v1
	v_or3_b32 v52, v26, v0, v25
.LBB316_214:                            ;   in Loop: Header=BB316_13 Depth=1
	s_or_b64 exec, exec, s[44:45]
.LBB316_215:                            ;   in Loop: Header=BB316_13 Depth=1
	s_or_b64 exec, exec, s[42:43]
.LBB316_216:                            ;   in Loop: Header=BB316_13 Depth=1
	s_or_b64 exec, exec, s[6:7]
	v_lshrrev_b16_e32 v32, 8, v31
	v_cmp_ne_u16_e64 s[4:5], 0, v32
	s_and_saveexec_b64 s[6:7], s[4:5]
	s_cbranch_execz .LBB316_222
; %bb.217:                              ;   in Loop: Header=BB316_13 Depth=1
	v_cmp_ne_u16_e64 s[4:5], s52, v32
	v_bfrev_b32_e32 v53, 1
	s_and_saveexec_b64 s[42:43], s[4:5]
	s_cbranch_execz .LBB316_221
; %bb.218:                              ;   in Loop: Header=BB316_13 Depth=1
	v_and_b32_e32 v0, 0x7f, v32
	v_cmp_ne_u32_e64 s[4:5], s53, v0
	v_mov_b32_e32 v53, 0x7f800001
	s_and_saveexec_b64 s[44:45], s[4:5]
	s_cbranch_execz .LBB316_220
; %bb.219:                              ;   in Loop: Header=BB316_13 Depth=1
	v_and_b32_e32 v33, 7, v32
	v_lshrrev_b32_e32 v34, 3, v0
	v_cmp_gt_u32_e64 s[4:5], 8, v0
	v_ffbh_u32_e32 v0, v33
	v_min_u32_e32 v0, 32, v0
	v_subrev_u32_e32 v25, 28, v0
	v_lshlrev_b64 v[25:26], v25, v[32:33]
	v_sub_u32_e32 v0, 29, v0
	v_and_b32_e32 v25, 7, v25
	v_cndmask_b32_e64 v0, v34, v0, s[4:5]
	v_cndmask_b32_e64 v25, v33, v25, s[4:5]
	v_lshlrev_b32_e32 v26, 16, v31
	v_bfrev_b32_e32 v1, 60
	v_lshlrev_b32_e32 v25, 20, v25
	v_and_b32_e32 v26, 0x80000000, v26
	v_lshl_add_u32 v0, v0, 23, v1
	v_or3_b32 v53, v26, v0, v25
.LBB316_220:                            ;   in Loop: Header=BB316_13 Depth=1
	s_or_b64 exec, exec, s[44:45]
.LBB316_221:                            ;   in Loop: Header=BB316_13 Depth=1
	s_or_b64 exec, exec, s[42:43]
.LBB316_222:                            ;   in Loop: Header=BB316_13 Depth=1
	s_or_b64 exec, exec, s[6:7]
	v_lshrrev_b32_e32 v32, 16, v31
	v_cmp_ne_u16_sdwa s[4:5], v32, v45 src0_sel:BYTE_0 src1_sel:DWORD
	v_mov_b32_e32 v63, 0
	v_mov_b32_e32 v0, 0
	buffer_store_dword v0, off, s[60:63], 0 offset:16 ; 4-byte Folded Spill
	s_and_saveexec_b64 s[6:7], s[4:5]
	s_cbranch_execz .LBB316_228
; %bb.223:                              ;   in Loop: Header=BB316_13 Depth=1
	v_cmp_ne_u16_sdwa s[4:5], v32, s52 src0_sel:BYTE_0 src1_sel:DWORD
	v_bfrev_b32_e32 v0, 1
	buffer_store_dword v0, off, s[60:63], 0 offset:16 ; 4-byte Folded Spill
	s_and_saveexec_b64 s[42:43], s[4:5]
	s_cbranch_execz .LBB316_227
; %bb.224:                              ;   in Loop: Header=BB316_13 Depth=1
	v_bfe_u32 v0, v31, 16, 7
	v_cmp_ne_u32_e64 s[4:5], s53, v0
	v_mov_b32_e32 v1, 0x7f800001
	buffer_store_dword v1, off, s[60:63], 0 offset:16 ; 4-byte Folded Spill
	s_and_saveexec_b64 s[44:45], s[4:5]
	s_cbranch_execz .LBB316_226
; %bb.225:                              ;   in Loop: Header=BB316_13 Depth=1
	v_and_b32_e32 v33, 7, v32
	v_lshrrev_b32_e32 v34, 3, v0
	v_cmp_gt_u32_e64 s[4:5], 8, v0
	v_ffbh_u32_e32 v0, v33
	v_min_u32_e32 v0, 32, v0
	v_subrev_u32_e32 v25, 28, v0
	v_lshlrev_b64 v[25:26], v25, v[32:33]
	v_sub_u32_e32 v0, 29, v0
	v_and_b32_e32 v25, 7, v25
	v_cndmask_b32_e64 v0, v34, v0, s[4:5]
	v_cndmask_b32_e64 v25, v33, v25, s[4:5]
	v_lshlrev_b32_e32 v26, 24, v32
	v_bfrev_b32_e32 v1, 60
	v_lshlrev_b32_e32 v25, 20, v25
	v_and_b32_e32 v26, 0x80000000, v26
	v_lshl_add_u32 v0, v0, 23, v1
	v_or3_b32 v0, v26, v0, v25
	buffer_store_dword v0, off, s[60:63], 0 offset:16 ; 4-byte Folded Spill
.LBB316_226:                            ;   in Loop: Header=BB316_13 Depth=1
	s_or_b64 exec, exec, s[44:45]
.LBB316_227:                            ;   in Loop: Header=BB316_13 Depth=1
	s_or_b64 exec, exec, s[42:43]
.LBB316_228:                            ;   in Loop: Header=BB316_13 Depth=1
	s_or_b64 exec, exec, s[6:7]
	v_cmp_lt_u32_e64 s[4:5], s54, v31
	s_and_saveexec_b64 s[6:7], s[4:5]
	s_cbranch_execz .LBB316_234
; %bb.229:                              ;   in Loop: Header=BB316_13 Depth=1
	v_lshrrev_b32_e32 v32, 24, v31
	v_cmp_ne_u32_e64 s[4:5], s52, v32
	v_bfrev_b32_e32 v63, 1
	s_and_saveexec_b64 s[42:43], s[4:5]
	s_cbranch_execz .LBB316_233
; %bb.230:                              ;   in Loop: Header=BB316_13 Depth=1
	v_bfe_u32 v0, v31, 24, 7
	v_cmp_ne_u32_e64 s[4:5], s53, v0
	v_mov_b32_e32 v63, 0x7f800001
	s_and_saveexec_b64 s[44:45], s[4:5]
	s_cbranch_execz .LBB316_232
; %bb.231:                              ;   in Loop: Header=BB316_13 Depth=1
	v_and_b32_e32 v31, 7, v32
	v_lshrrev_b32_e32 v33, 3, v0
	v_cmp_gt_u32_e64 s[4:5], 8, v0
	v_ffbh_u32_e32 v0, v31
	v_min_u32_e32 v0, 32, v0
	v_subrev_u32_e32 v25, 28, v0
	v_lshlrev_b64 v[25:26], v25, v[32:33]
	v_sub_u32_e32 v0, 29, v0
	v_and_b32_e32 v25, 7, v25
	v_cndmask_b32_e64 v0, v33, v0, s[4:5]
	v_cndmask_b32_e64 v25, v31, v25, s[4:5]
	v_lshlrev_b32_e32 v26, 24, v32
	v_bfrev_b32_e32 v1, 60
	v_lshlrev_b32_e32 v25, 20, v25
	v_and_b32_e32 v26, 0x80000000, v26
	v_lshl_add_u32 v0, v0, 23, v1
	v_or3_b32 v63, v26, v0, v25
.LBB316_232:                            ;   in Loop: Header=BB316_13 Depth=1
	s_or_b64 exec, exec, s[44:45]
.LBB316_233:                            ;   in Loop: Header=BB316_13 Depth=1
	s_or_b64 exec, exec, s[42:43]
.LBB316_234:                            ;   in Loop: Header=BB316_13 Depth=1
	s_or_b64 exec, exec, s[6:7]
	global_load_dword v31, v[29:30], off offset:2056
	v_mov_b32_e32 v0, 0
	buffer_store_dword v0, off, s[60:63], 0 offset:24 ; 4-byte Folded Spill
	v_mov_b32_e32 v0, 0
	buffer_store_dword v0, off, s[60:63], 0 offset:20 ; 4-byte Folded Spill
	s_waitcnt vmcnt(2)
	v_cmp_ne_u16_sdwa s[4:5], v31, v45 src0_sel:BYTE_0 src1_sel:DWORD
	s_and_saveexec_b64 s[6:7], s[4:5]
	s_cbranch_execz .LBB316_240
; %bb.235:                              ;   in Loop: Header=BB316_13 Depth=1
	v_cmp_ne_u16_sdwa s[4:5], v31, s52 src0_sel:BYTE_0 src1_sel:DWORD
	v_bfrev_b32_e32 v0, 1
	buffer_store_dword v0, off, s[60:63], 0 offset:20 ; 4-byte Folded Spill
	s_and_saveexec_b64 s[42:43], s[4:5]
	s_cbranch_execz .LBB316_239
; %bb.236:                              ;   in Loop: Header=BB316_13 Depth=1
	v_and_b32_e32 v0, 0x7f, v31
	v_cmp_ne_u32_e64 s[4:5], s53, v0
	v_mov_b32_e32 v1, 0x7f800001
	buffer_store_dword v1, off, s[60:63], 0 offset:20 ; 4-byte Folded Spill
	s_and_saveexec_b64 s[44:45], s[4:5]
	s_cbranch_execz .LBB316_238
; %bb.237:                              ;   in Loop: Header=BB316_13 Depth=1
	v_and_b32_e32 v32, 7, v31
	v_lshrrev_b32_e32 v33, 3, v0
	v_cmp_gt_u32_e64 s[4:5], 8, v0
	v_ffbh_u32_e32 v0, v32
	v_min_u32_e32 v0, 32, v0
	v_subrev_u32_e32 v25, 28, v0
	v_lshlrev_b64 v[25:26], v25, v[31:32]
	v_sub_u32_e32 v0, 29, v0
	v_and_b32_e32 v25, 7, v25
	v_cndmask_b32_e64 v0, v33, v0, s[4:5]
	v_cndmask_b32_e64 v25, v32, v25, s[4:5]
	v_lshlrev_b32_e32 v26, 24, v31
	v_bfrev_b32_e32 v1, 60
	v_lshlrev_b32_e32 v25, 20, v25
	v_and_b32_e32 v26, 0x80000000, v26
	v_lshl_add_u32 v0, v0, 23, v1
	v_or3_b32 v0, v26, v0, v25
	buffer_store_dword v0, off, s[60:63], 0 offset:20 ; 4-byte Folded Spill
.LBB316_238:                            ;   in Loop: Header=BB316_13 Depth=1
	s_or_b64 exec, exec, s[44:45]
.LBB316_239:                            ;   in Loop: Header=BB316_13 Depth=1
	s_or_b64 exec, exec, s[42:43]
.LBB316_240:                            ;   in Loop: Header=BB316_13 Depth=1
	s_or_b64 exec, exec, s[6:7]
	v_lshrrev_b16_e32 v32, 8, v31
	v_cmp_ne_u16_e64 s[4:5], 0, v32
	s_and_saveexec_b64 s[6:7], s[4:5]
	s_cbranch_execz .LBB316_246
; %bb.241:                              ;   in Loop: Header=BB316_13 Depth=1
	v_cmp_ne_u16_e64 s[4:5], s52, v32
	v_bfrev_b32_e32 v0, 1
	buffer_store_dword v0, off, s[60:63], 0 offset:24 ; 4-byte Folded Spill
	s_and_saveexec_b64 s[42:43], s[4:5]
	s_cbranch_execz .LBB316_245
; %bb.242:                              ;   in Loop: Header=BB316_13 Depth=1
	v_and_b32_e32 v0, 0x7f, v32
	v_cmp_ne_u32_e64 s[4:5], s53, v0
	v_mov_b32_e32 v1, 0x7f800001
	buffer_store_dword v1, off, s[60:63], 0 offset:24 ; 4-byte Folded Spill
	s_and_saveexec_b64 s[44:45], s[4:5]
	s_cbranch_execz .LBB316_244
; %bb.243:                              ;   in Loop: Header=BB316_13 Depth=1
	v_and_b32_e32 v33, 7, v32
	v_lshrrev_b32_e32 v34, 3, v0
	v_cmp_gt_u32_e64 s[4:5], 8, v0
	v_ffbh_u32_e32 v0, v33
	v_min_u32_e32 v0, 32, v0
	v_subrev_u32_e32 v25, 28, v0
	v_lshlrev_b64 v[25:26], v25, v[32:33]
	v_sub_u32_e32 v0, 29, v0
	v_and_b32_e32 v25, 7, v25
	v_cndmask_b32_e64 v0, v34, v0, s[4:5]
	v_cndmask_b32_e64 v25, v33, v25, s[4:5]
	v_lshlrev_b32_e32 v26, 16, v31
	v_bfrev_b32_e32 v1, 60
	v_lshlrev_b32_e32 v25, 20, v25
	v_and_b32_e32 v26, 0x80000000, v26
	v_lshl_add_u32 v0, v0, 23, v1
	v_or3_b32 v0, v26, v0, v25
	buffer_store_dword v0, off, s[60:63], 0 offset:24 ; 4-byte Folded Spill
.LBB316_244:                            ;   in Loop: Header=BB316_13 Depth=1
	s_or_b64 exec, exec, s[44:45]
.LBB316_245:                            ;   in Loop: Header=BB316_13 Depth=1
	s_or_b64 exec, exec, s[42:43]
.LBB316_246:                            ;   in Loop: Header=BB316_13 Depth=1
	s_or_b64 exec, exec, s[6:7]
	v_lshrrev_b32_e32 v32, 16, v31
	v_mov_b32_e32 v0, 0
	v_cmp_ne_u16_sdwa s[4:5], v32, v45 src0_sel:BYTE_0 src1_sel:DWORD
	buffer_store_dword v0, off, s[60:63], 0 offset:80 ; 4-byte Folded Spill
	v_mov_b32_e32 v0, 0
	buffer_store_dword v0, off, s[60:63], 0 offset:28 ; 4-byte Folded Spill
	s_and_saveexec_b64 s[6:7], s[4:5]
	s_cbranch_execz .LBB316_252
; %bb.247:                              ;   in Loop: Header=BB316_13 Depth=1
	v_cmp_ne_u16_sdwa s[4:5], v32, s52 src0_sel:BYTE_0 src1_sel:DWORD
	v_bfrev_b32_e32 v0, 1
	buffer_store_dword v0, off, s[60:63], 0 offset:28 ; 4-byte Folded Spill
	s_and_saveexec_b64 s[42:43], s[4:5]
	s_cbranch_execz .LBB316_251
; %bb.248:                              ;   in Loop: Header=BB316_13 Depth=1
	v_bfe_u32 v0, v31, 16, 7
	v_cmp_ne_u32_e64 s[4:5], s53, v0
	v_mov_b32_e32 v1, 0x7f800001
	buffer_store_dword v1, off, s[60:63], 0 offset:28 ; 4-byte Folded Spill
	s_and_saveexec_b64 s[44:45], s[4:5]
	s_cbranch_execz .LBB316_250
; %bb.249:                              ;   in Loop: Header=BB316_13 Depth=1
	v_and_b32_e32 v33, 7, v32
	v_lshrrev_b32_e32 v34, 3, v0
	v_cmp_gt_u32_e64 s[4:5], 8, v0
	v_ffbh_u32_e32 v0, v33
	v_min_u32_e32 v0, 32, v0
	v_subrev_u32_e32 v25, 28, v0
	v_lshlrev_b64 v[25:26], v25, v[32:33]
	v_sub_u32_e32 v0, 29, v0
	v_and_b32_e32 v25, 7, v25
	v_cndmask_b32_e64 v0, v34, v0, s[4:5]
	v_cndmask_b32_e64 v25, v33, v25, s[4:5]
	v_lshlrev_b32_e32 v26, 24, v32
	v_bfrev_b32_e32 v1, 60
	v_lshlrev_b32_e32 v25, 20, v25
	v_and_b32_e32 v26, 0x80000000, v26
	v_lshl_add_u32 v0, v0, 23, v1
	v_or3_b32 v0, v26, v0, v25
	buffer_store_dword v0, off, s[60:63], 0 offset:28 ; 4-byte Folded Spill
.LBB316_250:                            ;   in Loop: Header=BB316_13 Depth=1
	s_or_b64 exec, exec, s[44:45]
.LBB316_251:                            ;   in Loop: Header=BB316_13 Depth=1
	s_or_b64 exec, exec, s[42:43]
.LBB316_252:                            ;   in Loop: Header=BB316_13 Depth=1
	s_or_b64 exec, exec, s[6:7]
	v_cmp_lt_u32_e64 s[4:5], s54, v31
	s_and_saveexec_b64 s[6:7], s[4:5]
	s_cbranch_execz .LBB316_258
; %bb.253:                              ;   in Loop: Header=BB316_13 Depth=1
	v_lshrrev_b32_e32 v32, 24, v31
	v_cmp_ne_u32_e64 s[4:5], s52, v32
	v_bfrev_b32_e32 v0, 1
	buffer_store_dword v0, off, s[60:63], 0 offset:80 ; 4-byte Folded Spill
	s_and_saveexec_b64 s[42:43], s[4:5]
	s_cbranch_execz .LBB316_257
; %bb.254:                              ;   in Loop: Header=BB316_13 Depth=1
	v_bfe_u32 v0, v31, 24, 7
	v_cmp_ne_u32_e64 s[4:5], s53, v0
	v_mov_b32_e32 v1, 0x7f800001
	s_and_saveexec_b64 s[44:45], s[4:5]
	s_cbranch_execz .LBB316_256
; %bb.255:                              ;   in Loop: Header=BB316_13 Depth=1
	v_and_b32_e32 v31, 7, v32
	v_lshrrev_b32_e32 v33, 3, v0
	v_cmp_gt_u32_e64 s[4:5], 8, v0
	v_ffbh_u32_e32 v0, v31
	v_min_u32_e32 v0, 32, v0
	v_subrev_u32_e32 v25, 28, v0
	v_lshlrev_b64 v[25:26], v25, v[32:33]
	v_sub_u32_e32 v0, 29, v0
	v_and_b32_e32 v25, 7, v25
	v_cndmask_b32_e64 v0, v33, v0, s[4:5]
	v_cndmask_b32_e64 v25, v31, v25, s[4:5]
	v_lshlrev_b32_e32 v26, 24, v32
	v_bfrev_b32_e32 v1, 60
	v_lshlrev_b32_e32 v25, 20, v25
	v_and_b32_e32 v26, 0x80000000, v26
	v_lshl_add_u32 v0, v0, 23, v1
	v_or3_b32 v1, v26, v0, v25
.LBB316_256:                            ;   in Loop: Header=BB316_13 Depth=1
	s_or_b64 exec, exec, s[44:45]
	buffer_store_dword v1, off, s[60:63], 0 offset:80 ; 4-byte Folded Spill
.LBB316_257:                            ;   in Loop: Header=BB316_13 Depth=1
	s_or_b64 exec, exec, s[42:43]
.LBB316_258:                            ;   in Loop: Header=BB316_13 Depth=1
	s_or_b64 exec, exec, s[6:7]
	global_load_dword v31, v[29:30], off offset:2560
	v_mov_b32_e32 v0, 0
	buffer_store_dword v0, off, s[60:63], 0 offset:36 ; 4-byte Folded Spill
	v_mov_b32_e32 v0, 0
	buffer_store_dword v0, off, s[60:63], 0 offset:32 ; 4-byte Folded Spill
	s_waitcnt vmcnt(2)
	v_cmp_ne_u16_sdwa s[4:5], v31, v45 src0_sel:BYTE_0 src1_sel:DWORD
	s_and_saveexec_b64 s[6:7], s[4:5]
	s_cbranch_execz .LBB316_264
; %bb.259:                              ;   in Loop: Header=BB316_13 Depth=1
	v_cmp_ne_u16_sdwa s[4:5], v31, s52 src0_sel:BYTE_0 src1_sel:DWORD
	v_bfrev_b32_e32 v0, 1
	buffer_store_dword v0, off, s[60:63], 0 offset:32 ; 4-byte Folded Spill
	s_and_saveexec_b64 s[42:43], s[4:5]
	s_cbranch_execz .LBB316_263
; %bb.260:                              ;   in Loop: Header=BB316_13 Depth=1
	v_and_b32_e32 v0, 0x7f, v31
	v_cmp_ne_u32_e64 s[4:5], s53, v0
	v_mov_b32_e32 v1, 0x7f800001
	buffer_store_dword v1, off, s[60:63], 0 offset:32 ; 4-byte Folded Spill
	s_and_saveexec_b64 s[44:45], s[4:5]
	s_cbranch_execz .LBB316_262
; %bb.261:                              ;   in Loop: Header=BB316_13 Depth=1
	v_and_b32_e32 v32, 7, v31
	v_lshrrev_b32_e32 v33, 3, v0
	v_cmp_gt_u32_e64 s[4:5], 8, v0
	v_ffbh_u32_e32 v0, v32
	v_min_u32_e32 v0, 32, v0
	v_subrev_u32_e32 v25, 28, v0
	v_lshlrev_b64 v[25:26], v25, v[31:32]
	v_sub_u32_e32 v0, 29, v0
	v_and_b32_e32 v25, 7, v25
	v_cndmask_b32_e64 v0, v33, v0, s[4:5]
	v_cndmask_b32_e64 v25, v32, v25, s[4:5]
	v_lshlrev_b32_e32 v26, 24, v31
	v_bfrev_b32_e32 v1, 60
	v_lshlrev_b32_e32 v25, 20, v25
	v_and_b32_e32 v26, 0x80000000, v26
	v_lshl_add_u32 v0, v0, 23, v1
	v_or3_b32 v0, v26, v0, v25
	buffer_store_dword v0, off, s[60:63], 0 offset:32 ; 4-byte Folded Spill
.LBB316_262:                            ;   in Loop: Header=BB316_13 Depth=1
	s_or_b64 exec, exec, s[44:45]
.LBB316_263:                            ;   in Loop: Header=BB316_13 Depth=1
	s_or_b64 exec, exec, s[42:43]
.LBB316_264:                            ;   in Loop: Header=BB316_13 Depth=1
	s_or_b64 exec, exec, s[6:7]
	v_lshrrev_b16_e32 v32, 8, v31
	v_cmp_ne_u16_e64 s[4:5], 0, v32
	s_and_saveexec_b64 s[6:7], s[4:5]
	s_cbranch_execz .LBB316_270
; %bb.265:                              ;   in Loop: Header=BB316_13 Depth=1
	v_cmp_ne_u16_e64 s[4:5], s52, v32
	v_bfrev_b32_e32 v0, 1
	buffer_store_dword v0, off, s[60:63], 0 offset:36 ; 4-byte Folded Spill
	s_and_saveexec_b64 s[42:43], s[4:5]
	s_cbranch_execz .LBB316_269
; %bb.266:                              ;   in Loop: Header=BB316_13 Depth=1
	v_and_b32_e32 v0, 0x7f, v32
	v_cmp_ne_u32_e64 s[4:5], s53, v0
	v_mov_b32_e32 v1, 0x7f800001
	buffer_store_dword v1, off, s[60:63], 0 offset:36 ; 4-byte Folded Spill
	s_and_saveexec_b64 s[44:45], s[4:5]
	s_cbranch_execz .LBB316_268
; %bb.267:                              ;   in Loop: Header=BB316_13 Depth=1
	v_and_b32_e32 v33, 7, v32
	v_lshrrev_b32_e32 v34, 3, v0
	v_cmp_gt_u32_e64 s[4:5], 8, v0
	v_ffbh_u32_e32 v0, v33
	v_min_u32_e32 v0, 32, v0
	v_subrev_u32_e32 v25, 28, v0
	v_lshlrev_b64 v[25:26], v25, v[32:33]
	v_sub_u32_e32 v0, 29, v0
	v_and_b32_e32 v25, 7, v25
	v_cndmask_b32_e64 v0, v34, v0, s[4:5]
	v_cndmask_b32_e64 v25, v33, v25, s[4:5]
	v_lshlrev_b32_e32 v26, 16, v31
	v_bfrev_b32_e32 v1, 60
	v_lshlrev_b32_e32 v25, 20, v25
	v_and_b32_e32 v26, 0x80000000, v26
	v_lshl_add_u32 v0, v0, 23, v1
	v_or3_b32 v0, v26, v0, v25
	buffer_store_dword v0, off, s[60:63], 0 offset:36 ; 4-byte Folded Spill
.LBB316_268:                            ;   in Loop: Header=BB316_13 Depth=1
	s_or_b64 exec, exec, s[44:45]
.LBB316_269:                            ;   in Loop: Header=BB316_13 Depth=1
	s_or_b64 exec, exec, s[42:43]
.LBB316_270:                            ;   in Loop: Header=BB316_13 Depth=1
	s_or_b64 exec, exec, s[6:7]
	v_lshrrev_b32_e32 v32, 16, v31
	v_mov_b32_e32 v0, 0
	v_cmp_ne_u16_sdwa s[4:5], v32, v45 src0_sel:BYTE_0 src1_sel:DWORD
	buffer_store_dword v0, off, s[60:63], 0 offset:84 ; 4-byte Folded Spill
	v_mov_b32_e32 v0, 0
	buffer_store_dword v0, off, s[60:63], 0 offset:40 ; 4-byte Folded Spill
	s_and_saveexec_b64 s[6:7], s[4:5]
	s_cbranch_execz .LBB316_276
; %bb.271:                              ;   in Loop: Header=BB316_13 Depth=1
	v_cmp_ne_u16_sdwa s[4:5], v32, s52 src0_sel:BYTE_0 src1_sel:DWORD
	v_bfrev_b32_e32 v0, 1
	buffer_store_dword v0, off, s[60:63], 0 offset:40 ; 4-byte Folded Spill
	s_and_saveexec_b64 s[42:43], s[4:5]
	s_cbranch_execz .LBB316_275
; %bb.272:                              ;   in Loop: Header=BB316_13 Depth=1
	v_bfe_u32 v0, v31, 16, 7
	v_cmp_ne_u32_e64 s[4:5], s53, v0
	v_mov_b32_e32 v1, 0x7f800001
	buffer_store_dword v1, off, s[60:63], 0 offset:40 ; 4-byte Folded Spill
	s_and_saveexec_b64 s[44:45], s[4:5]
	s_cbranch_execz .LBB316_274
; %bb.273:                              ;   in Loop: Header=BB316_13 Depth=1
	v_and_b32_e32 v33, 7, v32
	v_lshrrev_b32_e32 v34, 3, v0
	v_cmp_gt_u32_e64 s[4:5], 8, v0
	v_ffbh_u32_e32 v0, v33
	v_min_u32_e32 v0, 32, v0
	v_subrev_u32_e32 v25, 28, v0
	v_lshlrev_b64 v[25:26], v25, v[32:33]
	v_sub_u32_e32 v0, 29, v0
	v_and_b32_e32 v25, 7, v25
	v_cndmask_b32_e64 v0, v34, v0, s[4:5]
	v_cndmask_b32_e64 v25, v33, v25, s[4:5]
	v_lshlrev_b32_e32 v26, 24, v32
	v_bfrev_b32_e32 v1, 60
	v_lshlrev_b32_e32 v25, 20, v25
	v_and_b32_e32 v26, 0x80000000, v26
	v_lshl_add_u32 v0, v0, 23, v1
	v_or3_b32 v0, v26, v0, v25
	buffer_store_dword v0, off, s[60:63], 0 offset:40 ; 4-byte Folded Spill
.LBB316_274:                            ;   in Loop: Header=BB316_13 Depth=1
	s_or_b64 exec, exec, s[44:45]
.LBB316_275:                            ;   in Loop: Header=BB316_13 Depth=1
	s_or_b64 exec, exec, s[42:43]
.LBB316_276:                            ;   in Loop: Header=BB316_13 Depth=1
	s_or_b64 exec, exec, s[6:7]
	v_cmp_lt_u32_e64 s[4:5], s54, v31
	s_and_saveexec_b64 s[6:7], s[4:5]
	s_cbranch_execz .LBB316_282
; %bb.277:                              ;   in Loop: Header=BB316_13 Depth=1
	v_lshrrev_b32_e32 v32, 24, v31
	v_cmp_ne_u32_e64 s[4:5], s52, v32
	v_bfrev_b32_e32 v0, 1
	buffer_store_dword v0, off, s[60:63], 0 offset:84 ; 4-byte Folded Spill
	s_and_saveexec_b64 s[42:43], s[4:5]
	s_cbranch_execz .LBB316_281
; %bb.278:                              ;   in Loop: Header=BB316_13 Depth=1
	v_bfe_u32 v0, v31, 24, 7
	v_cmp_ne_u32_e64 s[4:5], s53, v0
	v_mov_b32_e32 v1, 0x7f800001
	s_and_saveexec_b64 s[44:45], s[4:5]
	s_cbranch_execz .LBB316_280
; %bb.279:                              ;   in Loop: Header=BB316_13 Depth=1
	v_and_b32_e32 v31, 7, v32
	v_lshrrev_b32_e32 v33, 3, v0
	v_cmp_gt_u32_e64 s[4:5], 8, v0
	v_ffbh_u32_e32 v0, v31
	v_min_u32_e32 v0, 32, v0
	v_subrev_u32_e32 v25, 28, v0
	v_lshlrev_b64 v[25:26], v25, v[32:33]
	v_sub_u32_e32 v0, 29, v0
	v_and_b32_e32 v25, 7, v25
	v_cndmask_b32_e64 v0, v33, v0, s[4:5]
	v_cndmask_b32_e64 v25, v31, v25, s[4:5]
	v_lshlrev_b32_e32 v26, 24, v32
	v_bfrev_b32_e32 v1, 60
	v_lshlrev_b32_e32 v25, 20, v25
	v_and_b32_e32 v26, 0x80000000, v26
	v_lshl_add_u32 v0, v0, 23, v1
	v_or3_b32 v1, v26, v0, v25
.LBB316_280:                            ;   in Loop: Header=BB316_13 Depth=1
	s_or_b64 exec, exec, s[44:45]
	buffer_store_dword v1, off, s[60:63], 0 offset:84 ; 4-byte Folded Spill
.LBB316_281:                            ;   in Loop: Header=BB316_13 Depth=1
	s_or_b64 exec, exec, s[42:43]
.LBB316_282:                            ;   in Loop: Header=BB316_13 Depth=1
	s_or_b64 exec, exec, s[6:7]
	global_load_dword v31, v[29:30], off offset:2568
	v_mov_b32_e32 v0, 0
	buffer_store_dword v0, off, s[60:63], 0 offset:48 ; 4-byte Folded Spill
	v_mov_b32_e32 v0, 0
	buffer_store_dword v0, off, s[60:63], 0 offset:44 ; 4-byte Folded Spill
	s_waitcnt vmcnt(2)
	v_cmp_ne_u16_sdwa s[4:5], v31, v45 src0_sel:BYTE_0 src1_sel:DWORD
	s_and_saveexec_b64 s[6:7], s[4:5]
	s_cbranch_execz .LBB316_288
; %bb.283:                              ;   in Loop: Header=BB316_13 Depth=1
	v_cmp_ne_u16_sdwa s[4:5], v31, s52 src0_sel:BYTE_0 src1_sel:DWORD
	v_bfrev_b32_e32 v0, 1
	buffer_store_dword v0, off, s[60:63], 0 offset:44 ; 4-byte Folded Spill
	s_and_saveexec_b64 s[42:43], s[4:5]
	s_cbranch_execz .LBB316_287
; %bb.284:                              ;   in Loop: Header=BB316_13 Depth=1
	v_and_b32_e32 v0, 0x7f, v31
	v_cmp_ne_u32_e64 s[4:5], s53, v0
	v_mov_b32_e32 v1, 0x7f800001
	buffer_store_dword v1, off, s[60:63], 0 offset:44 ; 4-byte Folded Spill
	s_and_saveexec_b64 s[44:45], s[4:5]
	s_cbranch_execz .LBB316_286
; %bb.285:                              ;   in Loop: Header=BB316_13 Depth=1
	v_and_b32_e32 v32, 7, v31
	v_lshrrev_b32_e32 v33, 3, v0
	v_cmp_gt_u32_e64 s[4:5], 8, v0
	v_ffbh_u32_e32 v0, v32
	v_min_u32_e32 v0, 32, v0
	v_subrev_u32_e32 v25, 28, v0
	v_lshlrev_b64 v[25:26], v25, v[31:32]
	v_sub_u32_e32 v0, 29, v0
	v_and_b32_e32 v25, 7, v25
	v_cndmask_b32_e64 v0, v33, v0, s[4:5]
	v_cndmask_b32_e64 v25, v32, v25, s[4:5]
	v_lshlrev_b32_e32 v26, 24, v31
	v_bfrev_b32_e32 v1, 60
	v_lshlrev_b32_e32 v25, 20, v25
	v_and_b32_e32 v26, 0x80000000, v26
	v_lshl_add_u32 v0, v0, 23, v1
	v_or3_b32 v0, v26, v0, v25
	buffer_store_dword v0, off, s[60:63], 0 offset:44 ; 4-byte Folded Spill
.LBB316_286:                            ;   in Loop: Header=BB316_13 Depth=1
	s_or_b64 exec, exec, s[44:45]
.LBB316_287:                            ;   in Loop: Header=BB316_13 Depth=1
	s_or_b64 exec, exec, s[42:43]
.LBB316_288:                            ;   in Loop: Header=BB316_13 Depth=1
	s_or_b64 exec, exec, s[6:7]
	v_lshrrev_b16_e32 v32, 8, v31
	v_cmp_ne_u16_e64 s[4:5], 0, v32
	s_and_saveexec_b64 s[6:7], s[4:5]
	s_cbranch_execz .LBB316_294
; %bb.289:                              ;   in Loop: Header=BB316_13 Depth=1
	v_cmp_ne_u16_e64 s[4:5], s52, v32
	v_bfrev_b32_e32 v0, 1
	buffer_store_dword v0, off, s[60:63], 0 offset:48 ; 4-byte Folded Spill
	s_and_saveexec_b64 s[42:43], s[4:5]
	s_cbranch_execz .LBB316_293
; %bb.290:                              ;   in Loop: Header=BB316_13 Depth=1
	v_and_b32_e32 v0, 0x7f, v32
	v_cmp_ne_u32_e64 s[4:5], s53, v0
	v_mov_b32_e32 v1, 0x7f800001
	buffer_store_dword v1, off, s[60:63], 0 offset:48 ; 4-byte Folded Spill
	s_and_saveexec_b64 s[44:45], s[4:5]
	s_cbranch_execz .LBB316_292
; %bb.291:                              ;   in Loop: Header=BB316_13 Depth=1
	v_and_b32_e32 v33, 7, v32
	v_lshrrev_b32_e32 v34, 3, v0
	v_cmp_gt_u32_e64 s[4:5], 8, v0
	v_ffbh_u32_e32 v0, v33
	v_min_u32_e32 v0, 32, v0
	v_subrev_u32_e32 v25, 28, v0
	v_lshlrev_b64 v[25:26], v25, v[32:33]
	v_sub_u32_e32 v0, 29, v0
	v_and_b32_e32 v25, 7, v25
	v_cndmask_b32_e64 v0, v34, v0, s[4:5]
	v_cndmask_b32_e64 v25, v33, v25, s[4:5]
	v_lshlrev_b32_e32 v26, 16, v31
	v_bfrev_b32_e32 v1, 60
	v_lshlrev_b32_e32 v25, 20, v25
	v_and_b32_e32 v26, 0x80000000, v26
	v_lshl_add_u32 v0, v0, 23, v1
	v_or3_b32 v0, v26, v0, v25
	buffer_store_dword v0, off, s[60:63], 0 offset:48 ; 4-byte Folded Spill
.LBB316_292:                            ;   in Loop: Header=BB316_13 Depth=1
	s_or_b64 exec, exec, s[44:45]
.LBB316_293:                            ;   in Loop: Header=BB316_13 Depth=1
	s_or_b64 exec, exec, s[42:43]
.LBB316_294:                            ;   in Loop: Header=BB316_13 Depth=1
	s_or_b64 exec, exec, s[6:7]
	v_lshrrev_b32_e32 v32, 16, v31
	v_mov_b32_e32 v0, 0
	v_cmp_ne_u16_sdwa s[4:5], v32, v45 src0_sel:BYTE_0 src1_sel:DWORD
	buffer_store_dword v0, off, s[60:63], 0 offset:88 ; 4-byte Folded Spill
	v_mov_b32_e32 v0, 0
	buffer_store_dword v0, off, s[60:63], 0 offset:52 ; 4-byte Folded Spill
	s_and_saveexec_b64 s[6:7], s[4:5]
	s_cbranch_execz .LBB316_300
; %bb.295:                              ;   in Loop: Header=BB316_13 Depth=1
	v_cmp_ne_u16_sdwa s[4:5], v32, s52 src0_sel:BYTE_0 src1_sel:DWORD
	v_bfrev_b32_e32 v0, 1
	buffer_store_dword v0, off, s[60:63], 0 offset:52 ; 4-byte Folded Spill
	s_and_saveexec_b64 s[42:43], s[4:5]
	s_cbranch_execz .LBB316_299
; %bb.296:                              ;   in Loop: Header=BB316_13 Depth=1
	v_bfe_u32 v0, v31, 16, 7
	v_cmp_ne_u32_e64 s[4:5], s53, v0
	v_mov_b32_e32 v1, 0x7f800001
	buffer_store_dword v1, off, s[60:63], 0 offset:52 ; 4-byte Folded Spill
	s_and_saveexec_b64 s[44:45], s[4:5]
	s_cbranch_execz .LBB316_298
; %bb.297:                              ;   in Loop: Header=BB316_13 Depth=1
	v_and_b32_e32 v33, 7, v32
	v_lshrrev_b32_e32 v34, 3, v0
	v_cmp_gt_u32_e64 s[4:5], 8, v0
	v_ffbh_u32_e32 v0, v33
	v_min_u32_e32 v0, 32, v0
	v_subrev_u32_e32 v25, 28, v0
	v_lshlrev_b64 v[25:26], v25, v[32:33]
	v_sub_u32_e32 v0, 29, v0
	v_and_b32_e32 v25, 7, v25
	v_cndmask_b32_e64 v0, v34, v0, s[4:5]
	v_cndmask_b32_e64 v25, v33, v25, s[4:5]
	v_lshlrev_b32_e32 v26, 24, v32
	v_bfrev_b32_e32 v1, 60
	v_lshlrev_b32_e32 v25, 20, v25
	v_and_b32_e32 v26, 0x80000000, v26
	v_lshl_add_u32 v0, v0, 23, v1
	v_or3_b32 v0, v26, v0, v25
	buffer_store_dword v0, off, s[60:63], 0 offset:52 ; 4-byte Folded Spill
.LBB316_298:                            ;   in Loop: Header=BB316_13 Depth=1
	s_or_b64 exec, exec, s[44:45]
.LBB316_299:                            ;   in Loop: Header=BB316_13 Depth=1
	s_or_b64 exec, exec, s[42:43]
.LBB316_300:                            ;   in Loop: Header=BB316_13 Depth=1
	s_or_b64 exec, exec, s[6:7]
	v_cmp_lt_u32_e64 s[4:5], s54, v31
	s_and_saveexec_b64 s[6:7], s[4:5]
	s_cbranch_execz .LBB316_306
; %bb.301:                              ;   in Loop: Header=BB316_13 Depth=1
	v_lshrrev_b32_e32 v32, 24, v31
	v_cmp_ne_u32_e64 s[4:5], s52, v32
	v_bfrev_b32_e32 v0, 1
	buffer_store_dword v0, off, s[60:63], 0 offset:88 ; 4-byte Folded Spill
	s_and_saveexec_b64 s[42:43], s[4:5]
	s_cbranch_execz .LBB316_305
; %bb.302:                              ;   in Loop: Header=BB316_13 Depth=1
	v_bfe_u32 v0, v31, 24, 7
	v_cmp_ne_u32_e64 s[4:5], s53, v0
	v_mov_b32_e32 v1, 0x7f800001
	s_and_saveexec_b64 s[44:45], s[4:5]
	s_cbranch_execz .LBB316_304
; %bb.303:                              ;   in Loop: Header=BB316_13 Depth=1
	v_and_b32_e32 v31, 7, v32
	v_lshrrev_b32_e32 v33, 3, v0
	v_cmp_gt_u32_e64 s[4:5], 8, v0
	v_ffbh_u32_e32 v0, v31
	v_min_u32_e32 v0, 32, v0
	v_subrev_u32_e32 v25, 28, v0
	v_lshlrev_b64 v[25:26], v25, v[32:33]
	v_sub_u32_e32 v0, 29, v0
	v_and_b32_e32 v25, 7, v25
	v_cndmask_b32_e64 v0, v33, v0, s[4:5]
	v_cndmask_b32_e64 v25, v31, v25, s[4:5]
	v_lshlrev_b32_e32 v26, 24, v32
	v_bfrev_b32_e32 v1, 60
	v_lshlrev_b32_e32 v25, 20, v25
	v_and_b32_e32 v26, 0x80000000, v26
	v_lshl_add_u32 v0, v0, 23, v1
	v_or3_b32 v1, v26, v0, v25
.LBB316_304:                            ;   in Loop: Header=BB316_13 Depth=1
	s_or_b64 exec, exec, s[44:45]
	buffer_store_dword v1, off, s[60:63], 0 offset:88 ; 4-byte Folded Spill
.LBB316_305:                            ;   in Loop: Header=BB316_13 Depth=1
	s_or_b64 exec, exec, s[42:43]
.LBB316_306:                            ;   in Loop: Header=BB316_13 Depth=1
	s_or_b64 exec, exec, s[6:7]
	global_load_dword v31, v[29:30], off offset:3072
	v_mov_b32_e32 v0, 0
	buffer_store_dword v0, off, s[60:63], 0 offset:60 ; 4-byte Folded Spill
	v_mov_b32_e32 v0, 0
	buffer_store_dword v0, off, s[60:63], 0 offset:56 ; 4-byte Folded Spill
	s_waitcnt vmcnt(2)
	v_cmp_ne_u16_sdwa s[4:5], v31, v45 src0_sel:BYTE_0 src1_sel:DWORD
	s_and_saveexec_b64 s[6:7], s[4:5]
	s_cbranch_execz .LBB316_312
; %bb.307:                              ;   in Loop: Header=BB316_13 Depth=1
	v_cmp_ne_u16_sdwa s[4:5], v31, s52 src0_sel:BYTE_0 src1_sel:DWORD
	v_bfrev_b32_e32 v0, 1
	buffer_store_dword v0, off, s[60:63], 0 offset:56 ; 4-byte Folded Spill
	s_and_saveexec_b64 s[42:43], s[4:5]
	s_cbranch_execz .LBB316_311
; %bb.308:                              ;   in Loop: Header=BB316_13 Depth=1
	v_and_b32_e32 v0, 0x7f, v31
	v_cmp_ne_u32_e64 s[4:5], s53, v0
	v_mov_b32_e32 v1, 0x7f800001
	buffer_store_dword v1, off, s[60:63], 0 offset:56 ; 4-byte Folded Spill
	s_and_saveexec_b64 s[44:45], s[4:5]
	s_cbranch_execz .LBB316_310
; %bb.309:                              ;   in Loop: Header=BB316_13 Depth=1
	v_and_b32_e32 v32, 7, v31
	v_lshrrev_b32_e32 v33, 3, v0
	v_cmp_gt_u32_e64 s[4:5], 8, v0
	v_ffbh_u32_e32 v0, v32
	v_min_u32_e32 v0, 32, v0
	v_subrev_u32_e32 v25, 28, v0
	v_lshlrev_b64 v[25:26], v25, v[31:32]
	v_sub_u32_e32 v0, 29, v0
	v_and_b32_e32 v25, 7, v25
	v_cndmask_b32_e64 v0, v33, v0, s[4:5]
	v_cndmask_b32_e64 v25, v32, v25, s[4:5]
	v_lshlrev_b32_e32 v26, 24, v31
	v_bfrev_b32_e32 v1, 60
	v_lshlrev_b32_e32 v25, 20, v25
	v_and_b32_e32 v26, 0x80000000, v26
	v_lshl_add_u32 v0, v0, 23, v1
	v_or3_b32 v0, v26, v0, v25
	buffer_store_dword v0, off, s[60:63], 0 offset:56 ; 4-byte Folded Spill
.LBB316_310:                            ;   in Loop: Header=BB316_13 Depth=1
	s_or_b64 exec, exec, s[44:45]
.LBB316_311:                            ;   in Loop: Header=BB316_13 Depth=1
	s_or_b64 exec, exec, s[42:43]
.LBB316_312:                            ;   in Loop: Header=BB316_13 Depth=1
	s_or_b64 exec, exec, s[6:7]
	v_lshrrev_b16_e32 v32, 8, v31
	v_cmp_ne_u16_e64 s[4:5], 0, v32
	s_and_saveexec_b64 s[6:7], s[4:5]
	s_cbranch_execz .LBB316_318
; %bb.313:                              ;   in Loop: Header=BB316_13 Depth=1
	v_cmp_ne_u16_e64 s[4:5], s52, v32
	v_bfrev_b32_e32 v0, 1
	buffer_store_dword v0, off, s[60:63], 0 offset:60 ; 4-byte Folded Spill
	s_and_saveexec_b64 s[42:43], s[4:5]
	s_cbranch_execz .LBB316_317
; %bb.314:                              ;   in Loop: Header=BB316_13 Depth=1
	v_and_b32_e32 v0, 0x7f, v32
	v_cmp_ne_u32_e64 s[4:5], s53, v0
	v_mov_b32_e32 v1, 0x7f800001
	buffer_store_dword v1, off, s[60:63], 0 offset:60 ; 4-byte Folded Spill
	s_and_saveexec_b64 s[44:45], s[4:5]
	s_cbranch_execz .LBB316_316
; %bb.315:                              ;   in Loop: Header=BB316_13 Depth=1
	v_and_b32_e32 v33, 7, v32
	v_lshrrev_b32_e32 v34, 3, v0
	v_cmp_gt_u32_e64 s[4:5], 8, v0
	v_ffbh_u32_e32 v0, v33
	v_min_u32_e32 v0, 32, v0
	v_subrev_u32_e32 v25, 28, v0
	v_lshlrev_b64 v[25:26], v25, v[32:33]
	v_sub_u32_e32 v0, 29, v0
	v_and_b32_e32 v25, 7, v25
	v_cndmask_b32_e64 v0, v34, v0, s[4:5]
	v_cndmask_b32_e64 v25, v33, v25, s[4:5]
	v_lshlrev_b32_e32 v26, 16, v31
	v_bfrev_b32_e32 v1, 60
	v_lshlrev_b32_e32 v25, 20, v25
	v_and_b32_e32 v26, 0x80000000, v26
	v_lshl_add_u32 v0, v0, 23, v1
	v_or3_b32 v0, v26, v0, v25
	buffer_store_dword v0, off, s[60:63], 0 offset:60 ; 4-byte Folded Spill
.LBB316_316:                            ;   in Loop: Header=BB316_13 Depth=1
	s_or_b64 exec, exec, s[44:45]
.LBB316_317:                            ;   in Loop: Header=BB316_13 Depth=1
	s_or_b64 exec, exec, s[42:43]
.LBB316_318:                            ;   in Loop: Header=BB316_13 Depth=1
	s_or_b64 exec, exec, s[6:7]
	v_lshrrev_b32_e32 v32, 16, v31
	v_mov_b32_e32 v0, 0
	v_cmp_ne_u16_sdwa s[4:5], v32, v45 src0_sel:BYTE_0 src1_sel:DWORD
	buffer_store_dword v0, off, s[60:63], 0 offset:92 ; 4-byte Folded Spill
	v_mov_b32_e32 v0, 0
	buffer_store_dword v0, off, s[60:63], 0 offset:64 ; 4-byte Folded Spill
	s_and_saveexec_b64 s[6:7], s[4:5]
	s_cbranch_execz .LBB316_324
; %bb.319:                              ;   in Loop: Header=BB316_13 Depth=1
	v_cmp_ne_u16_sdwa s[4:5], v32, s52 src0_sel:BYTE_0 src1_sel:DWORD
	v_bfrev_b32_e32 v0, 1
	buffer_store_dword v0, off, s[60:63], 0 offset:64 ; 4-byte Folded Spill
	s_and_saveexec_b64 s[42:43], s[4:5]
	s_cbranch_execz .LBB316_323
; %bb.320:                              ;   in Loop: Header=BB316_13 Depth=1
	v_bfe_u32 v0, v31, 16, 7
	v_cmp_ne_u32_e64 s[4:5], s53, v0
	v_mov_b32_e32 v1, 0x7f800001
	buffer_store_dword v1, off, s[60:63], 0 offset:64 ; 4-byte Folded Spill
	s_and_saveexec_b64 s[44:45], s[4:5]
	s_cbranch_execz .LBB316_322
; %bb.321:                              ;   in Loop: Header=BB316_13 Depth=1
	v_and_b32_e32 v33, 7, v32
	v_lshrrev_b32_e32 v34, 3, v0
	v_cmp_gt_u32_e64 s[4:5], 8, v0
	v_ffbh_u32_e32 v0, v33
	v_min_u32_e32 v0, 32, v0
	v_subrev_u32_e32 v25, 28, v0
	v_lshlrev_b64 v[25:26], v25, v[32:33]
	v_sub_u32_e32 v0, 29, v0
	v_and_b32_e32 v25, 7, v25
	v_cndmask_b32_e64 v0, v34, v0, s[4:5]
	v_cndmask_b32_e64 v25, v33, v25, s[4:5]
	v_lshlrev_b32_e32 v26, 24, v32
	v_bfrev_b32_e32 v1, 60
	v_lshlrev_b32_e32 v25, 20, v25
	v_and_b32_e32 v26, 0x80000000, v26
	v_lshl_add_u32 v0, v0, 23, v1
	v_or3_b32 v0, v26, v0, v25
	buffer_store_dword v0, off, s[60:63], 0 offset:64 ; 4-byte Folded Spill
.LBB316_322:                            ;   in Loop: Header=BB316_13 Depth=1
	s_or_b64 exec, exec, s[44:45]
.LBB316_323:                            ;   in Loop: Header=BB316_13 Depth=1
	s_or_b64 exec, exec, s[42:43]
.LBB316_324:                            ;   in Loop: Header=BB316_13 Depth=1
	s_or_b64 exec, exec, s[6:7]
	v_cmp_lt_u32_e64 s[4:5], s54, v31
	s_and_saveexec_b64 s[6:7], s[4:5]
	s_cbranch_execz .LBB316_330
; %bb.325:                              ;   in Loop: Header=BB316_13 Depth=1
	v_lshrrev_b32_e32 v32, 24, v31
	v_cmp_ne_u32_e64 s[4:5], s52, v32
	v_bfrev_b32_e32 v0, 1
	buffer_store_dword v0, off, s[60:63], 0 offset:92 ; 4-byte Folded Spill
	s_and_saveexec_b64 s[42:43], s[4:5]
	s_cbranch_execz .LBB316_329
; %bb.326:                              ;   in Loop: Header=BB316_13 Depth=1
	v_bfe_u32 v0, v31, 24, 7
	v_cmp_ne_u32_e64 s[4:5], s53, v0
	v_mov_b32_e32 v1, 0x7f800001
	s_and_saveexec_b64 s[44:45], s[4:5]
	s_cbranch_execz .LBB316_328
; %bb.327:                              ;   in Loop: Header=BB316_13 Depth=1
	v_and_b32_e32 v31, 7, v32
	v_lshrrev_b32_e32 v33, 3, v0
	v_cmp_gt_u32_e64 s[4:5], 8, v0
	v_ffbh_u32_e32 v0, v31
	v_min_u32_e32 v0, 32, v0
	v_subrev_u32_e32 v25, 28, v0
	v_lshlrev_b64 v[25:26], v25, v[32:33]
	v_sub_u32_e32 v0, 29, v0
	v_and_b32_e32 v25, 7, v25
	v_cndmask_b32_e64 v0, v33, v0, s[4:5]
	v_cndmask_b32_e64 v25, v31, v25, s[4:5]
	v_lshlrev_b32_e32 v26, 24, v32
	v_bfrev_b32_e32 v1, 60
	v_lshlrev_b32_e32 v25, 20, v25
	v_and_b32_e32 v26, 0x80000000, v26
	v_lshl_add_u32 v0, v0, 23, v1
	v_or3_b32 v1, v26, v0, v25
.LBB316_328:                            ;   in Loop: Header=BB316_13 Depth=1
	s_or_b64 exec, exec, s[44:45]
	buffer_store_dword v1, off, s[60:63], 0 offset:92 ; 4-byte Folded Spill
.LBB316_329:                            ;   in Loop: Header=BB316_13 Depth=1
	s_or_b64 exec, exec, s[42:43]
.LBB316_330:                            ;   in Loop: Header=BB316_13 Depth=1
	s_or_b64 exec, exec, s[6:7]
	global_load_dword v31, v[29:30], off offset:3080
	v_mov_b32_e32 v34, 0
	v_mov_b32_e32 v0, 0
	buffer_store_dword v0, off, s[60:63], 0 offset:68 ; 4-byte Folded Spill
	s_waitcnt vmcnt(1)
	v_cmp_ne_u16_sdwa s[4:5], v31, v45 src0_sel:BYTE_0 src1_sel:DWORD
	s_and_saveexec_b64 s[6:7], s[4:5]
	s_cbranch_execz .LBB316_336
; %bb.331:                              ;   in Loop: Header=BB316_13 Depth=1
	v_cmp_ne_u16_sdwa s[4:5], v31, s52 src0_sel:BYTE_0 src1_sel:DWORD
	v_bfrev_b32_e32 v0, 1
	buffer_store_dword v0, off, s[60:63], 0 offset:68 ; 4-byte Folded Spill
	s_and_saveexec_b64 s[42:43], s[4:5]
	s_cbranch_execz .LBB316_335
; %bb.332:                              ;   in Loop: Header=BB316_13 Depth=1
	v_and_b32_e32 v0, 0x7f, v31
	v_cmp_ne_u32_e64 s[4:5], s53, v0
	v_mov_b32_e32 v1, 0x7f800001
	buffer_store_dword v1, off, s[60:63], 0 offset:68 ; 4-byte Folded Spill
	s_and_saveexec_b64 s[44:45], s[4:5]
	s_cbranch_execz .LBB316_334
; %bb.333:                              ;   in Loop: Header=BB316_13 Depth=1
	v_and_b32_e32 v32, 7, v31
	v_lshrrev_b32_e32 v33, 3, v0
	v_cmp_gt_u32_e64 s[4:5], 8, v0
	v_ffbh_u32_e32 v0, v32
	v_min_u32_e32 v0, 32, v0
	v_subrev_u32_e32 v25, 28, v0
	v_lshlrev_b64 v[25:26], v25, v[31:32]
	v_sub_u32_e32 v0, 29, v0
	v_and_b32_e32 v25, 7, v25
	v_cndmask_b32_e64 v0, v33, v0, s[4:5]
	v_cndmask_b32_e64 v25, v32, v25, s[4:5]
	v_lshlrev_b32_e32 v26, 24, v31
	v_bfrev_b32_e32 v1, 60
	v_lshlrev_b32_e32 v25, 20, v25
	v_and_b32_e32 v26, 0x80000000, v26
	v_lshl_add_u32 v0, v0, 23, v1
	v_or3_b32 v0, v26, v0, v25
	buffer_store_dword v0, off, s[60:63], 0 offset:68 ; 4-byte Folded Spill
.LBB316_334:                            ;   in Loop: Header=BB316_13 Depth=1
	s_or_b64 exec, exec, s[44:45]
.LBB316_335:                            ;   in Loop: Header=BB316_13 Depth=1
	s_or_b64 exec, exec, s[42:43]
.LBB316_336:                            ;   in Loop: Header=BB316_13 Depth=1
	s_or_b64 exec, exec, s[6:7]
	v_lshrrev_b16_e32 v32, 8, v31
	v_cmp_ne_u16_e64 s[4:5], 0, v32
	s_and_saveexec_b64 s[6:7], s[4:5]
	s_cbranch_execz .LBB316_342
; %bb.337:                              ;   in Loop: Header=BB316_13 Depth=1
	v_cmp_ne_u16_e64 s[4:5], s52, v32
	v_bfrev_b32_e32 v34, 1
	s_and_saveexec_b64 s[42:43], s[4:5]
	s_cbranch_execz .LBB316_341
; %bb.338:                              ;   in Loop: Header=BB316_13 Depth=1
	v_and_b32_e32 v0, 0x7f, v32
	v_cmp_ne_u32_e64 s[4:5], s53, v0
	v_mov_b32_e32 v34, 0x7f800001
	s_and_saveexec_b64 s[44:45], s[4:5]
	s_cbranch_execz .LBB316_340
; %bb.339:                              ;   in Loop: Header=BB316_13 Depth=1
	v_and_b32_e32 v33, 7, v32
	v_lshrrev_b32_e32 v34, 3, v0
	v_cmp_gt_u32_e64 s[4:5], 8, v0
	v_ffbh_u32_e32 v0, v33
	v_min_u32_e32 v0, 32, v0
	v_subrev_u32_e32 v25, 28, v0
	v_lshlrev_b64 v[25:26], v25, v[32:33]
	v_sub_u32_e32 v0, 29, v0
	v_and_b32_e32 v25, 7, v25
	v_cndmask_b32_e64 v0, v34, v0, s[4:5]
	v_cndmask_b32_e64 v25, v33, v25, s[4:5]
	v_lshlrev_b32_e32 v26, 16, v31
	v_bfrev_b32_e32 v1, 60
	v_lshlrev_b32_e32 v25, 20, v25
	v_and_b32_e32 v26, 0x80000000, v26
	v_lshl_add_u32 v0, v0, 23, v1
	v_or3_b32 v34, v26, v0, v25
.LBB316_340:                            ;   in Loop: Header=BB316_13 Depth=1
	s_or_b64 exec, exec, s[44:45]
.LBB316_341:                            ;   in Loop: Header=BB316_13 Depth=1
	s_or_b64 exec, exec, s[42:43]
.LBB316_342:                            ;   in Loop: Header=BB316_13 Depth=1
	s_or_b64 exec, exec, s[6:7]
	v_lshrrev_b32_e32 v32, 16, v31
	buffer_store_dword v34, off, s[60:63], 0 offset:232 ; 4-byte Folded Spill
	v_cmp_ne_u16_sdwa s[4:5], v32, v45 src0_sel:BYTE_0 src1_sel:DWORD
	v_mov_b32_e32 v0, 0
	v_mov_b32_e32 v34, 0
	buffer_store_dword v0, off, s[60:63], 0 offset:96 ; 4-byte Folded Spill
	s_and_saveexec_b64 s[6:7], s[4:5]
	s_cbranch_execz .LBB316_348
; %bb.343:                              ;   in Loop: Header=BB316_13 Depth=1
	v_cmp_ne_u16_sdwa s[4:5], v32, s52 src0_sel:BYTE_0 src1_sel:DWORD
	v_bfrev_b32_e32 v34, 1
	s_and_saveexec_b64 s[42:43], s[4:5]
	s_cbranch_execz .LBB316_347
; %bb.344:                              ;   in Loop: Header=BB316_13 Depth=1
	v_bfe_u32 v0, v31, 16, 7
	v_cmp_ne_u32_e64 s[4:5], s53, v0
	v_mov_b32_e32 v34, 0x7f800001
	s_and_saveexec_b64 s[44:45], s[4:5]
	s_cbranch_execz .LBB316_346
; %bb.345:                              ;   in Loop: Header=BB316_13 Depth=1
	v_and_b32_e32 v33, 7, v32
	v_lshrrev_b32_e32 v34, 3, v0
	v_cmp_gt_u32_e64 s[4:5], 8, v0
	v_ffbh_u32_e32 v0, v33
	v_min_u32_e32 v0, 32, v0
	v_subrev_u32_e32 v25, 28, v0
	v_lshlrev_b64 v[25:26], v25, v[32:33]
	v_sub_u32_e32 v0, 29, v0
	v_and_b32_e32 v25, 7, v25
	v_cndmask_b32_e64 v0, v34, v0, s[4:5]
	v_cndmask_b32_e64 v25, v33, v25, s[4:5]
	v_lshlrev_b32_e32 v26, 24, v32
	v_bfrev_b32_e32 v1, 60
	v_lshlrev_b32_e32 v25, 20, v25
	v_and_b32_e32 v26, 0x80000000, v26
	v_lshl_add_u32 v0, v0, 23, v1
	v_or3_b32 v34, v26, v0, v25
.LBB316_346:                            ;   in Loop: Header=BB316_13 Depth=1
	s_or_b64 exec, exec, s[44:45]
.LBB316_347:                            ;   in Loop: Header=BB316_13 Depth=1
	s_or_b64 exec, exec, s[42:43]
.LBB316_348:                            ;   in Loop: Header=BB316_13 Depth=1
	s_or_b64 exec, exec, s[6:7]
	v_cmp_lt_u32_e64 s[4:5], s54, v31
	s_and_saveexec_b64 s[6:7], s[4:5]
	s_cbranch_execz .LBB316_354
; %bb.349:                              ;   in Loop: Header=BB316_13 Depth=1
	v_lshrrev_b32_e32 v32, 24, v31
	v_cmp_ne_u32_e64 s[4:5], s52, v32
	v_bfrev_b32_e32 v0, 1
	buffer_store_dword v0, off, s[60:63], 0 offset:96 ; 4-byte Folded Spill
	s_and_saveexec_b64 s[42:43], s[4:5]
	s_cbranch_execz .LBB316_353
; %bb.350:                              ;   in Loop: Header=BB316_13 Depth=1
	v_bfe_u32 v0, v31, 24, 7
	v_cmp_ne_u32_e64 s[4:5], s53, v0
	v_mov_b32_e32 v1, 0x7f800001
	s_and_saveexec_b64 s[44:45], s[4:5]
	s_cbranch_execz .LBB316_352
; %bb.351:                              ;   in Loop: Header=BB316_13 Depth=1
	v_and_b32_e32 v31, 7, v32
	v_lshrrev_b32_e32 v33, 3, v0
	v_cmp_gt_u32_e64 s[4:5], 8, v0
	v_ffbh_u32_e32 v0, v31
	v_min_u32_e32 v0, 32, v0
	v_subrev_u32_e32 v25, 28, v0
	v_lshlrev_b64 v[25:26], v25, v[32:33]
	v_sub_u32_e32 v0, 29, v0
	v_and_b32_e32 v25, 7, v25
	v_cndmask_b32_e64 v0, v33, v0, s[4:5]
	v_cndmask_b32_e64 v25, v31, v25, s[4:5]
	v_lshlrev_b32_e32 v26, 24, v32
	v_bfrev_b32_e32 v1, 60
	v_lshlrev_b32_e32 v25, 20, v25
	v_and_b32_e32 v26, 0x80000000, v26
	v_lshl_add_u32 v0, v0, 23, v1
	v_or3_b32 v1, v26, v0, v25
.LBB316_352:                            ;   in Loop: Header=BB316_13 Depth=1
	s_or_b64 exec, exec, s[44:45]
	buffer_store_dword v1, off, s[60:63], 0 offset:96 ; 4-byte Folded Spill
.LBB316_353:                            ;   in Loop: Header=BB316_13 Depth=1
	s_or_b64 exec, exec, s[42:43]
.LBB316_354:                            ;   in Loop: Header=BB316_13 Depth=1
	s_or_b64 exec, exec, s[6:7]
	global_load_dword v31, v[29:30], off offset:3584
	v_mov_b32_e32 v0, 0
	buffer_store_dword v0, off, s[60:63], 0 offset:76 ; 4-byte Folded Spill
	v_mov_b32_e32 v0, 0
	buffer_store_dword v0, off, s[60:63], 0 offset:72 ; 4-byte Folded Spill
	s_waitcnt vmcnt(2)
	v_cmp_ne_u16_sdwa s[4:5], v31, v45 src0_sel:BYTE_0 src1_sel:DWORD
	s_and_saveexec_b64 s[6:7], s[4:5]
	s_cbranch_execz .LBB316_360
; %bb.355:                              ;   in Loop: Header=BB316_13 Depth=1
	v_cmp_ne_u16_sdwa s[4:5], v31, s52 src0_sel:BYTE_0 src1_sel:DWORD
	v_bfrev_b32_e32 v0, 1
	buffer_store_dword v0, off, s[60:63], 0 offset:72 ; 4-byte Folded Spill
	s_and_saveexec_b64 s[42:43], s[4:5]
	s_cbranch_execz .LBB316_359
; %bb.356:                              ;   in Loop: Header=BB316_13 Depth=1
	v_and_b32_e32 v0, 0x7f, v31
	v_cmp_ne_u32_e64 s[4:5], s53, v0
	v_mov_b32_e32 v1, 0x7f800001
	buffer_store_dword v1, off, s[60:63], 0 offset:72 ; 4-byte Folded Spill
	s_and_saveexec_b64 s[44:45], s[4:5]
	s_cbranch_execz .LBB316_358
; %bb.357:                              ;   in Loop: Header=BB316_13 Depth=1
	v_and_b32_e32 v32, 7, v31
	v_lshrrev_b32_e32 v33, 3, v0
	v_cmp_gt_u32_e64 s[4:5], 8, v0
	v_ffbh_u32_e32 v0, v32
	v_min_u32_e32 v0, 32, v0
	v_subrev_u32_e32 v25, 28, v0
	v_lshlrev_b64 v[25:26], v25, v[31:32]
	v_sub_u32_e32 v0, 29, v0
	v_and_b32_e32 v25, 7, v25
	v_cndmask_b32_e64 v0, v33, v0, s[4:5]
	v_cndmask_b32_e64 v25, v32, v25, s[4:5]
	v_lshlrev_b32_e32 v26, 24, v31
	v_bfrev_b32_e32 v1, 60
	v_lshlrev_b32_e32 v25, 20, v25
	v_and_b32_e32 v26, 0x80000000, v26
	v_lshl_add_u32 v0, v0, 23, v1
	v_or3_b32 v0, v26, v0, v25
	buffer_store_dword v0, off, s[60:63], 0 offset:72 ; 4-byte Folded Spill
.LBB316_358:                            ;   in Loop: Header=BB316_13 Depth=1
	s_or_b64 exec, exec, s[44:45]
.LBB316_359:                            ;   in Loop: Header=BB316_13 Depth=1
	s_or_b64 exec, exec, s[42:43]
.LBB316_360:                            ;   in Loop: Header=BB316_13 Depth=1
	s_or_b64 exec, exec, s[6:7]
	v_lshrrev_b16_e32 v32, 8, v31
	v_cmp_ne_u16_e64 s[4:5], 0, v32
	s_mov_b64 s[6:7], exec
	s_and_b64 s[4:5], s[6:7], s[4:5]
	buffer_store_dword v34, off, s[60:63], 0 offset:236 ; 4-byte Folded Spill
	s_mov_b64 exec, s[4:5]
	s_cbranch_execz .LBB316_366
; %bb.361:                              ;   in Loop: Header=BB316_13 Depth=1
	v_cmp_ne_u16_e64 s[4:5], s52, v32
	v_bfrev_b32_e32 v0, 1
	buffer_store_dword v0, off, s[60:63], 0 offset:76 ; 4-byte Folded Spill
	s_and_saveexec_b64 s[42:43], s[4:5]
	s_cbranch_execz .LBB316_365
; %bb.362:                              ;   in Loop: Header=BB316_13 Depth=1
	v_and_b32_e32 v0, 0x7f, v32
	v_cmp_ne_u32_e64 s[4:5], s53, v0
	v_mov_b32_e32 v1, 0x7f800001
	buffer_store_dword v1, off, s[60:63], 0 offset:76 ; 4-byte Folded Spill
	s_and_saveexec_b64 s[44:45], s[4:5]
	s_cbranch_execz .LBB316_364
; %bb.363:                              ;   in Loop: Header=BB316_13 Depth=1
	v_and_b32_e32 v33, 7, v32
	v_lshrrev_b32_e32 v34, 3, v0
	v_cmp_gt_u32_e64 s[4:5], 8, v0
	v_ffbh_u32_e32 v0, v33
	v_min_u32_e32 v0, 32, v0
	v_subrev_u32_e32 v25, 28, v0
	v_lshlrev_b64 v[25:26], v25, v[32:33]
	v_sub_u32_e32 v0, 29, v0
	v_and_b32_e32 v25, 7, v25
	v_cndmask_b32_e64 v0, v34, v0, s[4:5]
	v_cndmask_b32_e64 v25, v33, v25, s[4:5]
	v_lshlrev_b32_e32 v26, 16, v31
	v_bfrev_b32_e32 v1, 60
	v_lshlrev_b32_e32 v25, 20, v25
	v_and_b32_e32 v26, 0x80000000, v26
	v_lshl_add_u32 v0, v0, 23, v1
	v_or3_b32 v0, v26, v0, v25
	buffer_store_dword v0, off, s[60:63], 0 offset:76 ; 4-byte Folded Spill
.LBB316_364:                            ;   in Loop: Header=BB316_13 Depth=1
	s_or_b64 exec, exec, s[44:45]
.LBB316_365:                            ;   in Loop: Header=BB316_13 Depth=1
	s_or_b64 exec, exec, s[42:43]
.LBB316_366:                            ;   in Loop: Header=BB316_13 Depth=1
	s_or_b64 exec, exec, s[6:7]
	v_lshrrev_b32_e32 v32, 16, v31
	v_cmp_ne_u16_sdwa s[4:5], v32, v45 src0_sel:BYTE_0 src1_sel:DWORD
	v_mov_b32_e32 v34, 0
	v_mov_b32_e32 v1, 0
	s_and_saveexec_b64 s[6:7], s[4:5]
	s_cbranch_execz .LBB316_372
; %bb.367:                              ;   in Loop: Header=BB316_13 Depth=1
	v_cmp_ne_u16_sdwa s[4:5], v32, s52 src0_sel:BYTE_0 src1_sel:DWORD
	v_bfrev_b32_e32 v1, 1
	s_and_saveexec_b64 s[42:43], s[4:5]
	s_cbranch_execz .LBB316_371
; %bb.368:                              ;   in Loop: Header=BB316_13 Depth=1
	v_bfe_u32 v0, v31, 16, 7
	v_cmp_ne_u32_e64 s[4:5], s53, v0
	v_mov_b32_e32 v1, 0x7f800001
	s_and_saveexec_b64 s[44:45], s[4:5]
	s_cbranch_execz .LBB316_370
; %bb.369:                              ;   in Loop: Header=BB316_13 Depth=1
	v_and_b32_e32 v33, 7, v32
	v_lshrrev_b32_e32 v34, 3, v0
	v_cmp_gt_u32_e64 s[4:5], 8, v0
	v_ffbh_u32_e32 v0, v33
	v_min_u32_e32 v0, 32, v0
	v_subrev_u32_e32 v25, 28, v0
	v_lshlrev_b64 v[25:26], v25, v[32:33]
	v_sub_u32_e32 v0, 29, v0
	v_and_b32_e32 v25, 7, v25
	v_cndmask_b32_e64 v0, v34, v0, s[4:5]
	v_cndmask_b32_e64 v25, v33, v25, s[4:5]
	v_lshlrev_b32_e32 v26, 24, v32
	v_bfrev_b32_e32 v1, 60
	v_lshlrev_b32_e32 v25, 20, v25
	v_and_b32_e32 v26, 0x80000000, v26
	v_lshl_add_u32 v0, v0, 23, v1
	v_mov_b32_e32 v34, 0
	v_or3_b32 v1, v26, v0, v25
.LBB316_370:                            ;   in Loop: Header=BB316_13 Depth=1
	s_or_b64 exec, exec, s[44:45]
.LBB316_371:                            ;   in Loop: Header=BB316_13 Depth=1
	s_or_b64 exec, exec, s[42:43]
.LBB316_372:                            ;   in Loop: Header=BB316_13 Depth=1
	s_or_b64 exec, exec, s[6:7]
	v_cmp_lt_u32_e64 s[4:5], s54, v31
	buffer_store_dword v1, off, s[60:63], 0 offset:248 ; 4-byte Folded Spill
	s_and_saveexec_b64 s[6:7], s[4:5]
	s_cbranch_execz .LBB316_378
; %bb.373:                              ;   in Loop: Header=BB316_13 Depth=1
	v_lshrrev_b32_e32 v32, 24, v31
	v_cmp_ne_u32_e64 s[4:5], s52, v32
	v_bfrev_b32_e32 v34, 1
	s_and_saveexec_b64 s[42:43], s[4:5]
	s_cbranch_execz .LBB316_377
; %bb.374:                              ;   in Loop: Header=BB316_13 Depth=1
	v_bfe_u32 v0, v31, 24, 7
	v_cmp_ne_u32_e64 s[4:5], s53, v0
	v_mov_b32_e32 v34, 0x7f800001
	s_and_saveexec_b64 s[44:45], s[4:5]
	s_cbranch_execz .LBB316_376
; %bb.375:                              ;   in Loop: Header=BB316_13 Depth=1
	v_and_b32_e32 v31, 7, v32
	v_lshrrev_b32_e32 v33, 3, v0
	v_cmp_gt_u32_e64 s[4:5], 8, v0
	v_ffbh_u32_e32 v0, v31
	v_min_u32_e32 v0, 32, v0
	v_subrev_u32_e32 v25, 28, v0
	v_lshlrev_b64 v[25:26], v25, v[32:33]
	v_sub_u32_e32 v0, 29, v0
	v_and_b32_e32 v25, 7, v25
	v_cndmask_b32_e64 v0, v33, v0, s[4:5]
	v_cndmask_b32_e64 v25, v31, v25, s[4:5]
	v_lshlrev_b32_e32 v26, 24, v32
	v_bfrev_b32_e32 v1, 60
	v_lshlrev_b32_e32 v25, 20, v25
	v_and_b32_e32 v26, 0x80000000, v26
	v_lshl_add_u32 v0, v0, 23, v1
	v_or3_b32 v34, v26, v0, v25
.LBB316_376:                            ;   in Loop: Header=BB316_13 Depth=1
	s_or_b64 exec, exec, s[44:45]
.LBB316_377:                            ;   in Loop: Header=BB316_13 Depth=1
	s_or_b64 exec, exec, s[42:43]
.LBB316_378:                            ;   in Loop: Header=BB316_13 Depth=1
	s_or_b64 exec, exec, s[6:7]
	global_load_dword v29, v[29:30], off offset:3592
	v_mov_b32_e32 v46, 0
	v_mov_b32_e32 v58, 0
	s_waitcnt vmcnt(0)
	v_cmp_ne_u16_sdwa s[4:5], v29, v45 src0_sel:BYTE_0 src1_sel:DWORD
	s_and_saveexec_b64 s[6:7], s[4:5]
	s_cbranch_execz .LBB316_384
; %bb.379:                              ;   in Loop: Header=BB316_13 Depth=1
	v_cmp_ne_u16_sdwa s[4:5], v29, s52 src0_sel:BYTE_0 src1_sel:DWORD
	v_bfrev_b32_e32 v58, 1
	s_and_saveexec_b64 s[42:43], s[4:5]
	s_cbranch_execz .LBB316_383
; %bb.380:                              ;   in Loop: Header=BB316_13 Depth=1
	v_and_b32_e32 v0, 0x7f, v29
	v_cmp_ne_u32_e64 s[4:5], s53, v0
	v_mov_b32_e32 v58, 0x7f800001
	s_and_saveexec_b64 s[44:45], s[4:5]
	s_cbranch_execz .LBB316_382
; %bb.381:                              ;   in Loop: Header=BB316_13 Depth=1
	v_and_b32_e32 v30, 7, v29
	v_lshrrev_b32_e32 v31, 3, v0
	v_cmp_gt_u32_e64 s[4:5], 8, v0
	v_ffbh_u32_e32 v0, v30
	v_min_u32_e32 v0, 32, v0
	v_subrev_u32_e32 v25, 28, v0
	v_lshlrev_b64 v[25:26], v25, v[29:30]
	v_sub_u32_e32 v0, 29, v0
	v_and_b32_e32 v25, 7, v25
	v_cndmask_b32_e64 v0, v31, v0, s[4:5]
	v_cndmask_b32_e64 v25, v30, v25, s[4:5]
	v_lshlrev_b32_e32 v26, 24, v29
	v_bfrev_b32_e32 v1, 60
	v_lshlrev_b32_e32 v25, 20, v25
	v_and_b32_e32 v26, 0x80000000, v26
	v_lshl_add_u32 v0, v0, 23, v1
	v_or3_b32 v58, v26, v0, v25
.LBB316_382:                            ;   in Loop: Header=BB316_13 Depth=1
	s_or_b64 exec, exec, s[44:45]
.LBB316_383:                            ;   in Loop: Header=BB316_13 Depth=1
	s_or_b64 exec, exec, s[42:43]
.LBB316_384:                            ;   in Loop: Header=BB316_13 Depth=1
	s_or_b64 exec, exec, s[6:7]
	v_lshrrev_b16_e32 v30, 8, v29
	v_cmp_ne_u16_e64 s[4:5], 0, v30
	s_and_saveexec_b64 s[6:7], s[4:5]
	s_cbranch_execz .LBB316_390
; %bb.385:                              ;   in Loop: Header=BB316_13 Depth=1
	v_cmp_ne_u16_e64 s[4:5], s52, v30
	v_bfrev_b32_e32 v46, 1
	s_and_saveexec_b64 s[42:43], s[4:5]
	s_cbranch_execz .LBB316_389
; %bb.386:                              ;   in Loop: Header=BB316_13 Depth=1
	v_and_b32_e32 v0, 0x7f, v30
	v_cmp_ne_u32_e64 s[4:5], s53, v0
	v_mov_b32_e32 v46, 0x7f800001
	s_and_saveexec_b64 s[44:45], s[4:5]
	s_cbranch_execz .LBB316_388
; %bb.387:                              ;   in Loop: Header=BB316_13 Depth=1
	v_and_b32_e32 v31, 7, v30
	v_lshrrev_b32_e32 v32, 3, v0
	v_cmp_gt_u32_e64 s[4:5], 8, v0
	v_ffbh_u32_e32 v0, v31
	v_min_u32_e32 v0, 32, v0
	v_subrev_u32_e32 v25, 28, v0
	v_lshlrev_b64 v[25:26], v25, v[30:31]
	v_sub_u32_e32 v0, 29, v0
	v_and_b32_e32 v25, 7, v25
	v_cndmask_b32_e64 v0, v32, v0, s[4:5]
	v_cndmask_b32_e64 v25, v31, v25, s[4:5]
	v_lshlrev_b32_e32 v26, 16, v29
	v_bfrev_b32_e32 v1, 60
	v_lshlrev_b32_e32 v25, 20, v25
	v_and_b32_e32 v26, 0x80000000, v26
	v_lshl_add_u32 v0, v0, 23, v1
	v_or3_b32 v46, v26, v0, v25
.LBB316_388:                            ;   in Loop: Header=BB316_13 Depth=1
	s_or_b64 exec, exec, s[44:45]
.LBB316_389:                            ;   in Loop: Header=BB316_13 Depth=1
	s_or_b64 exec, exec, s[42:43]
.LBB316_390:                            ;   in Loop: Header=BB316_13 Depth=1
	s_or_b64 exec, exec, s[6:7]
	v_lshrrev_b32_e32 v30, 16, v29
	v_cmp_ne_u16_sdwa s[4:5], v30, v45 src0_sel:BYTE_0 src1_sel:DWORD
	v_mov_b32_e32 v31, 0
	v_mov_b32_e32 v1, 0
	s_and_saveexec_b64 s[6:7], s[4:5]
	s_cbranch_execz .LBB316_396
; %bb.391:                              ;   in Loop: Header=BB316_13 Depth=1
	v_cmp_ne_u16_sdwa s[4:5], v30, s52 src0_sel:BYTE_0 src1_sel:DWORD
	v_bfrev_b32_e32 v1, 1
	s_and_saveexec_b64 s[42:43], s[4:5]
	s_cbranch_execz .LBB316_395
; %bb.392:                              ;   in Loop: Header=BB316_13 Depth=1
	v_bfe_u32 v0, v29, 16, 7
	v_cmp_ne_u32_e64 s[4:5], s53, v0
	v_mov_b32_e32 v1, 0x7f800001
	s_and_saveexec_b64 s[44:45], s[4:5]
	s_cbranch_execz .LBB316_394
; %bb.393:                              ;   in Loop: Header=BB316_13 Depth=1
	v_and_b32_e32 v32, 7, v30
	v_lshrrev_b32_e32 v33, 3, v0
	v_cmp_gt_u32_e64 s[4:5], 8, v0
	v_ffbh_u32_e32 v0, v32
	v_min_u32_e32 v0, 32, v0
	v_subrev_u32_e32 v25, 28, v0
	v_lshlrev_b64 v[25:26], v25, v[30:31]
	v_sub_u32_e32 v0, 29, v0
	v_and_b32_e32 v25, 7, v25
	v_cndmask_b32_e64 v0, v33, v0, s[4:5]
	v_cndmask_b32_e64 v25, v32, v25, s[4:5]
	v_lshlrev_b32_e32 v26, 24, v30
	v_bfrev_b32_e32 v1, 60
	v_lshlrev_b32_e32 v25, 20, v25
	v_and_b32_e32 v26, 0x80000000, v26
	v_lshl_add_u32 v0, v0, 23, v1
	v_or3_b32 v1, v26, v0, v25
.LBB316_394:                            ;   in Loop: Header=BB316_13 Depth=1
	s_or_b64 exec, exec, s[44:45]
.LBB316_395:                            ;   in Loop: Header=BB316_13 Depth=1
	s_or_b64 exec, exec, s[42:43]
.LBB316_396:                            ;   in Loop: Header=BB316_13 Depth=1
	s_or_b64 exec, exec, s[6:7]
	buffer_store_dword v34, off, s[60:63], 0 offset:244 ; 4-byte Folded Spill
	buffer_store_dword v1, off, s[60:63], 0 offset:240 ; 4-byte Folded Spill
	;; [unrolled: 1-line block ×19, first 2 shown]
	v_mov_b32_e32 v48, v21
	v_mov_b32_e32 v21, v35
	;; [unrolled: 1-line block ×7, first 2 shown]
	v_cmp_lt_u32_e64 s[4:5], s54, v29
	s_and_saveexec_b64 s[6:7], s[4:5]
	s_cbranch_execz .LBB316_402
; %bb.397:                              ;   in Loop: Header=BB316_13 Depth=1
	v_lshrrev_b32_e32 v30, 24, v29
	v_cmp_ne_u32_e64 s[4:5], s52, v30
	v_bfrev_b32_e32 v31, 1
	s_and_saveexec_b64 s[42:43], s[4:5]
	s_cbranch_execz .LBB316_401
; %bb.398:                              ;   in Loop: Header=BB316_13 Depth=1
	v_bfe_u32 v0, v29, 24, 7
	v_cmp_ne_u32_e64 s[4:5], s53, v0
	v_mov_b32_e32 v31, 0x7f800001
	s_and_saveexec_b64 s[44:45], s[4:5]
	s_cbranch_execz .LBB316_400
; %bb.399:                              ;   in Loop: Header=BB316_13 Depth=1
	v_and_b32_e32 v29, 7, v30
	v_lshrrev_b32_e32 v31, 3, v0
	v_cmp_gt_u32_e64 s[4:5], 8, v0
	v_ffbh_u32_e32 v0, v29
	v_min_u32_e32 v0, 32, v0
	v_subrev_u32_e32 v25, 28, v0
	v_lshlrev_b64 v[25:26], v25, v[30:31]
	v_sub_u32_e32 v0, 29, v0
	v_and_b32_e32 v25, 7, v25
	v_cndmask_b32_e64 v0, v31, v0, s[4:5]
	v_cndmask_b32_e64 v25, v29, v25, s[4:5]
	v_lshlrev_b32_e32 v26, 24, v30
	v_bfrev_b32_e32 v1, 60
	v_lshlrev_b32_e32 v25, 20, v25
	v_and_b32_e32 v26, 0x80000000, v26
	v_lshl_add_u32 v0, v0, 23, v1
	v_or3_b32 v31, v26, v0, v25
.LBB316_400:                            ;   in Loop: Header=BB316_13 Depth=1
	s_or_b64 exec, exec, s[44:45]
.LBB316_401:                            ;   in Loop: Header=BB316_13 Depth=1
	s_or_b64 exec, exec, s[42:43]
.LBB316_402:                            ;   in Loop: Header=BB316_13 Depth=1
	s_or_b64 exec, exec, s[6:7]
	buffer_store_dword v31, off, s[60:63], 0 offset:296 ; 4-byte Folded Spill
	v_lshlrev_b32_e32 v52, 16, v14
	v_lshlrev_b32_e32 v41, 16, v15
	;; [unrolled: 1-line block ×4, first 2 shown]
	v_and_b32_e32 v4, 0xffff0000, v14
	v_and_b32_e32 v51, 0xffff0000, v15
	;; [unrolled: 1-line block ×4, first 2 shown]
	v_lshlrev_b32_e32 v25, 16, v61
	v_lshlrev_b32_e32 v0, 16, v62
	v_and_b32_e32 v43, 0xffff0000, v61
	v_and_b32_e32 v38, 0xffff0000, v62
	v_lshlrev_b32_e32 v37, 16, v54
	v_lshlrev_b32_e32 v34, 16, v55
	;; [unrolled: 1-line block ×4, first 2 shown]
	v_and_b32_e32 v35, 0xffff0000, v54
	v_and_b32_e32 v33, 0xffff0000, v55
	;; [unrolled: 1-line block ×4, first 2 shown]
	buffer_load_dword v14, off, s[60:63], 0 offset:144 ; 4-byte Folded Reload
	buffer_load_dword v15, off, s[60:63], 0 offset:148 ; 4-byte Folded Reload
	buffer_load_dword v16, off, s[60:63], 0 offset:152 ; 4-byte Folded Reload
	buffer_load_dword v17, off, s[60:63], 0 offset:156 ; 4-byte Folded Reload
	buffer_load_dword v54, off, s[60:63], 0 offset:128 ; 4-byte Folded Reload
	buffer_load_dword v55, off, s[60:63], 0 offset:132 ; 4-byte Folded Reload
	buffer_load_dword v56, off, s[60:63], 0 offset:136 ; 4-byte Folded Reload
	buffer_load_dword v57, off, s[60:63], 0 offset:140 ; 4-byte Folded Reload
	v_lshlrev_b32_e32 v49, 16, v59
	v_lshlrev_b32_e32 v47, 16, v60
	v_and_b32_e32 v50, 0xffff0000, v59
	v_and_b32_e32 v26, 0xffff0000, v60
	s_waitcnt vmcnt(7)
	v_lshlrev_b32_e32 v60, 16, v14
	s_waitcnt vmcnt(6)
	v_lshlrev_b32_e32 v30, 16, v15
	;; [unrolled: 2-line block ×3, first 2 shown]
	buffer_store_dword v1, off, s[60:63], 0 offset:292 ; 4-byte Folded Spill
	s_waitcnt vmcnt(2)
	v_lshlrev_b32_e32 v1, 16, v56
	buffer_store_dword v1, off, s[60:63], 0 offset:280 ; 4-byte Folded Spill
	s_waitcnt vmcnt(2)
	v_lshlrev_b32_e32 v1, 16, v57
	buffer_store_dword v1, off, s[60:63], 0 offset:268 ; 4-byte Folded Spill
	v_and_b32_e32 v1, 0xffff0000, v55
	buffer_store_dword v1, off, s[60:63], 0 offset:288 ; 4-byte Folded Spill
	v_and_b32_e32 v1, 0xffff0000, v56
	;; [unrolled: 2-line block ×3, first 2 shown]
	buffer_store_dword v1, off, s[60:63], 0 offset:276 ; 4-byte Folded Spill
	v_lshlrev_b32_e32 v31, 16, v17
	v_and_b32_e32 v59, 0xffff0000, v14
	v_and_b32_e32 v29, 0xffff0000, v15
	;; [unrolled: 1-line block ×3, first 2 shown]
	v_lshlrev_b32_e32 v15, 16, v54
	v_and_b32_e32 v17, 0xffff0000, v54
	buffer_load_dword v54, off, s[60:63], 0 offset:112 ; 4-byte Folded Reload
	buffer_load_dword v55, off, s[60:63], 0 offset:116 ; 4-byte Folded Reload
	;; [unrolled: 1-line block ×4, first 2 shown]
	v_lshlrev_b32_e32 v24, 16, v16
	v_and_b32_e32 v23, 0xffff0000, v16
	s_waitcnt vmcnt(3)
	v_lshlrev_b32_e32 v1, 16, v54
	buffer_store_dword v1, off, s[60:63], 0 offset:264 ; 4-byte Folded Spill
	s_waitcnt vmcnt(3)
	v_lshlrev_b32_e32 v1, 16, v55
	buffer_store_dword v1, off, s[60:63], 0 offset:256 ; 4-byte Folded Spill
	;; [unrolled: 3-line block ×4, first 2 shown]
	v_and_b32_e32 v1, 0xffff0000, v54
	buffer_store_dword v1, off, s[60:63], 0 offset:272 ; 4-byte Folded Spill
	v_and_b32_e32 v1, 0xffff0000, v55
	buffer_store_dword v1, off, s[60:63], 0 offset:260 ; 4-byte Folded Spill
	;; [unrolled: 2-line block ×4, first 2 shown]
	v_mul_f32_e32 v1, s56, v11
	v_bfe_u32 v16, v1, 16, 1
	v_add3_u32 v16, v16, v1, s55
	v_or_b32_e32 v54, 0x400000, v1
	v_cmp_u_f32_e64 s[4:5], v1, v1
	v_cndmask_b32_e64 v1, v16, v54, s[4:5]
	v_mul_f32_e32 v16, s56, v3
	v_bfe_u32 v54, v16, 16, 1
	v_add3_u32 v54, v54, v16, s55
	v_or_b32_e32 v3, 0x400000, v16
	v_cmp_u_f32_e64 s[4:5], v16, v16
	v_cndmask_b32_e64 v3, v54, v3, s[4:5]
	v_and_b32_e32 v1, 0xffff0000, v1
	v_mul_f32_e32 v1, v53, v1
	v_and_b32_e32 v3, 0xffff0000, v3
	v_fmac_f32_e32 v1, v52, v3
	v_mul_f32_e32 v3, s56, v10
	v_bfe_u32 v16, v3, 16, 1
	v_add3_u32 v16, v16, v3, s55
	v_or_b32_e32 v52, 0x400000, v3
	v_cmp_u_f32_e64 s[4:5], v3, v3
	v_cndmask_b32_e64 v3, v16, v52, s[4:5]
	v_mul_f32_e32 v16, s56, v6
	v_bfe_u32 v52, v16, 16, 1
	v_add3_u32 v52, v52, v16, s55
	v_or_b32_e32 v53, 0x400000, v16
	v_cmp_u_f32_e64 s[4:5], v16, v16
	v_cndmask_b32_e64 v16, v52, v53, s[4:5]
	v_and_b32_e32 v3, 0xffff0000, v3
	v_mul_f32_e32 v2, v2, v3
	v_and_b32_e32 v3, 0xffff0000, v16
	v_fmac_f32_e32 v2, v4, v3
	;; [unrolled: 16-line block ×4, first 2 shown]
	v_mul_f32_e32 v3, s56, v7
	v_bfe_u32 v39, v3, 16, 1
	v_add3_u32 v39, v39, v3, s55
	v_or_b32_e32 v40, 0x400000, v3
	v_cmp_u_f32_e64 s[4:5], v3, v3
	v_cndmask_b32_e64 v3, v39, v40, s[4:5]
	v_and_b32_e32 v3, 0xffff0000, v3
	v_fmac_f32_e32 v1, v49, v3
	v_mul_f32_e32 v3, s56, v32
	v_bfe_u32 v39, v3, 16, 1
	v_add3_u32 v39, v39, v3, s55
	v_or_b32_e32 v40, 0x400000, v3
	v_cmp_u_f32_e64 s[4:5], v3, v3
	v_cndmask_b32_e64 v3, v39, v40, s[4:5]
	v_and_b32_e32 v3, 0xffff0000, v3
	v_fmac_f32_e32 v2, v50, v3
	;; [unrolled: 8-line block ×10, first 2 shown]
	buffer_load_dword v0, off, s[60:63], 0 offset:164 ; 4-byte Folded Reload
	buffer_load_dword v6, off, s[60:63], 0 offset:240 ; 4-byte Folded Reload
	s_waitcnt vmcnt(1)
	v_mul_f32_e32 v0, s56, v0
	v_bfe_u32 v3, v0, 16, 1
	v_add3_u32 v3, v3, v0, s55
	v_or_b32_e32 v25, 0x400000, v0
	v_cmp_u_f32_e64 s[4:5], v0, v0
	v_cndmask_b32_e64 v0, v3, v25, s[4:5]
	v_and_b32_e32 v0, 0xffff0000, v0
	v_fmac_f32_e32 v4, v34, v0
	buffer_load_dword v0, off, s[60:63], 0 offset:160 ; 4-byte Folded Reload
	s_waitcnt vmcnt(0)
	v_mul_f32_e32 v0, s56, v0
	v_bfe_u32 v3, v0, 16, 1
	v_add3_u32 v3, v3, v0, s55
	v_or_b32_e32 v25, 0x400000, v0
	v_cmp_u_f32_e64 s[4:5], v0, v0
	v_cndmask_b32_e64 v0, v3, v25, s[4:5]
	v_and_b32_e32 v0, 0xffff0000, v0
	v_fmac_f32_e32 v16, v33, v0
	;; [unrolled: 10-line block ×12, first 2 shown]
	v_mul_f32_e32 v0, s56, v46
	v_bfe_u32 v3, v0, 16, 1
	v_add3_u32 v3, v3, v0, s55
	v_or_b32_e32 v23, 0x400000, v0
	v_cmp_u_f32_e64 s[4:5], v0, v0
	v_mul_f32_e32 v0, s56, v58
	v_cndmask_b32_e64 v23, v3, v23, s[4:5]
	v_bfe_u32 v3, v0, 16, 1
	v_add3_u32 v3, v3, v0, s55
	v_or_b32_e32 v24, 0x400000, v0
	v_cmp_u_f32_e64 s[4:5], v0, v0
	buffer_load_dword v0, off, s[60:63], 0 offset:248 ; 4-byte Folded Reload
	v_cndmask_b32_e64 v24, v3, v24, s[4:5]
	s_waitcnt vmcnt(0)
	v_mul_f32_e32 v0, s56, v0
	v_bfe_u32 v3, v0, 16, 1
	v_add3_u32 v3, v3, v0, s55
	v_or_b32_e32 v25, 0x400000, v0
	v_cmp_u_f32_e64 s[4:5], v0, v0
	buffer_load_dword v0, off, s[60:63], 0 offset:244 ; 4-byte Folded Reload
	v_cndmask_b32_e64 v29, v3, v25, s[4:5]
	s_waitcnt vmcnt(0)
	v_mul_f32_e32 v0, s56, v0
	;; [unrolled: 8-line block ×10, first 2 shown]
	v_bfe_u32 v3, v0, 16, 1
	v_add3_u32 v3, v3, v0, s55
	v_or_b32_e32 v5, 0x400000, v0
	v_cmp_u_f32_e64 s[4:5], v0, v0
	buffer_load_dword v0, off, s[60:63], 0 offset:60 ; 4-byte Folded Reload
	v_cndmask_b32_e64 v40, v3, v5, s[4:5]
	v_and_b32_e32 v12, 0xffff0000, v40
	s_waitcnt vmcnt(0)
	v_mul_f32_e32 v0, s56, v0
	v_bfe_u32 v3, v0, 16, 1
	v_add3_u32 v3, v3, v0, s55
	v_or_b32_e32 v5, 0x400000, v0
	v_cmp_u_f32_e64 s[4:5], v0, v0
	buffer_load_dword v0, off, s[60:63], 0 offset:56 ; 4-byte Folded Reload
	v_cndmask_b32_e64 v41, v3, v5, s[4:5]
	v_and_b32_e32 v11, 0xffff0000, v41
	s_waitcnt vmcnt(0)
	v_mul_f32_e32 v0, s56, v0
	v_bfe_u32 v3, v0, 16, 1
	v_add3_u32 v3, v3, v0, s55
	v_or_b32_e32 v5, 0x400000, v0
	v_cmp_u_f32_e64 s[4:5], v0, v0
	buffer_load_dword v0, off, s[60:63], 0 offset:52 ; 4-byte Folded Reload
	v_cndmask_b32_e64 v47, v3, v5, s[4:5]
	s_waitcnt vmcnt(0)
	v_mul_f32_e32 v0, s56, v0
	v_bfe_u32 v3, v0, 16, 1
	v_add3_u32 v3, v3, v0, s55
	v_or_b32_e32 v5, 0x400000, v0
	v_cmp_u_f32_e64 s[4:5], v0, v0
	buffer_load_dword v0, off, s[60:63], 0 offset:88 ; 4-byte Folded Reload
	v_cndmask_b32_e64 v26, v3, v5, s[4:5]
	;; [unrolled: 8-line block ×4, first 2 shown]
	s_waitcnt vmcnt(0)
	v_mul_f32_e32 v0, s56, v0
	v_bfe_u32 v3, v0, 16, 1
	v_add3_u32 v3, v3, v0, s55
	v_or_b32_e32 v5, 0x400000, v0
	v_cmp_u_f32_e64 s[4:5], v0, v0
	v_cndmask_b32_e64 v0, v3, v5, s[4:5]
	buffer_load_dword v3, off, s[60:63], 0 offset:40 ; 4-byte Folded Reload
	v_and_b32_e32 v0, 0xffff0000, v0
	s_waitcnt vmcnt(0)
	v_mul_f32_e32 v3, s56, v3
	v_bfe_u32 v5, v3, 16, 1
	v_add3_u32 v5, v5, v3, s55
	v_or_b32_e32 v33, 0x400000, v3
	v_cmp_u_f32_e64 s[4:5], v3, v3
	buffer_load_dword v3, off, s[60:63], 0 offset:84 ; 4-byte Folded Reload
	v_cndmask_b32_e64 v38, v5, v33, s[4:5]
	s_waitcnt vmcnt(0)
	v_mul_f32_e32 v3, s56, v3
	v_bfe_u32 v5, v3, 16, 1
	v_add3_u32 v5, v5, v3, s55
	v_or_b32_e32 v33, 0x400000, v3
	v_cmp_u_f32_e64 s[4:5], v3, v3
	buffer_load_dword v3, off, s[60:63], 0 offset:36 ; 4-byte Folded Reload
	v_cndmask_b32_e64 v37, v5, v33, s[4:5]
	;; [unrolled: 8-line block ×12, first 2 shown]
	s_waitcnt vmcnt(0)
	v_mul_f32_e32 v3, s56, v3
	v_bfe_u32 v5, v3, 16, 1
	v_add3_u32 v5, v5, v3, s55
	v_or_b32_e32 v39, 0x400000, v3
	v_cmp_u_f32_e64 s[4:5], v3, v3
	v_cndmask_b32_e64 v3, v5, v39, s[4:5]
	buffer_load_dword v5, off, s[60:63], 0 offset:184 ; 4-byte Folded Reload
	v_and_b32_e32 v3, 0xffff0000, v3
	v_fmac_f32_e32 v4, v31, v3
	s_waitcnt vmcnt(0)
	v_mul_f32_e32 v5, s56, v5
	v_bfe_u32 v39, v5, 16, 1
	v_add3_u32 v39, v39, v5, s55
	v_or_b32_e32 v61, 0x400000, v5
	v_cmp_u_f32_e64 s[4:5], v5, v5
	v_cndmask_b32_e64 v5, v39, v61, s[4:5]
	buffer_load_dword v61, off, s[60:63], 0 offset:320 ; 4-byte Folded Reload
	s_waitcnt vmcnt(0)
	v_and_b32_e32 v22, 64, v61
	v_xor_b32_e32 v3, 1, v61
	v_add_u32_e32 v22, 64, v22
	v_cmp_lt_i32_e64 s[4:5], v3, v22
	v_mul_f32_e32 v22, s56, v6
	buffer_load_dword v6, off, s[60:63], 0 offset:296 ; 4-byte Folded Reload
	v_bfe_u32 v32, v22, 16, 1
	v_add3_u32 v32, v32, v22, s55
	v_or_b32_e32 v39, 0x400000, v22
	v_cmp_u_f32_e64 s[6:7], v22, v22
	v_cndmask_b32_e64 v22, v32, v39, s[6:7]
	v_cndmask_b32_e64 v3, v61, v3, s[4:5]
	s_waitcnt vmcnt(0)
	v_mul_f32_e32 v31, s56, v6
	v_bfe_u32 v32, v31, 16, 1
	v_add3_u32 v32, v32, v31, s55
	v_or_b32_e32 v39, 0x400000, v31
	v_cmp_u_f32_e64 s[6:7], v31, v31
	buffer_load_dword v31, off, s[60:63], 0 offset:104 ; 4-byte Folded Reload
	buffer_load_dword v6, off, s[60:63], 0 offset:292 ; 4-byte Folded Reload
	v_cndmask_b32_e64 v32, v32, v39, s[6:7]
	s_waitcnt vmcnt(1)
	v_and_b32_e32 v62, 0xffff0000, v31
	v_lshlrev_b32_e32 v63, 16, v31
	buffer_load_dword v31, off, s[60:63], 0 offset:108 ; 4-byte Folded Reload
	s_waitcnt vmcnt(0)
	v_lshlrev_b32_e32 v61, 16, v31
	v_lshlrev_b32_e32 v31, 2, v3
	v_and_b32_e32 v3, 0xffff0000, v5
	v_fmac_f32_e32 v16, v14, v3
	v_and_b32_e32 v3, 0xffff0000, v34
	v_fmac_f32_e32 v1, v15, v3
	;; [unrolled: 2-line block ×3, first 2 shown]
	buffer_load_dword v3, off, s[60:63], 0 offset:288 ; 4-byte Folded Reload
	buffer_load_dword v6, off, s[60:63], 0 offset:280 ; 4-byte Folded Reload
	v_and_b32_e32 v5, 0xffff0000, v33
	v_fmac_f32_e32 v2, v17, v5
	v_and_b32_e32 v5, 0xffff0000, v60
	s_waitcnt vmcnt(1)
	v_fmac_f32_e32 v16, v3, v5
	v_and_b32_e32 v3, 0xffff0000, v58
	s_waitcnt vmcnt(0)
	v_fmac_f32_e32 v1, v6, v3
	buffer_load_dword v3, off, s[60:63], 0 offset:284 ; 4-byte Folded Reload
	buffer_load_dword v6, off, s[60:63], 0 offset:268 ; 4-byte Folded Reload
	v_and_b32_e32 v5, 0xffff0000, v57
	s_waitcnt vmcnt(1)
	v_fmac_f32_e32 v2, v3, v5
	v_and_b32_e32 v3, 0xffff0000, v55
	s_waitcnt vmcnt(0)
	v_fmac_f32_e32 v4, v6, v3
	buffer_load_dword v3, off, s[60:63], 0 offset:276 ; 4-byte Folded Reload
	buffer_load_dword v6, off, s[60:63], 0 offset:264 ; 4-byte Folded Reload
	;; [unrolled: 8-line block ×3, first 2 shown]
	v_and_b32_e32 v5, 0xffff0000, v35
	buffer_load_dword v36, off, s[60:63], 0 offset:308 ; 4-byte Folded Reload
	s_waitcnt vmcnt(2)
	v_fmac_f32_e32 v2, v3, v5
	v_and_b32_e32 v3, 0xffff0000, v38
	s_waitcnt vmcnt(1)
	v_fmac_f32_e32 v4, v6, v3
	buffer_load_dword v3, off, s[60:63], 0 offset:260 ; 4-byte Folded Reload
	v_and_b32_e32 v5, 0xffff0000, v37
	s_waitcnt vmcnt(0)
	v_fmac_f32_e32 v16, v3, v5
	buffer_load_dword v5, off, s[60:63], 0 offset:144 ; 4-byte Folded Reload
	;; [unrolled: 4-line block ×3, first 2 shown]
	buffer_load_dword v5, off, s[60:63], 0 offset:128 ; 4-byte Folded Reload
	s_waitcnt vmcnt(1)
	v_fmac_f32_e32 v2, v0, v3
	v_and_b32_e32 v0, 0xffff0000, v26
	s_waitcnt vmcnt(0)
	v_fmac_f32_e32 v4, v5, v0
	buffer_load_dword v0, off, s[60:63], 0 offset:112 ; 4-byte Folded Reload
	v_and_b32_e32 v3, 0xffff0000, v25
	v_fmac_f32_e32 v2, v62, v11
	v_and_b32_e32 v11, 0xffff0000, v50
	v_fmac_f32_e32 v4, v61, v11
	v_and_b32_e32 v11, 0xffff0000, v49
	s_waitcnt vmcnt(0)
	v_fmac_f32_e32 v16, v0, v3
	ds_read_b128 v[5:8], v36 offset:102
	ds_read_b64 v[9:10], v36 offset:118
	ds_read_u16 v0, v36 offset:126
	v_and_b32_e32 v3, 0xffff0000, v47
	v_fmac_f32_e32 v1, v63, v3
	s_waitcnt lgkmcnt(2)
	v_lshlrev_b32_e32 v3, 16, v5
	v_fmac_f32_e32 v16, v12, v3
	v_and_b32_e32 v3, 0xffff0000, v5
	v_lshlrev_b32_e32 v5, 16, v6
	v_and_b32_e32 v12, 0xffff0000, v51
	v_fmac_f32_e32 v1, v11, v3
	v_fmac_f32_e32 v2, v12, v5
	v_and_b32_e32 v3, 0xffff0000, v6
	v_lshlrev_b32_e32 v5, 16, v7
	v_and_b32_e32 v6, 0xffff0000, v53
	v_and_b32_e32 v11, 0xffff0000, v52
	v_fmac_f32_e32 v4, v6, v3
	v_fmac_f32_e32 v16, v11, v5
	v_and_b32_e32 v3, 0xffff0000, v7
	v_lshlrev_b32_e32 v5, 16, v8
	v_and_b32_e32 v6, 0xffff0000, v54
	v_and_b32_e32 v7, 0xffff0000, v46
	v_fmac_f32_e32 v1, v6, v3
	v_fmac_f32_e32 v2, v7, v5
	v_and_b32_e32 v3, 0xffff0000, v8
	s_waitcnt lgkmcnt(1)
	v_lshlrev_b32_e32 v5, 16, v9
	v_and_b32_e32 v6, 0xffff0000, v29
	v_and_b32_e32 v7, 0xffff0000, v30
	v_fmac_f32_e32 v4, v6, v3
	v_fmac_f32_e32 v16, v7, v5
	v_and_b32_e32 v3, 0xffff0000, v9
	v_lshlrev_b32_e32 v5, 16, v10
	v_and_b32_e32 v6, 0xffff0000, v24
	v_and_b32_e32 v7, 0xffff0000, v23
	v_fmac_f32_e32 v1, v6, v3
	v_fmac_f32_e32 v2, v7, v5
	v_and_b32_e32 v3, 0xffff0000, v10
	s_waitcnt lgkmcnt(0)
	v_lshlrev_b32_e32 v0, 16, v0
	v_and_b32_e32 v5, 0xffff0000, v22
	v_and_b32_e32 v6, 0xffff0000, v32
	v_fmac_f32_e32 v4, v5, v3
	v_fmac_f32_e32 v16, v6, v0
	v_add_f32_e32 v0, v1, v2
	v_add_f32_e32 v0, v0, v4
	;; [unrolled: 1-line block ×3, first 2 shown]
	ds_bpermute_b32 v1, v31, v0
	s_and_saveexec_b64 s[6:7], vcc
	s_cbranch_execz .LBB316_11
; %bb.403:                              ;   in Loop: Header=BB316_13 Depth=1
	buffer_load_dword v2, off, s[60:63], 0 offset:328 ; 4-byte Folded Reload
	buffer_load_dword v3, off, s[60:63], 0 offset:324 ; 4-byte Folded Reload
	s_waitcnt lgkmcnt(0)
	v_add_f32_e32 v0, v0, v1
	s_waitcnt vmcnt(1)
	v_add_u32_e32 v2, v2, v42
	v_cvt_f32_i32_e32 v2, v2
	v_mul_f32_e32 v1, s48, v2
	buffer_load_dword v2, off, s[60:63], 0 offset:8 ; 4-byte Folded Reload
	s_waitcnt vmcnt(1)
	v_add_u32_e32 v3, v3, v42
	v_cndmask_b32_e64 v1, 0, v1, s[2:3]
	v_fmac_f32_e32 v1, s37, v0
	v_cmp_gt_i32_e64 s[4:5], s33, v3
	v_cndmask_b32_e64 v0, 0, v1, s[4:5]
	s_waitcnt vmcnt(0)
	ds_write_b32 v2, v0
	buffer_load_dword v2, off, s[60:63], 0 offset:304 ; 4-byte Folded Reload
	s_waitcnt vmcnt(0)
	v_max_f32_e32 v0, v2, v2
	v_max_f32_e32 v0, v0, v1
	v_cndmask_b32_e64 v2, v2, v0, s[4:5]
	buffer_store_dword v2, off, s[60:63], 0 offset:304 ; 4-byte Folded Spill
	s_branch .LBB316_11
.LBB316_404:
	s_or_b64 exec, exec, s[38:39]
	buffer_load_dword v12, off, s[60:63], 0 offset:332 ; 4-byte Folded Reload
	buffer_load_dword v13, off, s[60:63], 0 offset:336 ; 4-byte Folded Reload
	;; [unrolled: 1-line block ×3, first 2 shown]
	v_mbcnt_lo_u32_b32 v5, -1, 0
.LBB316_405:
	s_or_b64 exec, exec, s[18:19]
	v_mbcnt_hi_u32_b32 v0, -1, v5
	v_and_b32_e32 v7, 64, v0
	v_add_u32_e32 v8, 64, v7
	s_waitcnt lgkmcnt(0)
	v_xor_b32_e32 v1, 32, v0
	v_cmp_lt_i32_e32 vcc, v1, v8
	v_cndmask_b32_e32 v1, v0, v1, vcc
	v_lshlrev_b32_e32 v1, 2, v1
	s_waitcnt vmcnt(0)
	ds_bpermute_b32 v2, v1, v3
	v_xor_b32_e32 v4, 16, v0
	v_max_f32_e32 v3, v3, v3
	v_cmp_lt_i32_e32 vcc, v4, v8
	v_xor_b32_e32 v5, 8, v0
	s_waitcnt lgkmcnt(0)
	v_max_f32_e32 v2, v2, v2
	v_max_f32_e32 v3, v3, v2
	v_cndmask_b32_e32 v2, v0, v4, vcc
	v_lshlrev_b32_e32 v2, 2, v2
	ds_bpermute_b32 v4, v2, v3
	v_cmp_lt_i32_e32 vcc, v5, v8
	v_xor_b32_e32 v6, 4, v0
	v_xor_b32_e32 v9, 2, v0
	s_waitcnt lgkmcnt(0)
	v_max_f32_e32 v4, v4, v4
	v_max_f32_e32 v4, v3, v4
	v_cndmask_b32_e32 v3, v0, v5, vcc
	v_lshlrev_b32_e32 v3, 2, v3
	ds_bpermute_b32 v5, v3, v4
	v_cmp_lt_i32_e32 vcc, v6, v8
	s_waitcnt lgkmcnt(0)
	v_max_f32_e32 v5, v5, v5
	v_max_f32_e32 v5, v4, v5
	v_cndmask_b32_e32 v4, v0, v6, vcc
	v_lshlrev_b32_e32 v4, 2, v4
	ds_bpermute_b32 v6, v4, v5
	v_cmp_lt_i32_e32 vcc, v9, v8
	s_waitcnt lgkmcnt(0)
	v_max_f32_e32 v6, v6, v6
	v_max_f32_e32 v6, v5, v6
	v_cndmask_b32_e32 v5, v0, v9, vcc
	v_lshlrev_b32_e32 v14, 2, v5
	buffer_load_dword v5, off, s[60:63], 0 offset:300 ; 4-byte Folded Reload
	ds_bpermute_b32 v9, v14, v6
	s_waitcnt vmcnt(0)
	v_and_b32_e32 v15, 63, v5
	buffer_load_dword v5, off, s[60:63], 0  ; 4-byte Folded Reload
	v_cmp_eq_u32_e32 vcc, 0, v15
	s_waitcnt vmcnt(0)
	v_lshlrev_b32_e32 v5, 2, v5
	s_and_saveexec_b64 s[2:3], vcc
	s_cbranch_execz .LBB316_407
; %bb.406:
	s_waitcnt lgkmcnt(0)
	v_max_f32_e32 v9, v9, v9
	v_max_f32_e32 v6, v6, v6
	;; [unrolled: 1-line block ×3, first 2 shown]
	ds_write_b32 v5, v6 offset:256
.LBB316_407:
	s_or_b64 exec, exec, s[2:3]
	v_cmp_gt_u32_e64 s[2:3], 2, v15
	s_waitcnt lgkmcnt(0)
	v_mov_b32_e32 v9, 0xff7fffff
	v_lshlrev_b32_e32 v6, 2, v15
	s_barrier
	s_and_saveexec_b64 s[4:5], s[2:3]
; %bb.408:
	ds_read_b32 v9, v6 offset:256
; %bb.409:
	s_or_b64 exec, exec, s[4:5]
	v_xor_b32_e32 v10, 1, v0
	v_cmp_lt_i32_e64 s[4:5], v10, v8
	v_cndmask_b32_e64 v8, v0, v10, s[4:5]
	v_lshlrev_b32_e32 v16, 2, v8
	s_waitcnt lgkmcnt(0)
	ds_bpermute_b32 v8, v16, v9
	v_max_f32_e32 v9, v9, v9
	v_lshlrev_b32_e32 v7, 2, v7
	s_lshl_b32 s4, s47, 5
	s_min_i32 s37, s4, s33
	s_waitcnt lgkmcnt(0)
	v_max_f32_e32 v8, v8, v8
	v_max_f32_e32 v8, v9, v8
	ds_bpermute_b32 v8, v7, v8
	buffer_load_dword v7, off, s[60:63], 0 offset:300 ; 4-byte Folded Reload
	s_waitcnt vmcnt(0)
	v_cmp_gt_i32_e64 s[4:5], s37, v7
	v_mov_b32_e32 v7, 0
	s_and_saveexec_b64 s[12:13], s[4:5]
	s_cbranch_execz .LBB316_413
; %bb.410:
	buffer_load_dword v10, off, s[60:63], 0 offset:300 ; 4-byte Folded Reload
	v_mov_b32_e32 v7, 0x110
	s_mov_b64 s[18:19], 0
	s_waitcnt vmcnt(0)
	v_lshl_add_u32 v9, v10, 2, v7
	v_mov_b32_e32 v7, 0
.LBB316_411:                            ; =>This Inner Loop Header: Depth=1
	ds_read_b32 v11, v9
	v_add_u32_e32 v10, 0x80, v10
	v_cmp_le_i32_e64 s[6:7], s37, v10
	s_or_b64 s[18:19], s[6:7], s[18:19]
	s_waitcnt lgkmcnt(0)
	v_sub_f32_e32 v11, v11, v8
	v_mul_f32_e32 v11, 0x3fb8aa3b, v11
	v_exp_f32_e32 v11, v11
	ds_write_b32 v9, v11
	v_add_f32_e32 v7, v7, v11
	v_add_u32_e32 v9, 0x200, v9
	s_andn2_b64 exec, exec, s[18:19]
	s_cbranch_execnz .LBB316_411
; %bb.412:
	s_or_b64 exec, exec, s[18:19]
.LBB316_413:
	s_or_b64 exec, exec, s[12:13]
	ds_bpermute_b32 v1, v1, v7
	s_waitcnt lgkmcnt(0)
	v_add_f32_e32 v1, v7, v1
	ds_bpermute_b32 v2, v2, v1
	s_waitcnt lgkmcnt(0)
	v_add_f32_e32 v1, v1, v2
	;; [unrolled: 3-line block ×6, first 2 shown]
	s_and_saveexec_b64 s[6:7], vcc
; %bb.414:
	ds_write_b32 v5, v1 offset:264
; %bb.415:
	s_or_b64 exec, exec, s[6:7]
	s_waitcnt lgkmcnt(0)
	s_barrier
	s_and_saveexec_b64 s[6:7], s[2:3]
; %bb.416:
	ds_read_b32 v1, v6 offset:264
; %bb.417:
	s_or_b64 exec, exec, s[6:7]
	s_waitcnt lgkmcnt(0)
	ds_bpermute_b32 v2, v16, v1
	v_lshlrev_b32_e32 v0, 2, v0
	v_and_b32_e32 v0, 0x100, v0
	s_waitcnt lgkmcnt(0)
	v_add_f32_e32 v1, v1, v2
	ds_bpermute_b32 v0, v0, v1
	s_and_saveexec_b64 s[2:3], s[4:5]
	s_cbranch_execz .LBB316_420
; %bb.418:
	s_waitcnt lgkmcnt(0)
	v_add_f32_e32 v1, 0x358637bd, v0
	v_div_scale_f32 v0, s[4:5], v1, v1, 1.0
	v_div_scale_f32 v2, vcc, 1.0, v1, 1.0
	s_mov_b64 s[4:5], 0
	v_rcp_f32_e32 v3, v0
	v_fma_f32 v4, -v0, v3, 1.0
	v_fmac_f32_e32 v3, v4, v3
	v_mul_f32_e32 v4, v2, v3
	v_fma_f32 v5, -v0, v4, v2
	v_fmac_f32_e32 v4, v5, v3
	v_fma_f32 v0, -v0, v4, v2
	v_div_fmas_f32 v2, v0, v3, v4
	buffer_load_dword v3, off, s[60:63], 0 offset:300 ; 4-byte Folded Reload
	v_mov_b32_e32 v0, 0x110
	v_div_fixup_f32 v1, v2, v1, 1.0
	s_waitcnt vmcnt(0)
	v_lshl_add_u32 v0, v3, 2, v0
	v_mov_b32_e32 v2, v3
.LBB316_419:                            ; =>This Inner Loop Header: Depth=1
	ds_read_b32 v3, v0
	v_add_u32_e32 v2, 0x80, v2
	v_cmp_le_i32_e32 vcc, s37, v2
	s_or_b64 s[4:5], vcc, s[4:5]
	s_waitcnt lgkmcnt(0)
	v_mul_f32_e32 v3, v1, v3
	ds_write_b32 v0, v3
	v_add_u32_e32 v0, 0x200, v0
	s_andn2_b64 exec, exec, s[4:5]
	s_cbranch_execnz .LBB316_419
.LBB316_420:
	s_or_b64 exec, exec, s[2:3]
	s_waitcnt lgkmcnt(0)
	s_barrier
	buffer_load_dword v0, off, s[60:63], 0 offset:300 ; 4-byte Folded Reload
	v_mov_b32_e32 v3, 0
	v_mov_b32_e32 v5, 0
	;; [unrolled: 1-line block ×8, first 2 shown]
	s_waitcnt vmcnt(0)
	v_and_b32_e32 v17, 3, v0
	s_and_saveexec_b64 s[2:3], s[0:1]
	s_cbranch_execz .LBB316_826
; %bb.421:
	s_sub_i32 s37, s16, s21
	s_ashr_i32 s0, s20, 31
	s_add_u32 s1, s34, s20
	v_and_b32_e32 v1, 24, v12
	buffer_store_dword v16, off, s[60:63], 0 offset:208 ; 4-byte Folded Spill
	buffer_store_dword v14, off, s[60:63], 0 offset:204 ; 4-byte Folded Spill
	;; [unrolled: 1-line block ×3, first 2 shown]
	s_addc_u32 s0, s35, s0
	buffer_store_dword v1, off, s[60:63], 0 offset:188 ; 4-byte Folded Spill
	v_and_b32_e32 v1, 0x1f8, v12
	v_mov_b32_e32 v4, s0
	v_add_co_u32_e32 v5, vcc, s1, v1
	v_addc_co_u32_e32 v6, vcc, 0, v4, vcc
	buffer_store_dword v5, off, s[60:63], 0 offset:192 ; 4-byte Folded Spill
	s_nop 0
	buffer_store_dword v6, off, s[60:63], 0 offset:196 ; 4-byte Folded Spill
	buffer_load_dword v1, off, s[60:63], 0  ; 4-byte Folded Reload
	s_abs_i32 s22, s22
	s_sub_i32 s6, 0, s22
	s_add_i32 s35, s47, -1
	s_lshl_b64 s[0:1], s[30:31], 2
	v_and_b32_e32 v3, 60, v13
	s_add_u32 s0, s28, s0
	v_add_co_u32_e32 v13, vcc, s0, v3
	buffer_load_dword v3, off, s[60:63], 0 offset:4 ; 4-byte Folded Reload
	v_cvt_f32_u32_e32 v0, s22
	s_addc_u32 s1, s29, s1
	s_mov_b32 s4, -1
	s_mov_b32 s34, s17
	v_rcp_iflag_f32_e32 v0, v0
	s_mov_b32 s5, 0xffffff
	v_mov_b32_e32 v10, 0
	s_movk_i32 s28, 0x80
	v_mul_f32_e32 v0, 0x4f7ffffe, v0
	v_cvt_u32_f32_e32 v0, v0
	s_movk_i32 s29, 0x7f
	s_movk_i32 s30, 0x7fff
	v_mov_b32_e32 v18, 0
	v_mul_lo_u32 v2, s6, v0
	s_mov_b64 s[6:7], 0
	buffer_store_dword v17, off, s[60:63], 0 offset:212 ; 4-byte Folded Spill
	v_mul_hi_u32 v2, v0, v2
	v_add_u32_e32 v0, v0, v2
	buffer_store_dword v0, off, s[60:63], 0 offset:180 ; 4-byte Folded Spill
	v_mov_b32_e32 v0, s1
	v_addc_co_u32_e32 v14, vcc, 0, v0, vcc
	v_lshlrev_b32_e32 v0, 5, v17
	s_waitcnt vmcnt(3)
	v_lshl_or_b32 v0, v1, 7, v0
	v_add_u32_e32 v36, 0x110, v0
	v_mov_b32_e32 v0, 0
	buffer_store_dword v0, off, s[60:63], 0 offset:128 ; 4-byte Folded Spill
	v_mov_b32_e32 v0, 0
	buffer_store_dword v0, off, s[60:63], 0 offset:144 ; 4-byte Folded Spill
	;; [unrolled: 2-line block ×7, first 2 shown]
	s_branch .LBB316_424
.LBB316_422:                            ;   in Loop: Header=BB316_424 Depth=1
	s_or_b64 exec, exec, s[0:1]
	v_bfe_u32 v11, v5, 16, 1
	v_add3_u32 v11, v11, v5, s30
	v_or_b32_e32 v12, 0x400000, v5
	v_cmp_u_f32_e32 vcc, v5, v5
	v_bfe_u32 v5, v6, 16, 1
	v_cndmask_b32_e32 v33, v11, v12, vcc
	v_add3_u32 v5, v5, v6, s30
	v_or_b32_e32 v11, 0x400000, v6
	v_cmp_u_f32_e32 vcc, v6, v6
	v_cndmask_b32_e32 v34, v5, v11, vcc
	v_bfe_u32 v5, v7, 16, 1
	v_add3_u32 v5, v5, v7, s30
	v_or_b32_e32 v6, 0x400000, v7
	v_cmp_u_f32_e32 vcc, v7, v7
	v_cndmask_b32_e32 v5, v5, v6, vcc
	v_bfe_u32 v6, v8, 16, 1
	;; [unrolled: 5-line block ×3, first 2 shown]
	v_add3_u32 v7, v7, v1, s30
	v_or_b32_e32 v8, 0x400000, v1
	v_cmp_u_f32_e32 vcc, v1, v1
	v_bfe_u32 v1, v2, 16, 1
	v_cndmask_b32_e32 v7, v7, v8, vcc
	v_add3_u32 v1, v1, v2, s30
	v_or_b32_e32 v8, 0x400000, v2
	v_cmp_u_f32_e32 vcc, v2, v2
	v_cndmask_b32_e32 v11, v1, v8, vcc
	v_bfe_u32 v1, v3, 16, 1
	v_add3_u32 v1, v1, v3, s30
	v_or_b32_e32 v2, 0x400000, v3
	v_cmp_u_f32_e32 vcc, v3, v3
	v_cndmask_b32_e32 v8, v1, v2, vcc
	v_bfe_u32 v1, v4, 16, 1
	v_add3_u32 v1, v1, v4, s30
	v_or_b32_e32 v2, 0x400000, v4
	v_cmp_u_f32_e32 vcc, v4, v4
	v_cndmask_b32_e32 v12, v1, v2, vcc
	v_and_b32_e32 v1, 0xffff0000, v34
	v_lshlrev_b32_e32 v2, 16, v63
	v_mul_f32_e32 v2, v1, v2
	v_bfe_u32 v3, v2, 16, 1
	v_add3_u32 v3, v3, v2, s30
	v_or_b32_e32 v4, 0x400000, v2
	v_cmp_u_f32_e32 vcc, v2, v2
	v_cndmask_b32_e32 v21, v3, v4, vcc
	v_and_b32_e32 v4, 0xffff0000, v33
	v_lshlrev_b32_e32 v2, 16, v62
	v_mul_f32_e32 v2, v4, v2
	;; [unrolled: 8-line block ×5, first 2 shown]
	v_bfe_u32 v11, v5, 16, 1
	v_add3_u32 v11, v11, v5, s30
	v_or_b32_e32 v19, 0x400000, v5
	v_cmp_u_f32_e32 vcc, v5, v5
	v_and_b32_e32 v7, 0xffff0000, v7
	v_lshlrev_b32_e32 v5, 16, v18
	v_mul_f32_e32 v5, v7, v5
	v_bfe_u32 v18, v5, 16, 1
	v_cndmask_b32_e32 v11, v11, v19, vcc
	v_add3_u32 v18, v18, v5, s30
	v_or_b32_e32 v19, 0x400000, v5
	v_cmp_u_f32_e32 vcc, v5, v5
	v_and_b32_e32 v5, 0xffff0000, v12
	v_lshlrev_b32_e32 v12, 16, v54
	v_mul_f32_e32 v12, v5, v12
	v_cndmask_b32_e32 v18, v18, v19, vcc
	v_bfe_u32 v19, v12, 16, 1
	v_add3_u32 v19, v19, v12, s30
	v_or_b32_e32 v35, 0x400000, v12
	v_cmp_u_f32_e32 vcc, v12, v12
	v_cndmask_b32_e32 v12, v19, v35, vcc
	v_and_b32_e32 v8, 0xffff0000, v8
	v_lshlrev_b32_e32 v19, 16, v51
	v_mul_f32_e32 v19, v8, v19
	v_bfe_u32 v35, v19, 16, 1
	v_and_b32_e32 v22, 0xffff0000, v22
	v_and_b32_e32 v21, 0xffff0000, v21
	v_add3_u32 v35, v35, v19, s30
	v_or_b32_e32 v37, 0x400000, v19
	v_cmp_u_f32_e32 vcc, v19, v19
	v_add_f32_e32 v21, v22, v21
	v_and_b32_e32 v22, 0xffff0000, v34
	v_and_b32_e32 v33, 0xffff0000, v33
	v_cndmask_b32_e32 v19, v35, v37, vcc
	v_add_f32_e32 v22, v22, v33
	v_and_b32_e32 v18, 0xffff0000, v18
	v_and_b32_e32 v11, 0xffff0000, v11
	v_add_f32_e32 v21, v22, v21
	v_add_f32_e32 v11, v18, v11
	v_and_b32_e32 v18, 0xffff0000, v19
	v_and_b32_e32 v12, 0xffff0000, v12
	v_add_f32_e32 v11, v11, v21
	v_add_f32_e32 v12, v18, v12
	;; [unrolled: 1-line block ×3, first 2 shown]
	buffer_load_dword v12, off, s[60:63], 0 offset:128 ; 4-byte Folded Reload
	v_lshlrev_b32_e32 v0, 16, v0
	v_mul_f32_e32 v0, v4, v0
	s_waitcnt vmcnt(0)
	v_add_f32_e32 v12, v12, v11
	v_lshlrev_b32_e32 v11, 16, v50
	v_mul_f32_e32 v11, v1, v11
	buffer_store_dword v12, off, s[60:63], 0 offset:128 ; 4-byte Folded Spill
	v_bfe_u32 v12, v11, 16, 1
	v_add3_u32 v12, v12, v11, s30
	v_or_b32_e32 v18, 0x400000, v11
	v_cmp_u_f32_e32 vcc, v11, v11
	v_cndmask_b32_e32 v11, v12, v18, vcc
	v_lshlrev_b32_e32 v12, 16, v49
	v_mul_f32_e32 v12, v4, v12
	v_bfe_u32 v18, v12, 16, 1
	v_add3_u32 v18, v18, v12, s30
	v_or_b32_e32 v19, 0x400000, v12
	v_cmp_u_f32_e32 vcc, v12, v12
	v_cndmask_b32_e32 v12, v18, v19, vcc
	v_lshlrev_b32_e32 v18, 16, v47
	v_mul_f32_e32 v18, v2, v18
	;; [unrolled: 7-line block ×6, first 2 shown]
	v_bfe_u32 v34, v33, 16, 1
	v_add3_u32 v34, v34, v33, s30
	v_or_b32_e32 v35, 0x400000, v33
	v_cmp_u_f32_e32 vcc, v33, v33
	v_cndmask_b32_e32 v33, v34, v35, vcc
	v_lshlrev_b32_e32 v34, 16, v45
	v_and_b32_e32 v12, 0xffff0000, v12
	v_and_b32_e32 v11, 0xffff0000, v11
	v_mul_f32_e32 v34, v8, v34
	v_add_f32_e32 v11, v12, v11
	v_and_b32_e32 v12, 0xffff0000, v19
	v_and_b32_e32 v18, 0xffff0000, v18
	v_bfe_u32 v35, v34, 16, 1
	v_add_f32_e32 v12, v12, v18
	v_add3_u32 v35, v35, v34, s30
	v_or_b32_e32 v37, 0x400000, v34
	v_cmp_u_f32_e32 vcc, v34, v34
	v_add_f32_e32 v11, v12, v11
	v_and_b32_e32 v12, 0xffff0000, v22
	v_and_b32_e32 v18, 0xffff0000, v21
	v_cndmask_b32_e32 v34, v35, v37, vcc
	v_add_f32_e32 v12, v12, v18
	v_add_f32_e32 v11, v12, v11
	v_and_b32_e32 v12, 0xffff0000, v34
	v_and_b32_e32 v18, 0xffff0000, v33
	v_add_f32_e32 v12, v12, v18
	v_add_f32_e32 v11, v12, v11
	buffer_load_dword v12, off, s[60:63], 0 offset:144 ; 4-byte Folded Reload
	s_waitcnt vmcnt(0)
	v_add_f32_e32 v12, v12, v11
	v_lshlrev_b32_e32 v11, 16, v42
	v_mul_f32_e32 v11, v1, v11
	buffer_store_dword v12, off, s[60:63], 0 offset:144 ; 4-byte Folded Spill
	v_bfe_u32 v12, v11, 16, 1
	v_add3_u32 v12, v12, v11, s30
	v_or_b32_e32 v18, 0x400000, v11
	v_cmp_u_f32_e32 vcc, v11, v11
	v_cndmask_b32_e32 v11, v12, v18, vcc
	v_lshlrev_b32_e32 v12, 16, v41
	v_mul_f32_e32 v12, v4, v12
	v_bfe_u32 v18, v12, 16, 1
	v_add3_u32 v18, v18, v12, s30
	v_or_b32_e32 v19, 0x400000, v12
	v_cmp_u_f32_e32 vcc, v12, v12
	v_cndmask_b32_e32 v12, v18, v19, vcc
	v_lshlrev_b32_e32 v18, 16, v39
	v_mul_f32_e32 v18, v2, v18
	;; [unrolled: 7-line block ×6, first 2 shown]
	v_bfe_u32 v31, v29, 16, 1
	v_add3_u32 v31, v31, v29, s30
	v_or_b32_e32 v33, 0x400000, v29
	v_cmp_u_f32_e32 vcc, v29, v29
	v_cndmask_b32_e32 v29, v31, v33, vcc
	v_lshlrev_b32_e32 v31, 16, v32
	v_and_b32_e32 v12, 0xffff0000, v12
	v_and_b32_e32 v11, 0xffff0000, v11
	v_mul_f32_e32 v31, v8, v31
	v_add_f32_e32 v11, v12, v11
	v_and_b32_e32 v12, 0xffff0000, v19
	v_and_b32_e32 v18, 0xffff0000, v18
	v_bfe_u32 v32, v31, 16, 1
	v_add_f32_e32 v12, v12, v18
	v_add3_u32 v32, v32, v31, s30
	v_or_b32_e32 v33, 0x400000, v31
	v_cmp_u_f32_e32 vcc, v31, v31
	v_add_f32_e32 v11, v12, v11
	v_and_b32_e32 v12, 0xffff0000, v22
	v_and_b32_e32 v18, 0xffff0000, v21
	v_cndmask_b32_e32 v31, v32, v33, vcc
	v_add_f32_e32 v12, v12, v18
	v_add_f32_e32 v11, v12, v11
	v_and_b32_e32 v12, 0xffff0000, v31
	v_and_b32_e32 v18, 0xffff0000, v29
	v_add_f32_e32 v12, v12, v18
	v_add_f32_e32 v11, v12, v11
	buffer_load_dword v12, off, s[60:63], 0 offset:160 ; 4-byte Folded Reload
	s_waitcnt vmcnt(0)
	v_add_f32_e32 v12, v12, v11
	v_lshlrev_b32_e32 v11, 16, v24
	v_mul_f32_e32 v11, v1, v11
	buffer_store_dword v12, off, s[60:63], 0 offset:160 ; 4-byte Folded Spill
	v_bfe_u32 v12, v11, 16, 1
	v_add3_u32 v12, v12, v11, s30
	v_or_b32_e32 v18, 0x400000, v11
	v_cmp_u_f32_e32 vcc, v11, v11
	v_cndmask_b32_e32 v11, v12, v18, vcc
	v_lshlrev_b32_e32 v12, 16, v27
	v_mul_f32_e32 v12, v4, v12
	v_bfe_u32 v18, v12, 16, 1
	v_add3_u32 v18, v18, v12, s30
	v_or_b32_e32 v19, 0x400000, v12
	v_cmp_u_f32_e32 vcc, v12, v12
	v_cndmask_b32_e32 v12, v18, v19, vcc
	v_lshlrev_b32_e32 v18, 16, v25
	v_mul_f32_e32 v18, v2, v18
	v_bfe_u32 v19, v18, 16, 1
	v_add3_u32 v19, v19, v18, s30
	v_or_b32_e32 v21, 0x400000, v18
	v_cmp_u_f32_e32 vcc, v18, v18
	v_cndmask_b32_e32 v18, v19, v21, vcc
	buffer_load_dword v19, off, s[60:63], 0 offset:112 ; 4-byte Folded Reload
	v_and_b32_e32 v12, 0xffff0000, v12
	v_and_b32_e32 v11, 0xffff0000, v11
	v_add_f32_e32 v11, v12, v11
	v_and_b32_e32 v18, 0xffff0000, v18
	s_waitcnt vmcnt(0)
	v_lshlrev_b32_e32 v19, 16, v19
	v_mul_f32_e32 v19, v6, v19
	v_bfe_u32 v21, v19, 16, 1
	v_add3_u32 v21, v21, v19, s30
	v_or_b32_e32 v22, 0x400000, v19
	v_cmp_u_f32_e32 vcc, v19, v19
	v_cndmask_b32_e32 v19, v21, v22, vcc
	buffer_load_dword v21, off, s[60:63], 0 offset:104 ; 4-byte Folded Reload
	v_and_b32_e32 v12, 0xffff0000, v19
	v_add_f32_e32 v12, v12, v18
	v_add_f32_e32 v11, v12, v11
	s_waitcnt vmcnt(0)
	v_lshlrev_b32_e32 v21, 16, v21
	v_mul_f32_e32 v21, v3, v21
	v_bfe_u32 v22, v21, 16, 1
	v_add3_u32 v22, v22, v21, s30
	v_or_b32_e32 v24, 0x400000, v21
	v_cmp_u_f32_e32 vcc, v21, v21
	v_cndmask_b32_e32 v21, v22, v24, vcc
	buffer_load_dword v22, off, s[60:63], 0 offset:100 ; 4-byte Folded Reload
	v_and_b32_e32 v18, 0xffff0000, v21
	s_waitcnt vmcnt(0)
	v_lshlrev_b32_e32 v22, 16, v22
	v_mul_f32_e32 v22, v7, v22
	v_bfe_u32 v24, v22, 16, 1
	v_add3_u32 v24, v24, v22, s30
	v_or_b32_e32 v25, 0x400000, v22
	v_cmp_u_f32_e32 vcc, v22, v22
	v_cndmask_b32_e32 v22, v24, v25, vcc
	v_lshlrev_b32_e32 v24, 16, v26
	v_mul_f32_e32 v24, v5, v24
	v_bfe_u32 v25, v24, 16, 1
	v_add3_u32 v25, v25, v24, s30
	v_or_b32_e32 v26, 0x400000, v24
	v_cmp_u_f32_e32 vcc, v24, v24
	v_cndmask_b32_e32 v24, v25, v26, vcc
	buffer_load_dword v25, off, s[60:63], 0 offset:108 ; 4-byte Folded Reload
	v_and_b32_e32 v12, 0xffff0000, v22
	v_add_f32_e32 v12, v12, v18
	v_add_f32_e32 v11, v12, v11
	v_and_b32_e32 v18, 0xffff0000, v24
	s_waitcnt vmcnt(0)
	v_lshlrev_b32_e32 v25, 16, v25
	v_mul_f32_e32 v25, v8, v25
	v_bfe_u32 v26, v25, 16, 1
	v_add3_u32 v26, v26, v25, s30
	v_or_b32_e32 v27, 0x400000, v25
	v_cmp_u_f32_e32 vcc, v25, v25
	v_cndmask_b32_e32 v25, v26, v27, vcc
	v_and_b32_e32 v12, 0xffff0000, v25
	v_add_f32_e32 v12, v12, v18
	v_add_f32_e32 v11, v12, v11
	buffer_load_dword v12, off, s[60:63], 0 offset:164 ; 4-byte Folded Reload
	s_waitcnt vmcnt(0)
	v_add_f32_e32 v12, v12, v11
	buffer_load_dword v11, off, s[60:63], 0 offset:92 ; 4-byte Folded Reload
	s_waitcnt vmcnt(0)
	v_lshlrev_b32_e32 v11, 16, v11
	v_mul_f32_e32 v11, v1, v11
	buffer_store_dword v12, off, s[60:63], 0 offset:164 ; 4-byte Folded Spill
	v_bfe_u32 v12, v11, 16, 1
	v_add3_u32 v12, v12, v11, s30
	v_or_b32_e32 v18, 0x400000, v11
	v_cmp_u_f32_e32 vcc, v11, v11
	v_cndmask_b32_e32 v11, v12, v18, vcc
	buffer_load_dword v12, off, s[60:63], 0 offset:96 ; 4-byte Folded Reload
	v_and_b32_e32 v11, 0xffff0000, v11
	s_waitcnt vmcnt(0)
	v_lshlrev_b32_e32 v12, 16, v12
	v_mul_f32_e32 v12, v4, v12
	v_bfe_u32 v18, v12, 16, 1
	v_add3_u32 v18, v18, v12, s30
	v_or_b32_e32 v19, 0x400000, v12
	v_cmp_u_f32_e32 vcc, v12, v12
	v_cndmask_b32_e32 v12, v18, v19, vcc
	buffer_load_dword v18, off, s[60:63], 0 offset:80 ; 4-byte Folded Reload
	v_and_b32_e32 v12, 0xffff0000, v12
	v_add_f32_e32 v11, v12, v11
	s_waitcnt vmcnt(0)
	v_lshlrev_b32_e32 v18, 16, v18
	v_mul_f32_e32 v18, v2, v18
	v_bfe_u32 v19, v18, 16, 1
	v_add3_u32 v19, v19, v18, s30
	v_or_b32_e32 v21, 0x400000, v18
	v_cmp_u_f32_e32 vcc, v18, v18
	v_cndmask_b32_e32 v18, v19, v21, vcc
	buffer_load_dword v19, off, s[60:63], 0 offset:84 ; 4-byte Folded Reload
	v_and_b32_e32 v18, 0xffff0000, v18
	s_waitcnt vmcnt(0)
	v_lshlrev_b32_e32 v19, 16, v19
	v_mul_f32_e32 v19, v6, v19
	v_bfe_u32 v21, v19, 16, 1
	v_add3_u32 v21, v21, v19, s30
	v_or_b32_e32 v22, 0x400000, v19
	v_cmp_u_f32_e32 vcc, v19, v19
	v_cndmask_b32_e32 v19, v21, v22, vcc
	buffer_load_dword v21, off, s[60:63], 0 offset:68 ; 4-byte Folded Reload
	v_and_b32_e32 v12, 0xffff0000, v19
	v_add_f32_e32 v12, v12, v18
	v_add_f32_e32 v11, v12, v11
	s_waitcnt vmcnt(0)
	v_lshlrev_b32_e32 v21, 16, v21
	v_mul_f32_e32 v21, v3, v21
	v_bfe_u32 v22, v21, 16, 1
	v_add3_u32 v22, v22, v21, s30
	v_or_b32_e32 v24, 0x400000, v21
	v_cmp_u_f32_e32 vcc, v21, v21
	v_cndmask_b32_e32 v21, v22, v24, vcc
	buffer_load_dword v22, off, s[60:63], 0 offset:72 ; 4-byte Folded Reload
	v_and_b32_e32 v18, 0xffff0000, v21
	s_waitcnt vmcnt(0)
	v_lshlrev_b32_e32 v22, 16, v22
	v_mul_f32_e32 v22, v7, v22
	v_bfe_u32 v24, v22, 16, 1
	v_add3_u32 v24, v24, v22, s30
	v_or_b32_e32 v25, 0x400000, v22
	v_cmp_u_f32_e32 vcc, v22, v22
	v_cndmask_b32_e32 v22, v24, v25, vcc
	buffer_load_dword v24, off, s[60:63], 0 offset:88 ; 4-byte Folded Reload
	v_and_b32_e32 v12, 0xffff0000, v22
	v_add_f32_e32 v12, v12, v18
	v_add_f32_e32 v11, v12, v11
	s_waitcnt vmcnt(0)
	v_lshlrev_b32_e32 v24, 16, v24
	v_mul_f32_e32 v24, v5, v24
	v_bfe_u32 v25, v24, 16, 1
	v_add3_u32 v25, v25, v24, s30
	v_or_b32_e32 v26, 0x400000, v24
	v_cmp_u_f32_e32 vcc, v24, v24
	v_cndmask_b32_e32 v24, v25, v26, vcc
	buffer_load_dword v25, off, s[60:63], 0 offset:76 ; 4-byte Folded Reload
	v_and_b32_e32 v18, 0xffff0000, v24
	s_waitcnt vmcnt(0)
	v_lshlrev_b32_e32 v25, 16, v25
	v_mul_f32_e32 v25, v8, v25
	v_bfe_u32 v26, v25, 16, 1
	v_add3_u32 v26, v26, v25, s30
	v_or_b32_e32 v27, 0x400000, v25
	v_cmp_u_f32_e32 vcc, v25, v25
	v_cndmask_b32_e32 v25, v26, v27, vcc
	v_and_b32_e32 v12, 0xffff0000, v25
	v_add_f32_e32 v12, v12, v18
	v_add_f32_e32 v11, v12, v11
	buffer_load_dword v12, off, s[60:63], 0 offset:168 ; 4-byte Folded Reload
	s_waitcnt vmcnt(0)
	v_add_f32_e32 v12, v12, v11
	buffer_load_dword v11, off, s[60:63], 0 offset:60 ; 4-byte Folded Reload
	s_waitcnt vmcnt(0)
	v_lshlrev_b32_e32 v11, 16, v11
	v_mul_f32_e32 v11, v1, v11
	buffer_store_dword v12, off, s[60:63], 0 offset:168 ; 4-byte Folded Spill
	v_bfe_u32 v12, v11, 16, 1
	v_add3_u32 v12, v12, v11, s30
	v_or_b32_e32 v18, 0x400000, v11
	v_cmp_u_f32_e32 vcc, v11, v11
	v_cndmask_b32_e32 v11, v12, v18, vcc
	buffer_load_dword v12, off, s[60:63], 0 offset:64 ; 4-byte Folded Reload
	v_and_b32_e32 v11, 0xffff0000, v11
	s_waitcnt vmcnt(0)
	v_lshlrev_b32_e32 v12, 16, v12
	v_mul_f32_e32 v12, v4, v12
	v_bfe_u32 v18, v12, 16, 1
	v_add3_u32 v18, v18, v12, s30
	v_or_b32_e32 v19, 0x400000, v12
	v_cmp_u_f32_e32 vcc, v12, v12
	v_cndmask_b32_e32 v12, v18, v19, vcc
	buffer_load_dword v18, off, s[60:63], 0 offset:48 ; 4-byte Folded Reload
	v_and_b32_e32 v12, 0xffff0000, v12
	v_add_f32_e32 v11, v12, v11
	s_waitcnt vmcnt(0)
	v_lshlrev_b32_e32 v18, 16, v18
	v_mul_f32_e32 v18, v2, v18
	v_bfe_u32 v19, v18, 16, 1
	v_add3_u32 v19, v19, v18, s30
	v_or_b32_e32 v21, 0x400000, v18
	v_cmp_u_f32_e32 vcc, v18, v18
	v_cndmask_b32_e32 v18, v19, v21, vcc
	buffer_load_dword v19, off, s[60:63], 0 offset:52 ; 4-byte Folded Reload
	v_and_b32_e32 v18, 0xffff0000, v18
	s_waitcnt vmcnt(0)
	v_lshlrev_b32_e32 v19, 16, v19
	v_mul_f32_e32 v19, v6, v19
	v_bfe_u32 v21, v19, 16, 1
	v_add3_u32 v21, v21, v19, s30
	v_or_b32_e32 v22, 0x400000, v19
	v_cmp_u_f32_e32 vcc, v19, v19
	v_cndmask_b32_e32 v19, v21, v22, vcc
	buffer_load_dword v21, off, s[60:63], 0 offset:36 ; 4-byte Folded Reload
	v_and_b32_e32 v12, 0xffff0000, v19
	v_add_f32_e32 v12, v12, v18
	v_add_f32_e32 v11, v12, v11
	s_waitcnt vmcnt(0)
	v_lshlrev_b32_e32 v21, 16, v21
	v_mul_f32_e32 v21, v3, v21
	v_bfe_u32 v22, v21, 16, 1
	v_add3_u32 v22, v22, v21, s30
	v_or_b32_e32 v24, 0x400000, v21
	v_cmp_u_f32_e32 vcc, v21, v21
	v_cndmask_b32_e32 v21, v22, v24, vcc
	buffer_load_dword v22, off, s[60:63], 0 offset:40 ; 4-byte Folded Reload
	v_and_b32_e32 v18, 0xffff0000, v21
	s_waitcnt vmcnt(0)
	v_lshlrev_b32_e32 v22, 16, v22
	v_mul_f32_e32 v22, v7, v22
	v_bfe_u32 v24, v22, 16, 1
	v_add3_u32 v24, v24, v22, s30
	v_or_b32_e32 v25, 0x400000, v22
	v_cmp_u_f32_e32 vcc, v22, v22
	v_cndmask_b32_e32 v22, v24, v25, vcc
	buffer_load_dword v24, off, s[60:63], 0 offset:56 ; 4-byte Folded Reload
	v_and_b32_e32 v12, 0xffff0000, v22
	v_add_f32_e32 v12, v12, v18
	v_add_f32_e32 v11, v12, v11
	s_waitcnt vmcnt(0)
	v_lshlrev_b32_e32 v24, 16, v24
	v_mul_f32_e32 v24, v5, v24
	v_bfe_u32 v25, v24, 16, 1
	v_add3_u32 v25, v25, v24, s30
	v_or_b32_e32 v26, 0x400000, v24
	v_cmp_u_f32_e32 vcc, v24, v24
	v_cndmask_b32_e32 v24, v25, v26, vcc
	buffer_load_dword v25, off, s[60:63], 0 offset:44 ; 4-byte Folded Reload
	v_and_b32_e32 v18, 0xffff0000, v24
	s_waitcnt vmcnt(0)
	v_lshlrev_b32_e32 v25, 16, v25
	v_mul_f32_e32 v25, v8, v25
	v_bfe_u32 v26, v25, 16, 1
	v_add3_u32 v26, v26, v25, s30
	v_or_b32_e32 v27, 0x400000, v25
	v_cmp_u_f32_e32 vcc, v25, v25
	v_cndmask_b32_e32 v25, v26, v27, vcc
	v_and_b32_e32 v12, 0xffff0000, v25
	v_add_f32_e32 v12, v12, v18
	v_add_f32_e32 v11, v12, v11
	buffer_load_dword v12, off, s[60:63], 0 offset:176 ; 4-byte Folded Reload
	s_waitcnt vmcnt(0)
	v_add_f32_e32 v12, v12, v11
	buffer_load_dword v11, off, s[60:63], 0 offset:28 ; 4-byte Folded Reload
	s_waitcnt vmcnt(0)
	v_lshlrev_b32_e32 v11, 16, v11
	v_mul_f32_e32 v11, v1, v11
	buffer_store_dword v12, off, s[60:63], 0 offset:176 ; 4-byte Folded Spill
	v_bfe_u32 v12, v11, 16, 1
	v_add3_u32 v12, v12, v11, s30
	v_or_b32_e32 v18, 0x400000, v11
	v_cmp_u_f32_e32 vcc, v11, v11
	v_cndmask_b32_e32 v11, v12, v18, vcc
	buffer_load_dword v12, off, s[60:63], 0 offset:32 ; 4-byte Folded Reload
	v_and_b32_e32 v11, 0xffff0000, v11
	s_waitcnt vmcnt(0)
	v_lshlrev_b32_e32 v12, 16, v12
	v_mul_f32_e32 v12, v4, v12
	v_bfe_u32 v18, v12, 16, 1
	v_add3_u32 v18, v18, v12, s30
	v_or_b32_e32 v19, 0x400000, v12
	v_cmp_u_f32_e32 vcc, v12, v12
	v_cndmask_b32_e32 v12, v18, v19, vcc
	buffer_load_dword v18, off, s[60:63], 0 offset:16 ; 4-byte Folded Reload
	v_and_b32_e32 v12, 0xffff0000, v12
	v_add_f32_e32 v11, v12, v11
	v_bfe_u32 v4, v0, 16, 1
	v_add3_u32 v4, v4, v0, s30
	s_waitcnt vmcnt(0)
	v_lshlrev_b32_e32 v18, 16, v18
	v_mul_f32_e32 v18, v2, v18
	v_bfe_u32 v19, v18, 16, 1
	v_add3_u32 v19, v19, v18, s30
	v_or_b32_e32 v21, 0x400000, v18
	v_cmp_u_f32_e32 vcc, v18, v18
	v_cndmask_b32_e32 v18, v19, v21, vcc
	buffer_load_dword v19, off, s[60:63], 0 offset:20 ; 4-byte Folded Reload
	v_and_b32_e32 v18, 0xffff0000, v18
	s_waitcnt vmcnt(0)
	v_lshlrev_b32_e32 v19, 16, v19
	v_mul_f32_e32 v19, v6, v19
	v_bfe_u32 v21, v19, 16, 1
	v_add3_u32 v21, v21, v19, s30
	v_or_b32_e32 v22, 0x400000, v19
	v_cmp_u_f32_e32 vcc, v19, v19
	v_cndmask_b32_e32 v19, v21, v22, vcc
	v_lshlrev_b32_e32 v21, 16, v28
	v_mul_f32_e32 v21, v3, v21
	v_bfe_u32 v22, v21, 16, 1
	v_add3_u32 v22, v22, v21, s30
	v_or_b32_e32 v24, 0x400000, v21
	v_cmp_u_f32_e32 vcc, v21, v21
	v_cndmask_b32_e32 v21, v22, v24, vcc
	buffer_load_dword v22, off, s[60:63], 0 offset:8 ; 4-byte Folded Reload
	v_and_b32_e32 v12, 0xffff0000, v19
	v_add_f32_e32 v12, v12, v18
	v_add_f32_e32 v11, v12, v11
	v_and_b32_e32 v18, 0xffff0000, v21
	s_waitcnt vmcnt(0)
	v_lshlrev_b32_e32 v22, 16, v22
	v_mul_f32_e32 v22, v7, v22
	v_bfe_u32 v24, v22, 16, 1
	v_add3_u32 v24, v24, v22, s30
	v_or_b32_e32 v25, 0x400000, v22
	v_cmp_u_f32_e32 vcc, v22, v22
	v_cndmask_b32_e32 v22, v24, v25, vcc
	buffer_load_dword v24, off, s[60:63], 0 offset:24 ; 4-byte Folded Reload
	v_and_b32_e32 v12, 0xffff0000, v22
	v_add_f32_e32 v12, v12, v18
	v_add_f32_e32 v11, v12, v11
	s_waitcnt vmcnt(0)
	v_lshlrev_b32_e32 v24, 16, v24
	v_mul_f32_e32 v24, v5, v24
	v_bfe_u32 v25, v24, 16, 1
	v_add3_u32 v25, v25, v24, s30
	v_or_b32_e32 v26, 0x400000, v24
	v_cmp_u_f32_e32 vcc, v24, v24
	v_cndmask_b32_e32 v24, v25, v26, vcc
	buffer_load_dword v25, off, s[60:63], 0 offset:12 ; 4-byte Folded Reload
	v_and_b32_e32 v18, 0xffff0000, v24
	s_waitcnt vmcnt(0)
	v_lshlrev_b32_e32 v25, 16, v25
	v_mul_f32_e32 v25, v8, v25
	v_bfe_u32 v26, v25, 16, 1
	v_add3_u32 v26, v26, v25, s30
	v_or_b32_e32 v27, 0x400000, v25
	v_cmp_u_f32_e32 vcc, v25, v25
	v_cndmask_b32_e32 v25, v26, v27, vcc
	v_and_b32_e32 v12, 0xffff0000, v25
	v_add_f32_e32 v12, v12, v18
	v_add_f32_e32 v11, v12, v11
	buffer_load_dword v12, off, s[60:63], 0 offset:172 ; 4-byte Folded Reload
	buffer_load_dword v18, off, s[60:63], 0 offset:184 ; 4-byte Folded Reload
	v_cmp_u_f32_e32 vcc, v0, v0
	s_waitcnt vmcnt(1)
	v_add_f32_e32 v12, v12, v11
	v_or_b32_e32 v11, 0x400000, v0
	v_cndmask_b32_e32 v0, v4, v11, vcc
	v_lshlrev_b32_e32 v4, 16, v30
	v_mul_f32_e32 v1, v1, v4
	v_bfe_u32 v4, v1, 16, 1
	v_add3_u32 v4, v4, v1, s30
	v_or_b32_e32 v11, 0x400000, v1
	v_cmp_u_f32_e32 vcc, v1, v1
	v_cndmask_b32_e32 v1, v4, v11, vcc
	v_lshlrev_b32_e32 v4, 16, v20
	v_mul_f32_e32 v4, v6, v4
	v_bfe_u32 v6, v4, 16, 1
	v_add3_u32 v6, v6, v4, s30
	v_or_b32_e32 v11, 0x400000, v4
	v_cmp_u_f32_e32 vcc, v4, v4
	;; [unrolled: 7-line block ×6, first 2 shown]
	v_cndmask_b32_e32 v7, v8, v9, vcc
	v_lshlrev_b32_e32 v8, 16, v23
	v_and_b32_e32 v1, 0xffff0000, v1
	v_and_b32_e32 v0, 0xffff0000, v0
	v_mul_f32_e32 v5, v5, v8
	v_add_f32_e32 v0, v0, v1
	v_and_b32_e32 v1, 0xffff0000, v2
	v_and_b32_e32 v2, 0xffff0000, v4
	v_bfe_u32 v8, v5, 16, 1
	v_add_f32_e32 v1, v2, v1
	v_add3_u32 v8, v8, v5, s30
	v_or_b32_e32 v9, 0x400000, v5
	v_cmp_u_f32_e32 vcc, v5, v5
	v_add_f32_e32 v0, v1, v0
	v_and_b32_e32 v1, 0xffff0000, v3
	v_and_b32_e32 v2, 0xffff0000, v6
	v_cndmask_b32_e32 v5, v8, v9, vcc
	v_add_f32_e32 v1, v2, v1
	v_add_f32_e32 v0, v1, v0
	v_and_b32_e32 v1, 0xffff0000, v5
	v_and_b32_e32 v2, 0xffff0000, v7
	v_add_f32_e32 v1, v2, v1
	v_add_f32_e32 v0, v1, v0
	s_waitcnt vmcnt(0)
	v_add_f32_e32 v18, v18, v0
	buffer_store_dword v12, off, s[60:63], 0 offset:172 ; 4-byte Folded Spill
.LBB316_423:                            ;   in Loop: Header=BB316_424 Depth=1
	s_or_b64 exec, exec, s[12:13]
	buffer_load_dword v0, off, s[60:63], 0  ; 4-byte Folded Reload
	buffer_load_dword v3, off, s[60:63], 0 offset:4 ; 4-byte Folded Reload
	v_add_co_u32_e32 v13, vcc, 8, v13
	v_addc_co_u32_e32 v14, vcc, 0, v14, vcc
	v_add_u32_e32 v36, 0x100, v36
	s_waitcnt vmcnt(1)
	v_add_u32_e32 v0, 2, v0
	v_cmp_le_i32_e32 vcc, s47, v0
	s_waitcnt vmcnt(0)
	v_add_u32_e32 v3, 64, v3
	s_or_b64 s[6:7], vcc, s[6:7]
	buffer_store_dword v0, off, s[60:63], 0 ; 4-byte Folded Spill
	s_andn2_b64 exec, exec, s[6:7]
	s_cbranch_execz .LBB316_825
.LBB316_424:                            ; =>This Inner Loop Header: Depth=1
	s_waitcnt vmcnt(9)
	v_mul_hi_u32 v0, v3, s46
	buffer_store_dword v3, off, s[60:63], 0 offset:4 ; 4-byte Folded Spill
	v_mul_lo_u32 v1, v0, s25
	v_add_u32_e32 v2, 1, v0
	v_sub_u32_e32 v1, v3, v1
	buffer_load_dword v3, off, s[60:63], 0 offset:180 ; 4-byte Folded Reload
	v_cmp_le_u32_e32 vcc, s25, v1
	v_cndmask_b32_e32 v0, v0, v2, vcc
	v_subrev_u32_e32 v2, s25, v1
	v_cndmask_b32_e32 v1, v1, v2, vcc
	v_add_u32_e32 v2, 1, v0
	v_cmp_le_u32_e32 vcc, s25, v1
	v_cndmask_b32_e32 v0, v0, v2, vcc
	v_xor_b32_e32 v0, s23, v0
	v_subrev_u32_e32 v0, s23, v0
	v_add_u32_e32 v1, s36, v0
	v_sub_u32_e32 v2, 0, v1
	v_max_i32_e32 v2, v1, v2
	v_ashrrev_i32_e32 v1, 31, v1
	v_cmp_lt_i32_e64 s[0:1], s37, v0
	s_waitcnt vmcnt(0)
	v_mul_hi_u32 v3, v2, v3
	v_mul_lo_u32 v3, v3, s22
	v_sub_u32_e32 v2, v2, v3
	v_subrev_u32_e32 v3, s22, v2
	v_cmp_le_u32_e32 vcc, s22, v2
	v_cndmask_b32_e32 v2, v2, v3, vcc
	v_subrev_u32_e32 v3, s22, v2
	v_cmp_le_u32_e32 vcc, s22, v2
	v_cndmask_b32_e32 v2, v2, v3, vcc
	v_xor_b32_e32 v2, v2, v1
	v_sub_u32_e32 v1, v2, v1
	v_cmp_eq_u32_e32 vcc, 0, v1
	s_or_b64 s[0:1], vcc, s[0:1]
	s_and_saveexec_b64 s[12:13], s[0:1]
	s_cbranch_execz .LBB316_423
; %bb.425:                              ;   in Loop: Header=BB316_424 Depth=1
	buffer_store_dword v18, off, s[60:63], 0 offset:184 ; 4-byte Folded Spill
	global_load_dword v0, v[13:14], off
	buffer_load_dword v1, off, s[60:63], 0 offset:192 ; 4-byte Folded Reload
	buffer_load_dword v2, off, s[60:63], 0 offset:196 ; 4-byte Folded Reload
	v_mov_b32_e32 v11, 0
	s_waitcnt vmcnt(0)
	v_mad_i64_i32 v[15:16], s[0:1], v0, s34, v[1:2]
	v_mov_b32_e32 v0, 0
	global_load_dwordx2 v[17:18], v[15:16], off
	ds_read2_b64 v[5:8], v36 offset1:1
	ds_read2_b64 v[1:4], v36 offset0:2 offset1:3
	s_load_dword s31, s[14:15], 0x0
	s_waitcnt vmcnt(0)
	v_cmp_ne_u16_sdwa s[16:17], v17, v10 src0_sel:BYTE_0 src1_sel:DWORD
	s_and_saveexec_b64 s[0:1], s[16:17]
	s_cbranch_execz .LBB316_431
; %bb.426:                              ;   in Loop: Header=BB316_424 Depth=1
	v_cmp_ne_u16_sdwa s[18:19], v17, s28 src0_sel:BYTE_0 src1_sel:DWORD
	v_bfrev_b32_e32 v0, 1
	s_and_saveexec_b64 s[16:17], s[18:19]
	s_cbranch_execz .LBB316_430
; %bb.427:                              ;   in Loop: Header=BB316_424 Depth=1
	v_and_b32_e32 v9, 0x7f, v17
	v_cmp_ne_u32_e32 vcc, s29, v9
	v_mov_b32_e32 v0, 0x7f800001
	s_and_saveexec_b64 s[18:19], vcc
	s_cbranch_execz .LBB316_429
; %bb.428:                              ;   in Loop: Header=BB316_424 Depth=1
	v_and_b32_e32 v0, 7, v17
	v_ffbh_u32_e32 v0, v0
	v_min_u32_e32 v0, 32, v0
	v_subrev_u32_e32 v19, 28, v0
	v_cmp_gt_u32_e32 vcc, 8, v9
	v_lshrrev_b32_e32 v12, 3, v9
	v_cndmask_b32_e32 v9, 0, v19, vcc
	v_lshlrev_b64 v[19:20], v9, v[17:18]
	v_sub_u32_e32 v0, 29, v0
	v_cndmask_b32_e32 v0, v12, v0, vcc
	v_lshlrev_b32_e32 v9, 20, v19
	v_lshlrev_b32_e32 v12, 24, v17
	v_bfrev_b32_e32 v19, 60
	v_and_b32_e32 v9, 0x700000, v9
	v_and_b32_e32 v12, 0x80000000, v12
	v_lshl_add_u32 v0, v0, 23, v19
	v_or3_b32 v0, v12, v0, v9
.LBB316_429:                            ;   in Loop: Header=BB316_424 Depth=1
	s_or_b64 exec, exec, s[18:19]
.LBB316_430:                            ;   in Loop: Header=BB316_424 Depth=1
	s_or_b64 exec, exec, s[16:17]
.LBB316_431:                            ;   in Loop: Header=BB316_424 Depth=1
	s_or_b64 exec, exec, s[0:1]
	v_lshrrev_b16_e32 v9, 8, v17
	v_cmp_ne_u16_e32 vcc, 0, v9
	s_and_saveexec_b64 s[0:1], vcc
	s_cbranch_execz .LBB316_437
; %bb.432:                              ;   in Loop: Header=BB316_424 Depth=1
	v_cmp_ne_u16_e32 vcc, s28, v9
	v_bfrev_b32_e32 v11, 1
	s_and_saveexec_b64 s[16:17], vcc
	s_cbranch_execz .LBB316_436
; %bb.433:                              ;   in Loop: Header=BB316_424 Depth=1
	v_and_b32_e32 v12, 0x7f, v9
	v_cmp_ne_u32_e32 vcc, s29, v12
	v_mov_b32_e32 v11, 0x7f800001
	s_and_saveexec_b64 s[18:19], vcc
	s_cbranch_execz .LBB316_435
; %bb.434:                              ;   in Loop: Header=BB316_424 Depth=1
	v_and_b32_e32 v11, 7, v9
	v_ffbh_u32_e32 v19, v11
	v_min_u32_e32 v22, 32, v19
	v_subrev_u32_e32 v19, 28, v22
	v_lshlrev_b64 v[19:20], v19, v[9:10]
	v_lshrrev_b32_e32 v21, 3, v12
	v_sub_u32_e32 v9, 29, v22
	v_and_b32_e32 v19, 7, v19
	v_cmp_gt_u32_e32 vcc, 8, v12
	v_cndmask_b32_e32 v9, v21, v9, vcc
	v_cndmask_b32_e32 v11, v11, v19, vcc
	v_lshlrev_b32_e32 v12, 16, v17
	v_bfrev_b32_e32 v19, 60
	v_lshlrev_b32_e32 v11, 20, v11
	v_and_b32_e32 v12, 0x80000000, v12
	v_lshl_add_u32 v9, v9, 23, v19
	v_or3_b32 v11, v12, v9, v11
.LBB316_435:                            ;   in Loop: Header=BB316_424 Depth=1
	s_or_b64 exec, exec, s[18:19]
.LBB316_436:                            ;   in Loop: Header=BB316_424 Depth=1
	s_or_b64 exec, exec, s[16:17]
.LBB316_437:                            ;   in Loop: Header=BB316_424 Depth=1
	s_or_b64 exec, exec, s[0:1]
	v_lshrrev_b32_e32 v9, 16, v17
	v_cmp_ne_u16_sdwa s[16:17], v9, v10 src0_sel:BYTE_0 src1_sel:DWORD
	v_mov_b32_e32 v20, 0
	v_mov_b32_e32 v12, 0
	s_and_saveexec_b64 s[0:1], s[16:17]
	s_cbranch_execz .LBB316_443
; %bb.438:                              ;   in Loop: Header=BB316_424 Depth=1
	v_cmp_ne_u16_sdwa s[18:19], v9, s28 src0_sel:BYTE_0 src1_sel:DWORD
	v_bfrev_b32_e32 v12, 1
	s_and_saveexec_b64 s[16:17], s[18:19]
	s_cbranch_execz .LBB316_442
; %bb.439:                              ;   in Loop: Header=BB316_424 Depth=1
	v_bfe_u32 v19, v17, 16, 7
	v_cmp_ne_u32_e32 vcc, s29, v19
	v_mov_b32_e32 v12, 0x7f800001
	s_and_saveexec_b64 s[18:19], vcc
	s_cbranch_execz .LBB316_441
; %bb.440:                              ;   in Loop: Header=BB316_424 Depth=1
	v_and_b32_e32 v12, 7, v9
	v_ffbh_u32_e32 v21, v12
	v_min_u32_e32 v24, 32, v21
	v_subrev_u32_e32 v21, 28, v24
	v_lshlrev_b64 v[21:22], v21, v[9:10]
	v_lshrrev_b32_e32 v23, 3, v19
	v_sub_u32_e32 v22, 29, v24
	v_and_b32_e32 v21, 7, v21
	v_cmp_gt_u32_e32 vcc, 8, v19
	v_cndmask_b32_e32 v19, v23, v22, vcc
	v_cndmask_b32_e32 v12, v12, v21, vcc
	v_lshlrev_b32_e32 v9, 24, v9
	v_bfrev_b32_e32 v21, 60
	v_lshlrev_b32_e32 v12, 20, v12
	v_and_b32_e32 v9, 0x80000000, v9
	v_lshl_add_u32 v19, v19, 23, v21
	v_or3_b32 v12, v9, v19, v12
.LBB316_441:                            ;   in Loop: Header=BB316_424 Depth=1
	s_or_b64 exec, exec, s[18:19]
.LBB316_442:                            ;   in Loop: Header=BB316_424 Depth=1
	s_or_b64 exec, exec, s[16:17]
.LBB316_443:                            ;   in Loop: Header=BB316_424 Depth=1
	s_or_b64 exec, exec, s[0:1]
	v_cmp_lt_u32_e32 vcc, s5, v17
	s_and_saveexec_b64 s[0:1], vcc
	s_cbranch_execz .LBB316_449
; %bb.444:                              ;   in Loop: Header=BB316_424 Depth=1
	v_lshrrev_b32_e32 v9, 24, v17
	v_cmp_ne_u32_e32 vcc, s28, v9
	v_bfrev_b32_e32 v20, 1
	s_and_saveexec_b64 s[16:17], vcc
	s_cbranch_execz .LBB316_448
; %bb.445:                              ;   in Loop: Header=BB316_424 Depth=1
	v_bfe_u32 v19, v17, 24, 7
	v_cmp_ne_u32_e32 vcc, s29, v19
	v_mov_b32_e32 v20, 0x7f800001
	s_and_saveexec_b64 s[18:19], vcc
	s_cbranch_execz .LBB316_447
; %bb.446:                              ;   in Loop: Header=BB316_424 Depth=1
	v_and_b32_e32 v22, 7, v9
	v_ffbh_u32_e32 v20, v22
	v_min_u32_e32 v24, 32, v20
	v_subrev_u32_e32 v20, 28, v24
	v_lshlrev_b64 v[20:21], v20, v[9:10]
	v_lshrrev_b32_e32 v23, 3, v19
	v_sub_u32_e32 v21, 29, v24
	v_and_b32_e32 v20, 7, v20
	v_cmp_gt_u32_e32 vcc, 8, v19
	v_cndmask_b32_e32 v19, v23, v21, vcc
	v_cndmask_b32_e32 v20, v22, v20, vcc
	v_lshlrev_b32_e32 v9, 24, v9
	v_bfrev_b32_e32 v21, 60
	v_lshlrev_b32_e32 v20, 20, v20
	v_and_b32_e32 v9, 0x80000000, v9
	v_lshl_add_u32 v19, v19, 23, v21
	v_or3_b32 v20, v9, v19, v20
.LBB316_447:                            ;   in Loop: Header=BB316_424 Depth=1
	s_or_b64 exec, exec, s[18:19]
.LBB316_448:                            ;   in Loop: Header=BB316_424 Depth=1
	s_or_b64 exec, exec, s[16:17]
.LBB316_449:                            ;   in Loop: Header=BB316_424 Depth=1
	s_or_b64 exec, exec, s[0:1]
	v_mov_b32_e32 v9, v18
	v_cmp_ne_u16_sdwa s[16:17], v18, v10 src0_sel:BYTE_0 src1_sel:DWORD
	v_mov_b32_e32 v22, 0
	v_mov_b32_e32 v21, 0
	s_and_saveexec_b64 s[0:1], s[16:17]
	s_cbranch_execz .LBB316_455
; %bb.450:                              ;   in Loop: Header=BB316_424 Depth=1
	v_cmp_ne_u16_sdwa s[18:19], v18, s28 src0_sel:BYTE_0 src1_sel:DWORD
	v_bfrev_b32_e32 v21, 1
	s_and_saveexec_b64 s[16:17], s[18:19]
	s_cbranch_execz .LBB316_454
; %bb.451:                              ;   in Loop: Header=BB316_424 Depth=1
	v_and_b32_e32 v19, 0x7f, v18
	v_cmp_ne_u32_e32 vcc, s29, v19
	v_mov_b32_e32 v21, 0x7f800001
	s_and_saveexec_b64 s[18:19], vcc
	s_cbranch_execz .LBB316_453
; %bb.452:                              ;   in Loop: Header=BB316_424 Depth=1
	v_and_b32_e32 v21, 7, v18
	v_ffbh_u32_e32 v21, v21
	v_min_u32_e32 v21, 32, v21
	v_lshrrev_b32_e32 v23, 3, v19
	v_subrev_u32_e32 v24, 28, v21
	v_sub_u32_e32 v21, 29, v21
	v_cmp_gt_u32_e32 vcc, 8, v19
	v_cndmask_b32_e32 v19, v23, v21, vcc
	v_cndmask_b32_e32 v21, 0, v24, vcc
	v_lshlrev_b64 v[23:24], v21, v[9:10]
	v_bfrev_b32_e32 v24, 60
	v_lshlrev_b32_e32 v21, 20, v23
	v_lshlrev_b32_e32 v23, 24, v9
	v_and_b32_e32 v21, 0x700000, v21
	v_and_b32_e32 v23, 0x80000000, v23
	v_lshl_add_u32 v19, v19, 23, v24
	v_or3_b32 v21, v23, v19, v21
.LBB316_453:                            ;   in Loop: Header=BB316_424 Depth=1
	s_or_b64 exec, exec, s[18:19]
.LBB316_454:                            ;   in Loop: Header=BB316_424 Depth=1
	s_or_b64 exec, exec, s[16:17]
.LBB316_455:                            ;   in Loop: Header=BB316_424 Depth=1
	s_or_b64 exec, exec, s[0:1]
	v_lshrrev_b16_e32 v19, 8, v9
	v_cmp_ne_u16_e32 vcc, 0, v19
	s_and_saveexec_b64 s[0:1], vcc
	s_cbranch_execz .LBB316_461
; %bb.456:                              ;   in Loop: Header=BB316_424 Depth=1
	v_cmp_ne_u16_e32 vcc, s28, v19
	v_bfrev_b32_e32 v22, 1
	s_and_saveexec_b64 s[16:17], vcc
	s_cbranch_execz .LBB316_460
; %bb.457:                              ;   in Loop: Header=BB316_424 Depth=1
	v_and_b32_e32 v23, 0x7f, v19
	v_cmp_ne_u32_e32 vcc, s29, v23
	v_mov_b32_e32 v22, 0x7f800001
	s_and_saveexec_b64 s[18:19], vcc
	s_cbranch_execz .LBB316_459
; %bb.458:                              ;   in Loop: Header=BB316_424 Depth=1
	v_and_b32_e32 v22, 7, v19
	v_ffbh_u32_e32 v24, v22
	v_min_u32_e32 v27, 32, v24
	v_subrev_u32_e32 v24, 28, v27
	v_lshlrev_b64 v[24:25], v24, v[19:20]
	v_lshrrev_b32_e32 v26, 3, v23
	v_sub_u32_e32 v19, 29, v27
	v_and_b32_e32 v24, 7, v24
	v_cmp_gt_u32_e32 vcc, 8, v23
	v_cndmask_b32_e32 v19, v26, v19, vcc
	v_cndmask_b32_e32 v22, v22, v24, vcc
	v_lshlrev_b32_e32 v9, 16, v9
	v_bfrev_b32_e32 v23, 60
	v_lshlrev_b32_e32 v22, 20, v22
	v_and_b32_e32 v9, 0x80000000, v9
	v_lshl_add_u32 v19, v19, 23, v23
	v_or3_b32 v22, v9, v19, v22
.LBB316_459:                            ;   in Loop: Header=BB316_424 Depth=1
	s_or_b64 exec, exec, s[18:19]
.LBB316_460:                            ;   in Loop: Header=BB316_424 Depth=1
	s_or_b64 exec, exec, s[16:17]
.LBB316_461:                            ;   in Loop: Header=BB316_424 Depth=1
	s_or_b64 exec, exec, s[0:1]
	v_lshrrev_b32_e32 v9, 16, v18
	v_cmp_ne_u16_sdwa s[16:17], v9, v10 src0_sel:BYTE_0 src1_sel:DWORD
	v_mov_b32_e32 v19, 0
	v_mov_b32_e32 v23, 0
	s_and_saveexec_b64 s[0:1], s[16:17]
	s_cbranch_execz .LBB316_467
; %bb.462:                              ;   in Loop: Header=BB316_424 Depth=1
	v_cmp_ne_u16_sdwa s[18:19], v9, s28 src0_sel:BYTE_0 src1_sel:DWORD
	v_bfrev_b32_e32 v23, 1
	s_and_saveexec_b64 s[16:17], s[18:19]
	s_cbranch_execz .LBB316_466
; %bb.463:                              ;   in Loop: Header=BB316_424 Depth=1
	v_bfe_u32 v24, v18, 16, 7
	v_cmp_ne_u32_e32 vcc, s29, v24
	v_mov_b32_e32 v23, 0x7f800001
	s_and_saveexec_b64 s[18:19], vcc
	s_cbranch_execz .LBB316_465
; %bb.464:                              ;   in Loop: Header=BB316_424 Depth=1
	v_and_b32_e32 v23, 7, v9
	v_ffbh_u32_e32 v25, v23
	v_min_u32_e32 v28, 32, v25
	v_subrev_u32_e32 v25, 28, v28
	v_lshlrev_b64 v[25:26], v25, v[9:10]
	v_lshrrev_b32_e32 v27, 3, v24
	v_sub_u32_e32 v26, 29, v28
	v_and_b32_e32 v25, 7, v25
	v_cmp_gt_u32_e32 vcc, 8, v24
	v_cndmask_b32_e32 v24, v27, v26, vcc
	v_cndmask_b32_e32 v23, v23, v25, vcc
	v_lshlrev_b32_e32 v9, 24, v9
	v_bfrev_b32_e32 v25, 60
	v_lshlrev_b32_e32 v23, 20, v23
	v_and_b32_e32 v9, 0x80000000, v9
	v_lshl_add_u32 v24, v24, 23, v25
	v_or3_b32 v23, v9, v24, v23
.LBB316_465:                            ;   in Loop: Header=BB316_424 Depth=1
	s_or_b64 exec, exec, s[18:19]
.LBB316_466:                            ;   in Loop: Header=BB316_424 Depth=1
	s_or_b64 exec, exec, s[16:17]
.LBB316_467:                            ;   in Loop: Header=BB316_424 Depth=1
	s_or_b64 exec, exec, s[0:1]
	v_cmp_lt_u64_e32 vcc, s[4:5], v[17:18]
	s_and_saveexec_b64 s[0:1], vcc
	s_cbranch_execz .LBB316_473
; %bb.468:                              ;   in Loop: Header=BB316_424 Depth=1
	v_lshrrev_b32_e32 v9, 24, v18
	v_cmp_ne_u32_e32 vcc, s28, v9
	v_bfrev_b32_e32 v19, 1
	s_and_saveexec_b64 s[16:17], vcc
	s_cbranch_execz .LBB316_472
; %bb.469:                              ;   in Loop: Header=BB316_424 Depth=1
	v_bfe_u32 v17, v18, 24, 7
	v_cmp_ne_u32_e32 vcc, s29, v17
	v_mov_b32_e32 v19, 0x7f800001
	s_and_saveexec_b64 s[18:19], vcc
	s_cbranch_execz .LBB316_471
; %bb.470:                              ;   in Loop: Header=BB316_424 Depth=1
	v_and_b32_e32 v24, 7, v9
	v_ffbh_u32_e32 v18, v24
	v_min_u32_e32 v26, 32, v18
	v_subrev_u32_e32 v18, 28, v26
	v_lshlrev_b64 v[18:19], v18, v[9:10]
	v_lshrrev_b32_e32 v25, 3, v17
	v_sub_u32_e32 v19, 29, v26
	v_and_b32_e32 v18, 7, v18
	v_cmp_gt_u32_e32 vcc, 8, v17
	v_cndmask_b32_e32 v17, v25, v19, vcc
	v_cndmask_b32_e32 v18, v24, v18, vcc
	v_lshlrev_b32_e32 v9, 24, v9
	v_bfrev_b32_e32 v19, 60
	v_lshlrev_b32_e32 v18, 20, v18
	v_and_b32_e32 v9, 0x80000000, v9
	v_lshl_add_u32 v17, v17, 23, v19
	v_or3_b32 v19, v9, v17, v18
.LBB316_471:                            ;   in Loop: Header=BB316_424 Depth=1
	s_or_b64 exec, exec, s[18:19]
.LBB316_472:                            ;   in Loop: Header=BB316_424 Depth=1
	s_or_b64 exec, exec, s[16:17]
.LBB316_473:                            ;   in Loop: Header=BB316_424 Depth=1
	s_or_b64 exec, exec, s[0:1]
	buffer_load_dword v9, off, s[60:63], 0 offset:4 ; 4-byte Folded Reload
	buffer_load_dword v17, off, s[60:63], 0 offset:188 ; 4-byte Folded Reload
	s_waitcnt lgkmcnt(0)
	v_mul_f32_e32 v0, s31, v0
	s_waitcnt vmcnt(0)
	v_add_u32_e32 v52, v17, v9
	buffer_load_dword v9, off, s[60:63], 0  ; 4-byte Folded Reload
	v_add_u32_e32 v61, 1, v52
	v_add_u32_e32 v60, 2, v52
	;; [unrolled: 1-line block ×7, first 2 shown]
	s_waitcnt vmcnt(0)
	v_cmp_eq_u32_e32 vcc, s35, v9
	v_mul_f32_e32 v9, s31, v22
	v_bfe_u32 v17, v9, 16, 1
	v_add3_u32 v17, v17, v9, s30
	v_or_b32_e32 v18, 0x400000, v9
	v_cmp_u_f32_e64 s[0:1], v9, v9
	v_cndmask_b32_e64 v9, v17, v18, s[0:1]
	v_lshrrev_b32_e32 v28, 16, v9
	v_mul_f32_e32 v9, s31, v21
	v_bfe_u32 v17, v9, 16, 1
	v_add3_u32 v17, v17, v9, s30
	v_or_b32_e32 v18, 0x400000, v9
	v_cmp_u_f32_e64 s[0:1], v9, v9
	v_cndmask_b32_e64 v9, v17, v18, s[0:1]
	v_lshrrev_b32_e32 v9, 16, v9
	buffer_store_dword v9, off, s[60:63], 0 offset:8 ; 4-byte Folded Spill
	v_mul_f32_e32 v9, s31, v20
	v_bfe_u32 v17, v9, 16, 1
	v_add3_u32 v17, v17, v9, s30
	v_or_b32_e32 v18, 0x400000, v9
	v_cmp_u_f32_e64 s[0:1], v9, v9
	v_cndmask_b32_e64 v9, v17, v18, s[0:1]
	v_lshrrev_b32_e32 v9, 16, v9
	buffer_store_dword v9, off, s[60:63], 0 offset:16 ; 4-byte Folded Spill
	;; [unrolled: 8-line block ×4, first 2 shown]
	v_bfe_u32 v9, v0, 16, 1
	v_add3_u32 v9, v9, v0, s30
	v_or_b32_e32 v11, 0x400000, v0
	v_cmp_u_f32_e64 s[0:1], v0, v0
	v_cndmask_b32_e64 v0, v9, v11, s[0:1]
	v_lshrrev_b32_e32 v0, 16, v0
	buffer_store_dword v0, off, s[60:63], 0 offset:32 ; 4-byte Folded Spill
	v_mul_f32_e32 v0, s31, v23
	v_bfe_u32 v9, v0, 16, 1
	v_add3_u32 v9, v9, v0, s30
	v_or_b32_e32 v11, 0x400000, v0
	v_cmp_u_f32_e64 s[0:1], v0, v0
	v_cndmask_b32_e64 v0, v9, v11, s[0:1]
	v_lshrrev_b32_e32 v0, 16, v0
	buffer_store_dword v0, off, s[60:63], 0 offset:12 ; 4-byte Folded Spill
	v_mul_f32_e32 v0, s31, v19
	v_bfe_u32 v9, v0, 16, 1
	v_add3_u32 v9, v9, v0, s30
	v_or_b32_e32 v11, 0x400000, v0
	v_cmp_u_f32_e64 s[0:1], v0, v0
	v_cndmask_b32_e64 v0, v9, v11, s[0:1]
	v_lshrrev_b32_e32 v0, 16, v0
	buffer_store_dword v0, off, s[60:63], 0 offset:24 ; 4-byte Folded Spill
	s_and_saveexec_b64 s[16:17], vcc
	s_cbranch_execz .LBB316_475
; %bb.474:                              ;   in Loop: Header=BB316_424 Depth=1
	buffer_load_dword v0, off, s[60:63], 0 offset:32 ; 4-byte Folded Reload
	v_cmp_gt_i32_e64 s[0:1], s33, v52
	s_waitcnt vmcnt(0)
	v_cndmask_b32_e64 v0, 0, v0, s[0:1]
	buffer_store_dword v0, off, s[60:63], 0 offset:32 ; 4-byte Folded Spill
	buffer_load_dword v0, off, s[60:63], 0 offset:28 ; 4-byte Folded Reload
	v_cmp_gt_i32_e64 s[0:1], s33, v61
	s_waitcnt vmcnt(0)
	v_cndmask_b32_e64 v0, 0, v0, s[0:1]
	buffer_store_dword v0, off, s[60:63], 0 offset:28 ; 4-byte Folded Spill
	;; [unrolled: 5-line block ×5, first 2 shown]
	buffer_load_dword v0, off, s[60:63], 0 offset:12 ; 4-byte Folded Reload
	v_cmp_gt_i32_e64 s[0:1], s33, v57
	v_cndmask_b32_e64 v28, 0, v28, s[0:1]
	v_cmp_gt_i32_e64 s[0:1], s33, v56
	s_waitcnt vmcnt(0)
	v_cndmask_b32_e64 v0, 0, v0, s[0:1]
	buffer_store_dword v0, off, s[60:63], 0 offset:12 ; 4-byte Folded Spill
	buffer_load_dword v0, off, s[60:63], 0 offset:24 ; 4-byte Folded Reload
	v_cmp_gt_i32_e64 s[0:1], s33, v55
	s_waitcnt vmcnt(0)
	v_cndmask_b32_e64 v0, 0, v0, s[0:1]
	buffer_store_dword v0, off, s[60:63], 0 offset:24 ; 4-byte Folded Spill
.LBB316_475:                            ;   in Loop: Header=BB316_424 Depth=1
	s_or_b64 exec, exec, s[16:17]
	global_load_dwordx2 v[17:18], v[15:16], off offset:512
	v_mov_b32_e32 v11, 0
	v_mov_b32_e32 v0, 0
	s_waitcnt vmcnt(0)
	v_cmp_ne_u16_sdwa s[0:1], v17, v10 src0_sel:BYTE_0 src1_sel:DWORD
	s_and_saveexec_b64 s[16:17], s[0:1]
	s_cbranch_execz .LBB316_481
; %bb.476:                              ;   in Loop: Header=BB316_424 Depth=1
	v_cmp_ne_u16_sdwa s[0:1], v17, s28 src0_sel:BYTE_0 src1_sel:DWORD
	v_bfrev_b32_e32 v0, 1
	s_and_saveexec_b64 s[18:19], s[0:1]
	s_cbranch_execz .LBB316_480
; %bb.477:                              ;   in Loop: Header=BB316_424 Depth=1
	v_and_b32_e32 v9, 0x7f, v17
	v_cmp_ne_u32_e64 s[0:1], s29, v9
	v_mov_b32_e32 v0, 0x7f800001
	s_and_saveexec_b64 s[20:21], s[0:1]
	s_cbranch_execz .LBB316_479
; %bb.478:                              ;   in Loop: Header=BB316_424 Depth=1
	v_and_b32_e32 v0, 7, v17
	v_ffbh_u32_e32 v0, v0
	v_min_u32_e32 v0, 32, v0
	v_subrev_u32_e32 v19, 28, v0
	v_cmp_gt_u32_e64 s[0:1], 8, v9
	v_lshrrev_b32_e32 v12, 3, v9
	v_cndmask_b32_e64 v9, 0, v19, s[0:1]
	v_lshlrev_b64 v[19:20], v9, v[17:18]
	v_sub_u32_e32 v0, 29, v0
	v_cndmask_b32_e64 v0, v12, v0, s[0:1]
	v_lshlrev_b32_e32 v9, 20, v19
	v_lshlrev_b32_e32 v12, 24, v17
	v_bfrev_b32_e32 v19, 60
	v_and_b32_e32 v9, 0x700000, v9
	v_and_b32_e32 v12, 0x80000000, v12
	v_lshl_add_u32 v0, v0, 23, v19
	v_or3_b32 v0, v12, v0, v9
.LBB316_479:                            ;   in Loop: Header=BB316_424 Depth=1
	s_or_b64 exec, exec, s[20:21]
.LBB316_480:                            ;   in Loop: Header=BB316_424 Depth=1
	s_or_b64 exec, exec, s[18:19]
.LBB316_481:                            ;   in Loop: Header=BB316_424 Depth=1
	s_or_b64 exec, exec, s[16:17]
	v_lshrrev_b16_e32 v9, 8, v17
	v_cmp_ne_u16_e64 s[0:1], 0, v9
	s_and_saveexec_b64 s[16:17], s[0:1]
	s_cbranch_execz .LBB316_487
; %bb.482:                              ;   in Loop: Header=BB316_424 Depth=1
	v_cmp_ne_u16_e64 s[0:1], s28, v9
	v_bfrev_b32_e32 v11, 1
	s_and_saveexec_b64 s[18:19], s[0:1]
	s_cbranch_execz .LBB316_486
; %bb.483:                              ;   in Loop: Header=BB316_424 Depth=1
	v_and_b32_e32 v12, 0x7f, v9
	v_cmp_ne_u32_e64 s[0:1], s29, v12
	v_mov_b32_e32 v11, 0x7f800001
	s_and_saveexec_b64 s[20:21], s[0:1]
	s_cbranch_execz .LBB316_485
; %bb.484:                              ;   in Loop: Header=BB316_424 Depth=1
	v_and_b32_e32 v11, 7, v9
	v_ffbh_u32_e32 v19, v11
	v_min_u32_e32 v22, 32, v19
	v_subrev_u32_e32 v19, 28, v22
	v_lshlrev_b64 v[19:20], v19, v[9:10]
	v_lshrrev_b32_e32 v21, 3, v12
	v_sub_u32_e32 v9, 29, v22
	v_and_b32_e32 v19, 7, v19
	v_cmp_gt_u32_e64 s[0:1], 8, v12
	v_cndmask_b32_e64 v9, v21, v9, s[0:1]
	v_cndmask_b32_e64 v11, v11, v19, s[0:1]
	v_lshlrev_b32_e32 v12, 16, v17
	v_bfrev_b32_e32 v19, 60
	v_lshlrev_b32_e32 v11, 20, v11
	v_and_b32_e32 v12, 0x80000000, v12
	v_lshl_add_u32 v9, v9, 23, v19
	v_or3_b32 v11, v12, v9, v11
.LBB316_485:                            ;   in Loop: Header=BB316_424 Depth=1
	s_or_b64 exec, exec, s[20:21]
.LBB316_486:                            ;   in Loop: Header=BB316_424 Depth=1
	s_or_b64 exec, exec, s[18:19]
.LBB316_487:                            ;   in Loop: Header=BB316_424 Depth=1
	s_or_b64 exec, exec, s[16:17]
	v_lshrrev_b32_e32 v9, 16, v17
	v_cmp_ne_u16_sdwa s[0:1], v9, v10 src0_sel:BYTE_0 src1_sel:DWORD
	v_mov_b32_e32 v20, 0
	v_mov_b32_e32 v12, 0
	s_and_saveexec_b64 s[16:17], s[0:1]
	s_cbranch_execz .LBB316_493
; %bb.488:                              ;   in Loop: Header=BB316_424 Depth=1
	v_cmp_ne_u16_sdwa s[0:1], v9, s28 src0_sel:BYTE_0 src1_sel:DWORD
	v_bfrev_b32_e32 v12, 1
	s_and_saveexec_b64 s[18:19], s[0:1]
	s_cbranch_execz .LBB316_492
; %bb.489:                              ;   in Loop: Header=BB316_424 Depth=1
	v_bfe_u32 v19, v17, 16, 7
	v_cmp_ne_u32_e64 s[0:1], s29, v19
	v_mov_b32_e32 v12, 0x7f800001
	s_and_saveexec_b64 s[20:21], s[0:1]
	s_cbranch_execz .LBB316_491
; %bb.490:                              ;   in Loop: Header=BB316_424 Depth=1
	v_and_b32_e32 v12, 7, v9
	v_ffbh_u32_e32 v21, v12
	v_min_u32_e32 v24, 32, v21
	v_subrev_u32_e32 v21, 28, v24
	v_lshlrev_b64 v[21:22], v21, v[9:10]
	v_lshrrev_b32_e32 v23, 3, v19
	v_sub_u32_e32 v22, 29, v24
	v_and_b32_e32 v21, 7, v21
	v_cmp_gt_u32_e64 s[0:1], 8, v19
	v_cndmask_b32_e64 v19, v23, v22, s[0:1]
	v_cndmask_b32_e64 v12, v12, v21, s[0:1]
	v_lshlrev_b32_e32 v9, 24, v9
	v_bfrev_b32_e32 v21, 60
	v_lshlrev_b32_e32 v12, 20, v12
	v_and_b32_e32 v9, 0x80000000, v9
	v_lshl_add_u32 v19, v19, 23, v21
	v_or3_b32 v12, v9, v19, v12
.LBB316_491:                            ;   in Loop: Header=BB316_424 Depth=1
	s_or_b64 exec, exec, s[20:21]
.LBB316_492:                            ;   in Loop: Header=BB316_424 Depth=1
	s_or_b64 exec, exec, s[18:19]
.LBB316_493:                            ;   in Loop: Header=BB316_424 Depth=1
	s_or_b64 exec, exec, s[16:17]
	v_cmp_lt_u32_e64 s[0:1], s5, v17
	s_and_saveexec_b64 s[16:17], s[0:1]
	s_cbranch_execz .LBB316_499
; %bb.494:                              ;   in Loop: Header=BB316_424 Depth=1
	v_lshrrev_b32_e32 v9, 24, v17
	v_cmp_ne_u32_e64 s[0:1], s28, v9
	v_bfrev_b32_e32 v20, 1
	s_and_saveexec_b64 s[18:19], s[0:1]
	s_cbranch_execz .LBB316_498
; %bb.495:                              ;   in Loop: Header=BB316_424 Depth=1
	v_bfe_u32 v19, v17, 24, 7
	v_cmp_ne_u32_e64 s[0:1], s29, v19
	v_mov_b32_e32 v20, 0x7f800001
	s_and_saveexec_b64 s[20:21], s[0:1]
	s_cbranch_execz .LBB316_497
; %bb.496:                              ;   in Loop: Header=BB316_424 Depth=1
	v_and_b32_e32 v22, 7, v9
	v_ffbh_u32_e32 v20, v22
	v_min_u32_e32 v24, 32, v20
	v_subrev_u32_e32 v20, 28, v24
	v_lshlrev_b64 v[20:21], v20, v[9:10]
	v_lshrrev_b32_e32 v23, 3, v19
	v_sub_u32_e32 v21, 29, v24
	v_and_b32_e32 v20, 7, v20
	v_cmp_gt_u32_e64 s[0:1], 8, v19
	v_cndmask_b32_e64 v19, v23, v21, s[0:1]
	v_cndmask_b32_e64 v20, v22, v20, s[0:1]
	v_lshlrev_b32_e32 v9, 24, v9
	v_bfrev_b32_e32 v21, 60
	v_lshlrev_b32_e32 v20, 20, v20
	v_and_b32_e32 v9, 0x80000000, v9
	v_lshl_add_u32 v19, v19, 23, v21
	v_or3_b32 v20, v9, v19, v20
.LBB316_497:                            ;   in Loop: Header=BB316_424 Depth=1
	s_or_b64 exec, exec, s[20:21]
.LBB316_498:                            ;   in Loop: Header=BB316_424 Depth=1
	s_or_b64 exec, exec, s[18:19]
.LBB316_499:                            ;   in Loop: Header=BB316_424 Depth=1
	s_or_b64 exec, exec, s[16:17]
	v_mov_b32_e32 v9, v18
	v_cmp_ne_u16_sdwa s[0:1], v18, v10 src0_sel:BYTE_0 src1_sel:DWORD
	v_mov_b32_e32 v22, 0
	v_mov_b32_e32 v21, 0
	s_and_saveexec_b64 s[16:17], s[0:1]
	s_cbranch_execz .LBB316_505
; %bb.500:                              ;   in Loop: Header=BB316_424 Depth=1
	v_cmp_ne_u16_sdwa s[0:1], v18, s28 src0_sel:BYTE_0 src1_sel:DWORD
	v_bfrev_b32_e32 v21, 1
	s_and_saveexec_b64 s[18:19], s[0:1]
	s_cbranch_execz .LBB316_504
; %bb.501:                              ;   in Loop: Header=BB316_424 Depth=1
	v_and_b32_e32 v19, 0x7f, v18
	v_cmp_ne_u32_e64 s[0:1], s29, v19
	v_mov_b32_e32 v21, 0x7f800001
	s_and_saveexec_b64 s[20:21], s[0:1]
	s_cbranch_execz .LBB316_503
; %bb.502:                              ;   in Loop: Header=BB316_424 Depth=1
	v_and_b32_e32 v21, 7, v18
	v_ffbh_u32_e32 v21, v21
	v_min_u32_e32 v21, 32, v21
	v_lshrrev_b32_e32 v23, 3, v19
	v_subrev_u32_e32 v24, 28, v21
	v_sub_u32_e32 v21, 29, v21
	v_cmp_gt_u32_e64 s[0:1], 8, v19
	v_cndmask_b32_e64 v19, v23, v21, s[0:1]
	v_cndmask_b32_e64 v21, 0, v24, s[0:1]
	v_lshlrev_b64 v[23:24], v21, v[9:10]
	v_bfrev_b32_e32 v24, 60
	v_lshlrev_b32_e32 v21, 20, v23
	v_lshlrev_b32_e32 v23, 24, v9
	v_and_b32_e32 v21, 0x700000, v21
	v_and_b32_e32 v23, 0x80000000, v23
	v_lshl_add_u32 v19, v19, 23, v24
	v_or3_b32 v21, v23, v19, v21
.LBB316_503:                            ;   in Loop: Header=BB316_424 Depth=1
	s_or_b64 exec, exec, s[20:21]
.LBB316_504:                            ;   in Loop: Header=BB316_424 Depth=1
	s_or_b64 exec, exec, s[18:19]
.LBB316_505:                            ;   in Loop: Header=BB316_424 Depth=1
	s_or_b64 exec, exec, s[16:17]
	v_lshrrev_b16_e32 v19, 8, v9
	v_cmp_ne_u16_e64 s[0:1], 0, v19
	s_and_saveexec_b64 s[16:17], s[0:1]
	s_cbranch_execz .LBB316_511
; %bb.506:                              ;   in Loop: Header=BB316_424 Depth=1
	v_cmp_ne_u16_e64 s[0:1], s28, v19
	v_bfrev_b32_e32 v22, 1
	s_and_saveexec_b64 s[18:19], s[0:1]
	s_cbranch_execz .LBB316_510
; %bb.507:                              ;   in Loop: Header=BB316_424 Depth=1
	v_and_b32_e32 v23, 0x7f, v19
	v_cmp_ne_u32_e64 s[0:1], s29, v23
	v_mov_b32_e32 v22, 0x7f800001
	s_and_saveexec_b64 s[20:21], s[0:1]
	s_cbranch_execz .LBB316_509
; %bb.508:                              ;   in Loop: Header=BB316_424 Depth=1
	v_and_b32_e32 v24, 7, v19
	v_ffbh_u32_e32 v22, v24
	v_min_u32_e32 v26, 32, v22
	v_subrev_u32_e32 v22, 28, v26
	v_lshrrev_b32_e32 v25, 3, v23
	v_cmp_gt_u32_e64 s[0:1], 8, v23
	v_lshlrev_b64 v[22:23], v22, v[19:20]
	v_sub_u32_e32 v19, 29, v26
	v_and_b32_e32 v22, 7, v22
	v_cndmask_b32_e64 v19, v25, v19, s[0:1]
	v_cndmask_b32_e64 v22, v24, v22, s[0:1]
	v_lshlrev_b32_e32 v9, 16, v9
	v_bfrev_b32_e32 v23, 60
	v_lshlrev_b32_e32 v22, 20, v22
	v_and_b32_e32 v9, 0x80000000, v9
	v_lshl_add_u32 v19, v19, 23, v23
	v_or3_b32 v22, v9, v19, v22
.LBB316_509:                            ;   in Loop: Header=BB316_424 Depth=1
	s_or_b64 exec, exec, s[20:21]
.LBB316_510:                            ;   in Loop: Header=BB316_424 Depth=1
	s_or_b64 exec, exec, s[18:19]
.LBB316_511:                            ;   in Loop: Header=BB316_424 Depth=1
	s_or_b64 exec, exec, s[16:17]
	v_lshrrev_b32_e32 v9, 16, v18
	v_cmp_ne_u16_sdwa s[0:1], v9, v10 src0_sel:BYTE_0 src1_sel:DWORD
	v_mov_b32_e32 v19, 0
	v_mov_b32_e32 v23, 0
	s_and_saveexec_b64 s[16:17], s[0:1]
	s_cbranch_execz .LBB316_517
; %bb.512:                              ;   in Loop: Header=BB316_424 Depth=1
	v_cmp_ne_u16_sdwa s[0:1], v9, s28 src0_sel:BYTE_0 src1_sel:DWORD
	v_bfrev_b32_e32 v23, 1
	s_and_saveexec_b64 s[18:19], s[0:1]
	s_cbranch_execz .LBB316_516
; %bb.513:                              ;   in Loop: Header=BB316_424 Depth=1
	v_bfe_u32 v24, v18, 16, 7
	v_cmp_ne_u32_e64 s[0:1], s29, v24
	v_mov_b32_e32 v23, 0x7f800001
	s_and_saveexec_b64 s[20:21], s[0:1]
	s_cbranch_execz .LBB316_515
; %bb.514:                              ;   in Loop: Header=BB316_424 Depth=1
	v_and_b32_e32 v25, 7, v9
	v_ffbh_u32_e32 v23, v25
	v_min_u32_e32 v27, 32, v23
	v_subrev_u32_e32 v23, 28, v27
	v_lshrrev_b32_e32 v26, 3, v24
	v_cmp_gt_u32_e64 s[0:1], 8, v24
	v_lshlrev_b64 v[23:24], v23, v[9:10]
	v_sub_u32_e32 v24, 29, v27
	v_and_b32_e32 v23, 7, v23
	v_cndmask_b32_e64 v24, v26, v24, s[0:1]
	v_cndmask_b32_e64 v23, v25, v23, s[0:1]
	v_lshlrev_b32_e32 v9, 24, v9
	v_bfrev_b32_e32 v25, 60
	v_lshlrev_b32_e32 v23, 20, v23
	v_and_b32_e32 v9, 0x80000000, v9
	v_lshl_add_u32 v24, v24, 23, v25
	v_or3_b32 v23, v9, v24, v23
.LBB316_515:                            ;   in Loop: Header=BB316_424 Depth=1
	s_or_b64 exec, exec, s[20:21]
.LBB316_516:                            ;   in Loop: Header=BB316_424 Depth=1
	s_or_b64 exec, exec, s[18:19]
.LBB316_517:                            ;   in Loop: Header=BB316_424 Depth=1
	s_or_b64 exec, exec, s[16:17]
	v_cmp_lt_u64_e64 s[0:1], s[4:5], v[17:18]
	s_and_saveexec_b64 s[16:17], s[0:1]
	s_cbranch_execz .LBB316_523
; %bb.518:                              ;   in Loop: Header=BB316_424 Depth=1
	v_lshrrev_b32_e32 v9, 24, v18
	v_cmp_ne_u32_e64 s[0:1], s28, v9
	v_bfrev_b32_e32 v19, 1
	s_and_saveexec_b64 s[18:19], s[0:1]
	s_cbranch_execz .LBB316_522
; %bb.519:                              ;   in Loop: Header=BB316_424 Depth=1
	v_bfe_u32 v17, v18, 24, 7
	v_cmp_ne_u32_e64 s[0:1], s29, v17
	v_mov_b32_e32 v19, 0x7f800001
	s_and_saveexec_b64 s[20:21], s[0:1]
	s_cbranch_execz .LBB316_521
; %bb.520:                              ;   in Loop: Header=BB316_424 Depth=1
	v_and_b32_e32 v19, 7, v9
	v_lshrrev_b32_e32 v24, 3, v17
	v_cmp_gt_u32_e64 s[0:1], 8, v17
	v_ffbh_u32_e32 v17, v19
	v_min_u32_e32 v25, 32, v17
	v_subrev_u32_e32 v17, 28, v25
	v_lshlrev_b64 v[17:18], v17, v[9:10]
	v_sub_u32_e32 v18, 29, v25
	v_and_b32_e32 v17, 7, v17
	v_cndmask_b32_e64 v18, v24, v18, s[0:1]
	v_cndmask_b32_e64 v17, v19, v17, s[0:1]
	v_lshlrev_b32_e32 v9, 24, v9
	v_bfrev_b32_e32 v19, 60
	v_lshlrev_b32_e32 v17, 20, v17
	v_and_b32_e32 v9, 0x80000000, v9
	v_lshl_add_u32 v18, v18, 23, v19
	v_or3_b32 v19, v9, v18, v17
.LBB316_521:                            ;   in Loop: Header=BB316_424 Depth=1
	s_or_b64 exec, exec, s[20:21]
.LBB316_522:                            ;   in Loop: Header=BB316_424 Depth=1
	s_or_b64 exec, exec, s[18:19]
.LBB316_523:                            ;   in Loop: Header=BB316_424 Depth=1
	s_or_b64 exec, exec, s[16:17]
	v_mul_f32_e32 v9, s31, v22
	v_bfe_u32 v17, v9, 16, 1
	v_add3_u32 v17, v17, v9, s30
	v_or_b32_e32 v18, 0x400000, v9
	v_cmp_u_f32_e64 s[0:1], v9, v9
	v_cndmask_b32_e64 v9, v17, v18, s[0:1]
	v_lshrrev_b32_e32 v9, 16, v9
	buffer_store_dword v9, off, s[60:63], 0 offset:36 ; 4-byte Folded Spill
	v_mul_f32_e32 v9, s31, v21
	v_bfe_u32 v17, v9, 16, 1
	v_add3_u32 v17, v17, v9, s30
	v_or_b32_e32 v18, 0x400000, v9
	v_cmp_u_f32_e64 s[0:1], v9, v9
	v_cndmask_b32_e64 v9, v17, v18, s[0:1]
	v_lshrrev_b32_e32 v9, 16, v9
	buffer_store_dword v9, off, s[60:63], 0 offset:40 ; 4-byte Folded Spill
	;; [unrolled: 8-line block ×4, first 2 shown]
	v_mul_f32_e32 v9, s31, v11
	v_bfe_u32 v11, v9, 16, 1
	v_add3_u32 v11, v11, v9, s30
	v_or_b32_e32 v12, 0x400000, v9
	v_cmp_u_f32_e64 s[0:1], v9, v9
	v_cndmask_b32_e64 v9, v11, v12, s[0:1]
	v_lshrrev_b32_e32 v9, 16, v9
	v_mul_f32_e32 v0, s31, v0
	buffer_store_dword v9, off, s[60:63], 0 offset:60 ; 4-byte Folded Spill
	v_bfe_u32 v9, v0, 16, 1
	v_add3_u32 v9, v9, v0, s30
	v_or_b32_e32 v11, 0x400000, v0
	v_cmp_u_f32_e64 s[0:1], v0, v0
	v_cndmask_b32_e64 v0, v9, v11, s[0:1]
	v_lshrrev_b32_e32 v0, 16, v0
	buffer_store_dword v0, off, s[60:63], 0 offset:64 ; 4-byte Folded Spill
	v_mul_f32_e32 v0, s31, v23
	v_bfe_u32 v9, v0, 16, 1
	v_add3_u32 v9, v9, v0, s30
	v_or_b32_e32 v11, 0x400000, v0
	v_cmp_u_f32_e64 s[0:1], v0, v0
	v_cndmask_b32_e64 v0, v9, v11, s[0:1]
	v_lshrrev_b32_e32 v0, 16, v0
	buffer_store_dword v0, off, s[60:63], 0 offset:44 ; 4-byte Folded Spill
	v_mul_f32_e32 v0, s31, v19
	v_bfe_u32 v9, v0, 16, 1
	v_add3_u32 v9, v9, v0, s30
	v_or_b32_e32 v11, 0x400000, v0
	v_cmp_u_f32_e64 s[0:1], v0, v0
	v_cndmask_b32_e64 v0, v9, v11, s[0:1]
	v_lshrrev_b32_e32 v0, 16, v0
	buffer_store_dword v0, off, s[60:63], 0 offset:56 ; 4-byte Folded Spill
	s_and_saveexec_b64 s[16:17], vcc
	s_cbranch_execz .LBB316_525
; %bb.524:                              ;   in Loop: Header=BB316_424 Depth=1
	buffer_load_dword v0, off, s[60:63], 0 offset:64 ; 4-byte Folded Reload
	v_cmp_gt_i32_e64 s[0:1], s33, v52
	s_waitcnt vmcnt(0)
	v_cndmask_b32_e64 v0, 0, v0, s[0:1]
	buffer_store_dword v0, off, s[60:63], 0 offset:64 ; 4-byte Folded Spill
	buffer_load_dword v0, off, s[60:63], 0 offset:60 ; 4-byte Folded Reload
	v_cmp_gt_i32_e64 s[0:1], s33, v61
	s_waitcnt vmcnt(0)
	v_cndmask_b32_e64 v0, 0, v0, s[0:1]
	buffer_store_dword v0, off, s[60:63], 0 offset:60 ; 4-byte Folded Spill
	;; [unrolled: 5-line block ×8, first 2 shown]
.LBB316_525:                            ;   in Loop: Header=BB316_424 Depth=1
	s_or_b64 exec, exec, s[16:17]
	global_load_dwordx2 v[17:18], v[15:16], off offset:1024
	v_mov_b32_e32 v11, 0
	v_mov_b32_e32 v0, 0
	s_waitcnt vmcnt(0)
	v_cmp_ne_u16_sdwa s[0:1], v17, v10 src0_sel:BYTE_0 src1_sel:DWORD
	s_and_saveexec_b64 s[16:17], s[0:1]
	s_cbranch_execz .LBB316_531
; %bb.526:                              ;   in Loop: Header=BB316_424 Depth=1
	v_cmp_ne_u16_sdwa s[0:1], v17, s28 src0_sel:BYTE_0 src1_sel:DWORD
	v_bfrev_b32_e32 v0, 1
	s_and_saveexec_b64 s[18:19], s[0:1]
	s_cbranch_execz .LBB316_530
; %bb.527:                              ;   in Loop: Header=BB316_424 Depth=1
	v_and_b32_e32 v9, 0x7f, v17
	v_cmp_ne_u32_e64 s[0:1], s29, v9
	v_mov_b32_e32 v0, 0x7f800001
	s_and_saveexec_b64 s[20:21], s[0:1]
	s_cbranch_execz .LBB316_529
; %bb.528:                              ;   in Loop: Header=BB316_424 Depth=1
	v_and_b32_e32 v0, 7, v17
	v_ffbh_u32_e32 v0, v0
	v_min_u32_e32 v0, 32, v0
	v_lshrrev_b32_e32 v12, 3, v9
	v_cmp_gt_u32_e64 s[0:1], 8, v9
	v_subrev_u32_e32 v9, 28, v0
	v_cndmask_b32_e64 v9, 0, v9, s[0:1]
	v_lshlrev_b64 v[19:20], v9, v[17:18]
	v_sub_u32_e32 v0, 29, v0
	v_cndmask_b32_e64 v0, v12, v0, s[0:1]
	v_lshlrev_b32_e32 v9, 20, v19
	v_lshlrev_b32_e32 v12, 24, v17
	v_bfrev_b32_e32 v19, 60
	v_and_b32_e32 v9, 0x700000, v9
	v_and_b32_e32 v12, 0x80000000, v12
	v_lshl_add_u32 v0, v0, 23, v19
	v_or3_b32 v0, v12, v0, v9
.LBB316_529:                            ;   in Loop: Header=BB316_424 Depth=1
	s_or_b64 exec, exec, s[20:21]
.LBB316_530:                            ;   in Loop: Header=BB316_424 Depth=1
	s_or_b64 exec, exec, s[18:19]
.LBB316_531:                            ;   in Loop: Header=BB316_424 Depth=1
	s_or_b64 exec, exec, s[16:17]
	v_lshrrev_b16_e32 v9, 8, v17
	v_cmp_ne_u16_e64 s[0:1], 0, v9
	s_and_saveexec_b64 s[16:17], s[0:1]
	s_cbranch_execz .LBB316_537
; %bb.532:                              ;   in Loop: Header=BB316_424 Depth=1
	v_cmp_ne_u16_e64 s[0:1], s28, v9
	v_bfrev_b32_e32 v11, 1
	s_and_saveexec_b64 s[18:19], s[0:1]
	s_cbranch_execz .LBB316_536
; %bb.533:                              ;   in Loop: Header=BB316_424 Depth=1
	v_and_b32_e32 v12, 0x7f, v9
	v_cmp_ne_u32_e64 s[0:1], s29, v12
	v_mov_b32_e32 v11, 0x7f800001
	s_and_saveexec_b64 s[20:21], s[0:1]
	s_cbranch_execz .LBB316_535
; %bb.534:                              ;   in Loop: Header=BB316_424 Depth=1
	v_and_b32_e32 v19, 7, v9
	v_ffbh_u32_e32 v11, v19
	v_min_u32_e32 v21, 32, v11
	v_subrev_u32_e32 v11, 28, v21
	v_lshrrev_b32_e32 v20, 3, v12
	v_cmp_gt_u32_e64 s[0:1], 8, v12
	v_lshlrev_b64 v[11:12], v11, v[9:10]
	v_sub_u32_e32 v9, 29, v21
	v_and_b32_e32 v11, 7, v11
	v_cndmask_b32_e64 v9, v20, v9, s[0:1]
	v_cndmask_b32_e64 v11, v19, v11, s[0:1]
	v_lshlrev_b32_e32 v12, 16, v17
	v_bfrev_b32_e32 v19, 60
	v_lshlrev_b32_e32 v11, 20, v11
	v_and_b32_e32 v12, 0x80000000, v12
	v_lshl_add_u32 v9, v9, 23, v19
	v_or3_b32 v11, v12, v9, v11
.LBB316_535:                            ;   in Loop: Header=BB316_424 Depth=1
	s_or_b64 exec, exec, s[20:21]
.LBB316_536:                            ;   in Loop: Header=BB316_424 Depth=1
	s_or_b64 exec, exec, s[18:19]
.LBB316_537:                            ;   in Loop: Header=BB316_424 Depth=1
	s_or_b64 exec, exec, s[16:17]
	v_lshrrev_b32_e32 v9, 16, v17
	v_cmp_ne_u16_sdwa s[0:1], v9, v10 src0_sel:BYTE_0 src1_sel:DWORD
	v_mov_b32_e32 v20, 0
	v_mov_b32_e32 v12, 0
	s_and_saveexec_b64 s[16:17], s[0:1]
	s_cbranch_execz .LBB316_543
; %bb.538:                              ;   in Loop: Header=BB316_424 Depth=1
	v_cmp_ne_u16_sdwa s[0:1], v9, s28 src0_sel:BYTE_0 src1_sel:DWORD
	v_bfrev_b32_e32 v12, 1
	s_and_saveexec_b64 s[18:19], s[0:1]
	s_cbranch_execz .LBB316_542
; %bb.539:                              ;   in Loop: Header=BB316_424 Depth=1
	v_bfe_u32 v19, v17, 16, 7
	v_cmp_ne_u32_e64 s[0:1], s29, v19
	v_mov_b32_e32 v12, 0x7f800001
	s_and_saveexec_b64 s[20:21], s[0:1]
	s_cbranch_execz .LBB316_541
; %bb.540:                              ;   in Loop: Header=BB316_424 Depth=1
	v_and_b32_e32 v12, 7, v9
	v_lshrrev_b32_e32 v23, 3, v19
	v_cmp_gt_u32_e64 s[0:1], 8, v19
	v_ffbh_u32_e32 v19, v12
	v_min_u32_e32 v19, 32, v19
	v_subrev_u32_e32 v21, 28, v19
	v_lshlrev_b64 v[21:22], v21, v[9:10]
	v_sub_u32_e32 v19, 29, v19
	v_and_b32_e32 v21, 7, v21
	v_cndmask_b32_e64 v19, v23, v19, s[0:1]
	v_cndmask_b32_e64 v12, v12, v21, s[0:1]
	v_lshlrev_b32_e32 v9, 24, v9
	v_bfrev_b32_e32 v21, 60
	v_lshlrev_b32_e32 v12, 20, v12
	v_and_b32_e32 v9, 0x80000000, v9
	v_lshl_add_u32 v19, v19, 23, v21
	v_or3_b32 v12, v9, v19, v12
.LBB316_541:                            ;   in Loop: Header=BB316_424 Depth=1
	s_or_b64 exec, exec, s[20:21]
.LBB316_542:                            ;   in Loop: Header=BB316_424 Depth=1
	s_or_b64 exec, exec, s[18:19]
.LBB316_543:                            ;   in Loop: Header=BB316_424 Depth=1
	s_or_b64 exec, exec, s[16:17]
	v_cmp_lt_u32_e64 s[0:1], s5, v17
	s_and_saveexec_b64 s[16:17], s[0:1]
	s_cbranch_execz .LBB316_549
; %bb.544:                              ;   in Loop: Header=BB316_424 Depth=1
	v_lshrrev_b32_e32 v9, 24, v17
	v_cmp_ne_u32_e64 s[0:1], s28, v9
	v_bfrev_b32_e32 v20, 1
	s_and_saveexec_b64 s[18:19], s[0:1]
	s_cbranch_execz .LBB316_548
; %bb.545:                              ;   in Loop: Header=BB316_424 Depth=1
	v_bfe_u32 v19, v17, 24, 7
	v_cmp_ne_u32_e64 s[0:1], s29, v19
	v_mov_b32_e32 v20, 0x7f800001
	s_and_saveexec_b64 s[20:21], s[0:1]
	s_cbranch_execz .LBB316_547
; %bb.546:                              ;   in Loop: Header=BB316_424 Depth=1
	v_and_b32_e32 v21, 7, v9
	v_lshrrev_b32_e32 v22, 3, v19
	v_cmp_gt_u32_e64 s[0:1], 8, v19
	v_ffbh_u32_e32 v19, v21
	v_min_u32_e32 v23, 32, v19
	v_subrev_u32_e32 v19, 28, v23
	v_lshlrev_b64 v[19:20], v19, v[9:10]
	v_sub_u32_e32 v20, 29, v23
	v_and_b32_e32 v19, 7, v19
	v_cndmask_b32_e64 v20, v22, v20, s[0:1]
	v_cndmask_b32_e64 v19, v21, v19, s[0:1]
	v_lshlrev_b32_e32 v9, 24, v9
	v_bfrev_b32_e32 v21, 60
	v_lshlrev_b32_e32 v19, 20, v19
	v_and_b32_e32 v9, 0x80000000, v9
	v_lshl_add_u32 v20, v20, 23, v21
	v_or3_b32 v20, v9, v20, v19
.LBB316_547:                            ;   in Loop: Header=BB316_424 Depth=1
	s_or_b64 exec, exec, s[20:21]
.LBB316_548:                            ;   in Loop: Header=BB316_424 Depth=1
	s_or_b64 exec, exec, s[18:19]
.LBB316_549:                            ;   in Loop: Header=BB316_424 Depth=1
	s_or_b64 exec, exec, s[16:17]
	v_mov_b32_e32 v9, v18
	v_cmp_ne_u16_sdwa s[0:1], v18, v10 src0_sel:BYTE_0 src1_sel:DWORD
	v_mov_b32_e32 v22, 0
	v_mov_b32_e32 v21, 0
	s_and_saveexec_b64 s[16:17], s[0:1]
	s_cbranch_execz .LBB316_555
; %bb.550:                              ;   in Loop: Header=BB316_424 Depth=1
	v_cmp_ne_u16_sdwa s[0:1], v18, s28 src0_sel:BYTE_0 src1_sel:DWORD
	v_bfrev_b32_e32 v21, 1
	s_and_saveexec_b64 s[18:19], s[0:1]
	s_cbranch_execz .LBB316_554
; %bb.551:                              ;   in Loop: Header=BB316_424 Depth=1
	v_and_b32_e32 v19, 0x7f, v18
	v_cmp_ne_u32_e64 s[0:1], s29, v19
	v_mov_b32_e32 v21, 0x7f800001
	s_and_saveexec_b64 s[20:21], s[0:1]
	s_cbranch_execz .LBB316_553
; %bb.552:                              ;   in Loop: Header=BB316_424 Depth=1
	v_and_b32_e32 v21, 7, v18
	v_lshrrev_b32_e32 v23, 3, v19
	v_cmp_gt_u32_e64 s[0:1], 8, v19
	v_ffbh_u32_e32 v19, v21
	v_min_u32_e32 v19, 32, v19
	v_subrev_u32_e32 v21, 28, v19
	v_sub_u32_e32 v19, 29, v19
	v_cndmask_b32_e64 v21, 0, v21, s[0:1]
	v_cndmask_b32_e64 v19, v23, v19, s[0:1]
	v_lshlrev_b64 v[23:24], v21, v[9:10]
	v_bfrev_b32_e32 v24, 60
	v_lshlrev_b32_e32 v21, 20, v23
	v_lshlrev_b32_e32 v23, 24, v9
	v_and_b32_e32 v21, 0x700000, v21
	v_and_b32_e32 v23, 0x80000000, v23
	v_lshl_add_u32 v19, v19, 23, v24
	v_or3_b32 v21, v23, v19, v21
.LBB316_553:                            ;   in Loop: Header=BB316_424 Depth=1
	s_or_b64 exec, exec, s[20:21]
.LBB316_554:                            ;   in Loop: Header=BB316_424 Depth=1
	s_or_b64 exec, exec, s[18:19]
.LBB316_555:                            ;   in Loop: Header=BB316_424 Depth=1
	s_or_b64 exec, exec, s[16:17]
	v_lshrrev_b16_e32 v19, 8, v9
	v_cmp_ne_u16_e64 s[0:1], 0, v19
	s_and_saveexec_b64 s[16:17], s[0:1]
	s_cbranch_execz .LBB316_561
; %bb.556:                              ;   in Loop: Header=BB316_424 Depth=1
	v_cmp_ne_u16_e64 s[0:1], s28, v19
	v_bfrev_b32_e32 v22, 1
	s_and_saveexec_b64 s[18:19], s[0:1]
	s_cbranch_execz .LBB316_560
; %bb.557:                              ;   in Loop: Header=BB316_424 Depth=1
	v_and_b32_e32 v23, 0x7f, v19
	v_cmp_ne_u32_e64 s[0:1], s29, v23
	v_mov_b32_e32 v22, 0x7f800001
	s_and_saveexec_b64 s[20:21], s[0:1]
	s_cbranch_execz .LBB316_559
; %bb.558:                              ;   in Loop: Header=BB316_424 Depth=1
	v_and_b32_e32 v24, 7, v19
	v_ffbh_u32_e32 v22, v24
	v_min_u32_e32 v26, 32, v22
	v_subrev_u32_e32 v22, 28, v26
	v_lshrrev_b32_e32 v25, 3, v23
	v_cmp_gt_u32_e64 s[0:1], 8, v23
	v_lshlrev_b64 v[22:23], v22, v[19:20]
	v_sub_u32_e32 v19, 29, v26
	v_and_b32_e32 v22, 7, v22
	v_cndmask_b32_e64 v19, v25, v19, s[0:1]
	v_cndmask_b32_e64 v22, v24, v22, s[0:1]
	v_lshlrev_b32_e32 v9, 16, v9
	v_bfrev_b32_e32 v23, 60
	v_lshlrev_b32_e32 v22, 20, v22
	v_and_b32_e32 v9, 0x80000000, v9
	v_lshl_add_u32 v19, v19, 23, v23
	v_or3_b32 v22, v9, v19, v22
.LBB316_559:                            ;   in Loop: Header=BB316_424 Depth=1
	s_or_b64 exec, exec, s[20:21]
.LBB316_560:                            ;   in Loop: Header=BB316_424 Depth=1
	s_or_b64 exec, exec, s[18:19]
.LBB316_561:                            ;   in Loop: Header=BB316_424 Depth=1
	s_or_b64 exec, exec, s[16:17]
	v_lshrrev_b32_e32 v9, 16, v18
	v_cmp_ne_u16_sdwa s[0:1], v9, v10 src0_sel:BYTE_0 src1_sel:DWORD
	v_mov_b32_e32 v19, 0
	v_mov_b32_e32 v23, 0
	s_and_saveexec_b64 s[16:17], s[0:1]
	s_cbranch_execz .LBB316_567
; %bb.562:                              ;   in Loop: Header=BB316_424 Depth=1
	v_cmp_ne_u16_sdwa s[0:1], v9, s28 src0_sel:BYTE_0 src1_sel:DWORD
	v_bfrev_b32_e32 v23, 1
	s_and_saveexec_b64 s[18:19], s[0:1]
	s_cbranch_execz .LBB316_566
; %bb.563:                              ;   in Loop: Header=BB316_424 Depth=1
	v_bfe_u32 v24, v18, 16, 7
	v_cmp_ne_u32_e64 s[0:1], s29, v24
	v_mov_b32_e32 v23, 0x7f800001
	s_and_saveexec_b64 s[20:21], s[0:1]
	s_cbranch_execz .LBB316_565
; %bb.564:                              ;   in Loop: Header=BB316_424 Depth=1
	v_and_b32_e32 v25, 7, v9
	v_ffbh_u32_e32 v23, v25
	v_min_u32_e32 v27, 32, v23
	v_subrev_u32_e32 v23, 28, v27
	v_lshrrev_b32_e32 v26, 3, v24
	v_cmp_gt_u32_e64 s[0:1], 8, v24
	v_lshlrev_b64 v[23:24], v23, v[9:10]
	v_sub_u32_e32 v24, 29, v27
	v_and_b32_e32 v23, 7, v23
	v_cndmask_b32_e64 v24, v26, v24, s[0:1]
	v_cndmask_b32_e64 v23, v25, v23, s[0:1]
	v_lshlrev_b32_e32 v9, 24, v9
	v_bfrev_b32_e32 v25, 60
	v_lshlrev_b32_e32 v23, 20, v23
	v_and_b32_e32 v9, 0x80000000, v9
	v_lshl_add_u32 v24, v24, 23, v25
	v_or3_b32 v23, v9, v24, v23
.LBB316_565:                            ;   in Loop: Header=BB316_424 Depth=1
	s_or_b64 exec, exec, s[20:21]
.LBB316_566:                            ;   in Loop: Header=BB316_424 Depth=1
	s_or_b64 exec, exec, s[18:19]
.LBB316_567:                            ;   in Loop: Header=BB316_424 Depth=1
	s_or_b64 exec, exec, s[16:17]
	v_cmp_lt_u64_e64 s[0:1], s[4:5], v[17:18]
	s_and_saveexec_b64 s[16:17], s[0:1]
	s_cbranch_execz .LBB316_573
; %bb.568:                              ;   in Loop: Header=BB316_424 Depth=1
	v_lshrrev_b32_e32 v9, 24, v18
	v_cmp_ne_u32_e64 s[0:1], s28, v9
	v_bfrev_b32_e32 v19, 1
	s_and_saveexec_b64 s[18:19], s[0:1]
	s_cbranch_execz .LBB316_572
; %bb.569:                              ;   in Loop: Header=BB316_424 Depth=1
	v_bfe_u32 v17, v18, 24, 7
	v_cmp_ne_u32_e64 s[0:1], s29, v17
	v_mov_b32_e32 v19, 0x7f800001
	s_and_saveexec_b64 s[20:21], s[0:1]
	s_cbranch_execz .LBB316_571
; %bb.570:                              ;   in Loop: Header=BB316_424 Depth=1
	v_and_b32_e32 v19, 7, v9
	v_lshrrev_b32_e32 v24, 3, v17
	v_cmp_gt_u32_e64 s[0:1], 8, v17
	v_ffbh_u32_e32 v17, v19
	v_min_u32_e32 v25, 32, v17
	v_subrev_u32_e32 v17, 28, v25
	v_lshlrev_b64 v[17:18], v17, v[9:10]
	v_sub_u32_e32 v18, 29, v25
	v_and_b32_e32 v17, 7, v17
	v_cndmask_b32_e64 v18, v24, v18, s[0:1]
	v_cndmask_b32_e64 v17, v19, v17, s[0:1]
	v_lshlrev_b32_e32 v9, 24, v9
	v_bfrev_b32_e32 v19, 60
	v_lshlrev_b32_e32 v17, 20, v17
	v_and_b32_e32 v9, 0x80000000, v9
	v_lshl_add_u32 v18, v18, 23, v19
	v_or3_b32 v19, v9, v18, v17
.LBB316_571:                            ;   in Loop: Header=BB316_424 Depth=1
	s_or_b64 exec, exec, s[20:21]
.LBB316_572:                            ;   in Loop: Header=BB316_424 Depth=1
	s_or_b64 exec, exec, s[18:19]
.LBB316_573:                            ;   in Loop: Header=BB316_424 Depth=1
	s_or_b64 exec, exec, s[16:17]
	v_mul_f32_e32 v9, s31, v22
	v_bfe_u32 v17, v9, 16, 1
	v_add3_u32 v17, v17, v9, s30
	v_or_b32_e32 v18, 0x400000, v9
	v_cmp_u_f32_e64 s[0:1], v9, v9
	v_cndmask_b32_e64 v9, v17, v18, s[0:1]
	v_lshrrev_b32_e32 v9, 16, v9
	buffer_store_dword v9, off, s[60:63], 0 offset:68 ; 4-byte Folded Spill
	v_mul_f32_e32 v9, s31, v21
	v_bfe_u32 v17, v9, 16, 1
	v_add3_u32 v17, v17, v9, s30
	v_or_b32_e32 v18, 0x400000, v9
	v_cmp_u_f32_e64 s[0:1], v9, v9
	v_cndmask_b32_e64 v9, v17, v18, s[0:1]
	v_lshrrev_b32_e32 v9, 16, v9
	buffer_store_dword v9, off, s[60:63], 0 offset:72 ; 4-byte Folded Spill
	;; [unrolled: 8-line block ×4, first 2 shown]
	v_mul_f32_e32 v9, s31, v11
	v_bfe_u32 v11, v9, 16, 1
	v_add3_u32 v11, v11, v9, s30
	v_or_b32_e32 v12, 0x400000, v9
	v_cmp_u_f32_e64 s[0:1], v9, v9
	v_cndmask_b32_e64 v9, v11, v12, s[0:1]
	v_lshrrev_b32_e32 v9, 16, v9
	v_mul_f32_e32 v0, s31, v0
	buffer_store_dword v9, off, s[60:63], 0 offset:92 ; 4-byte Folded Spill
	v_bfe_u32 v9, v0, 16, 1
	v_add3_u32 v9, v9, v0, s30
	v_or_b32_e32 v11, 0x400000, v0
	v_cmp_u_f32_e64 s[0:1], v0, v0
	v_cndmask_b32_e64 v0, v9, v11, s[0:1]
	v_lshrrev_b32_e32 v0, 16, v0
	buffer_store_dword v0, off, s[60:63], 0 offset:96 ; 4-byte Folded Spill
	v_mul_f32_e32 v0, s31, v23
	v_bfe_u32 v9, v0, 16, 1
	v_add3_u32 v9, v9, v0, s30
	v_or_b32_e32 v11, 0x400000, v0
	v_cmp_u_f32_e64 s[0:1], v0, v0
	v_cndmask_b32_e64 v0, v9, v11, s[0:1]
	v_lshrrev_b32_e32 v0, 16, v0
	buffer_store_dword v0, off, s[60:63], 0 offset:76 ; 4-byte Folded Spill
	v_mul_f32_e32 v0, s31, v19
	v_bfe_u32 v9, v0, 16, 1
	v_add3_u32 v9, v9, v0, s30
	v_or_b32_e32 v11, 0x400000, v0
	v_cmp_u_f32_e64 s[0:1], v0, v0
	v_cndmask_b32_e64 v0, v9, v11, s[0:1]
	v_lshrrev_b32_e32 v0, 16, v0
	buffer_store_dword v0, off, s[60:63], 0 offset:88 ; 4-byte Folded Spill
	s_and_saveexec_b64 s[16:17], vcc
	s_cbranch_execz .LBB316_575
; %bb.574:                              ;   in Loop: Header=BB316_424 Depth=1
	buffer_load_dword v0, off, s[60:63], 0 offset:96 ; 4-byte Folded Reload
	v_cmp_gt_i32_e64 s[0:1], s33, v52
	s_waitcnt vmcnt(0)
	v_cndmask_b32_e64 v0, 0, v0, s[0:1]
	buffer_store_dword v0, off, s[60:63], 0 offset:96 ; 4-byte Folded Spill
	buffer_load_dword v0, off, s[60:63], 0 offset:92 ; 4-byte Folded Reload
	v_cmp_gt_i32_e64 s[0:1], s33, v61
	s_waitcnt vmcnt(0)
	v_cndmask_b32_e64 v0, 0, v0, s[0:1]
	buffer_store_dword v0, off, s[60:63], 0 offset:92 ; 4-byte Folded Spill
	;; [unrolled: 5-line block ×8, first 2 shown]
.LBB316_575:                            ;   in Loop: Header=BB316_424 Depth=1
	s_or_b64 exec, exec, s[16:17]
	global_load_dwordx2 v[17:18], v[15:16], off offset:1536
	v_mov_b32_e32 v20, 0
	v_mov_b32_e32 v0, 0
	s_waitcnt vmcnt(0)
	v_cmp_ne_u16_sdwa s[0:1], v17, v10 src0_sel:BYTE_0 src1_sel:DWORD
	s_and_saveexec_b64 s[16:17], s[0:1]
	s_cbranch_execz .LBB316_581
; %bb.576:                              ;   in Loop: Header=BB316_424 Depth=1
	v_cmp_ne_u16_sdwa s[0:1], v17, s28 src0_sel:BYTE_0 src1_sel:DWORD
	v_bfrev_b32_e32 v0, 1
	s_and_saveexec_b64 s[18:19], s[0:1]
	s_cbranch_execz .LBB316_580
; %bb.577:                              ;   in Loop: Header=BB316_424 Depth=1
	v_and_b32_e32 v9, 0x7f, v17
	v_cmp_ne_u32_e64 s[0:1], s29, v9
	v_mov_b32_e32 v0, 0x7f800001
	s_and_saveexec_b64 s[20:21], s[0:1]
	s_cbranch_execz .LBB316_579
; %bb.578:                              ;   in Loop: Header=BB316_424 Depth=1
	v_and_b32_e32 v0, 7, v17
	v_ffbh_u32_e32 v0, v0
	v_min_u32_e32 v0, 32, v0
	v_lshrrev_b32_e32 v11, 3, v9
	v_cmp_gt_u32_e64 s[0:1], 8, v9
	v_subrev_u32_e32 v9, 28, v0
	v_sub_u32_e32 v0, 29, v0
	v_cndmask_b32_e64 v9, 0, v9, s[0:1]
	v_cndmask_b32_e64 v0, v11, v0, s[0:1]
	v_lshlrev_b64 v[11:12], v9, v[17:18]
	v_bfrev_b32_e32 v12, 60
	v_lshlrev_b32_e32 v9, 20, v11
	v_lshlrev_b32_e32 v11, 24, v17
	v_and_b32_e32 v9, 0x700000, v9
	v_and_b32_e32 v11, 0x80000000, v11
	v_lshl_add_u32 v0, v0, 23, v12
	v_or3_b32 v0, v11, v0, v9
.LBB316_579:                            ;   in Loop: Header=BB316_424 Depth=1
	s_or_b64 exec, exec, s[20:21]
.LBB316_580:                            ;   in Loop: Header=BB316_424 Depth=1
	s_or_b64 exec, exec, s[18:19]
.LBB316_581:                            ;   in Loop: Header=BB316_424 Depth=1
	s_or_b64 exec, exec, s[16:17]
	v_lshrrev_b16_e32 v9, 8, v17
	v_cmp_ne_u16_e64 s[0:1], 0, v9
	s_and_saveexec_b64 s[16:17], s[0:1]
	s_cbranch_execz .LBB316_587
; %bb.582:                              ;   in Loop: Header=BB316_424 Depth=1
	v_cmp_ne_u16_e64 s[0:1], s28, v9
	v_bfrev_b32_e32 v20, 1
	s_and_saveexec_b64 s[18:19], s[0:1]
	s_cbranch_execz .LBB316_586
; %bb.583:                              ;   in Loop: Header=BB316_424 Depth=1
	v_and_b32_e32 v11, 0x7f, v9
	v_cmp_ne_u32_e64 s[0:1], s29, v11
	v_mov_b32_e32 v20, 0x7f800001
	s_and_saveexec_b64 s[20:21], s[0:1]
	s_cbranch_execz .LBB316_585
; %bb.584:                              ;   in Loop: Header=BB316_424 Depth=1
	v_and_b32_e32 v19, 7, v9
	v_lshrrev_b32_e32 v20, 3, v11
	v_cmp_gt_u32_e64 s[0:1], 8, v11
	v_ffbh_u32_e32 v11, v19
	v_min_u32_e32 v21, 32, v11
	v_subrev_u32_e32 v11, 28, v21
	v_lshlrev_b64 v[11:12], v11, v[9:10]
	v_sub_u32_e32 v9, 29, v21
	v_and_b32_e32 v11, 7, v11
	v_cndmask_b32_e64 v9, v20, v9, s[0:1]
	v_cndmask_b32_e64 v11, v19, v11, s[0:1]
	v_lshlrev_b32_e32 v12, 16, v17
	v_bfrev_b32_e32 v19, 60
	v_lshlrev_b32_e32 v11, 20, v11
	v_and_b32_e32 v12, 0x80000000, v12
	v_lshl_add_u32 v9, v9, 23, v19
	v_or3_b32 v20, v12, v9, v11
.LBB316_585:                            ;   in Loop: Header=BB316_424 Depth=1
	s_or_b64 exec, exec, s[20:21]
.LBB316_586:                            ;   in Loop: Header=BB316_424 Depth=1
	s_or_b64 exec, exec, s[18:19]
.LBB316_587:                            ;   in Loop: Header=BB316_424 Depth=1
	s_or_b64 exec, exec, s[16:17]
	v_lshrrev_b32_e32 v9, 16, v17
	v_cmp_ne_u16_sdwa s[0:1], v9, v10 src0_sel:BYTE_0 src1_sel:DWORD
	v_mov_b32_e32 v24, 0
	v_mov_b32_e32 v23, 0
	s_and_saveexec_b64 s[16:17], s[0:1]
	s_cbranch_execz .LBB316_593
; %bb.588:                              ;   in Loop: Header=BB316_424 Depth=1
	v_cmp_ne_u16_sdwa s[0:1], v9, s28 src0_sel:BYTE_0 src1_sel:DWORD
	v_bfrev_b32_e32 v23, 1
	s_and_saveexec_b64 s[18:19], s[0:1]
	s_cbranch_execz .LBB316_592
; %bb.589:                              ;   in Loop: Header=BB316_424 Depth=1
	v_bfe_u32 v11, v17, 16, 7
	v_cmp_ne_u32_e64 s[0:1], s29, v11
	v_mov_b32_e32 v23, 0x7f800001
	s_and_saveexec_b64 s[20:21], s[0:1]
	s_cbranch_execz .LBB316_591
; %bb.590:                              ;   in Loop: Header=BB316_424 Depth=1
	v_and_b32_e32 v19, 7, v9
	v_lshrrev_b32_e32 v21, 3, v11
	v_cmp_gt_u32_e64 s[0:1], 8, v11
	v_ffbh_u32_e32 v11, v19
	v_min_u32_e32 v22, 32, v11
	v_subrev_u32_e32 v11, 28, v22
	v_lshlrev_b64 v[11:12], v11, v[9:10]
	v_sub_u32_e32 v12, 29, v22
	v_and_b32_e32 v11, 7, v11
	v_cndmask_b32_e64 v12, v21, v12, s[0:1]
	v_cndmask_b32_e64 v11, v19, v11, s[0:1]
	v_lshlrev_b32_e32 v9, 24, v9
	v_bfrev_b32_e32 v19, 60
	v_lshlrev_b32_e32 v11, 20, v11
	v_and_b32_e32 v9, 0x80000000, v9
	v_lshl_add_u32 v12, v12, 23, v19
	v_or3_b32 v23, v9, v12, v11
.LBB316_591:                            ;   in Loop: Header=BB316_424 Depth=1
	s_or_b64 exec, exec, s[20:21]
.LBB316_592:                            ;   in Loop: Header=BB316_424 Depth=1
	s_or_b64 exec, exec, s[18:19]
.LBB316_593:                            ;   in Loop: Header=BB316_424 Depth=1
	s_or_b64 exec, exec, s[16:17]
	v_cmp_lt_u32_e64 s[0:1], s5, v17
	s_and_saveexec_b64 s[16:17], s[0:1]
	s_cbranch_execz .LBB316_599
; %bb.594:                              ;   in Loop: Header=BB316_424 Depth=1
	v_lshrrev_b32_e32 v9, 24, v17
	v_cmp_ne_u32_e64 s[0:1], s28, v9
	v_bfrev_b32_e32 v24, 1
	s_and_saveexec_b64 s[18:19], s[0:1]
	s_cbranch_execz .LBB316_598
; %bb.595:                              ;   in Loop: Header=BB316_424 Depth=1
	v_bfe_u32 v11, v17, 24, 7
	v_cmp_ne_u32_e64 s[0:1], s29, v11
	v_mov_b32_e32 v24, 0x7f800001
	s_and_saveexec_b64 s[20:21], s[0:1]
	s_cbranch_execz .LBB316_597
; %bb.596:                              ;   in Loop: Header=BB316_424 Depth=1
	v_and_b32_e32 v19, 7, v9
	v_lshrrev_b32_e32 v21, 3, v11
	v_cmp_gt_u32_e64 s[0:1], 8, v11
	v_ffbh_u32_e32 v11, v19
	v_min_u32_e32 v22, 32, v11
	v_subrev_u32_e32 v11, 28, v22
	v_lshlrev_b64 v[11:12], v11, v[9:10]
	v_sub_u32_e32 v12, 29, v22
	v_and_b32_e32 v11, 7, v11
	v_cndmask_b32_e64 v12, v21, v12, s[0:1]
	v_cndmask_b32_e64 v11, v19, v11, s[0:1]
	v_lshlrev_b32_e32 v9, 24, v9
	v_bfrev_b32_e32 v19, 60
	v_lshlrev_b32_e32 v11, 20, v11
	v_and_b32_e32 v9, 0x80000000, v9
	v_lshl_add_u32 v12, v12, 23, v19
	v_or3_b32 v24, v9, v12, v11
.LBB316_597:                            ;   in Loop: Header=BB316_424 Depth=1
	s_or_b64 exec, exec, s[20:21]
.LBB316_598:                            ;   in Loop: Header=BB316_424 Depth=1
	s_or_b64 exec, exec, s[18:19]
.LBB316_599:                            ;   in Loop: Header=BB316_424 Depth=1
	s_or_b64 exec, exec, s[16:17]
	v_mov_b32_e32 v9, v18
	v_cmp_ne_u16_sdwa s[0:1], v18, v10 src0_sel:BYTE_0 src1_sel:DWORD
	v_mov_b32_e32 v22, 0
	v_mov_b32_e32 v21, 0
	s_and_saveexec_b64 s[16:17], s[0:1]
	s_cbranch_execz .LBB316_605
; %bb.600:                              ;   in Loop: Header=BB316_424 Depth=1
	v_cmp_ne_u16_sdwa s[0:1], v18, s28 src0_sel:BYTE_0 src1_sel:DWORD
	v_bfrev_b32_e32 v21, 1
	s_and_saveexec_b64 s[18:19], s[0:1]
	s_cbranch_execz .LBB316_604
; %bb.601:                              ;   in Loop: Header=BB316_424 Depth=1
	v_and_b32_e32 v11, 0x7f, v18
	v_cmp_ne_u32_e64 s[0:1], s29, v11
	v_mov_b32_e32 v21, 0x7f800001
	s_and_saveexec_b64 s[20:21], s[0:1]
	s_cbranch_execz .LBB316_603
; %bb.602:                              ;   in Loop: Header=BB316_424 Depth=1
	v_and_b32_e32 v12, 7, v18
	v_lshrrev_b32_e32 v19, 3, v11
	v_cmp_gt_u32_e64 s[0:1], 8, v11
	v_ffbh_u32_e32 v11, v12
	v_min_u32_e32 v11, 32, v11
	v_subrev_u32_e32 v12, 28, v11
	v_sub_u32_e32 v11, 29, v11
	v_cndmask_b32_e64 v19, v19, v11, s[0:1]
	v_cndmask_b32_e64 v11, 0, v12, s[0:1]
	v_lshlrev_b64 v[11:12], v11, v[9:10]
	v_lshlrev_b32_e32 v12, 24, v9
	v_lshlrev_b32_e32 v11, 20, v11
	v_bfrev_b32_e32 v21, 60
	v_and_b32_e32 v11, 0x700000, v11
	v_and_b32_e32 v12, 0x80000000, v12
	v_lshl_add_u32 v19, v19, 23, v21
	v_or3_b32 v21, v12, v19, v11
.LBB316_603:                            ;   in Loop: Header=BB316_424 Depth=1
	s_or_b64 exec, exec, s[20:21]
.LBB316_604:                            ;   in Loop: Header=BB316_424 Depth=1
	s_or_b64 exec, exec, s[18:19]
.LBB316_605:                            ;   in Loop: Header=BB316_424 Depth=1
	s_or_b64 exec, exec, s[16:17]
	v_lshrrev_b16_e32 v19, 8, v9
	v_cmp_ne_u16_e64 s[0:1], 0, v19
	s_and_saveexec_b64 s[16:17], s[0:1]
	s_cbranch_execz .LBB316_611
; %bb.606:                              ;   in Loop: Header=BB316_424 Depth=1
	v_cmp_ne_u16_e64 s[0:1], s28, v19
	v_bfrev_b32_e32 v22, 1
	s_and_saveexec_b64 s[18:19], s[0:1]
	s_cbranch_execz .LBB316_610
; %bb.607:                              ;   in Loop: Header=BB316_424 Depth=1
	v_and_b32_e32 v11, 0x7f, v19
	v_cmp_ne_u32_e64 s[0:1], s29, v11
	v_mov_b32_e32 v22, 0x7f800001
	s_and_saveexec_b64 s[20:21], s[0:1]
	s_cbranch_execz .LBB316_609
; %bb.608:                              ;   in Loop: Header=BB316_424 Depth=1
	v_and_b32_e32 v22, 7, v19
	v_lshrrev_b32_e32 v25, 3, v11
	v_cmp_gt_u32_e64 s[0:1], 8, v11
	v_ffbh_u32_e32 v11, v22
	v_min_u32_e32 v26, 32, v11
	v_subrev_u32_e32 v11, 28, v26
	v_lshlrev_b64 v[11:12], v11, v[19:20]
	v_sub_u32_e32 v12, 29, v26
	v_and_b32_e32 v11, 7, v11
	v_cndmask_b32_e64 v12, v25, v12, s[0:1]
	v_cndmask_b32_e64 v11, v22, v11, s[0:1]
	v_lshlrev_b32_e32 v9, 16, v9
	v_bfrev_b32_e32 v19, 60
	v_lshlrev_b32_e32 v11, 20, v11
	v_and_b32_e32 v9, 0x80000000, v9
	v_lshl_add_u32 v12, v12, 23, v19
	v_or3_b32 v22, v9, v12, v11
.LBB316_609:                            ;   in Loop: Header=BB316_424 Depth=1
	s_or_b64 exec, exec, s[20:21]
.LBB316_610:                            ;   in Loop: Header=BB316_424 Depth=1
	s_or_b64 exec, exec, s[18:19]
.LBB316_611:                            ;   in Loop: Header=BB316_424 Depth=1
	s_or_b64 exec, exec, s[16:17]
	v_lshrrev_b32_e32 v9, 16, v18
	v_cmp_ne_u16_sdwa s[0:1], v9, v10 src0_sel:BYTE_0 src1_sel:DWORD
	v_mov_b32_e32 v19, 0
	v_mov_b32_e32 v11, 0
	s_and_saveexec_b64 s[16:17], s[0:1]
	s_cbranch_execz .LBB316_617
; %bb.612:                              ;   in Loop: Header=BB316_424 Depth=1
	v_cmp_ne_u16_sdwa s[0:1], v9, s28 src0_sel:BYTE_0 src1_sel:DWORD
	v_bfrev_b32_e32 v11, 1
	s_and_saveexec_b64 s[18:19], s[0:1]
	s_cbranch_execz .LBB316_616
; %bb.613:                              ;   in Loop: Header=BB316_424 Depth=1
	v_bfe_u32 v25, v18, 16, 7
	v_cmp_ne_u32_e64 s[0:1], s29, v25
	v_mov_b32_e32 v11, 0x7f800001
	s_and_saveexec_b64 s[20:21], s[0:1]
	s_cbranch_execz .LBB316_615
; %bb.614:                              ;   in Loop: Header=BB316_424 Depth=1
	v_and_b32_e32 v26, 7, v9
	v_ffbh_u32_e32 v11, v26
	v_lshrrev_b32_e32 v27, 3, v25
	v_cmp_gt_u32_e64 s[0:1], 8, v25
	v_min_u32_e32 v25, 32, v11
	v_subrev_u32_e32 v11, 28, v25
	v_lshlrev_b64 v[11:12], v11, v[9:10]
	v_sub_u32_e32 v12, 29, v25
	v_and_b32_e32 v11, 7, v11
	v_cndmask_b32_e64 v12, v27, v12, s[0:1]
	v_cndmask_b32_e64 v11, v26, v11, s[0:1]
	v_lshlrev_b32_e32 v9, 24, v9
	v_bfrev_b32_e32 v25, 60
	v_lshlrev_b32_e32 v11, 20, v11
	v_and_b32_e32 v9, 0x80000000, v9
	v_lshl_add_u32 v12, v12, 23, v25
	v_or3_b32 v11, v9, v12, v11
.LBB316_615:                            ;   in Loop: Header=BB316_424 Depth=1
	s_or_b64 exec, exec, s[20:21]
.LBB316_616:                            ;   in Loop: Header=BB316_424 Depth=1
	s_or_b64 exec, exec, s[18:19]
.LBB316_617:                            ;   in Loop: Header=BB316_424 Depth=1
	s_or_b64 exec, exec, s[16:17]
	v_cmp_lt_u64_e64 s[0:1], s[4:5], v[17:18]
	s_and_saveexec_b64 s[16:17], s[0:1]
	s_cbranch_execz .LBB316_623
; %bb.618:                              ;   in Loop: Header=BB316_424 Depth=1
	v_lshrrev_b32_e32 v9, 24, v18
	v_cmp_ne_u32_e64 s[0:1], s28, v9
	v_bfrev_b32_e32 v19, 1
	s_and_saveexec_b64 s[18:19], s[0:1]
	s_cbranch_execz .LBB316_622
; %bb.619:                              ;   in Loop: Header=BB316_424 Depth=1
	v_bfe_u32 v17, v18, 24, 7
	v_cmp_ne_u32_e64 s[0:1], s29, v17
	v_mov_b32_e32 v19, 0x7f800001
	s_and_saveexec_b64 s[20:21], s[0:1]
	s_cbranch_execz .LBB316_621
; %bb.620:                              ;   in Loop: Header=BB316_424 Depth=1
	v_and_b32_e32 v12, 7, v9
	v_lshrrev_b32_e32 v19, 3, v17
	v_cmp_gt_u32_e64 s[0:1], 8, v17
	v_ffbh_u32_e32 v17, v12
	v_min_u32_e32 v25, 32, v17
	v_subrev_u32_e32 v17, 28, v25
	v_lshlrev_b64 v[17:18], v17, v[9:10]
	v_sub_u32_e32 v18, 29, v25
	v_and_b32_e32 v17, 7, v17
	v_cndmask_b32_e64 v18, v19, v18, s[0:1]
	v_cndmask_b32_e64 v12, v12, v17, s[0:1]
	v_lshlrev_b32_e32 v9, 24, v9
	v_bfrev_b32_e32 v17, 60
	v_lshlrev_b32_e32 v12, 20, v12
	v_and_b32_e32 v9, 0x80000000, v9
	v_lshl_add_u32 v17, v18, 23, v17
	v_or3_b32 v19, v9, v17, v12
.LBB316_621:                            ;   in Loop: Header=BB316_424 Depth=1
	s_or_b64 exec, exec, s[20:21]
.LBB316_622:                            ;   in Loop: Header=BB316_424 Depth=1
	s_or_b64 exec, exec, s[18:19]
.LBB316_623:                            ;   in Loop: Header=BB316_424 Depth=1
	s_or_b64 exec, exec, s[16:17]
	v_mul_f32_e32 v9, s31, v22
	v_bfe_u32 v12, v9, 16, 1
	v_add3_u32 v12, v12, v9, s30
	v_or_b32_e32 v17, 0x400000, v9
	v_cmp_u_f32_e64 s[0:1], v9, v9
	v_cndmask_b32_e64 v9, v12, v17, s[0:1]
	v_lshrrev_b32_e32 v9, 16, v9
	buffer_store_dword v9, off, s[60:63], 0 offset:104 ; 4-byte Folded Spill
	v_mul_f32_e32 v9, s31, v21
	v_bfe_u32 v12, v9, 16, 1
	v_add3_u32 v12, v12, v9, s30
	v_or_b32_e32 v17, 0x400000, v9
	v_cmp_u_f32_e64 s[0:1], v9, v9
	v_cndmask_b32_e64 v9, v12, v17, s[0:1]
	v_lshrrev_b32_e32 v9, 16, v9
	buffer_store_dword v9, off, s[60:63], 0 offset:100 ; 4-byte Folded Spill
	v_mul_f32_e32 v9, s31, v24
	v_bfe_u32 v12, v9, 16, 1
	v_add3_u32 v12, v12, v9, s30
	v_or_b32_e32 v17, 0x400000, v9
	v_cmp_u_f32_e64 s[0:1], v9, v9
	v_cndmask_b32_e64 v9, v12, v17, s[0:1]
	v_lshrrev_b32_e32 v25, 16, v9
	v_mul_f32_e32 v9, s31, v23
	v_bfe_u32 v12, v9, 16, 1
	v_add3_u32 v12, v12, v9, s30
	v_or_b32_e32 v17, 0x400000, v9
	v_cmp_u_f32_e64 s[0:1], v9, v9
	v_cndmask_b32_e64 v9, v12, v17, s[0:1]
	v_lshrrev_b32_e32 v9, 16, v9
	buffer_store_dword v9, off, s[60:63], 0 offset:112 ; 4-byte Folded Spill
	v_mul_f32_e32 v9, s31, v20
	v_bfe_u32 v12, v9, 16, 1
	v_add3_u32 v12, v12, v9, s30
	v_or_b32_e32 v17, 0x400000, v9
	v_cmp_u_f32_e64 s[0:1], v9, v9
	v_cndmask_b32_e64 v9, v12, v17, s[0:1]
	v_mul_f32_e32 v0, s31, v0
	v_lshrrev_b32_e32 v24, 16, v9
	v_bfe_u32 v9, v0, 16, 1
	v_add3_u32 v9, v9, v0, s30
	v_or_b32_e32 v12, 0x400000, v0
	v_cmp_u_f32_e64 s[0:1], v0, v0
	v_cndmask_b32_e64 v0, v9, v12, s[0:1]
	v_lshrrev_b32_e32 v27, 16, v0
	v_mul_f32_e32 v0, s31, v11
	v_bfe_u32 v9, v0, 16, 1
	v_add3_u32 v9, v9, v0, s30
	v_or_b32_e32 v11, 0x400000, v0
	v_cmp_u_f32_e64 s[0:1], v0, v0
	v_cndmask_b32_e64 v0, v9, v11, s[0:1]
	v_lshrrev_b32_e32 v0, 16, v0
	buffer_store_dword v0, off, s[60:63], 0 offset:108 ; 4-byte Folded Spill
	v_mul_f32_e32 v0, s31, v19
	v_bfe_u32 v9, v0, 16, 1
	v_add3_u32 v9, v9, v0, s30
	v_or_b32_e32 v11, 0x400000, v0
	v_cmp_u_f32_e64 s[0:1], v0, v0
	v_cndmask_b32_e64 v0, v9, v11, s[0:1]
	v_lshrrev_b32_e32 v26, 16, v0
	s_and_saveexec_b64 s[16:17], vcc
	s_cbranch_execz .LBB316_625
; %bb.624:                              ;   in Loop: Header=BB316_424 Depth=1
	buffer_load_dword v0, off, s[60:63], 0 offset:112 ; 4-byte Folded Reload
	v_cmp_gt_i32_e64 s[0:1], s33, v52
	v_cndmask_b32_e64 v27, 0, v27, s[0:1]
	v_cmp_gt_i32_e64 s[0:1], s33, v61
	v_cndmask_b32_e64 v24, 0, v24, s[0:1]
	v_cmp_gt_i32_e64 s[0:1], s33, v60
	s_waitcnt vmcnt(0)
	v_cndmask_b32_e64 v0, 0, v0, s[0:1]
	buffer_store_dword v0, off, s[60:63], 0 offset:112 ; 4-byte Folded Spill
	buffer_load_dword v0, off, s[60:63], 0 offset:100 ; 4-byte Folded Reload
	v_cmp_gt_i32_e64 s[0:1], s33, v59
	v_cndmask_b32_e64 v25, 0, v25, s[0:1]
	v_cmp_gt_i32_e64 s[0:1], s33, v58
	s_waitcnt vmcnt(0)
	v_cndmask_b32_e64 v0, 0, v0, s[0:1]
	buffer_store_dword v0, off, s[60:63], 0 offset:100 ; 4-byte Folded Spill
	buffer_load_dword v0, off, s[60:63], 0 offset:104 ; 4-byte Folded Reload
	v_cmp_gt_i32_e64 s[0:1], s33, v57
	s_waitcnt vmcnt(0)
	v_cndmask_b32_e64 v0, 0, v0, s[0:1]
	buffer_store_dword v0, off, s[60:63], 0 offset:104 ; 4-byte Folded Spill
	buffer_load_dword v0, off, s[60:63], 0 offset:108 ; 4-byte Folded Reload
	v_cmp_gt_i32_e64 s[0:1], s33, v56
	s_waitcnt vmcnt(0)
	v_cndmask_b32_e64 v0, 0, v0, s[0:1]
	v_cmp_gt_i32_e64 s[0:1], s33, v55
	v_cndmask_b32_e64 v26, 0, v26, s[0:1]
	buffer_store_dword v0, off, s[60:63], 0 offset:108 ; 4-byte Folded Spill
.LBB316_625:                            ;   in Loop: Header=BB316_424 Depth=1
	s_or_b64 exec, exec, s[16:17]
	global_load_dwordx2 v[17:18], v[15:16], off offset:2048
	v_mov_b32_e32 v20, 0
	v_mov_b32_e32 v0, 0
	s_waitcnt vmcnt(0)
	v_cmp_ne_u16_sdwa s[0:1], v17, v10 src0_sel:BYTE_0 src1_sel:DWORD
	s_and_saveexec_b64 s[16:17], s[0:1]
	s_cbranch_execz .LBB316_631
; %bb.626:                              ;   in Loop: Header=BB316_424 Depth=1
	v_cmp_ne_u16_sdwa s[0:1], v17, s28 src0_sel:BYTE_0 src1_sel:DWORD
	v_bfrev_b32_e32 v0, 1
	s_and_saveexec_b64 s[18:19], s[0:1]
	s_cbranch_execz .LBB316_630
; %bb.627:                              ;   in Loop: Header=BB316_424 Depth=1
	v_and_b32_e32 v9, 0x7f, v17
	v_cmp_ne_u32_e64 s[0:1], s29, v9
	v_mov_b32_e32 v0, 0x7f800001
	s_and_saveexec_b64 s[20:21], s[0:1]
	s_cbranch_execz .LBB316_629
; %bb.628:                              ;   in Loop: Header=BB316_424 Depth=1
	v_and_b32_e32 v0, 7, v17
	v_ffbh_u32_e32 v0, v0
	v_min_u32_e32 v0, 32, v0
	v_lshrrev_b32_e32 v11, 3, v9
	v_cmp_gt_u32_e64 s[0:1], 8, v9
	v_subrev_u32_e32 v9, 28, v0
	v_sub_u32_e32 v0, 29, v0
	v_cndmask_b32_e64 v9, 0, v9, s[0:1]
	v_cndmask_b32_e64 v0, v11, v0, s[0:1]
	v_lshlrev_b64 v[11:12], v9, v[17:18]
	v_bfrev_b32_e32 v12, 60
	v_lshlrev_b32_e32 v9, 20, v11
	v_lshlrev_b32_e32 v11, 24, v17
	v_and_b32_e32 v9, 0x700000, v9
	v_and_b32_e32 v11, 0x80000000, v11
	v_lshl_add_u32 v0, v0, 23, v12
	v_or3_b32 v0, v11, v0, v9
.LBB316_629:                            ;   in Loop: Header=BB316_424 Depth=1
	s_or_b64 exec, exec, s[20:21]
.LBB316_630:                            ;   in Loop: Header=BB316_424 Depth=1
	s_or_b64 exec, exec, s[18:19]
.LBB316_631:                            ;   in Loop: Header=BB316_424 Depth=1
	s_or_b64 exec, exec, s[16:17]
	v_lshrrev_b16_e32 v9, 8, v17
	v_cmp_ne_u16_e64 s[0:1], 0, v9
	s_and_saveexec_b64 s[16:17], s[0:1]
	s_cbranch_execz .LBB316_637
; %bb.632:                              ;   in Loop: Header=BB316_424 Depth=1
	v_cmp_ne_u16_e64 s[0:1], s28, v9
	v_bfrev_b32_e32 v20, 1
	s_and_saveexec_b64 s[18:19], s[0:1]
	s_cbranch_execz .LBB316_636
; %bb.633:                              ;   in Loop: Header=BB316_424 Depth=1
	v_and_b32_e32 v11, 0x7f, v9
	v_cmp_ne_u32_e64 s[0:1], s29, v11
	v_mov_b32_e32 v20, 0x7f800001
	s_and_saveexec_b64 s[20:21], s[0:1]
	s_cbranch_execz .LBB316_635
; %bb.634:                              ;   in Loop: Header=BB316_424 Depth=1
	v_and_b32_e32 v19, 7, v9
	v_lshrrev_b32_e32 v20, 3, v11
	v_cmp_gt_u32_e64 s[0:1], 8, v11
	v_ffbh_u32_e32 v11, v19
	v_min_u32_e32 v21, 32, v11
	v_subrev_u32_e32 v11, 28, v21
	v_lshlrev_b64 v[11:12], v11, v[9:10]
	v_sub_u32_e32 v9, 29, v21
	v_and_b32_e32 v11, 7, v11
	v_cndmask_b32_e64 v9, v20, v9, s[0:1]
	v_cndmask_b32_e64 v11, v19, v11, s[0:1]
	v_lshlrev_b32_e32 v12, 16, v17
	v_bfrev_b32_e32 v19, 60
	v_lshlrev_b32_e32 v11, 20, v11
	v_and_b32_e32 v12, 0x80000000, v12
	v_lshl_add_u32 v9, v9, 23, v19
	v_or3_b32 v20, v12, v9, v11
.LBB316_635:                            ;   in Loop: Header=BB316_424 Depth=1
	s_or_b64 exec, exec, s[20:21]
.LBB316_636:                            ;   in Loop: Header=BB316_424 Depth=1
	s_or_b64 exec, exec, s[18:19]
.LBB316_637:                            ;   in Loop: Header=BB316_424 Depth=1
	s_or_b64 exec, exec, s[16:17]
	v_lshrrev_b32_e32 v9, 16, v17
	v_cmp_ne_u16_sdwa s[0:1], v9, v10 src0_sel:BYTE_0 src1_sel:DWORD
	v_mov_b32_e32 v30, 0
	v_mov_b32_e32 v23, 0
	s_and_saveexec_b64 s[16:17], s[0:1]
	s_cbranch_execz .LBB316_643
; %bb.638:                              ;   in Loop: Header=BB316_424 Depth=1
	v_cmp_ne_u16_sdwa s[0:1], v9, s28 src0_sel:BYTE_0 src1_sel:DWORD
	v_bfrev_b32_e32 v23, 1
	s_and_saveexec_b64 s[18:19], s[0:1]
	s_cbranch_execz .LBB316_642
; %bb.639:                              ;   in Loop: Header=BB316_424 Depth=1
	v_bfe_u32 v11, v17, 16, 7
	v_cmp_ne_u32_e64 s[0:1], s29, v11
	v_mov_b32_e32 v23, 0x7f800001
	s_and_saveexec_b64 s[20:21], s[0:1]
	s_cbranch_execz .LBB316_641
; %bb.640:                              ;   in Loop: Header=BB316_424 Depth=1
	v_and_b32_e32 v19, 7, v9
	v_lshrrev_b32_e32 v21, 3, v11
	v_cmp_gt_u32_e64 s[0:1], 8, v11
	v_ffbh_u32_e32 v11, v19
	v_min_u32_e32 v22, 32, v11
	v_subrev_u32_e32 v11, 28, v22
	v_lshlrev_b64 v[11:12], v11, v[9:10]
	v_sub_u32_e32 v12, 29, v22
	v_and_b32_e32 v11, 7, v11
	v_cndmask_b32_e64 v12, v21, v12, s[0:1]
	v_cndmask_b32_e64 v11, v19, v11, s[0:1]
	v_lshlrev_b32_e32 v9, 24, v9
	v_bfrev_b32_e32 v19, 60
	v_lshlrev_b32_e32 v11, 20, v11
	v_and_b32_e32 v9, 0x80000000, v9
	v_lshl_add_u32 v12, v12, 23, v19
	v_or3_b32 v23, v9, v12, v11
.LBB316_641:                            ;   in Loop: Header=BB316_424 Depth=1
	s_or_b64 exec, exec, s[20:21]
.LBB316_642:                            ;   in Loop: Header=BB316_424 Depth=1
	s_or_b64 exec, exec, s[18:19]
.LBB316_643:                            ;   in Loop: Header=BB316_424 Depth=1
	s_or_b64 exec, exec, s[16:17]
	v_cmp_lt_u32_e64 s[0:1], s5, v17
	s_and_saveexec_b64 s[16:17], s[0:1]
	s_cbranch_execz .LBB316_649
; %bb.644:                              ;   in Loop: Header=BB316_424 Depth=1
	v_lshrrev_b32_e32 v9, 24, v17
	v_cmp_ne_u32_e64 s[0:1], s28, v9
	v_bfrev_b32_e32 v30, 1
	s_and_saveexec_b64 s[18:19], s[0:1]
	s_cbranch_execz .LBB316_648
; %bb.645:                              ;   in Loop: Header=BB316_424 Depth=1
	v_bfe_u32 v11, v17, 24, 7
	v_cmp_ne_u32_e64 s[0:1], s29, v11
	v_mov_b32_e32 v30, 0x7f800001
	s_and_saveexec_b64 s[20:21], s[0:1]
	s_cbranch_execz .LBB316_647
; %bb.646:                              ;   in Loop: Header=BB316_424 Depth=1
	v_and_b32_e32 v19, 7, v9
	v_lshrrev_b32_e32 v21, 3, v11
	v_cmp_gt_u32_e64 s[0:1], 8, v11
	v_ffbh_u32_e32 v11, v19
	v_min_u32_e32 v22, 32, v11
	v_subrev_u32_e32 v11, 28, v22
	v_lshlrev_b64 v[11:12], v11, v[9:10]
	v_sub_u32_e32 v12, 29, v22
	v_and_b32_e32 v11, 7, v11
	v_cndmask_b32_e64 v12, v21, v12, s[0:1]
	v_cndmask_b32_e64 v11, v19, v11, s[0:1]
	v_lshlrev_b32_e32 v9, 24, v9
	v_bfrev_b32_e32 v19, 60
	v_lshlrev_b32_e32 v11, 20, v11
	v_and_b32_e32 v9, 0x80000000, v9
	v_lshl_add_u32 v12, v12, 23, v19
	v_or3_b32 v30, v9, v12, v11
.LBB316_647:                            ;   in Loop: Header=BB316_424 Depth=1
	s_or_b64 exec, exec, s[20:21]
.LBB316_648:                            ;   in Loop: Header=BB316_424 Depth=1
	s_or_b64 exec, exec, s[18:19]
.LBB316_649:                            ;   in Loop: Header=BB316_424 Depth=1
	s_or_b64 exec, exec, s[16:17]
	v_mov_b32_e32 v9, v18
	v_cmp_ne_u16_sdwa s[0:1], v18, v10 src0_sel:BYTE_0 src1_sel:DWORD
	v_mov_b32_e32 v31, 0
	v_mov_b32_e32 v29, 0
	s_and_saveexec_b64 s[16:17], s[0:1]
	s_cbranch_execz .LBB316_655
; %bb.650:                              ;   in Loop: Header=BB316_424 Depth=1
	v_cmp_ne_u16_sdwa s[0:1], v18, s28 src0_sel:BYTE_0 src1_sel:DWORD
	v_bfrev_b32_e32 v29, 1
	s_and_saveexec_b64 s[18:19], s[0:1]
	s_cbranch_execz .LBB316_654
; %bb.651:                              ;   in Loop: Header=BB316_424 Depth=1
	v_and_b32_e32 v11, 0x7f, v18
	v_cmp_ne_u32_e64 s[0:1], s29, v11
	v_mov_b32_e32 v29, 0x7f800001
	s_and_saveexec_b64 s[20:21], s[0:1]
	s_cbranch_execz .LBB316_653
; %bb.652:                              ;   in Loop: Header=BB316_424 Depth=1
	v_and_b32_e32 v12, 7, v18
	v_lshrrev_b32_e32 v19, 3, v11
	v_cmp_gt_u32_e64 s[0:1], 8, v11
	v_ffbh_u32_e32 v11, v12
	v_min_u32_e32 v11, 32, v11
	v_subrev_u32_e32 v12, 28, v11
	v_sub_u32_e32 v11, 29, v11
	v_cndmask_b32_e64 v19, v19, v11, s[0:1]
	v_cndmask_b32_e64 v11, 0, v12, s[0:1]
	v_lshlrev_b64 v[11:12], v11, v[9:10]
	v_lshlrev_b32_e32 v12, 24, v9
	v_lshlrev_b32_e32 v11, 20, v11
	v_bfrev_b32_e32 v21, 60
	v_and_b32_e32 v11, 0x700000, v11
	v_and_b32_e32 v12, 0x80000000, v12
	v_lshl_add_u32 v19, v19, 23, v21
	v_or3_b32 v29, v12, v19, v11
.LBB316_653:                            ;   in Loop: Header=BB316_424 Depth=1
	s_or_b64 exec, exec, s[20:21]
.LBB316_654:                            ;   in Loop: Header=BB316_424 Depth=1
	s_or_b64 exec, exec, s[18:19]
.LBB316_655:                            ;   in Loop: Header=BB316_424 Depth=1
	s_or_b64 exec, exec, s[16:17]
	v_lshrrev_b16_e32 v19, 8, v9
	v_cmp_ne_u16_e64 s[0:1], 0, v19
	s_and_saveexec_b64 s[16:17], s[0:1]
	s_cbranch_execz .LBB316_661
; %bb.656:                              ;   in Loop: Header=BB316_424 Depth=1
	v_cmp_ne_u16_e64 s[0:1], s28, v19
	v_bfrev_b32_e32 v31, 1
	s_and_saveexec_b64 s[18:19], s[0:1]
	s_cbranch_execz .LBB316_660
; %bb.657:                              ;   in Loop: Header=BB316_424 Depth=1
	v_and_b32_e32 v11, 0x7f, v19
	v_cmp_ne_u32_e64 s[0:1], s29, v11
	v_mov_b32_e32 v31, 0x7f800001
	s_and_saveexec_b64 s[20:21], s[0:1]
	s_cbranch_execz .LBB316_659
; %bb.658:                              ;   in Loop: Header=BB316_424 Depth=1
	v_and_b32_e32 v21, 7, v19
	v_lshrrev_b32_e32 v22, 3, v11
	v_cmp_gt_u32_e64 s[0:1], 8, v11
	v_ffbh_u32_e32 v11, v21
	v_min_u32_e32 v31, 32, v11
	v_subrev_u32_e32 v11, 28, v31
	v_lshlrev_b64 v[11:12], v11, v[19:20]
	v_sub_u32_e32 v12, 29, v31
	v_and_b32_e32 v11, 7, v11
	v_cndmask_b32_e64 v12, v22, v12, s[0:1]
	v_cndmask_b32_e64 v11, v21, v11, s[0:1]
	v_lshlrev_b32_e32 v9, 16, v9
	v_bfrev_b32_e32 v19, 60
	v_lshlrev_b32_e32 v11, 20, v11
	v_and_b32_e32 v9, 0x80000000, v9
	v_lshl_add_u32 v12, v12, 23, v19
	v_or3_b32 v31, v9, v12, v11
.LBB316_659:                            ;   in Loop: Header=BB316_424 Depth=1
	s_or_b64 exec, exec, s[20:21]
.LBB316_660:                            ;   in Loop: Header=BB316_424 Depth=1
	s_or_b64 exec, exec, s[18:19]
.LBB316_661:                            ;   in Loop: Header=BB316_424 Depth=1
	s_or_b64 exec, exec, s[16:17]
	v_lshrrev_b32_e32 v9, 16, v18
	v_cmp_ne_u16_sdwa s[0:1], v9, v10 src0_sel:BYTE_0 src1_sel:DWORD
	v_mov_b32_e32 v19, 0
	v_mov_b32_e32 v11, 0
	s_and_saveexec_b64 s[16:17], s[0:1]
	s_cbranch_execz .LBB316_667
; %bb.662:                              ;   in Loop: Header=BB316_424 Depth=1
	v_cmp_ne_u16_sdwa s[0:1], v9, s28 src0_sel:BYTE_0 src1_sel:DWORD
	v_bfrev_b32_e32 v11, 1
	s_and_saveexec_b64 s[18:19], s[0:1]
	s_cbranch_execz .LBB316_666
; %bb.663:                              ;   in Loop: Header=BB316_424 Depth=1
	v_bfe_u32 v32, v18, 16, 7
	v_cmp_ne_u32_e64 s[0:1], s29, v32
	v_mov_b32_e32 v11, 0x7f800001
	s_and_saveexec_b64 s[20:21], s[0:1]
	s_cbranch_execz .LBB316_665
; %bb.664:                              ;   in Loop: Header=BB316_424 Depth=1
	v_and_b32_e32 v21, 7, v9
	v_ffbh_u32_e32 v11, v21
	v_lshrrev_b32_e32 v22, 3, v32
	v_cmp_gt_u32_e64 s[0:1], 8, v32
	v_min_u32_e32 v32, 32, v11
	v_subrev_u32_e32 v11, 28, v32
	v_lshlrev_b64 v[11:12], v11, v[9:10]
	v_sub_u32_e32 v12, 29, v32
	v_and_b32_e32 v11, 7, v11
	v_cndmask_b32_e64 v12, v22, v12, s[0:1]
	v_cndmask_b32_e64 v11, v21, v11, s[0:1]
	v_lshlrev_b32_e32 v9, 24, v9
	v_bfrev_b32_e32 v21, 60
	v_lshlrev_b32_e32 v11, 20, v11
	v_and_b32_e32 v9, 0x80000000, v9
	v_lshl_add_u32 v12, v12, 23, v21
	v_or3_b32 v11, v9, v12, v11
.LBB316_665:                            ;   in Loop: Header=BB316_424 Depth=1
	s_or_b64 exec, exec, s[20:21]
.LBB316_666:                            ;   in Loop: Header=BB316_424 Depth=1
	s_or_b64 exec, exec, s[18:19]
.LBB316_667:                            ;   in Loop: Header=BB316_424 Depth=1
	s_or_b64 exec, exec, s[16:17]
	v_cmp_lt_u64_e64 s[0:1], s[4:5], v[17:18]
	s_and_saveexec_b64 s[16:17], s[0:1]
	s_cbranch_execz .LBB316_673
; %bb.668:                              ;   in Loop: Header=BB316_424 Depth=1
	v_lshrrev_b32_e32 v9, 24, v18
	v_cmp_ne_u32_e64 s[0:1], s28, v9
	v_bfrev_b32_e32 v19, 1
	s_and_saveexec_b64 s[18:19], s[0:1]
	s_cbranch_execz .LBB316_672
; %bb.669:                              ;   in Loop: Header=BB316_424 Depth=1
	v_bfe_u32 v17, v18, 24, 7
	v_cmp_ne_u32_e64 s[0:1], s29, v17
	v_mov_b32_e32 v19, 0x7f800001
	s_and_saveexec_b64 s[20:21], s[0:1]
	s_cbranch_execz .LBB316_671
; %bb.670:                              ;   in Loop: Header=BB316_424 Depth=1
	v_and_b32_e32 v12, 7, v9
	v_lshrrev_b32_e32 v19, 3, v17
	v_cmp_gt_u32_e64 s[0:1], 8, v17
	v_ffbh_u32_e32 v17, v12
	v_min_u32_e32 v21, 32, v17
	v_subrev_u32_e32 v17, 28, v21
	v_lshlrev_b64 v[17:18], v17, v[9:10]
	v_sub_u32_e32 v18, 29, v21
	v_and_b32_e32 v17, 7, v17
	v_cndmask_b32_e64 v18, v19, v18, s[0:1]
	v_cndmask_b32_e64 v12, v12, v17, s[0:1]
	v_lshlrev_b32_e32 v9, 24, v9
	v_bfrev_b32_e32 v17, 60
	v_lshlrev_b32_e32 v12, 20, v12
	v_and_b32_e32 v9, 0x80000000, v9
	v_lshl_add_u32 v17, v18, 23, v17
	v_or3_b32 v19, v9, v17, v12
.LBB316_671:                            ;   in Loop: Header=BB316_424 Depth=1
	s_or_b64 exec, exec, s[20:21]
.LBB316_672:                            ;   in Loop: Header=BB316_424 Depth=1
	s_or_b64 exec, exec, s[18:19]
.LBB316_673:                            ;   in Loop: Header=BB316_424 Depth=1
	s_or_b64 exec, exec, s[16:17]
	v_mul_f32_e32 v9, s31, v31
	v_bfe_u32 v12, v9, 16, 1
	v_add3_u32 v12, v12, v9, s30
	v_or_b32_e32 v17, 0x400000, v9
	v_cmp_u_f32_e64 s[0:1], v9, v9
	v_cndmask_b32_e64 v9, v12, v17, s[0:1]
	v_lshrrev_b32_e32 v31, 16, v9
	v_mul_f32_e32 v9, s31, v29
	v_bfe_u32 v12, v9, 16, 1
	v_add3_u32 v12, v12, v9, s30
	v_or_b32_e32 v17, 0x400000, v9
	v_cmp_u_f32_e64 s[0:1], v9, v9
	v_cndmask_b32_e64 v9, v12, v17, s[0:1]
	v_lshrrev_b32_e32 v29, 16, v9
	;; [unrolled: 7-line block ×4, first 2 shown]
	v_mul_f32_e32 v9, s31, v20
	v_bfe_u32 v12, v9, 16, 1
	v_add3_u32 v12, v12, v9, s30
	v_or_b32_e32 v17, 0x400000, v9
	v_cmp_u_f32_e64 s[0:1], v9, v9
	v_cndmask_b32_e64 v9, v12, v17, s[0:1]
	v_mul_f32_e32 v0, s31, v0
	v_lshrrev_b32_e32 v42, 16, v9
	v_bfe_u32 v9, v0, 16, 1
	v_add3_u32 v9, v9, v0, s30
	v_or_b32_e32 v12, 0x400000, v0
	v_cmp_u_f32_e64 s[0:1], v0, v0
	v_cndmask_b32_e64 v0, v9, v12, s[0:1]
	v_lshrrev_b32_e32 v41, 16, v0
	v_mul_f32_e32 v0, s31, v11
	v_bfe_u32 v9, v0, 16, 1
	v_add3_u32 v9, v9, v0, s30
	v_or_b32_e32 v11, 0x400000, v0
	v_cmp_u_f32_e64 s[0:1], v0, v0
	v_cndmask_b32_e64 v0, v9, v11, s[0:1]
	v_lshrrev_b32_e32 v32, 16, v0
	v_mul_f32_e32 v0, s31, v19
	v_bfe_u32 v9, v0, 16, 1
	v_add3_u32 v9, v9, v0, s30
	v_or_b32_e32 v11, 0x400000, v0
	v_cmp_u_f32_e64 s[0:1], v0, v0
	v_cndmask_b32_e64 v0, v9, v11, s[0:1]
	v_lshrrev_b32_e32 v40, 16, v0
	s_and_saveexec_b64 s[16:17], vcc
	s_cbranch_execz .LBB316_675
; %bb.674:                              ;   in Loop: Header=BB316_424 Depth=1
	v_cmp_gt_i32_e64 s[0:1], s33, v52
	v_cndmask_b32_e64 v41, 0, v41, s[0:1]
	v_cmp_gt_i32_e64 s[0:1], s33, v61
	v_cndmask_b32_e64 v42, 0, v42, s[0:1]
	;; [unrolled: 2-line block ×8, first 2 shown]
.LBB316_675:                            ;   in Loop: Header=BB316_424 Depth=1
	s_or_b64 exec, exec, s[16:17]
	global_load_dwordx2 v[17:18], v[15:16], off offset:2560
	v_mov_b32_e32 v20, 0
	v_mov_b32_e32 v0, 0
	s_waitcnt vmcnt(0)
	v_cmp_ne_u16_sdwa s[0:1], v17, v10 src0_sel:BYTE_0 src1_sel:DWORD
	s_and_saveexec_b64 s[16:17], s[0:1]
	s_cbranch_execz .LBB316_681
; %bb.676:                              ;   in Loop: Header=BB316_424 Depth=1
	v_cmp_ne_u16_sdwa s[0:1], v17, s28 src0_sel:BYTE_0 src1_sel:DWORD
	v_bfrev_b32_e32 v0, 1
	s_and_saveexec_b64 s[18:19], s[0:1]
	s_cbranch_execz .LBB316_680
; %bb.677:                              ;   in Loop: Header=BB316_424 Depth=1
	v_and_b32_e32 v9, 0x7f, v17
	v_cmp_ne_u32_e64 s[0:1], s29, v9
	v_mov_b32_e32 v0, 0x7f800001
	s_and_saveexec_b64 s[20:21], s[0:1]
	s_cbranch_execz .LBB316_679
; %bb.678:                              ;   in Loop: Header=BB316_424 Depth=1
	v_and_b32_e32 v0, 7, v17
	v_ffbh_u32_e32 v0, v0
	v_min_u32_e32 v0, 32, v0
	v_lshrrev_b32_e32 v11, 3, v9
	v_cmp_gt_u32_e64 s[0:1], 8, v9
	v_subrev_u32_e32 v9, 28, v0
	v_sub_u32_e32 v0, 29, v0
	v_cndmask_b32_e64 v9, 0, v9, s[0:1]
	v_cndmask_b32_e64 v0, v11, v0, s[0:1]
	v_lshlrev_b64 v[11:12], v9, v[17:18]
	v_bfrev_b32_e32 v12, 60
	v_lshlrev_b32_e32 v9, 20, v11
	v_lshlrev_b32_e32 v11, 24, v17
	v_and_b32_e32 v9, 0x700000, v9
	v_and_b32_e32 v11, 0x80000000, v11
	v_lshl_add_u32 v0, v0, 23, v12
	v_or3_b32 v0, v11, v0, v9
.LBB316_679:                            ;   in Loop: Header=BB316_424 Depth=1
	s_or_b64 exec, exec, s[20:21]
.LBB316_680:                            ;   in Loop: Header=BB316_424 Depth=1
	s_or_b64 exec, exec, s[18:19]
.LBB316_681:                            ;   in Loop: Header=BB316_424 Depth=1
	s_or_b64 exec, exec, s[16:17]
	v_lshrrev_b16_e32 v9, 8, v17
	v_cmp_ne_u16_e64 s[0:1], 0, v9
	s_and_saveexec_b64 s[16:17], s[0:1]
	s_cbranch_execz .LBB316_687
; %bb.682:                              ;   in Loop: Header=BB316_424 Depth=1
	v_cmp_ne_u16_e64 s[0:1], s28, v9
	v_bfrev_b32_e32 v20, 1
	s_and_saveexec_b64 s[18:19], s[0:1]
	s_cbranch_execz .LBB316_686
; %bb.683:                              ;   in Loop: Header=BB316_424 Depth=1
	v_and_b32_e32 v11, 0x7f, v9
	v_cmp_ne_u32_e64 s[0:1], s29, v11
	v_mov_b32_e32 v20, 0x7f800001
	s_and_saveexec_b64 s[20:21], s[0:1]
	s_cbranch_execz .LBB316_685
; %bb.684:                              ;   in Loop: Header=BB316_424 Depth=1
	v_and_b32_e32 v19, 7, v9
	v_lshrrev_b32_e32 v20, 3, v11
	v_cmp_gt_u32_e64 s[0:1], 8, v11
	v_ffbh_u32_e32 v11, v19
	v_min_u32_e32 v21, 32, v11
	v_subrev_u32_e32 v11, 28, v21
	v_lshlrev_b64 v[11:12], v11, v[9:10]
	v_sub_u32_e32 v9, 29, v21
	v_and_b32_e32 v11, 7, v11
	v_cndmask_b32_e64 v9, v20, v9, s[0:1]
	v_cndmask_b32_e64 v11, v19, v11, s[0:1]
	v_lshlrev_b32_e32 v12, 16, v17
	v_bfrev_b32_e32 v19, 60
	v_lshlrev_b32_e32 v11, 20, v11
	v_and_b32_e32 v12, 0x80000000, v12
	v_lshl_add_u32 v9, v9, 23, v19
	v_or3_b32 v20, v12, v9, v11
.LBB316_685:                            ;   in Loop: Header=BB316_424 Depth=1
	s_or_b64 exec, exec, s[20:21]
.LBB316_686:                            ;   in Loop: Header=BB316_424 Depth=1
	s_or_b64 exec, exec, s[18:19]
.LBB316_687:                            ;   in Loop: Header=BB316_424 Depth=1
	s_or_b64 exec, exec, s[16:17]
	v_lshrrev_b32_e32 v9, 16, v17
	v_cmp_ne_u16_sdwa s[0:1], v9, v10 src0_sel:BYTE_0 src1_sel:DWORD
	v_mov_b32_e32 v30, 0
	v_mov_b32_e32 v23, 0
	s_and_saveexec_b64 s[16:17], s[0:1]
	s_cbranch_execz .LBB316_693
; %bb.688:                              ;   in Loop: Header=BB316_424 Depth=1
	v_cmp_ne_u16_sdwa s[0:1], v9, s28 src0_sel:BYTE_0 src1_sel:DWORD
	v_bfrev_b32_e32 v23, 1
	s_and_saveexec_b64 s[18:19], s[0:1]
	s_cbranch_execz .LBB316_692
; %bb.689:                              ;   in Loop: Header=BB316_424 Depth=1
	v_bfe_u32 v11, v17, 16, 7
	v_cmp_ne_u32_e64 s[0:1], s29, v11
	v_mov_b32_e32 v23, 0x7f800001
	s_and_saveexec_b64 s[20:21], s[0:1]
	s_cbranch_execz .LBB316_691
; %bb.690:                              ;   in Loop: Header=BB316_424 Depth=1
	v_and_b32_e32 v19, 7, v9
	v_lshrrev_b32_e32 v21, 3, v11
	v_cmp_gt_u32_e64 s[0:1], 8, v11
	v_ffbh_u32_e32 v11, v19
	v_min_u32_e32 v22, 32, v11
	v_subrev_u32_e32 v11, 28, v22
	v_lshlrev_b64 v[11:12], v11, v[9:10]
	v_sub_u32_e32 v12, 29, v22
	v_and_b32_e32 v11, 7, v11
	v_cndmask_b32_e64 v12, v21, v12, s[0:1]
	v_cndmask_b32_e64 v11, v19, v11, s[0:1]
	v_lshlrev_b32_e32 v9, 24, v9
	v_bfrev_b32_e32 v19, 60
	v_lshlrev_b32_e32 v11, 20, v11
	v_and_b32_e32 v9, 0x80000000, v9
	v_lshl_add_u32 v12, v12, 23, v19
	v_or3_b32 v23, v9, v12, v11
.LBB316_691:                            ;   in Loop: Header=BB316_424 Depth=1
	s_or_b64 exec, exec, s[20:21]
.LBB316_692:                            ;   in Loop: Header=BB316_424 Depth=1
	s_or_b64 exec, exec, s[18:19]
.LBB316_693:                            ;   in Loop: Header=BB316_424 Depth=1
	s_or_b64 exec, exec, s[16:17]
	v_cmp_lt_u32_e64 s[0:1], s5, v17
	s_and_saveexec_b64 s[16:17], s[0:1]
	s_cbranch_execz .LBB316_699
; %bb.694:                              ;   in Loop: Header=BB316_424 Depth=1
	v_lshrrev_b32_e32 v9, 24, v17
	v_cmp_ne_u32_e64 s[0:1], s28, v9
	v_bfrev_b32_e32 v30, 1
	s_and_saveexec_b64 s[18:19], s[0:1]
	s_cbranch_execz .LBB316_698
; %bb.695:                              ;   in Loop: Header=BB316_424 Depth=1
	v_bfe_u32 v11, v17, 24, 7
	v_cmp_ne_u32_e64 s[0:1], s29, v11
	v_mov_b32_e32 v30, 0x7f800001
	s_and_saveexec_b64 s[20:21], s[0:1]
	s_cbranch_execz .LBB316_697
; %bb.696:                              ;   in Loop: Header=BB316_424 Depth=1
	v_and_b32_e32 v19, 7, v9
	v_lshrrev_b32_e32 v21, 3, v11
	v_cmp_gt_u32_e64 s[0:1], 8, v11
	v_ffbh_u32_e32 v11, v19
	v_min_u32_e32 v22, 32, v11
	v_subrev_u32_e32 v11, 28, v22
	v_lshlrev_b64 v[11:12], v11, v[9:10]
	v_sub_u32_e32 v12, 29, v22
	v_and_b32_e32 v11, 7, v11
	v_cndmask_b32_e64 v12, v21, v12, s[0:1]
	v_cndmask_b32_e64 v11, v19, v11, s[0:1]
	v_lshlrev_b32_e32 v9, 24, v9
	v_bfrev_b32_e32 v19, 60
	v_lshlrev_b32_e32 v11, 20, v11
	v_and_b32_e32 v9, 0x80000000, v9
	v_lshl_add_u32 v12, v12, 23, v19
	v_or3_b32 v30, v9, v12, v11
.LBB316_697:                            ;   in Loop: Header=BB316_424 Depth=1
	s_or_b64 exec, exec, s[20:21]
.LBB316_698:                            ;   in Loop: Header=BB316_424 Depth=1
	s_or_b64 exec, exec, s[18:19]
.LBB316_699:                            ;   in Loop: Header=BB316_424 Depth=1
	s_or_b64 exec, exec, s[16:17]
	v_mov_b32_e32 v9, v18
	v_cmp_ne_u16_sdwa s[0:1], v18, v10 src0_sel:BYTE_0 src1_sel:DWORD
	v_mov_b32_e32 v34, 0
	v_mov_b32_e32 v33, 0
	s_and_saveexec_b64 s[16:17], s[0:1]
	s_cbranch_execz .LBB316_705
; %bb.700:                              ;   in Loop: Header=BB316_424 Depth=1
	v_cmp_ne_u16_sdwa s[0:1], v18, s28 src0_sel:BYTE_0 src1_sel:DWORD
	v_bfrev_b32_e32 v33, 1
	s_and_saveexec_b64 s[18:19], s[0:1]
	s_cbranch_execz .LBB316_704
; %bb.701:                              ;   in Loop: Header=BB316_424 Depth=1
	v_and_b32_e32 v11, 0x7f, v18
	v_cmp_ne_u32_e64 s[0:1], s29, v11
	v_mov_b32_e32 v33, 0x7f800001
	s_and_saveexec_b64 s[20:21], s[0:1]
	s_cbranch_execz .LBB316_703
; %bb.702:                              ;   in Loop: Header=BB316_424 Depth=1
	v_and_b32_e32 v12, 7, v18
	v_lshrrev_b32_e32 v19, 3, v11
	v_cmp_gt_u32_e64 s[0:1], 8, v11
	v_ffbh_u32_e32 v11, v12
	v_min_u32_e32 v11, 32, v11
	v_subrev_u32_e32 v12, 28, v11
	v_sub_u32_e32 v11, 29, v11
	v_cndmask_b32_e64 v19, v19, v11, s[0:1]
	v_cndmask_b32_e64 v11, 0, v12, s[0:1]
	v_lshlrev_b64 v[11:12], v11, v[9:10]
	v_lshlrev_b32_e32 v12, 24, v9
	v_lshlrev_b32_e32 v11, 20, v11
	v_bfrev_b32_e32 v21, 60
	v_and_b32_e32 v11, 0x700000, v11
	v_and_b32_e32 v12, 0x80000000, v12
	v_lshl_add_u32 v19, v19, 23, v21
	v_or3_b32 v33, v12, v19, v11
.LBB316_703:                            ;   in Loop: Header=BB316_424 Depth=1
	s_or_b64 exec, exec, s[20:21]
.LBB316_704:                            ;   in Loop: Header=BB316_424 Depth=1
	s_or_b64 exec, exec, s[18:19]
.LBB316_705:                            ;   in Loop: Header=BB316_424 Depth=1
	s_or_b64 exec, exec, s[16:17]
	v_lshrrev_b16_e32 v19, 8, v9
	v_cmp_ne_u16_e64 s[0:1], 0, v19
	s_and_saveexec_b64 s[16:17], s[0:1]
	s_cbranch_execz .LBB316_711
; %bb.706:                              ;   in Loop: Header=BB316_424 Depth=1
	v_cmp_ne_u16_e64 s[0:1], s28, v19
	v_bfrev_b32_e32 v34, 1
	s_and_saveexec_b64 s[18:19], s[0:1]
	s_cbranch_execz .LBB316_710
; %bb.707:                              ;   in Loop: Header=BB316_424 Depth=1
	v_and_b32_e32 v11, 0x7f, v19
	v_cmp_ne_u32_e64 s[0:1], s29, v11
	v_mov_b32_e32 v34, 0x7f800001
	s_and_saveexec_b64 s[20:21], s[0:1]
	s_cbranch_execz .LBB316_709
; %bb.708:                              ;   in Loop: Header=BB316_424 Depth=1
	v_and_b32_e32 v21, 7, v19
	v_lshrrev_b32_e32 v22, 3, v11
	v_cmp_gt_u32_e64 s[0:1], 8, v11
	v_ffbh_u32_e32 v11, v21
	v_min_u32_e32 v34, 32, v11
	v_subrev_u32_e32 v11, 28, v34
	v_lshlrev_b64 v[11:12], v11, v[19:20]
	v_sub_u32_e32 v12, 29, v34
	v_and_b32_e32 v11, 7, v11
	v_cndmask_b32_e64 v12, v22, v12, s[0:1]
	v_cndmask_b32_e64 v11, v21, v11, s[0:1]
	v_lshlrev_b32_e32 v9, 16, v9
	v_bfrev_b32_e32 v19, 60
	v_lshlrev_b32_e32 v11, 20, v11
	v_and_b32_e32 v9, 0x80000000, v9
	v_lshl_add_u32 v12, v12, 23, v19
	v_or3_b32 v34, v9, v12, v11
.LBB316_709:                            ;   in Loop: Header=BB316_424 Depth=1
	s_or_b64 exec, exec, s[20:21]
.LBB316_710:                            ;   in Loop: Header=BB316_424 Depth=1
	s_or_b64 exec, exec, s[18:19]
.LBB316_711:                            ;   in Loop: Header=BB316_424 Depth=1
	s_or_b64 exec, exec, s[16:17]
	v_lshrrev_b32_e32 v9, 16, v18
	v_cmp_ne_u16_sdwa s[0:1], v9, v10 src0_sel:BYTE_0 src1_sel:DWORD
	v_mov_b32_e32 v19, 0
	v_mov_b32_e32 v11, 0
	s_and_saveexec_b64 s[16:17], s[0:1]
	s_cbranch_execz .LBB316_717
; %bb.712:                              ;   in Loop: Header=BB316_424 Depth=1
	v_cmp_ne_u16_sdwa s[0:1], v9, s28 src0_sel:BYTE_0 src1_sel:DWORD
	v_bfrev_b32_e32 v11, 1
	s_and_saveexec_b64 s[18:19], s[0:1]
	s_cbranch_execz .LBB316_716
; %bb.713:                              ;   in Loop: Header=BB316_424 Depth=1
	v_bfe_u32 v37, v18, 16, 7
	v_cmp_ne_u32_e64 s[0:1], s29, v37
	v_mov_b32_e32 v11, 0x7f800001
	s_and_saveexec_b64 s[20:21], s[0:1]
	s_cbranch_execz .LBB316_715
; %bb.714:                              ;   in Loop: Header=BB316_424 Depth=1
	v_and_b32_e32 v21, 7, v9
	v_ffbh_u32_e32 v11, v21
	v_lshrrev_b32_e32 v22, 3, v37
	v_cmp_gt_u32_e64 s[0:1], 8, v37
	v_min_u32_e32 v37, 32, v11
	v_subrev_u32_e32 v11, 28, v37
	v_lshlrev_b64 v[11:12], v11, v[9:10]
	v_sub_u32_e32 v12, 29, v37
	v_and_b32_e32 v11, 7, v11
	v_cndmask_b32_e64 v12, v22, v12, s[0:1]
	v_cndmask_b32_e64 v11, v21, v11, s[0:1]
	v_lshlrev_b32_e32 v9, 24, v9
	v_bfrev_b32_e32 v21, 60
	v_lshlrev_b32_e32 v11, 20, v11
	v_and_b32_e32 v9, 0x80000000, v9
	v_lshl_add_u32 v12, v12, 23, v21
	v_or3_b32 v11, v9, v12, v11
.LBB316_715:                            ;   in Loop: Header=BB316_424 Depth=1
	s_or_b64 exec, exec, s[20:21]
.LBB316_716:                            ;   in Loop: Header=BB316_424 Depth=1
	s_or_b64 exec, exec, s[18:19]
.LBB316_717:                            ;   in Loop: Header=BB316_424 Depth=1
	s_or_b64 exec, exec, s[16:17]
	v_cmp_lt_u64_e64 s[0:1], s[4:5], v[17:18]
	s_and_saveexec_b64 s[16:17], s[0:1]
	s_cbranch_execz .LBB316_723
; %bb.718:                              ;   in Loop: Header=BB316_424 Depth=1
	v_lshrrev_b32_e32 v9, 24, v18
	v_cmp_ne_u32_e64 s[0:1], s28, v9
	v_bfrev_b32_e32 v19, 1
	s_and_saveexec_b64 s[18:19], s[0:1]
	s_cbranch_execz .LBB316_722
; %bb.719:                              ;   in Loop: Header=BB316_424 Depth=1
	v_bfe_u32 v17, v18, 24, 7
	v_cmp_ne_u32_e64 s[0:1], s29, v17
	v_mov_b32_e32 v19, 0x7f800001
	s_and_saveexec_b64 s[20:21], s[0:1]
	s_cbranch_execz .LBB316_721
; %bb.720:                              ;   in Loop: Header=BB316_424 Depth=1
	v_and_b32_e32 v12, 7, v9
	v_lshrrev_b32_e32 v19, 3, v17
	v_cmp_gt_u32_e64 s[0:1], 8, v17
	v_ffbh_u32_e32 v17, v12
	v_min_u32_e32 v21, 32, v17
	v_subrev_u32_e32 v17, 28, v21
	v_lshlrev_b64 v[17:18], v17, v[9:10]
	v_sub_u32_e32 v18, 29, v21
	v_and_b32_e32 v17, 7, v17
	v_cndmask_b32_e64 v18, v19, v18, s[0:1]
	v_cndmask_b32_e64 v12, v12, v17, s[0:1]
	v_lshlrev_b32_e32 v9, 24, v9
	v_bfrev_b32_e32 v17, 60
	v_lshlrev_b32_e32 v12, 20, v12
	v_and_b32_e32 v9, 0x80000000, v9
	v_lshl_add_u32 v17, v18, 23, v17
	v_or3_b32 v19, v9, v17, v12
.LBB316_721:                            ;   in Loop: Header=BB316_424 Depth=1
	s_or_b64 exec, exec, s[20:21]
.LBB316_722:                            ;   in Loop: Header=BB316_424 Depth=1
	s_or_b64 exec, exec, s[18:19]
.LBB316_723:                            ;   in Loop: Header=BB316_424 Depth=1
	s_or_b64 exec, exec, s[16:17]
	v_mul_f32_e32 v9, s31, v34
	v_bfe_u32 v12, v9, 16, 1
	v_add3_u32 v12, v12, v9, s30
	v_or_b32_e32 v17, 0x400000, v9
	v_cmp_u_f32_e64 s[0:1], v9, v9
	v_cndmask_b32_e64 v9, v12, v17, s[0:1]
	v_lshrrev_b32_e32 v44, 16, v9
	v_mul_f32_e32 v9, s31, v33
	v_bfe_u32 v12, v9, 16, 1
	v_add3_u32 v12, v12, v9, s30
	v_or_b32_e32 v17, 0x400000, v9
	v_cmp_u_f32_e64 s[0:1], v9, v9
	v_cndmask_b32_e64 v9, v12, v17, s[0:1]
	v_lshrrev_b32_e32 v43, 16, v9
	;; [unrolled: 7-line block ×4, first 2 shown]
	v_mul_f32_e32 v9, s31, v20
	v_bfe_u32 v12, v9, 16, 1
	v_add3_u32 v12, v12, v9, s30
	v_or_b32_e32 v17, 0x400000, v9
	v_cmp_u_f32_e64 s[0:1], v9, v9
	v_cndmask_b32_e64 v9, v12, v17, s[0:1]
	v_mul_f32_e32 v0, s31, v0
	v_lshrrev_b32_e32 v50, 16, v9
	v_bfe_u32 v9, v0, 16, 1
	v_add3_u32 v9, v9, v0, s30
	v_or_b32_e32 v12, 0x400000, v0
	v_cmp_u_f32_e64 s[0:1], v0, v0
	v_cndmask_b32_e64 v0, v9, v12, s[0:1]
	v_lshrrev_b32_e32 v49, 16, v0
	v_mul_f32_e32 v0, s31, v11
	v_bfe_u32 v9, v0, 16, 1
	v_add3_u32 v9, v9, v0, s30
	v_or_b32_e32 v11, 0x400000, v0
	v_cmp_u_f32_e64 s[0:1], v0, v0
	v_cndmask_b32_e64 v0, v9, v11, s[0:1]
	v_lshrrev_b32_e32 v45, 16, v0
	v_mul_f32_e32 v0, s31, v19
	v_bfe_u32 v9, v0, 16, 1
	v_add3_u32 v9, v9, v0, s30
	v_or_b32_e32 v11, 0x400000, v0
	v_cmp_u_f32_e64 s[0:1], v0, v0
	v_cndmask_b32_e64 v0, v9, v11, s[0:1]
	v_lshrrev_b32_e32 v48, 16, v0
	s_and_saveexec_b64 s[16:17], vcc
	s_cbranch_execz .LBB316_725
; %bb.724:                              ;   in Loop: Header=BB316_424 Depth=1
	v_cmp_gt_i32_e64 s[0:1], s33, v52
	v_cndmask_b32_e64 v49, 0, v49, s[0:1]
	v_cmp_gt_i32_e64 s[0:1], s33, v61
	v_cndmask_b32_e64 v50, 0, v50, s[0:1]
	;; [unrolled: 2-line block ×8, first 2 shown]
.LBB316_725:                            ;   in Loop: Header=BB316_424 Depth=1
	s_or_b64 exec, exec, s[16:17]
	global_load_dwordx2 v[17:18], v[15:16], off offset:3072
	v_mov_b32_e32 v20, 0
	v_mov_b32_e32 v0, 0
	s_waitcnt vmcnt(0)
	v_cmp_ne_u16_sdwa s[0:1], v17, v10 src0_sel:BYTE_0 src1_sel:DWORD
	s_and_saveexec_b64 s[16:17], s[0:1]
	s_cbranch_execz .LBB316_731
; %bb.726:                              ;   in Loop: Header=BB316_424 Depth=1
	v_cmp_ne_u16_sdwa s[0:1], v17, s28 src0_sel:BYTE_0 src1_sel:DWORD
	v_bfrev_b32_e32 v0, 1
	s_and_saveexec_b64 s[18:19], s[0:1]
	s_cbranch_execz .LBB316_730
; %bb.727:                              ;   in Loop: Header=BB316_424 Depth=1
	v_and_b32_e32 v9, 0x7f, v17
	v_cmp_ne_u32_e64 s[0:1], s29, v9
	v_mov_b32_e32 v0, 0x7f800001
	s_and_saveexec_b64 s[20:21], s[0:1]
	s_cbranch_execz .LBB316_729
; %bb.728:                              ;   in Loop: Header=BB316_424 Depth=1
	v_and_b32_e32 v0, 7, v17
	v_ffbh_u32_e32 v0, v0
	v_min_u32_e32 v0, 32, v0
	v_lshrrev_b32_e32 v11, 3, v9
	v_cmp_gt_u32_e64 s[0:1], 8, v9
	v_subrev_u32_e32 v9, 28, v0
	v_sub_u32_e32 v0, 29, v0
	v_cndmask_b32_e64 v9, 0, v9, s[0:1]
	v_cndmask_b32_e64 v0, v11, v0, s[0:1]
	v_lshlrev_b64 v[11:12], v9, v[17:18]
	v_bfrev_b32_e32 v12, 60
	v_lshlrev_b32_e32 v9, 20, v11
	v_lshlrev_b32_e32 v11, 24, v17
	v_and_b32_e32 v9, 0x700000, v9
	v_and_b32_e32 v11, 0x80000000, v11
	v_lshl_add_u32 v0, v0, 23, v12
	v_or3_b32 v0, v11, v0, v9
.LBB316_729:                            ;   in Loop: Header=BB316_424 Depth=1
	s_or_b64 exec, exec, s[20:21]
.LBB316_730:                            ;   in Loop: Header=BB316_424 Depth=1
	s_or_b64 exec, exec, s[18:19]
.LBB316_731:                            ;   in Loop: Header=BB316_424 Depth=1
	s_or_b64 exec, exec, s[16:17]
	v_lshrrev_b16_e32 v9, 8, v17
	v_cmp_ne_u16_e64 s[0:1], 0, v9
	s_and_saveexec_b64 s[16:17], s[0:1]
	s_cbranch_execz .LBB316_737
; %bb.732:                              ;   in Loop: Header=BB316_424 Depth=1
	v_cmp_ne_u16_e64 s[0:1], s28, v9
	v_bfrev_b32_e32 v20, 1
	s_and_saveexec_b64 s[18:19], s[0:1]
	s_cbranch_execz .LBB316_736
; %bb.733:                              ;   in Loop: Header=BB316_424 Depth=1
	v_and_b32_e32 v11, 0x7f, v9
	v_cmp_ne_u32_e64 s[0:1], s29, v11
	v_mov_b32_e32 v20, 0x7f800001
	s_and_saveexec_b64 s[20:21], s[0:1]
	s_cbranch_execz .LBB316_735
; %bb.734:                              ;   in Loop: Header=BB316_424 Depth=1
	v_and_b32_e32 v19, 7, v9
	v_lshrrev_b32_e32 v20, 3, v11
	v_cmp_gt_u32_e64 s[0:1], 8, v11
	v_ffbh_u32_e32 v11, v19
	v_min_u32_e32 v21, 32, v11
	v_subrev_u32_e32 v11, 28, v21
	v_lshlrev_b64 v[11:12], v11, v[9:10]
	v_sub_u32_e32 v9, 29, v21
	v_and_b32_e32 v11, 7, v11
	v_cndmask_b32_e64 v9, v20, v9, s[0:1]
	v_cndmask_b32_e64 v11, v19, v11, s[0:1]
	v_lshlrev_b32_e32 v12, 16, v17
	v_bfrev_b32_e32 v19, 60
	v_lshlrev_b32_e32 v11, 20, v11
	v_and_b32_e32 v12, 0x80000000, v12
	v_lshl_add_u32 v9, v9, 23, v19
	v_or3_b32 v20, v12, v9, v11
.LBB316_735:                            ;   in Loop: Header=BB316_424 Depth=1
	s_or_b64 exec, exec, s[20:21]
.LBB316_736:                            ;   in Loop: Header=BB316_424 Depth=1
	s_or_b64 exec, exec, s[18:19]
.LBB316_737:                            ;   in Loop: Header=BB316_424 Depth=1
	s_or_b64 exec, exec, s[16:17]
	v_lshrrev_b32_e32 v9, 16, v17
	v_cmp_ne_u16_sdwa s[0:1], v9, v10 src0_sel:BYTE_0 src1_sel:DWORD
	v_mov_b32_e32 v30, 0
	v_mov_b32_e32 v23, 0
	s_and_saveexec_b64 s[16:17], s[0:1]
	s_cbranch_execz .LBB316_743
; %bb.738:                              ;   in Loop: Header=BB316_424 Depth=1
	v_cmp_ne_u16_sdwa s[0:1], v9, s28 src0_sel:BYTE_0 src1_sel:DWORD
	v_bfrev_b32_e32 v23, 1
	s_and_saveexec_b64 s[18:19], s[0:1]
	s_cbranch_execz .LBB316_742
; %bb.739:                              ;   in Loop: Header=BB316_424 Depth=1
	v_bfe_u32 v11, v17, 16, 7
	v_cmp_ne_u32_e64 s[0:1], s29, v11
	v_mov_b32_e32 v23, 0x7f800001
	s_and_saveexec_b64 s[20:21], s[0:1]
	s_cbranch_execz .LBB316_741
; %bb.740:                              ;   in Loop: Header=BB316_424 Depth=1
	v_and_b32_e32 v19, 7, v9
	v_lshrrev_b32_e32 v21, 3, v11
	v_cmp_gt_u32_e64 s[0:1], 8, v11
	v_ffbh_u32_e32 v11, v19
	v_min_u32_e32 v22, 32, v11
	v_subrev_u32_e32 v11, 28, v22
	v_lshlrev_b64 v[11:12], v11, v[9:10]
	v_sub_u32_e32 v12, 29, v22
	v_and_b32_e32 v11, 7, v11
	v_cndmask_b32_e64 v12, v21, v12, s[0:1]
	v_cndmask_b32_e64 v11, v19, v11, s[0:1]
	v_lshlrev_b32_e32 v9, 24, v9
	v_bfrev_b32_e32 v19, 60
	v_lshlrev_b32_e32 v11, 20, v11
	v_and_b32_e32 v9, 0x80000000, v9
	v_lshl_add_u32 v12, v12, 23, v19
	v_or3_b32 v23, v9, v12, v11
.LBB316_741:                            ;   in Loop: Header=BB316_424 Depth=1
	s_or_b64 exec, exec, s[20:21]
.LBB316_742:                            ;   in Loop: Header=BB316_424 Depth=1
	s_or_b64 exec, exec, s[18:19]
.LBB316_743:                            ;   in Loop: Header=BB316_424 Depth=1
	s_or_b64 exec, exec, s[16:17]
	v_cmp_lt_u32_e64 s[0:1], s5, v17
	s_and_saveexec_b64 s[16:17], s[0:1]
	s_cbranch_execz .LBB316_749
; %bb.744:                              ;   in Loop: Header=BB316_424 Depth=1
	v_lshrrev_b32_e32 v9, 24, v17
	v_cmp_ne_u32_e64 s[0:1], s28, v9
	v_bfrev_b32_e32 v30, 1
	s_and_saveexec_b64 s[18:19], s[0:1]
	s_cbranch_execz .LBB316_748
; %bb.745:                              ;   in Loop: Header=BB316_424 Depth=1
	v_bfe_u32 v11, v17, 24, 7
	v_cmp_ne_u32_e64 s[0:1], s29, v11
	v_mov_b32_e32 v30, 0x7f800001
	s_and_saveexec_b64 s[20:21], s[0:1]
	s_cbranch_execz .LBB316_747
; %bb.746:                              ;   in Loop: Header=BB316_424 Depth=1
	v_and_b32_e32 v19, 7, v9
	v_lshrrev_b32_e32 v21, 3, v11
	v_cmp_gt_u32_e64 s[0:1], 8, v11
	v_ffbh_u32_e32 v11, v19
	v_min_u32_e32 v22, 32, v11
	v_subrev_u32_e32 v11, 28, v22
	v_lshlrev_b64 v[11:12], v11, v[9:10]
	v_sub_u32_e32 v12, 29, v22
	v_and_b32_e32 v11, 7, v11
	v_cndmask_b32_e64 v12, v21, v12, s[0:1]
	v_cndmask_b32_e64 v11, v19, v11, s[0:1]
	v_lshlrev_b32_e32 v9, 24, v9
	v_bfrev_b32_e32 v19, 60
	v_lshlrev_b32_e32 v11, 20, v11
	v_and_b32_e32 v9, 0x80000000, v9
	v_lshl_add_u32 v12, v12, 23, v19
	v_or3_b32 v30, v9, v12, v11
.LBB316_747:                            ;   in Loop: Header=BB316_424 Depth=1
	s_or_b64 exec, exec, s[20:21]
.LBB316_748:                            ;   in Loop: Header=BB316_424 Depth=1
	s_or_b64 exec, exec, s[18:19]
.LBB316_749:                            ;   in Loop: Header=BB316_424 Depth=1
	s_or_b64 exec, exec, s[16:17]
	v_mov_b32_e32 v9, v18
	v_cmp_ne_u16_sdwa s[0:1], v18, v10 src0_sel:BYTE_0 src1_sel:DWORD
	v_mov_b32_e32 v34, 0
	v_mov_b32_e32 v33, 0
	s_and_saveexec_b64 s[16:17], s[0:1]
	s_cbranch_execz .LBB316_755
; %bb.750:                              ;   in Loop: Header=BB316_424 Depth=1
	v_cmp_ne_u16_sdwa s[0:1], v18, s28 src0_sel:BYTE_0 src1_sel:DWORD
	v_bfrev_b32_e32 v33, 1
	s_and_saveexec_b64 s[18:19], s[0:1]
	s_cbranch_execz .LBB316_754
; %bb.751:                              ;   in Loop: Header=BB316_424 Depth=1
	v_and_b32_e32 v11, 0x7f, v18
	v_cmp_ne_u32_e64 s[0:1], s29, v11
	v_mov_b32_e32 v33, 0x7f800001
	s_and_saveexec_b64 s[20:21], s[0:1]
	s_cbranch_execz .LBB316_753
; %bb.752:                              ;   in Loop: Header=BB316_424 Depth=1
	v_and_b32_e32 v12, 7, v18
	v_lshrrev_b32_e32 v19, 3, v11
	v_cmp_gt_u32_e64 s[0:1], 8, v11
	v_ffbh_u32_e32 v11, v12
	v_min_u32_e32 v11, 32, v11
	v_subrev_u32_e32 v12, 28, v11
	v_sub_u32_e32 v11, 29, v11
	v_cndmask_b32_e64 v19, v19, v11, s[0:1]
	v_cndmask_b32_e64 v11, 0, v12, s[0:1]
	v_lshlrev_b64 v[11:12], v11, v[9:10]
	v_lshlrev_b32_e32 v12, 24, v9
	v_lshlrev_b32_e32 v11, 20, v11
	v_bfrev_b32_e32 v21, 60
	v_and_b32_e32 v11, 0x700000, v11
	v_and_b32_e32 v12, 0x80000000, v12
	v_lshl_add_u32 v19, v19, 23, v21
	v_or3_b32 v33, v12, v19, v11
.LBB316_753:                            ;   in Loop: Header=BB316_424 Depth=1
	s_or_b64 exec, exec, s[20:21]
.LBB316_754:                            ;   in Loop: Header=BB316_424 Depth=1
	s_or_b64 exec, exec, s[18:19]
.LBB316_755:                            ;   in Loop: Header=BB316_424 Depth=1
	s_or_b64 exec, exec, s[16:17]
	v_lshrrev_b16_e32 v19, 8, v9
	v_cmp_ne_u16_e64 s[0:1], 0, v19
	s_and_saveexec_b64 s[16:17], s[0:1]
	s_cbranch_execz .LBB316_761
; %bb.756:                              ;   in Loop: Header=BB316_424 Depth=1
	v_cmp_ne_u16_e64 s[0:1], s28, v19
	v_bfrev_b32_e32 v34, 1
	s_and_saveexec_b64 s[18:19], s[0:1]
	s_cbranch_execz .LBB316_760
; %bb.757:                              ;   in Loop: Header=BB316_424 Depth=1
	v_and_b32_e32 v11, 0x7f, v19
	v_cmp_ne_u32_e64 s[0:1], s29, v11
	v_mov_b32_e32 v34, 0x7f800001
	s_and_saveexec_b64 s[20:21], s[0:1]
	s_cbranch_execz .LBB316_759
; %bb.758:                              ;   in Loop: Header=BB316_424 Depth=1
	v_and_b32_e32 v21, 7, v19
	v_lshrrev_b32_e32 v22, 3, v11
	v_cmp_gt_u32_e64 s[0:1], 8, v11
	v_ffbh_u32_e32 v11, v21
	v_min_u32_e32 v34, 32, v11
	v_subrev_u32_e32 v11, 28, v34
	v_lshlrev_b64 v[11:12], v11, v[19:20]
	v_sub_u32_e32 v12, 29, v34
	v_and_b32_e32 v11, 7, v11
	v_cndmask_b32_e64 v12, v22, v12, s[0:1]
	v_cndmask_b32_e64 v11, v21, v11, s[0:1]
	v_lshlrev_b32_e32 v9, 16, v9
	v_bfrev_b32_e32 v19, 60
	v_lshlrev_b32_e32 v11, 20, v11
	v_and_b32_e32 v9, 0x80000000, v9
	v_lshl_add_u32 v12, v12, 23, v19
	v_or3_b32 v34, v9, v12, v11
.LBB316_759:                            ;   in Loop: Header=BB316_424 Depth=1
	s_or_b64 exec, exec, s[20:21]
.LBB316_760:                            ;   in Loop: Header=BB316_424 Depth=1
	s_or_b64 exec, exec, s[18:19]
.LBB316_761:                            ;   in Loop: Header=BB316_424 Depth=1
	s_or_b64 exec, exec, s[16:17]
	v_lshrrev_b32_e32 v9, 16, v18
	v_cmp_ne_u16_sdwa s[0:1], v9, v10 src0_sel:BYTE_0 src1_sel:DWORD
	v_mov_b32_e32 v54, 0
	v_mov_b32_e32 v11, 0
	s_and_saveexec_b64 s[16:17], s[0:1]
	s_cbranch_execz .LBB316_767
; %bb.762:                              ;   in Loop: Header=BB316_424 Depth=1
	v_cmp_ne_u16_sdwa s[0:1], v9, s28 src0_sel:BYTE_0 src1_sel:DWORD
	v_bfrev_b32_e32 v11, 1
	s_and_saveexec_b64 s[18:19], s[0:1]
	s_cbranch_execz .LBB316_766
; %bb.763:                              ;   in Loop: Header=BB316_424 Depth=1
	v_bfe_u32 v19, v18, 16, 7
	v_cmp_ne_u32_e64 s[0:1], s29, v19
	v_mov_b32_e32 v11, 0x7f800001
	s_and_saveexec_b64 s[20:21], s[0:1]
	s_cbranch_execz .LBB316_765
; %bb.764:                              ;   in Loop: Header=BB316_424 Depth=1
	v_and_b32_e32 v21, 7, v9
	v_ffbh_u32_e32 v11, v21
	v_lshrrev_b32_e32 v22, 3, v19
	v_cmp_gt_u32_e64 s[0:1], 8, v19
	v_min_u32_e32 v19, 32, v11
	v_subrev_u32_e32 v11, 28, v19
	v_lshlrev_b64 v[11:12], v11, v[9:10]
	v_sub_u32_e32 v12, 29, v19
	v_and_b32_e32 v11, 7, v11
	v_cndmask_b32_e64 v12, v22, v12, s[0:1]
	v_cndmask_b32_e64 v11, v21, v11, s[0:1]
	v_lshlrev_b32_e32 v9, 24, v9
	v_bfrev_b32_e32 v19, 60
	v_lshlrev_b32_e32 v11, 20, v11
	v_and_b32_e32 v9, 0x80000000, v9
	v_lshl_add_u32 v12, v12, 23, v19
	v_or3_b32 v11, v9, v12, v11
.LBB316_765:                            ;   in Loop: Header=BB316_424 Depth=1
	s_or_b64 exec, exec, s[20:21]
.LBB316_766:                            ;   in Loop: Header=BB316_424 Depth=1
	s_or_b64 exec, exec, s[18:19]
.LBB316_767:                            ;   in Loop: Header=BB316_424 Depth=1
	s_or_b64 exec, exec, s[16:17]
	v_cmp_lt_u64_e64 s[0:1], s[4:5], v[17:18]
	s_and_saveexec_b64 s[16:17], s[0:1]
	s_cbranch_execz .LBB316_773
; %bb.768:                              ;   in Loop: Header=BB316_424 Depth=1
	v_lshrrev_b32_e32 v9, 24, v18
	v_cmp_ne_u32_e64 s[0:1], s28, v9
	v_bfrev_b32_e32 v54, 1
	s_and_saveexec_b64 s[18:19], s[0:1]
	s_cbranch_execz .LBB316_772
; %bb.769:                              ;   in Loop: Header=BB316_424 Depth=1
	v_bfe_u32 v17, v18, 24, 7
	v_cmp_ne_u32_e64 s[0:1], s29, v17
	v_mov_b32_e32 v54, 0x7f800001
	s_and_saveexec_b64 s[20:21], s[0:1]
	s_cbranch_execz .LBB316_771
; %bb.770:                              ;   in Loop: Header=BB316_424 Depth=1
	v_and_b32_e32 v12, 7, v9
	v_lshrrev_b32_e32 v19, 3, v17
	v_cmp_gt_u32_e64 s[0:1], 8, v17
	v_ffbh_u32_e32 v17, v12
	v_min_u32_e32 v21, 32, v17
	v_subrev_u32_e32 v17, 28, v21
	v_lshlrev_b64 v[17:18], v17, v[9:10]
	v_sub_u32_e32 v18, 29, v21
	v_and_b32_e32 v17, 7, v17
	v_cndmask_b32_e64 v18, v19, v18, s[0:1]
	v_cndmask_b32_e64 v12, v12, v17, s[0:1]
	v_lshlrev_b32_e32 v9, 24, v9
	v_bfrev_b32_e32 v17, 60
	v_lshlrev_b32_e32 v12, 20, v12
	v_and_b32_e32 v9, 0x80000000, v9
	v_lshl_add_u32 v17, v18, 23, v17
	v_or3_b32 v54, v9, v17, v12
.LBB316_771:                            ;   in Loop: Header=BB316_424 Depth=1
	s_or_b64 exec, exec, s[20:21]
.LBB316_772:                            ;   in Loop: Header=BB316_424 Depth=1
	s_or_b64 exec, exec, s[18:19]
.LBB316_773:                            ;   in Loop: Header=BB316_424 Depth=1
	s_or_b64 exec, exec, s[16:17]
	v_mul_f32_e32 v9, s31, v34
	v_bfe_u32 v12, v9, 16, 1
	v_add3_u32 v12, v12, v9, s30
	v_or_b32_e32 v17, 0x400000, v9
	v_cmp_u_f32_e64 s[0:1], v9, v9
	v_cndmask_b32_e64 v9, v12, v17, s[0:1]
	v_lshrrev_b32_e32 v19, 16, v9
	v_mul_f32_e32 v9, s31, v33
	v_bfe_u32 v12, v9, 16, 1
	v_add3_u32 v12, v12, v9, s30
	v_or_b32_e32 v17, 0x400000, v9
	v_cmp_u_f32_e64 s[0:1], v9, v9
	v_cndmask_b32_e64 v9, v12, v17, s[0:1]
	v_lshrrev_b32_e32 v18, 16, v9
	;; [unrolled: 7-line block ×4, first 2 shown]
	v_mul_f32_e32 v9, s31, v20
	v_bfe_u32 v12, v9, 16, 1
	v_add3_u32 v12, v12, v9, s30
	v_or_b32_e32 v17, 0x400000, v9
	v_cmp_u_f32_e64 s[0:1], v9, v9
	v_cndmask_b32_e64 v9, v12, v17, s[0:1]
	v_mul_f32_e32 v0, s31, v0
	v_lshrrev_b32_e32 v63, 16, v9
	v_bfe_u32 v9, v0, 16, 1
	v_add3_u32 v9, v9, v0, s30
	v_or_b32_e32 v12, 0x400000, v0
	v_cmp_u_f32_e64 s[0:1], v0, v0
	v_cndmask_b32_e64 v0, v9, v12, s[0:1]
	v_lshrrev_b32_e32 v62, 16, v0
	v_mul_f32_e32 v0, s31, v11
	v_bfe_u32 v9, v0, 16, 1
	v_add3_u32 v9, v9, v0, s30
	v_or_b32_e32 v11, 0x400000, v0
	v_cmp_u_f32_e64 s[0:1], v0, v0
	v_cndmask_b32_e64 v0, v9, v11, s[0:1]
	v_lshrrev_b32_e32 v51, 16, v0
	v_mul_f32_e32 v0, s31, v54
	v_bfe_u32 v9, v0, 16, 1
	v_add3_u32 v9, v9, v0, s30
	v_or_b32_e32 v11, 0x400000, v0
	v_cmp_u_f32_e64 s[0:1], v0, v0
	v_cndmask_b32_e64 v0, v9, v11, s[0:1]
	v_lshrrev_b32_e32 v54, 16, v0
	s_and_saveexec_b64 s[16:17], vcc
	s_cbranch_execz .LBB316_775
; %bb.774:                              ;   in Loop: Header=BB316_424 Depth=1
	v_cmp_gt_i32_e64 s[0:1], s33, v52
	v_cndmask_b32_e64 v62, 0, v62, s[0:1]
	v_cmp_gt_i32_e64 s[0:1], s33, v61
	v_cndmask_b32_e64 v63, 0, v63, s[0:1]
	;; [unrolled: 2-line block ×8, first 2 shown]
.LBB316_775:                            ;   in Loop: Header=BB316_424 Depth=1
	s_or_b64 exec, exec, s[16:17]
	global_load_dwordx2 v[15:16], v[15:16], off offset:3584
	v_mov_b32_e32 v23, 0
	v_mov_b32_e32 v0, 0
	s_waitcnt vmcnt(0)
	v_cmp_ne_u16_sdwa s[0:1], v15, v10 src0_sel:BYTE_0 src1_sel:DWORD
	s_and_saveexec_b64 s[16:17], s[0:1]
	s_cbranch_execz .LBB316_781
; %bb.776:                              ;   in Loop: Header=BB316_424 Depth=1
	v_cmp_ne_u16_sdwa s[0:1], v15, s28 src0_sel:BYTE_0 src1_sel:DWORD
	v_bfrev_b32_e32 v0, 1
	s_and_saveexec_b64 s[18:19], s[0:1]
	s_cbranch_execz .LBB316_780
; %bb.777:                              ;   in Loop: Header=BB316_424 Depth=1
	v_and_b32_e32 v9, 0x7f, v15
	v_cmp_ne_u32_e64 s[0:1], s29, v9
	v_mov_b32_e32 v0, 0x7f800001
	s_and_saveexec_b64 s[20:21], s[0:1]
	s_cbranch_execz .LBB316_779
; %bb.778:                              ;   in Loop: Header=BB316_424 Depth=1
	v_and_b32_e32 v0, 7, v15
	v_ffbh_u32_e32 v0, v0
	v_min_u32_e32 v0, 32, v0
	v_lshrrev_b32_e32 v11, 3, v9
	v_cmp_gt_u32_e64 s[0:1], 8, v9
	v_subrev_u32_e32 v9, 28, v0
	v_sub_u32_e32 v0, 29, v0
	v_cndmask_b32_e64 v9, 0, v9, s[0:1]
	v_cndmask_b32_e64 v0, v11, v0, s[0:1]
	v_lshlrev_b64 v[11:12], v9, v[15:16]
	v_bfrev_b32_e32 v12, 60
	v_lshlrev_b32_e32 v9, 20, v11
	v_lshlrev_b32_e32 v11, 24, v15
	v_and_b32_e32 v9, 0x700000, v9
	v_and_b32_e32 v11, 0x80000000, v11
	v_lshl_add_u32 v0, v0, 23, v12
	v_or3_b32 v0, v11, v0, v9
.LBB316_779:                            ;   in Loop: Header=BB316_424 Depth=1
	s_or_b64 exec, exec, s[20:21]
.LBB316_780:                            ;   in Loop: Header=BB316_424 Depth=1
	s_or_b64 exec, exec, s[18:19]
.LBB316_781:                            ;   in Loop: Header=BB316_424 Depth=1
	s_or_b64 exec, exec, s[16:17]
	v_lshrrev_b16_e32 v9, 8, v15
	v_cmp_ne_u16_e64 s[0:1], 0, v9
	s_and_saveexec_b64 s[16:17], s[0:1]
	s_cbranch_execz .LBB316_787
; %bb.782:                              ;   in Loop: Header=BB316_424 Depth=1
	v_cmp_ne_u16_e64 s[0:1], s28, v9
	v_bfrev_b32_e32 v23, 1
	s_and_saveexec_b64 s[18:19], s[0:1]
	s_cbranch_execz .LBB316_786
; %bb.783:                              ;   in Loop: Header=BB316_424 Depth=1
	v_and_b32_e32 v11, 0x7f, v9
	v_cmp_ne_u32_e64 s[0:1], s29, v11
	v_mov_b32_e32 v23, 0x7f800001
	s_and_saveexec_b64 s[20:21], s[0:1]
	s_cbranch_execz .LBB316_785
; %bb.784:                              ;   in Loop: Header=BB316_424 Depth=1
	v_and_b32_e32 v17, 7, v9
	v_lshrrev_b32_e32 v20, 3, v11
	v_cmp_gt_u32_e64 s[0:1], 8, v11
	v_ffbh_u32_e32 v11, v17
	v_min_u32_e32 v21, 32, v11
	v_subrev_u32_e32 v11, 28, v21
	v_lshlrev_b64 v[11:12], v11, v[9:10]
	v_sub_u32_e32 v9, 29, v21
	v_and_b32_e32 v11, 7, v11
	v_cndmask_b32_e64 v9, v20, v9, s[0:1]
	v_cndmask_b32_e64 v11, v17, v11, s[0:1]
	v_lshlrev_b32_e32 v12, 16, v15
	v_bfrev_b32_e32 v17, 60
	v_lshlrev_b32_e32 v11, 20, v11
	v_and_b32_e32 v12, 0x80000000, v12
	v_lshl_add_u32 v9, v9, 23, v17
	v_or3_b32 v23, v12, v9, v11
.LBB316_785:                            ;   in Loop: Header=BB316_424 Depth=1
	s_or_b64 exec, exec, s[20:21]
.LBB316_786:                            ;   in Loop: Header=BB316_424 Depth=1
	s_or_b64 exec, exec, s[18:19]
.LBB316_787:                            ;   in Loop: Header=BB316_424 Depth=1
	s_or_b64 exec, exec, s[16:17]
	v_lshrrev_b32_e32 v9, 16, v15
	v_cmp_ne_u16_sdwa s[0:1], v9, v10 src0_sel:BYTE_0 src1_sel:DWORD
	v_mov_b32_e32 v30, 0
	v_mov_b32_e32 v20, 0
	s_and_saveexec_b64 s[16:17], s[0:1]
	s_cbranch_execz .LBB316_793
; %bb.788:                              ;   in Loop: Header=BB316_424 Depth=1
	v_cmp_ne_u16_sdwa s[0:1], v9, s28 src0_sel:BYTE_0 src1_sel:DWORD
	v_bfrev_b32_e32 v20, 1
	s_and_saveexec_b64 s[18:19], s[0:1]
	s_cbranch_execz .LBB316_792
; %bb.789:                              ;   in Loop: Header=BB316_424 Depth=1
	v_bfe_u32 v11, v15, 16, 7
	v_cmp_ne_u32_e64 s[0:1], s29, v11
	v_mov_b32_e32 v20, 0x7f800001
	s_and_saveexec_b64 s[20:21], s[0:1]
	s_cbranch_execz .LBB316_791
; %bb.790:                              ;   in Loop: Header=BB316_424 Depth=1
	v_and_b32_e32 v17, 7, v9
	v_lshrrev_b32_e32 v20, 3, v11
	v_cmp_gt_u32_e64 s[0:1], 8, v11
	v_ffbh_u32_e32 v11, v17
	v_min_u32_e32 v21, 32, v11
	v_subrev_u32_e32 v11, 28, v21
	v_lshlrev_b64 v[11:12], v11, v[9:10]
	v_sub_u32_e32 v12, 29, v21
	v_and_b32_e32 v11, 7, v11
	v_cndmask_b32_e64 v12, v20, v12, s[0:1]
	v_cndmask_b32_e64 v11, v17, v11, s[0:1]
	v_lshlrev_b32_e32 v9, 24, v9
	v_bfrev_b32_e32 v17, 60
	v_lshlrev_b32_e32 v11, 20, v11
	v_and_b32_e32 v9, 0x80000000, v9
	v_lshl_add_u32 v12, v12, 23, v17
	v_or3_b32 v20, v9, v12, v11
.LBB316_791:                            ;   in Loop: Header=BB316_424 Depth=1
	s_or_b64 exec, exec, s[20:21]
.LBB316_792:                            ;   in Loop: Header=BB316_424 Depth=1
	s_or_b64 exec, exec, s[18:19]
.LBB316_793:                            ;   in Loop: Header=BB316_424 Depth=1
	s_or_b64 exec, exec, s[16:17]
	v_cmp_lt_u32_e64 s[0:1], s5, v15
	s_and_saveexec_b64 s[16:17], s[0:1]
	s_cbranch_execz .LBB316_799
; %bb.794:                              ;   in Loop: Header=BB316_424 Depth=1
	v_lshrrev_b32_e32 v9, 24, v15
	v_cmp_ne_u32_e64 s[0:1], s28, v9
	v_bfrev_b32_e32 v30, 1
	s_and_saveexec_b64 s[18:19], s[0:1]
	s_cbranch_execz .LBB316_798
; %bb.795:                              ;   in Loop: Header=BB316_424 Depth=1
	v_bfe_u32 v11, v15, 24, 7
	v_cmp_ne_u32_e64 s[0:1], s29, v11
	v_mov_b32_e32 v30, 0x7f800001
	s_and_saveexec_b64 s[20:21], s[0:1]
	s_cbranch_execz .LBB316_797
; %bb.796:                              ;   in Loop: Header=BB316_424 Depth=1
	v_and_b32_e32 v17, 7, v9
	v_lshrrev_b32_e32 v21, 3, v11
	v_cmp_gt_u32_e64 s[0:1], 8, v11
	v_ffbh_u32_e32 v11, v17
	v_min_u32_e32 v22, 32, v11
	v_subrev_u32_e32 v11, 28, v22
	v_lshlrev_b64 v[11:12], v11, v[9:10]
	v_sub_u32_e32 v12, 29, v22
	v_and_b32_e32 v11, 7, v11
	v_cndmask_b32_e64 v12, v21, v12, s[0:1]
	v_cndmask_b32_e64 v11, v17, v11, s[0:1]
	v_lshlrev_b32_e32 v9, 24, v9
	v_bfrev_b32_e32 v17, 60
	v_lshlrev_b32_e32 v11, 20, v11
	v_and_b32_e32 v9, 0x80000000, v9
	v_lshl_add_u32 v12, v12, 23, v17
	v_or3_b32 v30, v9, v12, v11
.LBB316_797:                            ;   in Loop: Header=BB316_424 Depth=1
	s_or_b64 exec, exec, s[20:21]
.LBB316_798:                            ;   in Loop: Header=BB316_424 Depth=1
	s_or_b64 exec, exec, s[18:19]
.LBB316_799:                            ;   in Loop: Header=BB316_424 Depth=1
	s_or_b64 exec, exec, s[16:17]
	v_mov_b32_e32 v9, v16
	v_cmp_ne_u16_sdwa s[0:1], v16, v10 src0_sel:BYTE_0 src1_sel:DWORD
	v_mov_b32_e32 v34, 0
	v_mov_b32_e32 v33, 0
	s_and_saveexec_b64 s[16:17], s[0:1]
	s_cbranch_execz .LBB316_805
; %bb.800:                              ;   in Loop: Header=BB316_424 Depth=1
	v_cmp_ne_u16_sdwa s[0:1], v16, s28 src0_sel:BYTE_0 src1_sel:DWORD
	v_bfrev_b32_e32 v33, 1
	s_and_saveexec_b64 s[18:19], s[0:1]
	s_cbranch_execz .LBB316_804
; %bb.801:                              ;   in Loop: Header=BB316_424 Depth=1
	v_and_b32_e32 v11, 0x7f, v16
	v_cmp_ne_u32_e64 s[0:1], s29, v11
	v_mov_b32_e32 v33, 0x7f800001
	s_and_saveexec_b64 s[20:21], s[0:1]
	s_cbranch_execz .LBB316_803
; %bb.802:                              ;   in Loop: Header=BB316_424 Depth=1
	v_and_b32_e32 v12, 7, v16
	v_lshrrev_b32_e32 v17, 3, v11
	v_cmp_gt_u32_e64 s[0:1], 8, v11
	v_ffbh_u32_e32 v11, v12
	v_min_u32_e32 v11, 32, v11
	v_subrev_u32_e32 v12, 28, v11
	v_sub_u32_e32 v11, 29, v11
	v_cndmask_b32_e64 v17, v17, v11, s[0:1]
	v_cndmask_b32_e64 v11, 0, v12, s[0:1]
	v_lshlrev_b64 v[11:12], v11, v[9:10]
	v_lshlrev_b32_e32 v12, 24, v9
	v_lshlrev_b32_e32 v11, 20, v11
	v_bfrev_b32_e32 v21, 60
	v_and_b32_e32 v11, 0x700000, v11
	v_and_b32_e32 v12, 0x80000000, v12
	v_lshl_add_u32 v17, v17, 23, v21
	v_or3_b32 v33, v12, v17, v11
.LBB316_803:                            ;   in Loop: Header=BB316_424 Depth=1
	s_or_b64 exec, exec, s[20:21]
.LBB316_804:                            ;   in Loop: Header=BB316_424 Depth=1
	s_or_b64 exec, exec, s[18:19]
.LBB316_805:                            ;   in Loop: Header=BB316_424 Depth=1
	s_or_b64 exec, exec, s[16:17]
	v_lshrrev_b16_e32 v17, 8, v9
	v_cmp_ne_u16_e64 s[0:1], 0, v17
	s_and_saveexec_b64 s[16:17], s[0:1]
	s_cbranch_execz .LBB316_811
; %bb.806:                              ;   in Loop: Header=BB316_424 Depth=1
	v_cmp_ne_u16_e64 s[0:1], s28, v17
	v_bfrev_b32_e32 v34, 1
	s_and_saveexec_b64 s[18:19], s[0:1]
	s_cbranch_execz .LBB316_810
; %bb.807:                              ;   in Loop: Header=BB316_424 Depth=1
	v_and_b32_e32 v11, 0x7f, v17
	v_cmp_ne_u32_e64 s[0:1], s29, v11
	v_mov_b32_e32 v34, 0x7f800001
	s_and_saveexec_b64 s[20:21], s[0:1]
	s_cbranch_execz .LBB316_809
; %bb.808:                              ;   in Loop: Header=BB316_424 Depth=1
	v_and_b32_e32 v21, 7, v17
	v_lshrrev_b32_e32 v22, 3, v11
	v_cmp_gt_u32_e64 s[0:1], 8, v11
	v_ffbh_u32_e32 v11, v21
	v_min_u32_e32 v34, 32, v11
	v_subrev_u32_e32 v11, 28, v34
	v_lshlrev_b64 v[11:12], v11, v[17:18]
	v_sub_u32_e32 v12, 29, v34
	v_and_b32_e32 v11, 7, v11
	v_cndmask_b32_e64 v12, v22, v12, s[0:1]
	v_cndmask_b32_e64 v11, v21, v11, s[0:1]
	v_lshlrev_b32_e32 v9, 16, v9
	v_bfrev_b32_e32 v17, 60
	v_lshlrev_b32_e32 v11, 20, v11
	v_and_b32_e32 v9, 0x80000000, v9
	v_lshl_add_u32 v12, v12, 23, v17
	v_or3_b32 v34, v9, v12, v11
.LBB316_809:                            ;   in Loop: Header=BB316_424 Depth=1
	s_or_b64 exec, exec, s[20:21]
.LBB316_810:                            ;   in Loop: Header=BB316_424 Depth=1
	s_or_b64 exec, exec, s[18:19]
.LBB316_811:                            ;   in Loop: Header=BB316_424 Depth=1
	s_or_b64 exec, exec, s[16:17]
	v_lshrrev_b32_e32 v9, 16, v16
	v_cmp_ne_u16_sdwa s[0:1], v9, v10 src0_sel:BYTE_0 src1_sel:DWORD
	v_mov_b32_e32 v11, 0
	v_mov_b32_e32 v17, 0
	s_and_saveexec_b64 s[16:17], s[0:1]
	s_cbranch_execz .LBB316_817
; %bb.812:                              ;   in Loop: Header=BB316_424 Depth=1
	v_cmp_ne_u16_sdwa s[0:1], v9, s28 src0_sel:BYTE_0 src1_sel:DWORD
	v_bfrev_b32_e32 v17, 1
	s_and_saveexec_b64 s[18:19], s[0:1]
	s_cbranch_execz .LBB316_816
; %bb.813:                              ;   in Loop: Header=BB316_424 Depth=1
	v_bfe_u32 v12, v16, 16, 7
	v_cmp_ne_u32_e64 s[0:1], s29, v12
	v_mov_b32_e32 v17, 0x7f800001
	s_and_saveexec_b64 s[20:21], s[0:1]
	s_cbranch_execz .LBB316_815
; %bb.814:                              ;   in Loop: Header=BB316_424 Depth=1
	v_and_b32_e32 v17, 7, v9
	v_lshrrev_b32_e32 v35, 3, v12
	v_cmp_gt_u32_e64 s[0:1], 8, v12
	v_ffbh_u32_e32 v12, v17
	v_min_u32_e32 v12, 32, v12
	v_subrev_u32_e32 v21, 28, v12
	v_lshlrev_b64 v[21:22], v21, v[9:10]
	v_sub_u32_e32 v12, 29, v12
	v_and_b32_e32 v21, 7, v21
	v_cndmask_b32_e64 v12, v35, v12, s[0:1]
	v_cndmask_b32_e64 v17, v17, v21, s[0:1]
	v_lshlrev_b32_e32 v9, 24, v9
	v_bfrev_b32_e32 v21, 60
	v_lshlrev_b32_e32 v17, 20, v17
	v_and_b32_e32 v9, 0x80000000, v9
	v_lshl_add_u32 v12, v12, 23, v21
	v_or3_b32 v17, v9, v12, v17
.LBB316_815:                            ;   in Loop: Header=BB316_424 Depth=1
	s_or_b64 exec, exec, s[20:21]
.LBB316_816:                            ;   in Loop: Header=BB316_424 Depth=1
	s_or_b64 exec, exec, s[18:19]
.LBB316_817:                            ;   in Loop: Header=BB316_424 Depth=1
	s_or_b64 exec, exec, s[16:17]
	v_cmp_lt_u64_e64 s[0:1], s[4:5], v[15:16]
	s_and_saveexec_b64 s[16:17], s[0:1]
	s_cbranch_execz .LBB316_823
; %bb.818:                              ;   in Loop: Header=BB316_424 Depth=1
	v_lshrrev_b32_e32 v9, 24, v16
	v_cmp_ne_u32_e64 s[0:1], s28, v9
	v_bfrev_b32_e32 v11, 1
	s_and_saveexec_b64 s[18:19], s[0:1]
	s_cbranch_execz .LBB316_822
; %bb.819:                              ;   in Loop: Header=BB316_424 Depth=1
	v_bfe_u32 v12, v16, 24, 7
	v_cmp_ne_u32_e64 s[0:1], s29, v12
	v_mov_b32_e32 v11, 0x7f800001
	s_and_saveexec_b64 s[20:21], s[0:1]
	s_cbranch_execz .LBB316_821
; %bb.820:                              ;   in Loop: Header=BB316_424 Depth=1
	v_and_b32_e32 v15, 7, v9
	v_ffbh_u32_e32 v11, v15
	v_min_u32_e32 v21, 32, v11
	v_subrev_u32_e32 v11, 28, v21
	v_lshrrev_b32_e32 v16, 3, v12
	v_cmp_gt_u32_e64 s[0:1], 8, v12
	v_lshlrev_b64 v[11:12], v11, v[9:10]
	v_sub_u32_e32 v12, 29, v21
	v_and_b32_e32 v11, 7, v11
	v_cndmask_b32_e64 v12, v16, v12, s[0:1]
	v_cndmask_b32_e64 v11, v15, v11, s[0:1]
	v_lshlrev_b32_e32 v9, 24, v9
	v_bfrev_b32_e32 v15, 60
	v_lshlrev_b32_e32 v11, 20, v11
	v_and_b32_e32 v9, 0x80000000, v9
	v_lshl_add_u32 v12, v12, 23, v15
	v_or3_b32 v11, v9, v12, v11
.LBB316_821:                            ;   in Loop: Header=BB316_424 Depth=1
	s_or_b64 exec, exec, s[20:21]
.LBB316_822:                            ;   in Loop: Header=BB316_424 Depth=1
	s_or_b64 exec, exec, s[18:19]
.LBB316_823:                            ;   in Loop: Header=BB316_424 Depth=1
	s_or_b64 exec, exec, s[16:17]
	v_mul_f32_e32 v9, s31, v34
	v_bfe_u32 v12, v9, 16, 1
	v_add3_u32 v12, v12, v9, s30
	v_or_b32_e32 v15, 0x400000, v9
	v_cmp_u_f32_e64 s[0:1], v9, v9
	v_cndmask_b32_e64 v9, v12, v15, s[0:1]
	v_mul_f32_e32 v12, s31, v33
	v_bfe_u32 v15, v12, 16, 1
	v_add3_u32 v15, v15, v12, s30
	v_or_b32_e32 v16, 0x400000, v12
	v_cmp_u_f32_e64 s[0:1], v12, v12
	v_cndmask_b32_e64 v12, v15, v16, s[0:1]
	v_lshrrev_b32_e32 v15, 16, v12
	v_mul_f32_e32 v12, s31, v30
	v_bfe_u32 v16, v12, 16, 1
	v_add3_u32 v16, v16, v12, s30
	v_or_b32_e32 v21, 0x400000, v12
	v_cmp_u_f32_e64 s[0:1], v12, v12
	v_cndmask_b32_e64 v12, v16, v21, s[0:1]
	v_lshrrev_b32_e32 v16, 16, v12
	;; [unrolled: 7-line block ×3, first 2 shown]
	v_mul_f32_e32 v12, s31, v23
	v_bfe_u32 v21, v12, 16, 1
	v_add3_u32 v21, v21, v12, s30
	v_or_b32_e32 v22, 0x400000, v12
	v_cmp_u_f32_e64 s[0:1], v12, v12
	v_cndmask_b32_e64 v12, v21, v22, s[0:1]
	v_mul_f32_e32 v0, s31, v0
	v_lshrrev_b32_e32 v30, 16, v12
	v_bfe_u32 v12, v0, 16, 1
	v_add3_u32 v12, v12, v0, s30
	v_or_b32_e32 v21, 0x400000, v0
	v_cmp_u_f32_e64 s[0:1], v0, v0
	v_cndmask_b32_e64 v0, v12, v21, s[0:1]
	v_mul_f32_e32 v12, s31, v17
	v_bfe_u32 v17, v12, 16, 1
	v_add3_u32 v17, v17, v12, s30
	v_or_b32_e32 v21, 0x400000, v12
	v_cmp_u_f32_e64 s[0:1], v12, v12
	v_cndmask_b32_e64 v12, v17, v21, s[0:1]
	v_mul_f32_e32 v11, s31, v11
	v_lshrrev_b32_e32 v17, 16, v12
	v_bfe_u32 v12, v11, 16, 1
	v_add3_u32 v12, v12, v11, s30
	v_or_b32_e32 v21, 0x400000, v11
	v_cmp_u_f32_e64 s[0:1], v11, v11
	v_cndmask_b32_e64 v11, v12, v21, s[0:1]
	v_lshrrev_b32_e32 v9, 16, v9
	v_lshrrev_b32_e32 v0, 16, v0
	;; [unrolled: 1-line block ×3, first 2 shown]
	s_and_saveexec_b64 s[0:1], vcc
	s_cbranch_execz .LBB316_422
; %bb.824:                              ;   in Loop: Header=BB316_424 Depth=1
	v_cmp_gt_i32_e32 vcc, s33, v52
	v_cndmask_b32_e32 v0, 0, v0, vcc
	v_cmp_gt_i32_e32 vcc, s33, v61
	v_cndmask_b32_e32 v30, 0, v30, vcc
	;; [unrolled: 2-line block ×8, first 2 shown]
	s_branch .LBB316_422
.LBB316_825:
	s_or_b64 exec, exec, s[6:7]
	buffer_load_dword v15, off, s[60:63], 0 offset:200 ; 4-byte Folded Reload
	buffer_load_dword v14, off, s[60:63], 0 offset:204 ; 4-byte Folded Reload
	;; [unrolled: 1-line block ×11, first 2 shown]
.LBB316_826:
	s_or_b64 exec, exec, s[2:3]
	s_waitcnt vmcnt(1)
	ds_bpermute_b32 v0, v14, v3
	s_waitcnt vmcnt(0)
	ds_bpermute_b32 v1, v14, v5
	ds_bpermute_b32 v2, v14, v4
	;; [unrolled: 1-line block ×3, first 2 shown]
	s_waitcnt lgkmcnt(0)
	v_add_f32_e32 v0, v3, v0
	ds_bpermute_b32 v3, v16, v0
	v_add_f32_e32 v1, v5, v1
	v_add_f32_e32 v6, v4, v2
	ds_bpermute_b32 v5, v16, v1
	ds_bpermute_b32 v7, v16, v6
	s_waitcnt lgkmcnt(2)
	v_add_f32_e32 v4, v0, v3
	ds_bpermute_b32 v0, v14, v9
	v_add_f32_e32 v3, v11, v8
	s_waitcnt lgkmcnt(2)
	v_add_f32_e32 v2, v1, v5
	s_waitcnt lgkmcnt(1)
	v_add_f32_e32 v1, v6, v7
	ds_bpermute_b32 v6, v14, v10
	s_waitcnt lgkmcnt(1)
	v_add_f32_e32 v0, v9, v0
	ds_bpermute_b32 v8, v16, v0
	s_waitcnt lgkmcnt(0)
	s_barrier
	v_add_f32_e32 v10, v10, v6
	ds_bpermute_b32 v9, v14, v18
	v_add_f32_e32 v6, v0, v8
	buffer_load_dword v8, off, s[60:63], 0 offset:300 ; 4-byte Folded Reload
	ds_bpermute_b32 v7, v14, v19
	ds_bpermute_b32 v5, v16, v3
	s_waitcnt lgkmcnt(2)
	v_add_f32_e32 v9, v18, v9
	ds_bpermute_b32 v14, v16, v9
	ds_bpermute_b32 v11, v16, v10
	s_waitcnt lgkmcnt(3)
	v_add_f32_e32 v12, v19, v7
	ds_bpermute_b32 v13, v16, v12
	s_waitcnt lgkmcnt(3)
	v_add_f32_e32 v7, v3, v5
	s_waitcnt lgkmcnt(2)
	v_add_f32_e32 v0, v9, v14
	;; [unrolled: 2-line block ×4, first 2 shown]
	s_waitcnt vmcnt(0)
	v_and_b32_e32 v9, 0x3c3, v8
	v_cmp_eq_u32_e32 vcc, 64, v9
	s_and_saveexec_b64 s[0:1], vcc
	s_cbranch_execz .LBB316_828
; %bb.827:
	v_add_u32_e32 v8, 0x110, v15
	ds_write2_b32 v8, v4, v2 offset1:16
	ds_write2_b32 v8, v1, v7 offset0:32 offset1:48
	ds_write2_b32 v8, v6, v5 offset0:64 offset1:80
	;; [unrolled: 1-line block ×3, first 2 shown]
.LBB316_828:
	s_or_b64 exec, exec, s[0:1]
	buffer_load_dword v8, off, s[60:63], 0 offset:300 ; 4-byte Folded Reload
	s_waitcnt vmcnt(0) lgkmcnt(0)
	s_barrier
	v_cmp_gt_u32_e32 vcc, 64, v8
	v_lshrrev_b32_e32 v8, 2, v8
	s_and_saveexec_b64 s[0:1], vcc
	s_cbranch_execz .LBB316_839
; %bb.829:
	v_mov_b32_e32 v10, 0x110
	v_cmp_eq_u32_e32 vcc, 0, v17
	v_lshl_add_u32 v10, v8, 2, v10
	s_and_saveexec_b64 s[2:3], vcc
	s_cbranch_execnz .LBB316_842
; %bb.830:
	s_or_b64 exec, exec, s[2:3]
	s_and_saveexec_b64 s[2:3], vcc
	s_cbranch_execnz .LBB316_843
.LBB316_831:
	s_or_b64 exec, exec, s[2:3]
	s_and_saveexec_b64 s[2:3], vcc
	s_cbranch_execnz .LBB316_844
.LBB316_832:
	s_or_b64 exec, exec, s[2:3]
	s_and_saveexec_b64 s[2:3], vcc
	s_cbranch_execnz .LBB316_845
.LBB316_833:
	s_or_b64 exec, exec, s[2:3]
	s_and_saveexec_b64 s[2:3], vcc
	s_cbranch_execnz .LBB316_846
.LBB316_834:
	s_or_b64 exec, exec, s[2:3]
	s_and_saveexec_b64 s[2:3], vcc
	s_cbranch_execnz .LBB316_847
.LBB316_835:
	s_or_b64 exec, exec, s[2:3]
	s_and_saveexec_b64 s[2:3], vcc
	s_cbranch_execnz .LBB316_848
.LBB316_836:
	s_or_b64 exec, exec, s[2:3]
	s_and_saveexec_b64 s[2:3], vcc
	s_cbranch_execz .LBB316_838
.LBB316_837:
	ds_read_b32 v10, v10 offset:448
	s_waitcnt lgkmcnt(0)
	v_add_f32_e32 v0, v0, v10
.LBB316_838:
	s_or_b64 exec, exec, s[2:3]
.LBB316_839:
	s_or_b64 exec, exec, s[0:1]
	v_cmp_eq_u32_e32 vcc, 0, v9
	s_barrier
	s_and_saveexec_b64 s[0:1], vcc
	s_cbranch_execz .LBB316_841
; %bb.840:
	s_mul_i32 s0, s10, s11
	s_mul_i32 s0, s0, s9
	s_lshl_b32 s0, s0, 7
	s_ashr_i32 s1, s0, 31
	s_lshl_b64 s[0:1], s[0:1], 1
	s_add_u32 s2, s26, s0
	s_mul_i32 s0, s11, s24
	s_addc_u32 s3, s27, s1
	s_ashr_i32 s1, s0, 31
	s_lshl_b64 s[0:1], s[0:1], 1
	s_add_u32 s2, s2, s0
	s_addc_u32 s3, s3, s1
	s_lshl_b32 s0, s8, 7
	s_ashr_i32 s1, s0, 31
	s_lshl_b64 s[0:1], s[0:1], 1
	s_add_u32 s0, s2, s0
	v_bfe_u32 v9, v4, 16, 1
	s_movk_i32 s2, 0x7fff
	v_add3_u32 v9, v9, v4, s2
	v_or_b32_e32 v10, 0x400000, v4
	v_cmp_u_f32_e32 vcc, v4, v4
	s_addc_u32 s1, s3, s1
	v_lshlrev_b32_e32 v8, 1, v8
	v_cndmask_b32_e32 v4, v9, v10, vcc
	global_store_short_d16_hi v8, v4, s[0:1]
	v_bfe_u32 v4, v2, 16, 1
	v_add3_u32 v4, v4, v2, s2
	v_or_b32_e32 v9, 0x400000, v2
	v_cmp_u_f32_e32 vcc, v2, v2
	v_cndmask_b32_e32 v2, v4, v9, vcc
	global_store_short_d16_hi v8, v2, s[0:1] offset:32
	v_bfe_u32 v2, v1, 16, 1
	v_add3_u32 v2, v2, v1, s2
	v_or_b32_e32 v4, 0x400000, v1
	v_cmp_u_f32_e32 vcc, v1, v1
	v_cndmask_b32_e32 v1, v2, v4, vcc
	global_store_short_d16_hi v8, v1, s[0:1] offset:64
	;; [unrolled: 6-line block ×7, first 2 shown]
.LBB316_841:
	s_endpgm
.LBB316_842:
	ds_read_b32 v11, v10
	s_waitcnt lgkmcnt(0)
	v_add_f32_e32 v4, v4, v11
	s_or_b64 exec, exec, s[2:3]
	s_and_saveexec_b64 s[2:3], vcc
	s_cbranch_execz .LBB316_831
.LBB316_843:
	ds_read_b32 v11, v10 offset:64
	s_waitcnt lgkmcnt(0)
	v_add_f32_e32 v2, v2, v11
	s_or_b64 exec, exec, s[2:3]
	s_and_saveexec_b64 s[2:3], vcc
	s_cbranch_execz .LBB316_832
.LBB316_844:
	ds_read_b32 v11, v10 offset:128
	s_waitcnt lgkmcnt(0)
	v_add_f32_e32 v1, v1, v11
	s_or_b64 exec, exec, s[2:3]
	s_and_saveexec_b64 s[2:3], vcc
	s_cbranch_execz .LBB316_833
.LBB316_845:
	ds_read_b32 v11, v10 offset:192
	s_waitcnt lgkmcnt(0)
	v_add_f32_e32 v7, v7, v11
	s_or_b64 exec, exec, s[2:3]
	s_and_saveexec_b64 s[2:3], vcc
	s_cbranch_execz .LBB316_834
.LBB316_846:
	ds_read_b32 v11, v10 offset:256
	s_waitcnt lgkmcnt(0)
	v_add_f32_e32 v6, v6, v11
	s_or_b64 exec, exec, s[2:3]
	s_and_saveexec_b64 s[2:3], vcc
	s_cbranch_execz .LBB316_835
.LBB316_847:
	ds_read_b32 v11, v10 offset:320
	s_waitcnt lgkmcnt(0)
	v_add_f32_e32 v5, v5, v11
	s_or_b64 exec, exec, s[2:3]
	s_and_saveexec_b64 s[2:3], vcc
	s_cbranch_execz .LBB316_836
.LBB316_848:
	ds_read_b32 v11, v10 offset:384
	s_waitcnt lgkmcnt(0)
	v_add_f32_e32 v3, v3, v11
	s_or_b64 exec, exec, s[2:3]
	s_and_saveexec_b64 s[2:3], vcc
	s_cbranch_execnz .LBB316_837
	s_branch .LBB316_838
	.section	.rodata,"a",@progbits
	.p2align	6, 0x0
	.amdhsa_kernel _ZN4vllm25paged_attention_v1_kernelI14__hip_bfloat16hLi128ELi32ELi128ELNS_18Fp8KVCacheDataTypeE1ELb1EEEvPT_PKS3_PKT0_S9_ifPKiSB_iPKfiiiSD_SD_iiiii
		.amdhsa_group_segment_fixed_size 272
		.amdhsa_private_segment_fixed_size 344
		.amdhsa_kernarg_size 384
		.amdhsa_user_sgpr_count 6
		.amdhsa_user_sgpr_private_segment_buffer 1
		.amdhsa_user_sgpr_dispatch_ptr 0
		.amdhsa_user_sgpr_queue_ptr 0
		.amdhsa_user_sgpr_kernarg_segment_ptr 1
		.amdhsa_user_sgpr_dispatch_id 0
		.amdhsa_user_sgpr_flat_scratch_init 0
		.amdhsa_user_sgpr_private_segment_size 0
		.amdhsa_uses_dynamic_stack 0
		.amdhsa_system_sgpr_private_segment_wavefront_offset 1
		.amdhsa_system_sgpr_workgroup_id_x 1
		.amdhsa_system_sgpr_workgroup_id_y 1
		.amdhsa_system_sgpr_workgroup_id_z 1
		.amdhsa_system_sgpr_workgroup_info 0
		.amdhsa_system_vgpr_workitem_id 0
		.amdhsa_next_free_vgpr 64
		.amdhsa_next_free_sgpr 64
		.amdhsa_reserve_vcc 1
		.amdhsa_reserve_flat_scratch 0
		.amdhsa_float_round_mode_32 0
		.amdhsa_float_round_mode_16_64 0
		.amdhsa_float_denorm_mode_32 3
		.amdhsa_float_denorm_mode_16_64 3
		.amdhsa_dx10_clamp 1
		.amdhsa_ieee_mode 1
		.amdhsa_fp16_overflow 0
		.amdhsa_exception_fp_ieee_invalid_op 0
		.amdhsa_exception_fp_denorm_src 0
		.amdhsa_exception_fp_ieee_div_zero 0
		.amdhsa_exception_fp_ieee_overflow 0
		.amdhsa_exception_fp_ieee_underflow 0
		.amdhsa_exception_fp_ieee_inexact 0
		.amdhsa_exception_int_div_zero 0
	.end_amdhsa_kernel
	.section	.text._ZN4vllm25paged_attention_v1_kernelI14__hip_bfloat16hLi128ELi32ELi128ELNS_18Fp8KVCacheDataTypeE1ELb1EEEvPT_PKS3_PKT0_S9_ifPKiSB_iPKfiiiSD_SD_iiiii,"axG",@progbits,_ZN4vllm25paged_attention_v1_kernelI14__hip_bfloat16hLi128ELi32ELi128ELNS_18Fp8KVCacheDataTypeE1ELb1EEEvPT_PKS3_PKT0_S9_ifPKiSB_iPKfiiiSD_SD_iiiii,comdat
.Lfunc_end316:
	.size	_ZN4vllm25paged_attention_v1_kernelI14__hip_bfloat16hLi128ELi32ELi128ELNS_18Fp8KVCacheDataTypeE1ELb1EEEvPT_PKS3_PKT0_S9_ifPKiSB_iPKfiiiSD_SD_iiiii, .Lfunc_end316-_ZN4vllm25paged_attention_v1_kernelI14__hip_bfloat16hLi128ELi32ELi128ELNS_18Fp8KVCacheDataTypeE1ELb1EEEvPT_PKS3_PKT0_S9_ifPKiSB_iPKfiiiSD_SD_iiiii
                                        ; -- End function
	.set _ZN4vllm25paged_attention_v1_kernelI14__hip_bfloat16hLi128ELi32ELi128ELNS_18Fp8KVCacheDataTypeE1ELb1EEEvPT_PKS3_PKT0_S9_ifPKiSB_iPKfiiiSD_SD_iiiii.num_vgpr, 64
	.set _ZN4vllm25paged_attention_v1_kernelI14__hip_bfloat16hLi128ELi32ELi128ELNS_18Fp8KVCacheDataTypeE1ELb1EEEvPT_PKS3_PKT0_S9_ifPKiSB_iPKfiiiSD_SD_iiiii.num_agpr, 0
	.set _ZN4vllm25paged_attention_v1_kernelI14__hip_bfloat16hLi128ELi32ELi128ELNS_18Fp8KVCacheDataTypeE1ELb1EEEvPT_PKS3_PKT0_S9_ifPKiSB_iPKfiiiSD_SD_iiiii.numbered_sgpr, 64
	.set _ZN4vllm25paged_attention_v1_kernelI14__hip_bfloat16hLi128ELi32ELi128ELNS_18Fp8KVCacheDataTypeE1ELb1EEEvPT_PKS3_PKT0_S9_ifPKiSB_iPKfiiiSD_SD_iiiii.num_named_barrier, 0
	.set _ZN4vllm25paged_attention_v1_kernelI14__hip_bfloat16hLi128ELi32ELi128ELNS_18Fp8KVCacheDataTypeE1ELb1EEEvPT_PKS3_PKT0_S9_ifPKiSB_iPKfiiiSD_SD_iiiii.private_seg_size, 344
	.set _ZN4vllm25paged_attention_v1_kernelI14__hip_bfloat16hLi128ELi32ELi128ELNS_18Fp8KVCacheDataTypeE1ELb1EEEvPT_PKS3_PKT0_S9_ifPKiSB_iPKfiiiSD_SD_iiiii.uses_vcc, 1
	.set _ZN4vllm25paged_attention_v1_kernelI14__hip_bfloat16hLi128ELi32ELi128ELNS_18Fp8KVCacheDataTypeE1ELb1EEEvPT_PKS3_PKT0_S9_ifPKiSB_iPKfiiiSD_SD_iiiii.uses_flat_scratch, 0
	.set _ZN4vllm25paged_attention_v1_kernelI14__hip_bfloat16hLi128ELi32ELi128ELNS_18Fp8KVCacheDataTypeE1ELb1EEEvPT_PKS3_PKT0_S9_ifPKiSB_iPKfiiiSD_SD_iiiii.has_dyn_sized_stack, 0
	.set _ZN4vllm25paged_attention_v1_kernelI14__hip_bfloat16hLi128ELi32ELi128ELNS_18Fp8KVCacheDataTypeE1ELb1EEEvPT_PKS3_PKT0_S9_ifPKiSB_iPKfiiiSD_SD_iiiii.has_recursion, 0
	.set _ZN4vllm25paged_attention_v1_kernelI14__hip_bfloat16hLi128ELi32ELi128ELNS_18Fp8KVCacheDataTypeE1ELb1EEEvPT_PKS3_PKT0_S9_ifPKiSB_iPKfiiiSD_SD_iiiii.has_indirect_call, 0
	.section	.AMDGPU.csdata,"",@progbits
; Kernel info:
; codeLenInByte = 43492
; TotalNumSgprs: 68
; NumVgprs: 64
; ScratchSize: 344
; MemoryBound: 0
; FloatMode: 240
; IeeeMode: 1
; LDSByteSize: 272 bytes/workgroup (compile time only)
; SGPRBlocks: 8
; VGPRBlocks: 15
; NumSGPRsForWavesPerEU: 68
; NumVGPRsForWavesPerEU: 64
; Occupancy: 4
; WaveLimiterHint : 1
; COMPUTE_PGM_RSRC2:SCRATCH_EN: 1
; COMPUTE_PGM_RSRC2:USER_SGPR: 6
; COMPUTE_PGM_RSRC2:TRAP_HANDLER: 0
; COMPUTE_PGM_RSRC2:TGID_X_EN: 1
; COMPUTE_PGM_RSRC2:TGID_Y_EN: 1
; COMPUTE_PGM_RSRC2:TGID_Z_EN: 1
; COMPUTE_PGM_RSRC2:TIDIG_COMP_CNT: 0
	.section	.text._ZN4vllm25paged_attention_v1_kernelI14__hip_bfloat16hLi192ELi32ELi128ELNS_18Fp8KVCacheDataTypeE1ELb1EEEvPT_PKS3_PKT0_S9_ifPKiSB_iPKfiiiSD_SD_iiiii,"axG",@progbits,_ZN4vllm25paged_attention_v1_kernelI14__hip_bfloat16hLi192ELi32ELi128ELNS_18Fp8KVCacheDataTypeE1ELb1EEEvPT_PKS3_PKT0_S9_ifPKiSB_iPKfiiiSD_SD_iiiii,comdat
	.protected	_ZN4vllm25paged_attention_v1_kernelI14__hip_bfloat16hLi192ELi32ELi128ELNS_18Fp8KVCacheDataTypeE1ELb1EEEvPT_PKS3_PKT0_S9_ifPKiSB_iPKfiiiSD_SD_iiiii ; -- Begin function _ZN4vllm25paged_attention_v1_kernelI14__hip_bfloat16hLi192ELi32ELi128ELNS_18Fp8KVCacheDataTypeE1ELb1EEEvPT_PKS3_PKT0_S9_ifPKiSB_iPKfiiiSD_SD_iiiii
	.globl	_ZN4vllm25paged_attention_v1_kernelI14__hip_bfloat16hLi192ELi32ELi128ELNS_18Fp8KVCacheDataTypeE1ELb1EEEvPT_PKS3_PKT0_S9_ifPKiSB_iPKfiiiSD_SD_iiiii
	.p2align	8
	.type	_ZN4vllm25paged_attention_v1_kernelI14__hip_bfloat16hLi192ELi32ELi128ELNS_18Fp8KVCacheDataTypeE1ELb1EEEvPT_PKS3_PKT0_S9_ifPKiSB_iPKfiiiSD_SD_iiiii,@function
_ZN4vllm25paged_attention_v1_kernelI14__hip_bfloat16hLi192ELi32ELi128ELNS_18Fp8KVCacheDataTypeE1ELb1EEEvPT_PKS3_PKT0_S9_ifPKiSB_iPKfiiiSD_SD_iiiii: ; @_ZN4vllm25paged_attention_v1_kernelI14__hip_bfloat16hLi192ELi32ELi128ELNS_18Fp8KVCacheDataTypeE1ELb1EEEvPT_PKS3_PKT0_S9_ifPKiSB_iPKfiiiSD_SD_iiiii
; %bb.0:
	s_mov_b64 s[62:63], s[2:3]
	s_mov_b64 s[60:61], s[0:1]
	s_add_u32 s60, s60, s9
	s_addc_u32 s61, s61, 0
	buffer_store_dword v0, off, s[60:63], 0 offset:452 ; 4-byte Folded Spill
	s_load_dword s9, s[4:5], 0x80
	s_load_dwordx2 s[0:1], s[4:5], 0x30
	s_load_dwordx2 s[36:37], s[4:5], 0x20
	s_mov_b32 s10, s7
	s_ashr_i32 s11, s7, 31
	s_lshl_b64 s[2:3], s[10:11], 2
	s_waitcnt lgkmcnt(0)
	s_add_u32 s0, s0, s2
	s_addc_u32 s1, s1, s3
	s_abs_i32 s2, s36
	v_cvt_f32_u32_e32 v0, s2
	s_sub_i32 s11, 0, s2
	s_abs_i32 s7, s9
	s_xor_b32 s3, s9, s36
	v_rcp_iflag_f32_e32 v0, v0
	s_ashr_i32 s3, s3, 31
	s_mov_b32 s48, 0
	v_mul_f32_e32 v0, 0x4f7ffffe, v0
	v_cvt_u32_f32_e32 v0, v0
	v_readfirstlane_b32 s12, v0
	s_mul_i32 s11, s11, s12
	s_mul_hi_u32 s11, s12, s11
	s_add_i32 s12, s12, s11
	s_mul_hi_u32 s11, s7, s12
	s_mul_i32 s12, s11, s2
	s_sub_i32 s7, s7, s12
	s_add_i32 s12, s11, 1
	s_sub_i32 s13, s7, s2
	s_cmp_ge_u32 s7, s2
	s_cselect_b32 s11, s12, s11
	s_cselect_b32 s7, s13, s7
	s_add_i32 s12, s11, 1
	s_cmp_ge_u32 s7, s2
	s_cselect_b32 s2, s12, s11
	s_xor_b32 s2, s2, s3
	s_sub_i32 s14, s2, s3
	s_abs_i32 s11, s14
	v_cvt_f32_u32_e32 v0, s11
	s_load_dwordx2 s[2:3], s[4:5], 0x40
	s_sub_i32 s7, 0, s11
	s_abs_i32 s12, s6
	v_rcp_iflag_f32_e32 v0, v0
	v_mul_f32_e32 v0, 0x4f7ffffe, v0
	v_cvt_u32_f32_e32 v0, v0
	v_readfirstlane_b32 s13, v0
	s_mul_i32 s7, s7, s13
	s_mul_hi_u32 s7, s13, s7
	s_add_i32 s13, s13, s7
	s_waitcnt lgkmcnt(0)
	s_cmp_eq_u64 s[2:3], 0
	s_mul_hi_u32 s13, s12, s13
	s_cbranch_scc1 .LBB317_2
; %bb.1:
	s_ashr_i32 s7, s6, 31
	s_lshl_b64 s[16:17], s[6:7], 2
	s_add_u32 s2, s2, s16
	s_addc_u32 s3, s3, s17
	s_load_dword s48, s[2:3], 0x0
.LBB317_2:
	buffer_load_dword v1, off, s[60:63], 0 offset:452 ; 4-byte Folded Reload
	s_load_dword s33, s[0:1], 0x0
	s_load_dwordx4 s[16:19], s[4:5], 0x48
	s_ashr_i32 s2, s6, 31
	s_ashr_i32 s7, s14, 31
	s_movk_i32 s3, 0xc0
	s_mul_i32 s24, s6, 0xc0
	s_waitcnt vmcnt(0)
	v_and_b32_e32 v0, 1, v1
	v_cmp_gt_u32_e32 vcc, 48, v1
	v_lshlrev_b32_e32 v12, 3, v1
	s_and_saveexec_b64 s[0:1], vcc
	s_cbranch_execz .LBB317_4
; %bb.3:
	s_load_dwordx2 s[14:15], s[4:5], 0x8
	s_waitcnt lgkmcnt(0)
	s_mul_i32 s20, s16, s10
	s_ashr_i32 s21, s20, 31
	s_lshl_b64 s[20:21], s[20:21], 1
	buffer_load_dword v3, off, s[60:63], 0 offset:452 ; 4-byte Folded Reload
	s_add_u32 s16, s14, s20
	s_addc_u32 s19, s15, s21
	s_ashr_i32 s25, s24, 31
	s_lshl_b64 s[14:15], s[24:25], 1
	s_add_u32 s14, s16, s14
	s_addc_u32 s15, s19, s15
	global_load_dwordx2 v[1:2], v12, s[14:15]
	s_waitcnt vmcnt(1)
	v_lshlrev_b32_e32 v3, 2, v3
	v_and_b32_e32 v3, 0xff8, v3
	v_mad_u32_u24 v3, v0, s3, v3
	s_waitcnt vmcnt(0)
	ds_write_b64 v3, v[1:2]
.LBB317_4:
	s_or_b64 exec, exec, s[0:1]
	s_mul_i32 s1, s13, s11
	s_sub_i32 s1, s12, s1
	s_xor_b32 s0, s2, s7
	s_add_i32 s2, s13, 1
	s_sub_i32 s7, s1, s11
	s_load_dwordx4 s[20:23], s[4:5], 0x68
	s_load_dword s3, s[4:5], 0x78
	s_cmp_ge_u32 s1, s11
	s_cselect_b32 s2, s2, s13
	s_cselect_b32 s1, s7, s1
	s_add_i32 s7, s2, 1
	s_cmp_ge_u32 s1, s11
	s_cselect_b32 s1, s7, s2
	s_waitcnt lgkmcnt(0)
	s_abs_i32 s25, s23
	v_cvt_f32_u32_e32 v1, s25
	s_xor_b32 s1, s1, s0
	s_sub_i32 s2, s1, s0
	s_sub_i32 s0, 0, s25
	v_rcp_iflag_f32_e32 v1, v1
	s_add_i32 s11, s33, -1
	s_abs_i32 s7, s11
	v_mul_f32_e32 v1, 0x4f7ffffe, v1
	v_cvt_u32_f32_e32 v1, v1
	s_barrier
	v_readfirstlane_b32 s46, v1
	s_mul_i32 s0, s0, s46
	s_mul_hi_u32 s0, s46, s0
	s_add_i32 s46, s46, s0
	s_cmp_lt_i32 s3, 0
	s_mul_hi_u32 s16, s7, s46
	s_cbranch_scc0 .LBB317_6
; %bb.5:
	s_mul_i32 s0, s20, s36
	s_add_i32 s0, s2, s0
	s_mul_i32 s0, s0, s3
	s_sub_i32 s36, 1, s0
	s_mov_b64 s[0:1], 0
	s_branch .LBB317_7
.LBB317_6:
	s_mov_b64 s[0:1], -1
                                        ; implicit-def: $sgpr36
.LBB317_7:
	s_load_dwordx2 s[28:29], s[4:5], 0x28
	s_ashr_i32 s19, s11, 31
	s_andn2_b64 vcc, exec, s[0:1]
	s_ashr_i32 s23, s23, 31
	s_cbranch_vccnz .LBB317_9
; %bb.8:
	s_mul_i32 s0, s9, s20
	s_add_i32 s0, s0, s6
	s_mul_i32 s0, s0, s3
	s_add_i32 s36, s0, 1
.LBB317_9:
	s_load_dword s0, s[4:5], 0x38
	s_load_dwordx2 s[26:27], s[4:5], 0x0
	s_load_dwordx2 s[34:35], s[4:5], 0x18
	s_load_dword s11, s[4:5], 0x88
	s_load_dwordx4 s[12:15], s[4:5], 0x58
	buffer_load_dword v1, off, s[60:63], 0 offset:452 ; 4-byte Folded Reload
	s_mul_i32 s1, s16, s25
	s_waitcnt lgkmcnt(0)
	s_mul_i32 s30, s0, s10
	s_sub_i32 s1, s7, s1
	s_ashr_i32 s31, s30, 31
	s_xor_b32 s0, s19, s23
	s_add_i32 s3, s16, 1
	s_sub_i32 s6, s1, s25
	s_cmp_ge_u32 s1, s25
	s_cselect_b32 s3, s3, s16
	s_cselect_b32 s1, s6, s1
	s_add_i32 s6, s3, 1
	s_cmp_ge_u32 s1, s25
	s_cselect_b32 s1, s6, s3
	s_xor_b32 s1, s1, s0
	s_sub_i32 s16, s1, s0
	s_add_i32 s0, s33, 31
	s_ashr_i32 s1, s0, 31
	s_lshr_b32 s1, s1, 27
	s_add_i32 s0, s0, s1
	s_ashr_i32 s47, s0, 5
	v_mov_b32_e32 v3, 0xff7fffff
	s_mul_i32 s20, s2, s18
	s_waitcnt vmcnt(0)
	v_lshrrev_b32_e32 v2, 6, v1
	v_lshrrev_b32_e32 v13, 4, v1
	v_lshlrev_b32_e32 v1, 5, v2
	v_cmp_gt_i32_e64 s[0:1], s47, v2
	buffer_store_dword v1, off, s[60:63], 0 offset:4 ; 4-byte Folded Spill
	v_mbcnt_lo_u32_b32 v1, -1, 0
	buffer_store_dword v2, off, s[60:63], 0 ; 4-byte Folded Spill
	s_and_saveexec_b64 s[18:19], s[0:1]
	s_cbranch_execz .LBB317_597
; %bb.10:
	buffer_load_dword v2, off, s[60:63], 0 offset:452 ; 4-byte Folded Reload
	s_load_dwordx2 s[2:3], s[4:5], 0x10
	s_sub_i32 s49, s16, s21
	s_ashr_i32 s4, s20, 31
	v_mov_b32_e32 v5, v1
	v_lshlrev_b32_e32 v4, 2, v0
	s_waitcnt lgkmcnt(0)
	s_add_u32 s6, s2, s20
	s_addc_u32 s7, s3, s4
	s_abs_i32 s50, s22
	v_cvt_f32_u32_e32 v1, s50
	buffer_store_dword v4, off, s[60:63], 0 offset:8 ; 4-byte Folded Spill
	v_or_b32_e32 v4, 8, v4
	buffer_store_dword v4, off, s[60:63], 0 offset:20 ; 4-byte Folded Spill
	v_rcp_iflag_f32_e32 v1, v1
	v_mov_b32_e32 v4, s7
	v_cmp_eq_u32_e64 s[2:3], 0, v0
	v_mul_u32_u24_e32 v0, 0xc0, v0
	s_sub_i32 s38, 0, s50
	buffer_store_dword v12, off, s[60:63], 0 offset:480 ; 4-byte Folded Spill
	buffer_store_dword v0, off, s[60:63], 0 offset:252 ; 4-byte Folded Spill
	v_mul_f32_e32 v0, 0x4f7ffffe, v1
	buffer_store_dword v13, off, s[60:63], 0 offset:484 ; 4-byte Folded Spill
	v_and_b32_e32 v1, 60, v13
	v_cvt_u32_f32_e32 v0, v0
	s_mov_b32 s51, s17
	v_mov_b32_e32 v41, 0
	v_cmp_neq_f32_e64 s[4:5], s48, 0
	s_movk_i32 s52, 0x80
	s_movk_i32 s53, 0x7f
	s_mov_b32 s54, 0xffffff
	s_movk_i32 s55, 0x7fff
	s_waitcnt vmcnt(5)
	v_bfe_u32 v6, v2, 1, 5
	v_lshlrev_b32_e32 v3, 4, v6
	v_add_co_u32_e32 v3, vcc, s6, v3
	v_addc_co_u32_e32 v4, vcc, 0, v4, vcc
	s_lshl_b64 s[6:7], s[30:31], 2
	buffer_store_dword v3, off, s[60:63], 0 offset:460 ; 4-byte Folded Spill
	s_nop 0
	buffer_store_dword v4, off, s[60:63], 0 offset:464 ; 4-byte Folded Spill
	s_add_u32 s6, s28, s6
	v_add_co_u32_e32 v27, vcc, s6, v1
	buffer_load_dword v1, off, s[60:63], 0  ; 4-byte Folded Reload
	v_mul_lo_u32 v2, s38, v0
	s_addc_u32 s7, s29, s7
	s_mov_b64 s[38:39], 0
	v_mul_hi_u32 v2, v0, v2
	v_add_u32_e32 v0, v0, v2
	buffer_store_dword v0, off, s[60:63], 0 offset:256 ; 4-byte Folded Spill
	v_mov_b32_e32 v0, s7
	v_addc_co_u32_e32 v28, vcc, 0, v0, vcc
	v_subrev_u32_e32 v0, s33, v6
	v_add_u32_e32 v0, 1, v0
	buffer_store_dword v0, off, s[60:63], 0 offset:476 ; 4-byte Folded Spill
	buffer_store_dword v6, off, s[60:63], 0 offset:472 ; 4-byte Folded Spill
	v_lshlrev_b32_e32 v0, 2, v6
	s_waitcnt vmcnt(3)
	v_lshl_or_b32 v0, v1, 7, v0
	v_add_u32_e32 v0, 0x190, v0
	buffer_store_dword v0, off, s[60:63], 0 offset:12 ; 4-byte Folded Spill
	v_mbcnt_hi_u32_b32 v0, -1, v5
	v_lshlrev_b32_e32 v2, 5, v1
	buffer_store_dword v0, off, s[60:63], 0 offset:468 ; 4-byte Folded Spill
	v_mov_b32_e32 v0, 0xff7fffff
	buffer_store_dword v0, off, s[60:63], 0 offset:456 ; 4-byte Folded Spill
	v_mov_b32_e32 v0, v2
	v_mov_b32_e32 v2, v1
	s_branch .LBB317_13
.LBB317_11:                             ;   in Loop: Header=BB317_13 Depth=1
	s_or_b64 exec, exec, s[6:7]
.LBB317_12:                             ;   in Loop: Header=BB317_13 Depth=1
	s_or_b64 exec, exec, s[40:41]
	buffer_load_dword v0, off, s[60:63], 0 offset:16 ; 4-byte Folded Reload
	buffer_load_dword v2, off, s[60:63], 0 offset:24 ; 4-byte Folded Reload
	s_waitcnt lgkmcnt(0)
	buffer_load_dword v1, off, s[60:63], 0 offset:12 ; 4-byte Folded Reload
	v_add_co_u32_e32 v27, vcc, 8, v27
	v_addc_co_u32_e32 v28, vcc, 0, v28, vcc
	s_waitcnt vmcnt(2)
	v_add_u32_e32 v0, 64, v0
	s_waitcnt vmcnt(1)
	v_add_u32_e32 v2, 2, v2
	v_cmp_le_i32_e32 vcc, s47, v2
	s_or_b64 s[38:39], vcc, s[38:39]
	s_waitcnt vmcnt(0)
	v_add_u32_e32 v1, 0x100, v1
	buffer_store_dword v1, off, s[60:63], 0 offset:12 ; 4-byte Folded Spill
	s_andn2_b64 exec, exec, s[38:39]
	s_cbranch_execz .LBB317_596
.LBB317_13:                             ; =>This Inner Loop Header: Depth=1
	v_mov_b32_e32 v3, v0
	v_mul_hi_u32 v0, v3, s46
	buffer_store_dword v3, off, s[60:63], 0 offset:16 ; 4-byte Folded Spill
	buffer_store_dword v2, off, s[60:63], 0 offset:24 ; 4-byte Folded Spill
	v_mul_lo_u32 v1, v0, s25
	v_add_u32_e32 v2, 1, v0
	v_sub_u32_e32 v1, v3, v1
	buffer_load_dword v3, off, s[60:63], 0 offset:256 ; 4-byte Folded Reload
	v_cmp_le_u32_e32 vcc, s25, v1
	v_cndmask_b32_e32 v0, v0, v2, vcc
	v_subrev_u32_e32 v2, s25, v1
	v_cndmask_b32_e32 v1, v1, v2, vcc
	v_add_u32_e32 v2, 1, v0
	v_cmp_le_u32_e32 vcc, s25, v1
	v_cndmask_b32_e32 v0, v0, v2, vcc
	v_xor_b32_e32 v0, s23, v0
	v_subrev_u32_e32 v0, s23, v0
	v_add_u32_e32 v1, s36, v0
	v_sub_u32_e32 v2, 0, v1
	v_max_i32_e32 v2, v1, v2
	v_ashrrev_i32_e32 v1, 31, v1
	v_cmp_ge_i32_e64 s[6:7], s49, v0
	s_waitcnt vmcnt(0)
	v_mul_hi_u32 v3, v2, v3
	v_mul_lo_u32 v3, v3, s50
	v_sub_u32_e32 v2, v2, v3
	v_subrev_u32_e32 v3, s50, v2
	v_cmp_le_u32_e32 vcc, s50, v2
	v_cndmask_b32_e32 v2, v2, v3, vcc
	v_subrev_u32_e32 v3, s50, v2
	v_cmp_le_u32_e32 vcc, s50, v2
	v_cndmask_b32_e32 v2, v2, v3, vcc
	v_xor_b32_e32 v2, v2, v1
	v_sub_u32_e32 v1, v2, v1
	v_cmp_ne_u32_e32 vcc, 0, v1
	s_and_b64 s[6:7], vcc, s[6:7]
	s_and_saveexec_b64 s[40:41], s[6:7]
	s_xor_b64 s[6:7], exec, s[40:41]
	s_cbranch_execz .LBB317_17
; %bb.14:                               ;   in Loop: Header=BB317_13 Depth=1
	s_and_saveexec_b64 s[40:41], s[2:3]
	s_cbranch_execz .LBB317_16
; %bb.15:                               ;   in Loop: Header=BB317_13 Depth=1
	buffer_load_dword v1, off, s[60:63], 0 offset:12 ; 4-byte Folded Reload
	v_mov_b32_e32 v0, 0xff7fffff
	s_waitcnt vmcnt(0)
	ds_write_b32 v1, v0
.LBB317_16:                             ;   in Loop: Header=BB317_13 Depth=1
	s_or_b64 exec, exec, s[40:41]
.LBB317_17:                             ;   in Loop: Header=BB317_13 Depth=1
	s_andn2_saveexec_b64 s[40:41], s[6:7]
	s_cbranch_execz .LBB317_12
; %bb.18:                               ;   in Loop: Header=BB317_13 Depth=1
	global_load_dword v0, v[27:28], off
	buffer_load_dword v1, off, s[60:63], 0 offset:460 ; 4-byte Folded Reload
	buffer_load_dword v2, off, s[60:63], 0 offset:464 ; 4-byte Folded Reload
	v_mov_b32_e32 v10, 0
	v_mov_b32_e32 v11, 0
	s_waitcnt vmcnt(0)
	v_mad_i64_i32 v[29:30], s[6:7], v0, s51, v[1:2]
	buffer_load_dword v0, off, s[60:63], 0 offset:8 ; 4-byte Folded Reload
	s_waitcnt vmcnt(0)
	v_add_co_u32_e32 v31, vcc, v29, v0
	buffer_load_dword v0, off, s[60:63], 0 offset:252 ; 4-byte Folded Reload
	v_addc_co_u32_e32 v32, vcc, 0, v30, vcc
	global_load_dword v33, v[31:32], off
	s_waitcnt vmcnt(1)
	ds_read_b128 v[17:20], v0
	ds_read_b128 v[53:56], v0 offset:16
	ds_read_b32 v1, v0 offset:96
	s_load_dword s56, s[12:13], 0x0
	s_waitcnt vmcnt(0)
	v_cmp_ne_u16_sdwa s[42:43], v33, v41 src0_sel:BYTE_0 src1_sel:DWORD
	s_waitcnt lgkmcnt(0)
	buffer_store_dword v1, off, s[60:63], 0 offset:264 ; 4-byte Folded Spill
	ds_read_u16 v1, v0 offset:100
	s_waitcnt lgkmcnt(0)
	buffer_store_dword v1, off, s[60:63], 0 offset:260 ; 4-byte Folded Spill
	ds_read_b128 v[21:24], v0 offset:32
	ds_read_b128 v[13:16], v0 offset:48
	ds_read_b128 v[1:4], v0 offset:64
	s_waitcnt lgkmcnt(0)
	buffer_store_dword v1, off, s[60:63], 0 offset:284 ; 4-byte Folded Spill
	s_nop 0
	buffer_store_dword v2, off, s[60:63], 0 offset:288 ; 4-byte Folded Spill
	buffer_store_dword v3, off, s[60:63], 0 offset:292 ; 4-byte Folded Spill
	buffer_store_dword v4, off, s[60:63], 0 offset:296 ; 4-byte Folded Spill
	ds_read_b128 v[0:3], v0 offset:80
	s_waitcnt lgkmcnt(0)
	buffer_store_dword v0, off, s[60:63], 0 offset:268 ; 4-byte Folded Spill
	s_nop 0
	buffer_store_dword v1, off, s[60:63], 0 offset:272 ; 4-byte Folded Spill
	buffer_store_dword v2, off, s[60:63], 0 offset:276 ; 4-byte Folded Spill
	;; [unrolled: 1-line block ×3, first 2 shown]
	s_and_saveexec_b64 s[6:7], s[42:43]
	s_cbranch_execz .LBB317_24
; %bb.19:                               ;   in Loop: Header=BB317_13 Depth=1
	v_cmp_ne_u16_sdwa s[44:45], v33, s52 src0_sel:BYTE_0 src1_sel:DWORD
	v_bfrev_b32_e32 v11, 1
	s_and_saveexec_b64 s[42:43], s[44:45]
	s_cbranch_execz .LBB317_23
; %bb.20:                               ;   in Loop: Header=BB317_13 Depth=1
	v_and_b32_e32 v0, 0x7f, v33
	v_cmp_ne_u32_e32 vcc, s53, v0
	v_mov_b32_e32 v11, 0x7f800001
	s_and_saveexec_b64 s[44:45], vcc
	s_cbranch_execz .LBB317_22
; %bb.21:                               ;   in Loop: Header=BB317_13 Depth=1
	v_and_b32_e32 v3, 7, v33
	v_ffbh_u32_e32 v1, v3
	v_min_u32_e32 v9, 32, v1
	v_subrev_u32_e32 v1, 28, v9
	v_lshlrev_b64 v[1:2], v1, v[33:34]
	v_lshrrev_b32_e32 v4, 3, v0
	v_sub_u32_e32 v2, 29, v9
	v_and_b32_e32 v1, 7, v1
	v_cmp_gt_u32_e32 vcc, 8, v0
	v_cndmask_b32_e32 v0, v4, v2, vcc
	v_cndmask_b32_e32 v1, v3, v1, vcc
	v_lshlrev_b32_e32 v2, 24, v33
	v_bfrev_b32_e32 v3, 60
	v_lshlrev_b32_e32 v1, 20, v1
	v_and_b32_e32 v2, 0x80000000, v2
	v_lshl_add_u32 v0, v0, 23, v3
	v_or3_b32 v11, v2, v0, v1
.LBB317_22:                             ;   in Loop: Header=BB317_13 Depth=1
	s_or_b64 exec, exec, s[44:45]
.LBB317_23:                             ;   in Loop: Header=BB317_13 Depth=1
	s_or_b64 exec, exec, s[42:43]
.LBB317_24:                             ;   in Loop: Header=BB317_13 Depth=1
	s_or_b64 exec, exec, s[6:7]
	v_lshrrev_b16_e32 v34, 8, v33
	v_cmp_ne_u16_e32 vcc, 0, v34
	s_and_saveexec_b64 s[6:7], vcc
	s_cbranch_execz .LBB317_30
; %bb.25:                               ;   in Loop: Header=BB317_13 Depth=1
	v_cmp_ne_u16_e32 vcc, s52, v34
	v_bfrev_b32_e32 v10, 1
	s_and_saveexec_b64 s[42:43], vcc
	s_cbranch_execz .LBB317_29
; %bb.26:                               ;   in Loop: Header=BB317_13 Depth=1
	v_and_b32_e32 v0, 0x7f, v34
	v_cmp_ne_u32_e32 vcc, s53, v0
	v_mov_b32_e32 v10, 0x7f800001
	s_and_saveexec_b64 s[44:45], vcc
	s_cbranch_execz .LBB317_28
; %bb.27:                               ;   in Loop: Header=BB317_13 Depth=1
	v_and_b32_e32 v3, 7, v34
	v_ffbh_u32_e32 v1, v3
	v_min_u32_e32 v9, 32, v1
	v_subrev_u32_e32 v1, 28, v9
	v_lshlrev_b64 v[1:2], v1, v[34:35]
	v_lshrrev_b32_e32 v4, 3, v0
	v_sub_u32_e32 v2, 29, v9
	v_and_b32_e32 v1, 7, v1
	v_cmp_gt_u32_e32 vcc, 8, v0
	v_cndmask_b32_e32 v0, v4, v2, vcc
	v_cndmask_b32_e32 v1, v3, v1, vcc
	v_lshlrev_b32_e32 v2, 16, v33
	v_bfrev_b32_e32 v3, 60
	v_lshlrev_b32_e32 v1, 20, v1
	v_and_b32_e32 v2, 0x80000000, v2
	v_lshl_add_u32 v0, v0, 23, v3
	v_or3_b32 v10, v2, v0, v1
.LBB317_28:                             ;   in Loop: Header=BB317_13 Depth=1
	s_or_b64 exec, exec, s[44:45]
.LBB317_29:                             ;   in Loop: Header=BB317_13 Depth=1
	s_or_b64 exec, exec, s[42:43]
.LBB317_30:                             ;   in Loop: Header=BB317_13 Depth=1
	s_or_b64 exec, exec, s[6:7]
	v_lshrrev_b32_e32 v34, 16, v33
	v_cmp_ne_u16_sdwa s[42:43], v34, v41 src0_sel:BYTE_0 src1_sel:DWORD
	v_mov_b32_e32 v12, 0
	v_mov_b32_e32 v35, 0
	s_and_saveexec_b64 s[6:7], s[42:43]
	s_cbranch_execz .LBB317_36
; %bb.31:                               ;   in Loop: Header=BB317_13 Depth=1
	v_cmp_ne_u16_sdwa s[44:45], v34, s52 src0_sel:BYTE_0 src1_sel:DWORD
	v_bfrev_b32_e32 v35, 1
	s_and_saveexec_b64 s[42:43], s[44:45]
	s_cbranch_execz .LBB317_35
; %bb.32:                               ;   in Loop: Header=BB317_13 Depth=1
	v_bfe_u32 v0, v33, 16, 7
	v_cmp_ne_u32_e32 vcc, s53, v0
	v_mov_b32_e32 v35, 0x7f800001
	s_and_saveexec_b64 s[44:45], vcc
	s_cbranch_execz .LBB317_34
; %bb.33:                               ;   in Loop: Header=BB317_13 Depth=1
	v_and_b32_e32 v2, 7, v34
	v_lshrrev_b32_e32 v3, 3, v0
	v_cmp_gt_u32_e32 vcc, 8, v0
	v_ffbh_u32_e32 v0, v2
	v_min_u32_e32 v4, 32, v0
	v_subrev_u32_e32 v0, 28, v4
	v_lshlrev_b64 v[0:1], v0, v[34:35]
	v_sub_u32_e32 v1, 29, v4
	v_and_b32_e32 v0, 7, v0
	v_cndmask_b32_e32 v1, v3, v1, vcc
	v_cndmask_b32_e32 v0, v2, v0, vcc
	v_lshlrev_b32_e32 v2, 24, v34
	v_bfrev_b32_e32 v3, 60
	v_lshlrev_b32_e32 v0, 20, v0
	v_and_b32_e32 v2, 0x80000000, v2
	v_lshl_add_u32 v1, v1, 23, v3
	v_or3_b32 v35, v2, v1, v0
.LBB317_34:                             ;   in Loop: Header=BB317_13 Depth=1
	s_or_b64 exec, exec, s[44:45]
.LBB317_35:                             ;   in Loop: Header=BB317_13 Depth=1
	s_or_b64 exec, exec, s[42:43]
.LBB317_36:                             ;   in Loop: Header=BB317_13 Depth=1
	s_or_b64 exec, exec, s[6:7]
	v_cmp_lt_u32_e32 vcc, s54, v33
	s_and_saveexec_b64 s[6:7], vcc
	s_cbranch_execz .LBB317_42
; %bb.37:                               ;   in Loop: Header=BB317_13 Depth=1
	v_lshrrev_b32_e32 v34, 24, v33
	v_cmp_ne_u32_e32 vcc, s52, v34
	v_bfrev_b32_e32 v12, 1
	s_and_saveexec_b64 s[42:43], vcc
	s_cbranch_execz .LBB317_41
; %bb.38:                               ;   in Loop: Header=BB317_13 Depth=1
	v_bfe_u32 v0, v33, 24, 7
	v_cmp_ne_u32_e32 vcc, s53, v0
	v_mov_b32_e32 v12, 0x7f800001
	s_and_saveexec_b64 s[44:45], vcc
	s_cbranch_execz .LBB317_40
; %bb.39:                               ;   in Loop: Header=BB317_13 Depth=1
	v_and_b32_e32 v2, 7, v34
	v_lshrrev_b32_e32 v3, 3, v0
	v_cmp_gt_u32_e32 vcc, 8, v0
	v_ffbh_u32_e32 v0, v2
	v_min_u32_e32 v4, 32, v0
	v_subrev_u32_e32 v0, 28, v4
	v_lshlrev_b64 v[0:1], v0, v[34:35]
	v_sub_u32_e32 v1, 29, v4
	v_and_b32_e32 v0, 7, v0
	v_cndmask_b32_e32 v1, v3, v1, vcc
	v_cndmask_b32_e32 v0, v2, v0, vcc
	v_lshlrev_b32_e32 v2, 24, v34
	v_bfrev_b32_e32 v3, 60
	v_lshlrev_b32_e32 v0, 20, v0
	v_and_b32_e32 v2, 0x80000000, v2
	v_lshl_add_u32 v1, v1, 23, v3
	v_or3_b32 v12, v2, v1, v0
.LBB317_40:                             ;   in Loop: Header=BB317_13 Depth=1
	s_or_b64 exec, exec, s[44:45]
.LBB317_41:                             ;   in Loop: Header=BB317_13 Depth=1
	s_or_b64 exec, exec, s[42:43]
.LBB317_42:                             ;   in Loop: Header=BB317_13 Depth=1
	s_or_b64 exec, exec, s[6:7]
	global_load_dword v33, v[31:32], off offset:8
	v_mov_b32_e32 v5, 0
	v_mov_b32_e32 v39, 0
	s_waitcnt vmcnt(0)
	v_cmp_ne_u16_sdwa s[42:43], v33, v41 src0_sel:BYTE_0 src1_sel:DWORD
	s_and_saveexec_b64 s[6:7], s[42:43]
	s_cbranch_execz .LBB317_48
; %bb.43:                               ;   in Loop: Header=BB317_13 Depth=1
	v_cmp_ne_u16_sdwa s[44:45], v33, s52 src0_sel:BYTE_0 src1_sel:DWORD
	v_bfrev_b32_e32 v39, 1
	s_and_saveexec_b64 s[42:43], s[44:45]
	s_cbranch_execz .LBB317_47
; %bb.44:                               ;   in Loop: Header=BB317_13 Depth=1
	v_and_b32_e32 v0, 0x7f, v33
	v_cmp_ne_u32_e32 vcc, s53, v0
	v_mov_b32_e32 v39, 0x7f800001
	s_and_saveexec_b64 s[44:45], vcc
	s_cbranch_execz .LBB317_46
; %bb.45:                               ;   in Loop: Header=BB317_13 Depth=1
	v_and_b32_e32 v2, 7, v33
	v_lshrrev_b32_e32 v3, 3, v0
	v_cmp_gt_u32_e32 vcc, 8, v0
	v_ffbh_u32_e32 v0, v2
	v_min_u32_e32 v4, 32, v0
	v_subrev_u32_e32 v0, 28, v4
	v_lshlrev_b64 v[0:1], v0, v[33:34]
	v_sub_u32_e32 v1, 29, v4
	v_and_b32_e32 v0, 7, v0
	v_cndmask_b32_e32 v1, v3, v1, vcc
	v_cndmask_b32_e32 v0, v2, v0, vcc
	v_lshlrev_b32_e32 v2, 24, v33
	v_bfrev_b32_e32 v3, 60
	v_lshlrev_b32_e32 v0, 20, v0
	v_and_b32_e32 v2, 0x80000000, v2
	v_lshl_add_u32 v1, v1, 23, v3
	v_or3_b32 v39, v2, v1, v0
.LBB317_46:                             ;   in Loop: Header=BB317_13 Depth=1
	s_or_b64 exec, exec, s[44:45]
.LBB317_47:                             ;   in Loop: Header=BB317_13 Depth=1
	s_or_b64 exec, exec, s[42:43]
.LBB317_48:                             ;   in Loop: Header=BB317_13 Depth=1
	s_or_b64 exec, exec, s[6:7]
	v_lshrrev_b16_e32 v34, 8, v33
	v_cmp_ne_u16_e32 vcc, 0, v34
	s_and_saveexec_b64 s[6:7], vcc
	s_cbranch_execz .LBB317_54
; %bb.49:                               ;   in Loop: Header=BB317_13 Depth=1
	v_cmp_ne_u16_e32 vcc, s52, v34
	v_bfrev_b32_e32 v5, 1
	s_and_saveexec_b64 s[42:43], vcc
	s_cbranch_execz .LBB317_53
; %bb.50:                               ;   in Loop: Header=BB317_13 Depth=1
	v_and_b32_e32 v0, 0x7f, v34
	v_cmp_ne_u32_e32 vcc, s53, v0
	v_mov_b32_e32 v5, 0x7f800001
	s_and_saveexec_b64 s[44:45], vcc
	s_cbranch_execz .LBB317_52
; %bb.51:                               ;   in Loop: Header=BB317_13 Depth=1
	v_and_b32_e32 v2, 7, v34
	v_lshrrev_b32_e32 v3, 3, v0
	v_cmp_gt_u32_e32 vcc, 8, v0
	v_ffbh_u32_e32 v0, v2
	v_min_u32_e32 v4, 32, v0
	v_subrev_u32_e32 v0, 28, v4
	v_lshlrev_b64 v[0:1], v0, v[34:35]
	v_sub_u32_e32 v1, 29, v4
	v_and_b32_e32 v0, 7, v0
	v_cndmask_b32_e32 v1, v3, v1, vcc
	v_cndmask_b32_e32 v0, v2, v0, vcc
	v_lshlrev_b32_e32 v2, 16, v33
	v_bfrev_b32_e32 v3, 60
	v_lshlrev_b32_e32 v0, 20, v0
	v_and_b32_e32 v2, 0x80000000, v2
	v_lshl_add_u32 v1, v1, 23, v3
	v_or3_b32 v5, v2, v1, v0
.LBB317_52:                             ;   in Loop: Header=BB317_13 Depth=1
	s_or_b64 exec, exec, s[44:45]
.LBB317_53:                             ;   in Loop: Header=BB317_13 Depth=1
	s_or_b64 exec, exec, s[42:43]
.LBB317_54:                             ;   in Loop: Header=BB317_13 Depth=1
	s_or_b64 exec, exec, s[6:7]
	v_lshrrev_b32_e32 v34, 16, v33
	v_cmp_ne_u16_sdwa s[42:43], v34, v41 src0_sel:BYTE_0 src1_sel:DWORD
	v_mov_b32_e32 v6, 0
	v_mov_b32_e32 v7, 0
	s_and_saveexec_b64 s[6:7], s[42:43]
	s_cbranch_execz .LBB317_60
; %bb.55:                               ;   in Loop: Header=BB317_13 Depth=1
	v_cmp_ne_u16_sdwa s[44:45], v34, s52 src0_sel:BYTE_0 src1_sel:DWORD
	v_bfrev_b32_e32 v7, 1
	s_and_saveexec_b64 s[42:43], s[44:45]
	s_cbranch_execz .LBB317_59
; %bb.56:                               ;   in Loop: Header=BB317_13 Depth=1
	v_bfe_u32 v0, v33, 16, 7
	v_cmp_ne_u32_e32 vcc, s53, v0
	v_mov_b32_e32 v7, 0x7f800001
	s_and_saveexec_b64 s[44:45], vcc
	s_cbranch_execz .LBB317_58
; %bb.57:                               ;   in Loop: Header=BB317_13 Depth=1
	v_and_b32_e32 v2, 7, v34
	v_lshrrev_b32_e32 v3, 3, v0
	v_cmp_gt_u32_e32 vcc, 8, v0
	v_ffbh_u32_e32 v0, v2
	v_min_u32_e32 v4, 32, v0
	v_subrev_u32_e32 v0, 28, v4
	v_lshlrev_b64 v[0:1], v0, v[34:35]
	v_sub_u32_e32 v1, 29, v4
	v_and_b32_e32 v0, 7, v0
	v_cndmask_b32_e32 v1, v3, v1, vcc
	v_cndmask_b32_e32 v0, v2, v0, vcc
	v_lshlrev_b32_e32 v2, 24, v34
	v_bfrev_b32_e32 v3, 60
	v_lshlrev_b32_e32 v0, 20, v0
	v_and_b32_e32 v2, 0x80000000, v2
	v_lshl_add_u32 v1, v1, 23, v3
	v_or3_b32 v7, v2, v1, v0
.LBB317_58:                             ;   in Loop: Header=BB317_13 Depth=1
	s_or_b64 exec, exec, s[44:45]
.LBB317_59:                             ;   in Loop: Header=BB317_13 Depth=1
	s_or_b64 exec, exec, s[42:43]
.LBB317_60:                             ;   in Loop: Header=BB317_13 Depth=1
	s_or_b64 exec, exec, s[6:7]
	v_cmp_lt_u32_e32 vcc, s54, v33
	s_and_saveexec_b64 s[6:7], vcc
	s_cbranch_execz .LBB317_66
; %bb.61:                               ;   in Loop: Header=BB317_13 Depth=1
	v_lshrrev_b32_e32 v34, 24, v33
	v_cmp_ne_u32_e32 vcc, s52, v34
	v_bfrev_b32_e32 v6, 1
	s_and_saveexec_b64 s[42:43], vcc
	s_cbranch_execz .LBB317_65
; %bb.62:                               ;   in Loop: Header=BB317_13 Depth=1
	v_bfe_u32 v0, v33, 24, 7
	v_cmp_ne_u32_e32 vcc, s53, v0
	v_mov_b32_e32 v6, 0x7f800001
	s_and_saveexec_b64 s[44:45], vcc
	s_cbranch_execz .LBB317_64
; %bb.63:                               ;   in Loop: Header=BB317_13 Depth=1
	v_and_b32_e32 v2, 7, v34
	v_lshrrev_b32_e32 v3, 3, v0
	v_cmp_gt_u32_e32 vcc, 8, v0
	v_ffbh_u32_e32 v0, v2
	v_min_u32_e32 v4, 32, v0
	v_subrev_u32_e32 v0, 28, v4
	v_lshlrev_b64 v[0:1], v0, v[34:35]
	v_sub_u32_e32 v1, 29, v4
	v_and_b32_e32 v0, 7, v0
	v_cndmask_b32_e32 v1, v3, v1, vcc
	v_cndmask_b32_e32 v0, v2, v0, vcc
	v_lshlrev_b32_e32 v2, 24, v34
	v_bfrev_b32_e32 v3, 60
	v_lshlrev_b32_e32 v0, 20, v0
	v_and_b32_e32 v2, 0x80000000, v2
	v_lshl_add_u32 v1, v1, 23, v3
	v_or3_b32 v6, v2, v1, v0
.LBB317_64:                             ;   in Loop: Header=BB317_13 Depth=1
	s_or_b64 exec, exec, s[44:45]
.LBB317_65:                             ;   in Loop: Header=BB317_13 Depth=1
	s_or_b64 exec, exec, s[42:43]
.LBB317_66:                             ;   in Loop: Header=BB317_13 Depth=1
	s_or_b64 exec, exec, s[6:7]
	global_load_dword v33, v[31:32], off offset:512
	v_mov_b32_e32 v8, 0
	v_mov_b32_e32 v36, 0
	s_waitcnt vmcnt(0)
	v_cmp_ne_u16_sdwa s[42:43], v33, v41 src0_sel:BYTE_0 src1_sel:DWORD
	s_and_saveexec_b64 s[6:7], s[42:43]
	s_cbranch_execz .LBB317_72
; %bb.67:                               ;   in Loop: Header=BB317_13 Depth=1
	v_cmp_ne_u16_sdwa s[44:45], v33, s52 src0_sel:BYTE_0 src1_sel:DWORD
	v_bfrev_b32_e32 v36, 1
	s_and_saveexec_b64 s[42:43], s[44:45]
	s_cbranch_execz .LBB317_71
; %bb.68:                               ;   in Loop: Header=BB317_13 Depth=1
	v_and_b32_e32 v0, 0x7f, v33
	v_cmp_ne_u32_e32 vcc, s53, v0
	v_mov_b32_e32 v36, 0x7f800001
	s_and_saveexec_b64 s[44:45], vcc
	s_cbranch_execz .LBB317_70
; %bb.69:                               ;   in Loop: Header=BB317_13 Depth=1
	v_and_b32_e32 v2, 7, v33
	v_lshrrev_b32_e32 v3, 3, v0
	v_cmp_gt_u32_e32 vcc, 8, v0
	v_ffbh_u32_e32 v0, v2
	v_min_u32_e32 v4, 32, v0
	v_subrev_u32_e32 v0, 28, v4
	v_lshlrev_b64 v[0:1], v0, v[33:34]
	v_sub_u32_e32 v1, 29, v4
	v_and_b32_e32 v0, 7, v0
	v_cndmask_b32_e32 v1, v3, v1, vcc
	v_cndmask_b32_e32 v0, v2, v0, vcc
	v_lshlrev_b32_e32 v2, 24, v33
	v_bfrev_b32_e32 v3, 60
	v_lshlrev_b32_e32 v0, 20, v0
	v_and_b32_e32 v2, 0x80000000, v2
	v_lshl_add_u32 v1, v1, 23, v3
	v_or3_b32 v36, v2, v1, v0
.LBB317_70:                             ;   in Loop: Header=BB317_13 Depth=1
	s_or_b64 exec, exec, s[44:45]
.LBB317_71:                             ;   in Loop: Header=BB317_13 Depth=1
	s_or_b64 exec, exec, s[42:43]
.LBB317_72:                             ;   in Loop: Header=BB317_13 Depth=1
	s_or_b64 exec, exec, s[6:7]
	v_lshrrev_b16_e32 v34, 8, v33
	v_cmp_ne_u16_e32 vcc, 0, v34
	s_and_saveexec_b64 s[6:7], vcc
	s_cbranch_execz .LBB317_78
; %bb.73:                               ;   in Loop: Header=BB317_13 Depth=1
	v_cmp_ne_u16_e32 vcc, s52, v34
	v_bfrev_b32_e32 v8, 1
	s_and_saveexec_b64 s[42:43], vcc
	s_cbranch_execz .LBB317_77
; %bb.74:                               ;   in Loop: Header=BB317_13 Depth=1
	v_and_b32_e32 v0, 0x7f, v34
	v_cmp_ne_u32_e32 vcc, s53, v0
	v_mov_b32_e32 v8, 0x7f800001
	s_and_saveexec_b64 s[44:45], vcc
	s_cbranch_execz .LBB317_76
; %bb.75:                               ;   in Loop: Header=BB317_13 Depth=1
	v_and_b32_e32 v2, 7, v34
	v_lshrrev_b32_e32 v3, 3, v0
	v_cmp_gt_u32_e32 vcc, 8, v0
	v_ffbh_u32_e32 v0, v2
	v_min_u32_e32 v4, 32, v0
	v_subrev_u32_e32 v0, 28, v4
	v_lshlrev_b64 v[0:1], v0, v[34:35]
	v_sub_u32_e32 v1, 29, v4
	v_and_b32_e32 v0, 7, v0
	v_cndmask_b32_e32 v1, v3, v1, vcc
	v_cndmask_b32_e32 v0, v2, v0, vcc
	v_lshlrev_b32_e32 v2, 16, v33
	v_bfrev_b32_e32 v3, 60
	v_lshlrev_b32_e32 v0, 20, v0
	v_and_b32_e32 v2, 0x80000000, v2
	v_lshl_add_u32 v1, v1, 23, v3
	v_or3_b32 v8, v2, v1, v0
.LBB317_76:                             ;   in Loop: Header=BB317_13 Depth=1
	s_or_b64 exec, exec, s[44:45]
.LBB317_77:                             ;   in Loop: Header=BB317_13 Depth=1
	s_or_b64 exec, exec, s[42:43]
.LBB317_78:                             ;   in Loop: Header=BB317_13 Depth=1
	s_or_b64 exec, exec, s[6:7]
	v_lshrrev_b32_e32 v34, 16, v33
	v_cmp_ne_u16_sdwa s[42:43], v34, v41 src0_sel:BYTE_0 src1_sel:DWORD
	v_mov_b32_e32 v37, 0
	v_mov_b32_e32 v38, 0
	s_and_saveexec_b64 s[6:7], s[42:43]
	s_cbranch_execz .LBB317_84
; %bb.79:                               ;   in Loop: Header=BB317_13 Depth=1
	v_cmp_ne_u16_sdwa s[44:45], v34, s52 src0_sel:BYTE_0 src1_sel:DWORD
	v_bfrev_b32_e32 v38, 1
	s_and_saveexec_b64 s[42:43], s[44:45]
	s_cbranch_execz .LBB317_83
; %bb.80:                               ;   in Loop: Header=BB317_13 Depth=1
	v_bfe_u32 v0, v33, 16, 7
	v_cmp_ne_u32_e32 vcc, s53, v0
	v_mov_b32_e32 v38, 0x7f800001
	s_and_saveexec_b64 s[44:45], vcc
	s_cbranch_execz .LBB317_82
; %bb.81:                               ;   in Loop: Header=BB317_13 Depth=1
	v_and_b32_e32 v2, 7, v34
	v_lshrrev_b32_e32 v3, 3, v0
	v_cmp_gt_u32_e32 vcc, 8, v0
	v_ffbh_u32_e32 v0, v2
	v_min_u32_e32 v4, 32, v0
	v_subrev_u32_e32 v0, 28, v4
	v_lshlrev_b64 v[0:1], v0, v[34:35]
	v_sub_u32_e32 v1, 29, v4
	v_and_b32_e32 v0, 7, v0
	v_cndmask_b32_e32 v1, v3, v1, vcc
	v_cndmask_b32_e32 v0, v2, v0, vcc
	v_lshlrev_b32_e32 v2, 24, v34
	v_bfrev_b32_e32 v3, 60
	v_lshlrev_b32_e32 v0, 20, v0
	v_and_b32_e32 v2, 0x80000000, v2
	v_lshl_add_u32 v1, v1, 23, v3
	v_or3_b32 v38, v2, v1, v0
.LBB317_82:                             ;   in Loop: Header=BB317_13 Depth=1
	s_or_b64 exec, exec, s[44:45]
.LBB317_83:                             ;   in Loop: Header=BB317_13 Depth=1
	s_or_b64 exec, exec, s[42:43]
.LBB317_84:                             ;   in Loop: Header=BB317_13 Depth=1
	s_or_b64 exec, exec, s[6:7]
	v_cmp_lt_u32_e32 vcc, s54, v33
	s_and_saveexec_b64 s[6:7], vcc
	s_cbranch_execz .LBB317_90
; %bb.85:                               ;   in Loop: Header=BB317_13 Depth=1
	v_lshrrev_b32_e32 v34, 24, v33
	v_cmp_ne_u32_e32 vcc, s52, v34
	v_bfrev_b32_e32 v37, 1
	s_and_saveexec_b64 s[42:43], vcc
	s_cbranch_execz .LBB317_89
; %bb.86:                               ;   in Loop: Header=BB317_13 Depth=1
	v_bfe_u32 v0, v33, 24, 7
	v_cmp_ne_u32_e32 vcc, s53, v0
	v_mov_b32_e32 v37, 0x7f800001
	s_and_saveexec_b64 s[44:45], vcc
	s_cbranch_execz .LBB317_88
; %bb.87:                               ;   in Loop: Header=BB317_13 Depth=1
	v_and_b32_e32 v2, 7, v34
	v_lshrrev_b32_e32 v3, 3, v0
	v_cmp_gt_u32_e32 vcc, 8, v0
	v_ffbh_u32_e32 v0, v2
	v_min_u32_e32 v4, 32, v0
	v_subrev_u32_e32 v0, 28, v4
	v_lshlrev_b64 v[0:1], v0, v[34:35]
	v_sub_u32_e32 v1, 29, v4
	v_and_b32_e32 v0, 7, v0
	v_cndmask_b32_e32 v1, v3, v1, vcc
	v_cndmask_b32_e32 v0, v2, v0, vcc
	v_lshlrev_b32_e32 v2, 24, v34
	v_bfrev_b32_e32 v3, 60
	v_lshlrev_b32_e32 v0, 20, v0
	v_and_b32_e32 v2, 0x80000000, v2
	v_lshl_add_u32 v1, v1, 23, v3
	v_or3_b32 v37, v2, v1, v0
.LBB317_88:                             ;   in Loop: Header=BB317_13 Depth=1
	s_or_b64 exec, exec, s[44:45]
.LBB317_89:                             ;   in Loop: Header=BB317_13 Depth=1
	s_or_b64 exec, exec, s[42:43]
.LBB317_90:                             ;   in Loop: Header=BB317_13 Depth=1
	s_or_b64 exec, exec, s[6:7]
	global_load_dword v33, v[31:32], off offset:520
	v_mov_b32_e32 v40, 0
	v_mov_b32_e32 v42, 0
	s_waitcnt vmcnt(0)
	v_cmp_ne_u16_sdwa s[42:43], v33, v41 src0_sel:BYTE_0 src1_sel:DWORD
	s_and_saveexec_b64 s[6:7], s[42:43]
	s_cbranch_execz .LBB317_96
; %bb.91:                               ;   in Loop: Header=BB317_13 Depth=1
	v_cmp_ne_u16_sdwa s[44:45], v33, s52 src0_sel:BYTE_0 src1_sel:DWORD
	v_bfrev_b32_e32 v42, 1
	s_and_saveexec_b64 s[42:43], s[44:45]
	s_cbranch_execz .LBB317_95
; %bb.92:                               ;   in Loop: Header=BB317_13 Depth=1
	v_and_b32_e32 v0, 0x7f, v33
	v_cmp_ne_u32_e32 vcc, s53, v0
	v_mov_b32_e32 v42, 0x7f800001
	s_and_saveexec_b64 s[44:45], vcc
	s_cbranch_execz .LBB317_94
; %bb.93:                               ;   in Loop: Header=BB317_13 Depth=1
	v_and_b32_e32 v2, 7, v33
	v_lshrrev_b32_e32 v3, 3, v0
	v_cmp_gt_u32_e32 vcc, 8, v0
	v_ffbh_u32_e32 v0, v2
	v_min_u32_e32 v4, 32, v0
	v_subrev_u32_e32 v0, 28, v4
	v_lshlrev_b64 v[0:1], v0, v[33:34]
	v_sub_u32_e32 v1, 29, v4
	v_and_b32_e32 v0, 7, v0
	v_cndmask_b32_e32 v1, v3, v1, vcc
	v_cndmask_b32_e32 v0, v2, v0, vcc
	v_lshlrev_b32_e32 v2, 24, v33
	v_bfrev_b32_e32 v3, 60
	v_lshlrev_b32_e32 v0, 20, v0
	v_and_b32_e32 v2, 0x80000000, v2
	v_lshl_add_u32 v1, v1, 23, v3
	v_or3_b32 v42, v2, v1, v0
.LBB317_94:                             ;   in Loop: Header=BB317_13 Depth=1
	s_or_b64 exec, exec, s[44:45]
.LBB317_95:                             ;   in Loop: Header=BB317_13 Depth=1
	s_or_b64 exec, exec, s[42:43]
.LBB317_96:                             ;   in Loop: Header=BB317_13 Depth=1
	s_or_b64 exec, exec, s[6:7]
	v_lshrrev_b16_e32 v34, 8, v33
	v_cmp_ne_u16_e32 vcc, 0, v34
	s_and_saveexec_b64 s[6:7], vcc
	s_cbranch_execz .LBB317_102
; %bb.97:                               ;   in Loop: Header=BB317_13 Depth=1
	v_cmp_ne_u16_e32 vcc, s52, v34
	v_bfrev_b32_e32 v40, 1
	s_and_saveexec_b64 s[42:43], vcc
	s_cbranch_execz .LBB317_101
; %bb.98:                               ;   in Loop: Header=BB317_13 Depth=1
	v_and_b32_e32 v0, 0x7f, v34
	v_cmp_ne_u32_e32 vcc, s53, v0
	v_mov_b32_e32 v40, 0x7f800001
	s_and_saveexec_b64 s[44:45], vcc
	s_cbranch_execz .LBB317_100
; %bb.99:                               ;   in Loop: Header=BB317_13 Depth=1
	v_and_b32_e32 v2, 7, v34
	v_lshrrev_b32_e32 v3, 3, v0
	v_cmp_gt_u32_e32 vcc, 8, v0
	v_ffbh_u32_e32 v0, v2
	v_min_u32_e32 v4, 32, v0
	v_subrev_u32_e32 v0, 28, v4
	v_lshlrev_b64 v[0:1], v0, v[34:35]
	v_sub_u32_e32 v1, 29, v4
	v_and_b32_e32 v0, 7, v0
	v_cndmask_b32_e32 v1, v3, v1, vcc
	v_cndmask_b32_e32 v0, v2, v0, vcc
	v_lshlrev_b32_e32 v2, 16, v33
	v_bfrev_b32_e32 v3, 60
	v_lshlrev_b32_e32 v0, 20, v0
	v_and_b32_e32 v2, 0x80000000, v2
	v_lshl_add_u32 v1, v1, 23, v3
	v_or3_b32 v40, v2, v1, v0
.LBB317_100:                            ;   in Loop: Header=BB317_13 Depth=1
	s_or_b64 exec, exec, s[44:45]
.LBB317_101:                            ;   in Loop: Header=BB317_13 Depth=1
	s_or_b64 exec, exec, s[42:43]
.LBB317_102:                            ;   in Loop: Header=BB317_13 Depth=1
	s_or_b64 exec, exec, s[6:7]
	v_lshrrev_b32_e32 v34, 16, v33
	v_cmp_ne_u16_sdwa s[42:43], v34, v41 src0_sel:BYTE_0 src1_sel:DWORD
	v_mov_b32_e32 v43, 0
	v_mov_b32_e32 v44, 0
	s_and_saveexec_b64 s[6:7], s[42:43]
	s_cbranch_execz .LBB317_108
; %bb.103:                              ;   in Loop: Header=BB317_13 Depth=1
	v_cmp_ne_u16_sdwa s[44:45], v34, s52 src0_sel:BYTE_0 src1_sel:DWORD
	v_bfrev_b32_e32 v44, 1
	s_and_saveexec_b64 s[42:43], s[44:45]
	s_cbranch_execz .LBB317_107
; %bb.104:                              ;   in Loop: Header=BB317_13 Depth=1
	v_bfe_u32 v0, v33, 16, 7
	v_cmp_ne_u32_e32 vcc, s53, v0
	v_mov_b32_e32 v44, 0x7f800001
	s_and_saveexec_b64 s[44:45], vcc
	s_cbranch_execz .LBB317_106
; %bb.105:                              ;   in Loop: Header=BB317_13 Depth=1
	v_and_b32_e32 v2, 7, v34
	v_lshrrev_b32_e32 v3, 3, v0
	v_cmp_gt_u32_e32 vcc, 8, v0
	v_ffbh_u32_e32 v0, v2
	v_min_u32_e32 v4, 32, v0
	v_subrev_u32_e32 v0, 28, v4
	v_lshlrev_b64 v[0:1], v0, v[34:35]
	v_sub_u32_e32 v1, 29, v4
	v_and_b32_e32 v0, 7, v0
	v_cndmask_b32_e32 v1, v3, v1, vcc
	v_cndmask_b32_e32 v0, v2, v0, vcc
	v_lshlrev_b32_e32 v2, 24, v34
	v_bfrev_b32_e32 v3, 60
	v_lshlrev_b32_e32 v0, 20, v0
	v_and_b32_e32 v2, 0x80000000, v2
	v_lshl_add_u32 v1, v1, 23, v3
	v_or3_b32 v44, v2, v1, v0
.LBB317_106:                            ;   in Loop: Header=BB317_13 Depth=1
	s_or_b64 exec, exec, s[44:45]
.LBB317_107:                            ;   in Loop: Header=BB317_13 Depth=1
	s_or_b64 exec, exec, s[42:43]
.LBB317_108:                            ;   in Loop: Header=BB317_13 Depth=1
	s_or_b64 exec, exec, s[6:7]
	v_cmp_lt_u32_e32 vcc, s54, v33
	s_and_saveexec_b64 s[6:7], vcc
	s_cbranch_execz .LBB317_114
; %bb.109:                              ;   in Loop: Header=BB317_13 Depth=1
	v_lshrrev_b32_e32 v34, 24, v33
	v_cmp_ne_u32_e32 vcc, s52, v34
	v_bfrev_b32_e32 v43, 1
	s_and_saveexec_b64 s[42:43], vcc
	s_cbranch_execz .LBB317_113
; %bb.110:                              ;   in Loop: Header=BB317_13 Depth=1
	v_bfe_u32 v0, v33, 24, 7
	v_cmp_ne_u32_e32 vcc, s53, v0
	v_mov_b32_e32 v43, 0x7f800001
	s_and_saveexec_b64 s[44:45], vcc
	s_cbranch_execz .LBB317_112
; %bb.111:                              ;   in Loop: Header=BB317_13 Depth=1
	v_and_b32_e32 v2, 7, v34
	v_lshrrev_b32_e32 v3, 3, v0
	v_cmp_gt_u32_e32 vcc, 8, v0
	v_ffbh_u32_e32 v0, v2
	v_min_u32_e32 v4, 32, v0
	v_subrev_u32_e32 v0, 28, v4
	v_lshlrev_b64 v[0:1], v0, v[34:35]
	v_sub_u32_e32 v1, 29, v4
	v_and_b32_e32 v0, 7, v0
	v_cndmask_b32_e32 v1, v3, v1, vcc
	v_cndmask_b32_e32 v0, v2, v0, vcc
	v_lshlrev_b32_e32 v2, 24, v34
	v_bfrev_b32_e32 v3, 60
	v_lshlrev_b32_e32 v0, 20, v0
	v_and_b32_e32 v2, 0x80000000, v2
	v_lshl_add_u32 v1, v1, 23, v3
	v_or3_b32 v43, v2, v1, v0
.LBB317_112:                            ;   in Loop: Header=BB317_13 Depth=1
	s_or_b64 exec, exec, s[44:45]
.LBB317_113:                            ;   in Loop: Header=BB317_13 Depth=1
	s_or_b64 exec, exec, s[42:43]
.LBB317_114:                            ;   in Loop: Header=BB317_13 Depth=1
	s_or_b64 exec, exec, s[6:7]
	global_load_dword v33, v[31:32], off offset:1024
	v_mov_b32_e32 v45, 0
	v_mov_b32_e32 v46, 0
	s_waitcnt vmcnt(0)
	v_cmp_ne_u16_sdwa s[42:43], v33, v41 src0_sel:BYTE_0 src1_sel:DWORD
	s_and_saveexec_b64 s[6:7], s[42:43]
	s_cbranch_execz .LBB317_120
; %bb.115:                              ;   in Loop: Header=BB317_13 Depth=1
	v_cmp_ne_u16_sdwa s[44:45], v33, s52 src0_sel:BYTE_0 src1_sel:DWORD
	v_bfrev_b32_e32 v46, 1
	s_and_saveexec_b64 s[42:43], s[44:45]
	s_cbranch_execz .LBB317_119
; %bb.116:                              ;   in Loop: Header=BB317_13 Depth=1
	v_and_b32_e32 v0, 0x7f, v33
	v_cmp_ne_u32_e32 vcc, s53, v0
	v_mov_b32_e32 v46, 0x7f800001
	s_and_saveexec_b64 s[44:45], vcc
	s_cbranch_execz .LBB317_118
; %bb.117:                              ;   in Loop: Header=BB317_13 Depth=1
	v_and_b32_e32 v2, 7, v33
	v_lshrrev_b32_e32 v3, 3, v0
	v_cmp_gt_u32_e32 vcc, 8, v0
	v_ffbh_u32_e32 v0, v2
	v_min_u32_e32 v4, 32, v0
	v_subrev_u32_e32 v0, 28, v4
	v_lshlrev_b64 v[0:1], v0, v[33:34]
	v_sub_u32_e32 v1, 29, v4
	v_and_b32_e32 v0, 7, v0
	v_cndmask_b32_e32 v1, v3, v1, vcc
	v_cndmask_b32_e32 v0, v2, v0, vcc
	v_lshlrev_b32_e32 v2, 24, v33
	v_bfrev_b32_e32 v3, 60
	v_lshlrev_b32_e32 v0, 20, v0
	v_and_b32_e32 v2, 0x80000000, v2
	v_lshl_add_u32 v1, v1, 23, v3
	v_or3_b32 v46, v2, v1, v0
.LBB317_118:                            ;   in Loop: Header=BB317_13 Depth=1
	s_or_b64 exec, exec, s[44:45]
.LBB317_119:                            ;   in Loop: Header=BB317_13 Depth=1
	s_or_b64 exec, exec, s[42:43]
.LBB317_120:                            ;   in Loop: Header=BB317_13 Depth=1
	s_or_b64 exec, exec, s[6:7]
	v_lshrrev_b16_e32 v34, 8, v33
	v_cmp_ne_u16_e32 vcc, 0, v34
	s_and_saveexec_b64 s[6:7], vcc
	s_cbranch_execz .LBB317_126
; %bb.121:                              ;   in Loop: Header=BB317_13 Depth=1
	v_cmp_ne_u16_e32 vcc, s52, v34
	v_bfrev_b32_e32 v45, 1
	s_and_saveexec_b64 s[42:43], vcc
	s_cbranch_execz .LBB317_125
; %bb.122:                              ;   in Loop: Header=BB317_13 Depth=1
	v_and_b32_e32 v0, 0x7f, v34
	v_cmp_ne_u32_e32 vcc, s53, v0
	v_mov_b32_e32 v45, 0x7f800001
	s_and_saveexec_b64 s[44:45], vcc
	s_cbranch_execz .LBB317_124
; %bb.123:                              ;   in Loop: Header=BB317_13 Depth=1
	v_and_b32_e32 v2, 7, v34
	v_lshrrev_b32_e32 v3, 3, v0
	v_cmp_gt_u32_e32 vcc, 8, v0
	v_ffbh_u32_e32 v0, v2
	v_min_u32_e32 v4, 32, v0
	v_subrev_u32_e32 v0, 28, v4
	v_lshlrev_b64 v[0:1], v0, v[34:35]
	v_sub_u32_e32 v1, 29, v4
	v_and_b32_e32 v0, 7, v0
	v_cndmask_b32_e32 v1, v3, v1, vcc
	v_cndmask_b32_e32 v0, v2, v0, vcc
	v_lshlrev_b32_e32 v2, 16, v33
	v_bfrev_b32_e32 v3, 60
	v_lshlrev_b32_e32 v0, 20, v0
	v_and_b32_e32 v2, 0x80000000, v2
	v_lshl_add_u32 v1, v1, 23, v3
	v_or3_b32 v45, v2, v1, v0
.LBB317_124:                            ;   in Loop: Header=BB317_13 Depth=1
	s_or_b64 exec, exec, s[44:45]
.LBB317_125:                            ;   in Loop: Header=BB317_13 Depth=1
	s_or_b64 exec, exec, s[42:43]
.LBB317_126:                            ;   in Loop: Header=BB317_13 Depth=1
	s_or_b64 exec, exec, s[6:7]
	v_lshrrev_b32_e32 v34, 16, v33
	v_cmp_ne_u16_sdwa s[42:43], v34, v41 src0_sel:BYTE_0 src1_sel:DWORD
	v_mov_b32_e32 v47, 0
	v_mov_b32_e32 v48, 0
	s_and_saveexec_b64 s[6:7], s[42:43]
	s_cbranch_execz .LBB317_132
; %bb.127:                              ;   in Loop: Header=BB317_13 Depth=1
	v_cmp_ne_u16_sdwa s[44:45], v34, s52 src0_sel:BYTE_0 src1_sel:DWORD
	v_bfrev_b32_e32 v48, 1
	s_and_saveexec_b64 s[42:43], s[44:45]
	s_cbranch_execz .LBB317_131
; %bb.128:                              ;   in Loop: Header=BB317_13 Depth=1
	v_bfe_u32 v0, v33, 16, 7
	v_cmp_ne_u32_e32 vcc, s53, v0
	v_mov_b32_e32 v48, 0x7f800001
	s_and_saveexec_b64 s[44:45], vcc
	s_cbranch_execz .LBB317_130
; %bb.129:                              ;   in Loop: Header=BB317_13 Depth=1
	v_and_b32_e32 v2, 7, v34
	v_lshrrev_b32_e32 v3, 3, v0
	v_cmp_gt_u32_e32 vcc, 8, v0
	v_ffbh_u32_e32 v0, v2
	v_min_u32_e32 v4, 32, v0
	v_subrev_u32_e32 v0, 28, v4
	v_lshlrev_b64 v[0:1], v0, v[34:35]
	v_sub_u32_e32 v1, 29, v4
	v_and_b32_e32 v0, 7, v0
	v_cndmask_b32_e32 v1, v3, v1, vcc
	v_cndmask_b32_e32 v0, v2, v0, vcc
	v_lshlrev_b32_e32 v2, 24, v34
	v_bfrev_b32_e32 v3, 60
	v_lshlrev_b32_e32 v0, 20, v0
	v_and_b32_e32 v2, 0x80000000, v2
	v_lshl_add_u32 v1, v1, 23, v3
	v_or3_b32 v48, v2, v1, v0
.LBB317_130:                            ;   in Loop: Header=BB317_13 Depth=1
	s_or_b64 exec, exec, s[44:45]
.LBB317_131:                            ;   in Loop: Header=BB317_13 Depth=1
	s_or_b64 exec, exec, s[42:43]
.LBB317_132:                            ;   in Loop: Header=BB317_13 Depth=1
	s_or_b64 exec, exec, s[6:7]
	v_cmp_lt_u32_e32 vcc, s54, v33
	s_and_saveexec_b64 s[6:7], vcc
	s_cbranch_execz .LBB317_138
; %bb.133:                              ;   in Loop: Header=BB317_13 Depth=1
	v_lshrrev_b32_e32 v34, 24, v33
	v_cmp_ne_u32_e32 vcc, s52, v34
	v_bfrev_b32_e32 v47, 1
	s_and_saveexec_b64 s[42:43], vcc
	s_cbranch_execz .LBB317_137
; %bb.134:                              ;   in Loop: Header=BB317_13 Depth=1
	v_bfe_u32 v0, v33, 24, 7
	v_cmp_ne_u32_e32 vcc, s53, v0
	v_mov_b32_e32 v47, 0x7f800001
	s_and_saveexec_b64 s[44:45], vcc
	s_cbranch_execz .LBB317_136
; %bb.135:                              ;   in Loop: Header=BB317_13 Depth=1
	v_and_b32_e32 v2, 7, v34
	v_lshrrev_b32_e32 v3, 3, v0
	v_cmp_gt_u32_e32 vcc, 8, v0
	v_ffbh_u32_e32 v0, v2
	v_min_u32_e32 v4, 32, v0
	v_subrev_u32_e32 v0, 28, v4
	v_lshlrev_b64 v[0:1], v0, v[34:35]
	v_sub_u32_e32 v1, 29, v4
	v_and_b32_e32 v0, 7, v0
	v_cndmask_b32_e32 v1, v3, v1, vcc
	v_cndmask_b32_e32 v0, v2, v0, vcc
	v_lshlrev_b32_e32 v2, 24, v34
	v_bfrev_b32_e32 v3, 60
	v_lshlrev_b32_e32 v0, 20, v0
	v_and_b32_e32 v2, 0x80000000, v2
	v_lshl_add_u32 v1, v1, 23, v3
	v_or3_b32 v47, v2, v1, v0
.LBB317_136:                            ;   in Loop: Header=BB317_13 Depth=1
	s_or_b64 exec, exec, s[44:45]
.LBB317_137:                            ;   in Loop: Header=BB317_13 Depth=1
	s_or_b64 exec, exec, s[42:43]
.LBB317_138:                            ;   in Loop: Header=BB317_13 Depth=1
	s_or_b64 exec, exec, s[6:7]
	global_load_dword v33, v[31:32], off offset:1032
	v_mov_b32_e32 v49, 0
	v_mov_b32_e32 v50, 0
	s_waitcnt vmcnt(0)
	v_cmp_ne_u16_sdwa s[42:43], v33, v41 src0_sel:BYTE_0 src1_sel:DWORD
	s_and_saveexec_b64 s[6:7], s[42:43]
	s_cbranch_execz .LBB317_144
; %bb.139:                              ;   in Loop: Header=BB317_13 Depth=1
	v_cmp_ne_u16_sdwa s[44:45], v33, s52 src0_sel:BYTE_0 src1_sel:DWORD
	v_bfrev_b32_e32 v50, 1
	s_and_saveexec_b64 s[42:43], s[44:45]
	s_cbranch_execz .LBB317_143
; %bb.140:                              ;   in Loop: Header=BB317_13 Depth=1
	v_and_b32_e32 v0, 0x7f, v33
	v_cmp_ne_u32_e32 vcc, s53, v0
	v_mov_b32_e32 v50, 0x7f800001
	s_and_saveexec_b64 s[44:45], vcc
	s_cbranch_execz .LBB317_142
; %bb.141:                              ;   in Loop: Header=BB317_13 Depth=1
	v_and_b32_e32 v2, 7, v33
	v_lshrrev_b32_e32 v3, 3, v0
	v_cmp_gt_u32_e32 vcc, 8, v0
	v_ffbh_u32_e32 v0, v2
	v_min_u32_e32 v4, 32, v0
	v_subrev_u32_e32 v0, 28, v4
	v_lshlrev_b64 v[0:1], v0, v[33:34]
	v_sub_u32_e32 v1, 29, v4
	v_and_b32_e32 v0, 7, v0
	v_cndmask_b32_e32 v1, v3, v1, vcc
	v_cndmask_b32_e32 v0, v2, v0, vcc
	v_lshlrev_b32_e32 v2, 24, v33
	v_bfrev_b32_e32 v3, 60
	v_lshlrev_b32_e32 v0, 20, v0
	v_and_b32_e32 v2, 0x80000000, v2
	v_lshl_add_u32 v1, v1, 23, v3
	v_or3_b32 v50, v2, v1, v0
.LBB317_142:                            ;   in Loop: Header=BB317_13 Depth=1
	s_or_b64 exec, exec, s[44:45]
.LBB317_143:                            ;   in Loop: Header=BB317_13 Depth=1
	s_or_b64 exec, exec, s[42:43]
.LBB317_144:                            ;   in Loop: Header=BB317_13 Depth=1
	s_or_b64 exec, exec, s[6:7]
	v_lshrrev_b16_e32 v34, 8, v33
	v_cmp_ne_u16_e32 vcc, 0, v34
	s_and_saveexec_b64 s[6:7], vcc
	s_cbranch_execz .LBB317_150
; %bb.145:                              ;   in Loop: Header=BB317_13 Depth=1
	v_cmp_ne_u16_e32 vcc, s52, v34
	v_bfrev_b32_e32 v49, 1
	s_and_saveexec_b64 s[42:43], vcc
	s_cbranch_execz .LBB317_149
; %bb.146:                              ;   in Loop: Header=BB317_13 Depth=1
	v_and_b32_e32 v0, 0x7f, v34
	v_cmp_ne_u32_e32 vcc, s53, v0
	v_mov_b32_e32 v49, 0x7f800001
	s_and_saveexec_b64 s[44:45], vcc
	s_cbranch_execz .LBB317_148
; %bb.147:                              ;   in Loop: Header=BB317_13 Depth=1
	v_and_b32_e32 v2, 7, v34
	v_lshrrev_b32_e32 v3, 3, v0
	v_cmp_gt_u32_e32 vcc, 8, v0
	v_ffbh_u32_e32 v0, v2
	v_min_u32_e32 v4, 32, v0
	v_subrev_u32_e32 v0, 28, v4
	v_lshlrev_b64 v[0:1], v0, v[34:35]
	v_sub_u32_e32 v1, 29, v4
	v_and_b32_e32 v0, 7, v0
	v_cndmask_b32_e32 v1, v3, v1, vcc
	v_cndmask_b32_e32 v0, v2, v0, vcc
	v_lshlrev_b32_e32 v2, 16, v33
	v_bfrev_b32_e32 v3, 60
	v_lshlrev_b32_e32 v0, 20, v0
	v_and_b32_e32 v2, 0x80000000, v2
	v_lshl_add_u32 v1, v1, 23, v3
	v_or3_b32 v49, v2, v1, v0
.LBB317_148:                            ;   in Loop: Header=BB317_13 Depth=1
	s_or_b64 exec, exec, s[44:45]
.LBB317_149:                            ;   in Loop: Header=BB317_13 Depth=1
	s_or_b64 exec, exec, s[42:43]
.LBB317_150:                            ;   in Loop: Header=BB317_13 Depth=1
	s_or_b64 exec, exec, s[6:7]
	v_lshrrev_b32_e32 v34, 16, v33
	v_cmp_ne_u16_sdwa s[42:43], v34, v41 src0_sel:BYTE_0 src1_sel:DWORD
	v_mov_b32_e32 v51, 0
	v_mov_b32_e32 v52, 0
	s_and_saveexec_b64 s[6:7], s[42:43]
	s_cbranch_execz .LBB317_156
; %bb.151:                              ;   in Loop: Header=BB317_13 Depth=1
	v_cmp_ne_u16_sdwa s[44:45], v34, s52 src0_sel:BYTE_0 src1_sel:DWORD
	v_bfrev_b32_e32 v52, 1
	s_and_saveexec_b64 s[42:43], s[44:45]
	s_cbranch_execz .LBB317_155
; %bb.152:                              ;   in Loop: Header=BB317_13 Depth=1
	v_bfe_u32 v0, v33, 16, 7
	v_cmp_ne_u32_e32 vcc, s53, v0
	v_mov_b32_e32 v52, 0x7f800001
	s_and_saveexec_b64 s[44:45], vcc
	s_cbranch_execz .LBB317_154
; %bb.153:                              ;   in Loop: Header=BB317_13 Depth=1
	v_and_b32_e32 v2, 7, v34
	v_lshrrev_b32_e32 v3, 3, v0
	v_cmp_gt_u32_e32 vcc, 8, v0
	v_ffbh_u32_e32 v0, v2
	v_min_u32_e32 v4, 32, v0
	v_subrev_u32_e32 v0, 28, v4
	v_lshlrev_b64 v[0:1], v0, v[34:35]
	v_sub_u32_e32 v1, 29, v4
	v_and_b32_e32 v0, 7, v0
	v_cndmask_b32_e32 v1, v3, v1, vcc
	v_cndmask_b32_e32 v0, v2, v0, vcc
	v_lshlrev_b32_e32 v2, 24, v34
	v_bfrev_b32_e32 v3, 60
	v_lshlrev_b32_e32 v0, 20, v0
	v_and_b32_e32 v2, 0x80000000, v2
	v_lshl_add_u32 v1, v1, 23, v3
	v_or3_b32 v52, v2, v1, v0
.LBB317_154:                            ;   in Loop: Header=BB317_13 Depth=1
	s_or_b64 exec, exec, s[44:45]
.LBB317_155:                            ;   in Loop: Header=BB317_13 Depth=1
	s_or_b64 exec, exec, s[42:43]
.LBB317_156:                            ;   in Loop: Header=BB317_13 Depth=1
	s_or_b64 exec, exec, s[6:7]
	v_cmp_lt_u32_e32 vcc, s54, v33
	s_and_saveexec_b64 s[6:7], vcc
	s_cbranch_execz .LBB317_162
; %bb.157:                              ;   in Loop: Header=BB317_13 Depth=1
	v_lshrrev_b32_e32 v34, 24, v33
	v_cmp_ne_u32_e32 vcc, s52, v34
	v_bfrev_b32_e32 v51, 1
	s_and_saveexec_b64 s[42:43], vcc
	s_cbranch_execz .LBB317_161
; %bb.158:                              ;   in Loop: Header=BB317_13 Depth=1
	v_bfe_u32 v0, v33, 24, 7
	v_cmp_ne_u32_e32 vcc, s53, v0
	v_mov_b32_e32 v51, 0x7f800001
	s_and_saveexec_b64 s[44:45], vcc
	s_cbranch_execz .LBB317_160
; %bb.159:                              ;   in Loop: Header=BB317_13 Depth=1
	v_and_b32_e32 v2, 7, v34
	v_lshrrev_b32_e32 v3, 3, v0
	v_cmp_gt_u32_e32 vcc, 8, v0
	v_ffbh_u32_e32 v0, v2
	v_min_u32_e32 v4, 32, v0
	v_subrev_u32_e32 v0, 28, v4
	v_lshlrev_b64 v[0:1], v0, v[34:35]
	v_sub_u32_e32 v1, 29, v4
	v_and_b32_e32 v0, 7, v0
	v_cndmask_b32_e32 v1, v3, v1, vcc
	v_cndmask_b32_e32 v0, v2, v0, vcc
	v_lshlrev_b32_e32 v2, 24, v34
	v_bfrev_b32_e32 v3, 60
	v_lshlrev_b32_e32 v0, 20, v0
	v_and_b32_e32 v2, 0x80000000, v2
	v_lshl_add_u32 v1, v1, 23, v3
	v_or3_b32 v51, v2, v1, v0
.LBB317_160:                            ;   in Loop: Header=BB317_13 Depth=1
	s_or_b64 exec, exec, s[44:45]
.LBB317_161:                            ;   in Loop: Header=BB317_13 Depth=1
	s_or_b64 exec, exec, s[42:43]
.LBB317_162:                            ;   in Loop: Header=BB317_13 Depth=1
	s_or_b64 exec, exec, s[6:7]
	global_load_dword v33, v[31:32], off offset:1536
	v_mov_b32_e32 v57, 0
	v_mov_b32_e32 v58, 0
	s_waitcnt vmcnt(0)
	v_cmp_ne_u16_sdwa s[42:43], v33, v41 src0_sel:BYTE_0 src1_sel:DWORD
	s_and_saveexec_b64 s[6:7], s[42:43]
	s_cbranch_execz .LBB317_168
; %bb.163:                              ;   in Loop: Header=BB317_13 Depth=1
	v_cmp_ne_u16_sdwa s[44:45], v33, s52 src0_sel:BYTE_0 src1_sel:DWORD
	v_bfrev_b32_e32 v58, 1
	s_and_saveexec_b64 s[42:43], s[44:45]
	s_cbranch_execz .LBB317_167
; %bb.164:                              ;   in Loop: Header=BB317_13 Depth=1
	v_and_b32_e32 v0, 0x7f, v33
	v_cmp_ne_u32_e32 vcc, s53, v0
	v_mov_b32_e32 v58, 0x7f800001
	s_and_saveexec_b64 s[44:45], vcc
	s_cbranch_execz .LBB317_166
; %bb.165:                              ;   in Loop: Header=BB317_13 Depth=1
	v_and_b32_e32 v2, 7, v33
	v_lshrrev_b32_e32 v3, 3, v0
	v_cmp_gt_u32_e32 vcc, 8, v0
	v_ffbh_u32_e32 v0, v2
	v_min_u32_e32 v4, 32, v0
	v_subrev_u32_e32 v0, 28, v4
	v_lshlrev_b64 v[0:1], v0, v[33:34]
	v_sub_u32_e32 v1, 29, v4
	v_and_b32_e32 v0, 7, v0
	v_cndmask_b32_e32 v1, v3, v1, vcc
	v_cndmask_b32_e32 v0, v2, v0, vcc
	v_lshlrev_b32_e32 v2, 24, v33
	v_bfrev_b32_e32 v3, 60
	v_lshlrev_b32_e32 v0, 20, v0
	v_and_b32_e32 v2, 0x80000000, v2
	v_lshl_add_u32 v1, v1, 23, v3
	v_or3_b32 v58, v2, v1, v0
.LBB317_166:                            ;   in Loop: Header=BB317_13 Depth=1
	s_or_b64 exec, exec, s[44:45]
.LBB317_167:                            ;   in Loop: Header=BB317_13 Depth=1
	s_or_b64 exec, exec, s[42:43]
.LBB317_168:                            ;   in Loop: Header=BB317_13 Depth=1
	s_or_b64 exec, exec, s[6:7]
	v_lshrrev_b16_e32 v34, 8, v33
	v_cmp_ne_u16_e32 vcc, 0, v34
	s_and_saveexec_b64 s[6:7], vcc
	s_cbranch_execz .LBB317_174
; %bb.169:                              ;   in Loop: Header=BB317_13 Depth=1
	v_cmp_ne_u16_e32 vcc, s52, v34
	v_bfrev_b32_e32 v57, 1
	s_and_saveexec_b64 s[42:43], vcc
	s_cbranch_execz .LBB317_173
; %bb.170:                              ;   in Loop: Header=BB317_13 Depth=1
	v_and_b32_e32 v0, 0x7f, v34
	v_cmp_ne_u32_e32 vcc, s53, v0
	v_mov_b32_e32 v57, 0x7f800001
	s_and_saveexec_b64 s[44:45], vcc
	s_cbranch_execz .LBB317_172
; %bb.171:                              ;   in Loop: Header=BB317_13 Depth=1
	v_and_b32_e32 v2, 7, v34
	v_lshrrev_b32_e32 v3, 3, v0
	v_cmp_gt_u32_e32 vcc, 8, v0
	v_ffbh_u32_e32 v0, v2
	v_min_u32_e32 v4, 32, v0
	v_subrev_u32_e32 v0, 28, v4
	v_lshlrev_b64 v[0:1], v0, v[34:35]
	v_sub_u32_e32 v1, 29, v4
	v_and_b32_e32 v0, 7, v0
	v_cndmask_b32_e32 v1, v3, v1, vcc
	v_cndmask_b32_e32 v0, v2, v0, vcc
	v_lshlrev_b32_e32 v2, 16, v33
	v_bfrev_b32_e32 v3, 60
	v_lshlrev_b32_e32 v0, 20, v0
	v_and_b32_e32 v2, 0x80000000, v2
	v_lshl_add_u32 v1, v1, 23, v3
	v_or3_b32 v57, v2, v1, v0
.LBB317_172:                            ;   in Loop: Header=BB317_13 Depth=1
	s_or_b64 exec, exec, s[44:45]
.LBB317_173:                            ;   in Loop: Header=BB317_13 Depth=1
	s_or_b64 exec, exec, s[42:43]
.LBB317_174:                            ;   in Loop: Header=BB317_13 Depth=1
	s_or_b64 exec, exec, s[6:7]
	v_lshrrev_b32_e32 v34, 16, v33
	v_cmp_ne_u16_sdwa s[42:43], v34, v41 src0_sel:BYTE_0 src1_sel:DWORD
	v_mov_b32_e32 v59, 0
	v_mov_b32_e32 v60, 0
	s_and_saveexec_b64 s[6:7], s[42:43]
	s_cbranch_execz .LBB317_180
; %bb.175:                              ;   in Loop: Header=BB317_13 Depth=1
	v_cmp_ne_u16_sdwa s[44:45], v34, s52 src0_sel:BYTE_0 src1_sel:DWORD
	v_bfrev_b32_e32 v60, 1
	s_and_saveexec_b64 s[42:43], s[44:45]
	s_cbranch_execz .LBB317_179
; %bb.176:                              ;   in Loop: Header=BB317_13 Depth=1
	v_bfe_u32 v0, v33, 16, 7
	v_cmp_ne_u32_e32 vcc, s53, v0
	v_mov_b32_e32 v60, 0x7f800001
	s_and_saveexec_b64 s[44:45], vcc
	s_cbranch_execz .LBB317_178
; %bb.177:                              ;   in Loop: Header=BB317_13 Depth=1
	v_and_b32_e32 v2, 7, v34
	v_lshrrev_b32_e32 v3, 3, v0
	v_cmp_gt_u32_e32 vcc, 8, v0
	v_ffbh_u32_e32 v0, v2
	v_min_u32_e32 v4, 32, v0
	v_subrev_u32_e32 v0, 28, v4
	v_lshlrev_b64 v[0:1], v0, v[34:35]
	v_sub_u32_e32 v1, 29, v4
	v_and_b32_e32 v0, 7, v0
	v_cndmask_b32_e32 v1, v3, v1, vcc
	v_cndmask_b32_e32 v0, v2, v0, vcc
	v_lshlrev_b32_e32 v2, 24, v34
	v_bfrev_b32_e32 v3, 60
	v_lshlrev_b32_e32 v0, 20, v0
	v_and_b32_e32 v2, 0x80000000, v2
	v_lshl_add_u32 v1, v1, 23, v3
	v_or3_b32 v60, v2, v1, v0
.LBB317_178:                            ;   in Loop: Header=BB317_13 Depth=1
	s_or_b64 exec, exec, s[44:45]
.LBB317_179:                            ;   in Loop: Header=BB317_13 Depth=1
	s_or_b64 exec, exec, s[42:43]
.LBB317_180:                            ;   in Loop: Header=BB317_13 Depth=1
	s_or_b64 exec, exec, s[6:7]
	v_cmp_lt_u32_e32 vcc, s54, v33
	s_and_saveexec_b64 s[6:7], vcc
	s_cbranch_execz .LBB317_186
; %bb.181:                              ;   in Loop: Header=BB317_13 Depth=1
	v_lshrrev_b32_e32 v34, 24, v33
	v_cmp_ne_u32_e32 vcc, s52, v34
	v_bfrev_b32_e32 v59, 1
	s_and_saveexec_b64 s[42:43], vcc
	s_cbranch_execz .LBB317_185
; %bb.182:                              ;   in Loop: Header=BB317_13 Depth=1
	v_bfe_u32 v0, v33, 24, 7
	v_cmp_ne_u32_e32 vcc, s53, v0
	v_mov_b32_e32 v59, 0x7f800001
	s_and_saveexec_b64 s[44:45], vcc
	s_cbranch_execz .LBB317_184
; %bb.183:                              ;   in Loop: Header=BB317_13 Depth=1
	v_and_b32_e32 v2, 7, v34
	v_lshrrev_b32_e32 v3, 3, v0
	v_cmp_gt_u32_e32 vcc, 8, v0
	v_ffbh_u32_e32 v0, v2
	v_min_u32_e32 v4, 32, v0
	v_subrev_u32_e32 v0, 28, v4
	v_lshlrev_b64 v[0:1], v0, v[34:35]
	v_sub_u32_e32 v1, 29, v4
	v_and_b32_e32 v0, 7, v0
	v_cndmask_b32_e32 v1, v3, v1, vcc
	v_cndmask_b32_e32 v0, v2, v0, vcc
	v_lshlrev_b32_e32 v2, 24, v34
	v_bfrev_b32_e32 v3, 60
	v_lshlrev_b32_e32 v0, 20, v0
	v_and_b32_e32 v2, 0x80000000, v2
	v_lshl_add_u32 v1, v1, 23, v3
	v_or3_b32 v59, v2, v1, v0
.LBB317_184:                            ;   in Loop: Header=BB317_13 Depth=1
	s_or_b64 exec, exec, s[44:45]
.LBB317_185:                            ;   in Loop: Header=BB317_13 Depth=1
	s_or_b64 exec, exec, s[42:43]
.LBB317_186:                            ;   in Loop: Header=BB317_13 Depth=1
	s_or_b64 exec, exec, s[6:7]
	global_load_dword v33, v[31:32], off offset:1544
	v_mov_b32_e32 v61, 0
	v_mov_b32_e32 v62, 0
	s_waitcnt vmcnt(0)
	v_cmp_ne_u16_sdwa s[42:43], v33, v41 src0_sel:BYTE_0 src1_sel:DWORD
	s_and_saveexec_b64 s[6:7], s[42:43]
	s_cbranch_execz .LBB317_192
; %bb.187:                              ;   in Loop: Header=BB317_13 Depth=1
	v_cmp_ne_u16_sdwa s[44:45], v33, s52 src0_sel:BYTE_0 src1_sel:DWORD
	v_bfrev_b32_e32 v62, 1
	s_and_saveexec_b64 s[42:43], s[44:45]
	s_cbranch_execz .LBB317_191
; %bb.188:                              ;   in Loop: Header=BB317_13 Depth=1
	v_and_b32_e32 v0, 0x7f, v33
	v_cmp_ne_u32_e32 vcc, s53, v0
	v_mov_b32_e32 v62, 0x7f800001
	s_and_saveexec_b64 s[44:45], vcc
	s_cbranch_execz .LBB317_190
; %bb.189:                              ;   in Loop: Header=BB317_13 Depth=1
	v_and_b32_e32 v2, 7, v33
	v_lshrrev_b32_e32 v3, 3, v0
	v_cmp_gt_u32_e32 vcc, 8, v0
	v_ffbh_u32_e32 v0, v2
	v_min_u32_e32 v4, 32, v0
	v_subrev_u32_e32 v0, 28, v4
	v_lshlrev_b64 v[0:1], v0, v[33:34]
	v_sub_u32_e32 v1, 29, v4
	v_and_b32_e32 v0, 7, v0
	v_cndmask_b32_e32 v1, v3, v1, vcc
	v_cndmask_b32_e32 v0, v2, v0, vcc
	v_lshlrev_b32_e32 v2, 24, v33
	v_bfrev_b32_e32 v3, 60
	v_lshlrev_b32_e32 v0, 20, v0
	v_and_b32_e32 v2, 0x80000000, v2
	v_lshl_add_u32 v1, v1, 23, v3
	v_or3_b32 v62, v2, v1, v0
.LBB317_190:                            ;   in Loop: Header=BB317_13 Depth=1
	s_or_b64 exec, exec, s[44:45]
.LBB317_191:                            ;   in Loop: Header=BB317_13 Depth=1
	s_or_b64 exec, exec, s[42:43]
.LBB317_192:                            ;   in Loop: Header=BB317_13 Depth=1
	s_or_b64 exec, exec, s[6:7]
	v_lshrrev_b16_e32 v34, 8, v33
	v_cmp_ne_u16_e32 vcc, 0, v34
	s_and_saveexec_b64 s[6:7], vcc
	s_cbranch_execz .LBB317_198
; %bb.193:                              ;   in Loop: Header=BB317_13 Depth=1
	v_cmp_ne_u16_e32 vcc, s52, v34
	v_bfrev_b32_e32 v61, 1
	s_and_saveexec_b64 s[42:43], vcc
	s_cbranch_execz .LBB317_197
; %bb.194:                              ;   in Loop: Header=BB317_13 Depth=1
	v_and_b32_e32 v0, 0x7f, v34
	v_cmp_ne_u32_e32 vcc, s53, v0
	v_mov_b32_e32 v61, 0x7f800001
	s_and_saveexec_b64 s[44:45], vcc
	s_cbranch_execz .LBB317_196
; %bb.195:                              ;   in Loop: Header=BB317_13 Depth=1
	v_and_b32_e32 v2, 7, v34
	v_lshrrev_b32_e32 v3, 3, v0
	v_cmp_gt_u32_e32 vcc, 8, v0
	v_ffbh_u32_e32 v0, v2
	v_min_u32_e32 v4, 32, v0
	v_subrev_u32_e32 v0, 28, v4
	v_lshlrev_b64 v[0:1], v0, v[34:35]
	v_sub_u32_e32 v1, 29, v4
	v_and_b32_e32 v0, 7, v0
	v_cndmask_b32_e32 v1, v3, v1, vcc
	v_cndmask_b32_e32 v0, v2, v0, vcc
	v_lshlrev_b32_e32 v2, 16, v33
	v_bfrev_b32_e32 v3, 60
	v_lshlrev_b32_e32 v0, 20, v0
	v_and_b32_e32 v2, 0x80000000, v2
	v_lshl_add_u32 v1, v1, 23, v3
	v_or3_b32 v61, v2, v1, v0
.LBB317_196:                            ;   in Loop: Header=BB317_13 Depth=1
	s_or_b64 exec, exec, s[44:45]
.LBB317_197:                            ;   in Loop: Header=BB317_13 Depth=1
	s_or_b64 exec, exec, s[42:43]
.LBB317_198:                            ;   in Loop: Header=BB317_13 Depth=1
	s_or_b64 exec, exec, s[6:7]
	v_lshrrev_b32_e32 v34, 16, v33
	v_cmp_ne_u16_sdwa s[42:43], v34, v41 src0_sel:BYTE_0 src1_sel:DWORD
	v_mov_b32_e32 v63, 0
	v_mov_b32_e32 v0, 0
	buffer_store_dword v0, off, s[60:63], 0 offset:28 ; 4-byte Folded Spill
	s_and_saveexec_b64 s[6:7], s[42:43]
	s_cbranch_execz .LBB317_204
; %bb.199:                              ;   in Loop: Header=BB317_13 Depth=1
	v_cmp_ne_u16_sdwa s[44:45], v34, s52 src0_sel:BYTE_0 src1_sel:DWORD
	v_bfrev_b32_e32 v0, 1
	buffer_store_dword v0, off, s[60:63], 0 offset:28 ; 4-byte Folded Spill
	s_and_saveexec_b64 s[42:43], s[44:45]
	s_cbranch_execz .LBB317_203
; %bb.200:                              ;   in Loop: Header=BB317_13 Depth=1
	v_bfe_u32 v0, v33, 16, 7
	v_cmp_ne_u32_e32 vcc, s53, v0
	v_mov_b32_e32 v1, 0x7f800001
	buffer_store_dword v1, off, s[60:63], 0 offset:28 ; 4-byte Folded Spill
	s_and_saveexec_b64 s[44:45], vcc
	s_cbranch_execz .LBB317_202
; %bb.201:                              ;   in Loop: Header=BB317_13 Depth=1
	v_and_b32_e32 v2, 7, v34
	v_lshrrev_b32_e32 v3, 3, v0
	v_cmp_gt_u32_e32 vcc, 8, v0
	v_ffbh_u32_e32 v0, v2
	v_min_u32_e32 v4, 32, v0
	v_subrev_u32_e32 v0, 28, v4
	v_lshlrev_b64 v[0:1], v0, v[34:35]
	v_sub_u32_e32 v1, 29, v4
	v_and_b32_e32 v0, 7, v0
	v_cndmask_b32_e32 v1, v3, v1, vcc
	v_cndmask_b32_e32 v0, v2, v0, vcc
	v_lshlrev_b32_e32 v2, 24, v34
	v_bfrev_b32_e32 v3, 60
	v_lshlrev_b32_e32 v0, 20, v0
	v_and_b32_e32 v2, 0x80000000, v2
	v_lshl_add_u32 v1, v1, 23, v3
	v_or3_b32 v0, v2, v1, v0
	buffer_store_dword v0, off, s[60:63], 0 offset:28 ; 4-byte Folded Spill
.LBB317_202:                            ;   in Loop: Header=BB317_13 Depth=1
	s_or_b64 exec, exec, s[44:45]
.LBB317_203:                            ;   in Loop: Header=BB317_13 Depth=1
	s_or_b64 exec, exec, s[42:43]
.LBB317_204:                            ;   in Loop: Header=BB317_13 Depth=1
	s_or_b64 exec, exec, s[6:7]
	v_cmp_lt_u32_e32 vcc, s54, v33
	s_and_saveexec_b64 s[6:7], vcc
	s_cbranch_execz .LBB317_210
; %bb.205:                              ;   in Loop: Header=BB317_13 Depth=1
	v_lshrrev_b32_e32 v34, 24, v33
	v_cmp_ne_u32_e32 vcc, s52, v34
	v_bfrev_b32_e32 v63, 1
	s_and_saveexec_b64 s[42:43], vcc
	s_cbranch_execz .LBB317_209
; %bb.206:                              ;   in Loop: Header=BB317_13 Depth=1
	v_bfe_u32 v0, v33, 24, 7
	v_cmp_ne_u32_e32 vcc, s53, v0
	v_mov_b32_e32 v63, 0x7f800001
	s_and_saveexec_b64 s[44:45], vcc
	s_cbranch_execz .LBB317_208
; %bb.207:                              ;   in Loop: Header=BB317_13 Depth=1
	v_and_b32_e32 v2, 7, v34
	v_lshrrev_b32_e32 v3, 3, v0
	v_cmp_gt_u32_e32 vcc, 8, v0
	v_ffbh_u32_e32 v0, v2
	v_min_u32_e32 v4, 32, v0
	v_subrev_u32_e32 v0, 28, v4
	v_lshlrev_b64 v[0:1], v0, v[34:35]
	v_sub_u32_e32 v1, 29, v4
	v_and_b32_e32 v0, 7, v0
	v_cndmask_b32_e32 v1, v3, v1, vcc
	v_cndmask_b32_e32 v0, v2, v0, vcc
	v_lshlrev_b32_e32 v2, 24, v34
	v_bfrev_b32_e32 v3, 60
	v_lshlrev_b32_e32 v0, 20, v0
	v_and_b32_e32 v2, 0x80000000, v2
	v_lshl_add_u32 v1, v1, 23, v3
	v_or3_b32 v63, v2, v1, v0
.LBB317_208:                            ;   in Loop: Header=BB317_13 Depth=1
	s_or_b64 exec, exec, s[44:45]
.LBB317_209:                            ;   in Loop: Header=BB317_13 Depth=1
	s_or_b64 exec, exec, s[42:43]
.LBB317_210:                            ;   in Loop: Header=BB317_13 Depth=1
	s_or_b64 exec, exec, s[6:7]
	global_load_dword v33, v[31:32], off offset:2048
	v_mov_b32_e32 v0, 0
	buffer_store_dword v0, off, s[60:63], 0 offset:32 ; 4-byte Folded Spill
	v_mov_b32_e32 v0, 0
	buffer_store_dword v0, off, s[60:63], 0 offset:36 ; 4-byte Folded Spill
	s_waitcnt vmcnt(2)
	v_cmp_ne_u16_sdwa s[42:43], v33, v41 src0_sel:BYTE_0 src1_sel:DWORD
	s_and_saveexec_b64 s[6:7], s[42:43]
	s_cbranch_execz .LBB317_216
; %bb.211:                              ;   in Loop: Header=BB317_13 Depth=1
	v_cmp_ne_u16_sdwa s[44:45], v33, s52 src0_sel:BYTE_0 src1_sel:DWORD
	v_bfrev_b32_e32 v0, 1
	buffer_store_dword v0, off, s[60:63], 0 offset:36 ; 4-byte Folded Spill
	s_and_saveexec_b64 s[42:43], s[44:45]
	s_cbranch_execz .LBB317_215
; %bb.212:                              ;   in Loop: Header=BB317_13 Depth=1
	v_and_b32_e32 v0, 0x7f, v33
	v_cmp_ne_u32_e32 vcc, s53, v0
	v_mov_b32_e32 v1, 0x7f800001
	buffer_store_dword v1, off, s[60:63], 0 offset:36 ; 4-byte Folded Spill
	s_and_saveexec_b64 s[44:45], vcc
	s_cbranch_execz .LBB317_214
; %bb.213:                              ;   in Loop: Header=BB317_13 Depth=1
	v_and_b32_e32 v2, 7, v33
	v_lshrrev_b32_e32 v3, 3, v0
	v_cmp_gt_u32_e32 vcc, 8, v0
	v_ffbh_u32_e32 v0, v2
	v_min_u32_e32 v4, 32, v0
	v_subrev_u32_e32 v0, 28, v4
	v_lshlrev_b64 v[0:1], v0, v[33:34]
	v_sub_u32_e32 v1, 29, v4
	v_and_b32_e32 v0, 7, v0
	v_cndmask_b32_e32 v1, v3, v1, vcc
	v_cndmask_b32_e32 v0, v2, v0, vcc
	v_lshlrev_b32_e32 v2, 24, v33
	v_bfrev_b32_e32 v3, 60
	v_lshlrev_b32_e32 v0, 20, v0
	v_and_b32_e32 v2, 0x80000000, v2
	v_lshl_add_u32 v1, v1, 23, v3
	v_or3_b32 v0, v2, v1, v0
	buffer_store_dword v0, off, s[60:63], 0 offset:36 ; 4-byte Folded Spill
.LBB317_214:                            ;   in Loop: Header=BB317_13 Depth=1
	s_or_b64 exec, exec, s[44:45]
.LBB317_215:                            ;   in Loop: Header=BB317_13 Depth=1
	s_or_b64 exec, exec, s[42:43]
.LBB317_216:                            ;   in Loop: Header=BB317_13 Depth=1
	s_or_b64 exec, exec, s[6:7]
	v_lshrrev_b16_e32 v34, 8, v33
	v_cmp_ne_u16_e32 vcc, 0, v34
	s_and_saveexec_b64 s[6:7], vcc
	s_cbranch_execz .LBB317_222
; %bb.217:                              ;   in Loop: Header=BB317_13 Depth=1
	v_cmp_ne_u16_e32 vcc, s52, v34
	v_bfrev_b32_e32 v0, 1
	buffer_store_dword v0, off, s[60:63], 0 offset:32 ; 4-byte Folded Spill
	s_and_saveexec_b64 s[42:43], vcc
	s_cbranch_execz .LBB317_221
; %bb.218:                              ;   in Loop: Header=BB317_13 Depth=1
	v_and_b32_e32 v0, 0x7f, v34
	v_cmp_ne_u32_e32 vcc, s53, v0
	v_mov_b32_e32 v1, 0x7f800001
	buffer_store_dword v1, off, s[60:63], 0 offset:32 ; 4-byte Folded Spill
	s_and_saveexec_b64 s[44:45], vcc
	s_cbranch_execz .LBB317_220
; %bb.219:                              ;   in Loop: Header=BB317_13 Depth=1
	v_and_b32_e32 v2, 7, v34
	v_lshrrev_b32_e32 v3, 3, v0
	v_cmp_gt_u32_e32 vcc, 8, v0
	v_ffbh_u32_e32 v0, v2
	v_min_u32_e32 v4, 32, v0
	v_subrev_u32_e32 v0, 28, v4
	v_lshlrev_b64 v[0:1], v0, v[34:35]
	v_sub_u32_e32 v1, 29, v4
	v_and_b32_e32 v0, 7, v0
	v_cndmask_b32_e32 v1, v3, v1, vcc
	v_cndmask_b32_e32 v0, v2, v0, vcc
	v_lshlrev_b32_e32 v2, 16, v33
	v_bfrev_b32_e32 v3, 60
	v_lshlrev_b32_e32 v0, 20, v0
	v_and_b32_e32 v2, 0x80000000, v2
	v_lshl_add_u32 v1, v1, 23, v3
	v_or3_b32 v0, v2, v1, v0
	buffer_store_dword v0, off, s[60:63], 0 offset:32 ; 4-byte Folded Spill
.LBB317_220:                            ;   in Loop: Header=BB317_13 Depth=1
	s_or_b64 exec, exec, s[44:45]
.LBB317_221:                            ;   in Loop: Header=BB317_13 Depth=1
	s_or_b64 exec, exec, s[42:43]
.LBB317_222:                            ;   in Loop: Header=BB317_13 Depth=1
	s_or_b64 exec, exec, s[6:7]
	v_lshrrev_b32_e32 v34, 16, v33
	v_mov_b32_e32 v0, 0
	v_cmp_ne_u16_sdwa s[42:43], v34, v41 src0_sel:BYTE_0 src1_sel:DWORD
	buffer_store_dword v0, off, s[60:63], 0 offset:196 ; 4-byte Folded Spill
	v_mov_b32_e32 v0, 0
	buffer_store_dword v0, off, s[60:63], 0 offset:40 ; 4-byte Folded Spill
	s_and_saveexec_b64 s[6:7], s[42:43]
	s_cbranch_execz .LBB317_228
; %bb.223:                              ;   in Loop: Header=BB317_13 Depth=1
	v_cmp_ne_u16_sdwa s[44:45], v34, s52 src0_sel:BYTE_0 src1_sel:DWORD
	v_bfrev_b32_e32 v0, 1
	buffer_store_dword v0, off, s[60:63], 0 offset:40 ; 4-byte Folded Spill
	s_and_saveexec_b64 s[42:43], s[44:45]
	s_cbranch_execz .LBB317_227
; %bb.224:                              ;   in Loop: Header=BB317_13 Depth=1
	v_bfe_u32 v0, v33, 16, 7
	v_cmp_ne_u32_e32 vcc, s53, v0
	v_mov_b32_e32 v1, 0x7f800001
	buffer_store_dword v1, off, s[60:63], 0 offset:40 ; 4-byte Folded Spill
	s_and_saveexec_b64 s[44:45], vcc
	s_cbranch_execz .LBB317_226
; %bb.225:                              ;   in Loop: Header=BB317_13 Depth=1
	v_and_b32_e32 v2, 7, v34
	v_lshrrev_b32_e32 v3, 3, v0
	v_cmp_gt_u32_e32 vcc, 8, v0
	v_ffbh_u32_e32 v0, v2
	v_min_u32_e32 v4, 32, v0
	v_subrev_u32_e32 v0, 28, v4
	v_lshlrev_b64 v[0:1], v0, v[34:35]
	v_sub_u32_e32 v1, 29, v4
	v_and_b32_e32 v0, 7, v0
	v_cndmask_b32_e32 v1, v3, v1, vcc
	v_cndmask_b32_e32 v0, v2, v0, vcc
	v_lshlrev_b32_e32 v2, 24, v34
	v_bfrev_b32_e32 v3, 60
	v_lshlrev_b32_e32 v0, 20, v0
	v_and_b32_e32 v2, 0x80000000, v2
	v_lshl_add_u32 v1, v1, 23, v3
	v_or3_b32 v0, v2, v1, v0
	buffer_store_dword v0, off, s[60:63], 0 offset:40 ; 4-byte Folded Spill
.LBB317_226:                            ;   in Loop: Header=BB317_13 Depth=1
	s_or_b64 exec, exec, s[44:45]
.LBB317_227:                            ;   in Loop: Header=BB317_13 Depth=1
	s_or_b64 exec, exec, s[42:43]
.LBB317_228:                            ;   in Loop: Header=BB317_13 Depth=1
	s_or_b64 exec, exec, s[6:7]
	v_cmp_lt_u32_e32 vcc, s54, v33
	s_and_saveexec_b64 s[6:7], vcc
	s_cbranch_execz .LBB317_234
; %bb.229:                              ;   in Loop: Header=BB317_13 Depth=1
	v_lshrrev_b32_e32 v34, 24, v33
	v_cmp_ne_u32_e32 vcc, s52, v34
	v_bfrev_b32_e32 v0, 1
	buffer_store_dword v0, off, s[60:63], 0 offset:196 ; 4-byte Folded Spill
	s_and_saveexec_b64 s[42:43], vcc
	s_cbranch_execz .LBB317_233
; %bb.230:                              ;   in Loop: Header=BB317_13 Depth=1
	v_bfe_u32 v0, v33, 24, 7
	v_cmp_ne_u32_e32 vcc, s53, v0
	v_mov_b32_e32 v1, 0x7f800001
	s_and_saveexec_b64 s[44:45], vcc
	s_cbranch_execz .LBB317_232
; %bb.231:                              ;   in Loop: Header=BB317_13 Depth=1
	v_and_b32_e32 v2, 7, v34
	v_lshrrev_b32_e32 v3, 3, v0
	v_cmp_gt_u32_e32 vcc, 8, v0
	v_ffbh_u32_e32 v0, v2
	v_min_u32_e32 v4, 32, v0
	v_subrev_u32_e32 v0, 28, v4
	v_lshlrev_b64 v[0:1], v0, v[34:35]
	v_sub_u32_e32 v1, 29, v4
	v_and_b32_e32 v0, 7, v0
	v_cndmask_b32_e32 v1, v3, v1, vcc
	v_cndmask_b32_e32 v0, v2, v0, vcc
	v_lshlrev_b32_e32 v2, 24, v34
	v_bfrev_b32_e32 v3, 60
	v_lshlrev_b32_e32 v0, 20, v0
	v_and_b32_e32 v2, 0x80000000, v2
	v_lshl_add_u32 v1, v1, 23, v3
	v_or3_b32 v1, v2, v1, v0
.LBB317_232:                            ;   in Loop: Header=BB317_13 Depth=1
	s_or_b64 exec, exec, s[44:45]
	buffer_store_dword v1, off, s[60:63], 0 offset:196 ; 4-byte Folded Spill
.LBB317_233:                            ;   in Loop: Header=BB317_13 Depth=1
	s_or_b64 exec, exec, s[42:43]
.LBB317_234:                            ;   in Loop: Header=BB317_13 Depth=1
	s_or_b64 exec, exec, s[6:7]
	global_load_dword v33, v[31:32], off offset:2056
	v_mov_b32_e32 v0, 0
	buffer_store_dword v0, off, s[60:63], 0 offset:48 ; 4-byte Folded Spill
	v_mov_b32_e32 v0, 0
	buffer_store_dword v0, off, s[60:63], 0 offset:52 ; 4-byte Folded Spill
	s_waitcnt vmcnt(2)
	v_cmp_ne_u16_sdwa s[42:43], v33, v41 src0_sel:BYTE_0 src1_sel:DWORD
	s_and_saveexec_b64 s[6:7], s[42:43]
	s_cbranch_execz .LBB317_240
; %bb.235:                              ;   in Loop: Header=BB317_13 Depth=1
	v_cmp_ne_u16_sdwa s[44:45], v33, s52 src0_sel:BYTE_0 src1_sel:DWORD
	v_bfrev_b32_e32 v0, 1
	buffer_store_dword v0, off, s[60:63], 0 offset:52 ; 4-byte Folded Spill
	s_and_saveexec_b64 s[42:43], s[44:45]
	s_cbranch_execz .LBB317_239
; %bb.236:                              ;   in Loop: Header=BB317_13 Depth=1
	v_and_b32_e32 v0, 0x7f, v33
	v_cmp_ne_u32_e32 vcc, s53, v0
	v_mov_b32_e32 v1, 0x7f800001
	buffer_store_dword v1, off, s[60:63], 0 offset:52 ; 4-byte Folded Spill
	s_and_saveexec_b64 s[44:45], vcc
	s_cbranch_execz .LBB317_238
; %bb.237:                              ;   in Loop: Header=BB317_13 Depth=1
	v_and_b32_e32 v2, 7, v33
	v_lshrrev_b32_e32 v3, 3, v0
	v_cmp_gt_u32_e32 vcc, 8, v0
	v_ffbh_u32_e32 v0, v2
	v_min_u32_e32 v4, 32, v0
	v_subrev_u32_e32 v0, 28, v4
	v_lshlrev_b64 v[0:1], v0, v[33:34]
	v_sub_u32_e32 v1, 29, v4
	v_and_b32_e32 v0, 7, v0
	v_cndmask_b32_e32 v1, v3, v1, vcc
	v_cndmask_b32_e32 v0, v2, v0, vcc
	v_lshlrev_b32_e32 v2, 24, v33
	v_bfrev_b32_e32 v3, 60
	v_lshlrev_b32_e32 v0, 20, v0
	v_and_b32_e32 v2, 0x80000000, v2
	v_lshl_add_u32 v1, v1, 23, v3
	v_or3_b32 v0, v2, v1, v0
	buffer_store_dword v0, off, s[60:63], 0 offset:52 ; 4-byte Folded Spill
.LBB317_238:                            ;   in Loop: Header=BB317_13 Depth=1
	s_or_b64 exec, exec, s[44:45]
.LBB317_239:                            ;   in Loop: Header=BB317_13 Depth=1
	s_or_b64 exec, exec, s[42:43]
.LBB317_240:                            ;   in Loop: Header=BB317_13 Depth=1
	s_or_b64 exec, exec, s[6:7]
	v_lshrrev_b16_e32 v34, 8, v33
	v_cmp_ne_u16_e32 vcc, 0, v34
	s_and_saveexec_b64 s[6:7], vcc
	s_cbranch_execz .LBB317_246
; %bb.241:                              ;   in Loop: Header=BB317_13 Depth=1
	v_cmp_ne_u16_e32 vcc, s52, v34
	v_bfrev_b32_e32 v0, 1
	buffer_store_dword v0, off, s[60:63], 0 offset:48 ; 4-byte Folded Spill
	s_and_saveexec_b64 s[42:43], vcc
	s_cbranch_execz .LBB317_245
; %bb.242:                              ;   in Loop: Header=BB317_13 Depth=1
	v_and_b32_e32 v0, 0x7f, v34
	v_cmp_ne_u32_e32 vcc, s53, v0
	v_mov_b32_e32 v1, 0x7f800001
	buffer_store_dword v1, off, s[60:63], 0 offset:48 ; 4-byte Folded Spill
	s_and_saveexec_b64 s[44:45], vcc
	s_cbranch_execz .LBB317_244
; %bb.243:                              ;   in Loop: Header=BB317_13 Depth=1
	v_and_b32_e32 v2, 7, v34
	v_lshrrev_b32_e32 v3, 3, v0
	v_cmp_gt_u32_e32 vcc, 8, v0
	v_ffbh_u32_e32 v0, v2
	v_min_u32_e32 v4, 32, v0
	v_subrev_u32_e32 v0, 28, v4
	v_lshlrev_b64 v[0:1], v0, v[34:35]
	v_sub_u32_e32 v1, 29, v4
	v_and_b32_e32 v0, 7, v0
	v_cndmask_b32_e32 v1, v3, v1, vcc
	v_cndmask_b32_e32 v0, v2, v0, vcc
	v_lshlrev_b32_e32 v2, 16, v33
	v_bfrev_b32_e32 v3, 60
	v_lshlrev_b32_e32 v0, 20, v0
	v_and_b32_e32 v2, 0x80000000, v2
	v_lshl_add_u32 v1, v1, 23, v3
	v_or3_b32 v0, v2, v1, v0
	buffer_store_dword v0, off, s[60:63], 0 offset:48 ; 4-byte Folded Spill
.LBB317_244:                            ;   in Loop: Header=BB317_13 Depth=1
	s_or_b64 exec, exec, s[44:45]
.LBB317_245:                            ;   in Loop: Header=BB317_13 Depth=1
	s_or_b64 exec, exec, s[42:43]
.LBB317_246:                            ;   in Loop: Header=BB317_13 Depth=1
	s_or_b64 exec, exec, s[6:7]
	v_lshrrev_b32_e32 v34, 16, v33
	v_mov_b32_e32 v0, 0
	v_cmp_ne_u16_sdwa s[42:43], v34, v41 src0_sel:BYTE_0 src1_sel:DWORD
	buffer_store_dword v0, off, s[60:63], 0 offset:204 ; 4-byte Folded Spill
	v_mov_b32_e32 v0, 0
	buffer_store_dword v0, off, s[60:63], 0 offset:56 ; 4-byte Folded Spill
	s_and_saveexec_b64 s[6:7], s[42:43]
	s_cbranch_execz .LBB317_252
; %bb.247:                              ;   in Loop: Header=BB317_13 Depth=1
	v_cmp_ne_u16_sdwa s[44:45], v34, s52 src0_sel:BYTE_0 src1_sel:DWORD
	v_bfrev_b32_e32 v0, 1
	buffer_store_dword v0, off, s[60:63], 0 offset:56 ; 4-byte Folded Spill
	s_and_saveexec_b64 s[42:43], s[44:45]
	s_cbranch_execz .LBB317_251
; %bb.248:                              ;   in Loop: Header=BB317_13 Depth=1
	v_bfe_u32 v0, v33, 16, 7
	v_cmp_ne_u32_e32 vcc, s53, v0
	v_mov_b32_e32 v1, 0x7f800001
	buffer_store_dword v1, off, s[60:63], 0 offset:56 ; 4-byte Folded Spill
	s_and_saveexec_b64 s[44:45], vcc
	s_cbranch_execz .LBB317_250
; %bb.249:                              ;   in Loop: Header=BB317_13 Depth=1
	v_and_b32_e32 v2, 7, v34
	v_lshrrev_b32_e32 v3, 3, v0
	v_cmp_gt_u32_e32 vcc, 8, v0
	v_ffbh_u32_e32 v0, v2
	v_min_u32_e32 v4, 32, v0
	v_subrev_u32_e32 v0, 28, v4
	v_lshlrev_b64 v[0:1], v0, v[34:35]
	v_sub_u32_e32 v1, 29, v4
	v_and_b32_e32 v0, 7, v0
	v_cndmask_b32_e32 v1, v3, v1, vcc
	v_cndmask_b32_e32 v0, v2, v0, vcc
	v_lshlrev_b32_e32 v2, 24, v34
	v_bfrev_b32_e32 v3, 60
	v_lshlrev_b32_e32 v0, 20, v0
	v_and_b32_e32 v2, 0x80000000, v2
	v_lshl_add_u32 v1, v1, 23, v3
	v_or3_b32 v0, v2, v1, v0
	buffer_store_dword v0, off, s[60:63], 0 offset:56 ; 4-byte Folded Spill
.LBB317_250:                            ;   in Loop: Header=BB317_13 Depth=1
	s_or_b64 exec, exec, s[44:45]
.LBB317_251:                            ;   in Loop: Header=BB317_13 Depth=1
	s_or_b64 exec, exec, s[42:43]
.LBB317_252:                            ;   in Loop: Header=BB317_13 Depth=1
	s_or_b64 exec, exec, s[6:7]
	v_cmp_lt_u32_e32 vcc, s54, v33
	s_and_saveexec_b64 s[6:7], vcc
	s_cbranch_execz .LBB317_258
; %bb.253:                              ;   in Loop: Header=BB317_13 Depth=1
	v_lshrrev_b32_e32 v34, 24, v33
	v_cmp_ne_u32_e32 vcc, s52, v34
	v_bfrev_b32_e32 v0, 1
	buffer_store_dword v0, off, s[60:63], 0 offset:204 ; 4-byte Folded Spill
	s_and_saveexec_b64 s[42:43], vcc
	s_cbranch_execz .LBB317_257
; %bb.254:                              ;   in Loop: Header=BB317_13 Depth=1
	v_bfe_u32 v0, v33, 24, 7
	v_cmp_ne_u32_e32 vcc, s53, v0
	v_mov_b32_e32 v1, 0x7f800001
	s_and_saveexec_b64 s[44:45], vcc
	s_cbranch_execz .LBB317_256
; %bb.255:                              ;   in Loop: Header=BB317_13 Depth=1
	v_and_b32_e32 v2, 7, v34
	v_lshrrev_b32_e32 v3, 3, v0
	v_cmp_gt_u32_e32 vcc, 8, v0
	v_ffbh_u32_e32 v0, v2
	v_min_u32_e32 v4, 32, v0
	v_subrev_u32_e32 v0, 28, v4
	v_lshlrev_b64 v[0:1], v0, v[34:35]
	v_sub_u32_e32 v1, 29, v4
	v_and_b32_e32 v0, 7, v0
	v_cndmask_b32_e32 v1, v3, v1, vcc
	v_cndmask_b32_e32 v0, v2, v0, vcc
	v_lshlrev_b32_e32 v2, 24, v34
	v_bfrev_b32_e32 v3, 60
	v_lshlrev_b32_e32 v0, 20, v0
	v_and_b32_e32 v2, 0x80000000, v2
	v_lshl_add_u32 v1, v1, 23, v3
	v_or3_b32 v1, v2, v1, v0
.LBB317_256:                            ;   in Loop: Header=BB317_13 Depth=1
	s_or_b64 exec, exec, s[44:45]
	buffer_store_dword v1, off, s[60:63], 0 offset:204 ; 4-byte Folded Spill
.LBB317_257:                            ;   in Loop: Header=BB317_13 Depth=1
	s_or_b64 exec, exec, s[42:43]
.LBB317_258:                            ;   in Loop: Header=BB317_13 Depth=1
	s_or_b64 exec, exec, s[6:7]
	global_load_dword v33, v[31:32], off offset:2560
	v_mov_b32_e32 v0, 0
	buffer_store_dword v0, off, s[60:63], 0 offset:60 ; 4-byte Folded Spill
	v_mov_b32_e32 v0, 0
	buffer_store_dword v0, off, s[60:63], 0 offset:64 ; 4-byte Folded Spill
	s_waitcnt vmcnt(2)
	v_cmp_ne_u16_sdwa s[42:43], v33, v41 src0_sel:BYTE_0 src1_sel:DWORD
	s_and_saveexec_b64 s[6:7], s[42:43]
	s_cbranch_execz .LBB317_264
; %bb.259:                              ;   in Loop: Header=BB317_13 Depth=1
	v_cmp_ne_u16_sdwa s[44:45], v33, s52 src0_sel:BYTE_0 src1_sel:DWORD
	v_bfrev_b32_e32 v0, 1
	buffer_store_dword v0, off, s[60:63], 0 offset:64 ; 4-byte Folded Spill
	s_and_saveexec_b64 s[42:43], s[44:45]
	s_cbranch_execz .LBB317_263
; %bb.260:                              ;   in Loop: Header=BB317_13 Depth=1
	v_and_b32_e32 v0, 0x7f, v33
	v_cmp_ne_u32_e32 vcc, s53, v0
	v_mov_b32_e32 v1, 0x7f800001
	buffer_store_dword v1, off, s[60:63], 0 offset:64 ; 4-byte Folded Spill
	s_and_saveexec_b64 s[44:45], vcc
	s_cbranch_execz .LBB317_262
; %bb.261:                              ;   in Loop: Header=BB317_13 Depth=1
	v_and_b32_e32 v2, 7, v33
	v_lshrrev_b32_e32 v3, 3, v0
	v_cmp_gt_u32_e32 vcc, 8, v0
	v_ffbh_u32_e32 v0, v2
	v_min_u32_e32 v4, 32, v0
	v_subrev_u32_e32 v0, 28, v4
	v_lshlrev_b64 v[0:1], v0, v[33:34]
	v_sub_u32_e32 v1, 29, v4
	v_and_b32_e32 v0, 7, v0
	v_cndmask_b32_e32 v1, v3, v1, vcc
	v_cndmask_b32_e32 v0, v2, v0, vcc
	v_lshlrev_b32_e32 v2, 24, v33
	v_bfrev_b32_e32 v3, 60
	v_lshlrev_b32_e32 v0, 20, v0
	v_and_b32_e32 v2, 0x80000000, v2
	v_lshl_add_u32 v1, v1, 23, v3
	v_or3_b32 v0, v2, v1, v0
	buffer_store_dword v0, off, s[60:63], 0 offset:64 ; 4-byte Folded Spill
.LBB317_262:                            ;   in Loop: Header=BB317_13 Depth=1
	s_or_b64 exec, exec, s[44:45]
.LBB317_263:                            ;   in Loop: Header=BB317_13 Depth=1
	s_or_b64 exec, exec, s[42:43]
.LBB317_264:                            ;   in Loop: Header=BB317_13 Depth=1
	s_or_b64 exec, exec, s[6:7]
	v_lshrrev_b16_e32 v34, 8, v33
	v_cmp_ne_u16_e32 vcc, 0, v34
	s_and_saveexec_b64 s[6:7], vcc
	s_cbranch_execz .LBB317_270
; %bb.265:                              ;   in Loop: Header=BB317_13 Depth=1
	v_cmp_ne_u16_e32 vcc, s52, v34
	v_bfrev_b32_e32 v0, 1
	buffer_store_dword v0, off, s[60:63], 0 offset:60 ; 4-byte Folded Spill
	s_and_saveexec_b64 s[42:43], vcc
	s_cbranch_execz .LBB317_269
; %bb.266:                              ;   in Loop: Header=BB317_13 Depth=1
	v_and_b32_e32 v0, 0x7f, v34
	v_cmp_ne_u32_e32 vcc, s53, v0
	v_mov_b32_e32 v1, 0x7f800001
	buffer_store_dword v1, off, s[60:63], 0 offset:60 ; 4-byte Folded Spill
	s_and_saveexec_b64 s[44:45], vcc
	s_cbranch_execz .LBB317_268
; %bb.267:                              ;   in Loop: Header=BB317_13 Depth=1
	v_and_b32_e32 v2, 7, v34
	v_lshrrev_b32_e32 v3, 3, v0
	v_cmp_gt_u32_e32 vcc, 8, v0
	v_ffbh_u32_e32 v0, v2
	v_min_u32_e32 v4, 32, v0
	v_subrev_u32_e32 v0, 28, v4
	v_lshlrev_b64 v[0:1], v0, v[34:35]
	v_sub_u32_e32 v1, 29, v4
	v_and_b32_e32 v0, 7, v0
	v_cndmask_b32_e32 v1, v3, v1, vcc
	v_cndmask_b32_e32 v0, v2, v0, vcc
	v_lshlrev_b32_e32 v2, 16, v33
	v_bfrev_b32_e32 v3, 60
	v_lshlrev_b32_e32 v0, 20, v0
	v_and_b32_e32 v2, 0x80000000, v2
	v_lshl_add_u32 v1, v1, 23, v3
	v_or3_b32 v0, v2, v1, v0
	buffer_store_dword v0, off, s[60:63], 0 offset:60 ; 4-byte Folded Spill
.LBB317_268:                            ;   in Loop: Header=BB317_13 Depth=1
	s_or_b64 exec, exec, s[44:45]
.LBB317_269:                            ;   in Loop: Header=BB317_13 Depth=1
	s_or_b64 exec, exec, s[42:43]
.LBB317_270:                            ;   in Loop: Header=BB317_13 Depth=1
	s_or_b64 exec, exec, s[6:7]
	v_lshrrev_b32_e32 v34, 16, v33
	v_mov_b32_e32 v0, 0
	v_cmp_ne_u16_sdwa s[42:43], v34, v41 src0_sel:BYTE_0 src1_sel:DWORD
	buffer_store_dword v0, off, s[60:63], 0 offset:208 ; 4-byte Folded Spill
	v_mov_b32_e32 v0, 0
	buffer_store_dword v0, off, s[60:63], 0 offset:68 ; 4-byte Folded Spill
	s_and_saveexec_b64 s[6:7], s[42:43]
	s_cbranch_execz .LBB317_276
; %bb.271:                              ;   in Loop: Header=BB317_13 Depth=1
	v_cmp_ne_u16_sdwa s[44:45], v34, s52 src0_sel:BYTE_0 src1_sel:DWORD
	v_bfrev_b32_e32 v0, 1
	buffer_store_dword v0, off, s[60:63], 0 offset:68 ; 4-byte Folded Spill
	s_and_saveexec_b64 s[42:43], s[44:45]
	s_cbranch_execz .LBB317_275
; %bb.272:                              ;   in Loop: Header=BB317_13 Depth=1
	v_bfe_u32 v0, v33, 16, 7
	v_cmp_ne_u32_e32 vcc, s53, v0
	v_mov_b32_e32 v1, 0x7f800001
	buffer_store_dword v1, off, s[60:63], 0 offset:68 ; 4-byte Folded Spill
	s_and_saveexec_b64 s[44:45], vcc
	s_cbranch_execz .LBB317_274
; %bb.273:                              ;   in Loop: Header=BB317_13 Depth=1
	v_and_b32_e32 v2, 7, v34
	v_lshrrev_b32_e32 v3, 3, v0
	v_cmp_gt_u32_e32 vcc, 8, v0
	v_ffbh_u32_e32 v0, v2
	v_min_u32_e32 v4, 32, v0
	v_subrev_u32_e32 v0, 28, v4
	v_lshlrev_b64 v[0:1], v0, v[34:35]
	v_sub_u32_e32 v1, 29, v4
	v_and_b32_e32 v0, 7, v0
	v_cndmask_b32_e32 v1, v3, v1, vcc
	v_cndmask_b32_e32 v0, v2, v0, vcc
	v_lshlrev_b32_e32 v2, 24, v34
	v_bfrev_b32_e32 v3, 60
	v_lshlrev_b32_e32 v0, 20, v0
	v_and_b32_e32 v2, 0x80000000, v2
	v_lshl_add_u32 v1, v1, 23, v3
	v_or3_b32 v0, v2, v1, v0
	buffer_store_dword v0, off, s[60:63], 0 offset:68 ; 4-byte Folded Spill
.LBB317_274:                            ;   in Loop: Header=BB317_13 Depth=1
	s_or_b64 exec, exec, s[44:45]
.LBB317_275:                            ;   in Loop: Header=BB317_13 Depth=1
	s_or_b64 exec, exec, s[42:43]
.LBB317_276:                            ;   in Loop: Header=BB317_13 Depth=1
	s_or_b64 exec, exec, s[6:7]
	v_cmp_lt_u32_e32 vcc, s54, v33
	s_and_saveexec_b64 s[6:7], vcc
	s_cbranch_execz .LBB317_282
; %bb.277:                              ;   in Loop: Header=BB317_13 Depth=1
	v_lshrrev_b32_e32 v34, 24, v33
	v_cmp_ne_u32_e32 vcc, s52, v34
	v_bfrev_b32_e32 v0, 1
	buffer_store_dword v0, off, s[60:63], 0 offset:208 ; 4-byte Folded Spill
	s_and_saveexec_b64 s[42:43], vcc
	s_cbranch_execz .LBB317_281
; %bb.278:                              ;   in Loop: Header=BB317_13 Depth=1
	v_bfe_u32 v0, v33, 24, 7
	v_cmp_ne_u32_e32 vcc, s53, v0
	v_mov_b32_e32 v1, 0x7f800001
	s_and_saveexec_b64 s[44:45], vcc
	s_cbranch_execz .LBB317_280
; %bb.279:                              ;   in Loop: Header=BB317_13 Depth=1
	v_and_b32_e32 v2, 7, v34
	v_lshrrev_b32_e32 v3, 3, v0
	v_cmp_gt_u32_e32 vcc, 8, v0
	v_ffbh_u32_e32 v0, v2
	v_min_u32_e32 v4, 32, v0
	v_subrev_u32_e32 v0, 28, v4
	v_lshlrev_b64 v[0:1], v0, v[34:35]
	v_sub_u32_e32 v1, 29, v4
	v_and_b32_e32 v0, 7, v0
	v_cndmask_b32_e32 v1, v3, v1, vcc
	v_cndmask_b32_e32 v0, v2, v0, vcc
	v_lshlrev_b32_e32 v2, 24, v34
	v_bfrev_b32_e32 v3, 60
	v_lshlrev_b32_e32 v0, 20, v0
	v_and_b32_e32 v2, 0x80000000, v2
	v_lshl_add_u32 v1, v1, 23, v3
	v_or3_b32 v1, v2, v1, v0
.LBB317_280:                            ;   in Loop: Header=BB317_13 Depth=1
	s_or_b64 exec, exec, s[44:45]
	buffer_store_dword v1, off, s[60:63], 0 offset:208 ; 4-byte Folded Spill
.LBB317_281:                            ;   in Loop: Header=BB317_13 Depth=1
	s_or_b64 exec, exec, s[42:43]
.LBB317_282:                            ;   in Loop: Header=BB317_13 Depth=1
	s_or_b64 exec, exec, s[6:7]
	global_load_dword v33, v[31:32], off offset:2568
	v_mov_b32_e32 v0, 0
	buffer_store_dword v0, off, s[60:63], 0 offset:80 ; 4-byte Folded Spill
	v_mov_b32_e32 v0, 0
	buffer_store_dword v0, off, s[60:63], 0 offset:84 ; 4-byte Folded Spill
	s_waitcnt vmcnt(2)
	v_cmp_ne_u16_sdwa s[42:43], v33, v41 src0_sel:BYTE_0 src1_sel:DWORD
	s_and_saveexec_b64 s[6:7], s[42:43]
	s_cbranch_execz .LBB317_288
; %bb.283:                              ;   in Loop: Header=BB317_13 Depth=1
	v_cmp_ne_u16_sdwa s[44:45], v33, s52 src0_sel:BYTE_0 src1_sel:DWORD
	v_bfrev_b32_e32 v0, 1
	buffer_store_dword v0, off, s[60:63], 0 offset:84 ; 4-byte Folded Spill
	s_and_saveexec_b64 s[42:43], s[44:45]
	s_cbranch_execz .LBB317_287
; %bb.284:                              ;   in Loop: Header=BB317_13 Depth=1
	v_and_b32_e32 v0, 0x7f, v33
	v_cmp_ne_u32_e32 vcc, s53, v0
	v_mov_b32_e32 v1, 0x7f800001
	buffer_store_dword v1, off, s[60:63], 0 offset:84 ; 4-byte Folded Spill
	s_and_saveexec_b64 s[44:45], vcc
	s_cbranch_execz .LBB317_286
; %bb.285:                              ;   in Loop: Header=BB317_13 Depth=1
	v_and_b32_e32 v2, 7, v33
	v_lshrrev_b32_e32 v3, 3, v0
	v_cmp_gt_u32_e32 vcc, 8, v0
	v_ffbh_u32_e32 v0, v2
	v_min_u32_e32 v4, 32, v0
	v_subrev_u32_e32 v0, 28, v4
	v_lshlrev_b64 v[0:1], v0, v[33:34]
	v_sub_u32_e32 v1, 29, v4
	v_and_b32_e32 v0, 7, v0
	v_cndmask_b32_e32 v1, v3, v1, vcc
	v_cndmask_b32_e32 v0, v2, v0, vcc
	v_lshlrev_b32_e32 v2, 24, v33
	v_bfrev_b32_e32 v3, 60
	v_lshlrev_b32_e32 v0, 20, v0
	v_and_b32_e32 v2, 0x80000000, v2
	v_lshl_add_u32 v1, v1, 23, v3
	v_or3_b32 v0, v2, v1, v0
	buffer_store_dword v0, off, s[60:63], 0 offset:84 ; 4-byte Folded Spill
.LBB317_286:                            ;   in Loop: Header=BB317_13 Depth=1
	s_or_b64 exec, exec, s[44:45]
.LBB317_287:                            ;   in Loop: Header=BB317_13 Depth=1
	s_or_b64 exec, exec, s[42:43]
.LBB317_288:                            ;   in Loop: Header=BB317_13 Depth=1
	s_or_b64 exec, exec, s[6:7]
	v_lshrrev_b16_e32 v34, 8, v33
	v_cmp_ne_u16_e32 vcc, 0, v34
	s_and_saveexec_b64 s[6:7], vcc
	s_cbranch_execz .LBB317_294
; %bb.289:                              ;   in Loop: Header=BB317_13 Depth=1
	v_cmp_ne_u16_e32 vcc, s52, v34
	v_bfrev_b32_e32 v0, 1
	buffer_store_dword v0, off, s[60:63], 0 offset:80 ; 4-byte Folded Spill
	s_and_saveexec_b64 s[42:43], vcc
	s_cbranch_execz .LBB317_293
; %bb.290:                              ;   in Loop: Header=BB317_13 Depth=1
	v_and_b32_e32 v0, 0x7f, v34
	v_cmp_ne_u32_e32 vcc, s53, v0
	v_mov_b32_e32 v1, 0x7f800001
	buffer_store_dword v1, off, s[60:63], 0 offset:80 ; 4-byte Folded Spill
	s_and_saveexec_b64 s[44:45], vcc
	s_cbranch_execz .LBB317_292
; %bb.291:                              ;   in Loop: Header=BB317_13 Depth=1
	v_and_b32_e32 v2, 7, v34
	v_lshrrev_b32_e32 v3, 3, v0
	v_cmp_gt_u32_e32 vcc, 8, v0
	v_ffbh_u32_e32 v0, v2
	v_min_u32_e32 v4, 32, v0
	v_subrev_u32_e32 v0, 28, v4
	v_lshlrev_b64 v[0:1], v0, v[34:35]
	v_sub_u32_e32 v1, 29, v4
	v_and_b32_e32 v0, 7, v0
	v_cndmask_b32_e32 v1, v3, v1, vcc
	v_cndmask_b32_e32 v0, v2, v0, vcc
	v_lshlrev_b32_e32 v2, 16, v33
	v_bfrev_b32_e32 v3, 60
	v_lshlrev_b32_e32 v0, 20, v0
	v_and_b32_e32 v2, 0x80000000, v2
	v_lshl_add_u32 v1, v1, 23, v3
	v_or3_b32 v0, v2, v1, v0
	buffer_store_dword v0, off, s[60:63], 0 offset:80 ; 4-byte Folded Spill
.LBB317_292:                            ;   in Loop: Header=BB317_13 Depth=1
	s_or_b64 exec, exec, s[44:45]
.LBB317_293:                            ;   in Loop: Header=BB317_13 Depth=1
	s_or_b64 exec, exec, s[42:43]
.LBB317_294:                            ;   in Loop: Header=BB317_13 Depth=1
	s_or_b64 exec, exec, s[6:7]
	v_lshrrev_b32_e32 v34, 16, v33
	v_mov_b32_e32 v0, 0
	v_cmp_ne_u16_sdwa s[42:43], v34, v41 src0_sel:BYTE_0 src1_sel:DWORD
	buffer_store_dword v0, off, s[60:63], 0 offset:200 ; 4-byte Folded Spill
	v_mov_b32_e32 v0, 0
	buffer_store_dword v0, off, s[60:63], 0 offset:44 ; 4-byte Folded Spill
	s_and_saveexec_b64 s[6:7], s[42:43]
	s_cbranch_execz .LBB317_300
; %bb.295:                              ;   in Loop: Header=BB317_13 Depth=1
	v_cmp_ne_u16_sdwa s[44:45], v34, s52 src0_sel:BYTE_0 src1_sel:DWORD
	v_bfrev_b32_e32 v0, 1
	buffer_store_dword v0, off, s[60:63], 0 offset:44 ; 4-byte Folded Spill
	s_and_saveexec_b64 s[42:43], s[44:45]
	s_cbranch_execz .LBB317_299
; %bb.296:                              ;   in Loop: Header=BB317_13 Depth=1
	v_bfe_u32 v0, v33, 16, 7
	v_cmp_ne_u32_e32 vcc, s53, v0
	v_mov_b32_e32 v1, 0x7f800001
	buffer_store_dword v1, off, s[60:63], 0 offset:44 ; 4-byte Folded Spill
	s_and_saveexec_b64 s[44:45], vcc
	s_cbranch_execz .LBB317_298
; %bb.297:                              ;   in Loop: Header=BB317_13 Depth=1
	v_and_b32_e32 v2, 7, v34
	v_lshrrev_b32_e32 v3, 3, v0
	v_cmp_gt_u32_e32 vcc, 8, v0
	v_ffbh_u32_e32 v0, v2
	v_min_u32_e32 v4, 32, v0
	v_subrev_u32_e32 v0, 28, v4
	v_lshlrev_b64 v[0:1], v0, v[34:35]
	v_sub_u32_e32 v1, 29, v4
	v_and_b32_e32 v0, 7, v0
	v_cndmask_b32_e32 v1, v3, v1, vcc
	v_cndmask_b32_e32 v0, v2, v0, vcc
	v_lshlrev_b32_e32 v2, 24, v34
	v_bfrev_b32_e32 v3, 60
	v_lshlrev_b32_e32 v0, 20, v0
	v_and_b32_e32 v2, 0x80000000, v2
	v_lshl_add_u32 v1, v1, 23, v3
	v_or3_b32 v0, v2, v1, v0
	buffer_store_dword v0, off, s[60:63], 0 offset:44 ; 4-byte Folded Spill
.LBB317_298:                            ;   in Loop: Header=BB317_13 Depth=1
	s_or_b64 exec, exec, s[44:45]
.LBB317_299:                            ;   in Loop: Header=BB317_13 Depth=1
	s_or_b64 exec, exec, s[42:43]
.LBB317_300:                            ;   in Loop: Header=BB317_13 Depth=1
	s_or_b64 exec, exec, s[6:7]
	v_cmp_lt_u32_e32 vcc, s54, v33
	s_and_saveexec_b64 s[6:7], vcc
	s_cbranch_execz .LBB317_306
; %bb.301:                              ;   in Loop: Header=BB317_13 Depth=1
	v_lshrrev_b32_e32 v34, 24, v33
	v_cmp_ne_u32_e32 vcc, s52, v34
	v_bfrev_b32_e32 v0, 1
	buffer_store_dword v0, off, s[60:63], 0 offset:200 ; 4-byte Folded Spill
	s_and_saveexec_b64 s[42:43], vcc
	s_cbranch_execz .LBB317_305
; %bb.302:                              ;   in Loop: Header=BB317_13 Depth=1
	v_bfe_u32 v0, v33, 24, 7
	v_cmp_ne_u32_e32 vcc, s53, v0
	v_mov_b32_e32 v1, 0x7f800001
	s_and_saveexec_b64 s[44:45], vcc
	s_cbranch_execz .LBB317_304
; %bb.303:                              ;   in Loop: Header=BB317_13 Depth=1
	v_and_b32_e32 v2, 7, v34
	v_lshrrev_b32_e32 v3, 3, v0
	v_cmp_gt_u32_e32 vcc, 8, v0
	v_ffbh_u32_e32 v0, v2
	v_min_u32_e32 v4, 32, v0
	v_subrev_u32_e32 v0, 28, v4
	v_lshlrev_b64 v[0:1], v0, v[34:35]
	v_sub_u32_e32 v1, 29, v4
	v_and_b32_e32 v0, 7, v0
	v_cndmask_b32_e32 v1, v3, v1, vcc
	v_cndmask_b32_e32 v0, v2, v0, vcc
	v_lshlrev_b32_e32 v2, 24, v34
	v_bfrev_b32_e32 v3, 60
	v_lshlrev_b32_e32 v0, 20, v0
	v_and_b32_e32 v2, 0x80000000, v2
	v_lshl_add_u32 v1, v1, 23, v3
	v_or3_b32 v1, v2, v1, v0
.LBB317_304:                            ;   in Loop: Header=BB317_13 Depth=1
	s_or_b64 exec, exec, s[44:45]
	buffer_store_dword v1, off, s[60:63], 0 offset:200 ; 4-byte Folded Spill
.LBB317_305:                            ;   in Loop: Header=BB317_13 Depth=1
	s_or_b64 exec, exec, s[42:43]
.LBB317_306:                            ;   in Loop: Header=BB317_13 Depth=1
	s_or_b64 exec, exec, s[6:7]
	global_load_dword v33, v[31:32], off offset:3072
	v_mov_b32_e32 v0, 0
	buffer_store_dword v0, off, s[60:63], 0 offset:76 ; 4-byte Folded Spill
	v_mov_b32_e32 v0, 0
	buffer_store_dword v0, off, s[60:63], 0 offset:72 ; 4-byte Folded Spill
	s_waitcnt vmcnt(2)
	v_cmp_ne_u16_sdwa s[42:43], v33, v41 src0_sel:BYTE_0 src1_sel:DWORD
	s_and_saveexec_b64 s[6:7], s[42:43]
	s_cbranch_execz .LBB317_312
; %bb.307:                              ;   in Loop: Header=BB317_13 Depth=1
	v_cmp_ne_u16_sdwa s[44:45], v33, s52 src0_sel:BYTE_0 src1_sel:DWORD
	v_bfrev_b32_e32 v0, 1
	buffer_store_dword v0, off, s[60:63], 0 offset:72 ; 4-byte Folded Spill
	s_and_saveexec_b64 s[42:43], s[44:45]
	s_cbranch_execz .LBB317_311
; %bb.308:                              ;   in Loop: Header=BB317_13 Depth=1
	v_and_b32_e32 v0, 0x7f, v33
	v_cmp_ne_u32_e32 vcc, s53, v0
	v_mov_b32_e32 v1, 0x7f800001
	buffer_store_dword v1, off, s[60:63], 0 offset:72 ; 4-byte Folded Spill
	s_and_saveexec_b64 s[44:45], vcc
	s_cbranch_execz .LBB317_310
; %bb.309:                              ;   in Loop: Header=BB317_13 Depth=1
	v_and_b32_e32 v2, 7, v33
	v_lshrrev_b32_e32 v3, 3, v0
	v_cmp_gt_u32_e32 vcc, 8, v0
	v_ffbh_u32_e32 v0, v2
	v_min_u32_e32 v4, 32, v0
	v_subrev_u32_e32 v0, 28, v4
	v_lshlrev_b64 v[0:1], v0, v[33:34]
	v_sub_u32_e32 v1, 29, v4
	v_and_b32_e32 v0, 7, v0
	v_cndmask_b32_e32 v1, v3, v1, vcc
	v_cndmask_b32_e32 v0, v2, v0, vcc
	v_lshlrev_b32_e32 v2, 24, v33
	v_bfrev_b32_e32 v3, 60
	v_lshlrev_b32_e32 v0, 20, v0
	v_and_b32_e32 v2, 0x80000000, v2
	v_lshl_add_u32 v1, v1, 23, v3
	v_or3_b32 v0, v2, v1, v0
	buffer_store_dword v0, off, s[60:63], 0 offset:72 ; 4-byte Folded Spill
.LBB317_310:                            ;   in Loop: Header=BB317_13 Depth=1
	s_or_b64 exec, exec, s[44:45]
.LBB317_311:                            ;   in Loop: Header=BB317_13 Depth=1
	s_or_b64 exec, exec, s[42:43]
.LBB317_312:                            ;   in Loop: Header=BB317_13 Depth=1
	s_or_b64 exec, exec, s[6:7]
	v_lshrrev_b16_e32 v34, 8, v33
	v_cmp_ne_u16_e32 vcc, 0, v34
	s_and_saveexec_b64 s[6:7], vcc
	s_cbranch_execz .LBB317_318
; %bb.313:                              ;   in Loop: Header=BB317_13 Depth=1
	v_cmp_ne_u16_e32 vcc, s52, v34
	v_bfrev_b32_e32 v0, 1
	buffer_store_dword v0, off, s[60:63], 0 offset:76 ; 4-byte Folded Spill
	s_and_saveexec_b64 s[42:43], vcc
	s_cbranch_execz .LBB317_317
; %bb.314:                              ;   in Loop: Header=BB317_13 Depth=1
	v_and_b32_e32 v0, 0x7f, v34
	v_cmp_ne_u32_e32 vcc, s53, v0
	v_mov_b32_e32 v1, 0x7f800001
	buffer_store_dword v1, off, s[60:63], 0 offset:76 ; 4-byte Folded Spill
	s_and_saveexec_b64 s[44:45], vcc
	s_cbranch_execz .LBB317_316
; %bb.315:                              ;   in Loop: Header=BB317_13 Depth=1
	v_and_b32_e32 v2, 7, v34
	v_lshrrev_b32_e32 v3, 3, v0
	v_cmp_gt_u32_e32 vcc, 8, v0
	v_ffbh_u32_e32 v0, v2
	v_min_u32_e32 v4, 32, v0
	v_subrev_u32_e32 v0, 28, v4
	v_lshlrev_b64 v[0:1], v0, v[34:35]
	v_sub_u32_e32 v1, 29, v4
	v_and_b32_e32 v0, 7, v0
	v_cndmask_b32_e32 v1, v3, v1, vcc
	v_cndmask_b32_e32 v0, v2, v0, vcc
	v_lshlrev_b32_e32 v2, 16, v33
	v_bfrev_b32_e32 v3, 60
	v_lshlrev_b32_e32 v0, 20, v0
	v_and_b32_e32 v2, 0x80000000, v2
	v_lshl_add_u32 v1, v1, 23, v3
	v_or3_b32 v0, v2, v1, v0
	buffer_store_dword v0, off, s[60:63], 0 offset:76 ; 4-byte Folded Spill
.LBB317_316:                            ;   in Loop: Header=BB317_13 Depth=1
	s_or_b64 exec, exec, s[44:45]
.LBB317_317:                            ;   in Loop: Header=BB317_13 Depth=1
	s_or_b64 exec, exec, s[42:43]
.LBB317_318:                            ;   in Loop: Header=BB317_13 Depth=1
	s_or_b64 exec, exec, s[6:7]
	v_lshrrev_b32_e32 v34, 16, v33
	v_mov_b32_e32 v0, 0
	v_cmp_ne_u16_sdwa s[42:43], v34, v41 src0_sel:BYTE_0 src1_sel:DWORD
	buffer_store_dword v0, off, s[60:63], 0 offset:212 ; 4-byte Folded Spill
	v_mov_b32_e32 v0, 0
	buffer_store_dword v0, off, s[60:63], 0 offset:88 ; 4-byte Folded Spill
	s_and_saveexec_b64 s[6:7], s[42:43]
	s_cbranch_execz .LBB317_324
; %bb.319:                              ;   in Loop: Header=BB317_13 Depth=1
	v_cmp_ne_u16_sdwa s[44:45], v34, s52 src0_sel:BYTE_0 src1_sel:DWORD
	v_bfrev_b32_e32 v0, 1
	buffer_store_dword v0, off, s[60:63], 0 offset:88 ; 4-byte Folded Spill
	s_and_saveexec_b64 s[42:43], s[44:45]
	s_cbranch_execz .LBB317_323
; %bb.320:                              ;   in Loop: Header=BB317_13 Depth=1
	v_bfe_u32 v0, v33, 16, 7
	v_cmp_ne_u32_e32 vcc, s53, v0
	v_mov_b32_e32 v1, 0x7f800001
	buffer_store_dword v1, off, s[60:63], 0 offset:88 ; 4-byte Folded Spill
	s_and_saveexec_b64 s[44:45], vcc
	s_cbranch_execz .LBB317_322
; %bb.321:                              ;   in Loop: Header=BB317_13 Depth=1
	v_and_b32_e32 v2, 7, v34
	v_lshrrev_b32_e32 v3, 3, v0
	v_cmp_gt_u32_e32 vcc, 8, v0
	v_ffbh_u32_e32 v0, v2
	v_min_u32_e32 v4, 32, v0
	v_subrev_u32_e32 v0, 28, v4
	v_lshlrev_b64 v[0:1], v0, v[34:35]
	v_sub_u32_e32 v1, 29, v4
	v_and_b32_e32 v0, 7, v0
	v_cndmask_b32_e32 v1, v3, v1, vcc
	v_cndmask_b32_e32 v0, v2, v0, vcc
	v_lshlrev_b32_e32 v2, 24, v34
	v_bfrev_b32_e32 v3, 60
	v_lshlrev_b32_e32 v0, 20, v0
	v_and_b32_e32 v2, 0x80000000, v2
	v_lshl_add_u32 v1, v1, 23, v3
	v_or3_b32 v0, v2, v1, v0
	buffer_store_dword v0, off, s[60:63], 0 offset:88 ; 4-byte Folded Spill
.LBB317_322:                            ;   in Loop: Header=BB317_13 Depth=1
	s_or_b64 exec, exec, s[44:45]
.LBB317_323:                            ;   in Loop: Header=BB317_13 Depth=1
	s_or_b64 exec, exec, s[42:43]
.LBB317_324:                            ;   in Loop: Header=BB317_13 Depth=1
	s_or_b64 exec, exec, s[6:7]
	v_cmp_lt_u32_e32 vcc, s54, v33
	s_and_saveexec_b64 s[6:7], vcc
	s_cbranch_execz .LBB317_330
; %bb.325:                              ;   in Loop: Header=BB317_13 Depth=1
	v_lshrrev_b32_e32 v34, 24, v33
	v_cmp_ne_u32_e32 vcc, s52, v34
	v_bfrev_b32_e32 v0, 1
	buffer_store_dword v0, off, s[60:63], 0 offset:212 ; 4-byte Folded Spill
	s_and_saveexec_b64 s[42:43], vcc
	s_cbranch_execz .LBB317_329
; %bb.326:                              ;   in Loop: Header=BB317_13 Depth=1
	v_bfe_u32 v0, v33, 24, 7
	v_cmp_ne_u32_e32 vcc, s53, v0
	v_mov_b32_e32 v1, 0x7f800001
	s_and_saveexec_b64 s[44:45], vcc
	s_cbranch_execz .LBB317_328
; %bb.327:                              ;   in Loop: Header=BB317_13 Depth=1
	v_and_b32_e32 v2, 7, v34
	v_lshrrev_b32_e32 v3, 3, v0
	v_cmp_gt_u32_e32 vcc, 8, v0
	v_ffbh_u32_e32 v0, v2
	v_min_u32_e32 v4, 32, v0
	v_subrev_u32_e32 v0, 28, v4
	v_lshlrev_b64 v[0:1], v0, v[34:35]
	v_sub_u32_e32 v1, 29, v4
	v_and_b32_e32 v0, 7, v0
	v_cndmask_b32_e32 v1, v3, v1, vcc
	v_cndmask_b32_e32 v0, v2, v0, vcc
	v_lshlrev_b32_e32 v2, 24, v34
	v_bfrev_b32_e32 v3, 60
	v_lshlrev_b32_e32 v0, 20, v0
	v_and_b32_e32 v2, 0x80000000, v2
	v_lshl_add_u32 v1, v1, 23, v3
	v_or3_b32 v1, v2, v1, v0
.LBB317_328:                            ;   in Loop: Header=BB317_13 Depth=1
	s_or_b64 exec, exec, s[44:45]
	buffer_store_dword v1, off, s[60:63], 0 offset:212 ; 4-byte Folded Spill
.LBB317_329:                            ;   in Loop: Header=BB317_13 Depth=1
	s_or_b64 exec, exec, s[42:43]
.LBB317_330:                            ;   in Loop: Header=BB317_13 Depth=1
	s_or_b64 exec, exec, s[6:7]
	global_load_dword v33, v[31:32], off offset:3080
	v_mov_b32_e32 v0, 0
	buffer_store_dword v0, off, s[60:63], 0 offset:96 ; 4-byte Folded Spill
	v_mov_b32_e32 v0, 0
	buffer_store_dword v0, off, s[60:63], 0 offset:92 ; 4-byte Folded Spill
	s_waitcnt vmcnt(2)
	v_cmp_ne_u16_sdwa s[42:43], v33, v41 src0_sel:BYTE_0 src1_sel:DWORD
	s_and_saveexec_b64 s[6:7], s[42:43]
	s_cbranch_execz .LBB317_336
; %bb.331:                              ;   in Loop: Header=BB317_13 Depth=1
	v_cmp_ne_u16_sdwa s[44:45], v33, s52 src0_sel:BYTE_0 src1_sel:DWORD
	v_bfrev_b32_e32 v0, 1
	buffer_store_dword v0, off, s[60:63], 0 offset:92 ; 4-byte Folded Spill
	s_and_saveexec_b64 s[42:43], s[44:45]
	s_cbranch_execz .LBB317_335
; %bb.332:                              ;   in Loop: Header=BB317_13 Depth=1
	v_and_b32_e32 v0, 0x7f, v33
	v_cmp_ne_u32_e32 vcc, s53, v0
	v_mov_b32_e32 v1, 0x7f800001
	buffer_store_dword v1, off, s[60:63], 0 offset:92 ; 4-byte Folded Spill
	s_and_saveexec_b64 s[44:45], vcc
	s_cbranch_execz .LBB317_334
; %bb.333:                              ;   in Loop: Header=BB317_13 Depth=1
	v_and_b32_e32 v2, 7, v33
	v_lshrrev_b32_e32 v3, 3, v0
	v_cmp_gt_u32_e32 vcc, 8, v0
	v_ffbh_u32_e32 v0, v2
	v_min_u32_e32 v4, 32, v0
	v_subrev_u32_e32 v0, 28, v4
	v_lshlrev_b64 v[0:1], v0, v[33:34]
	v_sub_u32_e32 v1, 29, v4
	v_and_b32_e32 v0, 7, v0
	v_cndmask_b32_e32 v1, v3, v1, vcc
	v_cndmask_b32_e32 v0, v2, v0, vcc
	v_lshlrev_b32_e32 v2, 24, v33
	v_bfrev_b32_e32 v3, 60
	v_lshlrev_b32_e32 v0, 20, v0
	v_and_b32_e32 v2, 0x80000000, v2
	v_lshl_add_u32 v1, v1, 23, v3
	v_or3_b32 v0, v2, v1, v0
	buffer_store_dword v0, off, s[60:63], 0 offset:92 ; 4-byte Folded Spill
.LBB317_334:                            ;   in Loop: Header=BB317_13 Depth=1
	s_or_b64 exec, exec, s[44:45]
.LBB317_335:                            ;   in Loop: Header=BB317_13 Depth=1
	s_or_b64 exec, exec, s[42:43]
.LBB317_336:                            ;   in Loop: Header=BB317_13 Depth=1
	s_or_b64 exec, exec, s[6:7]
	v_lshrrev_b16_e32 v34, 8, v33
	v_cmp_ne_u16_e32 vcc, 0, v34
	s_and_saveexec_b64 s[6:7], vcc
	s_cbranch_execz .LBB317_342
; %bb.337:                              ;   in Loop: Header=BB317_13 Depth=1
	v_cmp_ne_u16_e32 vcc, s52, v34
	v_bfrev_b32_e32 v0, 1
	buffer_store_dword v0, off, s[60:63], 0 offset:96 ; 4-byte Folded Spill
	s_and_saveexec_b64 s[42:43], vcc
	s_cbranch_execz .LBB317_341
; %bb.338:                              ;   in Loop: Header=BB317_13 Depth=1
	v_and_b32_e32 v0, 0x7f, v34
	v_cmp_ne_u32_e32 vcc, s53, v0
	v_mov_b32_e32 v1, 0x7f800001
	buffer_store_dword v1, off, s[60:63], 0 offset:96 ; 4-byte Folded Spill
	s_and_saveexec_b64 s[44:45], vcc
	s_cbranch_execz .LBB317_340
; %bb.339:                              ;   in Loop: Header=BB317_13 Depth=1
	v_and_b32_e32 v2, 7, v34
	v_lshrrev_b32_e32 v3, 3, v0
	v_cmp_gt_u32_e32 vcc, 8, v0
	v_ffbh_u32_e32 v0, v2
	v_min_u32_e32 v4, 32, v0
	v_subrev_u32_e32 v0, 28, v4
	v_lshlrev_b64 v[0:1], v0, v[34:35]
	v_sub_u32_e32 v1, 29, v4
	v_and_b32_e32 v0, 7, v0
	v_cndmask_b32_e32 v1, v3, v1, vcc
	v_cndmask_b32_e32 v0, v2, v0, vcc
	v_lshlrev_b32_e32 v2, 16, v33
	v_bfrev_b32_e32 v3, 60
	v_lshlrev_b32_e32 v0, 20, v0
	v_and_b32_e32 v2, 0x80000000, v2
	v_lshl_add_u32 v1, v1, 23, v3
	v_or3_b32 v0, v2, v1, v0
	buffer_store_dword v0, off, s[60:63], 0 offset:96 ; 4-byte Folded Spill
.LBB317_340:                            ;   in Loop: Header=BB317_13 Depth=1
	s_or_b64 exec, exec, s[44:45]
.LBB317_341:                            ;   in Loop: Header=BB317_13 Depth=1
	s_or_b64 exec, exec, s[42:43]
.LBB317_342:                            ;   in Loop: Header=BB317_13 Depth=1
	s_or_b64 exec, exec, s[6:7]
	v_lshrrev_b32_e32 v34, 16, v33
	v_mov_b32_e32 v0, 0
	v_cmp_ne_u16_sdwa s[42:43], v34, v41 src0_sel:BYTE_0 src1_sel:DWORD
	buffer_store_dword v0, off, s[60:63], 0 offset:216 ; 4-byte Folded Spill
	v_mov_b32_e32 v0, 0
	buffer_store_dword v0, off, s[60:63], 0 offset:100 ; 4-byte Folded Spill
	s_and_saveexec_b64 s[6:7], s[42:43]
	s_cbranch_execz .LBB317_348
; %bb.343:                              ;   in Loop: Header=BB317_13 Depth=1
	v_cmp_ne_u16_sdwa s[44:45], v34, s52 src0_sel:BYTE_0 src1_sel:DWORD
	v_bfrev_b32_e32 v0, 1
	buffer_store_dword v0, off, s[60:63], 0 offset:100 ; 4-byte Folded Spill
	s_and_saveexec_b64 s[42:43], s[44:45]
	s_cbranch_execz .LBB317_347
; %bb.344:                              ;   in Loop: Header=BB317_13 Depth=1
	v_bfe_u32 v0, v33, 16, 7
	v_cmp_ne_u32_e32 vcc, s53, v0
	v_mov_b32_e32 v1, 0x7f800001
	buffer_store_dword v1, off, s[60:63], 0 offset:100 ; 4-byte Folded Spill
	s_and_saveexec_b64 s[44:45], vcc
	s_cbranch_execz .LBB317_346
; %bb.345:                              ;   in Loop: Header=BB317_13 Depth=1
	v_and_b32_e32 v2, 7, v34
	v_lshrrev_b32_e32 v3, 3, v0
	v_cmp_gt_u32_e32 vcc, 8, v0
	v_ffbh_u32_e32 v0, v2
	v_min_u32_e32 v4, 32, v0
	v_subrev_u32_e32 v0, 28, v4
	v_lshlrev_b64 v[0:1], v0, v[34:35]
	v_sub_u32_e32 v1, 29, v4
	v_and_b32_e32 v0, 7, v0
	v_cndmask_b32_e32 v1, v3, v1, vcc
	v_cndmask_b32_e32 v0, v2, v0, vcc
	v_lshlrev_b32_e32 v2, 24, v34
	v_bfrev_b32_e32 v3, 60
	v_lshlrev_b32_e32 v0, 20, v0
	v_and_b32_e32 v2, 0x80000000, v2
	v_lshl_add_u32 v1, v1, 23, v3
	v_or3_b32 v0, v2, v1, v0
	buffer_store_dword v0, off, s[60:63], 0 offset:100 ; 4-byte Folded Spill
.LBB317_346:                            ;   in Loop: Header=BB317_13 Depth=1
	s_or_b64 exec, exec, s[44:45]
.LBB317_347:                            ;   in Loop: Header=BB317_13 Depth=1
	s_or_b64 exec, exec, s[42:43]
.LBB317_348:                            ;   in Loop: Header=BB317_13 Depth=1
	s_or_b64 exec, exec, s[6:7]
	v_cmp_lt_u32_e32 vcc, s54, v33
	s_and_saveexec_b64 s[6:7], vcc
	s_cbranch_execz .LBB317_354
; %bb.349:                              ;   in Loop: Header=BB317_13 Depth=1
	v_lshrrev_b32_e32 v34, 24, v33
	v_cmp_ne_u32_e32 vcc, s52, v34
	v_bfrev_b32_e32 v0, 1
	buffer_store_dword v0, off, s[60:63], 0 offset:216 ; 4-byte Folded Spill
	s_and_saveexec_b64 s[42:43], vcc
	s_cbranch_execz .LBB317_353
; %bb.350:                              ;   in Loop: Header=BB317_13 Depth=1
	v_bfe_u32 v0, v33, 24, 7
	v_cmp_ne_u32_e32 vcc, s53, v0
	v_mov_b32_e32 v1, 0x7f800001
	s_and_saveexec_b64 s[44:45], vcc
	s_cbranch_execz .LBB317_352
; %bb.351:                              ;   in Loop: Header=BB317_13 Depth=1
	v_and_b32_e32 v2, 7, v34
	v_lshrrev_b32_e32 v3, 3, v0
	v_cmp_gt_u32_e32 vcc, 8, v0
	v_ffbh_u32_e32 v0, v2
	v_min_u32_e32 v4, 32, v0
	v_subrev_u32_e32 v0, 28, v4
	v_lshlrev_b64 v[0:1], v0, v[34:35]
	v_sub_u32_e32 v1, 29, v4
	v_and_b32_e32 v0, 7, v0
	v_cndmask_b32_e32 v1, v3, v1, vcc
	v_cndmask_b32_e32 v0, v2, v0, vcc
	v_lshlrev_b32_e32 v2, 24, v34
	v_bfrev_b32_e32 v3, 60
	v_lshlrev_b32_e32 v0, 20, v0
	v_and_b32_e32 v2, 0x80000000, v2
	v_lshl_add_u32 v1, v1, 23, v3
	v_or3_b32 v1, v2, v1, v0
.LBB317_352:                            ;   in Loop: Header=BB317_13 Depth=1
	s_or_b64 exec, exec, s[44:45]
	buffer_store_dword v1, off, s[60:63], 0 offset:216 ; 4-byte Folded Spill
.LBB317_353:                            ;   in Loop: Header=BB317_13 Depth=1
	s_or_b64 exec, exec, s[42:43]
.LBB317_354:                            ;   in Loop: Header=BB317_13 Depth=1
	s_or_b64 exec, exec, s[6:7]
	global_load_dword v33, v[31:32], off offset:3584
	v_mov_b32_e32 v0, 0
	buffer_store_dword v0, off, s[60:63], 0 offset:108 ; 4-byte Folded Spill
	v_mov_b32_e32 v0, 0
	buffer_store_dword v0, off, s[60:63], 0 offset:104 ; 4-byte Folded Spill
	s_waitcnt vmcnt(2)
	v_cmp_ne_u16_sdwa s[42:43], v33, v41 src0_sel:BYTE_0 src1_sel:DWORD
	s_and_saveexec_b64 s[6:7], s[42:43]
	s_cbranch_execz .LBB317_360
; %bb.355:                              ;   in Loop: Header=BB317_13 Depth=1
	v_cmp_ne_u16_sdwa s[44:45], v33, s52 src0_sel:BYTE_0 src1_sel:DWORD
	v_bfrev_b32_e32 v0, 1
	buffer_store_dword v0, off, s[60:63], 0 offset:104 ; 4-byte Folded Spill
	s_and_saveexec_b64 s[42:43], s[44:45]
	s_cbranch_execz .LBB317_359
; %bb.356:                              ;   in Loop: Header=BB317_13 Depth=1
	v_and_b32_e32 v0, 0x7f, v33
	v_cmp_ne_u32_e32 vcc, s53, v0
	v_mov_b32_e32 v1, 0x7f800001
	buffer_store_dword v1, off, s[60:63], 0 offset:104 ; 4-byte Folded Spill
	s_and_saveexec_b64 s[44:45], vcc
	s_cbranch_execz .LBB317_358
; %bb.357:                              ;   in Loop: Header=BB317_13 Depth=1
	v_and_b32_e32 v2, 7, v33
	v_lshrrev_b32_e32 v3, 3, v0
	v_cmp_gt_u32_e32 vcc, 8, v0
	v_ffbh_u32_e32 v0, v2
	v_min_u32_e32 v4, 32, v0
	v_subrev_u32_e32 v0, 28, v4
	v_lshlrev_b64 v[0:1], v0, v[33:34]
	v_sub_u32_e32 v1, 29, v4
	v_and_b32_e32 v0, 7, v0
	v_cndmask_b32_e32 v1, v3, v1, vcc
	v_cndmask_b32_e32 v0, v2, v0, vcc
	v_lshlrev_b32_e32 v2, 24, v33
	v_bfrev_b32_e32 v3, 60
	v_lshlrev_b32_e32 v0, 20, v0
	v_and_b32_e32 v2, 0x80000000, v2
	v_lshl_add_u32 v1, v1, 23, v3
	v_or3_b32 v0, v2, v1, v0
	buffer_store_dword v0, off, s[60:63], 0 offset:104 ; 4-byte Folded Spill
.LBB317_358:                            ;   in Loop: Header=BB317_13 Depth=1
	s_or_b64 exec, exec, s[44:45]
.LBB317_359:                            ;   in Loop: Header=BB317_13 Depth=1
	s_or_b64 exec, exec, s[42:43]
.LBB317_360:                            ;   in Loop: Header=BB317_13 Depth=1
	s_or_b64 exec, exec, s[6:7]
	v_lshrrev_b16_e32 v34, 8, v33
	v_cmp_ne_u16_e32 vcc, 0, v34
	s_and_saveexec_b64 s[6:7], vcc
	s_cbranch_execz .LBB317_366
; %bb.361:                              ;   in Loop: Header=BB317_13 Depth=1
	v_cmp_ne_u16_e32 vcc, s52, v34
	v_bfrev_b32_e32 v0, 1
	buffer_store_dword v0, off, s[60:63], 0 offset:108 ; 4-byte Folded Spill
	s_and_saveexec_b64 s[42:43], vcc
	s_cbranch_execz .LBB317_365
; %bb.362:                              ;   in Loop: Header=BB317_13 Depth=1
	v_and_b32_e32 v0, 0x7f, v34
	v_cmp_ne_u32_e32 vcc, s53, v0
	v_mov_b32_e32 v1, 0x7f800001
	buffer_store_dword v1, off, s[60:63], 0 offset:108 ; 4-byte Folded Spill
	s_and_saveexec_b64 s[44:45], vcc
	s_cbranch_execz .LBB317_364
; %bb.363:                              ;   in Loop: Header=BB317_13 Depth=1
	v_and_b32_e32 v2, 7, v34
	v_lshrrev_b32_e32 v3, 3, v0
	v_cmp_gt_u32_e32 vcc, 8, v0
	v_ffbh_u32_e32 v0, v2
	v_min_u32_e32 v4, 32, v0
	v_subrev_u32_e32 v0, 28, v4
	v_lshlrev_b64 v[0:1], v0, v[34:35]
	v_sub_u32_e32 v1, 29, v4
	v_and_b32_e32 v0, 7, v0
	v_cndmask_b32_e32 v1, v3, v1, vcc
	v_cndmask_b32_e32 v0, v2, v0, vcc
	v_lshlrev_b32_e32 v2, 16, v33
	v_bfrev_b32_e32 v3, 60
	v_lshlrev_b32_e32 v0, 20, v0
	v_and_b32_e32 v2, 0x80000000, v2
	v_lshl_add_u32 v1, v1, 23, v3
	v_or3_b32 v0, v2, v1, v0
	buffer_store_dword v0, off, s[60:63], 0 offset:108 ; 4-byte Folded Spill
.LBB317_364:                            ;   in Loop: Header=BB317_13 Depth=1
	s_or_b64 exec, exec, s[44:45]
.LBB317_365:                            ;   in Loop: Header=BB317_13 Depth=1
	s_or_b64 exec, exec, s[42:43]
.LBB317_366:                            ;   in Loop: Header=BB317_13 Depth=1
	s_or_b64 exec, exec, s[6:7]
	v_lshrrev_b32_e32 v34, 16, v33
	v_mov_b32_e32 v0, 0
	v_cmp_ne_u16_sdwa s[42:43], v34, v41 src0_sel:BYTE_0 src1_sel:DWORD
	buffer_store_dword v0, off, s[60:63], 0 offset:220 ; 4-byte Folded Spill
	v_mov_b32_e32 v0, 0
	buffer_store_dword v0, off, s[60:63], 0 offset:112 ; 4-byte Folded Spill
	s_and_saveexec_b64 s[6:7], s[42:43]
	s_cbranch_execz .LBB317_372
; %bb.367:                              ;   in Loop: Header=BB317_13 Depth=1
	v_cmp_ne_u16_sdwa s[44:45], v34, s52 src0_sel:BYTE_0 src1_sel:DWORD
	v_bfrev_b32_e32 v0, 1
	buffer_store_dword v0, off, s[60:63], 0 offset:112 ; 4-byte Folded Spill
	s_and_saveexec_b64 s[42:43], s[44:45]
	s_cbranch_execz .LBB317_371
; %bb.368:                              ;   in Loop: Header=BB317_13 Depth=1
	v_bfe_u32 v0, v33, 16, 7
	v_cmp_ne_u32_e32 vcc, s53, v0
	v_mov_b32_e32 v1, 0x7f800001
	buffer_store_dword v1, off, s[60:63], 0 offset:112 ; 4-byte Folded Spill
	s_and_saveexec_b64 s[44:45], vcc
	s_cbranch_execz .LBB317_370
; %bb.369:                              ;   in Loop: Header=BB317_13 Depth=1
	v_and_b32_e32 v2, 7, v34
	v_lshrrev_b32_e32 v3, 3, v0
	v_cmp_gt_u32_e32 vcc, 8, v0
	v_ffbh_u32_e32 v0, v2
	v_min_u32_e32 v4, 32, v0
	v_subrev_u32_e32 v0, 28, v4
	v_lshlrev_b64 v[0:1], v0, v[34:35]
	v_sub_u32_e32 v1, 29, v4
	v_and_b32_e32 v0, 7, v0
	v_cndmask_b32_e32 v1, v3, v1, vcc
	v_cndmask_b32_e32 v0, v2, v0, vcc
	v_lshlrev_b32_e32 v2, 24, v34
	v_bfrev_b32_e32 v3, 60
	v_lshlrev_b32_e32 v0, 20, v0
	v_and_b32_e32 v2, 0x80000000, v2
	v_lshl_add_u32 v1, v1, 23, v3
	v_or3_b32 v0, v2, v1, v0
	buffer_store_dword v0, off, s[60:63], 0 offset:112 ; 4-byte Folded Spill
.LBB317_370:                            ;   in Loop: Header=BB317_13 Depth=1
	s_or_b64 exec, exec, s[44:45]
.LBB317_371:                            ;   in Loop: Header=BB317_13 Depth=1
	s_or_b64 exec, exec, s[42:43]
.LBB317_372:                            ;   in Loop: Header=BB317_13 Depth=1
	s_or_b64 exec, exec, s[6:7]
	v_cmp_lt_u32_e32 vcc, s54, v33
	s_and_saveexec_b64 s[6:7], vcc
	s_cbranch_execz .LBB317_378
; %bb.373:                              ;   in Loop: Header=BB317_13 Depth=1
	v_lshrrev_b32_e32 v34, 24, v33
	v_cmp_ne_u32_e32 vcc, s52, v34
	v_bfrev_b32_e32 v0, 1
	buffer_store_dword v0, off, s[60:63], 0 offset:220 ; 4-byte Folded Spill
	s_and_saveexec_b64 s[42:43], vcc
	s_cbranch_execz .LBB317_377
; %bb.374:                              ;   in Loop: Header=BB317_13 Depth=1
	v_bfe_u32 v0, v33, 24, 7
	v_cmp_ne_u32_e32 vcc, s53, v0
	v_mov_b32_e32 v1, 0x7f800001
	s_and_saveexec_b64 s[44:45], vcc
	s_cbranch_execz .LBB317_376
; %bb.375:                              ;   in Loop: Header=BB317_13 Depth=1
	v_and_b32_e32 v2, 7, v34
	v_lshrrev_b32_e32 v3, 3, v0
	v_cmp_gt_u32_e32 vcc, 8, v0
	v_ffbh_u32_e32 v0, v2
	v_min_u32_e32 v4, 32, v0
	v_subrev_u32_e32 v0, 28, v4
	v_lshlrev_b64 v[0:1], v0, v[34:35]
	v_sub_u32_e32 v1, 29, v4
	v_and_b32_e32 v0, 7, v0
	v_cndmask_b32_e32 v1, v3, v1, vcc
	v_cndmask_b32_e32 v0, v2, v0, vcc
	v_lshlrev_b32_e32 v2, 24, v34
	v_bfrev_b32_e32 v3, 60
	v_lshlrev_b32_e32 v0, 20, v0
	v_and_b32_e32 v2, 0x80000000, v2
	v_lshl_add_u32 v1, v1, 23, v3
	v_or3_b32 v1, v2, v1, v0
.LBB317_376:                            ;   in Loop: Header=BB317_13 Depth=1
	s_or_b64 exec, exec, s[44:45]
	buffer_store_dword v1, off, s[60:63], 0 offset:220 ; 4-byte Folded Spill
.LBB317_377:                            ;   in Loop: Header=BB317_13 Depth=1
	s_or_b64 exec, exec, s[42:43]
.LBB317_378:                            ;   in Loop: Header=BB317_13 Depth=1
	s_or_b64 exec, exec, s[6:7]
	global_load_dword v31, v[31:32], off offset:3592
	v_mov_b32_e32 v34, 0
	v_mov_b32_e32 v33, 0
	s_waitcnt vmcnt(0)
	v_cmp_ne_u16_sdwa s[42:43], v31, v41 src0_sel:BYTE_0 src1_sel:DWORD
	s_and_saveexec_b64 s[6:7], s[42:43]
	s_cbranch_execz .LBB317_384
; %bb.379:                              ;   in Loop: Header=BB317_13 Depth=1
	v_cmp_ne_u16_sdwa s[44:45], v31, s52 src0_sel:BYTE_0 src1_sel:DWORD
	v_bfrev_b32_e32 v33, 1
	s_and_saveexec_b64 s[42:43], s[44:45]
	s_cbranch_execz .LBB317_383
; %bb.380:                              ;   in Loop: Header=BB317_13 Depth=1
	v_and_b32_e32 v0, 0x7f, v31
	v_cmp_ne_u32_e32 vcc, s53, v0
	v_mov_b32_e32 v33, 0x7f800001
	s_and_saveexec_b64 s[44:45], vcc
	s_cbranch_execz .LBB317_382
; %bb.381:                              ;   in Loop: Header=BB317_13 Depth=1
	v_and_b32_e32 v2, 7, v31
	v_lshrrev_b32_e32 v3, 3, v0
	v_cmp_gt_u32_e32 vcc, 8, v0
	v_ffbh_u32_e32 v0, v2
	v_min_u32_e32 v4, 32, v0
	v_subrev_u32_e32 v0, 28, v4
	v_lshlrev_b64 v[0:1], v0, v[31:32]
	v_sub_u32_e32 v1, 29, v4
	v_and_b32_e32 v0, 7, v0
	v_cndmask_b32_e32 v1, v3, v1, vcc
	v_cndmask_b32_e32 v0, v2, v0, vcc
	v_lshlrev_b32_e32 v2, 24, v31
	v_bfrev_b32_e32 v3, 60
	v_lshlrev_b32_e32 v0, 20, v0
	v_and_b32_e32 v2, 0x80000000, v2
	v_lshl_add_u32 v1, v1, 23, v3
	v_or3_b32 v33, v2, v1, v0
.LBB317_382:                            ;   in Loop: Header=BB317_13 Depth=1
	s_or_b64 exec, exec, s[44:45]
.LBB317_383:                            ;   in Loop: Header=BB317_13 Depth=1
	s_or_b64 exec, exec, s[42:43]
.LBB317_384:                            ;   in Loop: Header=BB317_13 Depth=1
	s_or_b64 exec, exec, s[6:7]
	v_lshrrev_b16_e32 v32, 8, v31
	v_cmp_ne_u16_e32 vcc, 0, v32
	s_and_saveexec_b64 s[6:7], vcc
	s_cbranch_execz .LBB317_390
; %bb.385:                              ;   in Loop: Header=BB317_13 Depth=1
	v_cmp_ne_u16_e32 vcc, s52, v32
	v_bfrev_b32_e32 v34, 1
	s_and_saveexec_b64 s[42:43], vcc
	s_cbranch_execz .LBB317_389
; %bb.386:                              ;   in Loop: Header=BB317_13 Depth=1
	v_and_b32_e32 v0, 0x7f, v32
	v_cmp_ne_u32_e32 vcc, s53, v0
	v_mov_b32_e32 v34, 0x7f800001
	s_and_saveexec_b64 s[44:45], vcc
	s_cbranch_execz .LBB317_388
; %bb.387:                              ;   in Loop: Header=BB317_13 Depth=1
	v_and_b32_e32 v2, 7, v32
	v_lshrrev_b32_e32 v3, 3, v0
	v_cmp_gt_u32_e32 vcc, 8, v0
	v_ffbh_u32_e32 v0, v2
	v_min_u32_e32 v4, 32, v0
	v_subrev_u32_e32 v0, 28, v4
	v_lshlrev_b64 v[0:1], v0, v[32:33]
	v_sub_u32_e32 v1, 29, v4
	v_and_b32_e32 v0, 7, v0
	v_cndmask_b32_e32 v1, v3, v1, vcc
	v_cndmask_b32_e32 v0, v2, v0, vcc
	v_lshlrev_b32_e32 v2, 16, v31
	v_bfrev_b32_e32 v3, 60
	v_lshlrev_b32_e32 v0, 20, v0
	v_and_b32_e32 v2, 0x80000000, v2
	v_lshl_add_u32 v1, v1, 23, v3
	v_or3_b32 v34, v2, v1, v0
.LBB317_388:                            ;   in Loop: Header=BB317_13 Depth=1
	s_or_b64 exec, exec, s[44:45]
.LBB317_389:                            ;   in Loop: Header=BB317_13 Depth=1
	s_or_b64 exec, exec, s[42:43]
.LBB317_390:                            ;   in Loop: Header=BB317_13 Depth=1
	s_or_b64 exec, exec, s[6:7]
	v_lshrrev_b32_e32 v32, 16, v31
	v_mov_b32_e32 v0, 0
	v_cmp_ne_u16_sdwa s[42:43], v32, v41 src0_sel:BYTE_0 src1_sel:DWORD
	buffer_store_dword v0, off, s[60:63], 0 offset:224 ; 4-byte Folded Spill
	v_mov_b32_e32 v0, 0
	buffer_store_dword v0, off, s[60:63], 0 offset:116 ; 4-byte Folded Spill
	s_and_saveexec_b64 s[6:7], s[42:43]
	s_cbranch_execz .LBB317_396
; %bb.391:                              ;   in Loop: Header=BB317_13 Depth=1
	v_cmp_ne_u16_sdwa s[44:45], v32, s52 src0_sel:BYTE_0 src1_sel:DWORD
	v_bfrev_b32_e32 v0, 1
	buffer_store_dword v0, off, s[60:63], 0 offset:116 ; 4-byte Folded Spill
	s_and_saveexec_b64 s[42:43], s[44:45]
	s_cbranch_execz .LBB317_395
; %bb.392:                              ;   in Loop: Header=BB317_13 Depth=1
	v_bfe_u32 v0, v31, 16, 7
	v_cmp_ne_u32_e32 vcc, s53, v0
	v_mov_b32_e32 v1, 0x7f800001
	buffer_store_dword v1, off, s[60:63], 0 offset:116 ; 4-byte Folded Spill
	s_and_saveexec_b64 s[44:45], vcc
	s_cbranch_execz .LBB317_394
; %bb.393:                              ;   in Loop: Header=BB317_13 Depth=1
	v_and_b32_e32 v2, 7, v32
	v_lshrrev_b32_e32 v3, 3, v0
	v_cmp_gt_u32_e32 vcc, 8, v0
	v_ffbh_u32_e32 v0, v2
	v_min_u32_e32 v4, 32, v0
	v_subrev_u32_e32 v0, 28, v4
	v_lshlrev_b64 v[0:1], v0, v[32:33]
	v_sub_u32_e32 v1, 29, v4
	v_and_b32_e32 v0, 7, v0
	v_cndmask_b32_e32 v1, v3, v1, vcc
	v_cndmask_b32_e32 v0, v2, v0, vcc
	v_lshlrev_b32_e32 v2, 24, v32
	v_bfrev_b32_e32 v3, 60
	v_lshlrev_b32_e32 v0, 20, v0
	v_and_b32_e32 v2, 0x80000000, v2
	v_lshl_add_u32 v1, v1, 23, v3
	v_or3_b32 v0, v2, v1, v0
	buffer_store_dword v0, off, s[60:63], 0 offset:116 ; 4-byte Folded Spill
.LBB317_394:                            ;   in Loop: Header=BB317_13 Depth=1
	s_or_b64 exec, exec, s[44:45]
.LBB317_395:                            ;   in Loop: Header=BB317_13 Depth=1
	s_or_b64 exec, exec, s[42:43]
.LBB317_396:                            ;   in Loop: Header=BB317_13 Depth=1
	s_or_b64 exec, exec, s[6:7]
	v_cmp_lt_u32_e32 vcc, s54, v31
	s_and_saveexec_b64 s[6:7], vcc
	s_cbranch_execz .LBB317_402
; %bb.397:                              ;   in Loop: Header=BB317_13 Depth=1
	v_lshrrev_b32_e32 v32, 24, v31
	v_cmp_ne_u32_e32 vcc, s52, v32
	v_bfrev_b32_e32 v0, 1
	buffer_store_dword v0, off, s[60:63], 0 offset:224 ; 4-byte Folded Spill
	s_and_saveexec_b64 s[42:43], vcc
	s_cbranch_execz .LBB317_401
; %bb.398:                              ;   in Loop: Header=BB317_13 Depth=1
	v_bfe_u32 v0, v31, 24, 7
	v_cmp_ne_u32_e32 vcc, s53, v0
	v_mov_b32_e32 v1, 0x7f800001
	s_and_saveexec_b64 s[44:45], vcc
	s_cbranch_execz .LBB317_400
; %bb.399:                              ;   in Loop: Header=BB317_13 Depth=1
	v_and_b32_e32 v2, 7, v32
	v_lshrrev_b32_e32 v3, 3, v0
	v_cmp_gt_u32_e32 vcc, 8, v0
	v_ffbh_u32_e32 v0, v2
	v_min_u32_e32 v4, 32, v0
	v_subrev_u32_e32 v0, 28, v4
	v_lshlrev_b64 v[0:1], v0, v[32:33]
	v_sub_u32_e32 v1, 29, v4
	v_and_b32_e32 v0, 7, v0
	v_cndmask_b32_e32 v1, v3, v1, vcc
	v_cndmask_b32_e32 v0, v2, v0, vcc
	v_lshlrev_b32_e32 v2, 24, v32
	v_bfrev_b32_e32 v3, 60
	v_lshlrev_b32_e32 v0, 20, v0
	v_and_b32_e32 v2, 0x80000000, v2
	v_lshl_add_u32 v1, v1, 23, v3
	v_or3_b32 v1, v2, v1, v0
.LBB317_400:                            ;   in Loop: Header=BB317_13 Depth=1
	s_or_b64 exec, exec, s[44:45]
	buffer_store_dword v1, off, s[60:63], 0 offset:224 ; 4-byte Folded Spill
.LBB317_401:                            ;   in Loop: Header=BB317_13 Depth=1
	s_or_b64 exec, exec, s[42:43]
.LBB317_402:                            ;   in Loop: Header=BB317_13 Depth=1
	s_or_b64 exec, exec, s[6:7]
	buffer_load_dword v1, off, s[60:63], 0 offset:8 ; 4-byte Folded Reload
	v_add_co_u32_e32 v0, vcc, 0x1000, v29
	v_addc_co_u32_e32 v25, vcc, 0, v30, vcc
	s_waitcnt vmcnt(0)
	v_add_co_u32_e32 v1, vcc, v0, v1
	v_addc_co_u32_e32 v2, vcc, 0, v25, vcc
	global_load_dword v31, v[1:2], off
	v_mov_b32_e32 v1, 0
	buffer_store_dword v1, off, s[60:63], 0 offset:124 ; 4-byte Folded Spill
	v_mov_b32_e32 v1, 0
	buffer_store_dword v1, off, s[60:63], 0 offset:120 ; 4-byte Folded Spill
	s_waitcnt vmcnt(2)
	v_cmp_ne_u16_sdwa s[42:43], v31, v41 src0_sel:BYTE_0 src1_sel:DWORD
	s_and_saveexec_b64 s[6:7], s[42:43]
	s_cbranch_execz .LBB317_408
; %bb.403:                              ;   in Loop: Header=BB317_13 Depth=1
	v_cmp_ne_u16_sdwa s[44:45], v31, s52 src0_sel:BYTE_0 src1_sel:DWORD
	v_bfrev_b32_e32 v1, 1
	buffer_store_dword v1, off, s[60:63], 0 offset:120 ; 4-byte Folded Spill
	s_and_saveexec_b64 s[42:43], s[44:45]
	s_cbranch_execz .LBB317_407
; %bb.404:                              ;   in Loop: Header=BB317_13 Depth=1
	v_and_b32_e32 v1, 0x7f, v31
	v_cmp_ne_u32_e32 vcc, s53, v1
	v_mov_b32_e32 v2, 0x7f800001
	buffer_store_dword v2, off, s[60:63], 0 offset:120 ; 4-byte Folded Spill
	s_and_saveexec_b64 s[44:45], vcc
	s_cbranch_execz .LBB317_406
; %bb.405:                              ;   in Loop: Header=BB317_13 Depth=1
	v_and_b32_e32 v3, 7, v31
	v_lshrrev_b32_e32 v4, 3, v1
	v_cmp_gt_u32_e32 vcc, 8, v1
	v_ffbh_u32_e32 v1, v3
	v_min_u32_e32 v9, 32, v1
	v_subrev_u32_e32 v1, 28, v9
	v_lshlrev_b64 v[1:2], v1, v[31:32]
	v_sub_u32_e32 v2, 29, v9
	v_and_b32_e32 v1, 7, v1
	v_cndmask_b32_e32 v2, v4, v2, vcc
	v_cndmask_b32_e32 v1, v3, v1, vcc
	v_lshlrev_b32_e32 v3, 24, v31
	v_bfrev_b32_e32 v4, 60
	v_lshlrev_b32_e32 v1, 20, v1
	v_and_b32_e32 v3, 0x80000000, v3
	v_lshl_add_u32 v2, v2, 23, v4
	v_or3_b32 v1, v3, v2, v1
	buffer_store_dword v1, off, s[60:63], 0 offset:120 ; 4-byte Folded Spill
.LBB317_406:                            ;   in Loop: Header=BB317_13 Depth=1
	s_or_b64 exec, exec, s[44:45]
.LBB317_407:                            ;   in Loop: Header=BB317_13 Depth=1
	s_or_b64 exec, exec, s[42:43]
.LBB317_408:                            ;   in Loop: Header=BB317_13 Depth=1
	s_or_b64 exec, exec, s[6:7]
	v_lshrrev_b16_e32 v32, 8, v31
	v_cmp_ne_u16_e32 vcc, 0, v32
	s_and_saveexec_b64 s[6:7], vcc
	s_cbranch_execz .LBB317_414
; %bb.409:                              ;   in Loop: Header=BB317_13 Depth=1
	v_cmp_ne_u16_e32 vcc, s52, v32
	v_bfrev_b32_e32 v1, 1
	buffer_store_dword v1, off, s[60:63], 0 offset:124 ; 4-byte Folded Spill
	s_and_saveexec_b64 s[42:43], vcc
	s_cbranch_execz .LBB317_413
; %bb.410:                              ;   in Loop: Header=BB317_13 Depth=1
	v_and_b32_e32 v1, 0x7f, v32
	v_cmp_ne_u32_e32 vcc, s53, v1
	v_mov_b32_e32 v2, 0x7f800001
	buffer_store_dword v2, off, s[60:63], 0 offset:124 ; 4-byte Folded Spill
	s_and_saveexec_b64 s[44:45], vcc
	s_cbranch_execz .LBB317_412
; %bb.411:                              ;   in Loop: Header=BB317_13 Depth=1
	v_and_b32_e32 v3, 7, v32
	v_lshrrev_b32_e32 v4, 3, v1
	v_cmp_gt_u32_e32 vcc, 8, v1
	v_ffbh_u32_e32 v1, v3
	v_min_u32_e32 v9, 32, v1
	v_subrev_u32_e32 v1, 28, v9
	v_lshlrev_b64 v[1:2], v1, v[32:33]
	v_sub_u32_e32 v2, 29, v9
	v_and_b32_e32 v1, 7, v1
	v_cndmask_b32_e32 v2, v4, v2, vcc
	v_cndmask_b32_e32 v1, v3, v1, vcc
	v_lshlrev_b32_e32 v3, 16, v31
	v_bfrev_b32_e32 v4, 60
	v_lshlrev_b32_e32 v1, 20, v1
	v_and_b32_e32 v3, 0x80000000, v3
	v_lshl_add_u32 v2, v2, 23, v4
	v_or3_b32 v1, v3, v2, v1
	buffer_store_dword v1, off, s[60:63], 0 offset:124 ; 4-byte Folded Spill
.LBB317_412:                            ;   in Loop: Header=BB317_13 Depth=1
	s_or_b64 exec, exec, s[44:45]
.LBB317_413:                            ;   in Loop: Header=BB317_13 Depth=1
	s_or_b64 exec, exec, s[42:43]
.LBB317_414:                            ;   in Loop: Header=BB317_13 Depth=1
	s_or_b64 exec, exec, s[6:7]
	v_lshrrev_b32_e32 v32, 16, v31
	v_mov_b32_e32 v1, 0
	v_cmp_ne_u16_sdwa s[42:43], v32, v41 src0_sel:BYTE_0 src1_sel:DWORD
	buffer_store_dword v1, off, s[60:63], 0 offset:228 ; 4-byte Folded Spill
	v_mov_b32_e32 v1, 0
	buffer_store_dword v1, off, s[60:63], 0 offset:128 ; 4-byte Folded Spill
	s_and_saveexec_b64 s[6:7], s[42:43]
	s_cbranch_execz .LBB317_420
; %bb.415:                              ;   in Loop: Header=BB317_13 Depth=1
	v_cmp_ne_u16_sdwa s[44:45], v32, s52 src0_sel:BYTE_0 src1_sel:DWORD
	v_bfrev_b32_e32 v1, 1
	buffer_store_dword v1, off, s[60:63], 0 offset:128 ; 4-byte Folded Spill
	s_and_saveexec_b64 s[42:43], s[44:45]
	s_cbranch_execz .LBB317_419
; %bb.416:                              ;   in Loop: Header=BB317_13 Depth=1
	v_bfe_u32 v1, v31, 16, 7
	v_cmp_ne_u32_e32 vcc, s53, v1
	v_mov_b32_e32 v2, 0x7f800001
	buffer_store_dword v2, off, s[60:63], 0 offset:128 ; 4-byte Folded Spill
	s_and_saveexec_b64 s[44:45], vcc
	s_cbranch_execz .LBB317_418
; %bb.417:                              ;   in Loop: Header=BB317_13 Depth=1
	v_and_b32_e32 v3, 7, v32
	v_lshrrev_b32_e32 v4, 3, v1
	v_cmp_gt_u32_e32 vcc, 8, v1
	v_ffbh_u32_e32 v1, v3
	v_min_u32_e32 v9, 32, v1
	v_subrev_u32_e32 v1, 28, v9
	v_lshlrev_b64 v[1:2], v1, v[32:33]
	v_sub_u32_e32 v2, 29, v9
	v_and_b32_e32 v1, 7, v1
	v_cndmask_b32_e32 v2, v4, v2, vcc
	v_cndmask_b32_e32 v1, v3, v1, vcc
	v_lshlrev_b32_e32 v3, 24, v32
	v_bfrev_b32_e32 v4, 60
	v_lshlrev_b32_e32 v1, 20, v1
	v_and_b32_e32 v3, 0x80000000, v3
	v_lshl_add_u32 v2, v2, 23, v4
	v_or3_b32 v1, v3, v2, v1
	buffer_store_dword v1, off, s[60:63], 0 offset:128 ; 4-byte Folded Spill
.LBB317_418:                            ;   in Loop: Header=BB317_13 Depth=1
	s_or_b64 exec, exec, s[44:45]
.LBB317_419:                            ;   in Loop: Header=BB317_13 Depth=1
	s_or_b64 exec, exec, s[42:43]
.LBB317_420:                            ;   in Loop: Header=BB317_13 Depth=1
	s_or_b64 exec, exec, s[6:7]
	v_cmp_lt_u32_e32 vcc, s54, v31
	s_and_saveexec_b64 s[6:7], vcc
	s_cbranch_execz .LBB317_426
; %bb.421:                              ;   in Loop: Header=BB317_13 Depth=1
	v_lshrrev_b32_e32 v32, 24, v31
	v_cmp_ne_u32_e32 vcc, s52, v32
	v_bfrev_b32_e32 v1, 1
	buffer_store_dword v1, off, s[60:63], 0 offset:228 ; 4-byte Folded Spill
	s_and_saveexec_b64 s[42:43], vcc
	s_cbranch_execz .LBB317_425
; %bb.422:                              ;   in Loop: Header=BB317_13 Depth=1
	v_bfe_u32 v1, v31, 24, 7
	v_cmp_ne_u32_e32 vcc, s53, v1
	v_mov_b32_e32 v2, 0x7f800001
	s_and_saveexec_b64 s[44:45], vcc
	s_cbranch_execz .LBB317_424
; %bb.423:                              ;   in Loop: Header=BB317_13 Depth=1
	v_and_b32_e32 v3, 7, v32
	v_lshrrev_b32_e32 v4, 3, v1
	v_cmp_gt_u32_e32 vcc, 8, v1
	v_ffbh_u32_e32 v1, v3
	v_min_u32_e32 v9, 32, v1
	v_subrev_u32_e32 v1, 28, v9
	v_lshlrev_b64 v[1:2], v1, v[32:33]
	v_sub_u32_e32 v2, 29, v9
	v_and_b32_e32 v1, 7, v1
	v_cndmask_b32_e32 v2, v4, v2, vcc
	v_cndmask_b32_e32 v1, v3, v1, vcc
	v_lshlrev_b32_e32 v3, 24, v32
	v_bfrev_b32_e32 v4, 60
	v_lshlrev_b32_e32 v1, 20, v1
	v_and_b32_e32 v3, 0x80000000, v3
	v_lshl_add_u32 v2, v2, 23, v4
	v_or3_b32 v2, v3, v2, v1
.LBB317_424:                            ;   in Loop: Header=BB317_13 Depth=1
	s_or_b64 exec, exec, s[44:45]
	buffer_store_dword v2, off, s[60:63], 0 offset:228 ; 4-byte Folded Spill
.LBB317_425:                            ;   in Loop: Header=BB317_13 Depth=1
	s_or_b64 exec, exec, s[42:43]
.LBB317_426:                            ;   in Loop: Header=BB317_13 Depth=1
	s_or_b64 exec, exec, s[6:7]
	buffer_load_dword v1, off, s[60:63], 0 offset:20 ; 4-byte Folded Reload
	s_waitcnt vmcnt(0)
	v_add_co_u32_e32 v0, vcc, v0, v1
	v_addc_co_u32_e32 v1, vcc, 0, v25, vcc
	global_load_dword v31, v[0:1], off
	v_mov_b32_e32 v0, 0
	buffer_store_dword v0, off, s[60:63], 0 offset:136 ; 4-byte Folded Spill
	v_mov_b32_e32 v0, 0
	buffer_store_dword v0, off, s[60:63], 0 offset:132 ; 4-byte Folded Spill
	s_waitcnt vmcnt(2)
	v_cmp_ne_u16_sdwa s[42:43], v31, v41 src0_sel:BYTE_0 src1_sel:DWORD
	s_and_saveexec_b64 s[6:7], s[42:43]
	s_cbranch_execz .LBB317_432
; %bb.427:                              ;   in Loop: Header=BB317_13 Depth=1
	v_cmp_ne_u16_sdwa s[44:45], v31, s52 src0_sel:BYTE_0 src1_sel:DWORD
	v_bfrev_b32_e32 v0, 1
	buffer_store_dword v0, off, s[60:63], 0 offset:132 ; 4-byte Folded Spill
	s_and_saveexec_b64 s[42:43], s[44:45]
	s_cbranch_execz .LBB317_431
; %bb.428:                              ;   in Loop: Header=BB317_13 Depth=1
	v_and_b32_e32 v0, 0x7f, v31
	v_cmp_ne_u32_e32 vcc, s53, v0
	v_mov_b32_e32 v1, 0x7f800001
	buffer_store_dword v1, off, s[60:63], 0 offset:132 ; 4-byte Folded Spill
	s_and_saveexec_b64 s[44:45], vcc
	s_cbranch_execz .LBB317_430
; %bb.429:                              ;   in Loop: Header=BB317_13 Depth=1
	v_and_b32_e32 v2, 7, v31
	v_lshrrev_b32_e32 v3, 3, v0
	v_cmp_gt_u32_e32 vcc, 8, v0
	v_ffbh_u32_e32 v0, v2
	v_min_u32_e32 v4, 32, v0
	v_subrev_u32_e32 v0, 28, v4
	v_lshlrev_b64 v[0:1], v0, v[31:32]
	v_sub_u32_e32 v1, 29, v4
	v_and_b32_e32 v0, 7, v0
	v_cndmask_b32_e32 v1, v3, v1, vcc
	v_cndmask_b32_e32 v0, v2, v0, vcc
	v_lshlrev_b32_e32 v2, 24, v31
	v_bfrev_b32_e32 v3, 60
	v_lshlrev_b32_e32 v0, 20, v0
	v_and_b32_e32 v2, 0x80000000, v2
	v_lshl_add_u32 v1, v1, 23, v3
	v_or3_b32 v0, v2, v1, v0
	buffer_store_dword v0, off, s[60:63], 0 offset:132 ; 4-byte Folded Spill
.LBB317_430:                            ;   in Loop: Header=BB317_13 Depth=1
	s_or_b64 exec, exec, s[44:45]
.LBB317_431:                            ;   in Loop: Header=BB317_13 Depth=1
	s_or_b64 exec, exec, s[42:43]
.LBB317_432:                            ;   in Loop: Header=BB317_13 Depth=1
	s_or_b64 exec, exec, s[6:7]
	v_lshrrev_b16_e32 v32, 8, v31
	v_cmp_ne_u16_e32 vcc, 0, v32
	s_and_saveexec_b64 s[6:7], vcc
	s_cbranch_execz .LBB317_438
; %bb.433:                              ;   in Loop: Header=BB317_13 Depth=1
	v_cmp_ne_u16_e32 vcc, s52, v32
	v_bfrev_b32_e32 v0, 1
	buffer_store_dword v0, off, s[60:63], 0 offset:136 ; 4-byte Folded Spill
	s_and_saveexec_b64 s[42:43], vcc
	s_cbranch_execz .LBB317_437
; %bb.434:                              ;   in Loop: Header=BB317_13 Depth=1
	v_and_b32_e32 v0, 0x7f, v32
	v_cmp_ne_u32_e32 vcc, s53, v0
	v_mov_b32_e32 v1, 0x7f800001
	buffer_store_dword v1, off, s[60:63], 0 offset:136 ; 4-byte Folded Spill
	s_and_saveexec_b64 s[44:45], vcc
	s_cbranch_execz .LBB317_436
; %bb.435:                              ;   in Loop: Header=BB317_13 Depth=1
	v_and_b32_e32 v2, 7, v32
	v_lshrrev_b32_e32 v3, 3, v0
	v_cmp_gt_u32_e32 vcc, 8, v0
	v_ffbh_u32_e32 v0, v2
	v_min_u32_e32 v4, 32, v0
	v_subrev_u32_e32 v0, 28, v4
	v_lshlrev_b64 v[0:1], v0, v[32:33]
	v_sub_u32_e32 v1, 29, v4
	v_and_b32_e32 v0, 7, v0
	v_cndmask_b32_e32 v1, v3, v1, vcc
	v_cndmask_b32_e32 v0, v2, v0, vcc
	v_lshlrev_b32_e32 v2, 16, v31
	v_bfrev_b32_e32 v3, 60
	v_lshlrev_b32_e32 v0, 20, v0
	v_and_b32_e32 v2, 0x80000000, v2
	v_lshl_add_u32 v1, v1, 23, v3
	v_or3_b32 v0, v2, v1, v0
	buffer_store_dword v0, off, s[60:63], 0 offset:136 ; 4-byte Folded Spill
.LBB317_436:                            ;   in Loop: Header=BB317_13 Depth=1
	s_or_b64 exec, exec, s[44:45]
.LBB317_437:                            ;   in Loop: Header=BB317_13 Depth=1
	s_or_b64 exec, exec, s[42:43]
.LBB317_438:                            ;   in Loop: Header=BB317_13 Depth=1
	s_or_b64 exec, exec, s[6:7]
	v_lshrrev_b32_e32 v32, 16, v31
	v_mov_b32_e32 v0, 0
	v_cmp_ne_u16_sdwa s[42:43], v32, v41 src0_sel:BYTE_0 src1_sel:DWORD
	buffer_store_dword v0, off, s[60:63], 0 offset:232 ; 4-byte Folded Spill
	v_mov_b32_e32 v0, 0
	buffer_store_dword v0, off, s[60:63], 0 offset:140 ; 4-byte Folded Spill
	s_and_saveexec_b64 s[6:7], s[42:43]
	s_cbranch_execz .LBB317_444
; %bb.439:                              ;   in Loop: Header=BB317_13 Depth=1
	v_cmp_ne_u16_sdwa s[44:45], v32, s52 src0_sel:BYTE_0 src1_sel:DWORD
	v_bfrev_b32_e32 v0, 1
	buffer_store_dword v0, off, s[60:63], 0 offset:140 ; 4-byte Folded Spill
	s_and_saveexec_b64 s[42:43], s[44:45]
	s_cbranch_execz .LBB317_443
; %bb.440:                              ;   in Loop: Header=BB317_13 Depth=1
	v_bfe_u32 v0, v31, 16, 7
	v_cmp_ne_u32_e32 vcc, s53, v0
	v_mov_b32_e32 v1, 0x7f800001
	buffer_store_dword v1, off, s[60:63], 0 offset:140 ; 4-byte Folded Spill
	s_and_saveexec_b64 s[44:45], vcc
	s_cbranch_execz .LBB317_442
; %bb.441:                              ;   in Loop: Header=BB317_13 Depth=1
	v_and_b32_e32 v2, 7, v32
	v_lshrrev_b32_e32 v3, 3, v0
	v_cmp_gt_u32_e32 vcc, 8, v0
	v_ffbh_u32_e32 v0, v2
	v_min_u32_e32 v4, 32, v0
	v_subrev_u32_e32 v0, 28, v4
	v_lshlrev_b64 v[0:1], v0, v[32:33]
	v_sub_u32_e32 v1, 29, v4
	v_and_b32_e32 v0, 7, v0
	v_cndmask_b32_e32 v1, v3, v1, vcc
	v_cndmask_b32_e32 v0, v2, v0, vcc
	v_lshlrev_b32_e32 v2, 24, v32
	v_bfrev_b32_e32 v3, 60
	v_lshlrev_b32_e32 v0, 20, v0
	v_and_b32_e32 v2, 0x80000000, v2
	v_lshl_add_u32 v1, v1, 23, v3
	v_or3_b32 v0, v2, v1, v0
	buffer_store_dword v0, off, s[60:63], 0 offset:140 ; 4-byte Folded Spill
.LBB317_442:                            ;   in Loop: Header=BB317_13 Depth=1
	s_or_b64 exec, exec, s[44:45]
.LBB317_443:                            ;   in Loop: Header=BB317_13 Depth=1
	s_or_b64 exec, exec, s[42:43]
.LBB317_444:                            ;   in Loop: Header=BB317_13 Depth=1
	s_or_b64 exec, exec, s[6:7]
	v_cmp_lt_u32_e32 vcc, s54, v31
	s_and_saveexec_b64 s[6:7], vcc
	s_cbranch_execz .LBB317_450
; %bb.445:                              ;   in Loop: Header=BB317_13 Depth=1
	v_lshrrev_b32_e32 v32, 24, v31
	v_cmp_ne_u32_e32 vcc, s52, v32
	v_bfrev_b32_e32 v0, 1
	buffer_store_dword v0, off, s[60:63], 0 offset:232 ; 4-byte Folded Spill
	s_and_saveexec_b64 s[42:43], vcc
	s_cbranch_execz .LBB317_449
; %bb.446:                              ;   in Loop: Header=BB317_13 Depth=1
	v_bfe_u32 v0, v31, 24, 7
	v_cmp_ne_u32_e32 vcc, s53, v0
	v_mov_b32_e32 v1, 0x7f800001
	s_and_saveexec_b64 s[44:45], vcc
	s_cbranch_execz .LBB317_448
; %bb.447:                              ;   in Loop: Header=BB317_13 Depth=1
	v_and_b32_e32 v2, 7, v32
	v_lshrrev_b32_e32 v3, 3, v0
	v_cmp_gt_u32_e32 vcc, 8, v0
	v_ffbh_u32_e32 v0, v2
	v_min_u32_e32 v4, 32, v0
	v_subrev_u32_e32 v0, 28, v4
	v_lshlrev_b64 v[0:1], v0, v[32:33]
	v_sub_u32_e32 v1, 29, v4
	v_and_b32_e32 v0, 7, v0
	v_cndmask_b32_e32 v1, v3, v1, vcc
	v_cndmask_b32_e32 v0, v2, v0, vcc
	v_lshlrev_b32_e32 v2, 24, v32
	v_bfrev_b32_e32 v3, 60
	v_lshlrev_b32_e32 v0, 20, v0
	v_and_b32_e32 v2, 0x80000000, v2
	v_lshl_add_u32 v1, v1, 23, v3
	v_or3_b32 v1, v2, v1, v0
.LBB317_448:                            ;   in Loop: Header=BB317_13 Depth=1
	s_or_b64 exec, exec, s[44:45]
	buffer_store_dword v1, off, s[60:63], 0 offset:232 ; 4-byte Folded Spill
.LBB317_449:                            ;   in Loop: Header=BB317_13 Depth=1
	s_or_b64 exec, exec, s[42:43]
.LBB317_450:                            ;   in Loop: Header=BB317_13 Depth=1
	s_or_b64 exec, exec, s[6:7]
	buffer_load_dword v1, off, s[60:63], 0 offset:8 ; 4-byte Folded Reload
	v_add_co_u32_e32 v0, vcc, 0x1200, v29
	v_addc_co_u32_e32 v25, vcc, 0, v30, vcc
	v_mov_b32_e32 v9, 0
	s_waitcnt vmcnt(0)
	v_add_co_u32_e32 v1, vcc, v0, v1
	v_addc_co_u32_e32 v2, vcc, 0, v25, vcc
	global_load_dword v31, v[1:2], off
	v_mov_b32_e32 v2, 0
	s_waitcnt vmcnt(0)
	v_cmp_ne_u16_sdwa s[42:43], v31, v41 src0_sel:BYTE_0 src1_sel:DWORD
	s_and_saveexec_b64 s[6:7], s[42:43]
	s_cbranch_execz .LBB317_456
; %bb.451:                              ;   in Loop: Header=BB317_13 Depth=1
	v_cmp_ne_u16_sdwa s[44:45], v31, s52 src0_sel:BYTE_0 src1_sel:DWORD
	v_bfrev_b32_e32 v2, 1
	s_and_saveexec_b64 s[42:43], s[44:45]
	s_cbranch_execz .LBB317_455
; %bb.452:                              ;   in Loop: Header=BB317_13 Depth=1
	v_and_b32_e32 v1, 0x7f, v31
	v_cmp_ne_u32_e32 vcc, s53, v1
	v_mov_b32_e32 v2, 0x7f800001
	s_and_saveexec_b64 s[44:45], vcc
	s_cbranch_execz .LBB317_454
; %bb.453:                              ;   in Loop: Header=BB317_13 Depth=1
	v_and_b32_e32 v3, 7, v31
	v_lshrrev_b32_e32 v4, 3, v1
	v_cmp_gt_u32_e32 vcc, 8, v1
	v_ffbh_u32_e32 v1, v3
	v_min_u32_e32 v9, 32, v1
	v_subrev_u32_e32 v1, 28, v9
	v_lshlrev_b64 v[1:2], v1, v[31:32]
	v_sub_u32_e32 v2, 29, v9
	v_and_b32_e32 v1, 7, v1
	v_cndmask_b32_e32 v2, v4, v2, vcc
	v_cndmask_b32_e32 v1, v3, v1, vcc
	v_lshlrev_b32_e32 v3, 24, v31
	v_bfrev_b32_e32 v4, 60
	v_lshlrev_b32_e32 v1, 20, v1
	v_and_b32_e32 v3, 0x80000000, v3
	v_lshl_add_u32 v2, v2, 23, v4
	v_mov_b32_e32 v9, 0
	v_or3_b32 v2, v3, v2, v1
.LBB317_454:                            ;   in Loop: Header=BB317_13 Depth=1
	s_or_b64 exec, exec, s[44:45]
.LBB317_455:                            ;   in Loop: Header=BB317_13 Depth=1
	s_or_b64 exec, exec, s[42:43]
.LBB317_456:                            ;   in Loop: Header=BB317_13 Depth=1
	s_or_b64 exec, exec, s[6:7]
	v_lshrrev_b16_e32 v32, 8, v31
	v_cmp_ne_u16_e32 vcc, 0, v32
	buffer_store_dword v2, off, s[60:63], 0 offset:424 ; 4-byte Folded Spill
	s_and_saveexec_b64 s[6:7], vcc
	s_cbranch_execz .LBB317_462
; %bb.457:                              ;   in Loop: Header=BB317_13 Depth=1
	v_cmp_ne_u16_e32 vcc, s52, v32
	v_bfrev_b32_e32 v9, 1
	s_and_saveexec_b64 s[42:43], vcc
	s_cbranch_execz .LBB317_461
; %bb.458:                              ;   in Loop: Header=BB317_13 Depth=1
	v_and_b32_e32 v1, 0x7f, v32
	v_cmp_ne_u32_e32 vcc, s53, v1
	v_mov_b32_e32 v9, 0x7f800001
	s_and_saveexec_b64 s[44:45], vcc
	s_cbranch_execz .LBB317_460
; %bb.459:                              ;   in Loop: Header=BB317_13 Depth=1
	v_and_b32_e32 v3, 7, v32
	v_lshrrev_b32_e32 v4, 3, v1
	v_cmp_gt_u32_e32 vcc, 8, v1
	v_ffbh_u32_e32 v1, v3
	v_min_u32_e32 v9, 32, v1
	v_subrev_u32_e32 v1, 28, v9
	v_lshlrev_b64 v[1:2], v1, v[32:33]
	v_sub_u32_e32 v2, 29, v9
	v_and_b32_e32 v1, 7, v1
	v_cndmask_b32_e32 v2, v4, v2, vcc
	v_cndmask_b32_e32 v1, v3, v1, vcc
	v_lshlrev_b32_e32 v3, 16, v31
	v_bfrev_b32_e32 v4, 60
	v_lshlrev_b32_e32 v1, 20, v1
	v_and_b32_e32 v3, 0x80000000, v3
	v_lshl_add_u32 v2, v2, 23, v4
	v_or3_b32 v9, v3, v2, v1
.LBB317_460:                            ;   in Loop: Header=BB317_13 Depth=1
	s_or_b64 exec, exec, s[44:45]
.LBB317_461:                            ;   in Loop: Header=BB317_13 Depth=1
	s_or_b64 exec, exec, s[42:43]
.LBB317_462:                            ;   in Loop: Header=BB317_13 Depth=1
	s_or_b64 exec, exec, s[6:7]
	v_lshrrev_b32_e32 v32, 16, v31
	buffer_store_dword v9, off, s[60:63], 0 offset:428 ; 4-byte Folded Spill
	v_cmp_ne_u16_sdwa s[42:43], v32, v41 src0_sel:BYTE_0 src1_sel:DWORD
	v_mov_b32_e32 v9, 0
	v_mov_b32_e32 v1, 0
	buffer_store_dword v1, off, s[60:63], 0 offset:144 ; 4-byte Folded Spill
	s_and_saveexec_b64 s[6:7], s[42:43]
	s_cbranch_execz .LBB317_468
; %bb.463:                              ;   in Loop: Header=BB317_13 Depth=1
	v_cmp_ne_u16_sdwa s[44:45], v32, s52 src0_sel:BYTE_0 src1_sel:DWORD
	v_bfrev_b32_e32 v1, 1
	buffer_store_dword v1, off, s[60:63], 0 offset:144 ; 4-byte Folded Spill
	s_and_saveexec_b64 s[42:43], s[44:45]
	s_cbranch_execz .LBB317_467
; %bb.464:                              ;   in Loop: Header=BB317_13 Depth=1
	v_bfe_u32 v1, v31, 16, 7
	v_cmp_ne_u32_e32 vcc, s53, v1
	v_mov_b32_e32 v2, 0x7f800001
	buffer_store_dword v2, off, s[60:63], 0 offset:144 ; 4-byte Folded Spill
	s_and_saveexec_b64 s[44:45], vcc
	s_cbranch_execz .LBB317_466
; %bb.465:                              ;   in Loop: Header=BB317_13 Depth=1
	v_and_b32_e32 v3, 7, v32
	v_lshrrev_b32_e32 v4, 3, v1
	v_cmp_gt_u32_e32 vcc, 8, v1
	v_ffbh_u32_e32 v1, v3
	v_min_u32_e32 v9, 32, v1
	v_subrev_u32_e32 v1, 28, v9
	v_lshlrev_b64 v[1:2], v1, v[32:33]
	v_sub_u32_e32 v2, 29, v9
	v_and_b32_e32 v1, 7, v1
	v_cndmask_b32_e32 v2, v4, v2, vcc
	v_cndmask_b32_e32 v1, v3, v1, vcc
	v_lshlrev_b32_e32 v3, 24, v32
	v_bfrev_b32_e32 v4, 60
	v_lshlrev_b32_e32 v1, 20, v1
	v_and_b32_e32 v3, 0x80000000, v3
	v_lshl_add_u32 v2, v2, 23, v4
	v_mov_b32_e32 v9, 0
	v_or3_b32 v1, v3, v2, v1
	buffer_store_dword v1, off, s[60:63], 0 offset:144 ; 4-byte Folded Spill
.LBB317_466:                            ;   in Loop: Header=BB317_13 Depth=1
	s_or_b64 exec, exec, s[44:45]
.LBB317_467:                            ;   in Loop: Header=BB317_13 Depth=1
	s_or_b64 exec, exec, s[42:43]
.LBB317_468:                            ;   in Loop: Header=BB317_13 Depth=1
	s_or_b64 exec, exec, s[6:7]
	v_cmp_lt_u32_e32 vcc, s54, v31
	s_and_saveexec_b64 s[6:7], vcc
	s_cbranch_execz .LBB317_474
; %bb.469:                              ;   in Loop: Header=BB317_13 Depth=1
	v_lshrrev_b32_e32 v32, 24, v31
	v_cmp_ne_u32_e32 vcc, s52, v32
	v_bfrev_b32_e32 v9, 1
	s_and_saveexec_b64 s[42:43], vcc
	s_cbranch_execz .LBB317_473
; %bb.470:                              ;   in Loop: Header=BB317_13 Depth=1
	v_bfe_u32 v1, v31, 24, 7
	v_cmp_ne_u32_e32 vcc, s53, v1
	v_mov_b32_e32 v9, 0x7f800001
	s_and_saveexec_b64 s[44:45], vcc
	s_cbranch_execz .LBB317_472
; %bb.471:                              ;   in Loop: Header=BB317_13 Depth=1
	v_and_b32_e32 v3, 7, v32
	v_lshrrev_b32_e32 v4, 3, v1
	v_cmp_gt_u32_e32 vcc, 8, v1
	v_ffbh_u32_e32 v1, v3
	v_min_u32_e32 v9, 32, v1
	v_subrev_u32_e32 v1, 28, v9
	v_lshlrev_b64 v[1:2], v1, v[32:33]
	v_sub_u32_e32 v2, 29, v9
	v_and_b32_e32 v1, 7, v1
	v_cndmask_b32_e32 v2, v4, v2, vcc
	v_cndmask_b32_e32 v1, v3, v1, vcc
	v_lshlrev_b32_e32 v3, 24, v32
	v_bfrev_b32_e32 v4, 60
	v_lshlrev_b32_e32 v1, 20, v1
	v_and_b32_e32 v3, 0x80000000, v3
	v_lshl_add_u32 v2, v2, 23, v4
	v_or3_b32 v9, v3, v2, v1
.LBB317_472:                            ;   in Loop: Header=BB317_13 Depth=1
	s_or_b64 exec, exec, s[44:45]
.LBB317_473:                            ;   in Loop: Header=BB317_13 Depth=1
	s_or_b64 exec, exec, s[42:43]
.LBB317_474:                            ;   in Loop: Header=BB317_13 Depth=1
	s_or_b64 exec, exec, s[6:7]
	buffer_load_dword v1, off, s[60:63], 0 offset:20 ; 4-byte Folded Reload
	s_waitcnt vmcnt(0)
	v_add_co_u32_e32 v0, vcc, v0, v1
	v_addc_co_u32_e32 v1, vcc, 0, v25, vcc
	global_load_dword v31, v[0:1], off
	v_mov_b32_e32 v0, 0
	buffer_store_dword v0, off, s[60:63], 0 offset:152 ; 4-byte Folded Spill
	v_mov_b32_e32 v0, 0
	buffer_store_dword v0, off, s[60:63], 0 offset:148 ; 4-byte Folded Spill
	s_waitcnt vmcnt(2)
	v_cmp_ne_u16_sdwa s[42:43], v31, v41 src0_sel:BYTE_0 src1_sel:DWORD
	s_and_saveexec_b64 s[6:7], s[42:43]
	s_cbranch_execz .LBB317_480
; %bb.475:                              ;   in Loop: Header=BB317_13 Depth=1
	v_cmp_ne_u16_sdwa s[44:45], v31, s52 src0_sel:BYTE_0 src1_sel:DWORD
	v_bfrev_b32_e32 v0, 1
	buffer_store_dword v0, off, s[60:63], 0 offset:148 ; 4-byte Folded Spill
	s_and_saveexec_b64 s[42:43], s[44:45]
	s_cbranch_execz .LBB317_479
; %bb.476:                              ;   in Loop: Header=BB317_13 Depth=1
	v_and_b32_e32 v0, 0x7f, v31
	v_cmp_ne_u32_e32 vcc, s53, v0
	v_mov_b32_e32 v1, 0x7f800001
	buffer_store_dword v1, off, s[60:63], 0 offset:148 ; 4-byte Folded Spill
	s_and_saveexec_b64 s[44:45], vcc
	s_cbranch_execz .LBB317_478
; %bb.477:                              ;   in Loop: Header=BB317_13 Depth=1
	v_and_b32_e32 v2, 7, v31
	v_lshrrev_b32_e32 v3, 3, v0
	v_cmp_gt_u32_e32 vcc, 8, v0
	v_ffbh_u32_e32 v0, v2
	v_min_u32_e32 v4, 32, v0
	v_subrev_u32_e32 v0, 28, v4
	v_lshlrev_b64 v[0:1], v0, v[31:32]
	v_sub_u32_e32 v1, 29, v4
	v_and_b32_e32 v0, 7, v0
	v_cndmask_b32_e32 v1, v3, v1, vcc
	v_cndmask_b32_e32 v0, v2, v0, vcc
	v_lshlrev_b32_e32 v2, 24, v31
	v_bfrev_b32_e32 v3, 60
	v_lshlrev_b32_e32 v0, 20, v0
	v_and_b32_e32 v2, 0x80000000, v2
	v_lshl_add_u32 v1, v1, 23, v3
	v_or3_b32 v0, v2, v1, v0
	buffer_store_dword v0, off, s[60:63], 0 offset:148 ; 4-byte Folded Spill
.LBB317_478:                            ;   in Loop: Header=BB317_13 Depth=1
	s_or_b64 exec, exec, s[44:45]
.LBB317_479:                            ;   in Loop: Header=BB317_13 Depth=1
	s_or_b64 exec, exec, s[42:43]
.LBB317_480:                            ;   in Loop: Header=BB317_13 Depth=1
	s_or_b64 exec, exec, s[6:7]
	v_lshrrev_b16_e32 v32, 8, v31
	v_cmp_ne_u16_e32 vcc, 0, v32
	s_and_saveexec_b64 s[6:7], vcc
	s_cbranch_execz .LBB317_486
; %bb.481:                              ;   in Loop: Header=BB317_13 Depth=1
	v_cmp_ne_u16_e32 vcc, s52, v32
	v_bfrev_b32_e32 v0, 1
	buffer_store_dword v0, off, s[60:63], 0 offset:152 ; 4-byte Folded Spill
	s_and_saveexec_b64 s[42:43], vcc
	s_cbranch_execz .LBB317_485
; %bb.482:                              ;   in Loop: Header=BB317_13 Depth=1
	v_and_b32_e32 v0, 0x7f, v32
	v_cmp_ne_u32_e32 vcc, s53, v0
	v_mov_b32_e32 v1, 0x7f800001
	buffer_store_dword v1, off, s[60:63], 0 offset:152 ; 4-byte Folded Spill
	s_and_saveexec_b64 s[44:45], vcc
	s_cbranch_execz .LBB317_484
; %bb.483:                              ;   in Loop: Header=BB317_13 Depth=1
	v_and_b32_e32 v2, 7, v32
	v_lshrrev_b32_e32 v3, 3, v0
	v_cmp_gt_u32_e32 vcc, 8, v0
	v_ffbh_u32_e32 v0, v2
	v_min_u32_e32 v4, 32, v0
	v_subrev_u32_e32 v0, 28, v4
	v_lshlrev_b64 v[0:1], v0, v[32:33]
	v_sub_u32_e32 v1, 29, v4
	v_and_b32_e32 v0, 7, v0
	v_cndmask_b32_e32 v1, v3, v1, vcc
	v_cndmask_b32_e32 v0, v2, v0, vcc
	v_lshlrev_b32_e32 v2, 16, v31
	v_bfrev_b32_e32 v3, 60
	v_lshlrev_b32_e32 v0, 20, v0
	v_and_b32_e32 v2, 0x80000000, v2
	v_lshl_add_u32 v1, v1, 23, v3
	v_or3_b32 v0, v2, v1, v0
	buffer_store_dword v0, off, s[60:63], 0 offset:152 ; 4-byte Folded Spill
.LBB317_484:                            ;   in Loop: Header=BB317_13 Depth=1
	s_or_b64 exec, exec, s[44:45]
.LBB317_485:                            ;   in Loop: Header=BB317_13 Depth=1
	s_or_b64 exec, exec, s[42:43]
.LBB317_486:                            ;   in Loop: Header=BB317_13 Depth=1
	s_or_b64 exec, exec, s[6:7]
	v_lshrrev_b32_e32 v32, 16, v31
	v_mov_b32_e32 v0, 0
	v_cmp_ne_u16_sdwa s[42:43], v32, v41 src0_sel:BYTE_0 src1_sel:DWORD
	buffer_store_dword v0, off, s[60:63], 0 offset:236 ; 4-byte Folded Spill
	v_mov_b32_e32 v0, 0
	buffer_store_dword v0, off, s[60:63], 0 offset:156 ; 4-byte Folded Spill
	s_and_saveexec_b64 s[6:7], s[42:43]
	s_cbranch_execz .LBB317_492
; %bb.487:                              ;   in Loop: Header=BB317_13 Depth=1
	v_cmp_ne_u16_sdwa s[44:45], v32, s52 src0_sel:BYTE_0 src1_sel:DWORD
	v_bfrev_b32_e32 v0, 1
	buffer_store_dword v0, off, s[60:63], 0 offset:156 ; 4-byte Folded Spill
	s_and_saveexec_b64 s[42:43], s[44:45]
	s_cbranch_execz .LBB317_491
; %bb.488:                              ;   in Loop: Header=BB317_13 Depth=1
	v_bfe_u32 v0, v31, 16, 7
	v_cmp_ne_u32_e32 vcc, s53, v0
	v_mov_b32_e32 v1, 0x7f800001
	buffer_store_dword v1, off, s[60:63], 0 offset:156 ; 4-byte Folded Spill
	s_and_saveexec_b64 s[44:45], vcc
	s_cbranch_execz .LBB317_490
; %bb.489:                              ;   in Loop: Header=BB317_13 Depth=1
	v_and_b32_e32 v2, 7, v32
	v_lshrrev_b32_e32 v3, 3, v0
	v_cmp_gt_u32_e32 vcc, 8, v0
	v_ffbh_u32_e32 v0, v2
	v_min_u32_e32 v4, 32, v0
	v_subrev_u32_e32 v0, 28, v4
	v_lshlrev_b64 v[0:1], v0, v[32:33]
	v_sub_u32_e32 v1, 29, v4
	v_and_b32_e32 v0, 7, v0
	v_cndmask_b32_e32 v1, v3, v1, vcc
	v_cndmask_b32_e32 v0, v2, v0, vcc
	v_lshlrev_b32_e32 v2, 24, v32
	v_bfrev_b32_e32 v3, 60
	v_lshlrev_b32_e32 v0, 20, v0
	v_and_b32_e32 v2, 0x80000000, v2
	v_lshl_add_u32 v1, v1, 23, v3
	v_or3_b32 v0, v2, v1, v0
	buffer_store_dword v0, off, s[60:63], 0 offset:156 ; 4-byte Folded Spill
.LBB317_490:                            ;   in Loop: Header=BB317_13 Depth=1
	s_or_b64 exec, exec, s[44:45]
.LBB317_491:                            ;   in Loop: Header=BB317_13 Depth=1
	s_or_b64 exec, exec, s[42:43]
.LBB317_492:                            ;   in Loop: Header=BB317_13 Depth=1
	s_or_b64 exec, exec, s[6:7]
	v_cmp_lt_u32_e32 vcc, s54, v31
	s_and_saveexec_b64 s[6:7], vcc
	s_cbranch_execz .LBB317_498
; %bb.493:                              ;   in Loop: Header=BB317_13 Depth=1
	v_lshrrev_b32_e32 v32, 24, v31
	v_cmp_ne_u32_e32 vcc, s52, v32
	v_bfrev_b32_e32 v0, 1
	buffer_store_dword v0, off, s[60:63], 0 offset:236 ; 4-byte Folded Spill
	s_and_saveexec_b64 s[42:43], vcc
	s_cbranch_execz .LBB317_497
; %bb.494:                              ;   in Loop: Header=BB317_13 Depth=1
	v_bfe_u32 v0, v31, 24, 7
	v_cmp_ne_u32_e32 vcc, s53, v0
	v_mov_b32_e32 v1, 0x7f800001
	s_and_saveexec_b64 s[44:45], vcc
	s_cbranch_execz .LBB317_496
; %bb.495:                              ;   in Loop: Header=BB317_13 Depth=1
	v_and_b32_e32 v2, 7, v32
	v_lshrrev_b32_e32 v3, 3, v0
	v_cmp_gt_u32_e32 vcc, 8, v0
	v_ffbh_u32_e32 v0, v2
	v_min_u32_e32 v4, 32, v0
	v_subrev_u32_e32 v0, 28, v4
	v_lshlrev_b64 v[0:1], v0, v[32:33]
	v_sub_u32_e32 v1, 29, v4
	v_and_b32_e32 v0, 7, v0
	v_cndmask_b32_e32 v1, v3, v1, vcc
	v_cndmask_b32_e32 v0, v2, v0, vcc
	v_lshlrev_b32_e32 v2, 24, v32
	v_bfrev_b32_e32 v3, 60
	v_lshlrev_b32_e32 v0, 20, v0
	v_and_b32_e32 v2, 0x80000000, v2
	v_lshl_add_u32 v1, v1, 23, v3
	v_or3_b32 v1, v2, v1, v0
.LBB317_496:                            ;   in Loop: Header=BB317_13 Depth=1
	s_or_b64 exec, exec, s[44:45]
	buffer_store_dword v1, off, s[60:63], 0 offset:236 ; 4-byte Folded Spill
.LBB317_497:                            ;   in Loop: Header=BB317_13 Depth=1
	s_or_b64 exec, exec, s[42:43]
.LBB317_498:                            ;   in Loop: Header=BB317_13 Depth=1
	s_or_b64 exec, exec, s[6:7]
	buffer_load_dword v0, off, s[60:63], 0 offset:8 ; 4-byte Folded Reload
	v_add_co_u32_e32 v25, vcc, 0x1400, v29
	v_addc_co_u32_e32 v26, vcc, 0, v30, vcc
	s_waitcnt vmcnt(0)
	v_add_co_u32_e32 v0, vcc, v25, v0
	v_addc_co_u32_e32 v1, vcc, 0, v26, vcc
	global_load_dword v31, v[0:1], off
	v_mov_b32_e32 v0, 0
	buffer_store_dword v0, off, s[60:63], 0 offset:164 ; 4-byte Folded Spill
	v_mov_b32_e32 v0, 0
	buffer_store_dword v0, off, s[60:63], 0 offset:160 ; 4-byte Folded Spill
	s_waitcnt vmcnt(2)
	v_cmp_ne_u16_sdwa s[42:43], v31, v41 src0_sel:BYTE_0 src1_sel:DWORD
	s_and_saveexec_b64 s[6:7], s[42:43]
	s_cbranch_execz .LBB317_504
; %bb.499:                              ;   in Loop: Header=BB317_13 Depth=1
	v_cmp_ne_u16_sdwa s[44:45], v31, s52 src0_sel:BYTE_0 src1_sel:DWORD
	v_bfrev_b32_e32 v0, 1
	buffer_store_dword v0, off, s[60:63], 0 offset:160 ; 4-byte Folded Spill
	s_and_saveexec_b64 s[42:43], s[44:45]
	s_cbranch_execz .LBB317_503
; %bb.500:                              ;   in Loop: Header=BB317_13 Depth=1
	v_and_b32_e32 v0, 0x7f, v31
	v_cmp_ne_u32_e32 vcc, s53, v0
	v_mov_b32_e32 v1, 0x7f800001
	buffer_store_dword v1, off, s[60:63], 0 offset:160 ; 4-byte Folded Spill
	s_and_saveexec_b64 s[44:45], vcc
	s_cbranch_execz .LBB317_502
; %bb.501:                              ;   in Loop: Header=BB317_13 Depth=1
	v_and_b32_e32 v2, 7, v31
	v_lshrrev_b32_e32 v3, 3, v0
	v_cmp_gt_u32_e32 vcc, 8, v0
	v_ffbh_u32_e32 v0, v2
	v_min_u32_e32 v4, 32, v0
	v_subrev_u32_e32 v0, 28, v4
	v_lshlrev_b64 v[0:1], v0, v[31:32]
	v_sub_u32_e32 v1, 29, v4
	v_and_b32_e32 v0, 7, v0
	v_cndmask_b32_e32 v1, v3, v1, vcc
	v_cndmask_b32_e32 v0, v2, v0, vcc
	v_lshlrev_b32_e32 v2, 24, v31
	v_bfrev_b32_e32 v3, 60
	v_lshlrev_b32_e32 v0, 20, v0
	v_and_b32_e32 v2, 0x80000000, v2
	v_lshl_add_u32 v1, v1, 23, v3
	v_or3_b32 v0, v2, v1, v0
	buffer_store_dword v0, off, s[60:63], 0 offset:160 ; 4-byte Folded Spill
.LBB317_502:                            ;   in Loop: Header=BB317_13 Depth=1
	s_or_b64 exec, exec, s[44:45]
.LBB317_503:                            ;   in Loop: Header=BB317_13 Depth=1
	s_or_b64 exec, exec, s[42:43]
.LBB317_504:                            ;   in Loop: Header=BB317_13 Depth=1
	s_or_b64 exec, exec, s[6:7]
	v_lshrrev_b16_e32 v32, 8, v31
	v_cmp_ne_u16_e32 vcc, 0, v32
	s_and_saveexec_b64 s[6:7], vcc
	s_cbranch_execz .LBB317_510
; %bb.505:                              ;   in Loop: Header=BB317_13 Depth=1
	v_cmp_ne_u16_e32 vcc, s52, v32
	v_bfrev_b32_e32 v0, 1
	buffer_store_dword v0, off, s[60:63], 0 offset:164 ; 4-byte Folded Spill
	s_and_saveexec_b64 s[42:43], vcc
	s_cbranch_execz .LBB317_509
; %bb.506:                              ;   in Loop: Header=BB317_13 Depth=1
	v_and_b32_e32 v0, 0x7f, v32
	v_cmp_ne_u32_e32 vcc, s53, v0
	v_mov_b32_e32 v1, 0x7f800001
	buffer_store_dword v1, off, s[60:63], 0 offset:164 ; 4-byte Folded Spill
	s_and_saveexec_b64 s[44:45], vcc
	s_cbranch_execz .LBB317_508
; %bb.507:                              ;   in Loop: Header=BB317_13 Depth=1
	v_and_b32_e32 v2, 7, v32
	v_lshrrev_b32_e32 v3, 3, v0
	v_cmp_gt_u32_e32 vcc, 8, v0
	v_ffbh_u32_e32 v0, v2
	v_min_u32_e32 v4, 32, v0
	v_subrev_u32_e32 v0, 28, v4
	v_lshlrev_b64 v[0:1], v0, v[32:33]
	v_sub_u32_e32 v1, 29, v4
	v_and_b32_e32 v0, 7, v0
	v_cndmask_b32_e32 v1, v3, v1, vcc
	v_cndmask_b32_e32 v0, v2, v0, vcc
	v_lshlrev_b32_e32 v2, 16, v31
	v_bfrev_b32_e32 v3, 60
	v_lshlrev_b32_e32 v0, 20, v0
	v_and_b32_e32 v2, 0x80000000, v2
	v_lshl_add_u32 v1, v1, 23, v3
	v_or3_b32 v0, v2, v1, v0
	buffer_store_dword v0, off, s[60:63], 0 offset:164 ; 4-byte Folded Spill
.LBB317_508:                            ;   in Loop: Header=BB317_13 Depth=1
	s_or_b64 exec, exec, s[44:45]
.LBB317_509:                            ;   in Loop: Header=BB317_13 Depth=1
	s_or_b64 exec, exec, s[42:43]
.LBB317_510:                            ;   in Loop: Header=BB317_13 Depth=1
	s_or_b64 exec, exec, s[6:7]
	v_lshrrev_b32_e32 v32, 16, v31
	v_mov_b32_e32 v0, 0
	v_cmp_ne_u16_sdwa s[42:43], v32, v41 src0_sel:BYTE_0 src1_sel:DWORD
	buffer_store_dword v0, off, s[60:63], 0 offset:240 ; 4-byte Folded Spill
	v_mov_b32_e32 v0, 0
	buffer_store_dword v0, off, s[60:63], 0 offset:168 ; 4-byte Folded Spill
	s_and_saveexec_b64 s[6:7], s[42:43]
	s_cbranch_execz .LBB317_516
; %bb.511:                              ;   in Loop: Header=BB317_13 Depth=1
	v_cmp_ne_u16_sdwa s[44:45], v32, s52 src0_sel:BYTE_0 src1_sel:DWORD
	v_bfrev_b32_e32 v0, 1
	buffer_store_dword v0, off, s[60:63], 0 offset:168 ; 4-byte Folded Spill
	s_and_saveexec_b64 s[42:43], s[44:45]
	s_cbranch_execz .LBB317_515
; %bb.512:                              ;   in Loop: Header=BB317_13 Depth=1
	v_bfe_u32 v0, v31, 16, 7
	v_cmp_ne_u32_e32 vcc, s53, v0
	v_mov_b32_e32 v1, 0x7f800001
	buffer_store_dword v1, off, s[60:63], 0 offset:168 ; 4-byte Folded Spill
	s_and_saveexec_b64 s[44:45], vcc
	s_cbranch_execz .LBB317_514
; %bb.513:                              ;   in Loop: Header=BB317_13 Depth=1
	v_and_b32_e32 v2, 7, v32
	v_lshrrev_b32_e32 v3, 3, v0
	v_cmp_gt_u32_e32 vcc, 8, v0
	v_ffbh_u32_e32 v0, v2
	v_min_u32_e32 v4, 32, v0
	v_subrev_u32_e32 v0, 28, v4
	v_lshlrev_b64 v[0:1], v0, v[32:33]
	v_sub_u32_e32 v1, 29, v4
	v_and_b32_e32 v0, 7, v0
	v_cndmask_b32_e32 v1, v3, v1, vcc
	v_cndmask_b32_e32 v0, v2, v0, vcc
	v_lshlrev_b32_e32 v2, 24, v32
	v_bfrev_b32_e32 v3, 60
	v_lshlrev_b32_e32 v0, 20, v0
	v_and_b32_e32 v2, 0x80000000, v2
	v_lshl_add_u32 v1, v1, 23, v3
	v_or3_b32 v0, v2, v1, v0
	buffer_store_dword v0, off, s[60:63], 0 offset:168 ; 4-byte Folded Spill
.LBB317_514:                            ;   in Loop: Header=BB317_13 Depth=1
	s_or_b64 exec, exec, s[44:45]
.LBB317_515:                            ;   in Loop: Header=BB317_13 Depth=1
	s_or_b64 exec, exec, s[42:43]
.LBB317_516:                            ;   in Loop: Header=BB317_13 Depth=1
	s_or_b64 exec, exec, s[6:7]
	v_cmp_lt_u32_e32 vcc, s54, v31
	s_and_saveexec_b64 s[6:7], vcc
	s_cbranch_execz .LBB317_522
; %bb.517:                              ;   in Loop: Header=BB317_13 Depth=1
	v_lshrrev_b32_e32 v32, 24, v31
	v_cmp_ne_u32_e32 vcc, s52, v32
	v_bfrev_b32_e32 v0, 1
	buffer_store_dword v0, off, s[60:63], 0 offset:240 ; 4-byte Folded Spill
	s_and_saveexec_b64 s[42:43], vcc
	s_cbranch_execz .LBB317_521
; %bb.518:                              ;   in Loop: Header=BB317_13 Depth=1
	v_bfe_u32 v0, v31, 24, 7
	v_cmp_ne_u32_e32 vcc, s53, v0
	v_mov_b32_e32 v1, 0x7f800001
	s_and_saveexec_b64 s[44:45], vcc
	s_cbranch_execz .LBB317_520
; %bb.519:                              ;   in Loop: Header=BB317_13 Depth=1
	v_and_b32_e32 v2, 7, v32
	v_lshrrev_b32_e32 v3, 3, v0
	v_cmp_gt_u32_e32 vcc, 8, v0
	v_ffbh_u32_e32 v0, v2
	v_min_u32_e32 v4, 32, v0
	v_subrev_u32_e32 v0, 28, v4
	v_lshlrev_b64 v[0:1], v0, v[32:33]
	v_sub_u32_e32 v1, 29, v4
	v_and_b32_e32 v0, 7, v0
	v_cndmask_b32_e32 v1, v3, v1, vcc
	v_cndmask_b32_e32 v0, v2, v0, vcc
	v_lshlrev_b32_e32 v2, 24, v32
	v_bfrev_b32_e32 v3, 60
	v_lshlrev_b32_e32 v0, 20, v0
	v_and_b32_e32 v2, 0x80000000, v2
	v_lshl_add_u32 v1, v1, 23, v3
	v_or3_b32 v1, v2, v1, v0
.LBB317_520:                            ;   in Loop: Header=BB317_13 Depth=1
	s_or_b64 exec, exec, s[44:45]
	buffer_store_dword v1, off, s[60:63], 0 offset:240 ; 4-byte Folded Spill
.LBB317_521:                            ;   in Loop: Header=BB317_13 Depth=1
	s_or_b64 exec, exec, s[42:43]
.LBB317_522:                            ;   in Loop: Header=BB317_13 Depth=1
	s_or_b64 exec, exec, s[6:7]
	buffer_load_dword v0, off, s[60:63], 0 offset:20 ; 4-byte Folded Reload
	s_waitcnt vmcnt(0)
	v_add_co_u32_e32 v0, vcc, v25, v0
	v_addc_co_u32_e32 v1, vcc, 0, v26, vcc
	global_load_dword v31, v[0:1], off
	v_mov_b32_e32 v0, 0
	buffer_store_dword v0, off, s[60:63], 0 offset:176 ; 4-byte Folded Spill
	v_mov_b32_e32 v0, 0
	buffer_store_dword v0, off, s[60:63], 0 offset:172 ; 4-byte Folded Spill
	s_waitcnt vmcnt(2)
	v_cmp_ne_u16_sdwa s[42:43], v31, v41 src0_sel:BYTE_0 src1_sel:DWORD
	s_and_saveexec_b64 s[6:7], s[42:43]
	s_cbranch_execz .LBB317_528
; %bb.523:                              ;   in Loop: Header=BB317_13 Depth=1
	v_cmp_ne_u16_sdwa s[44:45], v31, s52 src0_sel:BYTE_0 src1_sel:DWORD
	v_bfrev_b32_e32 v0, 1
	buffer_store_dword v0, off, s[60:63], 0 offset:172 ; 4-byte Folded Spill
	s_and_saveexec_b64 s[42:43], s[44:45]
	s_cbranch_execz .LBB317_527
; %bb.524:                              ;   in Loop: Header=BB317_13 Depth=1
	v_and_b32_e32 v0, 0x7f, v31
	v_cmp_ne_u32_e32 vcc, s53, v0
	v_mov_b32_e32 v1, 0x7f800001
	buffer_store_dword v1, off, s[60:63], 0 offset:172 ; 4-byte Folded Spill
	s_and_saveexec_b64 s[44:45], vcc
	s_cbranch_execz .LBB317_526
; %bb.525:                              ;   in Loop: Header=BB317_13 Depth=1
	v_and_b32_e32 v2, 7, v31
	v_lshrrev_b32_e32 v3, 3, v0
	v_cmp_gt_u32_e32 vcc, 8, v0
	v_ffbh_u32_e32 v0, v2
	v_min_u32_e32 v4, 32, v0
	v_subrev_u32_e32 v0, 28, v4
	v_lshlrev_b64 v[0:1], v0, v[31:32]
	v_sub_u32_e32 v1, 29, v4
	v_and_b32_e32 v0, 7, v0
	v_cndmask_b32_e32 v1, v3, v1, vcc
	v_cndmask_b32_e32 v0, v2, v0, vcc
	v_lshlrev_b32_e32 v2, 24, v31
	v_bfrev_b32_e32 v3, 60
	v_lshlrev_b32_e32 v0, 20, v0
	v_and_b32_e32 v2, 0x80000000, v2
	v_lshl_add_u32 v1, v1, 23, v3
	v_or3_b32 v0, v2, v1, v0
	buffer_store_dword v0, off, s[60:63], 0 offset:172 ; 4-byte Folded Spill
.LBB317_526:                            ;   in Loop: Header=BB317_13 Depth=1
	s_or_b64 exec, exec, s[44:45]
.LBB317_527:                            ;   in Loop: Header=BB317_13 Depth=1
	s_or_b64 exec, exec, s[42:43]
.LBB317_528:                            ;   in Loop: Header=BB317_13 Depth=1
	s_or_b64 exec, exec, s[6:7]
	v_lshrrev_b16_e32 v32, 8, v31
	v_cmp_ne_u16_e32 vcc, 0, v32
	s_and_saveexec_b64 s[6:7], vcc
	s_cbranch_execz .LBB317_534
; %bb.529:                              ;   in Loop: Header=BB317_13 Depth=1
	v_cmp_ne_u16_e32 vcc, s52, v32
	v_bfrev_b32_e32 v0, 1
	buffer_store_dword v0, off, s[60:63], 0 offset:176 ; 4-byte Folded Spill
	s_and_saveexec_b64 s[42:43], vcc
	s_cbranch_execz .LBB317_533
; %bb.530:                              ;   in Loop: Header=BB317_13 Depth=1
	v_and_b32_e32 v0, 0x7f, v32
	v_cmp_ne_u32_e32 vcc, s53, v0
	v_mov_b32_e32 v1, 0x7f800001
	buffer_store_dword v1, off, s[60:63], 0 offset:176 ; 4-byte Folded Spill
	s_and_saveexec_b64 s[44:45], vcc
	s_cbranch_execz .LBB317_532
; %bb.531:                              ;   in Loop: Header=BB317_13 Depth=1
	v_and_b32_e32 v2, 7, v32
	v_lshrrev_b32_e32 v3, 3, v0
	v_cmp_gt_u32_e32 vcc, 8, v0
	v_ffbh_u32_e32 v0, v2
	v_min_u32_e32 v4, 32, v0
	v_subrev_u32_e32 v0, 28, v4
	v_lshlrev_b64 v[0:1], v0, v[32:33]
	v_sub_u32_e32 v1, 29, v4
	v_and_b32_e32 v0, 7, v0
	v_cndmask_b32_e32 v1, v3, v1, vcc
	v_cndmask_b32_e32 v0, v2, v0, vcc
	v_lshlrev_b32_e32 v2, 16, v31
	v_bfrev_b32_e32 v3, 60
	v_lshlrev_b32_e32 v0, 20, v0
	v_and_b32_e32 v2, 0x80000000, v2
	v_lshl_add_u32 v1, v1, 23, v3
	v_or3_b32 v0, v2, v1, v0
	buffer_store_dword v0, off, s[60:63], 0 offset:176 ; 4-byte Folded Spill
.LBB317_532:                            ;   in Loop: Header=BB317_13 Depth=1
	s_or_b64 exec, exec, s[44:45]
.LBB317_533:                            ;   in Loop: Header=BB317_13 Depth=1
	s_or_b64 exec, exec, s[42:43]
.LBB317_534:                            ;   in Loop: Header=BB317_13 Depth=1
	s_or_b64 exec, exec, s[6:7]
	v_lshrrev_b32_e32 v32, 16, v31
	v_mov_b32_e32 v0, 0
	v_cmp_ne_u16_sdwa s[42:43], v32, v41 src0_sel:BYTE_0 src1_sel:DWORD
	buffer_store_dword v0, off, s[60:63], 0 offset:244 ; 4-byte Folded Spill
	v_mov_b32_e32 v0, 0
	buffer_store_dword v0, off, s[60:63], 0 offset:180 ; 4-byte Folded Spill
	s_and_saveexec_b64 s[6:7], s[42:43]
	s_cbranch_execz .LBB317_540
; %bb.535:                              ;   in Loop: Header=BB317_13 Depth=1
	v_cmp_ne_u16_sdwa s[44:45], v32, s52 src0_sel:BYTE_0 src1_sel:DWORD
	v_bfrev_b32_e32 v0, 1
	buffer_store_dword v0, off, s[60:63], 0 offset:180 ; 4-byte Folded Spill
	s_and_saveexec_b64 s[42:43], s[44:45]
	s_cbranch_execz .LBB317_539
; %bb.536:                              ;   in Loop: Header=BB317_13 Depth=1
	v_bfe_u32 v0, v31, 16, 7
	v_cmp_ne_u32_e32 vcc, s53, v0
	v_mov_b32_e32 v1, 0x7f800001
	buffer_store_dword v1, off, s[60:63], 0 offset:180 ; 4-byte Folded Spill
	s_and_saveexec_b64 s[44:45], vcc
	s_cbranch_execz .LBB317_538
; %bb.537:                              ;   in Loop: Header=BB317_13 Depth=1
	v_and_b32_e32 v2, 7, v32
	v_lshrrev_b32_e32 v3, 3, v0
	v_cmp_gt_u32_e32 vcc, 8, v0
	v_ffbh_u32_e32 v0, v2
	v_min_u32_e32 v4, 32, v0
	v_subrev_u32_e32 v0, 28, v4
	v_lshlrev_b64 v[0:1], v0, v[32:33]
	v_sub_u32_e32 v1, 29, v4
	v_and_b32_e32 v0, 7, v0
	v_cndmask_b32_e32 v1, v3, v1, vcc
	v_cndmask_b32_e32 v0, v2, v0, vcc
	v_lshlrev_b32_e32 v2, 24, v32
	v_bfrev_b32_e32 v3, 60
	v_lshlrev_b32_e32 v0, 20, v0
	v_and_b32_e32 v2, 0x80000000, v2
	v_lshl_add_u32 v1, v1, 23, v3
	v_or3_b32 v0, v2, v1, v0
	buffer_store_dword v0, off, s[60:63], 0 offset:180 ; 4-byte Folded Spill
.LBB317_538:                            ;   in Loop: Header=BB317_13 Depth=1
	s_or_b64 exec, exec, s[44:45]
.LBB317_539:                            ;   in Loop: Header=BB317_13 Depth=1
	s_or_b64 exec, exec, s[42:43]
.LBB317_540:                            ;   in Loop: Header=BB317_13 Depth=1
	s_or_b64 exec, exec, s[6:7]
	v_cmp_lt_u32_e32 vcc, s54, v31
	s_and_saveexec_b64 s[6:7], vcc
	s_cbranch_execz .LBB317_546
; %bb.541:                              ;   in Loop: Header=BB317_13 Depth=1
	v_lshrrev_b32_e32 v32, 24, v31
	v_cmp_ne_u32_e32 vcc, s52, v32
	v_bfrev_b32_e32 v0, 1
	buffer_store_dword v0, off, s[60:63], 0 offset:244 ; 4-byte Folded Spill
	s_and_saveexec_b64 s[42:43], vcc
	s_cbranch_execz .LBB317_545
; %bb.542:                              ;   in Loop: Header=BB317_13 Depth=1
	v_bfe_u32 v0, v31, 24, 7
	v_cmp_ne_u32_e32 vcc, s53, v0
	v_mov_b32_e32 v1, 0x7f800001
	s_and_saveexec_b64 s[44:45], vcc
	s_cbranch_execz .LBB317_544
; %bb.543:                              ;   in Loop: Header=BB317_13 Depth=1
	v_and_b32_e32 v2, 7, v32
	v_lshrrev_b32_e32 v3, 3, v0
	v_cmp_gt_u32_e32 vcc, 8, v0
	v_ffbh_u32_e32 v0, v2
	v_min_u32_e32 v4, 32, v0
	v_subrev_u32_e32 v0, 28, v4
	v_lshlrev_b64 v[0:1], v0, v[32:33]
	v_sub_u32_e32 v1, 29, v4
	v_and_b32_e32 v0, 7, v0
	v_cndmask_b32_e32 v1, v3, v1, vcc
	v_cndmask_b32_e32 v0, v2, v0, vcc
	v_lshlrev_b32_e32 v2, 24, v32
	v_bfrev_b32_e32 v3, 60
	v_lshlrev_b32_e32 v0, 20, v0
	v_and_b32_e32 v2, 0x80000000, v2
	v_lshl_add_u32 v1, v1, 23, v3
	v_or3_b32 v1, v2, v1, v0
.LBB317_544:                            ;   in Loop: Header=BB317_13 Depth=1
	s_or_b64 exec, exec, s[44:45]
	buffer_store_dword v1, off, s[60:63], 0 offset:244 ; 4-byte Folded Spill
.LBB317_545:                            ;   in Loop: Header=BB317_13 Depth=1
	s_or_b64 exec, exec, s[42:43]
.LBB317_546:                            ;   in Loop: Header=BB317_13 Depth=1
	s_or_b64 exec, exec, s[6:7]
	buffer_load_dword v0, off, s[60:63], 0 offset:8 ; 4-byte Folded Reload
	v_add_co_u32_e32 v31, vcc, 0x1600, v29
	v_addc_co_u32_e32 v32, vcc, 0, v30, vcc
	s_waitcnt vmcnt(0)
	v_add_co_u32_e32 v0, vcc, v31, v0
	v_addc_co_u32_e32 v1, vcc, 0, v32, vcc
	global_load_dword v29, v[0:1], off
	v_mov_b32_e32 v0, 0
	buffer_store_dword v0, off, s[60:63], 0 offset:188 ; 4-byte Folded Spill
	v_mov_b32_e32 v0, 0
	buffer_store_dword v0, off, s[60:63], 0 offset:184 ; 4-byte Folded Spill
	s_waitcnt vmcnt(2)
	v_cmp_ne_u16_sdwa s[42:43], v29, v41 src0_sel:BYTE_0 src1_sel:DWORD
	s_and_saveexec_b64 s[6:7], s[42:43]
	s_cbranch_execz .LBB317_552
; %bb.547:                              ;   in Loop: Header=BB317_13 Depth=1
	v_cmp_ne_u16_sdwa s[44:45], v29, s52 src0_sel:BYTE_0 src1_sel:DWORD
	v_bfrev_b32_e32 v0, 1
	buffer_store_dword v0, off, s[60:63], 0 offset:184 ; 4-byte Folded Spill
	s_and_saveexec_b64 s[42:43], s[44:45]
	s_cbranch_execz .LBB317_551
; %bb.548:                              ;   in Loop: Header=BB317_13 Depth=1
	v_and_b32_e32 v0, 0x7f, v29
	v_cmp_ne_u32_e32 vcc, s53, v0
	v_mov_b32_e32 v1, 0x7f800001
	buffer_store_dword v1, off, s[60:63], 0 offset:184 ; 4-byte Folded Spill
	s_and_saveexec_b64 s[44:45], vcc
	s_cbranch_execz .LBB317_550
; %bb.549:                              ;   in Loop: Header=BB317_13 Depth=1
	v_and_b32_e32 v2, 7, v29
	v_lshrrev_b32_e32 v3, 3, v0
	v_cmp_gt_u32_e32 vcc, 8, v0
	v_ffbh_u32_e32 v0, v2
	v_min_u32_e32 v4, 32, v0
	v_subrev_u32_e32 v0, 28, v4
	v_lshlrev_b64 v[0:1], v0, v[29:30]
	v_sub_u32_e32 v1, 29, v4
	v_and_b32_e32 v0, 7, v0
	v_cndmask_b32_e32 v1, v3, v1, vcc
	v_cndmask_b32_e32 v0, v2, v0, vcc
	v_lshlrev_b32_e32 v2, 24, v29
	v_bfrev_b32_e32 v3, 60
	v_lshlrev_b32_e32 v0, 20, v0
	v_and_b32_e32 v2, 0x80000000, v2
	v_lshl_add_u32 v1, v1, 23, v3
	v_or3_b32 v0, v2, v1, v0
	buffer_store_dword v0, off, s[60:63], 0 offset:184 ; 4-byte Folded Spill
.LBB317_550:                            ;   in Loop: Header=BB317_13 Depth=1
	s_or_b64 exec, exec, s[44:45]
.LBB317_551:                            ;   in Loop: Header=BB317_13 Depth=1
	s_or_b64 exec, exec, s[42:43]
.LBB317_552:                            ;   in Loop: Header=BB317_13 Depth=1
	s_or_b64 exec, exec, s[6:7]
	v_lshrrev_b16_e32 v30, 8, v29
	v_cmp_ne_u16_e32 vcc, 0, v30
	s_and_saveexec_b64 s[6:7], vcc
	s_cbranch_execz .LBB317_558
; %bb.553:                              ;   in Loop: Header=BB317_13 Depth=1
	v_cmp_ne_u16_e32 vcc, s52, v30
	v_bfrev_b32_e32 v0, 1
	buffer_store_dword v0, off, s[60:63], 0 offset:188 ; 4-byte Folded Spill
	s_and_saveexec_b64 s[42:43], vcc
	s_cbranch_execz .LBB317_557
; %bb.554:                              ;   in Loop: Header=BB317_13 Depth=1
	v_and_b32_e32 v0, 0x7f, v30
	v_cmp_ne_u32_e32 vcc, s53, v0
	v_mov_b32_e32 v1, 0x7f800001
	buffer_store_dword v1, off, s[60:63], 0 offset:188 ; 4-byte Folded Spill
	s_and_saveexec_b64 s[44:45], vcc
	s_cbranch_execz .LBB317_556
; %bb.555:                              ;   in Loop: Header=BB317_13 Depth=1
	v_and_b32_e32 v2, 7, v30
	v_lshrrev_b32_e32 v3, 3, v0
	v_cmp_gt_u32_e32 vcc, 8, v0
	v_ffbh_u32_e32 v0, v2
	v_min_u32_e32 v4, 32, v0
	v_subrev_u32_e32 v0, 28, v4
	v_lshlrev_b64 v[0:1], v0, v[30:31]
	v_sub_u32_e32 v1, 29, v4
	v_and_b32_e32 v0, 7, v0
	v_cndmask_b32_e32 v1, v3, v1, vcc
	v_cndmask_b32_e32 v0, v2, v0, vcc
	v_lshlrev_b32_e32 v2, 16, v29
	v_bfrev_b32_e32 v3, 60
	v_lshlrev_b32_e32 v0, 20, v0
	v_and_b32_e32 v2, 0x80000000, v2
	v_lshl_add_u32 v1, v1, 23, v3
	v_or3_b32 v0, v2, v1, v0
	buffer_store_dword v0, off, s[60:63], 0 offset:188 ; 4-byte Folded Spill
.LBB317_556:                            ;   in Loop: Header=BB317_13 Depth=1
	s_or_b64 exec, exec, s[44:45]
.LBB317_557:                            ;   in Loop: Header=BB317_13 Depth=1
	s_or_b64 exec, exec, s[42:43]
.LBB317_558:                            ;   in Loop: Header=BB317_13 Depth=1
	s_or_b64 exec, exec, s[6:7]
	v_lshrrev_b32_e32 v30, 16, v29
	v_mov_b32_e32 v0, 0
	v_cmp_ne_u16_sdwa s[42:43], v30, v41 src0_sel:BYTE_0 src1_sel:DWORD
	buffer_store_dword v0, off, s[60:63], 0 offset:248 ; 4-byte Folded Spill
	v_mov_b32_e32 v0, 0
	buffer_store_dword v0, off, s[60:63], 0 offset:192 ; 4-byte Folded Spill
	s_and_saveexec_b64 s[6:7], s[42:43]
	s_cbranch_execz .LBB317_564
; %bb.559:                              ;   in Loop: Header=BB317_13 Depth=1
	v_cmp_ne_u16_sdwa s[44:45], v30, s52 src0_sel:BYTE_0 src1_sel:DWORD
	v_bfrev_b32_e32 v0, 1
	buffer_store_dword v0, off, s[60:63], 0 offset:192 ; 4-byte Folded Spill
	s_and_saveexec_b64 s[42:43], s[44:45]
	s_cbranch_execz .LBB317_563
; %bb.560:                              ;   in Loop: Header=BB317_13 Depth=1
	v_bfe_u32 v0, v29, 16, 7
	v_cmp_ne_u32_e32 vcc, s53, v0
	v_mov_b32_e32 v1, 0x7f800001
	buffer_store_dword v1, off, s[60:63], 0 offset:192 ; 4-byte Folded Spill
	s_and_saveexec_b64 s[44:45], vcc
	s_cbranch_execz .LBB317_562
; %bb.561:                              ;   in Loop: Header=BB317_13 Depth=1
	v_and_b32_e32 v2, 7, v30
	v_lshrrev_b32_e32 v3, 3, v0
	v_cmp_gt_u32_e32 vcc, 8, v0
	v_ffbh_u32_e32 v0, v2
	v_min_u32_e32 v4, 32, v0
	v_subrev_u32_e32 v0, 28, v4
	v_lshlrev_b64 v[0:1], v0, v[30:31]
	v_sub_u32_e32 v1, 29, v4
	v_and_b32_e32 v0, 7, v0
	v_cndmask_b32_e32 v1, v3, v1, vcc
	v_cndmask_b32_e32 v0, v2, v0, vcc
	v_lshlrev_b32_e32 v2, 24, v30
	v_bfrev_b32_e32 v3, 60
	v_lshlrev_b32_e32 v0, 20, v0
	v_and_b32_e32 v2, 0x80000000, v2
	v_lshl_add_u32 v1, v1, 23, v3
	v_or3_b32 v0, v2, v1, v0
	buffer_store_dword v0, off, s[60:63], 0 offset:192 ; 4-byte Folded Spill
.LBB317_562:                            ;   in Loop: Header=BB317_13 Depth=1
	s_or_b64 exec, exec, s[44:45]
.LBB317_563:                            ;   in Loop: Header=BB317_13 Depth=1
	s_or_b64 exec, exec, s[42:43]
.LBB317_564:                            ;   in Loop: Header=BB317_13 Depth=1
	s_or_b64 exec, exec, s[6:7]
	v_cmp_lt_u32_e32 vcc, s54, v29
	s_and_saveexec_b64 s[6:7], vcc
	s_cbranch_execz .LBB317_570
; %bb.565:                              ;   in Loop: Header=BB317_13 Depth=1
	v_lshrrev_b32_e32 v30, 24, v29
	v_cmp_ne_u32_e32 vcc, s52, v30
	v_bfrev_b32_e32 v0, 1
	buffer_store_dword v0, off, s[60:63], 0 offset:248 ; 4-byte Folded Spill
	s_and_saveexec_b64 s[42:43], vcc
	s_cbranch_execz .LBB317_569
; %bb.566:                              ;   in Loop: Header=BB317_13 Depth=1
	v_bfe_u32 v0, v29, 24, 7
	v_cmp_ne_u32_e32 vcc, s53, v0
	v_mov_b32_e32 v1, 0x7f800001
	s_and_saveexec_b64 s[44:45], vcc
	s_cbranch_execz .LBB317_568
; %bb.567:                              ;   in Loop: Header=BB317_13 Depth=1
	v_and_b32_e32 v2, 7, v30
	v_lshrrev_b32_e32 v3, 3, v0
	v_cmp_gt_u32_e32 vcc, 8, v0
	v_ffbh_u32_e32 v0, v2
	v_min_u32_e32 v4, 32, v0
	v_subrev_u32_e32 v0, 28, v4
	v_lshlrev_b64 v[0:1], v0, v[30:31]
	v_sub_u32_e32 v1, 29, v4
	v_and_b32_e32 v0, 7, v0
	v_cndmask_b32_e32 v1, v3, v1, vcc
	v_cndmask_b32_e32 v0, v2, v0, vcc
	v_lshlrev_b32_e32 v2, 24, v30
	v_bfrev_b32_e32 v3, 60
	v_lshlrev_b32_e32 v0, 20, v0
	v_and_b32_e32 v2, 0x80000000, v2
	v_lshl_add_u32 v1, v1, 23, v3
	v_or3_b32 v1, v2, v1, v0
.LBB317_568:                            ;   in Loop: Header=BB317_13 Depth=1
	s_or_b64 exec, exec, s[44:45]
	buffer_store_dword v1, off, s[60:63], 0 offset:248 ; 4-byte Folded Spill
.LBB317_569:                            ;   in Loop: Header=BB317_13 Depth=1
	s_or_b64 exec, exec, s[42:43]
.LBB317_570:                            ;   in Loop: Header=BB317_13 Depth=1
	s_or_b64 exec, exec, s[6:7]
	buffer_load_dword v0, off, s[60:63], 0 offset:20 ; 4-byte Folded Reload
	v_mov_b32_e32 v26, 0
	v_mov_b32_e32 v25, 0
	s_waitcnt vmcnt(0)
	v_add_co_u32_e32 v0, vcc, v31, v0
	v_addc_co_u32_e32 v1, vcc, 0, v32, vcc
	global_load_dword v29, v[0:1], off
	s_waitcnt vmcnt(0)
	v_cmp_ne_u16_sdwa s[42:43], v29, v41 src0_sel:BYTE_0 src1_sel:DWORD
	s_and_saveexec_b64 s[6:7], s[42:43]
	s_cbranch_execz .LBB317_576
; %bb.571:                              ;   in Loop: Header=BB317_13 Depth=1
	v_cmp_ne_u16_sdwa s[44:45], v29, s52 src0_sel:BYTE_0 src1_sel:DWORD
	v_bfrev_b32_e32 v25, 1
	s_and_saveexec_b64 s[42:43], s[44:45]
	s_cbranch_execz .LBB317_575
; %bb.572:                              ;   in Loop: Header=BB317_13 Depth=1
	v_and_b32_e32 v0, 0x7f, v29
	v_cmp_ne_u32_e32 vcc, s53, v0
	v_mov_b32_e32 v25, 0x7f800001
	s_and_saveexec_b64 s[44:45], vcc
	s_cbranch_execz .LBB317_574
; %bb.573:                              ;   in Loop: Header=BB317_13 Depth=1
	v_and_b32_e32 v2, 7, v29
	v_lshrrev_b32_e32 v3, 3, v0
	v_cmp_gt_u32_e32 vcc, 8, v0
	v_ffbh_u32_e32 v0, v2
	v_min_u32_e32 v4, 32, v0
	v_subrev_u32_e32 v0, 28, v4
	v_lshlrev_b64 v[0:1], v0, v[29:30]
	v_sub_u32_e32 v1, 29, v4
	v_and_b32_e32 v0, 7, v0
	v_cndmask_b32_e32 v1, v3, v1, vcc
	v_cndmask_b32_e32 v0, v2, v0, vcc
	v_lshlrev_b32_e32 v2, 24, v29
	v_bfrev_b32_e32 v3, 60
	v_lshlrev_b32_e32 v0, 20, v0
	v_and_b32_e32 v2, 0x80000000, v2
	v_lshl_add_u32 v1, v1, 23, v3
	v_or3_b32 v25, v2, v1, v0
.LBB317_574:                            ;   in Loop: Header=BB317_13 Depth=1
	s_or_b64 exec, exec, s[44:45]
.LBB317_575:                            ;   in Loop: Header=BB317_13 Depth=1
	s_or_b64 exec, exec, s[42:43]
.LBB317_576:                            ;   in Loop: Header=BB317_13 Depth=1
	s_or_b64 exec, exec, s[6:7]
	v_lshrrev_b16_e32 v30, 8, v29
	v_cmp_ne_u16_e32 vcc, 0, v30
	s_and_saveexec_b64 s[6:7], vcc
	s_cbranch_execz .LBB317_582
; %bb.577:                              ;   in Loop: Header=BB317_13 Depth=1
	v_cmp_ne_u16_e32 vcc, s52, v30
	v_bfrev_b32_e32 v26, 1
	s_and_saveexec_b64 s[42:43], vcc
	s_cbranch_execz .LBB317_581
; %bb.578:                              ;   in Loop: Header=BB317_13 Depth=1
	v_and_b32_e32 v0, 0x7f, v30
	v_cmp_ne_u32_e32 vcc, s53, v0
	v_mov_b32_e32 v26, 0x7f800001
	s_and_saveexec_b64 s[44:45], vcc
	s_cbranch_execz .LBB317_580
; %bb.579:                              ;   in Loop: Header=BB317_13 Depth=1
	v_and_b32_e32 v2, 7, v30
	v_lshrrev_b32_e32 v3, 3, v0
	v_cmp_gt_u32_e32 vcc, 8, v0
	v_ffbh_u32_e32 v0, v2
	v_min_u32_e32 v4, 32, v0
	v_subrev_u32_e32 v0, 28, v4
	v_lshlrev_b64 v[0:1], v0, v[30:31]
	v_sub_u32_e32 v1, 29, v4
	v_and_b32_e32 v0, 7, v0
	v_cndmask_b32_e32 v1, v3, v1, vcc
	v_cndmask_b32_e32 v0, v2, v0, vcc
	v_lshlrev_b32_e32 v2, 16, v29
	v_bfrev_b32_e32 v3, 60
	v_lshlrev_b32_e32 v0, 20, v0
	v_and_b32_e32 v2, 0x80000000, v2
	v_lshl_add_u32 v1, v1, 23, v3
	v_or3_b32 v26, v2, v1, v0
.LBB317_580:                            ;   in Loop: Header=BB317_13 Depth=1
	s_or_b64 exec, exec, s[44:45]
.LBB317_581:                            ;   in Loop: Header=BB317_13 Depth=1
	s_or_b64 exec, exec, s[42:43]
.LBB317_582:                            ;   in Loop: Header=BB317_13 Depth=1
	s_or_b64 exec, exec, s[6:7]
	v_lshrrev_b32_e32 v30, 16, v29
	v_cmp_ne_u16_sdwa s[42:43], v30, v41 src0_sel:BYTE_0 src1_sel:DWORD
	v_mov_b32_e32 v31, 0
	v_mov_b32_e32 v1, 0
	s_and_saveexec_b64 s[6:7], s[42:43]
	s_cbranch_execz .LBB317_588
; %bb.583:                              ;   in Loop: Header=BB317_13 Depth=1
	v_cmp_ne_u16_sdwa s[44:45], v30, s52 src0_sel:BYTE_0 src1_sel:DWORD
	v_bfrev_b32_e32 v1, 1
	s_and_saveexec_b64 s[42:43], s[44:45]
	s_cbranch_execz .LBB317_587
; %bb.584:                              ;   in Loop: Header=BB317_13 Depth=1
	v_bfe_u32 v0, v29, 16, 7
	v_cmp_ne_u32_e32 vcc, s53, v0
	v_mov_b32_e32 v1, 0x7f800001
	s_and_saveexec_b64 s[44:45], vcc
	s_cbranch_execz .LBB317_586
; %bb.585:                              ;   in Loop: Header=BB317_13 Depth=1
	v_and_b32_e32 v2, 7, v30
	v_lshrrev_b32_e32 v3, 3, v0
	v_cmp_gt_u32_e32 vcc, 8, v0
	v_ffbh_u32_e32 v0, v2
	v_min_u32_e32 v4, 32, v0
	v_subrev_u32_e32 v0, 28, v4
	v_lshlrev_b64 v[0:1], v0, v[30:31]
	v_sub_u32_e32 v1, 29, v4
	v_and_b32_e32 v0, 7, v0
	v_cndmask_b32_e32 v1, v3, v1, vcc
	v_cndmask_b32_e32 v0, v2, v0, vcc
	v_lshlrev_b32_e32 v2, 24, v30
	v_bfrev_b32_e32 v3, 60
	v_lshlrev_b32_e32 v0, 20, v0
	v_and_b32_e32 v2, 0x80000000, v2
	v_lshl_add_u32 v1, v1, 23, v3
	v_or3_b32 v1, v2, v1, v0
.LBB317_586:                            ;   in Loop: Header=BB317_13 Depth=1
	s_or_b64 exec, exec, s[44:45]
.LBB317_587:                            ;   in Loop: Header=BB317_13 Depth=1
	s_or_b64 exec, exec, s[42:43]
.LBB317_588:                            ;   in Loop: Header=BB317_13 Depth=1
	s_or_b64 exec, exec, s[6:7]
	buffer_store_dword v26, off, s[60:63], 0 offset:444 ; 4-byte Folded Spill
	buffer_store_dword v25, off, s[60:63], 0 offset:440 ; 4-byte Folded Spill
	;; [unrolled: 1-line block ×27, first 2 shown]
	v_mov_b32_e32 v51, v36
	v_mov_b32_e32 v42, v7
	;; [unrolled: 1-line block ×7, first 2 shown]
	v_cmp_lt_u32_e32 vcc, s54, v29
	buffer_store_dword v8, off, s[60:63], 0 offset:300 ; 4-byte Folded Spill
	s_and_saveexec_b64 s[6:7], vcc
	s_cbranch_execz .LBB317_594
; %bb.589:                              ;   in Loop: Header=BB317_13 Depth=1
	v_lshrrev_b32_e32 v30, 24, v29
	v_cmp_ne_u32_e32 vcc, s52, v30
	v_bfrev_b32_e32 v31, 1
	s_and_saveexec_b64 s[42:43], vcc
	s_cbranch_execz .LBB317_593
; %bb.590:                              ;   in Loop: Header=BB317_13 Depth=1
	v_bfe_u32 v0, v29, 24, 7
	v_cmp_ne_u32_e32 vcc, s53, v0
	v_mov_b32_e32 v31, 0x7f800001
	s_and_saveexec_b64 s[44:45], vcc
	s_cbranch_execz .LBB317_592
; %bb.591:                              ;   in Loop: Header=BB317_13 Depth=1
	v_and_b32_e32 v2, 7, v30
	v_lshrrev_b32_e32 v3, 3, v0
	v_cmp_gt_u32_e32 vcc, 8, v0
	v_ffbh_u32_e32 v0, v2
	v_min_u32_e32 v4, 32, v0
	v_subrev_u32_e32 v0, 28, v4
	v_lshlrev_b64 v[0:1], v0, v[30:31]
	v_sub_u32_e32 v1, 29, v4
	v_and_b32_e32 v0, 7, v0
	v_cndmask_b32_e32 v1, v3, v1, vcc
	v_cndmask_b32_e32 v0, v2, v0, vcc
	v_lshlrev_b32_e32 v2, 24, v30
	v_bfrev_b32_e32 v3, 60
	v_lshlrev_b32_e32 v0, 20, v0
	v_and_b32_e32 v2, 0x80000000, v2
	v_lshl_add_u32 v1, v1, 23, v3
	v_or3_b32 v31, v2, v1, v0
.LBB317_592:                            ;   in Loop: Header=BB317_13 Depth=1
	s_or_b64 exec, exec, s[44:45]
.LBB317_593:                            ;   in Loop: Header=BB317_13 Depth=1
	s_or_b64 exec, exec, s[42:43]
.LBB317_594:                            ;   in Loop: Header=BB317_13 Depth=1
	s_or_b64 exec, exec, s[6:7]
	buffer_store_dword v31, off, s[60:63], 0 offset:448 ; 4-byte Folded Spill
	buffer_load_dword v31, off, s[60:63], 0 offset:284 ; 4-byte Folded Reload
	s_nop 0
	buffer_load_dword v32, off, s[60:63], 0 offset:288 ; 4-byte Folded Reload
	buffer_load_dword v33, off, s[60:63], 0 offset:292 ; 4-byte Folded Reload
	;; [unrolled: 1-line block ×3, first 2 shown]
	v_lshlrev_b32_e32 v10, 16, v17
	v_lshlrev_b32_e32 v4, 16, v18
	v_lshlrev_b32_e32 v9, 16, v19
	v_lshlrev_b32_e32 v11, 16, v20
	v_and_b32_e32 v43, 0xffff0000, v17
	v_and_b32_e32 v37, 0xffff0000, v18
	v_and_b32_e32 v49, 0xffff0000, v19
	v_and_b32_e32 v12, 0xffff0000, v20
	v_lshlrev_b32_e32 v38, 16, v53
	v_lshlrev_b32_e32 v3, 16, v54
	v_lshlrev_b32_e32 v50, 16, v55
	v_lshlrev_b32_e32 v60, 16, v56
	v_and_b32_e32 v63, 0xffff0000, v53
	v_and_b32_e32 v62, 0xffff0000, v54
	v_and_b32_e32 v61, 0xffff0000, v55
	v_and_b32_e32 v0, 0xffff0000, v56
	;; [unrolled: 8-line block ×3, first 2 shown]
	v_lshlrev_b32_e32 v30, 16, v15
	v_lshlrev_b32_e32 v24, 16, v16
	v_and_b32_e32 v29, 0xffff0000, v15
	v_and_b32_e32 v23, 0xffff0000, v16
	v_mul_f32_e32 v52, s56, v39
	v_lshlrev_b32_e32 v44, 16, v13
	v_lshlrev_b32_e32 v36, 16, v14
	v_and_b32_e32 v45, 0xffff0000, v13
	v_and_b32_e32 v35, 0xffff0000, v14
	v_bfe_u32 v39, v52, 16, 1
	v_add3_u32 v39, v39, v52, s55
	v_cmp_u_f32_e32 vcc, v52, v52
	s_waitcnt vmcnt(3)
	v_lshlrev_b32_e32 v22, 16, v31
	s_waitcnt vmcnt(2)
	v_lshlrev_b32_e32 v20, 16, v32
	;; [unrolled: 2-line block ×4, first 2 shown]
	v_and_b32_e32 v21, 0xffff0000, v31
	v_and_b32_e32 v19, 0xffff0000, v32
	;; [unrolled: 1-line block ×4, first 2 shown]
	buffer_load_dword v31, off, s[60:63], 0 offset:268 ; 4-byte Folded Reload
	buffer_load_dword v32, off, s[60:63], 0 offset:272 ; 4-byte Folded Reload
	;; [unrolled: 1-line block ×4, first 2 shown]
	s_waitcnt vmcnt(3)
	v_lshlrev_b32_e32 v14, 16, v31
	v_and_b32_e32 v13, 0xffff0000, v31
	s_waitcnt vmcnt(2)
	v_lshlrev_b32_e32 v8, 16, v32
	s_waitcnt vmcnt(0)
	v_and_b32_e32 v31, 0xffff0000, v34
	buffer_store_dword v31, off, s[60:63], 0 offset:268 ; 4-byte Folded Spill
	v_or_b32_e32 v31, 0x400000, v52
	v_cndmask_b32_e32 v31, v39, v31, vcc
	v_mul_f32_e32 v39, s56, v40
	v_bfe_u32 v52, v39, 16, 1
	v_and_b32_e32 v7, 0xffff0000, v32
	v_add3_u32 v52, v52, v39, s55
	v_or_b32_e32 v32, 0x400000, v39
	v_cmp_u_f32_e32 vcc, v39, v39
	v_cndmask_b32_e32 v32, v52, v32, vcc
	v_and_b32_e32 v31, 0xffff0000, v31
	v_mul_f32_e32 v9, v9, v31
	v_and_b32_e32 v31, 0xffff0000, v32
	v_fmac_f32_e32 v9, v10, v31
	v_mul_f32_e32 v10, s56, v5
	v_bfe_u32 v31, v10, 16, 1
	v_add3_u32 v31, v31, v10, s55
	v_or_b32_e32 v32, 0x400000, v10
	v_cmp_u_f32_e32 vcc, v10, v10
	v_cndmask_b32_e32 v10, v31, v32, vcc
	v_mul_f32_e32 v31, s56, v47
	v_bfe_u32 v32, v31, 16, 1
	v_add3_u32 v32, v32, v31, s55
	v_or_b32_e32 v39, 0x400000, v31
	v_cmp_u_f32_e32 vcc, v31, v31
	v_cndmask_b32_e32 v31, v32, v39, vcc
	v_and_b32_e32 v10, 0xffff0000, v10
	v_mul_f32_e32 v10, v49, v10
	v_and_b32_e32 v31, 0xffff0000, v31
	v_fmac_f32_e32 v10, v43, v31
	v_mul_f32_e32 v31, s56, v42
	v_bfe_u32 v32, v31, 16, 1
	v_add3_u32 v32, v32, v31, s55
	v_or_b32_e32 v39, 0x400000, v31
	v_cmp_u_f32_e32 vcc, v31, v31
	v_cndmask_b32_e32 v31, v32, v39, vcc
	v_mul_f32_e32 v32, s56, v25
	v_bfe_u32 v39, v32, 16, 1
	;; [unrolled: 16-line block ×3, first 2 shown]
	v_add3_u32 v32, v32, v31, s55
	v_or_b32_e32 v39, 0x400000, v31
	v_cmp_u_f32_e32 vcc, v31, v31
	v_cndmask_b32_e32 v31, v32, v39, vcc
	v_and_b32_e32 v4, 0xffff0000, v4
	v_mul_f32_e32 v12, v12, v4
	v_and_b32_e32 v4, 0xffff0000, v31
	v_fmac_f32_e32 v12, v37, v4
	v_mul_f32_e32 v4, s56, v51
	v_bfe_u32 v31, v4, 16, 1
	v_add3_u32 v31, v31, v4, s55
	v_or_b32_e32 v32, 0x400000, v4
	v_cmp_u_f32_e32 vcc, v4, v4
	v_cndmask_b32_e32 v4, v31, v32, vcc
	v_and_b32_e32 v4, 0xffff0000, v4
	v_fmac_f32_e32 v9, v38, v4
	buffer_load_dword v4, off, s[60:63], 0 offset:300 ; 4-byte Folded Reload
	v_lshlrev_b32_e32 v6, 16, v33
	v_and_b32_e32 v2, 0xffff0000, v33
	v_lshlrev_b32_e32 v1, 16, v34
	buffer_load_dword v5, off, s[60:63], 0 offset:200 ; 4-byte Folded Reload
	buffer_load_dword v47, off, s[60:63], 0 offset:252 ; 4-byte Folded Reload
	s_waitcnt vmcnt(2)
	v_mul_f32_e32 v4, s56, v4
	v_bfe_u32 v31, v4, 16, 1
	v_add3_u32 v31, v31, v4, s55
	v_or_b32_e32 v32, 0x400000, v4
	v_cmp_u_f32_e32 vcc, v4, v4
	v_cndmask_b32_e32 v4, v31, v32, vcc
	v_and_b32_e32 v4, 0xffff0000, v4
	v_fmac_f32_e32 v10, v63, v4
	buffer_load_dword v4, off, s[60:63], 0 offset:308 ; 4-byte Folded Reload
	s_waitcnt vmcnt(0)
	v_mul_f32_e32 v4, s56, v4
	v_bfe_u32 v31, v4, 16, 1
	v_add3_u32 v31, v31, v4, s55
	v_or_b32_e32 v32, 0x400000, v4
	v_cmp_u_f32_e32 vcc, v4, v4
	v_cndmask_b32_e32 v4, v31, v32, vcc
	v_and_b32_e32 v4, 0xffff0000, v4
	v_fmac_f32_e32 v11, v3, v4
	;; [unrolled: 10-line block ×37, first 2 shown]
	buffer_load_dword v0, off, s[60:63], 0 offset:444 ; 4-byte Folded Reload
	s_waitcnt vmcnt(0)
	v_mul_f32_e32 v0, s56, v0
	v_bfe_u32 v2, v0, 16, 1
	v_add3_u32 v2, v2, v0, s55
	v_or_b32_e32 v3, 0x400000, v0
	v_cmp_u_f32_e32 vcc, v0, v0
	buffer_load_dword v0, off, s[60:63], 0 offset:440 ; 4-byte Folded Reload
	v_cndmask_b32_e32 v49, v2, v3, vcc
	s_waitcnt vmcnt(0)
	v_mul_f32_e32 v0, s56, v0
	v_bfe_u32 v2, v0, 16, 1
	v_add3_u32 v2, v2, v0, s55
	v_or_b32_e32 v3, 0x400000, v0
	v_cmp_u_f32_e32 vcc, v0, v0
	buffer_load_dword v0, off, s[60:63], 0 offset:192 ; 4-byte Folded Reload
	v_cndmask_b32_e32 v52, v2, v3, vcc
	;; [unrolled: 8-line block ×3, first 2 shown]
	s_waitcnt vmcnt(0)
	v_mul_f32_e32 v0, s56, v0
	v_bfe_u32 v2, v0, 16, 1
	v_add3_u32 v2, v2, v0, s55
	v_or_b32_e32 v3, 0x400000, v0
	v_cmp_u_f32_e32 vcc, v0, v0
	v_cndmask_b32_e32 v0, v2, v3, vcc
	buffer_store_dword v0, off, s[60:63], 0 offset:28 ; 4-byte Folded Spill
	buffer_load_dword v0, off, s[60:63], 0 offset:188 ; 4-byte Folded Reload
	s_waitcnt vmcnt(0)
	v_mul_f32_e32 v0, s56, v0
	v_bfe_u32 v2, v0, 16, 1
	v_add3_u32 v2, v2, v0, s55
	v_or_b32_e32 v3, 0x400000, v0
	v_cmp_u_f32_e32 vcc, v0, v0
	v_cndmask_b32_e32 v0, v2, v3, vcc
	buffer_store_dword v0, off, s[60:63], 0 offset:32 ; 4-byte Folded Spill
	buffer_load_dword v0, off, s[60:63], 0 offset:184 ; 4-byte Folded Reload
	s_waitcnt vmcnt(0)
	v_mul_f32_e32 v0, s56, v0
	v_bfe_u32 v2, v0, 16, 1
	v_add3_u32 v2, v2, v0, s55
	v_or_b32_e32 v3, 0x400000, v0
	v_cmp_u_f32_e32 vcc, v0, v0
	buffer_load_dword v0, off, s[60:63], 0 offset:180 ; 4-byte Folded Reload
	v_cndmask_b32_e32 v18, v2, v3, vcc
	s_waitcnt vmcnt(0)
	v_mul_f32_e32 v0, s56, v0
	v_bfe_u32 v2, v0, 16, 1
	v_add3_u32 v2, v2, v0, s55
	v_or_b32_e32 v3, 0x400000, v0
	v_cmp_u_f32_e32 vcc, v0, v0
	buffer_load_dword v0, off, s[60:63], 0 offset:244 ; 4-byte Folded Reload
	v_cndmask_b32_e32 v19, v2, v3, vcc
	;; [unrolled: 8-line block ×41, first 2 shown]
	s_waitcnt vmcnt(0)
	v_mul_f32_e32 v0, s56, v0
	v_bfe_u32 v6, v0, 16, 1
	v_add3_u32 v6, v6, v0, s55
	v_or_b32_e32 v7, 0x400000, v0
	v_cmp_u_f32_e32 vcc, v0, v0
	v_cndmask_b32_e32 v0, v6, v7, vcc
	v_mul_f32_e32 v6, s56, v5
	buffer_load_dword v5, off, s[60:63], 0 offset:436 ; 4-byte Folded Reload
	v_bfe_u32 v7, v6, 16, 1
	v_add3_u32 v7, v7, v6, s55
	v_or_b32_e32 v8, 0x400000, v6
	v_cmp_u_f32_e32 vcc, v6, v6
	v_cndmask_b32_e32 v6, v7, v8, vcc
	v_and_b32_e32 v0, 0xffff0000, v0
	v_fmac_f32_e32 v11, v1, v0
	buffer_load_dword v1, off, s[60:63], 0 offset:268 ; 4-byte Folded Reload
	v_and_b32_e32 v6, 0xffff0000, v6
	s_waitcnt vmcnt(1)
	v_mul_f32_e32 v7, s56, v5
	v_bfe_u32 v0, v7, 16, 1
	v_add3_u32 v0, v0, v7, s55
	v_or_b32_e32 v5, 0x400000, v7
	v_cmp_u_f32_e32 vcc, v7, v7
	buffer_load_dword v7, off, s[60:63], 0 offset:264 ; 4-byte Folded Reload
	v_cndmask_b32_e32 v32, v0, v5, vcc
	buffer_load_dword v0, off, s[60:63], 0 offset:448 ; 4-byte Folded Reload
	s_waitcnt vmcnt(2)
	v_fmac_f32_e32 v12, v1, v6
	v_and_b32_e32 v1, 0xffff0000, v4
	buffer_load_dword v4, off, s[60:63], 0 offset:468 ; 4-byte Folded Reload
	s_waitcnt vmcnt(2)
	v_and_b32_e32 v13, 0xffff0000, v7
	v_lshlrev_b32_e32 v5, 16, v7
	buffer_load_dword v7, off, s[60:63], 0 offset:260 ; 4-byte Folded Reload
	v_fmac_f32_e32 v9, v5, v1
	v_and_b32_e32 v1, 0xffff0000, v3
	v_fmac_f32_e32 v10, v13, v1
	v_and_b32_e32 v1, 0xffff0000, v2
	s_waitcnt vmcnt(2)
	v_mul_f32_e32 v0, s56, v0
	v_and_b32_e32 v2, 0xffff0000, v63
	v_cmp_u_f32_e32 vcc, v0, v0
	s_waitcnt vmcnt(1)
	v_xor_b32_e32 v3, 1, v4
	s_waitcnt vmcnt(0)
	v_lshlrev_b32_e32 v14, 16, v7
	ds_read_b128 v[5:8], v47 offset:102
	v_fmac_f32_e32 v11, v14, v1
	ds_read_b128 v[13:16], v47 offset:118
	s_waitcnt lgkmcnt(1)
	v_lshlrev_b32_e32 v1, 16, v5
	v_fmac_f32_e32 v12, v2, v1
	v_bfe_u32 v1, v0, 16, 1
	v_add3_u32 v1, v1, v0, s55
	v_or_b32_e32 v2, 0x400000, v0
	v_and_b32_e32 v0, 64, v4
	v_add_u32_e32 v0, 64, v0
	v_cmp_lt_i32_e64 s[6:7], v3, v0
	v_cndmask_b32_e64 v0, v4, v3, s[6:7]
	v_cndmask_b32_e32 v63, v1, v2, vcc
	v_lshlrev_b32_e32 v31, 2, v0
	v_and_b32_e32 v0, 0xffff0000, v5
	v_and_b32_e32 v1, 0xffff0000, v36
	v_fmac_f32_e32 v9, v1, v0
	v_lshlrev_b32_e32 v0, 16, v6
	v_and_b32_e32 v1, 0xffff0000, v35
	v_fmac_f32_e32 v10, v1, v0
	v_and_b32_e32 v0, 0xffff0000, v6
	v_lshlrev_b32_e32 v1, 16, v7
	v_and_b32_e32 v2, 0xffff0000, v61
	v_and_b32_e32 v3, 0xffff0000, v62
	v_fmac_f32_e32 v11, v2, v0
	v_fmac_f32_e32 v12, v3, v1
	v_and_b32_e32 v0, 0xffff0000, v7
	v_lshlrev_b32_e32 v4, 16, v8
	v_and_b32_e32 v1, 0xffff0000, v60
	v_and_b32_e32 v36, 0xffff0000, v59
	v_fmac_f32_e32 v9, v1, v0
	v_and_b32_e32 v35, 0xffff0000, v8
	ds_read_b128 v[0:3], v47 offset:134
	ds_read_b128 v[5:8], v47 offset:150
	v_fmac_f32_e32 v10, v36, v4
	s_waitcnt lgkmcnt(2)
	v_lshlrev_b32_e32 v4, 16, v13
	v_and_b32_e32 v36, 0xffff0000, v57
	v_and_b32_e32 v57, 0xffff0000, v58
	v_fmac_f32_e32 v11, v36, v35
	v_fmac_f32_e32 v12, v57, v4
	v_and_b32_e32 v4, 0xffff0000, v13
	v_lshlrev_b32_e32 v13, 16, v14
	v_and_b32_e32 v35, 0xffff0000, v56
	v_and_b32_e32 v36, 0xffff0000, v55
	v_fmac_f32_e32 v9, v35, v4
	v_fmac_f32_e32 v10, v36, v13
	v_and_b32_e32 v4, 0xffff0000, v14
	;; [unrolled: 6-line block ×4, first 2 shown]
	s_waitcnt lgkmcnt(1)
	v_lshlrev_b32_e32 v13, 16, v0
	v_and_b32_e32 v14, 0xffff0000, v45
	v_and_b32_e32 v15, 0xffff0000, v48
	v_fmac_f32_e32 v11, v14, v4
	v_fmac_f32_e32 v12, v15, v13
	v_and_b32_e32 v0, 0xffff0000, v0
	v_lshlrev_b32_e32 v4, 16, v1
	v_and_b32_e32 v13, 0xffff0000, v44
	v_and_b32_e32 v14, 0xffff0000, v46
	v_fmac_f32_e32 v9, v13, v0
	v_fmac_f32_e32 v10, v14, v4
	v_and_b32_e32 v0, 0xffff0000, v1
	;; [unrolled: 6-line block ×4, first 2 shown]
	s_waitcnt lgkmcnt(0)
	v_lshlrev_b32_e32 v1, 16, v5
	v_and_b32_e32 v2, 0xffff0000, v34
	v_and_b32_e32 v3, 0xffff0000, v37
	v_fmac_f32_e32 v11, v2, v0
	v_fmac_f32_e32 v12, v3, v1
	v_and_b32_e32 v0, 0xffff0000, v5
	v_lshlrev_b32_e32 v1, 16, v6
	v_and_b32_e32 v2, 0xffff0000, v33
	v_and_b32_e32 v3, 0xffff0000, v17
	v_fmac_f32_e32 v9, v2, v0
	v_fmac_f32_e32 v10, v3, v1
	v_and_b32_e32 v0, 0xffff0000, v6
	v_lshlrev_b32_e32 v1, 16, v7
	v_and_b32_e32 v2, 0xffff0000, v29
	v_and_b32_e32 v3, 0xffff0000, v30
	v_fmac_f32_e32 v11, v2, v0
	v_fmac_f32_e32 v12, v3, v1
	ds_read_b128 v[0:3], v47 offset:166
	v_and_b32_e32 v4, 0xffff0000, v7
	v_lshlrev_b32_e32 v5, 16, v8
	v_and_b32_e32 v6, 0xffff0000, v26
	v_and_b32_e32 v7, 0xffff0000, v25
	v_fmac_f32_e32 v9, v6, v4
	v_fmac_f32_e32 v10, v7, v5
	v_and_b32_e32 v6, 0xffff0000, v8
	ds_read_b64 v[4:5], v47 offset:182
	s_waitcnt lgkmcnt(1)
	v_lshlrev_b32_e32 v7, 16, v0
	v_and_b32_e32 v8, 0xffff0000, v23
	v_and_b32_e32 v13, 0xffff0000, v24
	v_fmac_f32_e32 v11, v8, v6
	v_fmac_f32_e32 v12, v13, v7
	v_and_b32_e32 v0, 0xffff0000, v0
	v_lshlrev_b32_e32 v6, 16, v1
	v_and_b32_e32 v7, 0xffff0000, v22
	v_and_b32_e32 v8, 0xffff0000, v21
	v_fmac_f32_e32 v9, v7, v0
	v_fmac_f32_e32 v10, v8, v6
	v_and_b32_e32 v0, 0xffff0000, v1
	v_and_b32_e32 v6, 0xffff0000, v19
	v_lshlrev_b32_e32 v1, 16, v2
	v_and_b32_e32 v7, 0xffff0000, v20
	v_fmac_f32_e32 v11, v6, v0
	v_and_b32_e32 v0, 0xffff0000, v2
	v_and_b32_e32 v2, 0xffff0000, v18
	buffer_load_dword v6, off, s[60:63], 0 offset:32 ; 4-byte Folded Reload
	v_fmac_f32_e32 v12, v7, v1
	v_lshlrev_b32_e32 v1, 16, v3
	v_fmac_f32_e32 v9, v2, v0
	v_and_b32_e32 v0, 0xffff0000, v3
	buffer_load_dword v3, off, s[60:63], 0 offset:28 ; 4-byte Folded Reload
	v_and_b32_e32 v2, 0xffff0000, v43
	v_fmac_f32_e32 v11, v2, v0
	s_waitcnt lgkmcnt(0)
	v_and_b32_e32 v0, 0xffff0000, v4
	v_and_b32_e32 v2, 0xffff0000, v52
	v_fmac_f32_e32 v9, v2, v0
	v_and_b32_e32 v0, 0xffff0000, v5
	v_and_b32_e32 v2, 0xffff0000, v32
	v_fmac_f32_e32 v11, v2, v0
	s_waitcnt vmcnt(1)
	v_and_b32_e32 v6, 0xffff0000, v6
	v_fmac_f32_e32 v10, v6, v1
	v_lshlrev_b32_e32 v1, 16, v4
	v_and_b32_e32 v4, 0xffff0000, v49
	s_waitcnt vmcnt(0)
	v_and_b32_e32 v3, 0xffff0000, v3
	v_fmac_f32_e32 v12, v3, v1
	ds_read_u16 v3, v47 offset:190
	v_lshlrev_b32_e32 v1, 16, v5
	v_fmac_f32_e32 v10, v4, v1
	v_add_f32_e32 v0, v9, v10
	v_add_f32_e32 v0, v0, v11
	s_waitcnt lgkmcnt(0)
	v_lshlrev_b32_e32 v1, 16, v3
	v_and_b32_e32 v3, 0xffff0000, v63
	v_fmac_f32_e32 v12, v3, v1
	v_add_f32_e32 v0, v12, v0
	ds_bpermute_b32 v1, v31, v0
	s_and_saveexec_b64 s[6:7], s[2:3]
	s_cbranch_execz .LBB317_11
; %bb.595:                              ;   in Loop: Header=BB317_13 Depth=1
	buffer_load_dword v4, off, s[60:63], 0 offset:16 ; 4-byte Folded Reload
	buffer_load_dword v2, off, s[60:63], 0 offset:476 ; 4-byte Folded Reload
	;; [unrolled: 1-line block ×3, first 2 shown]
	s_waitcnt lgkmcnt(0)
	v_add_f32_e32 v0, v0, v1
	s_waitcnt vmcnt(1)
	v_add_u32_e32 v2, v2, v4
	v_cvt_f32_i32_e32 v2, v2
	v_mul_f32_e32 v1, s48, v2
	buffer_load_dword v2, off, s[60:63], 0 offset:12 ; 4-byte Folded Reload
	s_waitcnt vmcnt(1)
	v_add_u32_e32 v3, v3, v4
	v_cndmask_b32_e64 v1, 0, v1, s[4:5]
	v_fmac_f32_e32 v1, s37, v0
	v_cmp_gt_i32_e32 vcc, s33, v3
	v_cndmask_b32_e32 v0, 0, v1, vcc
	s_waitcnt vmcnt(0)
	ds_write_b32 v2, v0
	buffer_load_dword v2, off, s[60:63], 0 offset:456 ; 4-byte Folded Reload
	s_waitcnt vmcnt(0)
	v_max_f32_e32 v0, v2, v2
	v_max_f32_e32 v0, v0, v1
	v_cndmask_b32_e32 v2, v2, v0, vcc
	buffer_store_dword v2, off, s[60:63], 0 offset:456 ; 4-byte Folded Spill
	s_branch .LBB317_11
.LBB317_596:
	s_or_b64 exec, exec, s[38:39]
	buffer_load_dword v12, off, s[60:63], 0 offset:480 ; 4-byte Folded Reload
	buffer_load_dword v13, off, s[60:63], 0 offset:484 ; 4-byte Folded Reload
	;; [unrolled: 1-line block ×3, first 2 shown]
	v_mbcnt_lo_u32_b32 v1, -1, 0
.LBB317_597:
	s_or_b64 exec, exec, s[18:19]
	v_mbcnt_hi_u32_b32 v0, -1, v1
	v_and_b32_e32 v7, 64, v0
	v_add_u32_e32 v8, 64, v7
	v_xor_b32_e32 v1, 32, v0
	v_cmp_lt_i32_e32 vcc, v1, v8
	v_cndmask_b32_e32 v1, v0, v1, vcc
	v_lshlrev_b32_e32 v1, 2, v1
	s_waitcnt vmcnt(0)
	ds_bpermute_b32 v2, v1, v3
	v_xor_b32_e32 v4, 16, v0
	v_max_f32_e32 v3, v3, v3
	v_cmp_lt_i32_e32 vcc, v4, v8
	v_xor_b32_e32 v5, 8, v0
	s_waitcnt lgkmcnt(0)
	v_max_f32_e32 v2, v2, v2
	v_max_f32_e32 v3, v3, v2
	v_cndmask_b32_e32 v2, v0, v4, vcc
	v_lshlrev_b32_e32 v2, 2, v2
	ds_bpermute_b32 v4, v2, v3
	v_cmp_lt_i32_e32 vcc, v5, v8
	v_xor_b32_e32 v6, 4, v0
	v_xor_b32_e32 v9, 2, v0
	s_waitcnt lgkmcnt(0)
	v_max_f32_e32 v4, v4, v4
	v_max_f32_e32 v4, v3, v4
	v_cndmask_b32_e32 v3, v0, v5, vcc
	v_lshlrev_b32_e32 v3, 2, v3
	ds_bpermute_b32 v5, v3, v4
	v_cmp_lt_i32_e32 vcc, v6, v8
	s_waitcnt lgkmcnt(0)
	v_max_f32_e32 v5, v5, v5
	v_max_f32_e32 v5, v4, v5
	v_cndmask_b32_e32 v4, v0, v6, vcc
	v_lshlrev_b32_e32 v4, 2, v4
	ds_bpermute_b32 v6, v4, v5
	v_cmp_lt_i32_e32 vcc, v9, v8
	s_waitcnt lgkmcnt(0)
	v_max_f32_e32 v6, v6, v6
	v_max_f32_e32 v6, v5, v6
	v_cndmask_b32_e32 v5, v0, v9, vcc
	v_lshlrev_b32_e32 v14, 2, v5
	buffer_load_dword v5, off, s[60:63], 0 offset:452 ; 4-byte Folded Reload
	ds_bpermute_b32 v9, v14, v6
	s_waitcnt vmcnt(0)
	v_and_b32_e32 v19, 63, v5
	buffer_load_dword v5, off, s[60:63], 0  ; 4-byte Folded Reload
	v_cmp_eq_u32_e32 vcc, 0, v19
	s_waitcnt vmcnt(0)
	v_lshlrev_b32_e32 v5, 2, v5
	s_and_saveexec_b64 s[2:3], vcc
	s_cbranch_execz .LBB317_599
; %bb.598:
	s_waitcnt lgkmcnt(0)
	v_max_f32_e32 v9, v9, v9
	v_max_f32_e32 v6, v6, v6
	;; [unrolled: 1-line block ×3, first 2 shown]
	ds_write_b32 v5, v6 offset:384
.LBB317_599:
	s_or_b64 exec, exec, s[2:3]
	v_cmp_gt_u32_e64 s[2:3], 2, v19
	s_waitcnt lgkmcnt(0)
	v_mov_b32_e32 v9, 0xff7fffff
	v_lshlrev_b32_e32 v6, 2, v19
	s_barrier
	s_and_saveexec_b64 s[4:5], s[2:3]
; %bb.600:
	ds_read_b32 v9, v6 offset:384
; %bb.601:
	s_or_b64 exec, exec, s[4:5]
	v_xor_b32_e32 v10, 1, v0
	v_cmp_lt_i32_e64 s[4:5], v10, v8
	v_cndmask_b32_e64 v8, v0, v10, s[4:5]
	v_lshlrev_b32_e32 v18, 2, v8
	s_waitcnt lgkmcnt(0)
	ds_bpermute_b32 v8, v18, v9
	v_max_f32_e32 v9, v9, v9
	v_lshlrev_b32_e32 v7, 2, v7
	s_lshl_b32 s4, s47, 5
	s_min_i32 s37, s4, s33
	s_waitcnt lgkmcnt(0)
	v_max_f32_e32 v8, v8, v8
	v_max_f32_e32 v8, v9, v8
	ds_bpermute_b32 v8, v7, v8
	buffer_load_dword v7, off, s[60:63], 0 offset:452 ; 4-byte Folded Reload
	s_waitcnt vmcnt(0)
	v_cmp_gt_i32_e64 s[4:5], s37, v7
	v_mov_b32_e32 v7, 0
	s_and_saveexec_b64 s[12:13], s[4:5]
	s_cbranch_execz .LBB317_605
; %bb.602:
	buffer_load_dword v10, off, s[60:63], 0 offset:452 ; 4-byte Folded Reload
	v_mov_b32_e32 v7, 0x190
	s_mov_b64 s[18:19], 0
	s_waitcnt vmcnt(0)
	v_lshl_add_u32 v9, v10, 2, v7
	v_mov_b32_e32 v7, 0
.LBB317_603:                            ; =>This Inner Loop Header: Depth=1
	ds_read_b32 v11, v9
	v_add_u32_e32 v10, 0x80, v10
	v_cmp_le_i32_e64 s[6:7], s37, v10
	s_or_b64 s[18:19], s[6:7], s[18:19]
	s_waitcnt lgkmcnt(0)
	v_sub_f32_e32 v11, v11, v8
	v_mul_f32_e32 v11, 0x3fb8aa3b, v11
	v_exp_f32_e32 v11, v11
	ds_write_b32 v9, v11
	v_add_f32_e32 v7, v7, v11
	v_add_u32_e32 v9, 0x200, v9
	s_andn2_b64 exec, exec, s[18:19]
	s_cbranch_execnz .LBB317_603
; %bb.604:
	s_or_b64 exec, exec, s[18:19]
.LBB317_605:
	s_or_b64 exec, exec, s[12:13]
	ds_bpermute_b32 v1, v1, v7
	s_waitcnt lgkmcnt(0)
	v_add_f32_e32 v1, v7, v1
	ds_bpermute_b32 v2, v2, v1
	s_waitcnt lgkmcnt(0)
	v_add_f32_e32 v1, v1, v2
	;; [unrolled: 3-line block ×6, first 2 shown]
	s_and_saveexec_b64 s[6:7], vcc
; %bb.606:
	ds_write_b32 v5, v1 offset:392
; %bb.607:
	s_or_b64 exec, exec, s[6:7]
	s_waitcnt lgkmcnt(0)
	s_barrier
	s_and_saveexec_b64 s[6:7], s[2:3]
; %bb.608:
	ds_read_b32 v1, v6 offset:392
; %bb.609:
	s_or_b64 exec, exec, s[6:7]
	s_waitcnt lgkmcnt(0)
	ds_bpermute_b32 v2, v18, v1
	v_lshlrev_b32_e32 v0, 2, v0
	v_and_b32_e32 v0, 0x100, v0
	s_waitcnt lgkmcnt(0)
	v_add_f32_e32 v1, v1, v2
	ds_bpermute_b32 v0, v0, v1
	s_and_saveexec_b64 s[2:3], s[4:5]
	s_cbranch_execz .LBB317_612
; %bb.610:
	s_waitcnt lgkmcnt(0)
	v_add_f32_e32 v1, 0x358637bd, v0
	v_div_scale_f32 v0, s[4:5], v1, v1, 1.0
	v_div_scale_f32 v2, vcc, 1.0, v1, 1.0
	s_mov_b64 s[4:5], 0
	v_rcp_f32_e32 v3, v0
	v_fma_f32 v4, -v0, v3, 1.0
	v_fmac_f32_e32 v3, v4, v3
	v_mul_f32_e32 v4, v2, v3
	v_fma_f32 v5, -v0, v4, v2
	v_fmac_f32_e32 v4, v5, v3
	v_fma_f32 v0, -v0, v4, v2
	v_div_fmas_f32 v2, v0, v3, v4
	buffer_load_dword v3, off, s[60:63], 0 offset:452 ; 4-byte Folded Reload
	v_mov_b32_e32 v0, 0x190
	v_div_fixup_f32 v1, v2, v1, 1.0
	s_waitcnt vmcnt(0)
	v_lshl_add_u32 v0, v3, 2, v0
	v_mov_b32_e32 v2, v3
.LBB317_611:                            ; =>This Inner Loop Header: Depth=1
	ds_read_b32 v3, v0
	v_add_u32_e32 v2, 0x80, v2
	v_cmp_le_i32_e32 vcc, s37, v2
	s_or_b64 s[4:5], vcc, s[4:5]
	s_waitcnt lgkmcnt(0)
	v_mul_f32_e32 v3, v1, v3
	ds_write_b32 v0, v3
	v_add_u32_e32 v0, 0x200, v0
	s_andn2_b64 exec, exec, s[4:5]
	s_cbranch_execnz .LBB317_611
.LBB317_612:
	s_or_b64 exec, exec, s[2:3]
	s_waitcnt lgkmcnt(0)
	s_barrier
	buffer_load_dword v0, off, s[60:63], 0 offset:452 ; 4-byte Folded Reload
	v_mov_b32_e32 v4, 0
	v_mov_b32_e32 v7, 0
	;; [unrolled: 1-line block ×12, first 2 shown]
	s_waitcnt vmcnt(0)
	v_and_b32_e32 v20, 3, v0
	s_and_saveexec_b64 s[2:3], s[0:1]
	s_cbranch_execz .LBB317_1218
; %bb.613:
	s_sub_i32 s37, s16, s21
	s_ashr_i32 s0, s20, 31
	s_add_u32 s1, s34, s20
	v_and_b32_e32 v1, 24, v12
	buffer_store_dword v18, off, s[60:63], 0 offset:368 ; 4-byte Folded Spill
	buffer_store_dword v14, off, s[60:63], 0 offset:364 ; 4-byte Folded Spill
	;; [unrolled: 1-line block ×3, first 2 shown]
	s_addc_u32 s0, s35, s0
	buffer_store_dword v1, off, s[60:63], 0 offset:348 ; 4-byte Folded Spill
	v_and_b32_e32 v1, 0x1f8, v12
	v_mov_b32_e32 v4, s0
	v_add_co_u32_e32 v5, vcc, s1, v1
	v_addc_co_u32_e32 v6, vcc, 0, v4, vcc
	buffer_store_dword v5, off, s[60:63], 0 offset:352 ; 4-byte Folded Spill
	s_nop 0
	buffer_store_dword v6, off, s[60:63], 0 offset:356 ; 4-byte Folded Spill
	buffer_load_dword v1, off, s[60:63], 0  ; 4-byte Folded Reload
	s_abs_i32 s22, s22
	s_sub_i32 s6, 0, s22
	s_add_i32 s35, s47, -1
	s_lshl_b64 s[0:1], s[30:31], 2
	v_and_b32_e32 v3, 60, v13
	s_add_u32 s0, s28, s0
	v_add_co_u32_e32 v54, vcc, s0, v3
	buffer_load_dword v3, off, s[60:63], 0 offset:4 ; 4-byte Folded Reload
	v_cvt_f32_u32_e32 v0, s22
	s_addc_u32 s1, s29, s1
	s_mov_b32 s4, -1
	s_mov_b32 s34, s17
	v_rcp_iflag_f32_e32 v0, v0
	s_mov_b32 s5, 0xffffff
	v_mov_b32_e32 v10, 0
	s_movk_i32 s28, 0x80
	v_mul_f32_e32 v0, 0x4f7ffffe, v0
	v_cvt_u32_f32_e32 v0, v0
	s_movk_i32 s29, 0x7f
	s_movk_i32 s30, 0x7fff
	v_mov_b32_e32 v37, 0
	v_mul_lo_u32 v2, s6, v0
	s_mov_b64 s[6:7], 0
	buffer_store_dword v20, off, s[60:63], 0 offset:372 ; 4-byte Folded Spill
	v_mul_hi_u32 v2, v0, v2
	v_add_u32_e32 v0, v0, v2
	buffer_store_dword v0, off, s[60:63], 0 offset:312 ; 4-byte Folded Spill
	v_mov_b32_e32 v0, s1
	v_addc_co_u32_e32 v55, vcc, 0, v0, vcc
	v_lshlrev_b32_e32 v0, 5, v20
	s_waitcnt vmcnt(3)
	v_lshl_or_b32 v0, v1, 7, v0
	v_add_u32_e32 v38, 0x190, v0
	v_mov_b32_e32 v0, 0
	buffer_store_dword v0, off, s[60:63], 0 offset:244 ; 4-byte Folded Spill
	v_mov_b32_e32 v0, 0
	buffer_store_dword v0, off, s[60:63], 0 offset:248 ; 4-byte Folded Spill
	v_mov_b32_e32 v0, 0
	buffer_store_dword v0, off, s[60:63], 0 offset:252 ; 4-byte Folded Spill
	v_mov_b32_e32 v0, 0
	buffer_store_dword v0, off, s[60:63], 0 offset:256 ; 4-byte Folded Spill
	v_mov_b32_e32 v0, 0
	buffer_store_dword v0, off, s[60:63], 0 offset:260 ; 4-byte Folded Spill
	v_mov_b32_e32 v0, 0
	buffer_store_dword v0, off, s[60:63], 0 offset:264 ; 4-byte Folded Spill
	v_mov_b32_e32 v0, 0
	buffer_store_dword v0, off, s[60:63], 0 offset:268 ; 4-byte Folded Spill
	v_mov_b32_e32 v0, 0
	buffer_store_dword v0, off, s[60:63], 0 offset:284 ; 4-byte Folded Spill
	v_mov_b32_e32 v0, 0
	buffer_store_dword v0, off, s[60:63], 0 offset:300 ; 4-byte Folded Spill
	v_mov_b32_e32 v0, 0
	buffer_store_dword v0, off, s[60:63], 0 offset:308 ; 4-byte Folded Spill
	v_mov_b32_e32 v0, 0
	buffer_store_dword v0, off, s[60:63], 0 offset:304 ; 4-byte Folded Spill
	s_branch .LBB317_616
.LBB317_614:                            ;   in Loop: Header=BB317_616 Depth=1
	s_or_b64 exec, exec, s[16:17]
	buffer_load_dword v5, off, s[60:63], 0 offset:332 ; 4-byte Folded Reload
	buffer_load_dword v6, off, s[60:63], 0 offset:336 ; 4-byte Folded Reload
	;; [unrolled: 1-line block ×8, first 2 shown]
	v_lshlrev_b32_e32 v0, 16, v0
	s_waitcnt vmcnt(7)
	v_bfe_u32 v12, v5, 16, 1
	v_add3_u32 v12, v12, v5, s30
	v_or_b32_e32 v20, 0x400000, v5
	v_cmp_u_f32_e32 vcc, v5, v5
	s_waitcnt vmcnt(6)
	v_bfe_u32 v5, v6, 16, 1
	v_cndmask_b32_e32 v20, v12, v20, vcc
	v_add3_u32 v5, v5, v6, s30
	v_or_b32_e32 v12, 0x400000, v6
	v_cmp_u_f32_e32 vcc, v6, v6
	v_cndmask_b32_e32 v23, v5, v12, vcc
	s_waitcnt vmcnt(5)
	v_bfe_u32 v5, v7, 16, 1
	v_add3_u32 v5, v5, v7, s30
	v_or_b32_e32 v6, 0x400000, v7
	v_cmp_u_f32_e32 vcc, v7, v7
	v_cndmask_b32_e32 v5, v5, v6, vcc
	s_waitcnt vmcnt(4)
	v_bfe_u32 v6, v8, 16, 1
	;; [unrolled: 6-line block ×3, first 2 shown]
	v_add3_u32 v7, v7, v1, s30
	v_or_b32_e32 v8, 0x400000, v1
	v_cmp_u_f32_e32 vcc, v1, v1
	s_waitcnt vmcnt(2)
	v_bfe_u32 v1, v2, 16, 1
	v_cndmask_b32_e32 v7, v7, v8, vcc
	v_add3_u32 v1, v1, v2, s30
	v_or_b32_e32 v8, 0x400000, v2
	v_cmp_u_f32_e32 vcc, v2, v2
	v_cndmask_b32_e32 v12, v1, v8, vcc
	s_waitcnt vmcnt(1)
	v_bfe_u32 v1, v3, 16, 1
	v_add3_u32 v1, v1, v3, s30
	v_or_b32_e32 v2, 0x400000, v3
	v_cmp_u_f32_e32 vcc, v3, v3
	v_cndmask_b32_e32 v8, v1, v2, vcc
	s_waitcnt vmcnt(0)
	v_bfe_u32 v1, v4, 16, 1
	v_add3_u32 v1, v1, v4, s30
	v_or_b32_e32 v2, 0x400000, v4
	v_cmp_u_f32_e32 vcc, v4, v4
	v_cndmask_b32_e32 v21, v1, v2, vcc
	v_and_b32_e32 v1, 0xffff0000, v23
	v_lshlrev_b32_e32 v2, 16, v11
	v_mul_f32_e32 v2, v1, v2
	v_bfe_u32 v3, v2, 16, 1
	v_add3_u32 v3, v3, v2, s30
	v_or_b32_e32 v4, 0x400000, v2
	v_cmp_u_f32_e32 vcc, v2, v2
	v_cndmask_b32_e32 v11, v3, v4, vcc
	v_and_b32_e32 v4, 0xffff0000, v20
	v_mul_f32_e32 v0, v4, v0
	v_bfe_u32 v2, v0, 16, 1
	v_add3_u32 v2, v2, v0, s30
	v_or_b32_e32 v3, 0x400000, v0
	v_cmp_u_f32_e32 vcc, v0, v0
	v_cndmask_b32_e32 v0, v2, v3, vcc
	v_and_b32_e32 v2, 0xffff0000, v6
	v_lshlrev_b32_e32 v3, 16, v57
	v_mul_f32_e32 v3, v2, v3
	v_bfe_u32 v6, v3, 16, 1
	v_add3_u32 v6, v6, v3, s30
	v_or_b32_e32 v20, 0x400000, v3
	v_cmp_u_f32_e32 vcc, v3, v3
	v_cndmask_b32_e32 v20, v6, v20, vcc
	v_and_b32_e32 v6, 0xffff0000, v5
	v_lshlrev_b32_e32 v3, 16, v41
	v_mul_f32_e32 v3, v6, v3
	v_bfe_u32 v5, v3, 16, 1
	v_add3_u32 v5, v5, v3, s30
	v_or_b32_e32 v22, 0x400000, v3
	v_cmp_u_f32_e32 vcc, v3, v3
	v_cndmask_b32_e32 v22, v5, v22, vcc
	v_and_b32_e32 v3, 0xffff0000, v12
	v_lshlrev_b32_e32 v5, 16, v14
	v_mul_f32_e32 v5, v3, v5
	v_bfe_u32 v12, v5, 16, 1
	v_add3_u32 v12, v12, v5, s30
	v_or_b32_e32 v23, 0x400000, v5
	v_cmp_u_f32_e32 vcc, v5, v5
	v_and_b32_e32 v7, 0xffff0000, v7
	v_lshlrev_b32_e32 v5, 16, v13
	v_mul_f32_e32 v5, v7, v5
	v_cndmask_b32_e32 v12, v12, v23, vcc
	v_bfe_u32 v23, v5, 16, 1
	v_add3_u32 v23, v23, v5, s30
	v_or_b32_e32 v24, 0x400000, v5
	v_cmp_u_f32_e32 vcc, v5, v5
	v_and_b32_e32 v5, 0xffff0000, v21
	v_lshlrev_b32_e32 v21, 16, v56
	v_mul_f32_e32 v21, v5, v21
	v_cndmask_b32_e32 v23, v23, v24, vcc
	v_bfe_u32 v24, v21, 16, 1
	v_add3_u32 v24, v24, v21, s30
	v_or_b32_e32 v35, 0x400000, v21
	v_cmp_u_f32_e32 vcc, v21, v21
	v_cndmask_b32_e32 v21, v24, v35, vcc
	v_and_b32_e32 v8, 0xffff0000, v8
	v_lshlrev_b32_e32 v24, 16, v40
	v_and_b32_e32 v0, 0xffff0000, v0
	v_and_b32_e32 v11, 0xffff0000, v11
	v_mul_f32_e32 v24, v8, v24
	v_add_f32_e32 v0, v0, v11
	v_and_b32_e32 v11, 0xffff0000, v22
	v_and_b32_e32 v20, 0xffff0000, v20
	v_bfe_u32 v35, v24, 16, 1
	v_add_f32_e32 v11, v11, v20
	v_add3_u32 v35, v35, v24, s30
	v_or_b32_e32 v36, 0x400000, v24
	v_cmp_u_f32_e32 vcc, v24, v24
	v_add_f32_e32 v0, v11, v0
	v_and_b32_e32 v11, 0xffff0000, v23
	v_and_b32_e32 v12, 0xffff0000, v12
	v_cndmask_b32_e32 v24, v35, v36, vcc
	v_add_f32_e32 v11, v11, v12
	v_add_f32_e32 v0, v11, v0
	v_and_b32_e32 v11, 0xffff0000, v24
	v_and_b32_e32 v12, 0xffff0000, v21
	v_add_f32_e32 v11, v11, v12
	v_add_f32_e32 v0, v11, v0
	buffer_load_dword v11, off, s[60:63], 0 offset:244 ; 4-byte Folded Reload
	s_waitcnt vmcnt(0)
	v_add_f32_e32 v11, v11, v0
	v_lshlrev_b32_e32 v0, 16, v51
	v_mul_f32_e32 v0, v1, v0
	buffer_store_dword v11, off, s[60:63], 0 offset:244 ; 4-byte Folded Spill
	v_bfe_u32 v11, v0, 16, 1
	v_add3_u32 v11, v11, v0, s30
	v_or_b32_e32 v12, 0x400000, v0
	v_cmp_u_f32_e32 vcc, v0, v0
	v_cndmask_b32_e32 v0, v11, v12, vcc
	v_lshlrev_b32_e32 v11, 16, v50
	v_mul_f32_e32 v11, v4, v11
	v_bfe_u32 v12, v11, 16, 1
	v_add3_u32 v12, v12, v11, s30
	v_or_b32_e32 v20, 0x400000, v11
	v_cmp_u_f32_e32 vcc, v11, v11
	v_cndmask_b32_e32 v11, v12, v20, vcc
	v_lshlrev_b32_e32 v12, 16, v48
	v_mul_f32_e32 v12, v2, v12
	v_bfe_u32 v20, v12, 16, 1
	v_add3_u32 v20, v20, v12, s30
	v_or_b32_e32 v21, 0x400000, v12
	v_cmp_u_f32_e32 vcc, v12, v12
	v_cndmask_b32_e32 v12, v20, v21, vcc
	v_lshlrev_b32_e32 v20, 16, v47
	v_mul_f32_e32 v20, v6, v20
	v_bfe_u32 v21, v20, 16, 1
	v_add3_u32 v21, v21, v20, s30
	v_or_b32_e32 v22, 0x400000, v20
	v_cmp_u_f32_e32 vcc, v20, v20
	v_cndmask_b32_e32 v20, v21, v22, vcc
	v_lshlrev_b32_e32 v21, 16, v45
	v_mul_f32_e32 v21, v3, v21
	v_bfe_u32 v22, v21, 16, 1
	v_add3_u32 v22, v22, v21, s30
	v_or_b32_e32 v23, 0x400000, v21
	v_cmp_u_f32_e32 vcc, v21, v21
	v_cndmask_b32_e32 v21, v22, v23, vcc
	v_lshlrev_b32_e32 v22, 16, v44
	v_mul_f32_e32 v22, v7, v22
	v_bfe_u32 v23, v22, 16, 1
	v_add3_u32 v23, v23, v22, s30
	v_or_b32_e32 v24, 0x400000, v22
	v_cmp_u_f32_e32 vcc, v22, v22
	v_cndmask_b32_e32 v22, v23, v24, vcc
	v_lshlrev_b32_e32 v23, 16, v49
	v_mul_f32_e32 v23, v5, v23
	v_bfe_u32 v24, v23, 16, 1
	v_add3_u32 v24, v24, v23, s30
	v_or_b32_e32 v35, 0x400000, v23
	v_cmp_u_f32_e32 vcc, v23, v23
	v_cndmask_b32_e32 v23, v24, v35, vcc
	v_lshlrev_b32_e32 v24, 16, v46
	v_and_b32_e32 v11, 0xffff0000, v11
	v_and_b32_e32 v0, 0xffff0000, v0
	v_mul_f32_e32 v24, v8, v24
	v_add_f32_e32 v0, v11, v0
	v_and_b32_e32 v11, 0xffff0000, v20
	v_and_b32_e32 v12, 0xffff0000, v12
	v_bfe_u32 v35, v24, 16, 1
	v_add_f32_e32 v11, v11, v12
	v_add3_u32 v35, v35, v24, s30
	v_or_b32_e32 v36, 0x400000, v24
	v_cmp_u_f32_e32 vcc, v24, v24
	v_add_f32_e32 v0, v11, v0
	v_and_b32_e32 v11, 0xffff0000, v22
	v_and_b32_e32 v12, 0xffff0000, v21
	v_cndmask_b32_e32 v24, v35, v36, vcc
	v_add_f32_e32 v11, v11, v12
	v_add_f32_e32 v0, v11, v0
	v_and_b32_e32 v11, 0xffff0000, v24
	v_and_b32_e32 v12, 0xffff0000, v23
	v_add_f32_e32 v11, v11, v12
	v_add_f32_e32 v0, v11, v0
	buffer_load_dword v11, off, s[60:63], 0 offset:248 ; 4-byte Folded Reload
	s_waitcnt vmcnt(0)
	v_add_f32_e32 v11, v11, v0
	v_lshlrev_b32_e32 v0, 16, v43
	v_mul_f32_e32 v0, v1, v0
	buffer_store_dword v11, off, s[60:63], 0 offset:248 ; 4-byte Folded Spill
	v_bfe_u32 v11, v0, 16, 1
	v_add3_u32 v11, v11, v0, s30
	v_or_b32_e32 v12, 0x400000, v0
	v_cmp_u_f32_e32 vcc, v0, v0
	v_cndmask_b32_e32 v0, v11, v12, vcc
	v_lshlrev_b32_e32 v11, 16, v42
	v_mul_f32_e32 v11, v4, v11
	v_bfe_u32 v12, v11, 16, 1
	v_add3_u32 v12, v12, v11, s30
	v_or_b32_e32 v20, 0x400000, v11
	v_cmp_u_f32_e32 vcc, v11, v11
	v_cndmask_b32_e32 v11, v12, v20, vcc
	v_lshlrev_b32_e32 v12, 16, v34
	v_mul_f32_e32 v12, v2, v12
	;; [unrolled: 7-line block ×6, first 2 shown]
	v_bfe_u32 v24, v23, 16, 1
	v_add3_u32 v24, v24, v23, s30
	v_or_b32_e32 v30, 0x400000, v23
	v_cmp_u_f32_e32 vcc, v23, v23
	v_cndmask_b32_e32 v23, v24, v30, vcc
	v_lshlrev_b32_e32 v24, 16, v32
	v_and_b32_e32 v11, 0xffff0000, v11
	v_and_b32_e32 v0, 0xffff0000, v0
	v_mul_f32_e32 v24, v8, v24
	v_add_f32_e32 v0, v11, v0
	v_and_b32_e32 v11, 0xffff0000, v20
	v_and_b32_e32 v12, 0xffff0000, v12
	v_bfe_u32 v30, v24, 16, 1
	v_add_f32_e32 v11, v11, v12
	v_add3_u32 v30, v30, v24, s30
	v_or_b32_e32 v31, 0x400000, v24
	v_cmp_u_f32_e32 vcc, v24, v24
	v_add_f32_e32 v0, v11, v0
	v_and_b32_e32 v11, 0xffff0000, v22
	v_and_b32_e32 v12, 0xffff0000, v21
	v_cndmask_b32_e32 v24, v30, v31, vcc
	v_add_f32_e32 v11, v11, v12
	v_add_f32_e32 v0, v11, v0
	v_and_b32_e32 v11, 0xffff0000, v24
	v_and_b32_e32 v12, 0xffff0000, v23
	v_add_f32_e32 v11, v11, v12
	v_add_f32_e32 v0, v11, v0
	buffer_load_dword v11, off, s[60:63], 0 offset:252 ; 4-byte Folded Reload
	s_waitcnt vmcnt(0)
	v_add_f32_e32 v11, v11, v0
	buffer_load_dword v0, off, s[60:63], 0 offset:240 ; 4-byte Folded Reload
	s_waitcnt vmcnt(0)
	v_lshlrev_b32_e32 v0, 16, v0
	v_mul_f32_e32 v0, v1, v0
	buffer_store_dword v11, off, s[60:63], 0 offset:252 ; 4-byte Folded Spill
	v_bfe_u32 v11, v0, 16, 1
	v_add3_u32 v11, v11, v0, s30
	v_or_b32_e32 v12, 0x400000, v0
	v_cmp_u_f32_e32 vcc, v0, v0
	v_cndmask_b32_e32 v0, v11, v12, vcc
	buffer_load_dword v11, off, s[60:63], 0 offset:236 ; 4-byte Folded Reload
	v_and_b32_e32 v0, 0xffff0000, v0
	s_waitcnt vmcnt(0)
	v_lshlrev_b32_e32 v11, 16, v11
	v_mul_f32_e32 v11, v4, v11
	v_bfe_u32 v12, v11, 16, 1
	v_add3_u32 v12, v12, v11, s30
	v_or_b32_e32 v20, 0x400000, v11
	v_cmp_u_f32_e32 vcc, v11, v11
	v_cndmask_b32_e32 v11, v12, v20, vcc
	v_lshlrev_b32_e32 v12, 16, v29
	v_mul_f32_e32 v12, v2, v12
	v_bfe_u32 v20, v12, 16, 1
	v_add3_u32 v20, v20, v12, s30
	v_or_b32_e32 v21, 0x400000, v12
	v_cmp_u_f32_e32 vcc, v12, v12
	v_cndmask_b32_e32 v12, v20, v21, vcc
	;; [unrolled: 7-line block ×5, first 2 shown]
	buffer_load_dword v23, off, s[60:63], 0 offset:232 ; 4-byte Folded Reload
	v_and_b32_e32 v11, 0xffff0000, v11
	v_add_f32_e32 v0, v11, v0
	v_and_b32_e32 v11, 0xffff0000, v20
	v_and_b32_e32 v12, 0xffff0000, v12
	v_add_f32_e32 v11, v11, v12
	v_add_f32_e32 v0, v11, v0
	v_and_b32_e32 v11, 0xffff0000, v22
	v_and_b32_e32 v12, 0xffff0000, v21
	v_add_f32_e32 v11, v11, v12
	v_add_f32_e32 v0, v11, v0
	s_waitcnt vmcnt(0)
	v_lshlrev_b32_e32 v23, 16, v23
	v_mul_f32_e32 v23, v5, v23
	v_bfe_u32 v24, v23, 16, 1
	v_add3_u32 v24, v24, v23, s30
	v_or_b32_e32 v25, 0x400000, v23
	v_cmp_u_f32_e32 vcc, v23, v23
	v_cndmask_b32_e32 v23, v24, v25, vcc
	v_lshlrev_b32_e32 v24, 16, v27
	v_mul_f32_e32 v24, v8, v24
	v_bfe_u32 v25, v24, 16, 1
	v_add3_u32 v25, v25, v24, s30
	v_or_b32_e32 v26, 0x400000, v24
	v_cmp_u_f32_e32 vcc, v24, v24
	v_cndmask_b32_e32 v24, v25, v26, vcc
	v_and_b32_e32 v11, 0xffff0000, v24
	v_and_b32_e32 v12, 0xffff0000, v23
	v_add_f32_e32 v11, v11, v12
	v_add_f32_e32 v0, v11, v0
	buffer_load_dword v11, off, s[60:63], 0 offset:256 ; 4-byte Folded Reload
	s_waitcnt vmcnt(0)
	v_add_f32_e32 v11, v11, v0
	buffer_load_dword v0, off, s[60:63], 0 offset:228 ; 4-byte Folded Reload
	s_waitcnt vmcnt(0)
	v_lshlrev_b32_e32 v0, 16, v0
	v_mul_f32_e32 v0, v1, v0
	buffer_store_dword v11, off, s[60:63], 0 offset:256 ; 4-byte Folded Spill
	v_bfe_u32 v11, v0, 16, 1
	v_add3_u32 v11, v11, v0, s30
	v_or_b32_e32 v12, 0x400000, v0
	v_cmp_u_f32_e32 vcc, v0, v0
	v_cndmask_b32_e32 v0, v11, v12, vcc
	buffer_load_dword v11, off, s[60:63], 0 offset:224 ; 4-byte Folded Reload
	v_and_b32_e32 v0, 0xffff0000, v0
	s_waitcnt vmcnt(0)
	v_lshlrev_b32_e32 v11, 16, v11
	v_mul_f32_e32 v11, v4, v11
	v_bfe_u32 v12, v11, 16, 1
	v_add3_u32 v12, v12, v11, s30
	v_or_b32_e32 v20, 0x400000, v11
	v_cmp_u_f32_e32 vcc, v11, v11
	v_cndmask_b32_e32 v11, v12, v20, vcc
	buffer_load_dword v12, off, s[60:63], 0 offset:216 ; 4-byte Folded Reload
	v_and_b32_e32 v11, 0xffff0000, v11
	v_add_f32_e32 v0, v11, v0
	s_waitcnt vmcnt(0)
	v_lshlrev_b32_e32 v12, 16, v12
	v_mul_f32_e32 v12, v2, v12
	v_bfe_u32 v20, v12, 16, 1
	v_add3_u32 v20, v20, v12, s30
	v_or_b32_e32 v21, 0x400000, v12
	v_cmp_u_f32_e32 vcc, v12, v12
	v_cndmask_b32_e32 v12, v20, v21, vcc
	buffer_load_dword v20, off, s[60:63], 0 offset:212 ; 4-byte Folded Reload
	v_and_b32_e32 v12, 0xffff0000, v12
	s_waitcnt vmcnt(0)
	v_lshlrev_b32_e32 v20, 16, v20
	v_mul_f32_e32 v20, v6, v20
	v_bfe_u32 v21, v20, 16, 1
	v_add3_u32 v21, v21, v20, s30
	v_or_b32_e32 v22, 0x400000, v20
	v_cmp_u_f32_e32 vcc, v20, v20
	v_cndmask_b32_e32 v20, v21, v22, vcc
	buffer_load_dword v21, off, s[60:63], 0 offset:204 ; 4-byte Folded Reload
	v_and_b32_e32 v11, 0xffff0000, v20
	v_add_f32_e32 v11, v11, v12
	v_add_f32_e32 v0, v11, v0
	s_waitcnt vmcnt(0)
	v_lshlrev_b32_e32 v21, 16, v21
	v_mul_f32_e32 v21, v3, v21
	v_bfe_u32 v22, v21, 16, 1
	v_add3_u32 v22, v22, v21, s30
	v_or_b32_e32 v23, 0x400000, v21
	v_cmp_u_f32_e32 vcc, v21, v21
	v_cndmask_b32_e32 v21, v22, v23, vcc
	buffer_load_dword v22, off, s[60:63], 0 offset:200 ; 4-byte Folded Reload
	v_and_b32_e32 v12, 0xffff0000, v21
	s_waitcnt vmcnt(0)
	v_lshlrev_b32_e32 v22, 16, v22
	v_mul_f32_e32 v22, v7, v22
	v_bfe_u32 v23, v22, 16, 1
	v_add3_u32 v23, v23, v22, s30
	v_or_b32_e32 v24, 0x400000, v22
	v_cmp_u_f32_e32 vcc, v22, v22
	v_cndmask_b32_e32 v22, v23, v24, vcc
	buffer_load_dword v23, off, s[60:63], 0 offset:220 ; 4-byte Folded Reload
	v_and_b32_e32 v11, 0xffff0000, v22
	v_add_f32_e32 v11, v11, v12
	v_add_f32_e32 v0, v11, v0
	s_waitcnt vmcnt(0)
	v_lshlrev_b32_e32 v23, 16, v23
	v_mul_f32_e32 v23, v5, v23
	v_bfe_u32 v24, v23, 16, 1
	v_add3_u32 v24, v24, v23, s30
	v_or_b32_e32 v25, 0x400000, v23
	v_cmp_u_f32_e32 vcc, v23, v23
	v_cndmask_b32_e32 v23, v24, v25, vcc
	buffer_load_dword v24, off, s[60:63], 0 offset:208 ; 4-byte Folded Reload
	v_and_b32_e32 v12, 0xffff0000, v23
	s_waitcnt vmcnt(0)
	v_lshlrev_b32_e32 v24, 16, v24
	v_mul_f32_e32 v24, v8, v24
	v_bfe_u32 v25, v24, 16, 1
	v_add3_u32 v25, v25, v24, s30
	v_or_b32_e32 v26, 0x400000, v24
	v_cmp_u_f32_e32 vcc, v24, v24
	v_cndmask_b32_e32 v24, v25, v26, vcc
	v_and_b32_e32 v11, 0xffff0000, v24
	v_add_f32_e32 v11, v11, v12
	v_add_f32_e32 v0, v11, v0
	buffer_load_dword v11, off, s[60:63], 0 offset:260 ; 4-byte Folded Reload
	s_waitcnt vmcnt(0)
	v_add_f32_e32 v11, v11, v0
	buffer_load_dword v0, off, s[60:63], 0 offset:196 ; 4-byte Folded Reload
	s_waitcnt vmcnt(0)
	v_lshlrev_b32_e32 v0, 16, v0
	v_mul_f32_e32 v0, v1, v0
	buffer_store_dword v11, off, s[60:63], 0 offset:260 ; 4-byte Folded Spill
	v_bfe_u32 v11, v0, 16, 1
	v_add3_u32 v11, v11, v0, s30
	v_or_b32_e32 v12, 0x400000, v0
	v_cmp_u_f32_e32 vcc, v0, v0
	v_cndmask_b32_e32 v0, v11, v12, vcc
	buffer_load_dword v11, off, s[60:63], 0 offset:192 ; 4-byte Folded Reload
	v_and_b32_e32 v0, 0xffff0000, v0
	s_waitcnt vmcnt(0)
	v_lshlrev_b32_e32 v11, 16, v11
	v_mul_f32_e32 v11, v4, v11
	v_bfe_u32 v12, v11, 16, 1
	v_add3_u32 v12, v12, v11, s30
	v_or_b32_e32 v20, 0x400000, v11
	v_cmp_u_f32_e32 vcc, v11, v11
	v_cndmask_b32_e32 v11, v12, v20, vcc
	buffer_load_dword v12, off, s[60:63], 0 offset:184 ; 4-byte Folded Reload
	v_and_b32_e32 v11, 0xffff0000, v11
	v_add_f32_e32 v0, v11, v0
	s_waitcnt vmcnt(0)
	v_lshlrev_b32_e32 v12, 16, v12
	v_mul_f32_e32 v12, v2, v12
	v_bfe_u32 v20, v12, 16, 1
	v_add3_u32 v20, v20, v12, s30
	v_or_b32_e32 v21, 0x400000, v12
	v_cmp_u_f32_e32 vcc, v12, v12
	v_cndmask_b32_e32 v12, v20, v21, vcc
	buffer_load_dword v20, off, s[60:63], 0 offset:180 ; 4-byte Folded Reload
	v_and_b32_e32 v12, 0xffff0000, v12
	s_waitcnt vmcnt(0)
	v_lshlrev_b32_e32 v20, 16, v20
	v_mul_f32_e32 v20, v6, v20
	v_bfe_u32 v21, v20, 16, 1
	v_add3_u32 v21, v21, v20, s30
	v_or_b32_e32 v22, 0x400000, v20
	v_cmp_u_f32_e32 vcc, v20, v20
	v_cndmask_b32_e32 v20, v21, v22, vcc
	buffer_load_dword v21, off, s[60:63], 0 offset:172 ; 4-byte Folded Reload
	v_and_b32_e32 v11, 0xffff0000, v20
	v_add_f32_e32 v11, v11, v12
	v_add_f32_e32 v0, v11, v0
	s_waitcnt vmcnt(0)
	v_lshlrev_b32_e32 v21, 16, v21
	v_mul_f32_e32 v21, v3, v21
	v_bfe_u32 v22, v21, 16, 1
	v_add3_u32 v22, v22, v21, s30
	v_or_b32_e32 v23, 0x400000, v21
	v_cmp_u_f32_e32 vcc, v21, v21
	v_cndmask_b32_e32 v21, v22, v23, vcc
	buffer_load_dword v22, off, s[60:63], 0 offset:168 ; 4-byte Folded Reload
	v_and_b32_e32 v12, 0xffff0000, v21
	s_waitcnt vmcnt(0)
	v_lshlrev_b32_e32 v22, 16, v22
	v_mul_f32_e32 v22, v7, v22
	v_bfe_u32 v23, v22, 16, 1
	v_add3_u32 v23, v23, v22, s30
	v_or_b32_e32 v24, 0x400000, v22
	v_cmp_u_f32_e32 vcc, v22, v22
	v_cndmask_b32_e32 v22, v23, v24, vcc
	buffer_load_dword v23, off, s[60:63], 0 offset:188 ; 4-byte Folded Reload
	v_and_b32_e32 v11, 0xffff0000, v22
	v_add_f32_e32 v11, v11, v12
	v_add_f32_e32 v0, v11, v0
	s_waitcnt vmcnt(0)
	v_lshlrev_b32_e32 v23, 16, v23
	v_mul_f32_e32 v23, v5, v23
	v_bfe_u32 v24, v23, 16, 1
	v_add3_u32 v24, v24, v23, s30
	v_or_b32_e32 v25, 0x400000, v23
	v_cmp_u_f32_e32 vcc, v23, v23
	v_cndmask_b32_e32 v23, v24, v25, vcc
	buffer_load_dword v24, off, s[60:63], 0 offset:176 ; 4-byte Folded Reload
	v_and_b32_e32 v12, 0xffff0000, v23
	s_waitcnt vmcnt(0)
	v_lshlrev_b32_e32 v24, 16, v24
	v_mul_f32_e32 v24, v8, v24
	v_bfe_u32 v25, v24, 16, 1
	v_add3_u32 v25, v25, v24, s30
	v_or_b32_e32 v26, 0x400000, v24
	v_cmp_u_f32_e32 vcc, v24, v24
	v_cndmask_b32_e32 v24, v25, v26, vcc
	v_and_b32_e32 v11, 0xffff0000, v24
	v_add_f32_e32 v11, v11, v12
	v_add_f32_e32 v0, v11, v0
	buffer_load_dword v11, off, s[60:63], 0 offset:264 ; 4-byte Folded Reload
	s_waitcnt vmcnt(0)
	v_add_f32_e32 v11, v11, v0
	buffer_load_dword v0, off, s[60:63], 0 offset:164 ; 4-byte Folded Reload
	s_waitcnt vmcnt(0)
	v_lshlrev_b32_e32 v0, 16, v0
	v_mul_f32_e32 v0, v1, v0
	buffer_store_dword v11, off, s[60:63], 0 offset:264 ; 4-byte Folded Spill
	v_bfe_u32 v11, v0, 16, 1
	v_add3_u32 v11, v11, v0, s30
	v_or_b32_e32 v12, 0x400000, v0
	v_cmp_u_f32_e32 vcc, v0, v0
	v_cndmask_b32_e32 v0, v11, v12, vcc
	buffer_load_dword v11, off, s[60:63], 0 offset:160 ; 4-byte Folded Reload
	v_and_b32_e32 v0, 0xffff0000, v0
	s_waitcnt vmcnt(0)
	v_lshlrev_b32_e32 v11, 16, v11
	v_mul_f32_e32 v11, v4, v11
	v_bfe_u32 v12, v11, 16, 1
	v_add3_u32 v12, v12, v11, s30
	v_or_b32_e32 v20, 0x400000, v11
	v_cmp_u_f32_e32 vcc, v11, v11
	v_cndmask_b32_e32 v11, v12, v20, vcc
	buffer_load_dword v12, off, s[60:63], 0 offset:152 ; 4-byte Folded Reload
	v_and_b32_e32 v11, 0xffff0000, v11
	v_add_f32_e32 v0, v11, v0
	s_waitcnt vmcnt(0)
	v_lshlrev_b32_e32 v12, 16, v12
	v_mul_f32_e32 v12, v2, v12
	v_bfe_u32 v20, v12, 16, 1
	v_add3_u32 v20, v20, v12, s30
	v_or_b32_e32 v21, 0x400000, v12
	v_cmp_u_f32_e32 vcc, v12, v12
	v_cndmask_b32_e32 v12, v20, v21, vcc
	buffer_load_dword v20, off, s[60:63], 0 offset:148 ; 4-byte Folded Reload
	v_and_b32_e32 v12, 0xffff0000, v12
	s_waitcnt vmcnt(0)
	v_lshlrev_b32_e32 v20, 16, v20
	v_mul_f32_e32 v20, v6, v20
	v_bfe_u32 v21, v20, 16, 1
	v_add3_u32 v21, v21, v20, s30
	v_or_b32_e32 v22, 0x400000, v20
	v_cmp_u_f32_e32 vcc, v20, v20
	v_cndmask_b32_e32 v20, v21, v22, vcc
	buffer_load_dword v21, off, s[60:63], 0 offset:140 ; 4-byte Folded Reload
	v_and_b32_e32 v11, 0xffff0000, v20
	v_add_f32_e32 v11, v11, v12
	v_add_f32_e32 v0, v11, v0
	s_waitcnt vmcnt(0)
	v_lshlrev_b32_e32 v21, 16, v21
	v_mul_f32_e32 v21, v3, v21
	v_bfe_u32 v22, v21, 16, 1
	v_add3_u32 v22, v22, v21, s30
	v_or_b32_e32 v23, 0x400000, v21
	v_cmp_u_f32_e32 vcc, v21, v21
	v_cndmask_b32_e32 v21, v22, v23, vcc
	buffer_load_dword v22, off, s[60:63], 0 offset:136 ; 4-byte Folded Reload
	v_and_b32_e32 v12, 0xffff0000, v21
	s_waitcnt vmcnt(0)
	v_lshlrev_b32_e32 v22, 16, v22
	v_mul_f32_e32 v22, v7, v22
	v_bfe_u32 v23, v22, 16, 1
	v_add3_u32 v23, v23, v22, s30
	v_or_b32_e32 v24, 0x400000, v22
	v_cmp_u_f32_e32 vcc, v22, v22
	v_cndmask_b32_e32 v22, v23, v24, vcc
	buffer_load_dword v23, off, s[60:63], 0 offset:156 ; 4-byte Folded Reload
	v_and_b32_e32 v11, 0xffff0000, v22
	v_add_f32_e32 v11, v11, v12
	v_add_f32_e32 v0, v11, v0
	s_waitcnt vmcnt(0)
	v_lshlrev_b32_e32 v23, 16, v23
	v_mul_f32_e32 v23, v5, v23
	v_bfe_u32 v24, v23, 16, 1
	v_add3_u32 v24, v24, v23, s30
	v_or_b32_e32 v25, 0x400000, v23
	v_cmp_u_f32_e32 vcc, v23, v23
	v_cndmask_b32_e32 v23, v24, v25, vcc
	buffer_load_dword v24, off, s[60:63], 0 offset:144 ; 4-byte Folded Reload
	v_and_b32_e32 v12, 0xffff0000, v23
	s_waitcnt vmcnt(0)
	v_lshlrev_b32_e32 v24, 16, v24
	v_mul_f32_e32 v24, v8, v24
	v_bfe_u32 v25, v24, 16, 1
	v_add3_u32 v25, v25, v24, s30
	v_or_b32_e32 v26, 0x400000, v24
	v_cmp_u_f32_e32 vcc, v24, v24
	v_cndmask_b32_e32 v24, v25, v26, vcc
	v_and_b32_e32 v11, 0xffff0000, v24
	v_add_f32_e32 v11, v11, v12
	v_add_f32_e32 v0, v11, v0
	buffer_load_dword v11, off, s[60:63], 0 offset:268 ; 4-byte Folded Reload
	s_waitcnt vmcnt(0)
	v_add_f32_e32 v11, v11, v0
	buffer_load_dword v0, off, s[60:63], 0 offset:132 ; 4-byte Folded Reload
	s_waitcnt vmcnt(0)
	v_lshlrev_b32_e32 v0, 16, v0
	v_mul_f32_e32 v0, v1, v0
	buffer_store_dword v11, off, s[60:63], 0 offset:268 ; 4-byte Folded Spill
	v_bfe_u32 v11, v0, 16, 1
	v_add3_u32 v11, v11, v0, s30
	v_or_b32_e32 v12, 0x400000, v0
	v_cmp_u_f32_e32 vcc, v0, v0
	v_cndmask_b32_e32 v0, v11, v12, vcc
	buffer_load_dword v11, off, s[60:63], 0 offset:128 ; 4-byte Folded Reload
	v_and_b32_e32 v0, 0xffff0000, v0
	s_waitcnt vmcnt(0)
	v_lshlrev_b32_e32 v11, 16, v11
	v_mul_f32_e32 v11, v4, v11
	v_bfe_u32 v12, v11, 16, 1
	v_add3_u32 v12, v12, v11, s30
	v_or_b32_e32 v20, 0x400000, v11
	v_cmp_u_f32_e32 vcc, v11, v11
	v_cndmask_b32_e32 v11, v12, v20, vcc
	buffer_load_dword v12, off, s[60:63], 0 offset:120 ; 4-byte Folded Reload
	v_and_b32_e32 v11, 0xffff0000, v11
	v_add_f32_e32 v0, v11, v0
	s_waitcnt vmcnt(0)
	v_lshlrev_b32_e32 v12, 16, v12
	v_mul_f32_e32 v12, v2, v12
	v_bfe_u32 v20, v12, 16, 1
	v_add3_u32 v20, v20, v12, s30
	v_or_b32_e32 v21, 0x400000, v12
	v_cmp_u_f32_e32 vcc, v12, v12
	v_cndmask_b32_e32 v12, v20, v21, vcc
	buffer_load_dword v20, off, s[60:63], 0 offset:116 ; 4-byte Folded Reload
	v_and_b32_e32 v12, 0xffff0000, v12
	s_waitcnt vmcnt(0)
	v_lshlrev_b32_e32 v20, 16, v20
	v_mul_f32_e32 v20, v6, v20
	v_bfe_u32 v21, v20, 16, 1
	v_add3_u32 v21, v21, v20, s30
	v_or_b32_e32 v22, 0x400000, v20
	v_cmp_u_f32_e32 vcc, v20, v20
	v_cndmask_b32_e32 v20, v21, v22, vcc
	buffer_load_dword v21, off, s[60:63], 0 offset:108 ; 4-byte Folded Reload
	v_and_b32_e32 v11, 0xffff0000, v20
	v_add_f32_e32 v11, v11, v12
	v_add_f32_e32 v0, v11, v0
	s_waitcnt vmcnt(0)
	v_lshlrev_b32_e32 v21, 16, v21
	v_mul_f32_e32 v21, v3, v21
	v_bfe_u32 v22, v21, 16, 1
	v_add3_u32 v22, v22, v21, s30
	v_or_b32_e32 v23, 0x400000, v21
	v_cmp_u_f32_e32 vcc, v21, v21
	v_cndmask_b32_e32 v21, v22, v23, vcc
	buffer_load_dword v22, off, s[60:63], 0 offset:104 ; 4-byte Folded Reload
	v_and_b32_e32 v12, 0xffff0000, v21
	s_waitcnt vmcnt(0)
	v_lshlrev_b32_e32 v22, 16, v22
	v_mul_f32_e32 v22, v7, v22
	v_bfe_u32 v23, v22, 16, 1
	v_add3_u32 v23, v23, v22, s30
	v_or_b32_e32 v24, 0x400000, v22
	v_cmp_u_f32_e32 vcc, v22, v22
	v_cndmask_b32_e32 v22, v23, v24, vcc
	buffer_load_dword v23, off, s[60:63], 0 offset:124 ; 4-byte Folded Reload
	v_and_b32_e32 v11, 0xffff0000, v22
	v_add_f32_e32 v11, v11, v12
	v_add_f32_e32 v0, v11, v0
	s_waitcnt vmcnt(0)
	v_lshlrev_b32_e32 v23, 16, v23
	v_mul_f32_e32 v23, v5, v23
	v_bfe_u32 v24, v23, 16, 1
	v_add3_u32 v24, v24, v23, s30
	v_or_b32_e32 v25, 0x400000, v23
	v_cmp_u_f32_e32 vcc, v23, v23
	v_cndmask_b32_e32 v23, v24, v25, vcc
	buffer_load_dword v24, off, s[60:63], 0 offset:112 ; 4-byte Folded Reload
	v_and_b32_e32 v12, 0xffff0000, v23
	s_waitcnt vmcnt(0)
	v_lshlrev_b32_e32 v24, 16, v24
	v_mul_f32_e32 v24, v8, v24
	v_bfe_u32 v25, v24, 16, 1
	v_add3_u32 v25, v25, v24, s30
	v_or_b32_e32 v26, 0x400000, v24
	v_cmp_u_f32_e32 vcc, v24, v24
	v_cndmask_b32_e32 v24, v25, v26, vcc
	v_and_b32_e32 v11, 0xffff0000, v24
	v_add_f32_e32 v11, v11, v12
	v_add_f32_e32 v0, v11, v0
	buffer_load_dword v11, off, s[60:63], 0 offset:284 ; 4-byte Folded Reload
	s_waitcnt vmcnt(0)
	v_add_f32_e32 v11, v11, v0
	buffer_load_dword v0, off, s[60:63], 0 offset:100 ; 4-byte Folded Reload
	s_waitcnt vmcnt(0)
	v_lshlrev_b32_e32 v0, 16, v0
	v_mul_f32_e32 v0, v1, v0
	buffer_store_dword v11, off, s[60:63], 0 offset:284 ; 4-byte Folded Spill
	v_bfe_u32 v11, v0, 16, 1
	v_add3_u32 v11, v11, v0, s30
	v_or_b32_e32 v12, 0x400000, v0
	v_cmp_u_f32_e32 vcc, v0, v0
	v_cndmask_b32_e32 v0, v11, v12, vcc
	buffer_load_dword v11, off, s[60:63], 0 offset:96 ; 4-byte Folded Reload
	v_and_b32_e32 v0, 0xffff0000, v0
	s_waitcnt vmcnt(0)
	v_lshlrev_b32_e32 v11, 16, v11
	v_mul_f32_e32 v11, v4, v11
	v_bfe_u32 v12, v11, 16, 1
	v_add3_u32 v12, v12, v11, s30
	v_or_b32_e32 v20, 0x400000, v11
	v_cmp_u_f32_e32 vcc, v11, v11
	v_cndmask_b32_e32 v11, v12, v20, vcc
	buffer_load_dword v12, off, s[60:63], 0 offset:88 ; 4-byte Folded Reload
	v_and_b32_e32 v11, 0xffff0000, v11
	v_add_f32_e32 v0, v11, v0
	s_waitcnt vmcnt(0)
	v_lshlrev_b32_e32 v12, 16, v12
	v_mul_f32_e32 v12, v2, v12
	v_bfe_u32 v20, v12, 16, 1
	v_add3_u32 v20, v20, v12, s30
	v_or_b32_e32 v21, 0x400000, v12
	v_cmp_u_f32_e32 vcc, v12, v12
	v_cndmask_b32_e32 v12, v20, v21, vcc
	buffer_load_dword v20, off, s[60:63], 0 offset:84 ; 4-byte Folded Reload
	v_and_b32_e32 v12, 0xffff0000, v12
	s_waitcnt vmcnt(0)
	v_lshlrev_b32_e32 v20, 16, v20
	v_mul_f32_e32 v20, v6, v20
	v_bfe_u32 v21, v20, 16, 1
	v_add3_u32 v21, v21, v20, s30
	v_or_b32_e32 v22, 0x400000, v20
	v_cmp_u_f32_e32 vcc, v20, v20
	v_cndmask_b32_e32 v20, v21, v22, vcc
	buffer_load_dword v21, off, s[60:63], 0 offset:76 ; 4-byte Folded Reload
	v_and_b32_e32 v11, 0xffff0000, v20
	v_add_f32_e32 v11, v11, v12
	v_add_f32_e32 v0, v11, v0
	s_waitcnt vmcnt(0)
	v_lshlrev_b32_e32 v21, 16, v21
	v_mul_f32_e32 v21, v3, v21
	v_bfe_u32 v22, v21, 16, 1
	v_add3_u32 v22, v22, v21, s30
	v_or_b32_e32 v23, 0x400000, v21
	v_cmp_u_f32_e32 vcc, v21, v21
	v_cndmask_b32_e32 v21, v22, v23, vcc
	buffer_load_dword v22, off, s[60:63], 0 offset:72 ; 4-byte Folded Reload
	v_and_b32_e32 v12, 0xffff0000, v21
	s_waitcnt vmcnt(0)
	v_lshlrev_b32_e32 v22, 16, v22
	v_mul_f32_e32 v22, v7, v22
	v_bfe_u32 v23, v22, 16, 1
	v_add3_u32 v23, v23, v22, s30
	v_or_b32_e32 v24, 0x400000, v22
	v_cmp_u_f32_e32 vcc, v22, v22
	v_cndmask_b32_e32 v22, v23, v24, vcc
	buffer_load_dword v23, off, s[60:63], 0 offset:92 ; 4-byte Folded Reload
	v_and_b32_e32 v11, 0xffff0000, v22
	v_add_f32_e32 v11, v11, v12
	v_add_f32_e32 v0, v11, v0
	s_waitcnt vmcnt(0)
	v_lshlrev_b32_e32 v23, 16, v23
	v_mul_f32_e32 v23, v5, v23
	v_bfe_u32 v24, v23, 16, 1
	v_add3_u32 v24, v24, v23, s30
	v_or_b32_e32 v25, 0x400000, v23
	v_cmp_u_f32_e32 vcc, v23, v23
	v_cndmask_b32_e32 v23, v24, v25, vcc
	buffer_load_dword v24, off, s[60:63], 0 offset:80 ; 4-byte Folded Reload
	v_and_b32_e32 v12, 0xffff0000, v23
	s_waitcnt vmcnt(0)
	v_lshlrev_b32_e32 v24, 16, v24
	v_mul_f32_e32 v24, v8, v24
	v_bfe_u32 v25, v24, 16, 1
	v_add3_u32 v25, v25, v24, s30
	v_or_b32_e32 v26, 0x400000, v24
	v_cmp_u_f32_e32 vcc, v24, v24
	v_cndmask_b32_e32 v24, v25, v26, vcc
	v_and_b32_e32 v11, 0xffff0000, v24
	v_add_f32_e32 v11, v11, v12
	v_add_f32_e32 v0, v11, v0
	buffer_load_dword v11, off, s[60:63], 0 offset:300 ; 4-byte Folded Reload
	s_waitcnt vmcnt(0)
	v_add_f32_e32 v11, v11, v0
	buffer_load_dword v0, off, s[60:63], 0 offset:64 ; 4-byte Folded Reload
	s_waitcnt vmcnt(0)
	v_lshlrev_b32_e32 v0, 16, v0
	v_mul_f32_e32 v0, v1, v0
	buffer_store_dword v11, off, s[60:63], 0 offset:300 ; 4-byte Folded Spill
	v_bfe_u32 v11, v0, 16, 1
	v_add3_u32 v11, v11, v0, s30
	v_or_b32_e32 v12, 0x400000, v0
	v_cmp_u_f32_e32 vcc, v0, v0
	v_cndmask_b32_e32 v0, v11, v12, vcc
	buffer_load_dword v11, off, s[60:63], 0 offset:68 ; 4-byte Folded Reload
	v_and_b32_e32 v0, 0xffff0000, v0
	s_waitcnt vmcnt(0)
	v_lshlrev_b32_e32 v11, 16, v11
	v_mul_f32_e32 v11, v4, v11
	v_bfe_u32 v12, v11, 16, 1
	v_add3_u32 v12, v12, v11, s30
	v_or_b32_e32 v20, 0x400000, v11
	v_cmp_u_f32_e32 vcc, v11, v11
	v_cndmask_b32_e32 v11, v12, v20, vcc
	buffer_load_dword v12, off, s[60:63], 0 offset:52 ; 4-byte Folded Reload
	v_and_b32_e32 v11, 0xffff0000, v11
	v_add_f32_e32 v0, v11, v0
	s_waitcnt vmcnt(0)
	v_lshlrev_b32_e32 v12, 16, v12
	v_mul_f32_e32 v12, v2, v12
	v_bfe_u32 v20, v12, 16, 1
	v_add3_u32 v20, v20, v12, s30
	v_or_b32_e32 v21, 0x400000, v12
	v_cmp_u_f32_e32 vcc, v12, v12
	v_cndmask_b32_e32 v12, v20, v21, vcc
	buffer_load_dword v20, off, s[60:63], 0 offset:56 ; 4-byte Folded Reload
	v_and_b32_e32 v12, 0xffff0000, v12
	s_waitcnt vmcnt(0)
	v_lshlrev_b32_e32 v20, 16, v20
	v_mul_f32_e32 v20, v6, v20
	v_bfe_u32 v21, v20, 16, 1
	v_add3_u32 v21, v21, v20, s30
	v_or_b32_e32 v22, 0x400000, v20
	v_cmp_u_f32_e32 vcc, v20, v20
	v_cndmask_b32_e32 v20, v21, v22, vcc
	buffer_load_dword v21, off, s[60:63], 0 offset:40 ; 4-byte Folded Reload
	v_and_b32_e32 v11, 0xffff0000, v20
	v_add_f32_e32 v11, v11, v12
	v_add_f32_e32 v0, v11, v0
	s_waitcnt vmcnt(0)
	v_lshlrev_b32_e32 v21, 16, v21
	v_mul_f32_e32 v21, v3, v21
	v_bfe_u32 v22, v21, 16, 1
	v_add3_u32 v22, v22, v21, s30
	v_or_b32_e32 v23, 0x400000, v21
	v_cmp_u_f32_e32 vcc, v21, v21
	v_cndmask_b32_e32 v21, v22, v23, vcc
	buffer_load_dword v22, off, s[60:63], 0 offset:44 ; 4-byte Folded Reload
	v_and_b32_e32 v12, 0xffff0000, v21
	s_waitcnt vmcnt(0)
	v_lshlrev_b32_e32 v22, 16, v22
	v_mul_f32_e32 v22, v7, v22
	v_bfe_u32 v23, v22, 16, 1
	v_add3_u32 v23, v23, v22, s30
	v_or_b32_e32 v24, 0x400000, v22
	v_cmp_u_f32_e32 vcc, v22, v22
	v_cndmask_b32_e32 v22, v23, v24, vcc
	buffer_load_dword v23, off, s[60:63], 0 offset:60 ; 4-byte Folded Reload
	v_and_b32_e32 v11, 0xffff0000, v22
	v_add_f32_e32 v11, v11, v12
	v_add_f32_e32 v0, v11, v0
	s_waitcnt vmcnt(0)
	v_lshlrev_b32_e32 v23, 16, v23
	v_mul_f32_e32 v23, v5, v23
	v_bfe_u32 v24, v23, 16, 1
	v_add3_u32 v24, v24, v23, s30
	v_or_b32_e32 v25, 0x400000, v23
	v_cmp_u_f32_e32 vcc, v23, v23
	v_cndmask_b32_e32 v23, v24, v25, vcc
	buffer_load_dword v24, off, s[60:63], 0 offset:48 ; 4-byte Folded Reload
	v_and_b32_e32 v12, 0xffff0000, v23
	s_waitcnt vmcnt(0)
	v_lshlrev_b32_e32 v24, 16, v24
	v_mul_f32_e32 v24, v8, v24
	v_bfe_u32 v25, v24, 16, 1
	v_add3_u32 v25, v25, v24, s30
	v_or_b32_e32 v26, 0x400000, v24
	v_cmp_u_f32_e32 vcc, v24, v24
	v_cndmask_b32_e32 v24, v25, v26, vcc
	v_and_b32_e32 v11, 0xffff0000, v24
	v_add_f32_e32 v11, v11, v12
	v_add_f32_e32 v0, v11, v0
	buffer_load_dword v11, off, s[60:63], 0 offset:308 ; 4-byte Folded Reload
	s_waitcnt vmcnt(0)
	v_add_f32_e32 v11, v11, v0
	buffer_load_dword v0, off, s[60:63], 0 offset:32 ; 4-byte Folded Reload
	s_waitcnt vmcnt(0)
	v_lshlrev_b32_e32 v0, 16, v0
	v_mul_f32_e32 v0, v1, v0
	buffer_store_dword v11, off, s[60:63], 0 offset:308 ; 4-byte Folded Spill
	v_bfe_u32 v11, v0, 16, 1
	v_add3_u32 v11, v11, v0, s30
	v_or_b32_e32 v12, 0x400000, v0
	v_cmp_u_f32_e32 vcc, v0, v0
	v_cndmask_b32_e32 v0, v11, v12, vcc
	buffer_load_dword v11, off, s[60:63], 0 offset:36 ; 4-byte Folded Reload
	v_and_b32_e32 v0, 0xffff0000, v0
	s_waitcnt vmcnt(0)
	v_lshlrev_b32_e32 v11, 16, v11
	v_mul_f32_e32 v11, v4, v11
	v_bfe_u32 v12, v11, 16, 1
	v_add3_u32 v12, v12, v11, s30
	v_or_b32_e32 v20, 0x400000, v11
	v_cmp_u_f32_e32 vcc, v11, v11
	v_cndmask_b32_e32 v11, v12, v20, vcc
	buffer_load_dword v12, off, s[60:63], 0 offset:20 ; 4-byte Folded Reload
	v_and_b32_e32 v11, 0xffff0000, v11
	v_add_f32_e32 v0, v11, v0
	s_waitcnt vmcnt(0)
	v_lshlrev_b32_e32 v12, 16, v12
	v_mul_f32_e32 v12, v2, v12
	v_bfe_u32 v20, v12, 16, 1
	v_add3_u32 v20, v20, v12, s30
	v_or_b32_e32 v21, 0x400000, v12
	v_cmp_u_f32_e32 vcc, v12, v12
	v_cndmask_b32_e32 v12, v20, v21, vcc
	buffer_load_dword v20, off, s[60:63], 0 offset:24 ; 4-byte Folded Reload
	v_and_b32_e32 v12, 0xffff0000, v12
	s_waitcnt vmcnt(0)
	v_lshlrev_b32_e32 v20, 16, v20
	v_mul_f32_e32 v20, v6, v20
	v_bfe_u32 v21, v20, 16, 1
	v_add3_u32 v21, v21, v20, s30
	v_or_b32_e32 v22, 0x400000, v20
	v_cmp_u_f32_e32 vcc, v20, v20
	v_cndmask_b32_e32 v20, v21, v22, vcc
	buffer_load_dword v21, off, s[60:63], 0 offset:8 ; 4-byte Folded Reload
	v_and_b32_e32 v11, 0xffff0000, v20
	v_add_f32_e32 v11, v11, v12
	v_add_f32_e32 v0, v11, v0
	s_waitcnt vmcnt(0)
	v_lshlrev_b32_e32 v21, 16, v21
	v_mul_f32_e32 v21, v3, v21
	v_bfe_u32 v22, v21, 16, 1
	v_add3_u32 v22, v22, v21, s30
	v_or_b32_e32 v23, 0x400000, v21
	v_cmp_u_f32_e32 vcc, v21, v21
	v_cndmask_b32_e32 v21, v22, v23, vcc
	buffer_load_dword v22, off, s[60:63], 0 offset:12 ; 4-byte Folded Reload
	v_and_b32_e32 v12, 0xffff0000, v21
	s_waitcnt vmcnt(0)
	v_lshlrev_b32_e32 v22, 16, v22
	v_mul_f32_e32 v22, v7, v22
	v_bfe_u32 v23, v22, 16, 1
	v_add3_u32 v23, v23, v22, s30
	v_or_b32_e32 v24, 0x400000, v22
	v_cmp_u_f32_e32 vcc, v22, v22
	v_cndmask_b32_e32 v22, v23, v24, vcc
	buffer_load_dword v23, off, s[60:63], 0 offset:28 ; 4-byte Folded Reload
	v_and_b32_e32 v11, 0xffff0000, v22
	v_add_f32_e32 v11, v11, v12
	v_add_f32_e32 v0, v11, v0
	s_waitcnt vmcnt(0)
	v_lshlrev_b32_e32 v23, 16, v23
	v_mul_f32_e32 v23, v5, v23
	v_bfe_u32 v24, v23, 16, 1
	v_add3_u32 v24, v24, v23, s30
	v_or_b32_e32 v25, 0x400000, v23
	v_cmp_u_f32_e32 vcc, v23, v23
	v_cndmask_b32_e32 v23, v24, v25, vcc
	buffer_load_dword v24, off, s[60:63], 0 offset:16 ; 4-byte Folded Reload
	v_and_b32_e32 v12, 0xffff0000, v23
	s_waitcnt vmcnt(0)
	v_lshlrev_b32_e32 v24, 16, v24
	v_mul_f32_e32 v24, v8, v24
	v_bfe_u32 v25, v24, 16, 1
	v_add3_u32 v25, v25, v24, s30
	v_or_b32_e32 v26, 0x400000, v24
	v_cmp_u_f32_e32 vcc, v24, v24
	v_cndmask_b32_e32 v24, v25, v26, vcc
	v_and_b32_e32 v11, 0xffff0000, v24
	v_add_f32_e32 v11, v11, v12
	v_add_f32_e32 v0, v11, v0
	buffer_load_dword v11, off, s[60:63], 0 offset:304 ; 4-byte Folded Reload
	s_waitcnt vmcnt(0)
	v_add_f32_e32 v11, v11, v0
	v_lshlrev_b32_e32 v0, 16, v53
	v_mul_f32_e32 v0, v4, v0
	v_bfe_u32 v4, v0, 16, 1
	buffer_store_dword v11, off, s[60:63], 0 offset:304 ; 4-byte Folded Spill
	v_add3_u32 v4, v4, v0, s30
	v_or_b32_e32 v11, 0x400000, v0
	v_cmp_u_f32_e32 vcc, v0, v0
	v_cndmask_b32_e32 v0, v4, v11, vcc
	v_lshlrev_b32_e32 v4, 16, v52
	v_mul_f32_e32 v1, v1, v4
	v_bfe_u32 v4, v1, 16, 1
	v_add3_u32 v4, v4, v1, s30
	v_or_b32_e32 v11, 0x400000, v1
	v_cmp_u_f32_e32 vcc, v1, v1
	v_cndmask_b32_e32 v1, v4, v11, vcc
	v_lshlrev_b32_e32 v4, 16, v19
	v_mul_f32_e32 v4, v6, v4
	v_bfe_u32 v6, v4, 16, 1
	v_add3_u32 v6, v6, v4, s30
	v_or_b32_e32 v11, 0x400000, v4
	v_cmp_u_f32_e32 vcc, v4, v4
	v_cndmask_b32_e32 v4, v6, v11, vcc
	v_lshlrev_b32_e32 v6, 16, v16
	v_mul_f32_e32 v2, v2, v6
	v_bfe_u32 v6, v2, 16, 1
	v_add3_u32 v6, v6, v2, s30
	v_or_b32_e32 v11, 0x400000, v2
	v_cmp_u_f32_e32 vcc, v2, v2
	v_cndmask_b32_e32 v2, v6, v11, vcc
	v_lshlrev_b32_e32 v6, 16, v15
	v_mul_f32_e32 v6, v7, v6
	v_bfe_u32 v7, v6, 16, 1
	v_add3_u32 v7, v7, v6, s30
	v_or_b32_e32 v11, 0x400000, v6
	v_cmp_u_f32_e32 vcc, v6, v6
	v_cndmask_b32_e32 v6, v7, v11, vcc
	v_lshlrev_b32_e32 v7, 16, v9
	v_mul_f32_e32 v3, v3, v7
	v_bfe_u32 v7, v3, 16, 1
	v_add3_u32 v7, v7, v3, s30
	v_or_b32_e32 v9, 0x400000, v3
	v_cmp_u_f32_e32 vcc, v3, v3
	v_cndmask_b32_e32 v3, v7, v9, vcc
	v_lshlrev_b32_e32 v7, 16, v17
	v_mul_f32_e32 v7, v8, v7
	v_bfe_u32 v8, v7, 16, 1
	v_add3_u32 v8, v8, v7, s30
	v_or_b32_e32 v9, 0x400000, v7
	v_cmp_u_f32_e32 vcc, v7, v7
	v_cndmask_b32_e32 v7, v8, v9, vcc
	v_lshlrev_b32_e32 v8, 16, v18
	v_and_b32_e32 v1, 0xffff0000, v1
	v_and_b32_e32 v0, 0xffff0000, v0
	v_mul_f32_e32 v5, v5, v8
	v_add_f32_e32 v0, v0, v1
	v_and_b32_e32 v1, 0xffff0000, v2
	v_and_b32_e32 v2, 0xffff0000, v4
	v_bfe_u32 v8, v5, 16, 1
	v_add_f32_e32 v1, v2, v1
	v_add3_u32 v8, v8, v5, s30
	v_or_b32_e32 v9, 0x400000, v5
	v_cmp_u_f32_e32 vcc, v5, v5
	v_add_f32_e32 v0, v1, v0
	v_and_b32_e32 v1, 0xffff0000, v3
	v_and_b32_e32 v2, 0xffff0000, v6
	v_cndmask_b32_e32 v5, v8, v9, vcc
	v_add_f32_e32 v1, v2, v1
	v_add_f32_e32 v0, v1, v0
	v_and_b32_e32 v1, 0xffff0000, v5
	v_and_b32_e32 v2, 0xffff0000, v7
	v_add_f32_e32 v1, v2, v1
	v_add_f32_e32 v0, v1, v0
	;; [unrolled: 1-line block ×3, first 2 shown]
.LBB317_615:                            ;   in Loop: Header=BB317_616 Depth=1
	s_or_b64 exec, exec, s[12:13]
	buffer_load_dword v0, off, s[60:63], 0  ; 4-byte Folded Reload
	buffer_load_dword v3, off, s[60:63], 0 offset:4 ; 4-byte Folded Reload
	v_add_co_u32_e32 v54, vcc, 8, v54
	v_addc_co_u32_e32 v55, vcc, 0, v55, vcc
	v_add_u32_e32 v38, 0x100, v38
	s_waitcnt vmcnt(1)
	v_add_u32_e32 v0, 2, v0
	v_cmp_le_i32_e32 vcc, s47, v0
	s_waitcnt vmcnt(0)
	v_add_u32_e32 v3, 64, v3
	s_or_b64 s[6:7], vcc, s[6:7]
	buffer_store_dword v0, off, s[60:63], 0 ; 4-byte Folded Spill
	s_andn2_b64 exec, exec, s[6:7]
	s_cbranch_execz .LBB317_1217
.LBB317_616:                            ; =>This Inner Loop Header: Depth=1
	s_waitcnt vmcnt(13)
	v_mul_hi_u32 v0, v3, s46
	buffer_store_dword v3, off, s[60:63], 0 offset:4 ; 4-byte Folded Spill
	v_mul_lo_u32 v1, v0, s25
	v_add_u32_e32 v2, 1, v0
	v_sub_u32_e32 v1, v3, v1
	buffer_load_dword v3, off, s[60:63], 0 offset:312 ; 4-byte Folded Reload
	v_cmp_le_u32_e32 vcc, s25, v1
	v_cndmask_b32_e32 v0, v0, v2, vcc
	v_subrev_u32_e32 v2, s25, v1
	v_cndmask_b32_e32 v1, v1, v2, vcc
	v_add_u32_e32 v2, 1, v0
	v_cmp_le_u32_e32 vcc, s25, v1
	v_cndmask_b32_e32 v0, v0, v2, vcc
	v_xor_b32_e32 v0, s23, v0
	v_subrev_u32_e32 v0, s23, v0
	v_add_u32_e32 v1, s36, v0
	v_sub_u32_e32 v2, 0, v1
	v_max_i32_e32 v2, v1, v2
	v_ashrrev_i32_e32 v1, 31, v1
	v_cmp_lt_i32_e64 s[0:1], s37, v0
	s_waitcnt vmcnt(0)
	v_mul_hi_u32 v3, v2, v3
	v_mul_lo_u32 v3, v3, s22
	v_sub_u32_e32 v2, v2, v3
	v_subrev_u32_e32 v3, s22, v2
	v_cmp_le_u32_e32 vcc, s22, v2
	v_cndmask_b32_e32 v2, v2, v3, vcc
	v_subrev_u32_e32 v3, s22, v2
	v_cmp_le_u32_e32 vcc, s22, v2
	v_cndmask_b32_e32 v2, v2, v3, vcc
	v_xor_b32_e32 v2, v2, v1
	v_sub_u32_e32 v1, v2, v1
	v_cmp_eq_u32_e32 vcc, 0, v1
	s_or_b64 s[0:1], vcc, s[0:1]
	s_and_saveexec_b64 s[12:13], s[0:1]
	s_cbranch_execz .LBB317_615
; %bb.617:                              ;   in Loop: Header=BB317_616 Depth=1
	global_load_dword v0, v[54:55], off
	buffer_load_dword v1, off, s[60:63], 0 offset:352 ; 4-byte Folded Reload
	buffer_load_dword v2, off, s[60:63], 0 offset:356 ; 4-byte Folded Reload
	v_mov_b32_e32 v11, 0
	s_waitcnt vmcnt(0)
	v_mad_i64_i32 v[15:16], s[0:1], v0, s34, v[1:2]
	ds_read2_b64 v[0:3], v38 offset1:1
	global_load_dwordx2 v[17:18], v[15:16], off
	s_waitcnt lgkmcnt(0)
	buffer_store_dword v0, off, s[60:63], 0 offset:332 ; 4-byte Folded Spill
	s_nop 0
	buffer_store_dword v1, off, s[60:63], 0 offset:336 ; 4-byte Folded Spill
	buffer_store_dword v2, off, s[60:63], 0 offset:340 ; 4-byte Folded Spill
	;; [unrolled: 1-line block ×3, first 2 shown]
	ds_read2_b64 v[6:9], v38 offset0:2 offset1:3
	v_mov_b32_e32 v0, 0
	s_waitcnt lgkmcnt(0)
	buffer_store_dword v6, off, s[60:63], 0 offset:316 ; 4-byte Folded Spill
	s_nop 0
	buffer_store_dword v7, off, s[60:63], 0 offset:320 ; 4-byte Folded Spill
	buffer_store_dword v8, off, s[60:63], 0 offset:324 ; 4-byte Folded Spill
	;; [unrolled: 1-line block ×3, first 2 shown]
	s_load_dword s31, s[14:15], 0x0
	s_waitcnt vmcnt(8)
	v_cmp_ne_u16_sdwa s[16:17], v17, v10 src0_sel:BYTE_0 src1_sel:DWORD
	s_and_saveexec_b64 s[0:1], s[16:17]
	s_cbranch_execz .LBB317_623
; %bb.618:                              ;   in Loop: Header=BB317_616 Depth=1
	v_cmp_ne_u16_sdwa s[18:19], v17, s28 src0_sel:BYTE_0 src1_sel:DWORD
	v_bfrev_b32_e32 v0, 1
	s_and_saveexec_b64 s[16:17], s[18:19]
	s_cbranch_execz .LBB317_622
; %bb.619:                              ;   in Loop: Header=BB317_616 Depth=1
	v_and_b32_e32 v9, 0x7f, v17
	v_cmp_ne_u32_e32 vcc, s29, v9
	v_mov_b32_e32 v0, 0x7f800001
	s_and_saveexec_b64 s[18:19], vcc
	s_cbranch_execz .LBB317_621
; %bb.620:                              ;   in Loop: Header=BB317_616 Depth=1
	v_and_b32_e32 v0, 7, v17
	v_ffbh_u32_e32 v0, v0
	v_min_u32_e32 v0, 32, v0
	v_subrev_u32_e32 v19, 28, v0
	v_cmp_gt_u32_e32 vcc, 8, v9
	v_lshrrev_b32_e32 v12, 3, v9
	v_cndmask_b32_e32 v9, 0, v19, vcc
	v_lshlrev_b64 v[19:20], v9, v[17:18]
	v_sub_u32_e32 v0, 29, v0
	v_cndmask_b32_e32 v0, v12, v0, vcc
	v_lshlrev_b32_e32 v9, 20, v19
	v_lshlrev_b32_e32 v12, 24, v17
	v_bfrev_b32_e32 v19, 60
	v_and_b32_e32 v9, 0x700000, v9
	v_and_b32_e32 v12, 0x80000000, v12
	v_lshl_add_u32 v0, v0, 23, v19
	v_or3_b32 v0, v12, v0, v9
.LBB317_621:                            ;   in Loop: Header=BB317_616 Depth=1
	s_or_b64 exec, exec, s[18:19]
.LBB317_622:                            ;   in Loop: Header=BB317_616 Depth=1
	s_or_b64 exec, exec, s[16:17]
.LBB317_623:                            ;   in Loop: Header=BB317_616 Depth=1
	s_or_b64 exec, exec, s[0:1]
	v_lshrrev_b16_e32 v9, 8, v17
	v_cmp_ne_u16_e32 vcc, 0, v9
	s_and_saveexec_b64 s[0:1], vcc
	s_cbranch_execz .LBB317_629
; %bb.624:                              ;   in Loop: Header=BB317_616 Depth=1
	v_cmp_ne_u16_e32 vcc, s28, v9
	v_bfrev_b32_e32 v11, 1
	s_and_saveexec_b64 s[16:17], vcc
	s_cbranch_execz .LBB317_628
; %bb.625:                              ;   in Loop: Header=BB317_616 Depth=1
	v_and_b32_e32 v12, 0x7f, v9
	v_cmp_ne_u32_e32 vcc, s29, v12
	v_mov_b32_e32 v11, 0x7f800001
	s_and_saveexec_b64 s[18:19], vcc
	s_cbranch_execz .LBB317_627
; %bb.626:                              ;   in Loop: Header=BB317_616 Depth=1
	v_and_b32_e32 v11, 7, v9
	v_ffbh_u32_e32 v19, v11
	v_min_u32_e32 v22, 32, v19
	v_subrev_u32_e32 v19, 28, v22
	v_lshlrev_b64 v[19:20], v19, v[9:10]
	v_lshrrev_b32_e32 v21, 3, v12
	v_sub_u32_e32 v9, 29, v22
	v_and_b32_e32 v19, 7, v19
	v_cmp_gt_u32_e32 vcc, 8, v12
	v_cndmask_b32_e32 v9, v21, v9, vcc
	v_cndmask_b32_e32 v11, v11, v19, vcc
	v_lshlrev_b32_e32 v12, 16, v17
	v_bfrev_b32_e32 v19, 60
	v_lshlrev_b32_e32 v11, 20, v11
	v_and_b32_e32 v12, 0x80000000, v12
	v_lshl_add_u32 v9, v9, 23, v19
	v_or3_b32 v11, v12, v9, v11
.LBB317_627:                            ;   in Loop: Header=BB317_616 Depth=1
	s_or_b64 exec, exec, s[18:19]
.LBB317_628:                            ;   in Loop: Header=BB317_616 Depth=1
	s_or_b64 exec, exec, s[16:17]
.LBB317_629:                            ;   in Loop: Header=BB317_616 Depth=1
	s_or_b64 exec, exec, s[0:1]
	v_lshrrev_b32_e32 v9, 16, v17
	v_cmp_ne_u16_sdwa s[16:17], v9, v10 src0_sel:BYTE_0 src1_sel:DWORD
	v_mov_b32_e32 v20, 0
	v_mov_b32_e32 v12, 0
	s_and_saveexec_b64 s[0:1], s[16:17]
	s_cbranch_execz .LBB317_635
; %bb.630:                              ;   in Loop: Header=BB317_616 Depth=1
	v_cmp_ne_u16_sdwa s[18:19], v9, s28 src0_sel:BYTE_0 src1_sel:DWORD
	v_bfrev_b32_e32 v12, 1
	s_and_saveexec_b64 s[16:17], s[18:19]
	s_cbranch_execz .LBB317_634
; %bb.631:                              ;   in Loop: Header=BB317_616 Depth=1
	v_bfe_u32 v19, v17, 16, 7
	v_cmp_ne_u32_e32 vcc, s29, v19
	v_mov_b32_e32 v12, 0x7f800001
	s_and_saveexec_b64 s[18:19], vcc
	s_cbranch_execz .LBB317_633
; %bb.632:                              ;   in Loop: Header=BB317_616 Depth=1
	v_and_b32_e32 v12, 7, v9
	v_ffbh_u32_e32 v21, v12
	v_min_u32_e32 v24, 32, v21
	v_subrev_u32_e32 v21, 28, v24
	v_lshlrev_b64 v[21:22], v21, v[9:10]
	v_lshrrev_b32_e32 v23, 3, v19
	v_sub_u32_e32 v22, 29, v24
	v_and_b32_e32 v21, 7, v21
	v_cmp_gt_u32_e32 vcc, 8, v19
	v_cndmask_b32_e32 v19, v23, v22, vcc
	v_cndmask_b32_e32 v12, v12, v21, vcc
	v_lshlrev_b32_e32 v9, 24, v9
	v_bfrev_b32_e32 v21, 60
	v_lshlrev_b32_e32 v12, 20, v12
	v_and_b32_e32 v9, 0x80000000, v9
	v_lshl_add_u32 v19, v19, 23, v21
	v_or3_b32 v12, v9, v19, v12
.LBB317_633:                            ;   in Loop: Header=BB317_616 Depth=1
	s_or_b64 exec, exec, s[18:19]
.LBB317_634:                            ;   in Loop: Header=BB317_616 Depth=1
	s_or_b64 exec, exec, s[16:17]
.LBB317_635:                            ;   in Loop: Header=BB317_616 Depth=1
	s_or_b64 exec, exec, s[0:1]
	v_cmp_lt_u32_e32 vcc, s5, v17
	s_and_saveexec_b64 s[0:1], vcc
	s_cbranch_execz .LBB317_641
; %bb.636:                              ;   in Loop: Header=BB317_616 Depth=1
	v_lshrrev_b32_e32 v9, 24, v17
	v_cmp_ne_u32_e32 vcc, s28, v9
	v_bfrev_b32_e32 v20, 1
	s_and_saveexec_b64 s[16:17], vcc
	s_cbranch_execz .LBB317_640
; %bb.637:                              ;   in Loop: Header=BB317_616 Depth=1
	v_bfe_u32 v19, v17, 24, 7
	v_cmp_ne_u32_e32 vcc, s29, v19
	v_mov_b32_e32 v20, 0x7f800001
	s_and_saveexec_b64 s[18:19], vcc
	s_cbranch_execz .LBB317_639
; %bb.638:                              ;   in Loop: Header=BB317_616 Depth=1
	v_and_b32_e32 v22, 7, v9
	v_ffbh_u32_e32 v20, v22
	v_min_u32_e32 v24, 32, v20
	v_subrev_u32_e32 v20, 28, v24
	v_lshlrev_b64 v[20:21], v20, v[9:10]
	v_lshrrev_b32_e32 v23, 3, v19
	v_sub_u32_e32 v21, 29, v24
	v_and_b32_e32 v20, 7, v20
	v_cmp_gt_u32_e32 vcc, 8, v19
	v_cndmask_b32_e32 v19, v23, v21, vcc
	v_cndmask_b32_e32 v20, v22, v20, vcc
	v_lshlrev_b32_e32 v9, 24, v9
	v_bfrev_b32_e32 v21, 60
	v_lshlrev_b32_e32 v20, 20, v20
	v_and_b32_e32 v9, 0x80000000, v9
	v_lshl_add_u32 v19, v19, 23, v21
	v_or3_b32 v20, v9, v19, v20
.LBB317_639:                            ;   in Loop: Header=BB317_616 Depth=1
	s_or_b64 exec, exec, s[18:19]
.LBB317_640:                            ;   in Loop: Header=BB317_616 Depth=1
	s_or_b64 exec, exec, s[16:17]
.LBB317_641:                            ;   in Loop: Header=BB317_616 Depth=1
	s_or_b64 exec, exec, s[0:1]
	v_mov_b32_e32 v9, v18
	v_cmp_ne_u16_sdwa s[16:17], v18, v10 src0_sel:BYTE_0 src1_sel:DWORD
	v_mov_b32_e32 v22, 0
	v_mov_b32_e32 v21, 0
	s_and_saveexec_b64 s[0:1], s[16:17]
	s_cbranch_execz .LBB317_647
; %bb.642:                              ;   in Loop: Header=BB317_616 Depth=1
	v_cmp_ne_u16_sdwa s[18:19], v18, s28 src0_sel:BYTE_0 src1_sel:DWORD
	v_bfrev_b32_e32 v21, 1
	s_and_saveexec_b64 s[16:17], s[18:19]
	s_cbranch_execz .LBB317_646
; %bb.643:                              ;   in Loop: Header=BB317_616 Depth=1
	v_and_b32_e32 v19, 0x7f, v18
	v_cmp_ne_u32_e32 vcc, s29, v19
	v_mov_b32_e32 v21, 0x7f800001
	s_and_saveexec_b64 s[18:19], vcc
	s_cbranch_execz .LBB317_645
; %bb.644:                              ;   in Loop: Header=BB317_616 Depth=1
	v_and_b32_e32 v21, 7, v18
	v_ffbh_u32_e32 v21, v21
	v_min_u32_e32 v21, 32, v21
	v_lshrrev_b32_e32 v23, 3, v19
	v_subrev_u32_e32 v24, 28, v21
	v_sub_u32_e32 v21, 29, v21
	v_cmp_gt_u32_e32 vcc, 8, v19
	v_cndmask_b32_e32 v19, v23, v21, vcc
	v_cndmask_b32_e32 v21, 0, v24, vcc
	v_lshlrev_b64 v[23:24], v21, v[9:10]
	v_bfrev_b32_e32 v24, 60
	v_lshlrev_b32_e32 v21, 20, v23
	v_lshlrev_b32_e32 v23, 24, v9
	v_and_b32_e32 v21, 0x700000, v21
	v_and_b32_e32 v23, 0x80000000, v23
	v_lshl_add_u32 v19, v19, 23, v24
	v_or3_b32 v21, v23, v19, v21
.LBB317_645:                            ;   in Loop: Header=BB317_616 Depth=1
	s_or_b64 exec, exec, s[18:19]
.LBB317_646:                            ;   in Loop: Header=BB317_616 Depth=1
	s_or_b64 exec, exec, s[16:17]
.LBB317_647:                            ;   in Loop: Header=BB317_616 Depth=1
	s_or_b64 exec, exec, s[0:1]
	v_lshrrev_b16_e32 v19, 8, v9
	v_cmp_ne_u16_e32 vcc, 0, v19
	s_and_saveexec_b64 s[0:1], vcc
	s_cbranch_execz .LBB317_653
; %bb.648:                              ;   in Loop: Header=BB317_616 Depth=1
	v_cmp_ne_u16_e32 vcc, s28, v19
	v_bfrev_b32_e32 v22, 1
	s_and_saveexec_b64 s[16:17], vcc
	s_cbranch_execz .LBB317_652
; %bb.649:                              ;   in Loop: Header=BB317_616 Depth=1
	v_and_b32_e32 v23, 0x7f, v19
	v_cmp_ne_u32_e32 vcc, s29, v23
	v_mov_b32_e32 v22, 0x7f800001
	s_and_saveexec_b64 s[18:19], vcc
	s_cbranch_execz .LBB317_651
; %bb.650:                              ;   in Loop: Header=BB317_616 Depth=1
	v_and_b32_e32 v22, 7, v19
	v_ffbh_u32_e32 v24, v22
	v_min_u32_e32 v27, 32, v24
	v_subrev_u32_e32 v24, 28, v27
	v_lshlrev_b64 v[24:25], v24, v[19:20]
	v_lshrrev_b32_e32 v26, 3, v23
	v_sub_u32_e32 v19, 29, v27
	v_and_b32_e32 v24, 7, v24
	v_cmp_gt_u32_e32 vcc, 8, v23
	v_cndmask_b32_e32 v19, v26, v19, vcc
	v_cndmask_b32_e32 v22, v22, v24, vcc
	v_lshlrev_b32_e32 v9, 16, v9
	v_bfrev_b32_e32 v23, 60
	v_lshlrev_b32_e32 v22, 20, v22
	v_and_b32_e32 v9, 0x80000000, v9
	v_lshl_add_u32 v19, v19, 23, v23
	v_or3_b32 v22, v9, v19, v22
.LBB317_651:                            ;   in Loop: Header=BB317_616 Depth=1
	s_or_b64 exec, exec, s[18:19]
.LBB317_652:                            ;   in Loop: Header=BB317_616 Depth=1
	s_or_b64 exec, exec, s[16:17]
.LBB317_653:                            ;   in Loop: Header=BB317_616 Depth=1
	s_or_b64 exec, exec, s[0:1]
	v_lshrrev_b32_e32 v9, 16, v18
	v_cmp_ne_u16_sdwa s[16:17], v9, v10 src0_sel:BYTE_0 src1_sel:DWORD
	v_mov_b32_e32 v19, 0
	v_mov_b32_e32 v23, 0
	s_and_saveexec_b64 s[0:1], s[16:17]
	s_cbranch_execz .LBB317_659
; %bb.654:                              ;   in Loop: Header=BB317_616 Depth=1
	v_cmp_ne_u16_sdwa s[18:19], v9, s28 src0_sel:BYTE_0 src1_sel:DWORD
	v_bfrev_b32_e32 v23, 1
	s_and_saveexec_b64 s[16:17], s[18:19]
	s_cbranch_execz .LBB317_658
; %bb.655:                              ;   in Loop: Header=BB317_616 Depth=1
	v_bfe_u32 v24, v18, 16, 7
	v_cmp_ne_u32_e32 vcc, s29, v24
	v_mov_b32_e32 v23, 0x7f800001
	s_and_saveexec_b64 s[18:19], vcc
	s_cbranch_execz .LBB317_657
; %bb.656:                              ;   in Loop: Header=BB317_616 Depth=1
	v_and_b32_e32 v23, 7, v9
	v_ffbh_u32_e32 v25, v23
	v_min_u32_e32 v28, 32, v25
	v_subrev_u32_e32 v25, 28, v28
	v_lshlrev_b64 v[25:26], v25, v[9:10]
	v_lshrrev_b32_e32 v27, 3, v24
	v_sub_u32_e32 v26, 29, v28
	v_and_b32_e32 v25, 7, v25
	v_cmp_gt_u32_e32 vcc, 8, v24
	v_cndmask_b32_e32 v24, v27, v26, vcc
	v_cndmask_b32_e32 v23, v23, v25, vcc
	v_lshlrev_b32_e32 v9, 24, v9
	v_bfrev_b32_e32 v25, 60
	v_lshlrev_b32_e32 v23, 20, v23
	v_and_b32_e32 v9, 0x80000000, v9
	v_lshl_add_u32 v24, v24, 23, v25
	v_or3_b32 v23, v9, v24, v23
.LBB317_657:                            ;   in Loop: Header=BB317_616 Depth=1
	s_or_b64 exec, exec, s[18:19]
.LBB317_658:                            ;   in Loop: Header=BB317_616 Depth=1
	s_or_b64 exec, exec, s[16:17]
.LBB317_659:                            ;   in Loop: Header=BB317_616 Depth=1
	s_or_b64 exec, exec, s[0:1]
	v_cmp_lt_u64_e32 vcc, s[4:5], v[17:18]
	s_and_saveexec_b64 s[0:1], vcc
	s_cbranch_execz .LBB317_665
; %bb.660:                              ;   in Loop: Header=BB317_616 Depth=1
	v_lshrrev_b32_e32 v9, 24, v18
	v_cmp_ne_u32_e32 vcc, s28, v9
	v_bfrev_b32_e32 v19, 1
	s_and_saveexec_b64 s[16:17], vcc
	s_cbranch_execz .LBB317_664
; %bb.661:                              ;   in Loop: Header=BB317_616 Depth=1
	v_bfe_u32 v17, v18, 24, 7
	v_cmp_ne_u32_e32 vcc, s29, v17
	v_mov_b32_e32 v19, 0x7f800001
	s_and_saveexec_b64 s[18:19], vcc
	s_cbranch_execz .LBB317_663
; %bb.662:                              ;   in Loop: Header=BB317_616 Depth=1
	v_and_b32_e32 v24, 7, v9
	v_ffbh_u32_e32 v18, v24
	v_min_u32_e32 v26, 32, v18
	v_subrev_u32_e32 v18, 28, v26
	v_lshlrev_b64 v[18:19], v18, v[9:10]
	v_lshrrev_b32_e32 v25, 3, v17
	v_sub_u32_e32 v19, 29, v26
	v_and_b32_e32 v18, 7, v18
	v_cmp_gt_u32_e32 vcc, 8, v17
	v_cndmask_b32_e32 v17, v25, v19, vcc
	v_cndmask_b32_e32 v18, v24, v18, vcc
	v_lshlrev_b32_e32 v9, 24, v9
	v_bfrev_b32_e32 v19, 60
	v_lshlrev_b32_e32 v18, 20, v18
	v_and_b32_e32 v9, 0x80000000, v9
	v_lshl_add_u32 v17, v17, 23, v19
	v_or3_b32 v19, v9, v17, v18
.LBB317_663:                            ;   in Loop: Header=BB317_616 Depth=1
	s_or_b64 exec, exec, s[18:19]
.LBB317_664:                            ;   in Loop: Header=BB317_616 Depth=1
	s_or_b64 exec, exec, s[16:17]
.LBB317_665:                            ;   in Loop: Header=BB317_616 Depth=1
	s_or_b64 exec, exec, s[0:1]
	buffer_load_dword v9, off, s[60:63], 0 offset:4 ; 4-byte Folded Reload
	buffer_load_dword v17, off, s[60:63], 0 offset:348 ; 4-byte Folded Reload
	s_waitcnt lgkmcnt(0)
	v_mul_f32_e32 v0, s31, v0
	s_waitcnt vmcnt(0)
	v_add_u32_e32 v58, v17, v9
	buffer_load_dword v9, off, s[60:63], 0  ; 4-byte Folded Reload
	v_add_u32_e32 v63, 3, v58
	v_add_u32_e32 v62, 4, v58
	;; [unrolled: 1-line block ×5, first 2 shown]
	s_waitcnt vmcnt(0)
	v_cmp_eq_u32_e64 s[0:1], s35, v9
	v_mul_f32_e32 v9, s31, v22
	v_bfe_u32 v17, v9, 16, 1
	v_add3_u32 v17, v17, v9, s30
	v_or_b32_e32 v18, 0x400000, v9
	v_cmp_u_f32_e32 vcc, v9, v9
	v_cndmask_b32_e32 v9, v17, v18, vcc
	v_lshrrev_b32_e32 v9, 16, v9
	buffer_store_dword v9, off, s[60:63], 0 offset:8 ; 4-byte Folded Spill
	v_mul_f32_e32 v9, s31, v21
	v_bfe_u32 v17, v9, 16, 1
	v_add3_u32 v17, v17, v9, s30
	v_or_b32_e32 v18, 0x400000, v9
	v_cmp_u_f32_e32 vcc, v9, v9
	v_cndmask_b32_e32 v9, v17, v18, vcc
	v_lshrrev_b32_e32 v9, 16, v9
	buffer_store_dword v9, off, s[60:63], 0 offset:12 ; 4-byte Folded Spill
	;; [unrolled: 8-line block ×5, first 2 shown]
	v_bfe_u32 v9, v0, 16, 1
	v_add3_u32 v9, v9, v0, s30
	v_or_b32_e32 v11, 0x400000, v0
	v_cmp_u_f32_e32 vcc, v0, v0
	v_cndmask_b32_e32 v0, v9, v11, vcc
	v_lshrrev_b32_e32 v0, 16, v0
	buffer_store_dword v0, off, s[60:63], 0 offset:36 ; 4-byte Folded Spill
	v_mul_f32_e32 v0, s31, v23
	v_bfe_u32 v9, v0, 16, 1
	v_add3_u32 v9, v9, v0, s30
	v_or_b32_e32 v11, 0x400000, v0
	v_cmp_u_f32_e32 vcc, v0, v0
	v_cndmask_b32_e32 v0, v9, v11, vcc
	v_lshrrev_b32_e32 v0, 16, v0
	buffer_store_dword v0, off, s[60:63], 0 offset:16 ; 4-byte Folded Spill
	v_mul_f32_e32 v0, s31, v19
	v_bfe_u32 v9, v0, 16, 1
	v_add3_u32 v9, v9, v0, s30
	v_or_b32_e32 v11, 0x400000, v0
	v_cmp_u_f32_e32 vcc, v0, v0
	v_cndmask_b32_e32 v0, v9, v11, vcc
	v_lshrrev_b32_e32 v0, 16, v0
	v_add_u32_e32 v20, 1, v58
	v_add_u32_e32 v23, 2, v58
	buffer_store_dword v0, off, s[60:63], 0 offset:28 ; 4-byte Folded Spill
	s_and_saveexec_b64 s[16:17], s[0:1]
	s_cbranch_execz .LBB317_667
; %bb.666:                              ;   in Loop: Header=BB317_616 Depth=1
	buffer_load_dword v0, off, s[60:63], 0 offset:36 ; 4-byte Folded Reload
	v_cmp_gt_i32_e32 vcc, s33, v58
	s_waitcnt vmcnt(0)
	v_cndmask_b32_e32 v0, 0, v0, vcc
	buffer_store_dword v0, off, s[60:63], 0 offset:36 ; 4-byte Folded Spill
	buffer_load_dword v0, off, s[60:63], 0 offset:32 ; 4-byte Folded Reload
	v_cmp_gt_i32_e32 vcc, s33, v20
	s_waitcnt vmcnt(0)
	v_cndmask_b32_e32 v0, 0, v0, vcc
	buffer_store_dword v0, off, s[60:63], 0 offset:32 ; 4-byte Folded Spill
	;; [unrolled: 5-line block ×8, first 2 shown]
.LBB317_667:                            ;   in Loop: Header=BB317_616 Depth=1
	s_or_b64 exec, exec, s[16:17]
	global_load_dwordx2 v[17:18], v[15:16], off offset:512
	v_mov_b32_e32 v11, 0
	v_mov_b32_e32 v0, 0
	s_waitcnt vmcnt(0)
	v_cmp_ne_u16_sdwa s[18:19], v17, v10 src0_sel:BYTE_0 src1_sel:DWORD
	s_and_saveexec_b64 s[16:17], s[18:19]
	s_cbranch_execz .LBB317_673
; %bb.668:                              ;   in Loop: Header=BB317_616 Depth=1
	v_cmp_ne_u16_sdwa s[20:21], v17, s28 src0_sel:BYTE_0 src1_sel:DWORD
	v_bfrev_b32_e32 v0, 1
	s_and_saveexec_b64 s[18:19], s[20:21]
	s_cbranch_execz .LBB317_672
; %bb.669:                              ;   in Loop: Header=BB317_616 Depth=1
	v_and_b32_e32 v9, 0x7f, v17
	v_cmp_ne_u32_e32 vcc, s29, v9
	v_mov_b32_e32 v0, 0x7f800001
	s_and_saveexec_b64 s[20:21], vcc
	s_cbranch_execz .LBB317_671
; %bb.670:                              ;   in Loop: Header=BB317_616 Depth=1
	v_and_b32_e32 v0, 7, v17
	v_ffbh_u32_e32 v0, v0
	v_min_u32_e32 v0, 32, v0
	v_subrev_u32_e32 v19, 28, v0
	v_cmp_gt_u32_e32 vcc, 8, v9
	v_lshrrev_b32_e32 v12, 3, v9
	v_cndmask_b32_e32 v9, 0, v19, vcc
	v_lshlrev_b64 v[21:22], v9, v[17:18]
	v_sub_u32_e32 v0, 29, v0
	v_cndmask_b32_e32 v0, v12, v0, vcc
	v_lshlrev_b32_e32 v9, 20, v21
	v_lshlrev_b32_e32 v12, 24, v17
	v_bfrev_b32_e32 v19, 60
	v_and_b32_e32 v9, 0x700000, v9
	v_and_b32_e32 v12, 0x80000000, v12
	v_lshl_add_u32 v0, v0, 23, v19
	v_or3_b32 v0, v12, v0, v9
.LBB317_671:                            ;   in Loop: Header=BB317_616 Depth=1
	s_or_b64 exec, exec, s[20:21]
.LBB317_672:                            ;   in Loop: Header=BB317_616 Depth=1
	s_or_b64 exec, exec, s[18:19]
.LBB317_673:                            ;   in Loop: Header=BB317_616 Depth=1
	s_or_b64 exec, exec, s[16:17]
	v_lshrrev_b16_e32 v9, 8, v17
	v_cmp_ne_u16_e32 vcc, 0, v9
	s_and_saveexec_b64 s[16:17], vcc
	s_cbranch_execz .LBB317_679
; %bb.674:                              ;   in Loop: Header=BB317_616 Depth=1
	v_cmp_ne_u16_e32 vcc, s28, v9
	v_bfrev_b32_e32 v11, 1
	s_and_saveexec_b64 s[18:19], vcc
	s_cbranch_execz .LBB317_678
; %bb.675:                              ;   in Loop: Header=BB317_616 Depth=1
	v_and_b32_e32 v12, 0x7f, v9
	v_cmp_ne_u32_e32 vcc, s29, v12
	v_mov_b32_e32 v11, 0x7f800001
	s_and_saveexec_b64 s[20:21], vcc
	s_cbranch_execz .LBB317_677
; %bb.676:                              ;   in Loop: Header=BB317_616 Depth=1
	v_and_b32_e32 v19, 7, v9
	v_ffbh_u32_e32 v11, v19
	v_min_u32_e32 v22, 32, v11
	v_subrev_u32_e32 v11, 28, v22
	v_lshrrev_b32_e32 v21, 3, v12
	v_cmp_gt_u32_e32 vcc, 8, v12
	v_lshlrev_b64 v[11:12], v11, v[9:10]
	v_sub_u32_e32 v9, 29, v22
	v_and_b32_e32 v11, 7, v11
	v_cndmask_b32_e32 v9, v21, v9, vcc
	v_cndmask_b32_e32 v11, v19, v11, vcc
	v_lshlrev_b32_e32 v12, 16, v17
	v_bfrev_b32_e32 v19, 60
	v_lshlrev_b32_e32 v11, 20, v11
	v_and_b32_e32 v12, 0x80000000, v12
	v_lshl_add_u32 v9, v9, 23, v19
	v_or3_b32 v11, v12, v9, v11
.LBB317_677:                            ;   in Loop: Header=BB317_616 Depth=1
	s_or_b64 exec, exec, s[20:21]
.LBB317_678:                            ;   in Loop: Header=BB317_616 Depth=1
	s_or_b64 exec, exec, s[18:19]
.LBB317_679:                            ;   in Loop: Header=BB317_616 Depth=1
	s_or_b64 exec, exec, s[16:17]
	v_lshrrev_b32_e32 v9, 16, v17
	v_cmp_ne_u16_sdwa s[18:19], v9, v10 src0_sel:BYTE_0 src1_sel:DWORD
	v_mov_b32_e32 v21, 0
	v_mov_b32_e32 v12, 0
	s_and_saveexec_b64 s[16:17], s[18:19]
	s_cbranch_execz .LBB317_685
; %bb.680:                              ;   in Loop: Header=BB317_616 Depth=1
	v_cmp_ne_u16_sdwa s[20:21], v9, s28 src0_sel:BYTE_0 src1_sel:DWORD
	v_bfrev_b32_e32 v12, 1
	s_and_saveexec_b64 s[18:19], s[20:21]
	s_cbranch_execz .LBB317_684
; %bb.681:                              ;   in Loop: Header=BB317_616 Depth=1
	v_bfe_u32 v19, v17, 16, 7
	v_cmp_ne_u32_e32 vcc, s29, v19
	v_mov_b32_e32 v12, 0x7f800001
	s_and_saveexec_b64 s[20:21], vcc
	s_cbranch_execz .LBB317_683
; %bb.682:                              ;   in Loop: Header=BB317_616 Depth=1
	v_and_b32_e32 v12, 7, v9
	v_lshrrev_b32_e32 v22, 3, v19
	v_cmp_gt_u32_e32 vcc, 8, v19
	v_ffbh_u32_e32 v19, v12
	v_min_u32_e32 v19, 32, v19
	v_subrev_u32_e32 v24, 28, v19
	v_lshlrev_b64 v[24:25], v24, v[9:10]
	v_sub_u32_e32 v19, 29, v19
	v_and_b32_e32 v24, 7, v24
	v_cndmask_b32_e32 v19, v22, v19, vcc
	v_cndmask_b32_e32 v12, v12, v24, vcc
	v_lshlrev_b32_e32 v9, 24, v9
	v_bfrev_b32_e32 v22, 60
	v_lshlrev_b32_e32 v12, 20, v12
	v_and_b32_e32 v9, 0x80000000, v9
	v_lshl_add_u32 v19, v19, 23, v22
	v_or3_b32 v12, v9, v19, v12
.LBB317_683:                            ;   in Loop: Header=BB317_616 Depth=1
	s_or_b64 exec, exec, s[20:21]
.LBB317_684:                            ;   in Loop: Header=BB317_616 Depth=1
	s_or_b64 exec, exec, s[18:19]
.LBB317_685:                            ;   in Loop: Header=BB317_616 Depth=1
	s_or_b64 exec, exec, s[16:17]
	v_cmp_lt_u32_e32 vcc, s5, v17
	s_and_saveexec_b64 s[16:17], vcc
	s_cbranch_execz .LBB317_691
; %bb.686:                              ;   in Loop: Header=BB317_616 Depth=1
	v_lshrrev_b32_e32 v9, 24, v17
	v_cmp_ne_u32_e32 vcc, s28, v9
	v_bfrev_b32_e32 v21, 1
	s_and_saveexec_b64 s[18:19], vcc
	s_cbranch_execz .LBB317_690
; %bb.687:                              ;   in Loop: Header=BB317_616 Depth=1
	v_bfe_u32 v19, v17, 24, 7
	v_cmp_ne_u32_e32 vcc, s29, v19
	v_mov_b32_e32 v21, 0x7f800001
	s_and_saveexec_b64 s[20:21], vcc
	s_cbranch_execz .LBB317_689
; %bb.688:                              ;   in Loop: Header=BB317_616 Depth=1
	v_and_b32_e32 v24, 7, v9
	v_lshrrev_b32_e32 v25, 3, v19
	v_cmp_gt_u32_e32 vcc, 8, v19
	v_ffbh_u32_e32 v19, v24
	v_min_u32_e32 v19, 32, v19
	v_subrev_u32_e32 v21, 28, v19
	v_lshlrev_b64 v[21:22], v21, v[9:10]
	v_sub_u32_e32 v19, 29, v19
	v_and_b32_e32 v21, 7, v21
	v_cndmask_b32_e32 v19, v25, v19, vcc
	v_cndmask_b32_e32 v21, v24, v21, vcc
	v_lshlrev_b32_e32 v9, 24, v9
	v_bfrev_b32_e32 v22, 60
	v_lshlrev_b32_e32 v21, 20, v21
	v_and_b32_e32 v9, 0x80000000, v9
	v_lshl_add_u32 v19, v19, 23, v22
	v_or3_b32 v21, v9, v19, v21
.LBB317_689:                            ;   in Loop: Header=BB317_616 Depth=1
	s_or_b64 exec, exec, s[20:21]
.LBB317_690:                            ;   in Loop: Header=BB317_616 Depth=1
	s_or_b64 exec, exec, s[18:19]
.LBB317_691:                            ;   in Loop: Header=BB317_616 Depth=1
	s_or_b64 exec, exec, s[16:17]
	v_mov_b32_e32 v9, v18
	v_cmp_ne_u16_sdwa s[18:19], v18, v10 src0_sel:BYTE_0 src1_sel:DWORD
	v_mov_b32_e32 v24, 0
	v_mov_b32_e32 v22, 0
	s_and_saveexec_b64 s[16:17], s[18:19]
	s_cbranch_execz .LBB317_697
; %bb.692:                              ;   in Loop: Header=BB317_616 Depth=1
	v_cmp_ne_u16_sdwa s[20:21], v18, s28 src0_sel:BYTE_0 src1_sel:DWORD
	v_bfrev_b32_e32 v22, 1
	s_and_saveexec_b64 s[18:19], s[20:21]
	s_cbranch_execz .LBB317_696
; %bb.693:                              ;   in Loop: Header=BB317_616 Depth=1
	v_and_b32_e32 v19, 0x7f, v18
	v_cmp_ne_u32_e32 vcc, s29, v19
	v_mov_b32_e32 v22, 0x7f800001
	s_and_saveexec_b64 s[20:21], vcc
	s_cbranch_execz .LBB317_695
; %bb.694:                              ;   in Loop: Header=BB317_616 Depth=1
	v_and_b32_e32 v22, 7, v18
	v_lshrrev_b32_e32 v25, 3, v19
	v_cmp_gt_u32_e32 vcc, 8, v19
	v_ffbh_u32_e32 v19, v22
	v_min_u32_e32 v19, 32, v19
	v_subrev_u32_e32 v22, 28, v19
	v_sub_u32_e32 v19, 29, v19
	v_cndmask_b32_e32 v22, 0, v22, vcc
	v_cndmask_b32_e32 v19, v25, v19, vcc
	v_lshlrev_b64 v[25:26], v22, v[9:10]
	v_bfrev_b32_e32 v26, 60
	v_lshlrev_b32_e32 v22, 20, v25
	v_lshlrev_b32_e32 v25, 24, v9
	v_and_b32_e32 v22, 0x700000, v22
	v_and_b32_e32 v25, 0x80000000, v25
	v_lshl_add_u32 v19, v19, 23, v26
	v_or3_b32 v22, v25, v19, v22
.LBB317_695:                            ;   in Loop: Header=BB317_616 Depth=1
	s_or_b64 exec, exec, s[20:21]
.LBB317_696:                            ;   in Loop: Header=BB317_616 Depth=1
	s_or_b64 exec, exec, s[18:19]
.LBB317_697:                            ;   in Loop: Header=BB317_616 Depth=1
	s_or_b64 exec, exec, s[16:17]
	v_lshrrev_b16_e32 v19, 8, v9
	v_cmp_ne_u16_e32 vcc, 0, v19
	s_and_saveexec_b64 s[16:17], vcc
	s_cbranch_execz .LBB317_703
; %bb.698:                              ;   in Loop: Header=BB317_616 Depth=1
	v_cmp_ne_u16_e32 vcc, s28, v19
	v_bfrev_b32_e32 v24, 1
	s_and_saveexec_b64 s[18:19], vcc
	s_cbranch_execz .LBB317_702
; %bb.699:                              ;   in Loop: Header=BB317_616 Depth=1
	v_and_b32_e32 v25, 0x7f, v19
	v_cmp_ne_u32_e32 vcc, s29, v25
	v_mov_b32_e32 v24, 0x7f800001
	s_and_saveexec_b64 s[20:21], vcc
	s_cbranch_execz .LBB317_701
; %bb.700:                              ;   in Loop: Header=BB317_616 Depth=1
	v_and_b32_e32 v26, 7, v19
	v_ffbh_u32_e32 v24, v26
	v_min_u32_e32 v28, 32, v24
	v_subrev_u32_e32 v24, 28, v28
	v_lshrrev_b32_e32 v27, 3, v25
	v_cmp_gt_u32_e32 vcc, 8, v25
	v_lshlrev_b64 v[24:25], v24, v[19:20]
	v_sub_u32_e32 v19, 29, v28
	v_and_b32_e32 v24, 7, v24
	v_cndmask_b32_e32 v19, v27, v19, vcc
	v_cndmask_b32_e32 v24, v26, v24, vcc
	v_lshlrev_b32_e32 v9, 16, v9
	v_bfrev_b32_e32 v25, 60
	v_lshlrev_b32_e32 v24, 20, v24
	v_and_b32_e32 v9, 0x80000000, v9
	v_lshl_add_u32 v19, v19, 23, v25
	v_or3_b32 v24, v9, v19, v24
.LBB317_701:                            ;   in Loop: Header=BB317_616 Depth=1
	s_or_b64 exec, exec, s[20:21]
.LBB317_702:                            ;   in Loop: Header=BB317_616 Depth=1
	s_or_b64 exec, exec, s[18:19]
.LBB317_703:                            ;   in Loop: Header=BB317_616 Depth=1
	s_or_b64 exec, exec, s[16:17]
	v_lshrrev_b32_e32 v9, 16, v18
	v_cmp_ne_u16_sdwa s[18:19], v9, v10 src0_sel:BYTE_0 src1_sel:DWORD
	v_mov_b32_e32 v19, 0
	v_mov_b32_e32 v25, 0
	s_and_saveexec_b64 s[16:17], s[18:19]
	s_cbranch_execz .LBB317_709
; %bb.704:                              ;   in Loop: Header=BB317_616 Depth=1
	v_cmp_ne_u16_sdwa s[20:21], v9, s28 src0_sel:BYTE_0 src1_sel:DWORD
	v_bfrev_b32_e32 v25, 1
	s_and_saveexec_b64 s[18:19], s[20:21]
	s_cbranch_execz .LBB317_708
; %bb.705:                              ;   in Loop: Header=BB317_616 Depth=1
	v_bfe_u32 v26, v18, 16, 7
	v_cmp_ne_u32_e32 vcc, s29, v26
	v_mov_b32_e32 v25, 0x7f800001
	s_and_saveexec_b64 s[20:21], vcc
	s_cbranch_execz .LBB317_707
; %bb.706:                              ;   in Loop: Header=BB317_616 Depth=1
	v_and_b32_e32 v27, 7, v9
	v_ffbh_u32_e32 v25, v27
	v_min_u32_e32 v29, 32, v25
	v_subrev_u32_e32 v25, 28, v29
	v_lshrrev_b32_e32 v28, 3, v26
	v_cmp_gt_u32_e32 vcc, 8, v26
	v_lshlrev_b64 v[25:26], v25, v[9:10]
	v_sub_u32_e32 v26, 29, v29
	v_and_b32_e32 v25, 7, v25
	v_cndmask_b32_e32 v26, v28, v26, vcc
	v_cndmask_b32_e32 v25, v27, v25, vcc
	v_lshlrev_b32_e32 v9, 24, v9
	v_bfrev_b32_e32 v27, 60
	v_lshlrev_b32_e32 v25, 20, v25
	v_and_b32_e32 v9, 0x80000000, v9
	v_lshl_add_u32 v26, v26, 23, v27
	v_or3_b32 v25, v9, v26, v25
.LBB317_707:                            ;   in Loop: Header=BB317_616 Depth=1
	s_or_b64 exec, exec, s[20:21]
.LBB317_708:                            ;   in Loop: Header=BB317_616 Depth=1
	s_or_b64 exec, exec, s[18:19]
.LBB317_709:                            ;   in Loop: Header=BB317_616 Depth=1
	s_or_b64 exec, exec, s[16:17]
	v_cmp_lt_u64_e32 vcc, s[4:5], v[17:18]
	s_and_saveexec_b64 s[16:17], vcc
	s_cbranch_execz .LBB317_715
; %bb.710:                              ;   in Loop: Header=BB317_616 Depth=1
	v_lshrrev_b32_e32 v9, 24, v18
	v_cmp_ne_u32_e32 vcc, s28, v9
	v_bfrev_b32_e32 v19, 1
	s_and_saveexec_b64 s[18:19], vcc
	s_cbranch_execz .LBB317_714
; %bb.711:                              ;   in Loop: Header=BB317_616 Depth=1
	v_bfe_u32 v17, v18, 24, 7
	v_cmp_ne_u32_e32 vcc, s29, v17
	v_mov_b32_e32 v19, 0x7f800001
	s_and_saveexec_b64 s[20:21], vcc
	s_cbranch_execz .LBB317_713
; %bb.712:                              ;   in Loop: Header=BB317_616 Depth=1
	v_and_b32_e32 v19, 7, v9
	v_lshrrev_b32_e32 v26, 3, v17
	v_cmp_gt_u32_e32 vcc, 8, v17
	v_ffbh_u32_e32 v17, v19
	v_min_u32_e32 v27, 32, v17
	v_subrev_u32_e32 v17, 28, v27
	v_lshlrev_b64 v[17:18], v17, v[9:10]
	v_sub_u32_e32 v18, 29, v27
	v_and_b32_e32 v17, 7, v17
	v_cndmask_b32_e32 v18, v26, v18, vcc
	v_cndmask_b32_e32 v17, v19, v17, vcc
	v_lshlrev_b32_e32 v9, 24, v9
	v_bfrev_b32_e32 v19, 60
	v_lshlrev_b32_e32 v17, 20, v17
	v_and_b32_e32 v9, 0x80000000, v9
	v_lshl_add_u32 v18, v18, 23, v19
	v_or3_b32 v19, v9, v18, v17
.LBB317_713:                            ;   in Loop: Header=BB317_616 Depth=1
	s_or_b64 exec, exec, s[20:21]
.LBB317_714:                            ;   in Loop: Header=BB317_616 Depth=1
	s_or_b64 exec, exec, s[18:19]
.LBB317_715:                            ;   in Loop: Header=BB317_616 Depth=1
	s_or_b64 exec, exec, s[16:17]
	v_mul_f32_e32 v9, s31, v24
	v_bfe_u32 v17, v9, 16, 1
	v_add3_u32 v17, v17, v9, s30
	v_or_b32_e32 v18, 0x400000, v9
	v_cmp_u_f32_e32 vcc, v9, v9
	v_cndmask_b32_e32 v9, v17, v18, vcc
	v_lshrrev_b32_e32 v9, 16, v9
	buffer_store_dword v9, off, s[60:63], 0 offset:40 ; 4-byte Folded Spill
	v_mul_f32_e32 v9, s31, v22
	v_bfe_u32 v17, v9, 16, 1
	v_add3_u32 v17, v17, v9, s30
	v_or_b32_e32 v18, 0x400000, v9
	v_cmp_u_f32_e32 vcc, v9, v9
	v_cndmask_b32_e32 v9, v17, v18, vcc
	v_lshrrev_b32_e32 v9, 16, v9
	buffer_store_dword v9, off, s[60:63], 0 offset:44 ; 4-byte Folded Spill
	;; [unrolled: 8-line block ×4, first 2 shown]
	v_mul_f32_e32 v9, s31, v11
	v_bfe_u32 v11, v9, 16, 1
	v_add3_u32 v11, v11, v9, s30
	v_or_b32_e32 v12, 0x400000, v9
	v_cmp_u_f32_e32 vcc, v9, v9
	v_cndmask_b32_e32 v9, v11, v12, vcc
	v_lshrrev_b32_e32 v9, 16, v9
	v_mul_f32_e32 v0, s31, v0
	buffer_store_dword v9, off, s[60:63], 0 offset:64 ; 4-byte Folded Spill
	v_bfe_u32 v9, v0, 16, 1
	v_add3_u32 v9, v9, v0, s30
	v_or_b32_e32 v11, 0x400000, v0
	v_cmp_u_f32_e32 vcc, v0, v0
	v_cndmask_b32_e32 v0, v9, v11, vcc
	v_lshrrev_b32_e32 v0, 16, v0
	buffer_store_dword v0, off, s[60:63], 0 offset:68 ; 4-byte Folded Spill
	v_mul_f32_e32 v0, s31, v25
	v_bfe_u32 v9, v0, 16, 1
	v_add3_u32 v9, v9, v0, s30
	v_or_b32_e32 v11, 0x400000, v0
	v_cmp_u_f32_e32 vcc, v0, v0
	v_cndmask_b32_e32 v0, v9, v11, vcc
	v_lshrrev_b32_e32 v0, 16, v0
	buffer_store_dword v0, off, s[60:63], 0 offset:48 ; 4-byte Folded Spill
	v_mul_f32_e32 v0, s31, v19
	v_bfe_u32 v9, v0, 16, 1
	v_add3_u32 v9, v9, v0, s30
	v_or_b32_e32 v11, 0x400000, v0
	v_cmp_u_f32_e32 vcc, v0, v0
	v_cndmask_b32_e32 v0, v9, v11, vcc
	v_lshrrev_b32_e32 v0, 16, v0
	buffer_store_dword v0, off, s[60:63], 0 offset:60 ; 4-byte Folded Spill
	s_and_saveexec_b64 s[16:17], s[0:1]
	s_cbranch_execz .LBB317_717
; %bb.716:                              ;   in Loop: Header=BB317_616 Depth=1
	buffer_load_dword v0, off, s[60:63], 0 offset:68 ; 4-byte Folded Reload
	v_cmp_gt_i32_e32 vcc, s33, v58
	s_waitcnt vmcnt(0)
	v_cndmask_b32_e32 v0, 0, v0, vcc
	buffer_store_dword v0, off, s[60:63], 0 offset:68 ; 4-byte Folded Spill
	buffer_load_dword v0, off, s[60:63], 0 offset:64 ; 4-byte Folded Reload
	v_cmp_gt_i32_e32 vcc, s33, v20
	s_waitcnt vmcnt(0)
	v_cndmask_b32_e32 v0, 0, v0, vcc
	buffer_store_dword v0, off, s[60:63], 0 offset:64 ; 4-byte Folded Spill
	;; [unrolled: 5-line block ×8, first 2 shown]
.LBB317_717:                            ;   in Loop: Header=BB317_616 Depth=1
	s_or_b64 exec, exec, s[16:17]
	global_load_dwordx2 v[17:18], v[15:16], off offset:1024
	v_mov_b32_e32 v11, 0
	v_mov_b32_e32 v0, 0
	s_waitcnt vmcnt(0)
	v_cmp_ne_u16_sdwa s[18:19], v17, v10 src0_sel:BYTE_0 src1_sel:DWORD
	s_and_saveexec_b64 s[16:17], s[18:19]
	s_cbranch_execz .LBB317_723
; %bb.718:                              ;   in Loop: Header=BB317_616 Depth=1
	v_cmp_ne_u16_sdwa s[20:21], v17, s28 src0_sel:BYTE_0 src1_sel:DWORD
	v_bfrev_b32_e32 v0, 1
	s_and_saveexec_b64 s[18:19], s[20:21]
	s_cbranch_execz .LBB317_722
; %bb.719:                              ;   in Loop: Header=BB317_616 Depth=1
	v_and_b32_e32 v9, 0x7f, v17
	v_cmp_ne_u32_e32 vcc, s29, v9
	v_mov_b32_e32 v0, 0x7f800001
	s_and_saveexec_b64 s[20:21], vcc
	s_cbranch_execz .LBB317_721
; %bb.720:                              ;   in Loop: Header=BB317_616 Depth=1
	v_and_b32_e32 v0, 7, v17
	v_ffbh_u32_e32 v0, v0
	v_min_u32_e32 v0, 32, v0
	v_lshrrev_b32_e32 v12, 3, v9
	v_cmp_gt_u32_e32 vcc, 8, v9
	v_subrev_u32_e32 v9, 28, v0
	v_cndmask_b32_e32 v9, 0, v9, vcc
	v_lshlrev_b64 v[21:22], v9, v[17:18]
	v_sub_u32_e32 v0, 29, v0
	v_cndmask_b32_e32 v0, v12, v0, vcc
	v_lshlrev_b32_e32 v9, 20, v21
	v_lshlrev_b32_e32 v12, 24, v17
	v_bfrev_b32_e32 v19, 60
	v_and_b32_e32 v9, 0x700000, v9
	v_and_b32_e32 v12, 0x80000000, v12
	v_lshl_add_u32 v0, v0, 23, v19
	v_or3_b32 v0, v12, v0, v9
.LBB317_721:                            ;   in Loop: Header=BB317_616 Depth=1
	s_or_b64 exec, exec, s[20:21]
.LBB317_722:                            ;   in Loop: Header=BB317_616 Depth=1
	s_or_b64 exec, exec, s[18:19]
.LBB317_723:                            ;   in Loop: Header=BB317_616 Depth=1
	s_or_b64 exec, exec, s[16:17]
	v_lshrrev_b16_e32 v9, 8, v17
	v_cmp_ne_u16_e32 vcc, 0, v9
	s_and_saveexec_b64 s[16:17], vcc
	s_cbranch_execz .LBB317_729
; %bb.724:                              ;   in Loop: Header=BB317_616 Depth=1
	v_cmp_ne_u16_e32 vcc, s28, v9
	v_bfrev_b32_e32 v11, 1
	s_and_saveexec_b64 s[18:19], vcc
	s_cbranch_execz .LBB317_728
; %bb.725:                              ;   in Loop: Header=BB317_616 Depth=1
	v_and_b32_e32 v12, 0x7f, v9
	v_cmp_ne_u32_e32 vcc, s29, v12
	v_mov_b32_e32 v11, 0x7f800001
	s_and_saveexec_b64 s[20:21], vcc
	s_cbranch_execz .LBB317_727
; %bb.726:                              ;   in Loop: Header=BB317_616 Depth=1
	v_and_b32_e32 v19, 7, v9
	v_ffbh_u32_e32 v11, v19
	v_min_u32_e32 v22, 32, v11
	v_subrev_u32_e32 v11, 28, v22
	v_lshrrev_b32_e32 v21, 3, v12
	v_cmp_gt_u32_e32 vcc, 8, v12
	v_lshlrev_b64 v[11:12], v11, v[9:10]
	v_sub_u32_e32 v9, 29, v22
	v_and_b32_e32 v11, 7, v11
	v_cndmask_b32_e32 v9, v21, v9, vcc
	v_cndmask_b32_e32 v11, v19, v11, vcc
	v_lshlrev_b32_e32 v12, 16, v17
	v_bfrev_b32_e32 v19, 60
	v_lshlrev_b32_e32 v11, 20, v11
	v_and_b32_e32 v12, 0x80000000, v12
	v_lshl_add_u32 v9, v9, 23, v19
	v_or3_b32 v11, v12, v9, v11
.LBB317_727:                            ;   in Loop: Header=BB317_616 Depth=1
	s_or_b64 exec, exec, s[20:21]
.LBB317_728:                            ;   in Loop: Header=BB317_616 Depth=1
	s_or_b64 exec, exec, s[18:19]
.LBB317_729:                            ;   in Loop: Header=BB317_616 Depth=1
	s_or_b64 exec, exec, s[16:17]
	v_lshrrev_b32_e32 v9, 16, v17
	v_cmp_ne_u16_sdwa s[18:19], v9, v10 src0_sel:BYTE_0 src1_sel:DWORD
	v_mov_b32_e32 v21, 0
	v_mov_b32_e32 v12, 0
	s_and_saveexec_b64 s[16:17], s[18:19]
	s_cbranch_execz .LBB317_735
; %bb.730:                              ;   in Loop: Header=BB317_616 Depth=1
	v_cmp_ne_u16_sdwa s[20:21], v9, s28 src0_sel:BYTE_0 src1_sel:DWORD
	v_bfrev_b32_e32 v12, 1
	s_and_saveexec_b64 s[18:19], s[20:21]
	s_cbranch_execz .LBB317_734
; %bb.731:                              ;   in Loop: Header=BB317_616 Depth=1
	v_bfe_u32 v19, v17, 16, 7
	v_cmp_ne_u32_e32 vcc, s29, v19
	v_mov_b32_e32 v12, 0x7f800001
	s_and_saveexec_b64 s[20:21], vcc
	s_cbranch_execz .LBB317_733
; %bb.732:                              ;   in Loop: Header=BB317_616 Depth=1
	v_and_b32_e32 v12, 7, v9
	v_lshrrev_b32_e32 v22, 3, v19
	v_cmp_gt_u32_e32 vcc, 8, v19
	v_ffbh_u32_e32 v19, v12
	v_min_u32_e32 v19, 32, v19
	v_subrev_u32_e32 v24, 28, v19
	v_lshlrev_b64 v[24:25], v24, v[9:10]
	v_sub_u32_e32 v19, 29, v19
	v_and_b32_e32 v24, 7, v24
	v_cndmask_b32_e32 v19, v22, v19, vcc
	v_cndmask_b32_e32 v12, v12, v24, vcc
	v_lshlrev_b32_e32 v9, 24, v9
	v_bfrev_b32_e32 v22, 60
	v_lshlrev_b32_e32 v12, 20, v12
	v_and_b32_e32 v9, 0x80000000, v9
	v_lshl_add_u32 v19, v19, 23, v22
	v_or3_b32 v12, v9, v19, v12
.LBB317_733:                            ;   in Loop: Header=BB317_616 Depth=1
	s_or_b64 exec, exec, s[20:21]
.LBB317_734:                            ;   in Loop: Header=BB317_616 Depth=1
	s_or_b64 exec, exec, s[18:19]
.LBB317_735:                            ;   in Loop: Header=BB317_616 Depth=1
	s_or_b64 exec, exec, s[16:17]
	v_cmp_lt_u32_e32 vcc, s5, v17
	s_and_saveexec_b64 s[16:17], vcc
	s_cbranch_execz .LBB317_741
; %bb.736:                              ;   in Loop: Header=BB317_616 Depth=1
	v_lshrrev_b32_e32 v9, 24, v17
	v_cmp_ne_u32_e32 vcc, s28, v9
	v_bfrev_b32_e32 v21, 1
	s_and_saveexec_b64 s[18:19], vcc
	s_cbranch_execz .LBB317_740
; %bb.737:                              ;   in Loop: Header=BB317_616 Depth=1
	v_bfe_u32 v19, v17, 24, 7
	v_cmp_ne_u32_e32 vcc, s29, v19
	v_mov_b32_e32 v21, 0x7f800001
	s_and_saveexec_b64 s[20:21], vcc
	s_cbranch_execz .LBB317_739
; %bb.738:                              ;   in Loop: Header=BB317_616 Depth=1
	v_and_b32_e32 v24, 7, v9
	v_lshrrev_b32_e32 v25, 3, v19
	v_cmp_gt_u32_e32 vcc, 8, v19
	v_ffbh_u32_e32 v19, v24
	v_min_u32_e32 v19, 32, v19
	v_subrev_u32_e32 v21, 28, v19
	v_lshlrev_b64 v[21:22], v21, v[9:10]
	v_sub_u32_e32 v19, 29, v19
	v_and_b32_e32 v21, 7, v21
	v_cndmask_b32_e32 v19, v25, v19, vcc
	v_cndmask_b32_e32 v21, v24, v21, vcc
	v_lshlrev_b32_e32 v9, 24, v9
	v_bfrev_b32_e32 v22, 60
	v_lshlrev_b32_e32 v21, 20, v21
	v_and_b32_e32 v9, 0x80000000, v9
	v_lshl_add_u32 v19, v19, 23, v22
	v_or3_b32 v21, v9, v19, v21
.LBB317_739:                            ;   in Loop: Header=BB317_616 Depth=1
	s_or_b64 exec, exec, s[20:21]
.LBB317_740:                            ;   in Loop: Header=BB317_616 Depth=1
	s_or_b64 exec, exec, s[18:19]
.LBB317_741:                            ;   in Loop: Header=BB317_616 Depth=1
	s_or_b64 exec, exec, s[16:17]
	v_mov_b32_e32 v9, v18
	v_cmp_ne_u16_sdwa s[18:19], v18, v10 src0_sel:BYTE_0 src1_sel:DWORD
	v_mov_b32_e32 v24, 0
	v_mov_b32_e32 v22, 0
	s_and_saveexec_b64 s[16:17], s[18:19]
	s_cbranch_execz .LBB317_747
; %bb.742:                              ;   in Loop: Header=BB317_616 Depth=1
	v_cmp_ne_u16_sdwa s[20:21], v18, s28 src0_sel:BYTE_0 src1_sel:DWORD
	v_bfrev_b32_e32 v22, 1
	s_and_saveexec_b64 s[18:19], s[20:21]
	s_cbranch_execz .LBB317_746
; %bb.743:                              ;   in Loop: Header=BB317_616 Depth=1
	v_and_b32_e32 v19, 0x7f, v18
	v_cmp_ne_u32_e32 vcc, s29, v19
	v_mov_b32_e32 v22, 0x7f800001
	s_and_saveexec_b64 s[20:21], vcc
	s_cbranch_execz .LBB317_745
; %bb.744:                              ;   in Loop: Header=BB317_616 Depth=1
	v_and_b32_e32 v22, 7, v18
	v_lshrrev_b32_e32 v25, 3, v19
	v_cmp_gt_u32_e32 vcc, 8, v19
	v_ffbh_u32_e32 v19, v22
	v_min_u32_e32 v19, 32, v19
	v_subrev_u32_e32 v22, 28, v19
	v_sub_u32_e32 v19, 29, v19
	v_cndmask_b32_e32 v22, 0, v22, vcc
	v_cndmask_b32_e32 v19, v25, v19, vcc
	v_lshlrev_b64 v[25:26], v22, v[9:10]
	v_bfrev_b32_e32 v26, 60
	v_lshlrev_b32_e32 v22, 20, v25
	v_lshlrev_b32_e32 v25, 24, v9
	v_and_b32_e32 v22, 0x700000, v22
	v_and_b32_e32 v25, 0x80000000, v25
	v_lshl_add_u32 v19, v19, 23, v26
	v_or3_b32 v22, v25, v19, v22
.LBB317_745:                            ;   in Loop: Header=BB317_616 Depth=1
	s_or_b64 exec, exec, s[20:21]
.LBB317_746:                            ;   in Loop: Header=BB317_616 Depth=1
	s_or_b64 exec, exec, s[18:19]
.LBB317_747:                            ;   in Loop: Header=BB317_616 Depth=1
	s_or_b64 exec, exec, s[16:17]
	v_lshrrev_b16_e32 v19, 8, v9
	v_cmp_ne_u16_e32 vcc, 0, v19
	s_and_saveexec_b64 s[16:17], vcc
	s_cbranch_execz .LBB317_753
; %bb.748:                              ;   in Loop: Header=BB317_616 Depth=1
	v_cmp_ne_u16_e32 vcc, s28, v19
	v_bfrev_b32_e32 v24, 1
	s_and_saveexec_b64 s[18:19], vcc
	s_cbranch_execz .LBB317_752
; %bb.749:                              ;   in Loop: Header=BB317_616 Depth=1
	v_and_b32_e32 v25, 0x7f, v19
	v_cmp_ne_u32_e32 vcc, s29, v25
	v_mov_b32_e32 v24, 0x7f800001
	s_and_saveexec_b64 s[20:21], vcc
	s_cbranch_execz .LBB317_751
; %bb.750:                              ;   in Loop: Header=BB317_616 Depth=1
	v_and_b32_e32 v26, 7, v19
	v_ffbh_u32_e32 v24, v26
	v_min_u32_e32 v28, 32, v24
	v_subrev_u32_e32 v24, 28, v28
	v_lshrrev_b32_e32 v27, 3, v25
	v_cmp_gt_u32_e32 vcc, 8, v25
	v_lshlrev_b64 v[24:25], v24, v[19:20]
	v_sub_u32_e32 v19, 29, v28
	v_and_b32_e32 v24, 7, v24
	v_cndmask_b32_e32 v19, v27, v19, vcc
	v_cndmask_b32_e32 v24, v26, v24, vcc
	v_lshlrev_b32_e32 v9, 16, v9
	v_bfrev_b32_e32 v25, 60
	v_lshlrev_b32_e32 v24, 20, v24
	v_and_b32_e32 v9, 0x80000000, v9
	v_lshl_add_u32 v19, v19, 23, v25
	v_or3_b32 v24, v9, v19, v24
.LBB317_751:                            ;   in Loop: Header=BB317_616 Depth=1
	s_or_b64 exec, exec, s[20:21]
.LBB317_752:                            ;   in Loop: Header=BB317_616 Depth=1
	s_or_b64 exec, exec, s[18:19]
.LBB317_753:                            ;   in Loop: Header=BB317_616 Depth=1
	s_or_b64 exec, exec, s[16:17]
	v_lshrrev_b32_e32 v9, 16, v18
	v_cmp_ne_u16_sdwa s[18:19], v9, v10 src0_sel:BYTE_0 src1_sel:DWORD
	v_mov_b32_e32 v19, 0
	v_mov_b32_e32 v25, 0
	s_and_saveexec_b64 s[16:17], s[18:19]
	s_cbranch_execz .LBB317_759
; %bb.754:                              ;   in Loop: Header=BB317_616 Depth=1
	v_cmp_ne_u16_sdwa s[20:21], v9, s28 src0_sel:BYTE_0 src1_sel:DWORD
	v_bfrev_b32_e32 v25, 1
	s_and_saveexec_b64 s[18:19], s[20:21]
	s_cbranch_execz .LBB317_758
; %bb.755:                              ;   in Loop: Header=BB317_616 Depth=1
	v_bfe_u32 v26, v18, 16, 7
	v_cmp_ne_u32_e32 vcc, s29, v26
	v_mov_b32_e32 v25, 0x7f800001
	s_and_saveexec_b64 s[20:21], vcc
	s_cbranch_execz .LBB317_757
; %bb.756:                              ;   in Loop: Header=BB317_616 Depth=1
	v_and_b32_e32 v27, 7, v9
	v_ffbh_u32_e32 v25, v27
	v_min_u32_e32 v29, 32, v25
	v_subrev_u32_e32 v25, 28, v29
	v_lshrrev_b32_e32 v28, 3, v26
	v_cmp_gt_u32_e32 vcc, 8, v26
	v_lshlrev_b64 v[25:26], v25, v[9:10]
	v_sub_u32_e32 v26, 29, v29
	v_and_b32_e32 v25, 7, v25
	v_cndmask_b32_e32 v26, v28, v26, vcc
	v_cndmask_b32_e32 v25, v27, v25, vcc
	v_lshlrev_b32_e32 v9, 24, v9
	v_bfrev_b32_e32 v27, 60
	v_lshlrev_b32_e32 v25, 20, v25
	v_and_b32_e32 v9, 0x80000000, v9
	v_lshl_add_u32 v26, v26, 23, v27
	v_or3_b32 v25, v9, v26, v25
.LBB317_757:                            ;   in Loop: Header=BB317_616 Depth=1
	s_or_b64 exec, exec, s[20:21]
.LBB317_758:                            ;   in Loop: Header=BB317_616 Depth=1
	s_or_b64 exec, exec, s[18:19]
.LBB317_759:                            ;   in Loop: Header=BB317_616 Depth=1
	s_or_b64 exec, exec, s[16:17]
	v_cmp_lt_u64_e32 vcc, s[4:5], v[17:18]
	s_and_saveexec_b64 s[16:17], vcc
	s_cbranch_execz .LBB317_765
; %bb.760:                              ;   in Loop: Header=BB317_616 Depth=1
	v_lshrrev_b32_e32 v9, 24, v18
	v_cmp_ne_u32_e32 vcc, s28, v9
	v_bfrev_b32_e32 v19, 1
	s_and_saveexec_b64 s[18:19], vcc
	s_cbranch_execz .LBB317_764
; %bb.761:                              ;   in Loop: Header=BB317_616 Depth=1
	v_bfe_u32 v17, v18, 24, 7
	v_cmp_ne_u32_e32 vcc, s29, v17
	v_mov_b32_e32 v19, 0x7f800001
	s_and_saveexec_b64 s[20:21], vcc
	s_cbranch_execz .LBB317_763
; %bb.762:                              ;   in Loop: Header=BB317_616 Depth=1
	v_and_b32_e32 v19, 7, v9
	v_lshrrev_b32_e32 v26, 3, v17
	v_cmp_gt_u32_e32 vcc, 8, v17
	v_ffbh_u32_e32 v17, v19
	v_min_u32_e32 v27, 32, v17
	v_subrev_u32_e32 v17, 28, v27
	v_lshlrev_b64 v[17:18], v17, v[9:10]
	v_sub_u32_e32 v18, 29, v27
	v_and_b32_e32 v17, 7, v17
	v_cndmask_b32_e32 v18, v26, v18, vcc
	v_cndmask_b32_e32 v17, v19, v17, vcc
	v_lshlrev_b32_e32 v9, 24, v9
	v_bfrev_b32_e32 v19, 60
	v_lshlrev_b32_e32 v17, 20, v17
	v_and_b32_e32 v9, 0x80000000, v9
	v_lshl_add_u32 v18, v18, 23, v19
	v_or3_b32 v19, v9, v18, v17
.LBB317_763:                            ;   in Loop: Header=BB317_616 Depth=1
	s_or_b64 exec, exec, s[20:21]
.LBB317_764:                            ;   in Loop: Header=BB317_616 Depth=1
	s_or_b64 exec, exec, s[18:19]
.LBB317_765:                            ;   in Loop: Header=BB317_616 Depth=1
	s_or_b64 exec, exec, s[16:17]
	v_mul_f32_e32 v9, s31, v24
	v_bfe_u32 v17, v9, 16, 1
	v_add3_u32 v17, v17, v9, s30
	v_or_b32_e32 v18, 0x400000, v9
	v_cmp_u_f32_e32 vcc, v9, v9
	v_cndmask_b32_e32 v9, v17, v18, vcc
	v_lshrrev_b32_e32 v9, 16, v9
	buffer_store_dword v9, off, s[60:63], 0 offset:76 ; 4-byte Folded Spill
	v_mul_f32_e32 v9, s31, v22
	v_bfe_u32 v17, v9, 16, 1
	v_add3_u32 v17, v17, v9, s30
	v_or_b32_e32 v18, 0x400000, v9
	v_cmp_u_f32_e32 vcc, v9, v9
	v_cndmask_b32_e32 v9, v17, v18, vcc
	v_lshrrev_b32_e32 v9, 16, v9
	buffer_store_dword v9, off, s[60:63], 0 offset:72 ; 4-byte Folded Spill
	;; [unrolled: 8-line block ×4, first 2 shown]
	v_mul_f32_e32 v9, s31, v11
	v_bfe_u32 v11, v9, 16, 1
	v_add3_u32 v11, v11, v9, s30
	v_or_b32_e32 v12, 0x400000, v9
	v_cmp_u_f32_e32 vcc, v9, v9
	v_cndmask_b32_e32 v9, v11, v12, vcc
	v_lshrrev_b32_e32 v9, 16, v9
	v_mul_f32_e32 v0, s31, v0
	buffer_store_dword v9, off, s[60:63], 0 offset:100 ; 4-byte Folded Spill
	v_bfe_u32 v9, v0, 16, 1
	v_add3_u32 v9, v9, v0, s30
	v_or_b32_e32 v11, 0x400000, v0
	v_cmp_u_f32_e32 vcc, v0, v0
	v_cndmask_b32_e32 v0, v9, v11, vcc
	v_lshrrev_b32_e32 v0, 16, v0
	buffer_store_dword v0, off, s[60:63], 0 offset:96 ; 4-byte Folded Spill
	v_mul_f32_e32 v0, s31, v25
	v_bfe_u32 v9, v0, 16, 1
	v_add3_u32 v9, v9, v0, s30
	v_or_b32_e32 v11, 0x400000, v0
	v_cmp_u_f32_e32 vcc, v0, v0
	v_cndmask_b32_e32 v0, v9, v11, vcc
	v_lshrrev_b32_e32 v0, 16, v0
	buffer_store_dword v0, off, s[60:63], 0 offset:80 ; 4-byte Folded Spill
	v_mul_f32_e32 v0, s31, v19
	v_bfe_u32 v9, v0, 16, 1
	v_add3_u32 v9, v9, v0, s30
	v_or_b32_e32 v11, 0x400000, v0
	v_cmp_u_f32_e32 vcc, v0, v0
	v_cndmask_b32_e32 v0, v9, v11, vcc
	v_lshrrev_b32_e32 v0, 16, v0
	buffer_store_dword v0, off, s[60:63], 0 offset:92 ; 4-byte Folded Spill
	s_and_saveexec_b64 s[16:17], s[0:1]
	s_cbranch_execz .LBB317_767
; %bb.766:                              ;   in Loop: Header=BB317_616 Depth=1
	buffer_load_dword v0, off, s[60:63], 0 offset:96 ; 4-byte Folded Reload
	v_cmp_gt_i32_e32 vcc, s33, v58
	s_waitcnt vmcnt(0)
	v_cndmask_b32_e32 v0, 0, v0, vcc
	buffer_store_dword v0, off, s[60:63], 0 offset:96 ; 4-byte Folded Spill
	buffer_load_dword v0, off, s[60:63], 0 offset:100 ; 4-byte Folded Reload
	v_cmp_gt_i32_e32 vcc, s33, v20
	s_waitcnt vmcnt(0)
	v_cndmask_b32_e32 v0, 0, v0, vcc
	buffer_store_dword v0, off, s[60:63], 0 offset:100 ; 4-byte Folded Spill
	;; [unrolled: 5-line block ×8, first 2 shown]
.LBB317_767:                            ;   in Loop: Header=BB317_616 Depth=1
	s_or_b64 exec, exec, s[16:17]
	global_load_dwordx2 v[17:18], v[15:16], off offset:1536
	v_mov_b32_e32 v11, 0
	v_mov_b32_e32 v0, 0
	s_waitcnt vmcnt(0)
	v_cmp_ne_u16_sdwa s[18:19], v17, v10 src0_sel:BYTE_0 src1_sel:DWORD
	s_and_saveexec_b64 s[16:17], s[18:19]
	s_cbranch_execz .LBB317_773
; %bb.768:                              ;   in Loop: Header=BB317_616 Depth=1
	v_cmp_ne_u16_sdwa s[20:21], v17, s28 src0_sel:BYTE_0 src1_sel:DWORD
	v_bfrev_b32_e32 v0, 1
	s_and_saveexec_b64 s[18:19], s[20:21]
	s_cbranch_execz .LBB317_772
; %bb.769:                              ;   in Loop: Header=BB317_616 Depth=1
	v_and_b32_e32 v9, 0x7f, v17
	v_cmp_ne_u32_e32 vcc, s29, v9
	v_mov_b32_e32 v0, 0x7f800001
	s_and_saveexec_b64 s[20:21], vcc
	s_cbranch_execz .LBB317_771
; %bb.770:                              ;   in Loop: Header=BB317_616 Depth=1
	v_and_b32_e32 v0, 7, v17
	v_ffbh_u32_e32 v0, v0
	v_min_u32_e32 v0, 32, v0
	v_lshrrev_b32_e32 v12, 3, v9
	v_cmp_gt_u32_e32 vcc, 8, v9
	v_subrev_u32_e32 v9, 28, v0
	v_cndmask_b32_e32 v9, 0, v9, vcc
	v_lshlrev_b64 v[21:22], v9, v[17:18]
	v_sub_u32_e32 v0, 29, v0
	v_cndmask_b32_e32 v0, v12, v0, vcc
	v_lshlrev_b32_e32 v9, 20, v21
	v_lshlrev_b32_e32 v12, 24, v17
	v_bfrev_b32_e32 v19, 60
	v_and_b32_e32 v9, 0x700000, v9
	v_and_b32_e32 v12, 0x80000000, v12
	v_lshl_add_u32 v0, v0, 23, v19
	v_or3_b32 v0, v12, v0, v9
.LBB317_771:                            ;   in Loop: Header=BB317_616 Depth=1
	s_or_b64 exec, exec, s[20:21]
.LBB317_772:                            ;   in Loop: Header=BB317_616 Depth=1
	s_or_b64 exec, exec, s[18:19]
.LBB317_773:                            ;   in Loop: Header=BB317_616 Depth=1
	s_or_b64 exec, exec, s[16:17]
	v_lshrrev_b16_e32 v9, 8, v17
	v_cmp_ne_u16_e32 vcc, 0, v9
	s_and_saveexec_b64 s[16:17], vcc
	s_cbranch_execz .LBB317_779
; %bb.774:                              ;   in Loop: Header=BB317_616 Depth=1
	v_cmp_ne_u16_e32 vcc, s28, v9
	v_bfrev_b32_e32 v11, 1
	s_and_saveexec_b64 s[18:19], vcc
	s_cbranch_execz .LBB317_778
; %bb.775:                              ;   in Loop: Header=BB317_616 Depth=1
	v_and_b32_e32 v12, 0x7f, v9
	v_cmp_ne_u32_e32 vcc, s29, v12
	v_mov_b32_e32 v11, 0x7f800001
	s_and_saveexec_b64 s[20:21], vcc
	s_cbranch_execz .LBB317_777
; %bb.776:                              ;   in Loop: Header=BB317_616 Depth=1
	v_and_b32_e32 v19, 7, v9
	v_ffbh_u32_e32 v11, v19
	v_min_u32_e32 v22, 32, v11
	v_subrev_u32_e32 v11, 28, v22
	v_lshrrev_b32_e32 v21, 3, v12
	v_cmp_gt_u32_e32 vcc, 8, v12
	v_lshlrev_b64 v[11:12], v11, v[9:10]
	v_sub_u32_e32 v9, 29, v22
	v_and_b32_e32 v11, 7, v11
	v_cndmask_b32_e32 v9, v21, v9, vcc
	v_cndmask_b32_e32 v11, v19, v11, vcc
	v_lshlrev_b32_e32 v12, 16, v17
	v_bfrev_b32_e32 v19, 60
	v_lshlrev_b32_e32 v11, 20, v11
	v_and_b32_e32 v12, 0x80000000, v12
	v_lshl_add_u32 v9, v9, 23, v19
	v_or3_b32 v11, v12, v9, v11
.LBB317_777:                            ;   in Loop: Header=BB317_616 Depth=1
	s_or_b64 exec, exec, s[20:21]
.LBB317_778:                            ;   in Loop: Header=BB317_616 Depth=1
	s_or_b64 exec, exec, s[18:19]
.LBB317_779:                            ;   in Loop: Header=BB317_616 Depth=1
	s_or_b64 exec, exec, s[16:17]
	v_lshrrev_b32_e32 v9, 16, v17
	v_cmp_ne_u16_sdwa s[18:19], v9, v10 src0_sel:BYTE_0 src1_sel:DWORD
	v_mov_b32_e32 v21, 0
	v_mov_b32_e32 v12, 0
	s_and_saveexec_b64 s[16:17], s[18:19]
	s_cbranch_execz .LBB317_785
; %bb.780:                              ;   in Loop: Header=BB317_616 Depth=1
	v_cmp_ne_u16_sdwa s[20:21], v9, s28 src0_sel:BYTE_0 src1_sel:DWORD
	v_bfrev_b32_e32 v12, 1
	s_and_saveexec_b64 s[18:19], s[20:21]
	s_cbranch_execz .LBB317_784
; %bb.781:                              ;   in Loop: Header=BB317_616 Depth=1
	v_bfe_u32 v19, v17, 16, 7
	v_cmp_ne_u32_e32 vcc, s29, v19
	v_mov_b32_e32 v12, 0x7f800001
	s_and_saveexec_b64 s[20:21], vcc
	s_cbranch_execz .LBB317_783
; %bb.782:                              ;   in Loop: Header=BB317_616 Depth=1
	v_and_b32_e32 v12, 7, v9
	v_lshrrev_b32_e32 v22, 3, v19
	v_cmp_gt_u32_e32 vcc, 8, v19
	v_ffbh_u32_e32 v19, v12
	v_min_u32_e32 v19, 32, v19
	v_subrev_u32_e32 v24, 28, v19
	v_lshlrev_b64 v[24:25], v24, v[9:10]
	v_sub_u32_e32 v19, 29, v19
	v_and_b32_e32 v24, 7, v24
	v_cndmask_b32_e32 v19, v22, v19, vcc
	v_cndmask_b32_e32 v12, v12, v24, vcc
	v_lshlrev_b32_e32 v9, 24, v9
	v_bfrev_b32_e32 v22, 60
	v_lshlrev_b32_e32 v12, 20, v12
	v_and_b32_e32 v9, 0x80000000, v9
	v_lshl_add_u32 v19, v19, 23, v22
	v_or3_b32 v12, v9, v19, v12
.LBB317_783:                            ;   in Loop: Header=BB317_616 Depth=1
	s_or_b64 exec, exec, s[20:21]
.LBB317_784:                            ;   in Loop: Header=BB317_616 Depth=1
	s_or_b64 exec, exec, s[18:19]
.LBB317_785:                            ;   in Loop: Header=BB317_616 Depth=1
	s_or_b64 exec, exec, s[16:17]
	v_cmp_lt_u32_e32 vcc, s5, v17
	s_and_saveexec_b64 s[16:17], vcc
	s_cbranch_execz .LBB317_791
; %bb.786:                              ;   in Loop: Header=BB317_616 Depth=1
	v_lshrrev_b32_e32 v9, 24, v17
	v_cmp_ne_u32_e32 vcc, s28, v9
	v_bfrev_b32_e32 v21, 1
	s_and_saveexec_b64 s[18:19], vcc
	s_cbranch_execz .LBB317_790
; %bb.787:                              ;   in Loop: Header=BB317_616 Depth=1
	v_bfe_u32 v19, v17, 24, 7
	v_cmp_ne_u32_e32 vcc, s29, v19
	v_mov_b32_e32 v21, 0x7f800001
	s_and_saveexec_b64 s[20:21], vcc
	s_cbranch_execz .LBB317_789
; %bb.788:                              ;   in Loop: Header=BB317_616 Depth=1
	v_and_b32_e32 v24, 7, v9
	v_lshrrev_b32_e32 v25, 3, v19
	v_cmp_gt_u32_e32 vcc, 8, v19
	v_ffbh_u32_e32 v19, v24
	v_min_u32_e32 v19, 32, v19
	v_subrev_u32_e32 v21, 28, v19
	v_lshlrev_b64 v[21:22], v21, v[9:10]
	v_sub_u32_e32 v19, 29, v19
	v_and_b32_e32 v21, 7, v21
	v_cndmask_b32_e32 v19, v25, v19, vcc
	v_cndmask_b32_e32 v21, v24, v21, vcc
	v_lshlrev_b32_e32 v9, 24, v9
	v_bfrev_b32_e32 v22, 60
	v_lshlrev_b32_e32 v21, 20, v21
	v_and_b32_e32 v9, 0x80000000, v9
	v_lshl_add_u32 v19, v19, 23, v22
	v_or3_b32 v21, v9, v19, v21
.LBB317_789:                            ;   in Loop: Header=BB317_616 Depth=1
	s_or_b64 exec, exec, s[20:21]
.LBB317_790:                            ;   in Loop: Header=BB317_616 Depth=1
	s_or_b64 exec, exec, s[18:19]
.LBB317_791:                            ;   in Loop: Header=BB317_616 Depth=1
	s_or_b64 exec, exec, s[16:17]
	v_mov_b32_e32 v9, v18
	v_cmp_ne_u16_sdwa s[18:19], v18, v10 src0_sel:BYTE_0 src1_sel:DWORD
	v_mov_b32_e32 v24, 0
	v_mov_b32_e32 v22, 0
	s_and_saveexec_b64 s[16:17], s[18:19]
	s_cbranch_execz .LBB317_797
; %bb.792:                              ;   in Loop: Header=BB317_616 Depth=1
	v_cmp_ne_u16_sdwa s[20:21], v18, s28 src0_sel:BYTE_0 src1_sel:DWORD
	v_bfrev_b32_e32 v22, 1
	s_and_saveexec_b64 s[18:19], s[20:21]
	s_cbranch_execz .LBB317_796
; %bb.793:                              ;   in Loop: Header=BB317_616 Depth=1
	v_and_b32_e32 v19, 0x7f, v18
	v_cmp_ne_u32_e32 vcc, s29, v19
	v_mov_b32_e32 v22, 0x7f800001
	s_and_saveexec_b64 s[20:21], vcc
	s_cbranch_execz .LBB317_795
; %bb.794:                              ;   in Loop: Header=BB317_616 Depth=1
	v_and_b32_e32 v22, 7, v18
	v_lshrrev_b32_e32 v25, 3, v19
	v_cmp_gt_u32_e32 vcc, 8, v19
	v_ffbh_u32_e32 v19, v22
	v_min_u32_e32 v19, 32, v19
	v_subrev_u32_e32 v22, 28, v19
	v_sub_u32_e32 v19, 29, v19
	v_cndmask_b32_e32 v22, 0, v22, vcc
	v_cndmask_b32_e32 v19, v25, v19, vcc
	v_lshlrev_b64 v[25:26], v22, v[9:10]
	v_bfrev_b32_e32 v26, 60
	v_lshlrev_b32_e32 v22, 20, v25
	v_lshlrev_b32_e32 v25, 24, v9
	v_and_b32_e32 v22, 0x700000, v22
	v_and_b32_e32 v25, 0x80000000, v25
	v_lshl_add_u32 v19, v19, 23, v26
	v_or3_b32 v22, v25, v19, v22
.LBB317_795:                            ;   in Loop: Header=BB317_616 Depth=1
	s_or_b64 exec, exec, s[20:21]
.LBB317_796:                            ;   in Loop: Header=BB317_616 Depth=1
	s_or_b64 exec, exec, s[18:19]
.LBB317_797:                            ;   in Loop: Header=BB317_616 Depth=1
	s_or_b64 exec, exec, s[16:17]
	v_lshrrev_b16_e32 v19, 8, v9
	v_cmp_ne_u16_e32 vcc, 0, v19
	s_and_saveexec_b64 s[16:17], vcc
	s_cbranch_execz .LBB317_803
; %bb.798:                              ;   in Loop: Header=BB317_616 Depth=1
	v_cmp_ne_u16_e32 vcc, s28, v19
	v_bfrev_b32_e32 v24, 1
	s_and_saveexec_b64 s[18:19], vcc
	s_cbranch_execz .LBB317_802
; %bb.799:                              ;   in Loop: Header=BB317_616 Depth=1
	v_and_b32_e32 v25, 0x7f, v19
	v_cmp_ne_u32_e32 vcc, s29, v25
	v_mov_b32_e32 v24, 0x7f800001
	s_and_saveexec_b64 s[20:21], vcc
	s_cbranch_execz .LBB317_801
; %bb.800:                              ;   in Loop: Header=BB317_616 Depth=1
	v_and_b32_e32 v26, 7, v19
	v_ffbh_u32_e32 v24, v26
	v_min_u32_e32 v28, 32, v24
	v_subrev_u32_e32 v24, 28, v28
	v_lshrrev_b32_e32 v27, 3, v25
	v_cmp_gt_u32_e32 vcc, 8, v25
	v_lshlrev_b64 v[24:25], v24, v[19:20]
	v_sub_u32_e32 v19, 29, v28
	v_and_b32_e32 v24, 7, v24
	v_cndmask_b32_e32 v19, v27, v19, vcc
	v_cndmask_b32_e32 v24, v26, v24, vcc
	v_lshlrev_b32_e32 v9, 16, v9
	v_bfrev_b32_e32 v25, 60
	v_lshlrev_b32_e32 v24, 20, v24
	v_and_b32_e32 v9, 0x80000000, v9
	v_lshl_add_u32 v19, v19, 23, v25
	v_or3_b32 v24, v9, v19, v24
.LBB317_801:                            ;   in Loop: Header=BB317_616 Depth=1
	s_or_b64 exec, exec, s[20:21]
.LBB317_802:                            ;   in Loop: Header=BB317_616 Depth=1
	s_or_b64 exec, exec, s[18:19]
.LBB317_803:                            ;   in Loop: Header=BB317_616 Depth=1
	s_or_b64 exec, exec, s[16:17]
	v_lshrrev_b32_e32 v9, 16, v18
	v_cmp_ne_u16_sdwa s[18:19], v9, v10 src0_sel:BYTE_0 src1_sel:DWORD
	v_mov_b32_e32 v19, 0
	v_mov_b32_e32 v25, 0
	s_and_saveexec_b64 s[16:17], s[18:19]
	s_cbranch_execz .LBB317_809
; %bb.804:                              ;   in Loop: Header=BB317_616 Depth=1
	v_cmp_ne_u16_sdwa s[20:21], v9, s28 src0_sel:BYTE_0 src1_sel:DWORD
	v_bfrev_b32_e32 v25, 1
	s_and_saveexec_b64 s[18:19], s[20:21]
	s_cbranch_execz .LBB317_808
; %bb.805:                              ;   in Loop: Header=BB317_616 Depth=1
	v_bfe_u32 v26, v18, 16, 7
	v_cmp_ne_u32_e32 vcc, s29, v26
	v_mov_b32_e32 v25, 0x7f800001
	s_and_saveexec_b64 s[20:21], vcc
	s_cbranch_execz .LBB317_807
; %bb.806:                              ;   in Loop: Header=BB317_616 Depth=1
	v_and_b32_e32 v27, 7, v9
	v_ffbh_u32_e32 v25, v27
	v_min_u32_e32 v29, 32, v25
	v_subrev_u32_e32 v25, 28, v29
	v_lshrrev_b32_e32 v28, 3, v26
	v_cmp_gt_u32_e32 vcc, 8, v26
	v_lshlrev_b64 v[25:26], v25, v[9:10]
	v_sub_u32_e32 v26, 29, v29
	v_and_b32_e32 v25, 7, v25
	v_cndmask_b32_e32 v26, v28, v26, vcc
	v_cndmask_b32_e32 v25, v27, v25, vcc
	v_lshlrev_b32_e32 v9, 24, v9
	v_bfrev_b32_e32 v27, 60
	v_lshlrev_b32_e32 v25, 20, v25
	v_and_b32_e32 v9, 0x80000000, v9
	v_lshl_add_u32 v26, v26, 23, v27
	v_or3_b32 v25, v9, v26, v25
.LBB317_807:                            ;   in Loop: Header=BB317_616 Depth=1
	s_or_b64 exec, exec, s[20:21]
.LBB317_808:                            ;   in Loop: Header=BB317_616 Depth=1
	s_or_b64 exec, exec, s[18:19]
.LBB317_809:                            ;   in Loop: Header=BB317_616 Depth=1
	s_or_b64 exec, exec, s[16:17]
	v_cmp_lt_u64_e32 vcc, s[4:5], v[17:18]
	s_and_saveexec_b64 s[16:17], vcc
	s_cbranch_execz .LBB317_815
; %bb.810:                              ;   in Loop: Header=BB317_616 Depth=1
	v_lshrrev_b32_e32 v9, 24, v18
	v_cmp_ne_u32_e32 vcc, s28, v9
	v_bfrev_b32_e32 v19, 1
	s_and_saveexec_b64 s[18:19], vcc
	s_cbranch_execz .LBB317_814
; %bb.811:                              ;   in Loop: Header=BB317_616 Depth=1
	v_bfe_u32 v17, v18, 24, 7
	v_cmp_ne_u32_e32 vcc, s29, v17
	v_mov_b32_e32 v19, 0x7f800001
	s_and_saveexec_b64 s[20:21], vcc
	s_cbranch_execz .LBB317_813
; %bb.812:                              ;   in Loop: Header=BB317_616 Depth=1
	v_and_b32_e32 v19, 7, v9
	v_lshrrev_b32_e32 v26, 3, v17
	v_cmp_gt_u32_e32 vcc, 8, v17
	v_ffbh_u32_e32 v17, v19
	v_min_u32_e32 v27, 32, v17
	v_subrev_u32_e32 v17, 28, v27
	v_lshlrev_b64 v[17:18], v17, v[9:10]
	v_sub_u32_e32 v18, 29, v27
	v_and_b32_e32 v17, 7, v17
	v_cndmask_b32_e32 v18, v26, v18, vcc
	v_cndmask_b32_e32 v17, v19, v17, vcc
	v_lshlrev_b32_e32 v9, 24, v9
	v_bfrev_b32_e32 v19, 60
	v_lshlrev_b32_e32 v17, 20, v17
	v_and_b32_e32 v9, 0x80000000, v9
	v_lshl_add_u32 v18, v18, 23, v19
	v_or3_b32 v19, v9, v18, v17
.LBB317_813:                            ;   in Loop: Header=BB317_616 Depth=1
	s_or_b64 exec, exec, s[20:21]
.LBB317_814:                            ;   in Loop: Header=BB317_616 Depth=1
	s_or_b64 exec, exec, s[18:19]
.LBB317_815:                            ;   in Loop: Header=BB317_616 Depth=1
	s_or_b64 exec, exec, s[16:17]
	v_mul_f32_e32 v9, s31, v24
	v_bfe_u32 v17, v9, 16, 1
	v_add3_u32 v17, v17, v9, s30
	v_or_b32_e32 v18, 0x400000, v9
	v_cmp_u_f32_e32 vcc, v9, v9
	v_cndmask_b32_e32 v9, v17, v18, vcc
	v_lshrrev_b32_e32 v9, 16, v9
	buffer_store_dword v9, off, s[60:63], 0 offset:108 ; 4-byte Folded Spill
	v_mul_f32_e32 v9, s31, v22
	v_bfe_u32 v17, v9, 16, 1
	v_add3_u32 v17, v17, v9, s30
	v_or_b32_e32 v18, 0x400000, v9
	v_cmp_u_f32_e32 vcc, v9, v9
	v_cndmask_b32_e32 v9, v17, v18, vcc
	v_lshrrev_b32_e32 v9, 16, v9
	buffer_store_dword v9, off, s[60:63], 0 offset:104 ; 4-byte Folded Spill
	;; [unrolled: 8-line block ×4, first 2 shown]
	v_mul_f32_e32 v9, s31, v11
	v_bfe_u32 v11, v9, 16, 1
	v_add3_u32 v11, v11, v9, s30
	v_or_b32_e32 v12, 0x400000, v9
	v_cmp_u_f32_e32 vcc, v9, v9
	v_cndmask_b32_e32 v9, v11, v12, vcc
	v_lshrrev_b32_e32 v9, 16, v9
	v_mul_f32_e32 v0, s31, v0
	buffer_store_dword v9, off, s[60:63], 0 offset:132 ; 4-byte Folded Spill
	v_bfe_u32 v9, v0, 16, 1
	v_add3_u32 v9, v9, v0, s30
	v_or_b32_e32 v11, 0x400000, v0
	v_cmp_u_f32_e32 vcc, v0, v0
	v_cndmask_b32_e32 v0, v9, v11, vcc
	v_lshrrev_b32_e32 v0, 16, v0
	buffer_store_dword v0, off, s[60:63], 0 offset:128 ; 4-byte Folded Spill
	v_mul_f32_e32 v0, s31, v25
	v_bfe_u32 v9, v0, 16, 1
	v_add3_u32 v9, v9, v0, s30
	v_or_b32_e32 v11, 0x400000, v0
	v_cmp_u_f32_e32 vcc, v0, v0
	v_cndmask_b32_e32 v0, v9, v11, vcc
	v_lshrrev_b32_e32 v0, 16, v0
	buffer_store_dword v0, off, s[60:63], 0 offset:112 ; 4-byte Folded Spill
	v_mul_f32_e32 v0, s31, v19
	v_bfe_u32 v9, v0, 16, 1
	v_add3_u32 v9, v9, v0, s30
	v_or_b32_e32 v11, 0x400000, v0
	v_cmp_u_f32_e32 vcc, v0, v0
	v_cndmask_b32_e32 v0, v9, v11, vcc
	v_lshrrev_b32_e32 v0, 16, v0
	buffer_store_dword v0, off, s[60:63], 0 offset:124 ; 4-byte Folded Spill
	s_and_saveexec_b64 s[16:17], s[0:1]
	s_cbranch_execz .LBB317_817
; %bb.816:                              ;   in Loop: Header=BB317_616 Depth=1
	buffer_load_dword v0, off, s[60:63], 0 offset:128 ; 4-byte Folded Reload
	v_cmp_gt_i32_e32 vcc, s33, v58
	s_waitcnt vmcnt(0)
	v_cndmask_b32_e32 v0, 0, v0, vcc
	buffer_store_dword v0, off, s[60:63], 0 offset:128 ; 4-byte Folded Spill
	buffer_load_dword v0, off, s[60:63], 0 offset:132 ; 4-byte Folded Reload
	v_cmp_gt_i32_e32 vcc, s33, v20
	s_waitcnt vmcnt(0)
	v_cndmask_b32_e32 v0, 0, v0, vcc
	buffer_store_dword v0, off, s[60:63], 0 offset:132 ; 4-byte Folded Spill
	;; [unrolled: 5-line block ×8, first 2 shown]
.LBB317_817:                            ;   in Loop: Header=BB317_616 Depth=1
	s_or_b64 exec, exec, s[16:17]
	global_load_dwordx2 v[17:18], v[15:16], off offset:2048
	v_mov_b32_e32 v11, 0
	v_mov_b32_e32 v0, 0
	s_waitcnt vmcnt(0)
	v_cmp_ne_u16_sdwa s[18:19], v17, v10 src0_sel:BYTE_0 src1_sel:DWORD
	s_and_saveexec_b64 s[16:17], s[18:19]
	s_cbranch_execz .LBB317_823
; %bb.818:                              ;   in Loop: Header=BB317_616 Depth=1
	v_cmp_ne_u16_sdwa s[20:21], v17, s28 src0_sel:BYTE_0 src1_sel:DWORD
	v_bfrev_b32_e32 v0, 1
	s_and_saveexec_b64 s[18:19], s[20:21]
	s_cbranch_execz .LBB317_822
; %bb.819:                              ;   in Loop: Header=BB317_616 Depth=1
	v_and_b32_e32 v9, 0x7f, v17
	v_cmp_ne_u32_e32 vcc, s29, v9
	v_mov_b32_e32 v0, 0x7f800001
	s_and_saveexec_b64 s[20:21], vcc
	s_cbranch_execz .LBB317_821
; %bb.820:                              ;   in Loop: Header=BB317_616 Depth=1
	v_and_b32_e32 v0, 7, v17
	v_ffbh_u32_e32 v0, v0
	v_min_u32_e32 v0, 32, v0
	v_lshrrev_b32_e32 v12, 3, v9
	v_cmp_gt_u32_e32 vcc, 8, v9
	v_subrev_u32_e32 v9, 28, v0
	v_cndmask_b32_e32 v9, 0, v9, vcc
	v_lshlrev_b64 v[21:22], v9, v[17:18]
	v_sub_u32_e32 v0, 29, v0
	v_cndmask_b32_e32 v0, v12, v0, vcc
	v_lshlrev_b32_e32 v9, 20, v21
	v_lshlrev_b32_e32 v12, 24, v17
	v_bfrev_b32_e32 v19, 60
	v_and_b32_e32 v9, 0x700000, v9
	v_and_b32_e32 v12, 0x80000000, v12
	v_lshl_add_u32 v0, v0, 23, v19
	v_or3_b32 v0, v12, v0, v9
.LBB317_821:                            ;   in Loop: Header=BB317_616 Depth=1
	s_or_b64 exec, exec, s[20:21]
.LBB317_822:                            ;   in Loop: Header=BB317_616 Depth=1
	s_or_b64 exec, exec, s[18:19]
.LBB317_823:                            ;   in Loop: Header=BB317_616 Depth=1
	s_or_b64 exec, exec, s[16:17]
	v_lshrrev_b16_e32 v9, 8, v17
	v_cmp_ne_u16_e32 vcc, 0, v9
	s_and_saveexec_b64 s[16:17], vcc
	s_cbranch_execz .LBB317_829
; %bb.824:                              ;   in Loop: Header=BB317_616 Depth=1
	v_cmp_ne_u16_e32 vcc, s28, v9
	v_bfrev_b32_e32 v11, 1
	s_and_saveexec_b64 s[18:19], vcc
	s_cbranch_execz .LBB317_828
; %bb.825:                              ;   in Loop: Header=BB317_616 Depth=1
	v_and_b32_e32 v12, 0x7f, v9
	v_cmp_ne_u32_e32 vcc, s29, v12
	v_mov_b32_e32 v11, 0x7f800001
	s_and_saveexec_b64 s[20:21], vcc
	s_cbranch_execz .LBB317_827
; %bb.826:                              ;   in Loop: Header=BB317_616 Depth=1
	v_and_b32_e32 v19, 7, v9
	v_ffbh_u32_e32 v11, v19
	v_min_u32_e32 v22, 32, v11
	v_subrev_u32_e32 v11, 28, v22
	v_lshrrev_b32_e32 v21, 3, v12
	v_cmp_gt_u32_e32 vcc, 8, v12
	v_lshlrev_b64 v[11:12], v11, v[9:10]
	v_sub_u32_e32 v9, 29, v22
	v_and_b32_e32 v11, 7, v11
	v_cndmask_b32_e32 v9, v21, v9, vcc
	v_cndmask_b32_e32 v11, v19, v11, vcc
	v_lshlrev_b32_e32 v12, 16, v17
	v_bfrev_b32_e32 v19, 60
	v_lshlrev_b32_e32 v11, 20, v11
	v_and_b32_e32 v12, 0x80000000, v12
	v_lshl_add_u32 v9, v9, 23, v19
	v_or3_b32 v11, v12, v9, v11
.LBB317_827:                            ;   in Loop: Header=BB317_616 Depth=1
	s_or_b64 exec, exec, s[20:21]
.LBB317_828:                            ;   in Loop: Header=BB317_616 Depth=1
	s_or_b64 exec, exec, s[18:19]
.LBB317_829:                            ;   in Loop: Header=BB317_616 Depth=1
	s_or_b64 exec, exec, s[16:17]
	v_lshrrev_b32_e32 v9, 16, v17
	v_cmp_ne_u16_sdwa s[18:19], v9, v10 src0_sel:BYTE_0 src1_sel:DWORD
	v_mov_b32_e32 v21, 0
	v_mov_b32_e32 v12, 0
	s_and_saveexec_b64 s[16:17], s[18:19]
	s_cbranch_execz .LBB317_835
; %bb.830:                              ;   in Loop: Header=BB317_616 Depth=1
	v_cmp_ne_u16_sdwa s[20:21], v9, s28 src0_sel:BYTE_0 src1_sel:DWORD
	v_bfrev_b32_e32 v12, 1
	s_and_saveexec_b64 s[18:19], s[20:21]
	s_cbranch_execz .LBB317_834
; %bb.831:                              ;   in Loop: Header=BB317_616 Depth=1
	v_bfe_u32 v19, v17, 16, 7
	v_cmp_ne_u32_e32 vcc, s29, v19
	v_mov_b32_e32 v12, 0x7f800001
	s_and_saveexec_b64 s[20:21], vcc
	s_cbranch_execz .LBB317_833
; %bb.832:                              ;   in Loop: Header=BB317_616 Depth=1
	v_and_b32_e32 v12, 7, v9
	v_lshrrev_b32_e32 v22, 3, v19
	v_cmp_gt_u32_e32 vcc, 8, v19
	v_ffbh_u32_e32 v19, v12
	v_min_u32_e32 v19, 32, v19
	v_subrev_u32_e32 v24, 28, v19
	v_lshlrev_b64 v[24:25], v24, v[9:10]
	v_sub_u32_e32 v19, 29, v19
	v_and_b32_e32 v24, 7, v24
	v_cndmask_b32_e32 v19, v22, v19, vcc
	v_cndmask_b32_e32 v12, v12, v24, vcc
	v_lshlrev_b32_e32 v9, 24, v9
	v_bfrev_b32_e32 v22, 60
	v_lshlrev_b32_e32 v12, 20, v12
	v_and_b32_e32 v9, 0x80000000, v9
	v_lshl_add_u32 v19, v19, 23, v22
	v_or3_b32 v12, v9, v19, v12
.LBB317_833:                            ;   in Loop: Header=BB317_616 Depth=1
	s_or_b64 exec, exec, s[20:21]
.LBB317_834:                            ;   in Loop: Header=BB317_616 Depth=1
	s_or_b64 exec, exec, s[18:19]
.LBB317_835:                            ;   in Loop: Header=BB317_616 Depth=1
	s_or_b64 exec, exec, s[16:17]
	v_cmp_lt_u32_e32 vcc, s5, v17
	s_and_saveexec_b64 s[16:17], vcc
	s_cbranch_execz .LBB317_841
; %bb.836:                              ;   in Loop: Header=BB317_616 Depth=1
	v_lshrrev_b32_e32 v9, 24, v17
	v_cmp_ne_u32_e32 vcc, s28, v9
	v_bfrev_b32_e32 v21, 1
	s_and_saveexec_b64 s[18:19], vcc
	s_cbranch_execz .LBB317_840
; %bb.837:                              ;   in Loop: Header=BB317_616 Depth=1
	v_bfe_u32 v19, v17, 24, 7
	v_cmp_ne_u32_e32 vcc, s29, v19
	v_mov_b32_e32 v21, 0x7f800001
	s_and_saveexec_b64 s[20:21], vcc
	s_cbranch_execz .LBB317_839
; %bb.838:                              ;   in Loop: Header=BB317_616 Depth=1
	v_and_b32_e32 v24, 7, v9
	v_lshrrev_b32_e32 v25, 3, v19
	v_cmp_gt_u32_e32 vcc, 8, v19
	v_ffbh_u32_e32 v19, v24
	v_min_u32_e32 v19, 32, v19
	v_subrev_u32_e32 v21, 28, v19
	v_lshlrev_b64 v[21:22], v21, v[9:10]
	v_sub_u32_e32 v19, 29, v19
	v_and_b32_e32 v21, 7, v21
	v_cndmask_b32_e32 v19, v25, v19, vcc
	v_cndmask_b32_e32 v21, v24, v21, vcc
	v_lshlrev_b32_e32 v9, 24, v9
	v_bfrev_b32_e32 v22, 60
	v_lshlrev_b32_e32 v21, 20, v21
	v_and_b32_e32 v9, 0x80000000, v9
	v_lshl_add_u32 v19, v19, 23, v22
	v_or3_b32 v21, v9, v19, v21
.LBB317_839:                            ;   in Loop: Header=BB317_616 Depth=1
	s_or_b64 exec, exec, s[20:21]
.LBB317_840:                            ;   in Loop: Header=BB317_616 Depth=1
	s_or_b64 exec, exec, s[18:19]
.LBB317_841:                            ;   in Loop: Header=BB317_616 Depth=1
	s_or_b64 exec, exec, s[16:17]
	v_mov_b32_e32 v9, v18
	v_cmp_ne_u16_sdwa s[18:19], v18, v10 src0_sel:BYTE_0 src1_sel:DWORD
	v_mov_b32_e32 v24, 0
	v_mov_b32_e32 v22, 0
	s_and_saveexec_b64 s[16:17], s[18:19]
	s_cbranch_execz .LBB317_847
; %bb.842:                              ;   in Loop: Header=BB317_616 Depth=1
	v_cmp_ne_u16_sdwa s[20:21], v18, s28 src0_sel:BYTE_0 src1_sel:DWORD
	v_bfrev_b32_e32 v22, 1
	s_and_saveexec_b64 s[18:19], s[20:21]
	s_cbranch_execz .LBB317_846
; %bb.843:                              ;   in Loop: Header=BB317_616 Depth=1
	v_and_b32_e32 v19, 0x7f, v18
	v_cmp_ne_u32_e32 vcc, s29, v19
	v_mov_b32_e32 v22, 0x7f800001
	s_and_saveexec_b64 s[20:21], vcc
	s_cbranch_execz .LBB317_845
; %bb.844:                              ;   in Loop: Header=BB317_616 Depth=1
	v_and_b32_e32 v22, 7, v18
	v_lshrrev_b32_e32 v25, 3, v19
	v_cmp_gt_u32_e32 vcc, 8, v19
	v_ffbh_u32_e32 v19, v22
	v_min_u32_e32 v19, 32, v19
	v_subrev_u32_e32 v22, 28, v19
	v_sub_u32_e32 v19, 29, v19
	v_cndmask_b32_e32 v22, 0, v22, vcc
	v_cndmask_b32_e32 v19, v25, v19, vcc
	v_lshlrev_b64 v[25:26], v22, v[9:10]
	v_bfrev_b32_e32 v26, 60
	v_lshlrev_b32_e32 v22, 20, v25
	v_lshlrev_b32_e32 v25, 24, v9
	v_and_b32_e32 v22, 0x700000, v22
	v_and_b32_e32 v25, 0x80000000, v25
	v_lshl_add_u32 v19, v19, 23, v26
	v_or3_b32 v22, v25, v19, v22
.LBB317_845:                            ;   in Loop: Header=BB317_616 Depth=1
	s_or_b64 exec, exec, s[20:21]
.LBB317_846:                            ;   in Loop: Header=BB317_616 Depth=1
	s_or_b64 exec, exec, s[18:19]
.LBB317_847:                            ;   in Loop: Header=BB317_616 Depth=1
	s_or_b64 exec, exec, s[16:17]
	v_lshrrev_b16_e32 v19, 8, v9
	v_cmp_ne_u16_e32 vcc, 0, v19
	s_and_saveexec_b64 s[16:17], vcc
	s_cbranch_execz .LBB317_853
; %bb.848:                              ;   in Loop: Header=BB317_616 Depth=1
	v_cmp_ne_u16_e32 vcc, s28, v19
	v_bfrev_b32_e32 v24, 1
	s_and_saveexec_b64 s[18:19], vcc
	s_cbranch_execz .LBB317_852
; %bb.849:                              ;   in Loop: Header=BB317_616 Depth=1
	v_and_b32_e32 v25, 0x7f, v19
	v_cmp_ne_u32_e32 vcc, s29, v25
	v_mov_b32_e32 v24, 0x7f800001
	s_and_saveexec_b64 s[20:21], vcc
	s_cbranch_execz .LBB317_851
; %bb.850:                              ;   in Loop: Header=BB317_616 Depth=1
	v_and_b32_e32 v26, 7, v19
	v_ffbh_u32_e32 v24, v26
	v_min_u32_e32 v28, 32, v24
	v_subrev_u32_e32 v24, 28, v28
	v_lshrrev_b32_e32 v27, 3, v25
	v_cmp_gt_u32_e32 vcc, 8, v25
	v_lshlrev_b64 v[24:25], v24, v[19:20]
	v_sub_u32_e32 v19, 29, v28
	v_and_b32_e32 v24, 7, v24
	v_cndmask_b32_e32 v19, v27, v19, vcc
	v_cndmask_b32_e32 v24, v26, v24, vcc
	v_lshlrev_b32_e32 v9, 16, v9
	v_bfrev_b32_e32 v25, 60
	v_lshlrev_b32_e32 v24, 20, v24
	v_and_b32_e32 v9, 0x80000000, v9
	v_lshl_add_u32 v19, v19, 23, v25
	v_or3_b32 v24, v9, v19, v24
.LBB317_851:                            ;   in Loop: Header=BB317_616 Depth=1
	s_or_b64 exec, exec, s[20:21]
.LBB317_852:                            ;   in Loop: Header=BB317_616 Depth=1
	s_or_b64 exec, exec, s[18:19]
.LBB317_853:                            ;   in Loop: Header=BB317_616 Depth=1
	s_or_b64 exec, exec, s[16:17]
	v_lshrrev_b32_e32 v9, 16, v18
	v_cmp_ne_u16_sdwa s[18:19], v9, v10 src0_sel:BYTE_0 src1_sel:DWORD
	v_mov_b32_e32 v19, 0
	v_mov_b32_e32 v25, 0
	s_and_saveexec_b64 s[16:17], s[18:19]
	s_cbranch_execz .LBB317_859
; %bb.854:                              ;   in Loop: Header=BB317_616 Depth=1
	v_cmp_ne_u16_sdwa s[20:21], v9, s28 src0_sel:BYTE_0 src1_sel:DWORD
	v_bfrev_b32_e32 v25, 1
	s_and_saveexec_b64 s[18:19], s[20:21]
	s_cbranch_execz .LBB317_858
; %bb.855:                              ;   in Loop: Header=BB317_616 Depth=1
	v_bfe_u32 v26, v18, 16, 7
	v_cmp_ne_u32_e32 vcc, s29, v26
	v_mov_b32_e32 v25, 0x7f800001
	s_and_saveexec_b64 s[20:21], vcc
	s_cbranch_execz .LBB317_857
; %bb.856:                              ;   in Loop: Header=BB317_616 Depth=1
	v_and_b32_e32 v27, 7, v9
	v_ffbh_u32_e32 v25, v27
	v_min_u32_e32 v29, 32, v25
	v_subrev_u32_e32 v25, 28, v29
	v_lshrrev_b32_e32 v28, 3, v26
	v_cmp_gt_u32_e32 vcc, 8, v26
	v_lshlrev_b64 v[25:26], v25, v[9:10]
	v_sub_u32_e32 v26, 29, v29
	v_and_b32_e32 v25, 7, v25
	v_cndmask_b32_e32 v26, v28, v26, vcc
	v_cndmask_b32_e32 v25, v27, v25, vcc
	v_lshlrev_b32_e32 v9, 24, v9
	v_bfrev_b32_e32 v27, 60
	v_lshlrev_b32_e32 v25, 20, v25
	v_and_b32_e32 v9, 0x80000000, v9
	v_lshl_add_u32 v26, v26, 23, v27
	v_or3_b32 v25, v9, v26, v25
.LBB317_857:                            ;   in Loop: Header=BB317_616 Depth=1
	s_or_b64 exec, exec, s[20:21]
.LBB317_858:                            ;   in Loop: Header=BB317_616 Depth=1
	s_or_b64 exec, exec, s[18:19]
.LBB317_859:                            ;   in Loop: Header=BB317_616 Depth=1
	s_or_b64 exec, exec, s[16:17]
	v_cmp_lt_u64_e32 vcc, s[4:5], v[17:18]
	s_and_saveexec_b64 s[16:17], vcc
	s_cbranch_execz .LBB317_865
; %bb.860:                              ;   in Loop: Header=BB317_616 Depth=1
	v_lshrrev_b32_e32 v9, 24, v18
	v_cmp_ne_u32_e32 vcc, s28, v9
	v_bfrev_b32_e32 v19, 1
	s_and_saveexec_b64 s[18:19], vcc
	s_cbranch_execz .LBB317_864
; %bb.861:                              ;   in Loop: Header=BB317_616 Depth=1
	v_bfe_u32 v17, v18, 24, 7
	v_cmp_ne_u32_e32 vcc, s29, v17
	v_mov_b32_e32 v19, 0x7f800001
	s_and_saveexec_b64 s[20:21], vcc
	s_cbranch_execz .LBB317_863
; %bb.862:                              ;   in Loop: Header=BB317_616 Depth=1
	v_and_b32_e32 v19, 7, v9
	v_lshrrev_b32_e32 v26, 3, v17
	v_cmp_gt_u32_e32 vcc, 8, v17
	v_ffbh_u32_e32 v17, v19
	v_min_u32_e32 v27, 32, v17
	v_subrev_u32_e32 v17, 28, v27
	v_lshlrev_b64 v[17:18], v17, v[9:10]
	v_sub_u32_e32 v18, 29, v27
	v_and_b32_e32 v17, 7, v17
	v_cndmask_b32_e32 v18, v26, v18, vcc
	v_cndmask_b32_e32 v17, v19, v17, vcc
	v_lshlrev_b32_e32 v9, 24, v9
	v_bfrev_b32_e32 v19, 60
	v_lshlrev_b32_e32 v17, 20, v17
	v_and_b32_e32 v9, 0x80000000, v9
	v_lshl_add_u32 v18, v18, 23, v19
	v_or3_b32 v19, v9, v18, v17
.LBB317_863:                            ;   in Loop: Header=BB317_616 Depth=1
	s_or_b64 exec, exec, s[20:21]
.LBB317_864:                            ;   in Loop: Header=BB317_616 Depth=1
	s_or_b64 exec, exec, s[18:19]
.LBB317_865:                            ;   in Loop: Header=BB317_616 Depth=1
	s_or_b64 exec, exec, s[16:17]
	v_mul_f32_e32 v9, s31, v24
	v_bfe_u32 v17, v9, 16, 1
	v_add3_u32 v17, v17, v9, s30
	v_or_b32_e32 v18, 0x400000, v9
	v_cmp_u_f32_e32 vcc, v9, v9
	v_cndmask_b32_e32 v9, v17, v18, vcc
	v_lshrrev_b32_e32 v9, 16, v9
	buffer_store_dword v9, off, s[60:63], 0 offset:140 ; 4-byte Folded Spill
	v_mul_f32_e32 v9, s31, v22
	v_bfe_u32 v17, v9, 16, 1
	v_add3_u32 v17, v17, v9, s30
	v_or_b32_e32 v18, 0x400000, v9
	v_cmp_u_f32_e32 vcc, v9, v9
	v_cndmask_b32_e32 v9, v17, v18, vcc
	v_lshrrev_b32_e32 v9, 16, v9
	buffer_store_dword v9, off, s[60:63], 0 offset:136 ; 4-byte Folded Spill
	;; [unrolled: 8-line block ×4, first 2 shown]
	v_mul_f32_e32 v9, s31, v11
	v_bfe_u32 v11, v9, 16, 1
	v_add3_u32 v11, v11, v9, s30
	v_or_b32_e32 v12, 0x400000, v9
	v_cmp_u_f32_e32 vcc, v9, v9
	v_cndmask_b32_e32 v9, v11, v12, vcc
	v_lshrrev_b32_e32 v9, 16, v9
	v_mul_f32_e32 v0, s31, v0
	buffer_store_dword v9, off, s[60:63], 0 offset:164 ; 4-byte Folded Spill
	v_bfe_u32 v9, v0, 16, 1
	v_add3_u32 v9, v9, v0, s30
	v_or_b32_e32 v11, 0x400000, v0
	v_cmp_u_f32_e32 vcc, v0, v0
	v_cndmask_b32_e32 v0, v9, v11, vcc
	v_lshrrev_b32_e32 v0, 16, v0
	buffer_store_dword v0, off, s[60:63], 0 offset:160 ; 4-byte Folded Spill
	v_mul_f32_e32 v0, s31, v25
	v_bfe_u32 v9, v0, 16, 1
	v_add3_u32 v9, v9, v0, s30
	v_or_b32_e32 v11, 0x400000, v0
	v_cmp_u_f32_e32 vcc, v0, v0
	v_cndmask_b32_e32 v0, v9, v11, vcc
	v_lshrrev_b32_e32 v0, 16, v0
	buffer_store_dword v0, off, s[60:63], 0 offset:144 ; 4-byte Folded Spill
	v_mul_f32_e32 v0, s31, v19
	v_bfe_u32 v9, v0, 16, 1
	v_add3_u32 v9, v9, v0, s30
	v_or_b32_e32 v11, 0x400000, v0
	v_cmp_u_f32_e32 vcc, v0, v0
	v_cndmask_b32_e32 v0, v9, v11, vcc
	v_lshrrev_b32_e32 v0, 16, v0
	buffer_store_dword v0, off, s[60:63], 0 offset:156 ; 4-byte Folded Spill
	s_and_saveexec_b64 s[16:17], s[0:1]
	s_cbranch_execz .LBB317_867
; %bb.866:                              ;   in Loop: Header=BB317_616 Depth=1
	buffer_load_dword v0, off, s[60:63], 0 offset:160 ; 4-byte Folded Reload
	v_cmp_gt_i32_e32 vcc, s33, v58
	s_waitcnt vmcnt(0)
	v_cndmask_b32_e32 v0, 0, v0, vcc
	buffer_store_dword v0, off, s[60:63], 0 offset:160 ; 4-byte Folded Spill
	buffer_load_dword v0, off, s[60:63], 0 offset:164 ; 4-byte Folded Reload
	v_cmp_gt_i32_e32 vcc, s33, v20
	s_waitcnt vmcnt(0)
	v_cndmask_b32_e32 v0, 0, v0, vcc
	buffer_store_dword v0, off, s[60:63], 0 offset:164 ; 4-byte Folded Spill
	;; [unrolled: 5-line block ×8, first 2 shown]
.LBB317_867:                            ;   in Loop: Header=BB317_616 Depth=1
	s_or_b64 exec, exec, s[16:17]
	global_load_dwordx2 v[17:18], v[15:16], off offset:2560
	v_mov_b32_e32 v11, 0
	v_mov_b32_e32 v0, 0
	s_waitcnt vmcnt(0)
	v_cmp_ne_u16_sdwa s[18:19], v17, v10 src0_sel:BYTE_0 src1_sel:DWORD
	s_and_saveexec_b64 s[16:17], s[18:19]
	s_cbranch_execz .LBB317_873
; %bb.868:                              ;   in Loop: Header=BB317_616 Depth=1
	v_cmp_ne_u16_sdwa s[20:21], v17, s28 src0_sel:BYTE_0 src1_sel:DWORD
	v_bfrev_b32_e32 v0, 1
	s_and_saveexec_b64 s[18:19], s[20:21]
	s_cbranch_execz .LBB317_872
; %bb.869:                              ;   in Loop: Header=BB317_616 Depth=1
	v_and_b32_e32 v9, 0x7f, v17
	v_cmp_ne_u32_e32 vcc, s29, v9
	v_mov_b32_e32 v0, 0x7f800001
	s_and_saveexec_b64 s[20:21], vcc
	s_cbranch_execz .LBB317_871
; %bb.870:                              ;   in Loop: Header=BB317_616 Depth=1
	v_and_b32_e32 v0, 7, v17
	v_ffbh_u32_e32 v0, v0
	v_min_u32_e32 v0, 32, v0
	v_lshrrev_b32_e32 v12, 3, v9
	v_cmp_gt_u32_e32 vcc, 8, v9
	v_subrev_u32_e32 v9, 28, v0
	v_cndmask_b32_e32 v9, 0, v9, vcc
	v_lshlrev_b64 v[21:22], v9, v[17:18]
	v_sub_u32_e32 v0, 29, v0
	v_cndmask_b32_e32 v0, v12, v0, vcc
	v_lshlrev_b32_e32 v9, 20, v21
	v_lshlrev_b32_e32 v12, 24, v17
	v_bfrev_b32_e32 v19, 60
	v_and_b32_e32 v9, 0x700000, v9
	v_and_b32_e32 v12, 0x80000000, v12
	v_lshl_add_u32 v0, v0, 23, v19
	v_or3_b32 v0, v12, v0, v9
.LBB317_871:                            ;   in Loop: Header=BB317_616 Depth=1
	s_or_b64 exec, exec, s[20:21]
.LBB317_872:                            ;   in Loop: Header=BB317_616 Depth=1
	s_or_b64 exec, exec, s[18:19]
.LBB317_873:                            ;   in Loop: Header=BB317_616 Depth=1
	s_or_b64 exec, exec, s[16:17]
	v_lshrrev_b16_e32 v9, 8, v17
	v_cmp_ne_u16_e32 vcc, 0, v9
	s_and_saveexec_b64 s[16:17], vcc
	s_cbranch_execz .LBB317_879
; %bb.874:                              ;   in Loop: Header=BB317_616 Depth=1
	v_cmp_ne_u16_e32 vcc, s28, v9
	v_bfrev_b32_e32 v11, 1
	s_and_saveexec_b64 s[18:19], vcc
	s_cbranch_execz .LBB317_878
; %bb.875:                              ;   in Loop: Header=BB317_616 Depth=1
	v_and_b32_e32 v12, 0x7f, v9
	v_cmp_ne_u32_e32 vcc, s29, v12
	v_mov_b32_e32 v11, 0x7f800001
	s_and_saveexec_b64 s[20:21], vcc
	s_cbranch_execz .LBB317_877
; %bb.876:                              ;   in Loop: Header=BB317_616 Depth=1
	v_and_b32_e32 v19, 7, v9
	v_ffbh_u32_e32 v11, v19
	v_min_u32_e32 v22, 32, v11
	v_subrev_u32_e32 v11, 28, v22
	v_lshrrev_b32_e32 v21, 3, v12
	v_cmp_gt_u32_e32 vcc, 8, v12
	v_lshlrev_b64 v[11:12], v11, v[9:10]
	v_sub_u32_e32 v9, 29, v22
	v_and_b32_e32 v11, 7, v11
	v_cndmask_b32_e32 v9, v21, v9, vcc
	v_cndmask_b32_e32 v11, v19, v11, vcc
	v_lshlrev_b32_e32 v12, 16, v17
	v_bfrev_b32_e32 v19, 60
	v_lshlrev_b32_e32 v11, 20, v11
	v_and_b32_e32 v12, 0x80000000, v12
	v_lshl_add_u32 v9, v9, 23, v19
	v_or3_b32 v11, v12, v9, v11
.LBB317_877:                            ;   in Loop: Header=BB317_616 Depth=1
	s_or_b64 exec, exec, s[20:21]
.LBB317_878:                            ;   in Loop: Header=BB317_616 Depth=1
	s_or_b64 exec, exec, s[18:19]
.LBB317_879:                            ;   in Loop: Header=BB317_616 Depth=1
	s_or_b64 exec, exec, s[16:17]
	v_lshrrev_b32_e32 v9, 16, v17
	v_cmp_ne_u16_sdwa s[18:19], v9, v10 src0_sel:BYTE_0 src1_sel:DWORD
	v_mov_b32_e32 v21, 0
	v_mov_b32_e32 v12, 0
	s_and_saveexec_b64 s[16:17], s[18:19]
	s_cbranch_execz .LBB317_885
; %bb.880:                              ;   in Loop: Header=BB317_616 Depth=1
	v_cmp_ne_u16_sdwa s[20:21], v9, s28 src0_sel:BYTE_0 src1_sel:DWORD
	v_bfrev_b32_e32 v12, 1
	s_and_saveexec_b64 s[18:19], s[20:21]
	s_cbranch_execz .LBB317_884
; %bb.881:                              ;   in Loop: Header=BB317_616 Depth=1
	v_bfe_u32 v19, v17, 16, 7
	v_cmp_ne_u32_e32 vcc, s29, v19
	v_mov_b32_e32 v12, 0x7f800001
	s_and_saveexec_b64 s[20:21], vcc
	s_cbranch_execz .LBB317_883
; %bb.882:                              ;   in Loop: Header=BB317_616 Depth=1
	v_and_b32_e32 v12, 7, v9
	v_lshrrev_b32_e32 v22, 3, v19
	v_cmp_gt_u32_e32 vcc, 8, v19
	v_ffbh_u32_e32 v19, v12
	v_min_u32_e32 v19, 32, v19
	v_subrev_u32_e32 v24, 28, v19
	v_lshlrev_b64 v[24:25], v24, v[9:10]
	v_sub_u32_e32 v19, 29, v19
	v_and_b32_e32 v24, 7, v24
	v_cndmask_b32_e32 v19, v22, v19, vcc
	v_cndmask_b32_e32 v12, v12, v24, vcc
	v_lshlrev_b32_e32 v9, 24, v9
	v_bfrev_b32_e32 v22, 60
	v_lshlrev_b32_e32 v12, 20, v12
	v_and_b32_e32 v9, 0x80000000, v9
	v_lshl_add_u32 v19, v19, 23, v22
	v_or3_b32 v12, v9, v19, v12
.LBB317_883:                            ;   in Loop: Header=BB317_616 Depth=1
	s_or_b64 exec, exec, s[20:21]
.LBB317_884:                            ;   in Loop: Header=BB317_616 Depth=1
	s_or_b64 exec, exec, s[18:19]
.LBB317_885:                            ;   in Loop: Header=BB317_616 Depth=1
	s_or_b64 exec, exec, s[16:17]
	v_cmp_lt_u32_e32 vcc, s5, v17
	s_and_saveexec_b64 s[16:17], vcc
	s_cbranch_execz .LBB317_891
; %bb.886:                              ;   in Loop: Header=BB317_616 Depth=1
	v_lshrrev_b32_e32 v9, 24, v17
	v_cmp_ne_u32_e32 vcc, s28, v9
	v_bfrev_b32_e32 v21, 1
	s_and_saveexec_b64 s[18:19], vcc
	s_cbranch_execz .LBB317_890
; %bb.887:                              ;   in Loop: Header=BB317_616 Depth=1
	v_bfe_u32 v19, v17, 24, 7
	v_cmp_ne_u32_e32 vcc, s29, v19
	v_mov_b32_e32 v21, 0x7f800001
	s_and_saveexec_b64 s[20:21], vcc
	s_cbranch_execz .LBB317_889
; %bb.888:                              ;   in Loop: Header=BB317_616 Depth=1
	v_and_b32_e32 v24, 7, v9
	v_lshrrev_b32_e32 v25, 3, v19
	v_cmp_gt_u32_e32 vcc, 8, v19
	v_ffbh_u32_e32 v19, v24
	v_min_u32_e32 v19, 32, v19
	v_subrev_u32_e32 v21, 28, v19
	v_lshlrev_b64 v[21:22], v21, v[9:10]
	v_sub_u32_e32 v19, 29, v19
	v_and_b32_e32 v21, 7, v21
	v_cndmask_b32_e32 v19, v25, v19, vcc
	v_cndmask_b32_e32 v21, v24, v21, vcc
	v_lshlrev_b32_e32 v9, 24, v9
	v_bfrev_b32_e32 v22, 60
	v_lshlrev_b32_e32 v21, 20, v21
	v_and_b32_e32 v9, 0x80000000, v9
	v_lshl_add_u32 v19, v19, 23, v22
	v_or3_b32 v21, v9, v19, v21
.LBB317_889:                            ;   in Loop: Header=BB317_616 Depth=1
	s_or_b64 exec, exec, s[20:21]
.LBB317_890:                            ;   in Loop: Header=BB317_616 Depth=1
	s_or_b64 exec, exec, s[18:19]
.LBB317_891:                            ;   in Loop: Header=BB317_616 Depth=1
	s_or_b64 exec, exec, s[16:17]
	v_mov_b32_e32 v9, v18
	v_cmp_ne_u16_sdwa s[18:19], v18, v10 src0_sel:BYTE_0 src1_sel:DWORD
	v_mov_b32_e32 v24, 0
	v_mov_b32_e32 v22, 0
	s_and_saveexec_b64 s[16:17], s[18:19]
	s_cbranch_execz .LBB317_897
; %bb.892:                              ;   in Loop: Header=BB317_616 Depth=1
	v_cmp_ne_u16_sdwa s[20:21], v18, s28 src0_sel:BYTE_0 src1_sel:DWORD
	v_bfrev_b32_e32 v22, 1
	s_and_saveexec_b64 s[18:19], s[20:21]
	s_cbranch_execz .LBB317_896
; %bb.893:                              ;   in Loop: Header=BB317_616 Depth=1
	v_and_b32_e32 v19, 0x7f, v18
	v_cmp_ne_u32_e32 vcc, s29, v19
	v_mov_b32_e32 v22, 0x7f800001
	s_and_saveexec_b64 s[20:21], vcc
	s_cbranch_execz .LBB317_895
; %bb.894:                              ;   in Loop: Header=BB317_616 Depth=1
	v_and_b32_e32 v22, 7, v18
	v_lshrrev_b32_e32 v25, 3, v19
	v_cmp_gt_u32_e32 vcc, 8, v19
	v_ffbh_u32_e32 v19, v22
	v_min_u32_e32 v19, 32, v19
	v_subrev_u32_e32 v22, 28, v19
	v_sub_u32_e32 v19, 29, v19
	v_cndmask_b32_e32 v22, 0, v22, vcc
	v_cndmask_b32_e32 v19, v25, v19, vcc
	v_lshlrev_b64 v[25:26], v22, v[9:10]
	v_bfrev_b32_e32 v26, 60
	v_lshlrev_b32_e32 v22, 20, v25
	v_lshlrev_b32_e32 v25, 24, v9
	v_and_b32_e32 v22, 0x700000, v22
	v_and_b32_e32 v25, 0x80000000, v25
	v_lshl_add_u32 v19, v19, 23, v26
	v_or3_b32 v22, v25, v19, v22
.LBB317_895:                            ;   in Loop: Header=BB317_616 Depth=1
	s_or_b64 exec, exec, s[20:21]
.LBB317_896:                            ;   in Loop: Header=BB317_616 Depth=1
	s_or_b64 exec, exec, s[18:19]
.LBB317_897:                            ;   in Loop: Header=BB317_616 Depth=1
	s_or_b64 exec, exec, s[16:17]
	v_lshrrev_b16_e32 v19, 8, v9
	v_cmp_ne_u16_e32 vcc, 0, v19
	s_and_saveexec_b64 s[16:17], vcc
	s_cbranch_execz .LBB317_903
; %bb.898:                              ;   in Loop: Header=BB317_616 Depth=1
	v_cmp_ne_u16_e32 vcc, s28, v19
	v_bfrev_b32_e32 v24, 1
	s_and_saveexec_b64 s[18:19], vcc
	s_cbranch_execz .LBB317_902
; %bb.899:                              ;   in Loop: Header=BB317_616 Depth=1
	v_and_b32_e32 v25, 0x7f, v19
	v_cmp_ne_u32_e32 vcc, s29, v25
	v_mov_b32_e32 v24, 0x7f800001
	s_and_saveexec_b64 s[20:21], vcc
	s_cbranch_execz .LBB317_901
; %bb.900:                              ;   in Loop: Header=BB317_616 Depth=1
	v_and_b32_e32 v26, 7, v19
	v_ffbh_u32_e32 v24, v26
	v_min_u32_e32 v28, 32, v24
	v_subrev_u32_e32 v24, 28, v28
	v_lshrrev_b32_e32 v27, 3, v25
	v_cmp_gt_u32_e32 vcc, 8, v25
	v_lshlrev_b64 v[24:25], v24, v[19:20]
	v_sub_u32_e32 v19, 29, v28
	v_and_b32_e32 v24, 7, v24
	v_cndmask_b32_e32 v19, v27, v19, vcc
	v_cndmask_b32_e32 v24, v26, v24, vcc
	v_lshlrev_b32_e32 v9, 16, v9
	v_bfrev_b32_e32 v25, 60
	v_lshlrev_b32_e32 v24, 20, v24
	v_and_b32_e32 v9, 0x80000000, v9
	v_lshl_add_u32 v19, v19, 23, v25
	v_or3_b32 v24, v9, v19, v24
.LBB317_901:                            ;   in Loop: Header=BB317_616 Depth=1
	s_or_b64 exec, exec, s[20:21]
.LBB317_902:                            ;   in Loop: Header=BB317_616 Depth=1
	s_or_b64 exec, exec, s[18:19]
.LBB317_903:                            ;   in Loop: Header=BB317_616 Depth=1
	s_or_b64 exec, exec, s[16:17]
	v_lshrrev_b32_e32 v9, 16, v18
	v_cmp_ne_u16_sdwa s[18:19], v9, v10 src0_sel:BYTE_0 src1_sel:DWORD
	v_mov_b32_e32 v19, 0
	v_mov_b32_e32 v25, 0
	s_and_saveexec_b64 s[16:17], s[18:19]
	s_cbranch_execz .LBB317_909
; %bb.904:                              ;   in Loop: Header=BB317_616 Depth=1
	v_cmp_ne_u16_sdwa s[20:21], v9, s28 src0_sel:BYTE_0 src1_sel:DWORD
	v_bfrev_b32_e32 v25, 1
	s_and_saveexec_b64 s[18:19], s[20:21]
	s_cbranch_execz .LBB317_908
; %bb.905:                              ;   in Loop: Header=BB317_616 Depth=1
	v_bfe_u32 v26, v18, 16, 7
	v_cmp_ne_u32_e32 vcc, s29, v26
	v_mov_b32_e32 v25, 0x7f800001
	s_and_saveexec_b64 s[20:21], vcc
	s_cbranch_execz .LBB317_907
; %bb.906:                              ;   in Loop: Header=BB317_616 Depth=1
	v_and_b32_e32 v27, 7, v9
	v_ffbh_u32_e32 v25, v27
	v_min_u32_e32 v29, 32, v25
	v_subrev_u32_e32 v25, 28, v29
	v_lshrrev_b32_e32 v28, 3, v26
	v_cmp_gt_u32_e32 vcc, 8, v26
	v_lshlrev_b64 v[25:26], v25, v[9:10]
	v_sub_u32_e32 v26, 29, v29
	v_and_b32_e32 v25, 7, v25
	v_cndmask_b32_e32 v26, v28, v26, vcc
	v_cndmask_b32_e32 v25, v27, v25, vcc
	v_lshlrev_b32_e32 v9, 24, v9
	v_bfrev_b32_e32 v27, 60
	v_lshlrev_b32_e32 v25, 20, v25
	v_and_b32_e32 v9, 0x80000000, v9
	v_lshl_add_u32 v26, v26, 23, v27
	v_or3_b32 v25, v9, v26, v25
.LBB317_907:                            ;   in Loop: Header=BB317_616 Depth=1
	s_or_b64 exec, exec, s[20:21]
.LBB317_908:                            ;   in Loop: Header=BB317_616 Depth=1
	s_or_b64 exec, exec, s[18:19]
.LBB317_909:                            ;   in Loop: Header=BB317_616 Depth=1
	s_or_b64 exec, exec, s[16:17]
	v_cmp_lt_u64_e32 vcc, s[4:5], v[17:18]
	s_and_saveexec_b64 s[16:17], vcc
	s_cbranch_execz .LBB317_915
; %bb.910:                              ;   in Loop: Header=BB317_616 Depth=1
	v_lshrrev_b32_e32 v9, 24, v18
	v_cmp_ne_u32_e32 vcc, s28, v9
	v_bfrev_b32_e32 v19, 1
	s_and_saveexec_b64 s[18:19], vcc
	s_cbranch_execz .LBB317_914
; %bb.911:                              ;   in Loop: Header=BB317_616 Depth=1
	v_bfe_u32 v17, v18, 24, 7
	v_cmp_ne_u32_e32 vcc, s29, v17
	v_mov_b32_e32 v19, 0x7f800001
	s_and_saveexec_b64 s[20:21], vcc
	s_cbranch_execz .LBB317_913
; %bb.912:                              ;   in Loop: Header=BB317_616 Depth=1
	v_and_b32_e32 v19, 7, v9
	v_lshrrev_b32_e32 v26, 3, v17
	v_cmp_gt_u32_e32 vcc, 8, v17
	v_ffbh_u32_e32 v17, v19
	v_min_u32_e32 v27, 32, v17
	v_subrev_u32_e32 v17, 28, v27
	v_lshlrev_b64 v[17:18], v17, v[9:10]
	v_sub_u32_e32 v18, 29, v27
	v_and_b32_e32 v17, 7, v17
	v_cndmask_b32_e32 v18, v26, v18, vcc
	v_cndmask_b32_e32 v17, v19, v17, vcc
	v_lshlrev_b32_e32 v9, 24, v9
	v_bfrev_b32_e32 v19, 60
	v_lshlrev_b32_e32 v17, 20, v17
	v_and_b32_e32 v9, 0x80000000, v9
	v_lshl_add_u32 v18, v18, 23, v19
	v_or3_b32 v19, v9, v18, v17
.LBB317_913:                            ;   in Loop: Header=BB317_616 Depth=1
	s_or_b64 exec, exec, s[20:21]
.LBB317_914:                            ;   in Loop: Header=BB317_616 Depth=1
	s_or_b64 exec, exec, s[18:19]
.LBB317_915:                            ;   in Loop: Header=BB317_616 Depth=1
	s_or_b64 exec, exec, s[16:17]
	v_mul_f32_e32 v9, s31, v24
	v_bfe_u32 v17, v9, 16, 1
	v_add3_u32 v17, v17, v9, s30
	v_or_b32_e32 v18, 0x400000, v9
	v_cmp_u_f32_e32 vcc, v9, v9
	v_cndmask_b32_e32 v9, v17, v18, vcc
	v_lshrrev_b32_e32 v9, 16, v9
	buffer_store_dword v9, off, s[60:63], 0 offset:172 ; 4-byte Folded Spill
	v_mul_f32_e32 v9, s31, v22
	v_bfe_u32 v17, v9, 16, 1
	v_add3_u32 v17, v17, v9, s30
	v_or_b32_e32 v18, 0x400000, v9
	v_cmp_u_f32_e32 vcc, v9, v9
	v_cndmask_b32_e32 v9, v17, v18, vcc
	v_lshrrev_b32_e32 v9, 16, v9
	buffer_store_dword v9, off, s[60:63], 0 offset:168 ; 4-byte Folded Spill
	;; [unrolled: 8-line block ×4, first 2 shown]
	v_mul_f32_e32 v9, s31, v11
	v_bfe_u32 v11, v9, 16, 1
	v_add3_u32 v11, v11, v9, s30
	v_or_b32_e32 v12, 0x400000, v9
	v_cmp_u_f32_e32 vcc, v9, v9
	v_cndmask_b32_e32 v9, v11, v12, vcc
	v_lshrrev_b32_e32 v9, 16, v9
	v_mul_f32_e32 v0, s31, v0
	buffer_store_dword v9, off, s[60:63], 0 offset:196 ; 4-byte Folded Spill
	v_bfe_u32 v9, v0, 16, 1
	v_add3_u32 v9, v9, v0, s30
	v_or_b32_e32 v11, 0x400000, v0
	v_cmp_u_f32_e32 vcc, v0, v0
	v_cndmask_b32_e32 v0, v9, v11, vcc
	v_lshrrev_b32_e32 v0, 16, v0
	buffer_store_dword v0, off, s[60:63], 0 offset:192 ; 4-byte Folded Spill
	v_mul_f32_e32 v0, s31, v25
	v_bfe_u32 v9, v0, 16, 1
	v_add3_u32 v9, v9, v0, s30
	v_or_b32_e32 v11, 0x400000, v0
	v_cmp_u_f32_e32 vcc, v0, v0
	v_cndmask_b32_e32 v0, v9, v11, vcc
	v_lshrrev_b32_e32 v0, 16, v0
	buffer_store_dword v0, off, s[60:63], 0 offset:176 ; 4-byte Folded Spill
	v_mul_f32_e32 v0, s31, v19
	v_bfe_u32 v9, v0, 16, 1
	v_add3_u32 v9, v9, v0, s30
	v_or_b32_e32 v11, 0x400000, v0
	v_cmp_u_f32_e32 vcc, v0, v0
	v_cndmask_b32_e32 v0, v9, v11, vcc
	v_lshrrev_b32_e32 v0, 16, v0
	buffer_store_dword v0, off, s[60:63], 0 offset:188 ; 4-byte Folded Spill
	s_and_saveexec_b64 s[16:17], s[0:1]
	s_cbranch_execz .LBB317_917
; %bb.916:                              ;   in Loop: Header=BB317_616 Depth=1
	buffer_load_dword v0, off, s[60:63], 0 offset:192 ; 4-byte Folded Reload
	v_cmp_gt_i32_e32 vcc, s33, v58
	s_waitcnt vmcnt(0)
	v_cndmask_b32_e32 v0, 0, v0, vcc
	buffer_store_dword v0, off, s[60:63], 0 offset:192 ; 4-byte Folded Spill
	buffer_load_dword v0, off, s[60:63], 0 offset:196 ; 4-byte Folded Reload
	v_cmp_gt_i32_e32 vcc, s33, v20
	s_waitcnt vmcnt(0)
	v_cndmask_b32_e32 v0, 0, v0, vcc
	buffer_store_dword v0, off, s[60:63], 0 offset:196 ; 4-byte Folded Spill
	;; [unrolled: 5-line block ×8, first 2 shown]
.LBB317_917:                            ;   in Loop: Header=BB317_616 Depth=1
	s_or_b64 exec, exec, s[16:17]
	global_load_dwordx2 v[17:18], v[15:16], off offset:3072
	v_mov_b32_e32 v11, 0
	v_mov_b32_e32 v0, 0
	s_waitcnt vmcnt(0)
	v_cmp_ne_u16_sdwa s[18:19], v17, v10 src0_sel:BYTE_0 src1_sel:DWORD
	s_and_saveexec_b64 s[16:17], s[18:19]
	s_cbranch_execz .LBB317_923
; %bb.918:                              ;   in Loop: Header=BB317_616 Depth=1
	v_cmp_ne_u16_sdwa s[20:21], v17, s28 src0_sel:BYTE_0 src1_sel:DWORD
	v_bfrev_b32_e32 v0, 1
	s_and_saveexec_b64 s[18:19], s[20:21]
	s_cbranch_execz .LBB317_922
; %bb.919:                              ;   in Loop: Header=BB317_616 Depth=1
	v_and_b32_e32 v9, 0x7f, v17
	v_cmp_ne_u32_e32 vcc, s29, v9
	v_mov_b32_e32 v0, 0x7f800001
	s_and_saveexec_b64 s[20:21], vcc
	s_cbranch_execz .LBB317_921
; %bb.920:                              ;   in Loop: Header=BB317_616 Depth=1
	v_and_b32_e32 v0, 7, v17
	v_ffbh_u32_e32 v0, v0
	v_min_u32_e32 v0, 32, v0
	v_lshrrev_b32_e32 v12, 3, v9
	v_cmp_gt_u32_e32 vcc, 8, v9
	v_subrev_u32_e32 v9, 28, v0
	v_cndmask_b32_e32 v9, 0, v9, vcc
	v_lshlrev_b64 v[21:22], v9, v[17:18]
	v_sub_u32_e32 v0, 29, v0
	v_cndmask_b32_e32 v0, v12, v0, vcc
	v_lshlrev_b32_e32 v9, 20, v21
	v_lshlrev_b32_e32 v12, 24, v17
	v_bfrev_b32_e32 v19, 60
	v_and_b32_e32 v9, 0x700000, v9
	v_and_b32_e32 v12, 0x80000000, v12
	v_lshl_add_u32 v0, v0, 23, v19
	v_or3_b32 v0, v12, v0, v9
.LBB317_921:                            ;   in Loop: Header=BB317_616 Depth=1
	s_or_b64 exec, exec, s[20:21]
.LBB317_922:                            ;   in Loop: Header=BB317_616 Depth=1
	s_or_b64 exec, exec, s[18:19]
.LBB317_923:                            ;   in Loop: Header=BB317_616 Depth=1
	s_or_b64 exec, exec, s[16:17]
	v_lshrrev_b16_e32 v9, 8, v17
	v_cmp_ne_u16_e32 vcc, 0, v9
	s_and_saveexec_b64 s[16:17], vcc
	s_cbranch_execz .LBB317_929
; %bb.924:                              ;   in Loop: Header=BB317_616 Depth=1
	v_cmp_ne_u16_e32 vcc, s28, v9
	v_bfrev_b32_e32 v11, 1
	s_and_saveexec_b64 s[18:19], vcc
	s_cbranch_execz .LBB317_928
; %bb.925:                              ;   in Loop: Header=BB317_616 Depth=1
	v_and_b32_e32 v12, 0x7f, v9
	v_cmp_ne_u32_e32 vcc, s29, v12
	v_mov_b32_e32 v11, 0x7f800001
	s_and_saveexec_b64 s[20:21], vcc
	s_cbranch_execz .LBB317_927
; %bb.926:                              ;   in Loop: Header=BB317_616 Depth=1
	v_and_b32_e32 v19, 7, v9
	v_ffbh_u32_e32 v11, v19
	v_min_u32_e32 v22, 32, v11
	v_subrev_u32_e32 v11, 28, v22
	v_lshrrev_b32_e32 v21, 3, v12
	v_cmp_gt_u32_e32 vcc, 8, v12
	v_lshlrev_b64 v[11:12], v11, v[9:10]
	v_sub_u32_e32 v9, 29, v22
	v_and_b32_e32 v11, 7, v11
	v_cndmask_b32_e32 v9, v21, v9, vcc
	v_cndmask_b32_e32 v11, v19, v11, vcc
	v_lshlrev_b32_e32 v12, 16, v17
	v_bfrev_b32_e32 v19, 60
	v_lshlrev_b32_e32 v11, 20, v11
	v_and_b32_e32 v12, 0x80000000, v12
	v_lshl_add_u32 v9, v9, 23, v19
	v_or3_b32 v11, v12, v9, v11
.LBB317_927:                            ;   in Loop: Header=BB317_616 Depth=1
	s_or_b64 exec, exec, s[20:21]
.LBB317_928:                            ;   in Loop: Header=BB317_616 Depth=1
	s_or_b64 exec, exec, s[18:19]
.LBB317_929:                            ;   in Loop: Header=BB317_616 Depth=1
	s_or_b64 exec, exec, s[16:17]
	v_lshrrev_b32_e32 v9, 16, v17
	v_cmp_ne_u16_sdwa s[18:19], v9, v10 src0_sel:BYTE_0 src1_sel:DWORD
	v_mov_b32_e32 v21, 0
	v_mov_b32_e32 v12, 0
	s_and_saveexec_b64 s[16:17], s[18:19]
	s_cbranch_execz .LBB317_935
; %bb.930:                              ;   in Loop: Header=BB317_616 Depth=1
	v_cmp_ne_u16_sdwa s[20:21], v9, s28 src0_sel:BYTE_0 src1_sel:DWORD
	v_bfrev_b32_e32 v12, 1
	s_and_saveexec_b64 s[18:19], s[20:21]
	s_cbranch_execz .LBB317_934
; %bb.931:                              ;   in Loop: Header=BB317_616 Depth=1
	v_bfe_u32 v19, v17, 16, 7
	v_cmp_ne_u32_e32 vcc, s29, v19
	v_mov_b32_e32 v12, 0x7f800001
	s_and_saveexec_b64 s[20:21], vcc
	s_cbranch_execz .LBB317_933
; %bb.932:                              ;   in Loop: Header=BB317_616 Depth=1
	v_and_b32_e32 v12, 7, v9
	v_lshrrev_b32_e32 v22, 3, v19
	v_cmp_gt_u32_e32 vcc, 8, v19
	v_ffbh_u32_e32 v19, v12
	v_min_u32_e32 v19, 32, v19
	v_subrev_u32_e32 v24, 28, v19
	v_lshlrev_b64 v[24:25], v24, v[9:10]
	v_sub_u32_e32 v19, 29, v19
	v_and_b32_e32 v24, 7, v24
	v_cndmask_b32_e32 v19, v22, v19, vcc
	v_cndmask_b32_e32 v12, v12, v24, vcc
	v_lshlrev_b32_e32 v9, 24, v9
	v_bfrev_b32_e32 v22, 60
	v_lshlrev_b32_e32 v12, 20, v12
	v_and_b32_e32 v9, 0x80000000, v9
	v_lshl_add_u32 v19, v19, 23, v22
	v_or3_b32 v12, v9, v19, v12
.LBB317_933:                            ;   in Loop: Header=BB317_616 Depth=1
	s_or_b64 exec, exec, s[20:21]
.LBB317_934:                            ;   in Loop: Header=BB317_616 Depth=1
	s_or_b64 exec, exec, s[18:19]
.LBB317_935:                            ;   in Loop: Header=BB317_616 Depth=1
	s_or_b64 exec, exec, s[16:17]
	v_cmp_lt_u32_e32 vcc, s5, v17
	s_and_saveexec_b64 s[16:17], vcc
	s_cbranch_execz .LBB317_941
; %bb.936:                              ;   in Loop: Header=BB317_616 Depth=1
	v_lshrrev_b32_e32 v9, 24, v17
	v_cmp_ne_u32_e32 vcc, s28, v9
	v_bfrev_b32_e32 v21, 1
	s_and_saveexec_b64 s[18:19], vcc
	s_cbranch_execz .LBB317_940
; %bb.937:                              ;   in Loop: Header=BB317_616 Depth=1
	v_bfe_u32 v19, v17, 24, 7
	v_cmp_ne_u32_e32 vcc, s29, v19
	v_mov_b32_e32 v21, 0x7f800001
	s_and_saveexec_b64 s[20:21], vcc
	s_cbranch_execz .LBB317_939
; %bb.938:                              ;   in Loop: Header=BB317_616 Depth=1
	v_and_b32_e32 v24, 7, v9
	v_lshrrev_b32_e32 v25, 3, v19
	v_cmp_gt_u32_e32 vcc, 8, v19
	v_ffbh_u32_e32 v19, v24
	v_min_u32_e32 v19, 32, v19
	v_subrev_u32_e32 v21, 28, v19
	v_lshlrev_b64 v[21:22], v21, v[9:10]
	v_sub_u32_e32 v19, 29, v19
	v_and_b32_e32 v21, 7, v21
	v_cndmask_b32_e32 v19, v25, v19, vcc
	v_cndmask_b32_e32 v21, v24, v21, vcc
	v_lshlrev_b32_e32 v9, 24, v9
	v_bfrev_b32_e32 v22, 60
	v_lshlrev_b32_e32 v21, 20, v21
	v_and_b32_e32 v9, 0x80000000, v9
	v_lshl_add_u32 v19, v19, 23, v22
	v_or3_b32 v21, v9, v19, v21
.LBB317_939:                            ;   in Loop: Header=BB317_616 Depth=1
	s_or_b64 exec, exec, s[20:21]
.LBB317_940:                            ;   in Loop: Header=BB317_616 Depth=1
	s_or_b64 exec, exec, s[18:19]
.LBB317_941:                            ;   in Loop: Header=BB317_616 Depth=1
	s_or_b64 exec, exec, s[16:17]
	v_mov_b32_e32 v9, v18
	v_cmp_ne_u16_sdwa s[18:19], v18, v10 src0_sel:BYTE_0 src1_sel:DWORD
	v_mov_b32_e32 v24, 0
	v_mov_b32_e32 v22, 0
	s_and_saveexec_b64 s[16:17], s[18:19]
	s_cbranch_execz .LBB317_947
; %bb.942:                              ;   in Loop: Header=BB317_616 Depth=1
	v_cmp_ne_u16_sdwa s[20:21], v18, s28 src0_sel:BYTE_0 src1_sel:DWORD
	v_bfrev_b32_e32 v22, 1
	s_and_saveexec_b64 s[18:19], s[20:21]
	s_cbranch_execz .LBB317_946
; %bb.943:                              ;   in Loop: Header=BB317_616 Depth=1
	v_and_b32_e32 v19, 0x7f, v18
	v_cmp_ne_u32_e32 vcc, s29, v19
	v_mov_b32_e32 v22, 0x7f800001
	s_and_saveexec_b64 s[20:21], vcc
	s_cbranch_execz .LBB317_945
; %bb.944:                              ;   in Loop: Header=BB317_616 Depth=1
	v_and_b32_e32 v22, 7, v18
	v_lshrrev_b32_e32 v25, 3, v19
	v_cmp_gt_u32_e32 vcc, 8, v19
	v_ffbh_u32_e32 v19, v22
	v_min_u32_e32 v19, 32, v19
	v_subrev_u32_e32 v22, 28, v19
	v_sub_u32_e32 v19, 29, v19
	v_cndmask_b32_e32 v22, 0, v22, vcc
	v_cndmask_b32_e32 v19, v25, v19, vcc
	v_lshlrev_b64 v[25:26], v22, v[9:10]
	v_bfrev_b32_e32 v26, 60
	v_lshlrev_b32_e32 v22, 20, v25
	v_lshlrev_b32_e32 v25, 24, v9
	v_and_b32_e32 v22, 0x700000, v22
	v_and_b32_e32 v25, 0x80000000, v25
	v_lshl_add_u32 v19, v19, 23, v26
	v_or3_b32 v22, v25, v19, v22
.LBB317_945:                            ;   in Loop: Header=BB317_616 Depth=1
	s_or_b64 exec, exec, s[20:21]
.LBB317_946:                            ;   in Loop: Header=BB317_616 Depth=1
	s_or_b64 exec, exec, s[18:19]
.LBB317_947:                            ;   in Loop: Header=BB317_616 Depth=1
	s_or_b64 exec, exec, s[16:17]
	v_lshrrev_b16_e32 v19, 8, v9
	v_cmp_ne_u16_e32 vcc, 0, v19
	s_and_saveexec_b64 s[16:17], vcc
	s_cbranch_execz .LBB317_953
; %bb.948:                              ;   in Loop: Header=BB317_616 Depth=1
	v_cmp_ne_u16_e32 vcc, s28, v19
	v_bfrev_b32_e32 v24, 1
	s_and_saveexec_b64 s[18:19], vcc
	s_cbranch_execz .LBB317_952
; %bb.949:                              ;   in Loop: Header=BB317_616 Depth=1
	v_and_b32_e32 v25, 0x7f, v19
	v_cmp_ne_u32_e32 vcc, s29, v25
	v_mov_b32_e32 v24, 0x7f800001
	s_and_saveexec_b64 s[20:21], vcc
	s_cbranch_execz .LBB317_951
; %bb.950:                              ;   in Loop: Header=BB317_616 Depth=1
	v_and_b32_e32 v26, 7, v19
	v_ffbh_u32_e32 v24, v26
	v_min_u32_e32 v28, 32, v24
	v_subrev_u32_e32 v24, 28, v28
	v_lshrrev_b32_e32 v27, 3, v25
	v_cmp_gt_u32_e32 vcc, 8, v25
	v_lshlrev_b64 v[24:25], v24, v[19:20]
	v_sub_u32_e32 v19, 29, v28
	v_and_b32_e32 v24, 7, v24
	v_cndmask_b32_e32 v19, v27, v19, vcc
	v_cndmask_b32_e32 v24, v26, v24, vcc
	v_lshlrev_b32_e32 v9, 16, v9
	v_bfrev_b32_e32 v25, 60
	v_lshlrev_b32_e32 v24, 20, v24
	v_and_b32_e32 v9, 0x80000000, v9
	v_lshl_add_u32 v19, v19, 23, v25
	v_or3_b32 v24, v9, v19, v24
.LBB317_951:                            ;   in Loop: Header=BB317_616 Depth=1
	s_or_b64 exec, exec, s[20:21]
.LBB317_952:                            ;   in Loop: Header=BB317_616 Depth=1
	s_or_b64 exec, exec, s[18:19]
.LBB317_953:                            ;   in Loop: Header=BB317_616 Depth=1
	s_or_b64 exec, exec, s[16:17]
	v_lshrrev_b32_e32 v9, 16, v18
	v_cmp_ne_u16_sdwa s[18:19], v9, v10 src0_sel:BYTE_0 src1_sel:DWORD
	v_mov_b32_e32 v19, 0
	v_mov_b32_e32 v25, 0
	s_and_saveexec_b64 s[16:17], s[18:19]
	s_cbranch_execz .LBB317_959
; %bb.954:                              ;   in Loop: Header=BB317_616 Depth=1
	v_cmp_ne_u16_sdwa s[20:21], v9, s28 src0_sel:BYTE_0 src1_sel:DWORD
	v_bfrev_b32_e32 v25, 1
	s_and_saveexec_b64 s[18:19], s[20:21]
	s_cbranch_execz .LBB317_958
; %bb.955:                              ;   in Loop: Header=BB317_616 Depth=1
	v_bfe_u32 v26, v18, 16, 7
	v_cmp_ne_u32_e32 vcc, s29, v26
	v_mov_b32_e32 v25, 0x7f800001
	s_and_saveexec_b64 s[20:21], vcc
	s_cbranch_execz .LBB317_957
; %bb.956:                              ;   in Loop: Header=BB317_616 Depth=1
	v_and_b32_e32 v27, 7, v9
	v_ffbh_u32_e32 v25, v27
	v_min_u32_e32 v29, 32, v25
	v_subrev_u32_e32 v25, 28, v29
	v_lshrrev_b32_e32 v28, 3, v26
	v_cmp_gt_u32_e32 vcc, 8, v26
	v_lshlrev_b64 v[25:26], v25, v[9:10]
	v_sub_u32_e32 v26, 29, v29
	v_and_b32_e32 v25, 7, v25
	v_cndmask_b32_e32 v26, v28, v26, vcc
	v_cndmask_b32_e32 v25, v27, v25, vcc
	v_lshlrev_b32_e32 v9, 24, v9
	v_bfrev_b32_e32 v27, 60
	v_lshlrev_b32_e32 v25, 20, v25
	v_and_b32_e32 v9, 0x80000000, v9
	v_lshl_add_u32 v26, v26, 23, v27
	v_or3_b32 v25, v9, v26, v25
.LBB317_957:                            ;   in Loop: Header=BB317_616 Depth=1
	s_or_b64 exec, exec, s[20:21]
.LBB317_958:                            ;   in Loop: Header=BB317_616 Depth=1
	s_or_b64 exec, exec, s[18:19]
.LBB317_959:                            ;   in Loop: Header=BB317_616 Depth=1
	s_or_b64 exec, exec, s[16:17]
	v_cmp_lt_u64_e32 vcc, s[4:5], v[17:18]
	s_and_saveexec_b64 s[16:17], vcc
	s_cbranch_execz .LBB317_965
; %bb.960:                              ;   in Loop: Header=BB317_616 Depth=1
	v_lshrrev_b32_e32 v9, 24, v18
	v_cmp_ne_u32_e32 vcc, s28, v9
	v_bfrev_b32_e32 v19, 1
	s_and_saveexec_b64 s[18:19], vcc
	s_cbranch_execz .LBB317_964
; %bb.961:                              ;   in Loop: Header=BB317_616 Depth=1
	v_bfe_u32 v17, v18, 24, 7
	v_cmp_ne_u32_e32 vcc, s29, v17
	v_mov_b32_e32 v19, 0x7f800001
	s_and_saveexec_b64 s[20:21], vcc
	s_cbranch_execz .LBB317_963
; %bb.962:                              ;   in Loop: Header=BB317_616 Depth=1
	v_and_b32_e32 v19, 7, v9
	v_lshrrev_b32_e32 v26, 3, v17
	v_cmp_gt_u32_e32 vcc, 8, v17
	v_ffbh_u32_e32 v17, v19
	v_min_u32_e32 v27, 32, v17
	v_subrev_u32_e32 v17, 28, v27
	v_lshlrev_b64 v[17:18], v17, v[9:10]
	v_sub_u32_e32 v18, 29, v27
	v_and_b32_e32 v17, 7, v17
	v_cndmask_b32_e32 v18, v26, v18, vcc
	v_cndmask_b32_e32 v17, v19, v17, vcc
	v_lshlrev_b32_e32 v9, 24, v9
	v_bfrev_b32_e32 v19, 60
	v_lshlrev_b32_e32 v17, 20, v17
	v_and_b32_e32 v9, 0x80000000, v9
	v_lshl_add_u32 v18, v18, 23, v19
	v_or3_b32 v19, v9, v18, v17
.LBB317_963:                            ;   in Loop: Header=BB317_616 Depth=1
	s_or_b64 exec, exec, s[20:21]
.LBB317_964:                            ;   in Loop: Header=BB317_616 Depth=1
	s_or_b64 exec, exec, s[18:19]
.LBB317_965:                            ;   in Loop: Header=BB317_616 Depth=1
	s_or_b64 exec, exec, s[16:17]
	v_mul_f32_e32 v9, s31, v24
	v_bfe_u32 v17, v9, 16, 1
	v_add3_u32 v17, v17, v9, s30
	v_or_b32_e32 v18, 0x400000, v9
	v_cmp_u_f32_e32 vcc, v9, v9
	v_cndmask_b32_e32 v9, v17, v18, vcc
	v_lshrrev_b32_e32 v9, 16, v9
	buffer_store_dword v9, off, s[60:63], 0 offset:204 ; 4-byte Folded Spill
	v_mul_f32_e32 v9, s31, v22
	v_bfe_u32 v17, v9, 16, 1
	v_add3_u32 v17, v17, v9, s30
	v_or_b32_e32 v18, 0x400000, v9
	v_cmp_u_f32_e32 vcc, v9, v9
	v_cndmask_b32_e32 v9, v17, v18, vcc
	v_lshrrev_b32_e32 v9, 16, v9
	buffer_store_dword v9, off, s[60:63], 0 offset:200 ; 4-byte Folded Spill
	;; [unrolled: 8-line block ×4, first 2 shown]
	v_mul_f32_e32 v9, s31, v11
	v_bfe_u32 v11, v9, 16, 1
	v_add3_u32 v11, v11, v9, s30
	v_or_b32_e32 v12, 0x400000, v9
	v_cmp_u_f32_e32 vcc, v9, v9
	v_cndmask_b32_e32 v9, v11, v12, vcc
	v_lshrrev_b32_e32 v9, 16, v9
	v_mul_f32_e32 v0, s31, v0
	buffer_store_dword v9, off, s[60:63], 0 offset:228 ; 4-byte Folded Spill
	v_bfe_u32 v9, v0, 16, 1
	v_add3_u32 v9, v9, v0, s30
	v_or_b32_e32 v11, 0x400000, v0
	v_cmp_u_f32_e32 vcc, v0, v0
	v_cndmask_b32_e32 v0, v9, v11, vcc
	v_lshrrev_b32_e32 v0, 16, v0
	buffer_store_dword v0, off, s[60:63], 0 offset:224 ; 4-byte Folded Spill
	v_mul_f32_e32 v0, s31, v25
	v_bfe_u32 v9, v0, 16, 1
	v_add3_u32 v9, v9, v0, s30
	v_or_b32_e32 v11, 0x400000, v0
	v_cmp_u_f32_e32 vcc, v0, v0
	v_cndmask_b32_e32 v0, v9, v11, vcc
	v_lshrrev_b32_e32 v0, 16, v0
	buffer_store_dword v0, off, s[60:63], 0 offset:208 ; 4-byte Folded Spill
	v_mul_f32_e32 v0, s31, v19
	v_bfe_u32 v9, v0, 16, 1
	v_add3_u32 v9, v9, v0, s30
	v_or_b32_e32 v11, 0x400000, v0
	v_cmp_u_f32_e32 vcc, v0, v0
	v_cndmask_b32_e32 v0, v9, v11, vcc
	v_lshrrev_b32_e32 v0, 16, v0
	buffer_store_dword v0, off, s[60:63], 0 offset:220 ; 4-byte Folded Spill
	s_and_saveexec_b64 s[16:17], s[0:1]
	s_cbranch_execz .LBB317_967
; %bb.966:                              ;   in Loop: Header=BB317_616 Depth=1
	buffer_load_dword v0, off, s[60:63], 0 offset:224 ; 4-byte Folded Reload
	v_cmp_gt_i32_e32 vcc, s33, v58
	s_waitcnt vmcnt(0)
	v_cndmask_b32_e32 v0, 0, v0, vcc
	buffer_store_dword v0, off, s[60:63], 0 offset:224 ; 4-byte Folded Spill
	buffer_load_dword v0, off, s[60:63], 0 offset:228 ; 4-byte Folded Reload
	v_cmp_gt_i32_e32 vcc, s33, v20
	s_waitcnt vmcnt(0)
	v_cndmask_b32_e32 v0, 0, v0, vcc
	buffer_store_dword v0, off, s[60:63], 0 offset:228 ; 4-byte Folded Spill
	;; [unrolled: 5-line block ×8, first 2 shown]
.LBB317_967:                            ;   in Loop: Header=BB317_616 Depth=1
	s_or_b64 exec, exec, s[16:17]
	global_load_dwordx2 v[17:18], v[15:16], off offset:3584
	v_mov_b32_e32 v11, 0
	v_mov_b32_e32 v0, 0
	s_waitcnt vmcnt(0)
	v_cmp_ne_u16_sdwa s[18:19], v17, v10 src0_sel:BYTE_0 src1_sel:DWORD
	s_and_saveexec_b64 s[16:17], s[18:19]
	s_cbranch_execz .LBB317_973
; %bb.968:                              ;   in Loop: Header=BB317_616 Depth=1
	v_cmp_ne_u16_sdwa s[20:21], v17, s28 src0_sel:BYTE_0 src1_sel:DWORD
	v_bfrev_b32_e32 v0, 1
	s_and_saveexec_b64 s[18:19], s[20:21]
	s_cbranch_execz .LBB317_972
; %bb.969:                              ;   in Loop: Header=BB317_616 Depth=1
	v_and_b32_e32 v9, 0x7f, v17
	v_cmp_ne_u32_e32 vcc, s29, v9
	v_mov_b32_e32 v0, 0x7f800001
	s_and_saveexec_b64 s[20:21], vcc
	s_cbranch_execz .LBB317_971
; %bb.970:                              ;   in Loop: Header=BB317_616 Depth=1
	v_and_b32_e32 v0, 7, v17
	v_ffbh_u32_e32 v0, v0
	v_min_u32_e32 v0, 32, v0
	v_lshrrev_b32_e32 v12, 3, v9
	v_cmp_gt_u32_e32 vcc, 8, v9
	v_subrev_u32_e32 v9, 28, v0
	v_cndmask_b32_e32 v9, 0, v9, vcc
	v_lshlrev_b64 v[21:22], v9, v[17:18]
	v_sub_u32_e32 v0, 29, v0
	v_cndmask_b32_e32 v0, v12, v0, vcc
	v_lshlrev_b32_e32 v9, 20, v21
	v_lshlrev_b32_e32 v12, 24, v17
	v_bfrev_b32_e32 v19, 60
	v_and_b32_e32 v9, 0x700000, v9
	v_and_b32_e32 v12, 0x80000000, v12
	v_lshl_add_u32 v0, v0, 23, v19
	v_or3_b32 v0, v12, v0, v9
.LBB317_971:                            ;   in Loop: Header=BB317_616 Depth=1
	s_or_b64 exec, exec, s[20:21]
.LBB317_972:                            ;   in Loop: Header=BB317_616 Depth=1
	s_or_b64 exec, exec, s[18:19]
.LBB317_973:                            ;   in Loop: Header=BB317_616 Depth=1
	s_or_b64 exec, exec, s[16:17]
	v_lshrrev_b16_e32 v9, 8, v17
	v_cmp_ne_u16_e32 vcc, 0, v9
	s_and_saveexec_b64 s[16:17], vcc
	s_cbranch_execz .LBB317_979
; %bb.974:                              ;   in Loop: Header=BB317_616 Depth=1
	v_cmp_ne_u16_e32 vcc, s28, v9
	v_bfrev_b32_e32 v11, 1
	s_and_saveexec_b64 s[18:19], vcc
	s_cbranch_execz .LBB317_978
; %bb.975:                              ;   in Loop: Header=BB317_616 Depth=1
	v_and_b32_e32 v12, 0x7f, v9
	v_cmp_ne_u32_e32 vcc, s29, v12
	v_mov_b32_e32 v11, 0x7f800001
	s_and_saveexec_b64 s[20:21], vcc
	s_cbranch_execz .LBB317_977
; %bb.976:                              ;   in Loop: Header=BB317_616 Depth=1
	v_and_b32_e32 v19, 7, v9
	v_ffbh_u32_e32 v11, v19
	v_min_u32_e32 v22, 32, v11
	v_subrev_u32_e32 v11, 28, v22
	v_lshrrev_b32_e32 v21, 3, v12
	v_cmp_gt_u32_e32 vcc, 8, v12
	v_lshlrev_b64 v[11:12], v11, v[9:10]
	v_sub_u32_e32 v9, 29, v22
	v_and_b32_e32 v11, 7, v11
	v_cndmask_b32_e32 v9, v21, v9, vcc
	v_cndmask_b32_e32 v11, v19, v11, vcc
	v_lshlrev_b32_e32 v12, 16, v17
	v_bfrev_b32_e32 v19, 60
	v_lshlrev_b32_e32 v11, 20, v11
	v_and_b32_e32 v12, 0x80000000, v12
	v_lshl_add_u32 v9, v9, 23, v19
	v_or3_b32 v11, v12, v9, v11
.LBB317_977:                            ;   in Loop: Header=BB317_616 Depth=1
	s_or_b64 exec, exec, s[20:21]
.LBB317_978:                            ;   in Loop: Header=BB317_616 Depth=1
	s_or_b64 exec, exec, s[18:19]
.LBB317_979:                            ;   in Loop: Header=BB317_616 Depth=1
	s_or_b64 exec, exec, s[16:17]
	v_lshrrev_b32_e32 v9, 16, v17
	v_cmp_ne_u16_sdwa s[18:19], v9, v10 src0_sel:BYTE_0 src1_sel:DWORD
	v_mov_b32_e32 v25, 0
	v_mov_b32_e32 v24, 0
	s_and_saveexec_b64 s[16:17], s[18:19]
	s_cbranch_execz .LBB317_985
; %bb.980:                              ;   in Loop: Header=BB317_616 Depth=1
	v_cmp_ne_u16_sdwa s[20:21], v9, s28 src0_sel:BYTE_0 src1_sel:DWORD
	v_bfrev_b32_e32 v24, 1
	s_and_saveexec_b64 s[18:19], s[20:21]
	s_cbranch_execz .LBB317_984
; %bb.981:                              ;   in Loop: Header=BB317_616 Depth=1
	v_bfe_u32 v12, v17, 16, 7
	v_cmp_ne_u32_e32 vcc, s29, v12
	v_mov_b32_e32 v24, 0x7f800001
	s_and_saveexec_b64 s[20:21], vcc
	s_cbranch_execz .LBB317_983
; %bb.982:                              ;   in Loop: Header=BB317_616 Depth=1
	v_and_b32_e32 v19, 7, v9
	v_lshrrev_b32_e32 v24, 3, v12
	v_cmp_gt_u32_e32 vcc, 8, v12
	v_ffbh_u32_e32 v12, v19
	v_min_u32_e32 v12, 32, v12
	v_subrev_u32_e32 v21, 28, v12
	v_lshlrev_b64 v[21:22], v21, v[9:10]
	v_sub_u32_e32 v12, 29, v12
	v_and_b32_e32 v21, 7, v21
	v_cndmask_b32_e32 v12, v24, v12, vcc
	v_cndmask_b32_e32 v19, v19, v21, vcc
	v_lshlrev_b32_e32 v9, 24, v9
	v_bfrev_b32_e32 v21, 60
	v_lshlrev_b32_e32 v19, 20, v19
	v_and_b32_e32 v9, 0x80000000, v9
	v_lshl_add_u32 v12, v12, 23, v21
	v_or3_b32 v24, v9, v12, v19
.LBB317_983:                            ;   in Loop: Header=BB317_616 Depth=1
	s_or_b64 exec, exec, s[20:21]
.LBB317_984:                            ;   in Loop: Header=BB317_616 Depth=1
	s_or_b64 exec, exec, s[18:19]
.LBB317_985:                            ;   in Loop: Header=BB317_616 Depth=1
	s_or_b64 exec, exec, s[16:17]
	v_cmp_lt_u32_e32 vcc, s5, v17
	s_and_saveexec_b64 s[16:17], vcc
	s_cbranch_execz .LBB317_991
; %bb.986:                              ;   in Loop: Header=BB317_616 Depth=1
	v_lshrrev_b32_e32 v9, 24, v17
	v_cmp_ne_u32_e32 vcc, s28, v9
	v_bfrev_b32_e32 v25, 1
	s_and_saveexec_b64 s[18:19], vcc
	s_cbranch_execz .LBB317_990
; %bb.987:                              ;   in Loop: Header=BB317_616 Depth=1
	v_bfe_u32 v12, v17, 24, 7
	v_cmp_ne_u32_e32 vcc, s29, v12
	v_mov_b32_e32 v25, 0x7f800001
	s_and_saveexec_b64 s[20:21], vcc
	s_cbranch_execz .LBB317_989
; %bb.988:                              ;   in Loop: Header=BB317_616 Depth=1
	v_and_b32_e32 v19, 7, v9
	v_lshrrev_b32_e32 v25, 3, v12
	v_cmp_gt_u32_e32 vcc, 8, v12
	v_ffbh_u32_e32 v12, v19
	v_min_u32_e32 v12, 32, v12
	v_subrev_u32_e32 v21, 28, v12
	v_lshlrev_b64 v[21:22], v21, v[9:10]
	v_sub_u32_e32 v12, 29, v12
	v_and_b32_e32 v21, 7, v21
	v_cndmask_b32_e32 v12, v25, v12, vcc
	v_cndmask_b32_e32 v19, v19, v21, vcc
	v_lshlrev_b32_e32 v9, 24, v9
	v_bfrev_b32_e32 v21, 60
	v_lshlrev_b32_e32 v19, 20, v19
	v_and_b32_e32 v9, 0x80000000, v9
	v_lshl_add_u32 v12, v12, 23, v21
	v_or3_b32 v25, v9, v12, v19
.LBB317_989:                            ;   in Loop: Header=BB317_616 Depth=1
	s_or_b64 exec, exec, s[20:21]
.LBB317_990:                            ;   in Loop: Header=BB317_616 Depth=1
	s_or_b64 exec, exec, s[18:19]
.LBB317_991:                            ;   in Loop: Header=BB317_616 Depth=1
	s_or_b64 exec, exec, s[16:17]
	v_mov_b32_e32 v9, v18
	v_cmp_ne_u16_sdwa s[18:19], v18, v10 src0_sel:BYTE_0 src1_sel:DWORD
	v_mov_b32_e32 v26, 0
	v_mov_b32_e32 v22, 0
	s_and_saveexec_b64 s[16:17], s[18:19]
	s_cbranch_execz .LBB317_997
; %bb.992:                              ;   in Loop: Header=BB317_616 Depth=1
	v_cmp_ne_u16_sdwa s[20:21], v18, s28 src0_sel:BYTE_0 src1_sel:DWORD
	v_bfrev_b32_e32 v22, 1
	s_and_saveexec_b64 s[18:19], s[20:21]
	s_cbranch_execz .LBB317_996
; %bb.993:                              ;   in Loop: Header=BB317_616 Depth=1
	v_and_b32_e32 v12, 0x7f, v18
	v_cmp_ne_u32_e32 vcc, s29, v12
	v_mov_b32_e32 v22, 0x7f800001
	s_and_saveexec_b64 s[20:21], vcc
	s_cbranch_execz .LBB317_995
; %bb.994:                              ;   in Loop: Header=BB317_616 Depth=1
	v_and_b32_e32 v19, 7, v18
	v_lshrrev_b32_e32 v21, 3, v12
	v_cmp_gt_u32_e32 vcc, 8, v12
	v_ffbh_u32_e32 v12, v19
	v_min_u32_e32 v12, 32, v12
	v_subrev_u32_e32 v19, 28, v12
	v_sub_u32_e32 v12, 29, v12
	v_cndmask_b32_e32 v19, 0, v19, vcc
	v_cndmask_b32_e32 v12, v21, v12, vcc
	v_lshlrev_b64 v[21:22], v19, v[9:10]
	v_bfrev_b32_e32 v22, 60
	v_lshlrev_b32_e32 v19, 20, v21
	v_lshlrev_b32_e32 v21, 24, v9
	v_and_b32_e32 v19, 0x700000, v19
	v_and_b32_e32 v21, 0x80000000, v21
	v_lshl_add_u32 v12, v12, 23, v22
	v_or3_b32 v22, v21, v12, v19
.LBB317_995:                            ;   in Loop: Header=BB317_616 Depth=1
	s_or_b64 exec, exec, s[20:21]
.LBB317_996:                            ;   in Loop: Header=BB317_616 Depth=1
	s_or_b64 exec, exec, s[18:19]
.LBB317_997:                            ;   in Loop: Header=BB317_616 Depth=1
	s_or_b64 exec, exec, s[16:17]
	v_lshrrev_b16_e32 v19, 8, v9
	v_cmp_ne_u16_e32 vcc, 0, v19
	s_and_saveexec_b64 s[16:17], vcc
	s_cbranch_execz .LBB317_1003
; %bb.998:                              ;   in Loop: Header=BB317_616 Depth=1
	v_cmp_ne_u16_e32 vcc, s28, v19
	v_bfrev_b32_e32 v26, 1
	s_and_saveexec_b64 s[18:19], vcc
	s_cbranch_execz .LBB317_1002
; %bb.999:                              ;   in Loop: Header=BB317_616 Depth=1
	v_and_b32_e32 v12, 0x7f, v19
	v_cmp_ne_u32_e32 vcc, s29, v12
	v_mov_b32_e32 v26, 0x7f800001
	s_and_saveexec_b64 s[20:21], vcc
	s_cbranch_execz .LBB317_1001
; %bb.1000:                             ;   in Loop: Header=BB317_616 Depth=1
	v_and_b32_e32 v21, 7, v19
	v_lshrrev_b32_e32 v28, 3, v12
	v_cmp_gt_u32_e32 vcc, 8, v12
	v_ffbh_u32_e32 v12, v21
	v_min_u32_e32 v12, 32, v12
	v_subrev_u32_e32 v26, 28, v12
	v_lshlrev_b64 v[26:27], v26, v[19:20]
	v_sub_u32_e32 v12, 29, v12
	v_and_b32_e32 v19, 7, v26
	v_cndmask_b32_e32 v12, v28, v12, vcc
	v_cndmask_b32_e32 v19, v21, v19, vcc
	v_lshlrev_b32_e32 v9, 16, v9
	v_bfrev_b32_e32 v21, 60
	v_lshlrev_b32_e32 v19, 20, v19
	v_and_b32_e32 v9, 0x80000000, v9
	v_lshl_add_u32 v12, v12, 23, v21
	v_or3_b32 v26, v9, v12, v19
.LBB317_1001:                           ;   in Loop: Header=BB317_616 Depth=1
	s_or_b64 exec, exec, s[20:21]
.LBB317_1002:                           ;   in Loop: Header=BB317_616 Depth=1
	s_or_b64 exec, exec, s[18:19]
.LBB317_1003:                           ;   in Loop: Header=BB317_616 Depth=1
	s_or_b64 exec, exec, s[16:17]
	v_lshrrev_b32_e32 v9, 16, v18
	v_cmp_ne_u16_sdwa s[18:19], v9, v10 src0_sel:BYTE_0 src1_sel:DWORD
	v_mov_b32_e32 v19, 0
	v_mov_b32_e32 v12, 0
	s_and_saveexec_b64 s[16:17], s[18:19]
	s_cbranch_execz .LBB317_1009
; %bb.1004:                             ;   in Loop: Header=BB317_616 Depth=1
	v_cmp_ne_u16_sdwa s[20:21], v9, s28 src0_sel:BYTE_0 src1_sel:DWORD
	v_bfrev_b32_e32 v12, 1
	s_and_saveexec_b64 s[18:19], s[20:21]
	s_cbranch_execz .LBB317_1008
; %bb.1005:                             ;   in Loop: Header=BB317_616 Depth=1
	v_bfe_u32 v27, v18, 16, 7
	v_cmp_ne_u32_e32 vcc, s29, v27
	v_mov_b32_e32 v12, 0x7f800001
	s_and_saveexec_b64 s[20:21], vcc
	s_cbranch_execz .LBB317_1007
; %bb.1006:                             ;   in Loop: Header=BB317_616 Depth=1
	v_and_b32_e32 v12, 7, v9
	v_lshrrev_b32_e32 v21, 3, v27
	v_cmp_gt_u32_e32 vcc, 8, v27
	v_ffbh_u32_e32 v27, v12
	v_min_u32_e32 v29, 32, v27
	v_subrev_u32_e32 v27, 28, v29
	v_lshlrev_b64 v[27:28], v27, v[9:10]
	v_sub_u32_e32 v28, 29, v29
	v_and_b32_e32 v27, 7, v27
	v_cndmask_b32_e32 v21, v21, v28, vcc
	v_cndmask_b32_e32 v12, v12, v27, vcc
	v_lshlrev_b32_e32 v9, 24, v9
	v_bfrev_b32_e32 v27, 60
	v_lshlrev_b32_e32 v12, 20, v12
	v_and_b32_e32 v9, 0x80000000, v9
	v_lshl_add_u32 v21, v21, 23, v27
	v_or3_b32 v12, v9, v21, v12
.LBB317_1007:                           ;   in Loop: Header=BB317_616 Depth=1
	s_or_b64 exec, exec, s[20:21]
.LBB317_1008:                           ;   in Loop: Header=BB317_616 Depth=1
	s_or_b64 exec, exec, s[18:19]
.LBB317_1009:                           ;   in Loop: Header=BB317_616 Depth=1
	s_or_b64 exec, exec, s[16:17]
	v_cmp_lt_u64_e32 vcc, s[4:5], v[17:18]
	s_and_saveexec_b64 s[16:17], vcc
	s_cbranch_execz .LBB317_1015
; %bb.1010:                             ;   in Loop: Header=BB317_616 Depth=1
	v_lshrrev_b32_e32 v9, 24, v18
	v_cmp_ne_u32_e32 vcc, s28, v9
	v_bfrev_b32_e32 v19, 1
	s_and_saveexec_b64 s[18:19], vcc
	s_cbranch_execz .LBB317_1014
; %bb.1011:                             ;   in Loop: Header=BB317_616 Depth=1
	v_bfe_u32 v17, v18, 24, 7
	v_cmp_ne_u32_e32 vcc, s29, v17
	v_mov_b32_e32 v19, 0x7f800001
	s_and_saveexec_b64 s[20:21], vcc
	s_cbranch_execz .LBB317_1013
; %bb.1012:                             ;   in Loop: Header=BB317_616 Depth=1
	v_and_b32_e32 v19, 7, v9
	v_lshrrev_b32_e32 v21, 3, v17
	v_cmp_gt_u32_e32 vcc, 8, v17
	v_ffbh_u32_e32 v17, v19
	v_min_u32_e32 v27, 32, v17
	v_subrev_u32_e32 v17, 28, v27
	v_lshlrev_b64 v[17:18], v17, v[9:10]
	v_sub_u32_e32 v18, 29, v27
	v_and_b32_e32 v17, 7, v17
	v_cndmask_b32_e32 v18, v21, v18, vcc
	v_cndmask_b32_e32 v17, v19, v17, vcc
	v_lshlrev_b32_e32 v9, 24, v9
	v_bfrev_b32_e32 v19, 60
	v_lshlrev_b32_e32 v17, 20, v17
	v_and_b32_e32 v9, 0x80000000, v9
	v_lshl_add_u32 v18, v18, 23, v19
	v_or3_b32 v19, v9, v18, v17
.LBB317_1013:                           ;   in Loop: Header=BB317_616 Depth=1
	s_or_b64 exec, exec, s[20:21]
.LBB317_1014:                           ;   in Loop: Header=BB317_616 Depth=1
	s_or_b64 exec, exec, s[18:19]
.LBB317_1015:                           ;   in Loop: Header=BB317_616 Depth=1
	s_or_b64 exec, exec, s[16:17]
	v_mul_f32_e32 v9, s31, v26
	v_bfe_u32 v17, v9, 16, 1
	v_add3_u32 v17, v17, v9, s30
	v_or_b32_e32 v18, 0x400000, v9
	v_cmp_u_f32_e32 vcc, v9, v9
	v_cndmask_b32_e32 v9, v17, v18, vcc
	v_lshrrev_b32_e32 v26, 16, v9
	v_mul_f32_e32 v9, s31, v22
	v_bfe_u32 v17, v9, 16, 1
	v_add3_u32 v17, v17, v9, s30
	v_or_b32_e32 v18, 0x400000, v9
	v_cmp_u_f32_e32 vcc, v9, v9
	v_cndmask_b32_e32 v9, v17, v18, vcc
	v_lshrrev_b32_e32 v17, 16, v9
	v_mul_f32_e32 v9, s31, v25
	v_mov_b32_e32 v25, v17
	v_bfe_u32 v17, v9, 16, 1
	v_add3_u32 v17, v17, v9, s30
	v_or_b32_e32 v18, 0x400000, v9
	v_cmp_u_f32_e32 vcc, v9, v9
	v_cndmask_b32_e32 v9, v17, v18, vcc
	v_lshrrev_b32_e32 v29, 16, v9
	v_mul_f32_e32 v9, s31, v24
	v_bfe_u32 v17, v9, 16, 1
	v_add3_u32 v17, v17, v9, s30
	v_or_b32_e32 v18, 0x400000, v9
	v_cmp_u_f32_e32 vcc, v9, v9
	v_cndmask_b32_e32 v9, v17, v18, vcc
	v_lshrrev_b32_e32 v28, 16, v9
	v_mul_f32_e32 v9, s31, v11
	;; [unrolled: 7-line block ×3, first 2 shown]
	buffer_store_dword v9, off, s[60:63], 0 offset:240 ; 4-byte Folded Spill
	v_bfe_u32 v9, v0, 16, 1
	v_add3_u32 v9, v9, v0, s30
	v_or_b32_e32 v11, 0x400000, v0
	v_cmp_u_f32_e32 vcc, v0, v0
	v_cndmask_b32_e32 v0, v9, v11, vcc
	v_lshrrev_b32_e32 v0, 16, v0
	buffer_store_dword v0, off, s[60:63], 0 offset:236 ; 4-byte Folded Spill
	v_mul_f32_e32 v0, s31, v12
	v_bfe_u32 v9, v0, 16, 1
	v_add3_u32 v9, v9, v0, s30
	v_or_b32_e32 v11, 0x400000, v0
	v_cmp_u_f32_e32 vcc, v0, v0
	v_cndmask_b32_e32 v0, v9, v11, vcc
	v_lshrrev_b32_e32 v27, 16, v0
	v_mul_f32_e32 v0, s31, v19
	v_bfe_u32 v9, v0, 16, 1
	v_add3_u32 v9, v9, v0, s30
	v_or_b32_e32 v11, 0x400000, v0
	v_cmp_u_f32_e32 vcc, v0, v0
	v_cndmask_b32_e32 v0, v9, v11, vcc
	v_lshrrev_b32_e32 v0, 16, v0
	buffer_store_dword v0, off, s[60:63], 0 offset:232 ; 4-byte Folded Spill
	s_and_saveexec_b64 s[16:17], s[0:1]
	s_cbranch_execz .LBB317_1017
; %bb.1016:                             ;   in Loop: Header=BB317_616 Depth=1
	buffer_load_dword v0, off, s[60:63], 0 offset:236 ; 4-byte Folded Reload
	v_cmp_gt_i32_e32 vcc, s33, v58
	s_waitcnt vmcnt(0)
	v_cndmask_b32_e32 v0, 0, v0, vcc
	buffer_store_dword v0, off, s[60:63], 0 offset:236 ; 4-byte Folded Spill
	buffer_load_dword v0, off, s[60:63], 0 offset:240 ; 4-byte Folded Reload
	v_cmp_gt_i32_e32 vcc, s33, v20
	s_waitcnt vmcnt(0)
	v_cndmask_b32_e32 v0, 0, v0, vcc
	buffer_store_dword v0, off, s[60:63], 0 offset:240 ; 4-byte Folded Spill
	buffer_load_dword v0, off, s[60:63], 0 offset:232 ; 4-byte Folded Reload
	v_cmp_gt_i32_e32 vcc, s33, v23
	v_cndmask_b32_e32 v28, 0, v28, vcc
	v_cmp_gt_i32_e32 vcc, s33, v63
	v_cndmask_b32_e32 v29, 0, v29, vcc
	;; [unrolled: 2-line block ×5, first 2 shown]
	v_cmp_gt_i32_e32 vcc, s33, v59
	s_waitcnt vmcnt(0)
	v_cndmask_b32_e32 v0, 0, v0, vcc
	buffer_store_dword v0, off, s[60:63], 0 offset:232 ; 4-byte Folded Spill
.LBB317_1017:                           ;   in Loop: Header=BB317_616 Depth=1
	s_or_b64 exec, exec, s[16:17]
	v_add_co_u32_e32 v11, vcc, 0x1000, v15
	v_addc_co_u32_e32 v12, vcc, 0, v16, vcc
	global_load_dwordx2 v[17:18], v[11:12], off
	v_mov_b32_e32 v11, 0
	v_mov_b32_e32 v0, 0
	s_waitcnt vmcnt(0)
	v_cmp_ne_u16_sdwa s[18:19], v17, v10 src0_sel:BYTE_0 src1_sel:DWORD
	s_and_saveexec_b64 s[16:17], s[18:19]
	s_cbranch_execz .LBB317_1023
; %bb.1018:                             ;   in Loop: Header=BB317_616 Depth=1
	v_cmp_ne_u16_sdwa s[20:21], v17, s28 src0_sel:BYTE_0 src1_sel:DWORD
	v_bfrev_b32_e32 v0, 1
	s_and_saveexec_b64 s[18:19], s[20:21]
	s_cbranch_execz .LBB317_1022
; %bb.1019:                             ;   in Loop: Header=BB317_616 Depth=1
	v_and_b32_e32 v9, 0x7f, v17
	v_cmp_ne_u32_e32 vcc, s29, v9
	v_mov_b32_e32 v0, 0x7f800001
	s_and_saveexec_b64 s[20:21], vcc
	s_cbranch_execz .LBB317_1021
; %bb.1020:                             ;   in Loop: Header=BB317_616 Depth=1
	v_and_b32_e32 v0, 7, v17
	v_ffbh_u32_e32 v0, v0
	v_min_u32_e32 v0, 32, v0
	v_lshrrev_b32_e32 v12, 3, v9
	v_cmp_gt_u32_e32 vcc, 8, v9
	v_subrev_u32_e32 v9, 28, v0
	v_cndmask_b32_e32 v9, 0, v9, vcc
	v_lshlrev_b64 v[30:31], v9, v[17:18]
	v_sub_u32_e32 v0, 29, v0
	v_cndmask_b32_e32 v0, v12, v0, vcc
	v_lshlrev_b32_e32 v9, 20, v30
	v_lshlrev_b32_e32 v12, 24, v17
	v_bfrev_b32_e32 v19, 60
	v_and_b32_e32 v9, 0x700000, v9
	v_and_b32_e32 v12, 0x80000000, v12
	v_lshl_add_u32 v0, v0, 23, v19
	v_or3_b32 v0, v12, v0, v9
.LBB317_1021:                           ;   in Loop: Header=BB317_616 Depth=1
	s_or_b64 exec, exec, s[20:21]
.LBB317_1022:                           ;   in Loop: Header=BB317_616 Depth=1
	s_or_b64 exec, exec, s[18:19]
.LBB317_1023:                           ;   in Loop: Header=BB317_616 Depth=1
	s_or_b64 exec, exec, s[16:17]
	v_lshrrev_b16_e32 v9, 8, v17
	v_cmp_ne_u16_e32 vcc, 0, v9
	s_and_saveexec_b64 s[16:17], vcc
	s_cbranch_execz .LBB317_1029
; %bb.1024:                             ;   in Loop: Header=BB317_616 Depth=1
	v_cmp_ne_u16_e32 vcc, s28, v9
	v_bfrev_b32_e32 v11, 1
	s_and_saveexec_b64 s[18:19], vcc
	s_cbranch_execz .LBB317_1028
; %bb.1025:                             ;   in Loop: Header=BB317_616 Depth=1
	v_and_b32_e32 v12, 0x7f, v9
	v_cmp_ne_u32_e32 vcc, s29, v12
	v_mov_b32_e32 v11, 0x7f800001
	s_and_saveexec_b64 s[20:21], vcc
	s_cbranch_execz .LBB317_1027
; %bb.1026:                             ;   in Loop: Header=BB317_616 Depth=1
	v_and_b32_e32 v19, 7, v9
	v_ffbh_u32_e32 v11, v19
	v_min_u32_e32 v22, 32, v11
	v_subrev_u32_e32 v11, 28, v22
	v_lshrrev_b32_e32 v21, 3, v12
	v_cmp_gt_u32_e32 vcc, 8, v12
	v_lshlrev_b64 v[11:12], v11, v[9:10]
	v_sub_u32_e32 v9, 29, v22
	v_and_b32_e32 v11, 7, v11
	v_cndmask_b32_e32 v9, v21, v9, vcc
	v_cndmask_b32_e32 v11, v19, v11, vcc
	v_lshlrev_b32_e32 v12, 16, v17
	v_bfrev_b32_e32 v19, 60
	v_lshlrev_b32_e32 v11, 20, v11
	v_and_b32_e32 v12, 0x80000000, v12
	v_lshl_add_u32 v9, v9, 23, v19
	v_or3_b32 v11, v12, v9, v11
.LBB317_1027:                           ;   in Loop: Header=BB317_616 Depth=1
	s_or_b64 exec, exec, s[20:21]
.LBB317_1028:                           ;   in Loop: Header=BB317_616 Depth=1
	s_or_b64 exec, exec, s[18:19]
.LBB317_1029:                           ;   in Loop: Header=BB317_616 Depth=1
	s_or_b64 exec, exec, s[16:17]
	v_lshrrev_b32_e32 v9, 16, v17
	v_cmp_ne_u16_sdwa s[18:19], v9, v10 src0_sel:BYTE_0 src1_sel:DWORD
	v_mov_b32_e32 v33, 0
	v_mov_b32_e32 v32, 0
	s_and_saveexec_b64 s[16:17], s[18:19]
	s_cbranch_execz .LBB317_1035
; %bb.1030:                             ;   in Loop: Header=BB317_616 Depth=1
	v_cmp_ne_u16_sdwa s[20:21], v9, s28 src0_sel:BYTE_0 src1_sel:DWORD
	v_bfrev_b32_e32 v32, 1
	s_and_saveexec_b64 s[18:19], s[20:21]
	s_cbranch_execz .LBB317_1034
; %bb.1031:                             ;   in Loop: Header=BB317_616 Depth=1
	v_bfe_u32 v12, v17, 16, 7
	v_cmp_ne_u32_e32 vcc, s29, v12
	v_mov_b32_e32 v32, 0x7f800001
	s_and_saveexec_b64 s[20:21], vcc
	s_cbranch_execz .LBB317_1033
; %bb.1032:                             ;   in Loop: Header=BB317_616 Depth=1
	v_and_b32_e32 v19, 7, v9
	v_lshrrev_b32_e32 v21, 3, v12
	v_cmp_gt_u32_e32 vcc, 8, v12
	v_ffbh_u32_e32 v12, v19
	v_min_u32_e32 v12, 32, v12
	v_subrev_u32_e32 v22, 28, v12
	v_lshlrev_b64 v[30:31], v22, v[9:10]
	v_sub_u32_e32 v12, 29, v12
	v_and_b32_e32 v22, 7, v30
	v_cndmask_b32_e32 v12, v21, v12, vcc
	v_cndmask_b32_e32 v19, v19, v22, vcc
	v_lshlrev_b32_e32 v9, 24, v9
	v_bfrev_b32_e32 v21, 60
	v_lshlrev_b32_e32 v19, 20, v19
	v_and_b32_e32 v9, 0x80000000, v9
	v_lshl_add_u32 v12, v12, 23, v21
	v_or3_b32 v32, v9, v12, v19
.LBB317_1033:                           ;   in Loop: Header=BB317_616 Depth=1
	s_or_b64 exec, exec, s[20:21]
.LBB317_1034:                           ;   in Loop: Header=BB317_616 Depth=1
	s_or_b64 exec, exec, s[18:19]
.LBB317_1035:                           ;   in Loop: Header=BB317_616 Depth=1
	s_or_b64 exec, exec, s[16:17]
	v_cmp_lt_u32_e32 vcc, s5, v17
	s_and_saveexec_b64 s[16:17], vcc
	s_cbranch_execz .LBB317_1041
; %bb.1036:                             ;   in Loop: Header=BB317_616 Depth=1
	v_lshrrev_b32_e32 v9, 24, v17
	v_cmp_ne_u32_e32 vcc, s28, v9
	v_bfrev_b32_e32 v33, 1
	s_and_saveexec_b64 s[18:19], vcc
	s_cbranch_execz .LBB317_1040
; %bb.1037:                             ;   in Loop: Header=BB317_616 Depth=1
	v_bfe_u32 v12, v17, 24, 7
	v_cmp_ne_u32_e32 vcc, s29, v12
	v_mov_b32_e32 v33, 0x7f800001
	s_and_saveexec_b64 s[20:21], vcc
	s_cbranch_execz .LBB317_1039
; %bb.1038:                             ;   in Loop: Header=BB317_616 Depth=1
	v_and_b32_e32 v19, 7, v9
	v_lshrrev_b32_e32 v21, 3, v12
	v_cmp_gt_u32_e32 vcc, 8, v12
	v_ffbh_u32_e32 v12, v19
	v_min_u32_e32 v12, 32, v12
	v_subrev_u32_e32 v22, 28, v12
	v_lshlrev_b64 v[30:31], v22, v[9:10]
	v_sub_u32_e32 v12, 29, v12
	v_and_b32_e32 v22, 7, v30
	v_cndmask_b32_e32 v12, v21, v12, vcc
	v_cndmask_b32_e32 v19, v19, v22, vcc
	v_lshlrev_b32_e32 v9, 24, v9
	v_bfrev_b32_e32 v21, 60
	v_lshlrev_b32_e32 v19, 20, v19
	v_and_b32_e32 v9, 0x80000000, v9
	v_lshl_add_u32 v12, v12, 23, v21
	v_or3_b32 v33, v9, v12, v19
.LBB317_1039:                           ;   in Loop: Header=BB317_616 Depth=1
	s_or_b64 exec, exec, s[20:21]
.LBB317_1040:                           ;   in Loop: Header=BB317_616 Depth=1
	s_or_b64 exec, exec, s[18:19]
.LBB317_1041:                           ;   in Loop: Header=BB317_616 Depth=1
	s_or_b64 exec, exec, s[16:17]
	v_mov_b32_e32 v9, v18
	v_cmp_ne_u16_sdwa s[18:19], v18, v10 src0_sel:BYTE_0 src1_sel:DWORD
	v_mov_b32_e32 v31, 0
	v_mov_b32_e32 v30, 0
	s_and_saveexec_b64 s[16:17], s[18:19]
	s_cbranch_execz .LBB317_1047
; %bb.1042:                             ;   in Loop: Header=BB317_616 Depth=1
	v_cmp_ne_u16_sdwa s[20:21], v18, s28 src0_sel:BYTE_0 src1_sel:DWORD
	v_bfrev_b32_e32 v30, 1
	s_and_saveexec_b64 s[18:19], s[20:21]
	s_cbranch_execz .LBB317_1046
; %bb.1043:                             ;   in Loop: Header=BB317_616 Depth=1
	v_and_b32_e32 v12, 0x7f, v18
	v_cmp_ne_u32_e32 vcc, s29, v12
	v_mov_b32_e32 v30, 0x7f800001
	s_and_saveexec_b64 s[20:21], vcc
	s_cbranch_execz .LBB317_1045
; %bb.1044:                             ;   in Loop: Header=BB317_616 Depth=1
	v_and_b32_e32 v19, 7, v18
	v_lshrrev_b32_e32 v21, 3, v12
	v_cmp_gt_u32_e32 vcc, 8, v12
	v_ffbh_u32_e32 v12, v19
	v_min_u32_e32 v12, 32, v12
	v_subrev_u32_e32 v19, 28, v12
	v_cndmask_b32_e32 v19, 0, v19, vcc
	v_lshlrev_b64 v[34:35], v19, v[9:10]
	v_sub_u32_e32 v12, 29, v12
	v_cndmask_b32_e32 v12, v21, v12, vcc
	v_lshlrev_b32_e32 v19, 20, v34
	v_lshlrev_b32_e32 v21, 24, v9
	v_bfrev_b32_e32 v22, 60
	v_and_b32_e32 v19, 0x700000, v19
	v_and_b32_e32 v21, 0x80000000, v21
	v_lshl_add_u32 v12, v12, 23, v22
	v_or3_b32 v30, v21, v12, v19
.LBB317_1045:                           ;   in Loop: Header=BB317_616 Depth=1
	s_or_b64 exec, exec, s[20:21]
.LBB317_1046:                           ;   in Loop: Header=BB317_616 Depth=1
	s_or_b64 exec, exec, s[18:19]
.LBB317_1047:                           ;   in Loop: Header=BB317_616 Depth=1
	s_or_b64 exec, exec, s[16:17]
	v_lshrrev_b16_e32 v19, 8, v9
	v_cmp_ne_u16_e32 vcc, 0, v19
	s_and_saveexec_b64 s[16:17], vcc
	s_cbranch_execz .LBB317_1053
; %bb.1048:                             ;   in Loop: Header=BB317_616 Depth=1
	v_cmp_ne_u16_e32 vcc, s28, v19
	v_bfrev_b32_e32 v31, 1
	s_and_saveexec_b64 s[18:19], vcc
	s_cbranch_execz .LBB317_1052
; %bb.1049:                             ;   in Loop: Header=BB317_616 Depth=1
	v_and_b32_e32 v12, 0x7f, v19
	v_cmp_ne_u32_e32 vcc, s29, v12
	v_mov_b32_e32 v31, 0x7f800001
	s_and_saveexec_b64 s[20:21], vcc
	s_cbranch_execz .LBB317_1051
; %bb.1050:                             ;   in Loop: Header=BB317_616 Depth=1
	v_and_b32_e32 v21, 7, v19
	v_lshrrev_b32_e32 v22, 3, v12
	v_cmp_gt_u32_e32 vcc, 8, v12
	v_ffbh_u32_e32 v12, v21
	v_min_u32_e32 v12, 32, v12
	v_subrev_u32_e32 v31, 28, v12
	v_lshlrev_b64 v[34:35], v31, v[19:20]
	v_sub_u32_e32 v12, 29, v12
	v_and_b32_e32 v19, 7, v34
	v_cndmask_b32_e32 v12, v22, v12, vcc
	v_cndmask_b32_e32 v19, v21, v19, vcc
	v_lshlrev_b32_e32 v9, 16, v9
	v_bfrev_b32_e32 v21, 60
	v_lshlrev_b32_e32 v19, 20, v19
	v_and_b32_e32 v9, 0x80000000, v9
	v_lshl_add_u32 v12, v12, 23, v21
	v_or3_b32 v31, v9, v12, v19
.LBB317_1051:                           ;   in Loop: Header=BB317_616 Depth=1
	s_or_b64 exec, exec, s[20:21]
.LBB317_1052:                           ;   in Loop: Header=BB317_616 Depth=1
	s_or_b64 exec, exec, s[18:19]
.LBB317_1053:                           ;   in Loop: Header=BB317_616 Depth=1
	s_or_b64 exec, exec, s[16:17]
	v_lshrrev_b32_e32 v9, 16, v18
	v_cmp_ne_u16_sdwa s[18:19], v9, v10 src0_sel:BYTE_0 src1_sel:DWORD
	v_mov_b32_e32 v19, 0
	v_mov_b32_e32 v12, 0
	s_and_saveexec_b64 s[16:17], s[18:19]
	s_cbranch_execz .LBB317_1059
; %bb.1054:                             ;   in Loop: Header=BB317_616 Depth=1
	v_cmp_ne_u16_sdwa s[20:21], v9, s28 src0_sel:BYTE_0 src1_sel:DWORD
	v_bfrev_b32_e32 v12, 1
	s_and_saveexec_b64 s[18:19], s[20:21]
	s_cbranch_execz .LBB317_1058
; %bb.1055:                             ;   in Loop: Header=BB317_616 Depth=1
	v_bfe_u32 v34, v18, 16, 7
	v_cmp_ne_u32_e32 vcc, s29, v34
	v_mov_b32_e32 v12, 0x7f800001
	s_and_saveexec_b64 s[20:21], vcc
	s_cbranch_execz .LBB317_1057
; %bb.1056:                             ;   in Loop: Header=BB317_616 Depth=1
	v_and_b32_e32 v12, 7, v9
	v_ffbh_u32_e32 v22, v12
	v_min_u32_e32 v22, 32, v22
	v_lshrrev_b32_e32 v21, 3, v34
	v_cmp_gt_u32_e32 vcc, 8, v34
	v_subrev_u32_e32 v34, 28, v22
	v_lshlrev_b64 v[34:35], v34, v[9:10]
	v_sub_u32_e32 v22, 29, v22
	v_and_b32_e32 v34, 7, v34
	v_cndmask_b32_e32 v21, v21, v22, vcc
	v_cndmask_b32_e32 v12, v12, v34, vcc
	v_lshlrev_b32_e32 v9, 24, v9
	v_bfrev_b32_e32 v22, 60
	v_lshlrev_b32_e32 v12, 20, v12
	v_and_b32_e32 v9, 0x80000000, v9
	v_lshl_add_u32 v21, v21, 23, v22
	v_or3_b32 v12, v9, v21, v12
.LBB317_1057:                           ;   in Loop: Header=BB317_616 Depth=1
	s_or_b64 exec, exec, s[20:21]
.LBB317_1058:                           ;   in Loop: Header=BB317_616 Depth=1
	s_or_b64 exec, exec, s[18:19]
.LBB317_1059:                           ;   in Loop: Header=BB317_616 Depth=1
	s_or_b64 exec, exec, s[16:17]
	v_cmp_lt_u64_e32 vcc, s[4:5], v[17:18]
	s_and_saveexec_b64 s[16:17], vcc
	s_cbranch_execz .LBB317_1065
; %bb.1060:                             ;   in Loop: Header=BB317_616 Depth=1
	v_lshrrev_b32_e32 v9, 24, v18
	v_cmp_ne_u32_e32 vcc, s28, v9
	v_bfrev_b32_e32 v19, 1
	s_and_saveexec_b64 s[18:19], vcc
	s_cbranch_execz .LBB317_1064
; %bb.1061:                             ;   in Loop: Header=BB317_616 Depth=1
	v_bfe_u32 v17, v18, 24, 7
	v_cmp_ne_u32_e32 vcc, s29, v17
	v_mov_b32_e32 v19, 0x7f800001
	s_and_saveexec_b64 s[20:21], vcc
	s_cbranch_execz .LBB317_1063
; %bb.1062:                             ;   in Loop: Header=BB317_616 Depth=1
	v_and_b32_e32 v19, 7, v9
	v_lshrrev_b32_e32 v21, 3, v17
	v_cmp_gt_u32_e32 vcc, 8, v17
	v_ffbh_u32_e32 v17, v19
	v_min_u32_e32 v22, 32, v17
	v_subrev_u32_e32 v17, 28, v22
	v_lshlrev_b64 v[17:18], v17, v[9:10]
	v_sub_u32_e32 v18, 29, v22
	v_and_b32_e32 v17, 7, v17
	v_cndmask_b32_e32 v18, v21, v18, vcc
	v_cndmask_b32_e32 v17, v19, v17, vcc
	v_lshlrev_b32_e32 v9, 24, v9
	v_bfrev_b32_e32 v19, 60
	v_lshlrev_b32_e32 v17, 20, v17
	v_and_b32_e32 v9, 0x80000000, v9
	v_lshl_add_u32 v18, v18, 23, v19
	v_or3_b32 v19, v9, v18, v17
.LBB317_1063:                           ;   in Loop: Header=BB317_616 Depth=1
	s_or_b64 exec, exec, s[20:21]
.LBB317_1064:                           ;   in Loop: Header=BB317_616 Depth=1
	s_or_b64 exec, exec, s[18:19]
.LBB317_1065:                           ;   in Loop: Header=BB317_616 Depth=1
	s_or_b64 exec, exec, s[16:17]
	v_mul_f32_e32 v9, s31, v31
	v_bfe_u32 v17, v9, 16, 1
	v_add3_u32 v17, v17, v9, s30
	v_or_b32_e32 v18, 0x400000, v9
	v_cmp_u_f32_e32 vcc, v9, v9
	v_cndmask_b32_e32 v9, v17, v18, vcc
	v_lshrrev_b32_e32 v31, 16, v9
	v_mul_f32_e32 v9, s31, v30
	v_bfe_u32 v17, v9, 16, 1
	v_add3_u32 v17, v17, v9, s30
	v_or_b32_e32 v18, 0x400000, v9
	v_cmp_u_f32_e32 vcc, v9, v9
	v_cndmask_b32_e32 v9, v17, v18, vcc
	v_lshrrev_b32_e32 v30, 16, v9
	;; [unrolled: 7-line block ×4, first 2 shown]
	v_mul_f32_e32 v9, s31, v11
	v_bfe_u32 v11, v9, 16, 1
	v_add3_u32 v11, v11, v9, s30
	v_or_b32_e32 v17, 0x400000, v9
	v_cmp_u_f32_e32 vcc, v9, v9
	v_cndmask_b32_e32 v9, v11, v17, vcc
	v_mul_f32_e32 v0, s31, v0
	v_lshrrev_b32_e32 v43, 16, v9
	v_bfe_u32 v9, v0, 16, 1
	v_add3_u32 v9, v9, v0, s30
	v_or_b32_e32 v11, 0x400000, v0
	v_cmp_u_f32_e32 vcc, v0, v0
	v_cndmask_b32_e32 v0, v9, v11, vcc
	v_lshrrev_b32_e32 v42, 16, v0
	v_mul_f32_e32 v0, s31, v12
	v_bfe_u32 v9, v0, 16, 1
	v_add3_u32 v9, v9, v0, s30
	v_or_b32_e32 v11, 0x400000, v0
	v_cmp_u_f32_e32 vcc, v0, v0
	v_cndmask_b32_e32 v0, v9, v11, vcc
	v_lshrrev_b32_e32 v32, 16, v0
	v_mul_f32_e32 v0, s31, v19
	v_bfe_u32 v9, v0, 16, 1
	v_add3_u32 v9, v9, v0, s30
	v_or_b32_e32 v11, 0x400000, v0
	v_cmp_u_f32_e32 vcc, v0, v0
	v_cndmask_b32_e32 v0, v9, v11, vcc
	v_lshrrev_b32_e32 v39, 16, v0
	s_and_saveexec_b64 s[16:17], s[0:1]
	s_cbranch_execz .LBB317_1067
; %bb.1066:                             ;   in Loop: Header=BB317_616 Depth=1
	v_cmp_gt_i32_e32 vcc, s33, v58
	v_cndmask_b32_e32 v42, 0, v42, vcc
	v_cmp_gt_i32_e32 vcc, s33, v20
	v_cndmask_b32_e32 v43, 0, v43, vcc
	v_cmp_gt_i32_e32 vcc, s33, v23
	v_cndmask_b32_e32 v33, 0, v33, vcc
	v_cmp_gt_i32_e32 vcc, s33, v63
	v_cndmask_b32_e32 v34, 0, v34, vcc
	v_cmp_gt_i32_e32 vcc, s33, v62
	v_cndmask_b32_e32 v30, 0, v30, vcc
	v_cmp_gt_i32_e32 vcc, s33, v61
	v_cndmask_b32_e32 v31, 0, v31, vcc
	v_cmp_gt_i32_e32 vcc, s33, v60
	v_cndmask_b32_e32 v32, 0, v32, vcc
	v_cmp_gt_i32_e32 vcc, s33, v59
	v_cndmask_b32_e32 v39, 0, v39, vcc
.LBB317_1067:                           ;   in Loop: Header=BB317_616 Depth=1
	s_or_b64 exec, exec, s[16:17]
	v_add_co_u32_e32 v11, vcc, 0x1000, v15
	v_addc_co_u32_e32 v12, vcc, 0, v16, vcc
	global_load_dwordx2 v[17:18], v[11:12], off offset:512
	v_mov_b32_e32 v11, 0
	v_mov_b32_e32 v0, 0
	s_waitcnt vmcnt(0)
	v_cmp_ne_u16_sdwa s[18:19], v17, v10 src0_sel:BYTE_0 src1_sel:DWORD
	s_and_saveexec_b64 s[16:17], s[18:19]
	s_cbranch_execz .LBB317_1073
; %bb.1068:                             ;   in Loop: Header=BB317_616 Depth=1
	v_cmp_ne_u16_sdwa s[20:21], v17, s28 src0_sel:BYTE_0 src1_sel:DWORD
	v_bfrev_b32_e32 v0, 1
	s_and_saveexec_b64 s[18:19], s[20:21]
	s_cbranch_execz .LBB317_1072
; %bb.1069:                             ;   in Loop: Header=BB317_616 Depth=1
	v_and_b32_e32 v9, 0x7f, v17
	v_cmp_ne_u32_e32 vcc, s29, v9
	v_mov_b32_e32 v0, 0x7f800001
	s_and_saveexec_b64 s[20:21], vcc
	s_cbranch_execz .LBB317_1071
; %bb.1070:                             ;   in Loop: Header=BB317_616 Depth=1
	v_and_b32_e32 v0, 7, v17
	v_ffbh_u32_e32 v0, v0
	v_min_u32_e32 v0, 32, v0
	v_lshrrev_b32_e32 v12, 3, v9
	v_cmp_gt_u32_e32 vcc, 8, v9
	v_subrev_u32_e32 v9, 28, v0
	v_cndmask_b32_e32 v9, 0, v9, vcc
	v_lshlrev_b64 v[35:36], v9, v[17:18]
	v_sub_u32_e32 v0, 29, v0
	v_cndmask_b32_e32 v0, v12, v0, vcc
	v_lshlrev_b32_e32 v9, 20, v35
	v_lshlrev_b32_e32 v12, 24, v17
	v_bfrev_b32_e32 v19, 60
	v_and_b32_e32 v9, 0x700000, v9
	v_and_b32_e32 v12, 0x80000000, v12
	v_lshl_add_u32 v0, v0, 23, v19
	v_or3_b32 v0, v12, v0, v9
.LBB317_1071:                           ;   in Loop: Header=BB317_616 Depth=1
	s_or_b64 exec, exec, s[20:21]
.LBB317_1072:                           ;   in Loop: Header=BB317_616 Depth=1
	s_or_b64 exec, exec, s[18:19]
.LBB317_1073:                           ;   in Loop: Header=BB317_616 Depth=1
	s_or_b64 exec, exec, s[16:17]
	v_lshrrev_b16_e32 v9, 8, v17
	v_cmp_ne_u16_e32 vcc, 0, v9
	s_and_saveexec_b64 s[16:17], vcc
	s_cbranch_execz .LBB317_1079
; %bb.1074:                             ;   in Loop: Header=BB317_616 Depth=1
	v_cmp_ne_u16_e32 vcc, s28, v9
	v_bfrev_b32_e32 v11, 1
	s_and_saveexec_b64 s[18:19], vcc
	s_cbranch_execz .LBB317_1078
; %bb.1075:                             ;   in Loop: Header=BB317_616 Depth=1
	v_and_b32_e32 v12, 0x7f, v9
	v_cmp_ne_u32_e32 vcc, s29, v12
	v_mov_b32_e32 v11, 0x7f800001
	s_and_saveexec_b64 s[20:21], vcc
	s_cbranch_execz .LBB317_1077
; %bb.1076:                             ;   in Loop: Header=BB317_616 Depth=1
	v_and_b32_e32 v19, 7, v9
	v_ffbh_u32_e32 v11, v19
	v_min_u32_e32 v22, 32, v11
	v_subrev_u32_e32 v11, 28, v22
	v_lshrrev_b32_e32 v21, 3, v12
	v_cmp_gt_u32_e32 vcc, 8, v12
	v_lshlrev_b64 v[11:12], v11, v[9:10]
	v_sub_u32_e32 v9, 29, v22
	v_and_b32_e32 v11, 7, v11
	v_cndmask_b32_e32 v9, v21, v9, vcc
	v_cndmask_b32_e32 v11, v19, v11, vcc
	v_lshlrev_b32_e32 v12, 16, v17
	v_bfrev_b32_e32 v19, 60
	v_lshlrev_b32_e32 v11, 20, v11
	v_and_b32_e32 v12, 0x80000000, v12
	v_lshl_add_u32 v9, v9, 23, v19
	v_or3_b32 v11, v12, v9, v11
.LBB317_1077:                           ;   in Loop: Header=BB317_616 Depth=1
	s_or_b64 exec, exec, s[20:21]
.LBB317_1078:                           ;   in Loop: Header=BB317_616 Depth=1
	s_or_b64 exec, exec, s[18:19]
.LBB317_1079:                           ;   in Loop: Header=BB317_616 Depth=1
	s_or_b64 exec, exec, s[16:17]
	v_lshrrev_b32_e32 v9, 16, v17
	v_cmp_ne_u16_sdwa s[18:19], v9, v10 src0_sel:BYTE_0 src1_sel:DWORD
	v_mov_b32_e32 v36, 0
	v_mov_b32_e32 v35, 0
	s_and_saveexec_b64 s[16:17], s[18:19]
	s_cbranch_execz .LBB317_1085
; %bb.1080:                             ;   in Loop: Header=BB317_616 Depth=1
	v_cmp_ne_u16_sdwa s[20:21], v9, s28 src0_sel:BYTE_0 src1_sel:DWORD
	v_bfrev_b32_e32 v35, 1
	s_and_saveexec_b64 s[18:19], s[20:21]
	s_cbranch_execz .LBB317_1084
; %bb.1081:                             ;   in Loop: Header=BB317_616 Depth=1
	v_bfe_u32 v12, v17, 16, 7
	v_cmp_ne_u32_e32 vcc, s29, v12
	v_mov_b32_e32 v35, 0x7f800001
	s_and_saveexec_b64 s[20:21], vcc
	s_cbranch_execz .LBB317_1083
; %bb.1082:                             ;   in Loop: Header=BB317_616 Depth=1
	v_and_b32_e32 v19, 7, v9
	v_lshrrev_b32_e32 v21, 3, v12
	v_cmp_gt_u32_e32 vcc, 8, v12
	v_ffbh_u32_e32 v12, v19
	v_min_u32_e32 v12, 32, v12
	v_subrev_u32_e32 v22, 28, v12
	v_lshlrev_b64 v[40:41], v22, v[9:10]
	v_sub_u32_e32 v12, 29, v12
	v_and_b32_e32 v22, 7, v40
	v_cndmask_b32_e32 v12, v21, v12, vcc
	v_cndmask_b32_e32 v19, v19, v22, vcc
	v_lshlrev_b32_e32 v9, 24, v9
	v_bfrev_b32_e32 v21, 60
	v_lshlrev_b32_e32 v19, 20, v19
	v_and_b32_e32 v9, 0x80000000, v9
	v_lshl_add_u32 v12, v12, 23, v21
	v_or3_b32 v35, v9, v12, v19
.LBB317_1083:                           ;   in Loop: Header=BB317_616 Depth=1
	s_or_b64 exec, exec, s[20:21]
.LBB317_1084:                           ;   in Loop: Header=BB317_616 Depth=1
	s_or_b64 exec, exec, s[18:19]
.LBB317_1085:                           ;   in Loop: Header=BB317_616 Depth=1
	s_or_b64 exec, exec, s[16:17]
	v_cmp_lt_u32_e32 vcc, s5, v17
	s_and_saveexec_b64 s[16:17], vcc
	s_cbranch_execz .LBB317_1091
; %bb.1086:                             ;   in Loop: Header=BB317_616 Depth=1
	v_lshrrev_b32_e32 v9, 24, v17
	v_cmp_ne_u32_e32 vcc, s28, v9
	v_bfrev_b32_e32 v36, 1
	s_and_saveexec_b64 s[18:19], vcc
	s_cbranch_execz .LBB317_1090
; %bb.1087:                             ;   in Loop: Header=BB317_616 Depth=1
	v_bfe_u32 v12, v17, 24, 7
	v_cmp_ne_u32_e32 vcc, s29, v12
	v_mov_b32_e32 v36, 0x7f800001
	s_and_saveexec_b64 s[20:21], vcc
	s_cbranch_execz .LBB317_1089
; %bb.1088:                             ;   in Loop: Header=BB317_616 Depth=1
	v_and_b32_e32 v19, 7, v9
	v_lshrrev_b32_e32 v21, 3, v12
	v_cmp_gt_u32_e32 vcc, 8, v12
	v_ffbh_u32_e32 v12, v19
	v_min_u32_e32 v12, 32, v12
	v_subrev_u32_e32 v22, 28, v12
	v_lshlrev_b64 v[40:41], v22, v[9:10]
	v_sub_u32_e32 v12, 29, v12
	v_and_b32_e32 v22, 7, v40
	v_cndmask_b32_e32 v12, v21, v12, vcc
	v_cndmask_b32_e32 v19, v19, v22, vcc
	v_lshlrev_b32_e32 v9, 24, v9
	v_bfrev_b32_e32 v21, 60
	v_lshlrev_b32_e32 v19, 20, v19
	v_and_b32_e32 v9, 0x80000000, v9
	v_lshl_add_u32 v12, v12, 23, v21
	v_or3_b32 v36, v9, v12, v19
.LBB317_1089:                           ;   in Loop: Header=BB317_616 Depth=1
	s_or_b64 exec, exec, s[20:21]
.LBB317_1090:                           ;   in Loop: Header=BB317_616 Depth=1
	s_or_b64 exec, exec, s[18:19]
.LBB317_1091:                           ;   in Loop: Header=BB317_616 Depth=1
	s_or_b64 exec, exec, s[16:17]
	v_mov_b32_e32 v9, v18
	v_cmp_ne_u16_sdwa s[18:19], v18, v10 src0_sel:BYTE_0 src1_sel:DWORD
	v_mov_b32_e32 v41, 0
	v_mov_b32_e32 v40, 0
	s_and_saveexec_b64 s[16:17], s[18:19]
	s_cbranch_execz .LBB317_1097
; %bb.1092:                             ;   in Loop: Header=BB317_616 Depth=1
	v_cmp_ne_u16_sdwa s[20:21], v18, s28 src0_sel:BYTE_0 src1_sel:DWORD
	v_bfrev_b32_e32 v40, 1
	s_and_saveexec_b64 s[18:19], s[20:21]
	s_cbranch_execz .LBB317_1096
; %bb.1093:                             ;   in Loop: Header=BB317_616 Depth=1
	v_and_b32_e32 v12, 0x7f, v18
	v_cmp_ne_u32_e32 vcc, s29, v12
	v_mov_b32_e32 v40, 0x7f800001
	s_and_saveexec_b64 s[20:21], vcc
	s_cbranch_execz .LBB317_1095
; %bb.1094:                             ;   in Loop: Header=BB317_616 Depth=1
	v_and_b32_e32 v19, 7, v18
	v_lshrrev_b32_e32 v21, 3, v12
	v_cmp_gt_u32_e32 vcc, 8, v12
	v_ffbh_u32_e32 v12, v19
	v_min_u32_e32 v12, 32, v12
	v_subrev_u32_e32 v19, 28, v12
	v_cndmask_b32_e32 v19, 0, v19, vcc
	v_lshlrev_b64 v[44:45], v19, v[9:10]
	v_sub_u32_e32 v12, 29, v12
	v_cndmask_b32_e32 v12, v21, v12, vcc
	v_lshlrev_b32_e32 v19, 20, v44
	v_lshlrev_b32_e32 v21, 24, v9
	v_bfrev_b32_e32 v22, 60
	v_and_b32_e32 v19, 0x700000, v19
	v_and_b32_e32 v21, 0x80000000, v21
	v_lshl_add_u32 v12, v12, 23, v22
	v_or3_b32 v40, v21, v12, v19
.LBB317_1095:                           ;   in Loop: Header=BB317_616 Depth=1
	s_or_b64 exec, exec, s[20:21]
.LBB317_1096:                           ;   in Loop: Header=BB317_616 Depth=1
	s_or_b64 exec, exec, s[18:19]
.LBB317_1097:                           ;   in Loop: Header=BB317_616 Depth=1
	s_or_b64 exec, exec, s[16:17]
	v_lshrrev_b16_e32 v19, 8, v9
	v_cmp_ne_u16_e32 vcc, 0, v19
	s_and_saveexec_b64 s[16:17], vcc
	s_cbranch_execz .LBB317_1103
; %bb.1098:                             ;   in Loop: Header=BB317_616 Depth=1
	v_cmp_ne_u16_e32 vcc, s28, v19
	v_bfrev_b32_e32 v41, 1
	s_and_saveexec_b64 s[18:19], vcc
	s_cbranch_execz .LBB317_1102
; %bb.1099:                             ;   in Loop: Header=BB317_616 Depth=1
	v_and_b32_e32 v12, 0x7f, v19
	v_cmp_ne_u32_e32 vcc, s29, v12
	v_mov_b32_e32 v41, 0x7f800001
	s_and_saveexec_b64 s[20:21], vcc
	s_cbranch_execz .LBB317_1101
; %bb.1100:                             ;   in Loop: Header=BB317_616 Depth=1
	v_and_b32_e32 v21, 7, v19
	v_lshrrev_b32_e32 v22, 3, v12
	v_cmp_gt_u32_e32 vcc, 8, v12
	v_ffbh_u32_e32 v12, v21
	v_min_u32_e32 v12, 32, v12
	v_subrev_u32_e32 v41, 28, v12
	v_lshlrev_b64 v[44:45], v41, v[19:20]
	v_sub_u32_e32 v12, 29, v12
	v_and_b32_e32 v19, 7, v44
	v_cndmask_b32_e32 v12, v22, v12, vcc
	v_cndmask_b32_e32 v19, v21, v19, vcc
	v_lshlrev_b32_e32 v9, 16, v9
	v_bfrev_b32_e32 v21, 60
	v_lshlrev_b32_e32 v19, 20, v19
	v_and_b32_e32 v9, 0x80000000, v9
	v_lshl_add_u32 v12, v12, 23, v21
	v_or3_b32 v41, v9, v12, v19
.LBB317_1101:                           ;   in Loop: Header=BB317_616 Depth=1
	s_or_b64 exec, exec, s[20:21]
.LBB317_1102:                           ;   in Loop: Header=BB317_616 Depth=1
	s_or_b64 exec, exec, s[18:19]
.LBB317_1103:                           ;   in Loop: Header=BB317_616 Depth=1
	s_or_b64 exec, exec, s[16:17]
	v_lshrrev_b32_e32 v9, 16, v18
	v_cmp_ne_u16_sdwa s[18:19], v9, v10 src0_sel:BYTE_0 src1_sel:DWORD
	v_mov_b32_e32 v19, 0
	v_mov_b32_e32 v12, 0
	s_and_saveexec_b64 s[16:17], s[18:19]
	s_cbranch_execz .LBB317_1109
; %bb.1104:                             ;   in Loop: Header=BB317_616 Depth=1
	v_cmp_ne_u16_sdwa s[20:21], v9, s28 src0_sel:BYTE_0 src1_sel:DWORD
	v_bfrev_b32_e32 v12, 1
	s_and_saveexec_b64 s[18:19], s[20:21]
	s_cbranch_execz .LBB317_1108
; %bb.1105:                             ;   in Loop: Header=BB317_616 Depth=1
	v_bfe_u32 v44, v18, 16, 7
	v_cmp_ne_u32_e32 vcc, s29, v44
	v_mov_b32_e32 v12, 0x7f800001
	s_and_saveexec_b64 s[20:21], vcc
	s_cbranch_execz .LBB317_1107
; %bb.1106:                             ;   in Loop: Header=BB317_616 Depth=1
	v_and_b32_e32 v12, 7, v9
	v_ffbh_u32_e32 v22, v12
	v_min_u32_e32 v22, 32, v22
	v_lshrrev_b32_e32 v21, 3, v44
	v_cmp_gt_u32_e32 vcc, 8, v44
	v_subrev_u32_e32 v44, 28, v22
	v_lshlrev_b64 v[44:45], v44, v[9:10]
	v_sub_u32_e32 v22, 29, v22
	v_and_b32_e32 v44, 7, v44
	v_cndmask_b32_e32 v21, v21, v22, vcc
	v_cndmask_b32_e32 v12, v12, v44, vcc
	v_lshlrev_b32_e32 v9, 24, v9
	v_bfrev_b32_e32 v22, 60
	v_lshlrev_b32_e32 v12, 20, v12
	v_and_b32_e32 v9, 0x80000000, v9
	v_lshl_add_u32 v21, v21, 23, v22
	v_or3_b32 v12, v9, v21, v12
.LBB317_1107:                           ;   in Loop: Header=BB317_616 Depth=1
	s_or_b64 exec, exec, s[20:21]
.LBB317_1108:                           ;   in Loop: Header=BB317_616 Depth=1
	s_or_b64 exec, exec, s[18:19]
.LBB317_1109:                           ;   in Loop: Header=BB317_616 Depth=1
	s_or_b64 exec, exec, s[16:17]
	v_cmp_lt_u64_e32 vcc, s[4:5], v[17:18]
	s_and_saveexec_b64 s[16:17], vcc
	s_cbranch_execz .LBB317_1115
; %bb.1110:                             ;   in Loop: Header=BB317_616 Depth=1
	v_lshrrev_b32_e32 v9, 24, v18
	v_cmp_ne_u32_e32 vcc, s28, v9
	v_bfrev_b32_e32 v19, 1
	s_and_saveexec_b64 s[18:19], vcc
	s_cbranch_execz .LBB317_1114
; %bb.1111:                             ;   in Loop: Header=BB317_616 Depth=1
	v_bfe_u32 v17, v18, 24, 7
	v_cmp_ne_u32_e32 vcc, s29, v17
	v_mov_b32_e32 v19, 0x7f800001
	s_and_saveexec_b64 s[20:21], vcc
	s_cbranch_execz .LBB317_1113
; %bb.1112:                             ;   in Loop: Header=BB317_616 Depth=1
	v_and_b32_e32 v19, 7, v9
	v_lshrrev_b32_e32 v21, 3, v17
	v_cmp_gt_u32_e32 vcc, 8, v17
	v_ffbh_u32_e32 v17, v19
	v_min_u32_e32 v22, 32, v17
	v_subrev_u32_e32 v17, 28, v22
	v_lshlrev_b64 v[17:18], v17, v[9:10]
	v_sub_u32_e32 v18, 29, v22
	v_and_b32_e32 v17, 7, v17
	v_cndmask_b32_e32 v18, v21, v18, vcc
	v_cndmask_b32_e32 v17, v19, v17, vcc
	v_lshlrev_b32_e32 v9, 24, v9
	v_bfrev_b32_e32 v19, 60
	v_lshlrev_b32_e32 v17, 20, v17
	v_and_b32_e32 v9, 0x80000000, v9
	v_lshl_add_u32 v18, v18, 23, v19
	v_or3_b32 v19, v9, v18, v17
.LBB317_1113:                           ;   in Loop: Header=BB317_616 Depth=1
	s_or_b64 exec, exec, s[20:21]
.LBB317_1114:                           ;   in Loop: Header=BB317_616 Depth=1
	s_or_b64 exec, exec, s[18:19]
.LBB317_1115:                           ;   in Loop: Header=BB317_616 Depth=1
	s_or_b64 exec, exec, s[16:17]
	v_mul_f32_e32 v9, s31, v41
	v_bfe_u32 v17, v9, 16, 1
	v_add3_u32 v17, v17, v9, s30
	v_or_b32_e32 v18, 0x400000, v9
	v_cmp_u_f32_e32 vcc, v9, v9
	v_cndmask_b32_e32 v9, v17, v18, vcc
	v_lshrrev_b32_e32 v45, 16, v9
	v_mul_f32_e32 v9, s31, v40
	v_bfe_u32 v17, v9, 16, 1
	v_add3_u32 v17, v17, v9, s30
	v_or_b32_e32 v18, 0x400000, v9
	v_cmp_u_f32_e32 vcc, v9, v9
	v_cndmask_b32_e32 v9, v17, v18, vcc
	v_lshrrev_b32_e32 v44, 16, v9
	;; [unrolled: 7-line block ×4, first 2 shown]
	v_mul_f32_e32 v9, s31, v11
	v_bfe_u32 v11, v9, 16, 1
	v_add3_u32 v11, v11, v9, s30
	v_or_b32_e32 v17, 0x400000, v9
	v_cmp_u_f32_e32 vcc, v9, v9
	v_cndmask_b32_e32 v9, v11, v17, vcc
	v_mul_f32_e32 v0, s31, v0
	v_lshrrev_b32_e32 v51, 16, v9
	v_bfe_u32 v9, v0, 16, 1
	v_add3_u32 v9, v9, v0, s30
	v_or_b32_e32 v11, 0x400000, v0
	v_cmp_u_f32_e32 vcc, v0, v0
	v_cndmask_b32_e32 v0, v9, v11, vcc
	v_lshrrev_b32_e32 v50, 16, v0
	v_mul_f32_e32 v0, s31, v12
	v_bfe_u32 v9, v0, 16, 1
	v_add3_u32 v9, v9, v0, s30
	v_or_b32_e32 v11, 0x400000, v0
	v_cmp_u_f32_e32 vcc, v0, v0
	v_cndmask_b32_e32 v0, v9, v11, vcc
	v_lshrrev_b32_e32 v46, 16, v0
	v_mul_f32_e32 v0, s31, v19
	v_bfe_u32 v9, v0, 16, 1
	v_add3_u32 v9, v9, v0, s30
	v_or_b32_e32 v11, 0x400000, v0
	v_cmp_u_f32_e32 vcc, v0, v0
	v_cndmask_b32_e32 v0, v9, v11, vcc
	v_lshrrev_b32_e32 v49, 16, v0
	s_and_saveexec_b64 s[16:17], s[0:1]
	s_cbranch_execz .LBB317_1117
; %bb.1116:                             ;   in Loop: Header=BB317_616 Depth=1
	v_cmp_gt_i32_e32 vcc, s33, v58
	v_cndmask_b32_e32 v50, 0, v50, vcc
	v_cmp_gt_i32_e32 vcc, s33, v20
	v_cndmask_b32_e32 v51, 0, v51, vcc
	;; [unrolled: 2-line block ×8, first 2 shown]
.LBB317_1117:                           ;   in Loop: Header=BB317_616 Depth=1
	s_or_b64 exec, exec, s[16:17]
	v_add_co_u32_e32 v11, vcc, 0x1000, v15
	v_addc_co_u32_e32 v12, vcc, 0, v16, vcc
	global_load_dwordx2 v[17:18], v[11:12], off offset:1024
	v_mov_b32_e32 v11, 0
	v_mov_b32_e32 v0, 0
	s_waitcnt vmcnt(0)
	v_cmp_ne_u16_sdwa s[18:19], v17, v10 src0_sel:BYTE_0 src1_sel:DWORD
	s_and_saveexec_b64 s[16:17], s[18:19]
	s_cbranch_execz .LBB317_1123
; %bb.1118:                             ;   in Loop: Header=BB317_616 Depth=1
	v_cmp_ne_u16_sdwa s[20:21], v17, s28 src0_sel:BYTE_0 src1_sel:DWORD
	v_bfrev_b32_e32 v0, 1
	s_and_saveexec_b64 s[18:19], s[20:21]
	s_cbranch_execz .LBB317_1122
; %bb.1119:                             ;   in Loop: Header=BB317_616 Depth=1
	v_and_b32_e32 v9, 0x7f, v17
	v_cmp_ne_u32_e32 vcc, s29, v9
	v_mov_b32_e32 v0, 0x7f800001
	s_and_saveexec_b64 s[20:21], vcc
	s_cbranch_execz .LBB317_1121
; %bb.1120:                             ;   in Loop: Header=BB317_616 Depth=1
	v_and_b32_e32 v0, 7, v17
	v_ffbh_u32_e32 v0, v0
	v_min_u32_e32 v0, 32, v0
	v_lshrrev_b32_e32 v12, 3, v9
	v_cmp_gt_u32_e32 vcc, 8, v9
	v_subrev_u32_e32 v9, 28, v0
	v_cndmask_b32_e32 v9, 0, v9, vcc
	v_lshlrev_b64 v[35:36], v9, v[17:18]
	v_sub_u32_e32 v0, 29, v0
	v_cndmask_b32_e32 v0, v12, v0, vcc
	v_lshlrev_b32_e32 v9, 20, v35
	v_lshlrev_b32_e32 v12, 24, v17
	v_bfrev_b32_e32 v19, 60
	v_and_b32_e32 v9, 0x700000, v9
	v_and_b32_e32 v12, 0x80000000, v12
	v_lshl_add_u32 v0, v0, 23, v19
	v_or3_b32 v0, v12, v0, v9
.LBB317_1121:                           ;   in Loop: Header=BB317_616 Depth=1
	s_or_b64 exec, exec, s[20:21]
.LBB317_1122:                           ;   in Loop: Header=BB317_616 Depth=1
	s_or_b64 exec, exec, s[18:19]
.LBB317_1123:                           ;   in Loop: Header=BB317_616 Depth=1
	s_or_b64 exec, exec, s[16:17]
	v_lshrrev_b16_e32 v9, 8, v17
	v_cmp_ne_u16_e32 vcc, 0, v9
	s_and_saveexec_b64 s[16:17], vcc
	s_cbranch_execz .LBB317_1129
; %bb.1124:                             ;   in Loop: Header=BB317_616 Depth=1
	v_cmp_ne_u16_e32 vcc, s28, v9
	v_bfrev_b32_e32 v11, 1
	s_and_saveexec_b64 s[18:19], vcc
	s_cbranch_execz .LBB317_1128
; %bb.1125:                             ;   in Loop: Header=BB317_616 Depth=1
	v_and_b32_e32 v12, 0x7f, v9
	v_cmp_ne_u32_e32 vcc, s29, v12
	v_mov_b32_e32 v11, 0x7f800001
	s_and_saveexec_b64 s[20:21], vcc
	s_cbranch_execz .LBB317_1127
; %bb.1126:                             ;   in Loop: Header=BB317_616 Depth=1
	v_and_b32_e32 v19, 7, v9
	v_ffbh_u32_e32 v11, v19
	v_min_u32_e32 v22, 32, v11
	v_subrev_u32_e32 v11, 28, v22
	v_lshrrev_b32_e32 v21, 3, v12
	v_cmp_gt_u32_e32 vcc, 8, v12
	v_lshlrev_b64 v[11:12], v11, v[9:10]
	v_sub_u32_e32 v9, 29, v22
	v_and_b32_e32 v11, 7, v11
	v_cndmask_b32_e32 v9, v21, v9, vcc
	v_cndmask_b32_e32 v11, v19, v11, vcc
	v_lshlrev_b32_e32 v12, 16, v17
	v_bfrev_b32_e32 v19, 60
	v_lshlrev_b32_e32 v11, 20, v11
	v_and_b32_e32 v12, 0x80000000, v12
	v_lshl_add_u32 v9, v9, 23, v19
	v_or3_b32 v11, v12, v9, v11
.LBB317_1127:                           ;   in Loop: Header=BB317_616 Depth=1
	s_or_b64 exec, exec, s[20:21]
.LBB317_1128:                           ;   in Loop: Header=BB317_616 Depth=1
	s_or_b64 exec, exec, s[18:19]
.LBB317_1129:                           ;   in Loop: Header=BB317_616 Depth=1
	s_or_b64 exec, exec, s[16:17]
	v_lshrrev_b32_e32 v9, 16, v17
	v_cmp_ne_u16_sdwa s[18:19], v9, v10 src0_sel:BYTE_0 src1_sel:DWORD
	v_mov_b32_e32 v36, 0
	v_mov_b32_e32 v35, 0
	s_and_saveexec_b64 s[16:17], s[18:19]
	s_cbranch_execz .LBB317_1135
; %bb.1130:                             ;   in Loop: Header=BB317_616 Depth=1
	v_cmp_ne_u16_sdwa s[20:21], v9, s28 src0_sel:BYTE_0 src1_sel:DWORD
	v_bfrev_b32_e32 v35, 1
	s_and_saveexec_b64 s[18:19], s[20:21]
	s_cbranch_execz .LBB317_1134
; %bb.1131:                             ;   in Loop: Header=BB317_616 Depth=1
	v_bfe_u32 v12, v17, 16, 7
	v_cmp_ne_u32_e32 vcc, s29, v12
	v_mov_b32_e32 v35, 0x7f800001
	s_and_saveexec_b64 s[20:21], vcc
	s_cbranch_execz .LBB317_1133
; %bb.1132:                             ;   in Loop: Header=BB317_616 Depth=1
	v_and_b32_e32 v19, 7, v9
	v_lshrrev_b32_e32 v21, 3, v12
	v_cmp_gt_u32_e32 vcc, 8, v12
	v_ffbh_u32_e32 v12, v19
	v_min_u32_e32 v12, 32, v12
	v_subrev_u32_e32 v22, 28, v12
	v_lshlrev_b64 v[40:41], v22, v[9:10]
	v_sub_u32_e32 v12, 29, v12
	v_and_b32_e32 v22, 7, v40
	v_cndmask_b32_e32 v12, v21, v12, vcc
	v_cndmask_b32_e32 v19, v19, v22, vcc
	v_lshlrev_b32_e32 v9, 24, v9
	v_bfrev_b32_e32 v21, 60
	v_lshlrev_b32_e32 v19, 20, v19
	v_and_b32_e32 v9, 0x80000000, v9
	v_lshl_add_u32 v12, v12, 23, v21
	v_or3_b32 v35, v9, v12, v19
.LBB317_1133:                           ;   in Loop: Header=BB317_616 Depth=1
	s_or_b64 exec, exec, s[20:21]
.LBB317_1134:                           ;   in Loop: Header=BB317_616 Depth=1
	s_or_b64 exec, exec, s[18:19]
.LBB317_1135:                           ;   in Loop: Header=BB317_616 Depth=1
	s_or_b64 exec, exec, s[16:17]
	v_cmp_lt_u32_e32 vcc, s5, v17
	s_and_saveexec_b64 s[16:17], vcc
	s_cbranch_execz .LBB317_1141
; %bb.1136:                             ;   in Loop: Header=BB317_616 Depth=1
	v_lshrrev_b32_e32 v9, 24, v17
	v_cmp_ne_u32_e32 vcc, s28, v9
	v_bfrev_b32_e32 v36, 1
	s_and_saveexec_b64 s[18:19], vcc
	s_cbranch_execz .LBB317_1140
; %bb.1137:                             ;   in Loop: Header=BB317_616 Depth=1
	v_bfe_u32 v12, v17, 24, 7
	v_cmp_ne_u32_e32 vcc, s29, v12
	v_mov_b32_e32 v36, 0x7f800001
	s_and_saveexec_b64 s[20:21], vcc
	s_cbranch_execz .LBB317_1139
; %bb.1138:                             ;   in Loop: Header=BB317_616 Depth=1
	v_and_b32_e32 v19, 7, v9
	v_lshrrev_b32_e32 v21, 3, v12
	v_cmp_gt_u32_e32 vcc, 8, v12
	v_ffbh_u32_e32 v12, v19
	v_min_u32_e32 v12, 32, v12
	v_subrev_u32_e32 v22, 28, v12
	v_lshlrev_b64 v[40:41], v22, v[9:10]
	v_sub_u32_e32 v12, 29, v12
	v_and_b32_e32 v22, 7, v40
	v_cndmask_b32_e32 v12, v21, v12, vcc
	v_cndmask_b32_e32 v19, v19, v22, vcc
	v_lshlrev_b32_e32 v9, 24, v9
	v_bfrev_b32_e32 v21, 60
	v_lshlrev_b32_e32 v19, 20, v19
	v_and_b32_e32 v9, 0x80000000, v9
	v_lshl_add_u32 v12, v12, 23, v21
	v_or3_b32 v36, v9, v12, v19
.LBB317_1139:                           ;   in Loop: Header=BB317_616 Depth=1
	s_or_b64 exec, exec, s[20:21]
.LBB317_1140:                           ;   in Loop: Header=BB317_616 Depth=1
	s_or_b64 exec, exec, s[18:19]
.LBB317_1141:                           ;   in Loop: Header=BB317_616 Depth=1
	s_or_b64 exec, exec, s[16:17]
	v_mov_b32_e32 v9, v18
	v_cmp_ne_u16_sdwa s[18:19], v18, v10 src0_sel:BYTE_0 src1_sel:DWORD
	v_mov_b32_e32 v41, 0
	v_mov_b32_e32 v40, 0
	s_and_saveexec_b64 s[16:17], s[18:19]
	s_cbranch_execz .LBB317_1147
; %bb.1142:                             ;   in Loop: Header=BB317_616 Depth=1
	v_cmp_ne_u16_sdwa s[20:21], v18, s28 src0_sel:BYTE_0 src1_sel:DWORD
	v_bfrev_b32_e32 v40, 1
	s_and_saveexec_b64 s[18:19], s[20:21]
	s_cbranch_execz .LBB317_1146
; %bb.1143:                             ;   in Loop: Header=BB317_616 Depth=1
	v_and_b32_e32 v12, 0x7f, v18
	v_cmp_ne_u32_e32 vcc, s29, v12
	v_mov_b32_e32 v40, 0x7f800001
	s_and_saveexec_b64 s[20:21], vcc
	s_cbranch_execz .LBB317_1145
; %bb.1144:                             ;   in Loop: Header=BB317_616 Depth=1
	v_and_b32_e32 v19, 7, v18
	v_lshrrev_b32_e32 v21, 3, v12
	v_cmp_gt_u32_e32 vcc, 8, v12
	v_ffbh_u32_e32 v12, v19
	v_min_u32_e32 v12, 32, v12
	v_subrev_u32_e32 v19, 28, v12
	v_cndmask_b32_e32 v19, 0, v19, vcc
	v_lshlrev_b64 v[52:53], v19, v[9:10]
	v_sub_u32_e32 v12, 29, v12
	v_cndmask_b32_e32 v12, v21, v12, vcc
	v_lshlrev_b32_e32 v19, 20, v52
	v_lshlrev_b32_e32 v21, 24, v9
	v_bfrev_b32_e32 v22, 60
	v_and_b32_e32 v19, 0x700000, v19
	v_and_b32_e32 v21, 0x80000000, v21
	v_lshl_add_u32 v12, v12, 23, v22
	v_or3_b32 v40, v21, v12, v19
.LBB317_1145:                           ;   in Loop: Header=BB317_616 Depth=1
	s_or_b64 exec, exec, s[20:21]
.LBB317_1146:                           ;   in Loop: Header=BB317_616 Depth=1
	s_or_b64 exec, exec, s[18:19]
.LBB317_1147:                           ;   in Loop: Header=BB317_616 Depth=1
	s_or_b64 exec, exec, s[16:17]
	v_lshrrev_b16_e32 v19, 8, v9
	v_cmp_ne_u16_e32 vcc, 0, v19
	s_and_saveexec_b64 s[16:17], vcc
	s_cbranch_execz .LBB317_1153
; %bb.1148:                             ;   in Loop: Header=BB317_616 Depth=1
	v_cmp_ne_u16_e32 vcc, s28, v19
	v_bfrev_b32_e32 v41, 1
	s_and_saveexec_b64 s[18:19], vcc
	s_cbranch_execz .LBB317_1152
; %bb.1149:                             ;   in Loop: Header=BB317_616 Depth=1
	v_and_b32_e32 v12, 0x7f, v19
	v_cmp_ne_u32_e32 vcc, s29, v12
	v_mov_b32_e32 v41, 0x7f800001
	s_and_saveexec_b64 s[20:21], vcc
	s_cbranch_execz .LBB317_1151
; %bb.1150:                             ;   in Loop: Header=BB317_616 Depth=1
	v_and_b32_e32 v21, 7, v19
	v_lshrrev_b32_e32 v22, 3, v12
	v_cmp_gt_u32_e32 vcc, 8, v12
	v_ffbh_u32_e32 v12, v21
	v_min_u32_e32 v12, 32, v12
	v_subrev_u32_e32 v41, 28, v12
	v_lshlrev_b64 v[52:53], v41, v[19:20]
	v_sub_u32_e32 v12, 29, v12
	v_and_b32_e32 v19, 7, v52
	v_cndmask_b32_e32 v12, v22, v12, vcc
	v_cndmask_b32_e32 v19, v21, v19, vcc
	v_lshlrev_b32_e32 v9, 16, v9
	v_bfrev_b32_e32 v21, 60
	v_lshlrev_b32_e32 v19, 20, v19
	v_and_b32_e32 v9, 0x80000000, v9
	v_lshl_add_u32 v12, v12, 23, v21
	v_or3_b32 v41, v9, v12, v19
.LBB317_1151:                           ;   in Loop: Header=BB317_616 Depth=1
	s_or_b64 exec, exec, s[20:21]
.LBB317_1152:                           ;   in Loop: Header=BB317_616 Depth=1
	s_or_b64 exec, exec, s[18:19]
.LBB317_1153:                           ;   in Loop: Header=BB317_616 Depth=1
	s_or_b64 exec, exec, s[16:17]
	v_lshrrev_b32_e32 v9, 16, v18
	v_cmp_ne_u16_sdwa s[18:19], v9, v10 src0_sel:BYTE_0 src1_sel:DWORD
	v_mov_b32_e32 v19, 0
	v_mov_b32_e32 v12, 0
	s_and_saveexec_b64 s[16:17], s[18:19]
	s_cbranch_execz .LBB317_1159
; %bb.1154:                             ;   in Loop: Header=BB317_616 Depth=1
	v_cmp_ne_u16_sdwa s[20:21], v9, s28 src0_sel:BYTE_0 src1_sel:DWORD
	v_bfrev_b32_e32 v12, 1
	s_and_saveexec_b64 s[18:19], s[20:21]
	s_cbranch_execz .LBB317_1158
; %bb.1155:                             ;   in Loop: Header=BB317_616 Depth=1
	v_bfe_u32 v52, v18, 16, 7
	v_cmp_ne_u32_e32 vcc, s29, v52
	v_mov_b32_e32 v12, 0x7f800001
	s_and_saveexec_b64 s[20:21], vcc
	s_cbranch_execz .LBB317_1157
; %bb.1156:                             ;   in Loop: Header=BB317_616 Depth=1
	v_and_b32_e32 v12, 7, v9
	v_ffbh_u32_e32 v22, v12
	v_min_u32_e32 v22, 32, v22
	v_lshrrev_b32_e32 v21, 3, v52
	v_cmp_gt_u32_e32 vcc, 8, v52
	v_subrev_u32_e32 v52, 28, v22
	v_lshlrev_b64 v[52:53], v52, v[9:10]
	v_sub_u32_e32 v22, 29, v22
	v_and_b32_e32 v52, 7, v52
	v_cndmask_b32_e32 v21, v21, v22, vcc
	v_cndmask_b32_e32 v12, v12, v52, vcc
	v_lshlrev_b32_e32 v9, 24, v9
	v_bfrev_b32_e32 v22, 60
	v_lshlrev_b32_e32 v12, 20, v12
	v_and_b32_e32 v9, 0x80000000, v9
	v_lshl_add_u32 v21, v21, 23, v22
	v_or3_b32 v12, v9, v21, v12
.LBB317_1157:                           ;   in Loop: Header=BB317_616 Depth=1
	s_or_b64 exec, exec, s[20:21]
.LBB317_1158:                           ;   in Loop: Header=BB317_616 Depth=1
	s_or_b64 exec, exec, s[18:19]
.LBB317_1159:                           ;   in Loop: Header=BB317_616 Depth=1
	s_or_b64 exec, exec, s[16:17]
	v_cmp_lt_u64_e32 vcc, s[4:5], v[17:18]
	s_and_saveexec_b64 s[16:17], vcc
	s_cbranch_execz .LBB317_1165
; %bb.1160:                             ;   in Loop: Header=BB317_616 Depth=1
	v_lshrrev_b32_e32 v9, 24, v18
	v_cmp_ne_u32_e32 vcc, s28, v9
	v_bfrev_b32_e32 v19, 1
	s_and_saveexec_b64 s[18:19], vcc
	s_cbranch_execz .LBB317_1164
; %bb.1161:                             ;   in Loop: Header=BB317_616 Depth=1
	v_bfe_u32 v17, v18, 24, 7
	v_cmp_ne_u32_e32 vcc, s29, v17
	v_mov_b32_e32 v19, 0x7f800001
	s_and_saveexec_b64 s[20:21], vcc
	s_cbranch_execz .LBB317_1163
; %bb.1162:                             ;   in Loop: Header=BB317_616 Depth=1
	v_and_b32_e32 v19, 7, v9
	v_lshrrev_b32_e32 v21, 3, v17
	v_cmp_gt_u32_e32 vcc, 8, v17
	v_ffbh_u32_e32 v17, v19
	v_min_u32_e32 v22, 32, v17
	v_subrev_u32_e32 v17, 28, v22
	v_lshlrev_b64 v[17:18], v17, v[9:10]
	v_sub_u32_e32 v18, 29, v22
	v_and_b32_e32 v17, 7, v17
	v_cndmask_b32_e32 v18, v21, v18, vcc
	v_cndmask_b32_e32 v17, v19, v17, vcc
	v_lshlrev_b32_e32 v9, 24, v9
	v_bfrev_b32_e32 v19, 60
	v_lshlrev_b32_e32 v17, 20, v17
	v_and_b32_e32 v9, 0x80000000, v9
	v_lshl_add_u32 v18, v18, 23, v19
	v_or3_b32 v19, v9, v18, v17
.LBB317_1163:                           ;   in Loop: Header=BB317_616 Depth=1
	s_or_b64 exec, exec, s[20:21]
.LBB317_1164:                           ;   in Loop: Header=BB317_616 Depth=1
	s_or_b64 exec, exec, s[18:19]
.LBB317_1165:                           ;   in Loop: Header=BB317_616 Depth=1
	s_or_b64 exec, exec, s[16:17]
	v_mul_f32_e32 v9, s31, v41
	v_bfe_u32 v17, v9, 16, 1
	v_add3_u32 v17, v17, v9, s30
	v_or_b32_e32 v18, 0x400000, v9
	v_cmp_u_f32_e32 vcc, v9, v9
	v_cndmask_b32_e32 v9, v17, v18, vcc
	v_lshrrev_b32_e32 v14, 16, v9
	v_mul_f32_e32 v9, s31, v40
	v_bfe_u32 v17, v9, 16, 1
	v_add3_u32 v17, v17, v9, s30
	v_or_b32_e32 v18, 0x400000, v9
	v_cmp_u_f32_e32 vcc, v9, v9
	v_cndmask_b32_e32 v9, v17, v18, vcc
	v_lshrrev_b32_e32 v13, 16, v9
	;; [unrolled: 7-line block ×4, first 2 shown]
	v_mul_f32_e32 v9, s31, v11
	v_bfe_u32 v11, v9, 16, 1
	v_add3_u32 v11, v11, v9, s30
	v_or_b32_e32 v17, 0x400000, v9
	v_cmp_u_f32_e32 vcc, v9, v9
	v_cndmask_b32_e32 v9, v11, v17, vcc
	v_mul_f32_e32 v0, s31, v0
	v_lshrrev_b32_e32 v11, 16, v9
	v_bfe_u32 v9, v0, 16, 1
	v_add3_u32 v9, v9, v0, s30
	v_or_b32_e32 v17, 0x400000, v0
	v_cmp_u_f32_e32 vcc, v0, v0
	v_cndmask_b32_e32 v0, v9, v17, vcc
	v_mul_f32_e32 v9, s31, v12
	v_bfe_u32 v12, v9, 16, 1
	v_add3_u32 v12, v12, v9, s30
	v_or_b32_e32 v17, 0x400000, v9
	v_cmp_u_f32_e32 vcc, v9, v9
	v_cndmask_b32_e32 v9, v12, v17, vcc
	v_lshrrev_b32_e32 v40, 16, v9
	v_mul_f32_e32 v9, s31, v19
	v_bfe_u32 v12, v9, 16, 1
	v_add3_u32 v12, v12, v9, s30
	v_or_b32_e32 v17, 0x400000, v9
	v_cmp_u_f32_e32 vcc, v9, v9
	v_cndmask_b32_e32 v9, v12, v17, vcc
	v_lshrrev_b32_e32 v0, 16, v0
	v_lshrrev_b32_e32 v56, 16, v9
	s_and_saveexec_b64 s[16:17], s[0:1]
	s_cbranch_execz .LBB317_1167
; %bb.1166:                             ;   in Loop: Header=BB317_616 Depth=1
	v_cmp_gt_i32_e32 vcc, s33, v58
	v_cndmask_b32_e32 v0, 0, v0, vcc
	v_cmp_gt_i32_e32 vcc, s33, v20
	v_cndmask_b32_e32 v11, 0, v11, vcc
	;; [unrolled: 2-line block ×8, first 2 shown]
.LBB317_1167:                           ;   in Loop: Header=BB317_616 Depth=1
	s_or_b64 exec, exec, s[16:17]
	v_add_co_u32_e32 v15, vcc, 0x1000, v15
	v_addc_co_u32_e32 v16, vcc, 0, v16, vcc
	global_load_dwordx2 v[15:16], v[15:16], off offset:1536
	v_mov_b32_e32 v52, 0
	v_mov_b32_e32 v18, 0
	s_waitcnt vmcnt(0)
	v_cmp_ne_u16_sdwa s[18:19], v15, v10 src0_sel:BYTE_0 src1_sel:DWORD
	s_and_saveexec_b64 s[16:17], s[18:19]
	s_cbranch_execz .LBB317_1173
; %bb.1168:                             ;   in Loop: Header=BB317_616 Depth=1
	v_cmp_ne_u16_sdwa s[20:21], v15, s28 src0_sel:BYTE_0 src1_sel:DWORD
	v_bfrev_b32_e32 v18, 1
	s_and_saveexec_b64 s[18:19], s[20:21]
	s_cbranch_execz .LBB317_1172
; %bb.1169:                             ;   in Loop: Header=BB317_616 Depth=1
	v_and_b32_e32 v9, 0x7f, v15
	v_cmp_ne_u32_e32 vcc, s29, v9
	v_mov_b32_e32 v18, 0x7f800001
	s_and_saveexec_b64 s[20:21], vcc
	s_cbranch_execz .LBB317_1171
; %bb.1170:                             ;   in Loop: Header=BB317_616 Depth=1
	v_and_b32_e32 v12, 7, v15
	v_lshrrev_b32_e32 v17, 3, v9
	v_cmp_gt_u32_e32 vcc, 8, v9
	v_ffbh_u32_e32 v9, v12
	v_min_u32_e32 v9, 32, v9
	v_subrev_u32_e32 v12, 28, v9
	v_sub_u32_e32 v9, 29, v9
	v_cndmask_b32_e32 v12, 0, v12, vcc
	v_cndmask_b32_e32 v9, v17, v9, vcc
	v_lshlrev_b64 v[17:18], v12, v[15:16]
	v_bfrev_b32_e32 v18, 60
	v_lshlrev_b32_e32 v12, 20, v17
	v_lshlrev_b32_e32 v17, 24, v15
	v_and_b32_e32 v12, 0x700000, v12
	v_and_b32_e32 v17, 0x80000000, v17
	v_lshl_add_u32 v9, v9, 23, v18
	v_or3_b32 v18, v17, v9, v12
.LBB317_1171:                           ;   in Loop: Header=BB317_616 Depth=1
	s_or_b64 exec, exec, s[20:21]
.LBB317_1172:                           ;   in Loop: Header=BB317_616 Depth=1
	s_or_b64 exec, exec, s[18:19]
.LBB317_1173:                           ;   in Loop: Header=BB317_616 Depth=1
	s_or_b64 exec, exec, s[16:17]
	v_lshrrev_b16_e32 v9, 8, v15
	v_cmp_ne_u16_e32 vcc, 0, v9
	s_and_saveexec_b64 s[16:17], vcc
	s_cbranch_execz .LBB317_1179
; %bb.1174:                             ;   in Loop: Header=BB317_616 Depth=1
	v_cmp_ne_u16_e32 vcc, s28, v9
	v_bfrev_b32_e32 v52, 1
	s_and_saveexec_b64 s[18:19], vcc
	s_cbranch_execz .LBB317_1178
; %bb.1175:                             ;   in Loop: Header=BB317_616 Depth=1
	v_and_b32_e32 v12, 0x7f, v9
	v_cmp_ne_u32_e32 vcc, s29, v12
	v_mov_b32_e32 v52, 0x7f800001
	s_and_saveexec_b64 s[20:21], vcc
	s_cbranch_execz .LBB317_1177
; %bb.1176:                             ;   in Loop: Header=BB317_616 Depth=1
	v_and_b32_e32 v17, 7, v9
	v_lshrrev_b32_e32 v19, 3, v12
	v_cmp_gt_u32_e32 vcc, 8, v12
	v_ffbh_u32_e32 v12, v17
	v_min_u32_e32 v12, 32, v12
	v_subrev_u32_e32 v21, 28, v12
	v_lshlrev_b64 v[35:36], v21, v[9:10]
	v_sub_u32_e32 v9, 29, v12
	v_and_b32_e32 v12, 7, v35
	v_cndmask_b32_e32 v9, v19, v9, vcc
	v_cndmask_b32_e32 v12, v17, v12, vcc
	v_lshlrev_b32_e32 v17, 16, v15
	v_bfrev_b32_e32 v19, 60
	v_lshlrev_b32_e32 v12, 20, v12
	v_and_b32_e32 v17, 0x80000000, v17
	v_lshl_add_u32 v9, v9, 23, v19
	v_or3_b32 v52, v17, v9, v12
.LBB317_1177:                           ;   in Loop: Header=BB317_616 Depth=1
	s_or_b64 exec, exec, s[20:21]
.LBB317_1178:                           ;   in Loop: Header=BB317_616 Depth=1
	s_or_b64 exec, exec, s[18:19]
.LBB317_1179:                           ;   in Loop: Header=BB317_616 Depth=1
	s_or_b64 exec, exec, s[16:17]
	v_lshrrev_b32_e32 v9, 16, v15
	v_cmp_ne_u16_sdwa s[18:19], v9, v10 src0_sel:BYTE_0 src1_sel:DWORD
	v_mov_b32_e32 v35, 0
	v_mov_b32_e32 v19, 0
	s_and_saveexec_b64 s[16:17], s[18:19]
	s_cbranch_execz .LBB317_1185
; %bb.1180:                             ;   in Loop: Header=BB317_616 Depth=1
	v_cmp_ne_u16_sdwa s[20:21], v9, s28 src0_sel:BYTE_0 src1_sel:DWORD
	v_bfrev_b32_e32 v19, 1
	s_and_saveexec_b64 s[18:19], s[20:21]
	s_cbranch_execz .LBB317_1184
; %bb.1181:                             ;   in Loop: Header=BB317_616 Depth=1
	v_bfe_u32 v12, v15, 16, 7
	v_cmp_ne_u32_e32 vcc, s29, v12
	v_mov_b32_e32 v19, 0x7f800001
	s_and_saveexec_b64 s[20:21], vcc
	s_cbranch_execz .LBB317_1183
; %bb.1182:                             ;   in Loop: Header=BB317_616 Depth=1
	v_and_b32_e32 v17, 7, v9
	v_lshrrev_b32_e32 v19, 3, v12
	v_cmp_gt_u32_e32 vcc, 8, v12
	v_ffbh_u32_e32 v12, v17
	v_min_u32_e32 v12, 32, v12
	v_subrev_u32_e32 v21, 28, v12
	v_lshlrev_b64 v[21:22], v21, v[9:10]
	v_sub_u32_e32 v12, 29, v12
	v_and_b32_e32 v21, 7, v21
	v_cndmask_b32_e32 v12, v19, v12, vcc
	v_cndmask_b32_e32 v17, v17, v21, vcc
	v_lshlrev_b32_e32 v9, 24, v9
	v_bfrev_b32_e32 v19, 60
	v_lshlrev_b32_e32 v17, 20, v17
	v_and_b32_e32 v9, 0x80000000, v9
	v_lshl_add_u32 v12, v12, 23, v19
	v_or3_b32 v19, v9, v12, v17
.LBB317_1183:                           ;   in Loop: Header=BB317_616 Depth=1
	s_or_b64 exec, exec, s[20:21]
.LBB317_1184:                           ;   in Loop: Header=BB317_616 Depth=1
	s_or_b64 exec, exec, s[18:19]
.LBB317_1185:                           ;   in Loop: Header=BB317_616 Depth=1
	s_or_b64 exec, exec, s[16:17]
	v_cmp_lt_u32_e32 vcc, s5, v15
	s_and_saveexec_b64 s[16:17], vcc
	s_cbranch_execz .LBB317_1191
; %bb.1186:                             ;   in Loop: Header=BB317_616 Depth=1
	v_lshrrev_b32_e32 v9, 24, v15
	v_cmp_ne_u32_e32 vcc, s28, v9
	v_bfrev_b32_e32 v35, 1
	s_and_saveexec_b64 s[18:19], vcc
	s_cbranch_execz .LBB317_1190
; %bb.1187:                             ;   in Loop: Header=BB317_616 Depth=1
	v_bfe_u32 v12, v15, 24, 7
	v_cmp_ne_u32_e32 vcc, s29, v12
	v_mov_b32_e32 v35, 0x7f800001
	s_and_saveexec_b64 s[20:21], vcc
	s_cbranch_execz .LBB317_1189
; %bb.1188:                             ;   in Loop: Header=BB317_616 Depth=1
	v_and_b32_e32 v17, 7, v9
	v_lshrrev_b32_e32 v35, 3, v12
	v_cmp_gt_u32_e32 vcc, 8, v12
	v_ffbh_u32_e32 v12, v17
	v_min_u32_e32 v12, 32, v12
	v_subrev_u32_e32 v21, 28, v12
	v_lshlrev_b64 v[21:22], v21, v[9:10]
	v_sub_u32_e32 v12, 29, v12
	v_and_b32_e32 v21, 7, v21
	v_cndmask_b32_e32 v12, v35, v12, vcc
	v_cndmask_b32_e32 v17, v17, v21, vcc
	v_lshlrev_b32_e32 v9, 24, v9
	v_bfrev_b32_e32 v21, 60
	v_lshlrev_b32_e32 v17, 20, v17
	v_and_b32_e32 v9, 0x80000000, v9
	v_lshl_add_u32 v12, v12, 23, v21
	v_or3_b32 v35, v9, v12, v17
.LBB317_1189:                           ;   in Loop: Header=BB317_616 Depth=1
	s_or_b64 exec, exec, s[20:21]
.LBB317_1190:                           ;   in Loop: Header=BB317_616 Depth=1
	s_or_b64 exec, exec, s[18:19]
.LBB317_1191:                           ;   in Loop: Header=BB317_616 Depth=1
	s_or_b64 exec, exec, s[16:17]
	v_mov_b32_e32 v9, v16
	v_cmp_ne_u16_sdwa s[18:19], v16, v10 src0_sel:BYTE_0 src1_sel:DWORD
	v_mov_b32_e32 v53, 0
	v_mov_b32_e32 v36, 0
	s_and_saveexec_b64 s[16:17], s[18:19]
	s_cbranch_execz .LBB317_1197
; %bb.1192:                             ;   in Loop: Header=BB317_616 Depth=1
	v_cmp_ne_u16_sdwa s[20:21], v16, s28 src0_sel:BYTE_0 src1_sel:DWORD
	v_bfrev_b32_e32 v36, 1
	s_and_saveexec_b64 s[18:19], s[20:21]
	s_cbranch_execz .LBB317_1196
; %bb.1193:                             ;   in Loop: Header=BB317_616 Depth=1
	v_and_b32_e32 v12, 0x7f, v16
	v_cmp_ne_u32_e32 vcc, s29, v12
	v_mov_b32_e32 v36, 0x7f800001
	s_and_saveexec_b64 s[20:21], vcc
	s_cbranch_execz .LBB317_1195
; %bb.1194:                             ;   in Loop: Header=BB317_616 Depth=1
	v_and_b32_e32 v17, 7, v16
	v_lshrrev_b32_e32 v21, 3, v12
	v_cmp_gt_u32_e32 vcc, 8, v12
	v_ffbh_u32_e32 v12, v17
	v_min_u32_e32 v12, 32, v12
	v_subrev_u32_e32 v17, 28, v12
	v_sub_u32_e32 v12, 29, v12
	v_cndmask_b32_e32 v17, 0, v17, vcc
	v_cndmask_b32_e32 v12, v21, v12, vcc
	v_lshlrev_b64 v[21:22], v17, v[9:10]
	v_bfrev_b32_e32 v22, 60
	v_lshlrev_b32_e32 v17, 20, v21
	v_lshlrev_b32_e32 v21, 24, v9
	v_and_b32_e32 v17, 0x700000, v17
	v_and_b32_e32 v21, 0x80000000, v21
	v_lshl_add_u32 v12, v12, 23, v22
	v_or3_b32 v36, v21, v12, v17
.LBB317_1195:                           ;   in Loop: Header=BB317_616 Depth=1
	s_or_b64 exec, exec, s[20:21]
.LBB317_1196:                           ;   in Loop: Header=BB317_616 Depth=1
	s_or_b64 exec, exec, s[18:19]
.LBB317_1197:                           ;   in Loop: Header=BB317_616 Depth=1
	s_or_b64 exec, exec, s[16:17]
	v_lshrrev_b16_e32 v17, 8, v9
	v_cmp_ne_u16_e32 vcc, 0, v17
	s_and_saveexec_b64 s[16:17], vcc
	s_cbranch_execz .LBB317_1203
; %bb.1198:                             ;   in Loop: Header=BB317_616 Depth=1
	v_cmp_ne_u16_e32 vcc, s28, v17
	v_bfrev_b32_e32 v53, 1
	s_and_saveexec_b64 s[18:19], vcc
	s_cbranch_execz .LBB317_1202
; %bb.1199:                             ;   in Loop: Header=BB317_616 Depth=1
	v_and_b32_e32 v12, 0x7f, v17
	v_cmp_ne_u32_e32 vcc, s29, v12
	v_mov_b32_e32 v53, 0x7f800001
	s_and_saveexec_b64 s[20:21], vcc
	s_cbranch_execz .LBB317_1201
; %bb.1200:                             ;   in Loop: Header=BB317_616 Depth=1
	v_and_b32_e32 v53, 7, v17
	v_mov_b32_e32 v24, v37
	v_lshrrev_b32_e32 v37, 3, v12
	v_cmp_gt_u32_e32 vcc, 8, v12
	v_ffbh_u32_e32 v12, v53
	v_min_u32_e32 v12, 32, v12
	v_subrev_u32_e32 v21, 28, v12
	v_lshlrev_b64 v[21:22], v21, v[17:18]
	v_sub_u32_e32 v12, 29, v12
	v_and_b32_e32 v17, 7, v21
	v_cndmask_b32_e32 v12, v37, v12, vcc
	v_cndmask_b32_e32 v17, v53, v17, vcc
	v_lshlrev_b32_e32 v9, 16, v9
	v_bfrev_b32_e32 v21, 60
	v_lshlrev_b32_e32 v17, 20, v17
	v_and_b32_e32 v9, 0x80000000, v9
	v_lshl_add_u32 v12, v12, 23, v21
	v_mov_b32_e32 v37, v24
	v_or3_b32 v53, v9, v12, v17
.LBB317_1201:                           ;   in Loop: Header=BB317_616 Depth=1
	s_or_b64 exec, exec, s[20:21]
.LBB317_1202:                           ;   in Loop: Header=BB317_616 Depth=1
	s_or_b64 exec, exec, s[18:19]
.LBB317_1203:                           ;   in Loop: Header=BB317_616 Depth=1
	s_or_b64 exec, exec, s[16:17]
	v_lshrrev_b32_e32 v9, 16, v16
	v_cmp_ne_u16_sdwa s[18:19], v9, v10 src0_sel:BYTE_0 src1_sel:DWORD
	v_mov_b32_e32 v12, 0
	v_mov_b32_e32 v17, 0
	s_and_saveexec_b64 s[16:17], s[18:19]
	s_cbranch_execz .LBB317_1209
; %bb.1204:                             ;   in Loop: Header=BB317_616 Depth=1
	v_cmp_ne_u16_sdwa s[20:21], v9, s28 src0_sel:BYTE_0 src1_sel:DWORD
	v_bfrev_b32_e32 v17, 1
	s_and_saveexec_b64 s[18:19], s[20:21]
	s_cbranch_execz .LBB317_1208
; %bb.1205:                             ;   in Loop: Header=BB317_616 Depth=1
	v_bfe_u32 v21, v16, 16, 7
	v_cmp_ne_u32_e32 vcc, s29, v21
	v_mov_b32_e32 v17, 0x7f800001
	s_and_saveexec_b64 s[20:21], vcc
	s_cbranch_execz .LBB317_1207
; %bb.1206:                             ;   in Loop: Header=BB317_616 Depth=1
	v_and_b32_e32 v17, 7, v9
	v_mov_b32_e32 v1, v51
	v_mov_b32_e32 v51, v50
	;; [unrolled: 1-line block ×31, first 2 shown]
	v_lshrrev_b32_e32 v37, 3, v21
	v_cmp_gt_u32_e32 vcc, 8, v21
	v_ffbh_u32_e32 v21, v17
	v_min_u32_e32 v24, 32, v21
	v_subrev_u32_e32 v21, 28, v24
	v_lshlrev_b64 v[21:22], v21, v[9:10]
	v_sub_u32_e32 v22, 29, v24
	v_and_b32_e32 v21, 7, v21
	v_cndmask_b32_e32 v22, v37, v22, vcc
	v_cndmask_b32_e32 v17, v17, v21, vcc
	v_lshlrev_b32_e32 v9, 24, v9
	v_bfrev_b32_e32 v21, 60
	v_mov_b32_e32 v2, v11
	v_mov_b32_e32 v11, v41
	;; [unrolled: 1-line block ×3, first 2 shown]
	v_lshlrev_b32_e32 v17, 20, v17
	v_and_b32_e32 v9, 0x80000000, v9
	v_lshl_add_u32 v21, v22, 23, v21
	v_mov_b32_e32 v37, v25
	v_mov_b32_e32 v25, v26
	;; [unrolled: 1-line block ×34, first 2 shown]
	v_or3_b32 v17, v9, v21, v17
.LBB317_1207:                           ;   in Loop: Header=BB317_616 Depth=1
	s_or_b64 exec, exec, s[20:21]
.LBB317_1208:                           ;   in Loop: Header=BB317_616 Depth=1
	s_or_b64 exec, exec, s[18:19]
.LBB317_1209:                           ;   in Loop: Header=BB317_616 Depth=1
	s_or_b64 exec, exec, s[16:17]
	v_cmp_lt_u64_e32 vcc, s[4:5], v[15:16]
	s_and_saveexec_b64 s[16:17], vcc
	s_cbranch_execz .LBB317_1215
; %bb.1210:                             ;   in Loop: Header=BB317_616 Depth=1
	v_lshrrev_b32_e32 v9, 24, v16
	v_cmp_ne_u32_e32 vcc, s28, v9
	v_bfrev_b32_e32 v12, 1
	s_and_saveexec_b64 s[18:19], vcc
	s_cbranch_execz .LBB317_1214
; %bb.1211:                             ;   in Loop: Header=BB317_616 Depth=1
	v_bfe_u32 v15, v16, 24, 7
	v_cmp_ne_u32_e32 vcc, s29, v15
	v_mov_b32_e32 v12, 0x7f800001
	s_and_saveexec_b64 s[20:21], vcc
	s_cbranch_execz .LBB317_1213
; %bb.1212:                             ;   in Loop: Header=BB317_616 Depth=1
	v_and_b32_e32 v12, 7, v9
	v_lshrrev_b32_e32 v21, 3, v15
	v_cmp_gt_u32_e32 vcc, 8, v15
	v_ffbh_u32_e32 v15, v12
	v_min_u32_e32 v22, 32, v15
	v_subrev_u32_e32 v15, 28, v22
	v_lshlrev_b64 v[15:16], v15, v[9:10]
	v_sub_u32_e32 v16, 29, v22
	v_and_b32_e32 v15, 7, v15
	v_cndmask_b32_e32 v16, v21, v16, vcc
	v_cndmask_b32_e32 v12, v12, v15, vcc
	v_lshlrev_b32_e32 v9, 24, v9
	v_bfrev_b32_e32 v15, 60
	v_lshlrev_b32_e32 v12, 20, v12
	v_and_b32_e32 v9, 0x80000000, v9
	v_lshl_add_u32 v15, v16, 23, v15
	v_or3_b32 v12, v9, v15, v12
.LBB317_1213:                           ;   in Loop: Header=BB317_616 Depth=1
	s_or_b64 exec, exec, s[20:21]
.LBB317_1214:                           ;   in Loop: Header=BB317_616 Depth=1
	s_or_b64 exec, exec, s[18:19]
.LBB317_1215:                           ;   in Loop: Header=BB317_616 Depth=1
	s_or_b64 exec, exec, s[16:17]
	v_mul_f32_e32 v9, s31, v53
	v_bfe_u32 v15, v9, 16, 1
	v_add3_u32 v15, v15, v9, s30
	v_or_b32_e32 v16, 0x400000, v9
	v_cmp_u_f32_e32 vcc, v9, v9
	v_cndmask_b32_e32 v9, v15, v16, vcc
	v_mul_f32_e32 v15, s31, v36
	v_bfe_u32 v16, v15, 16, 1
	v_add3_u32 v16, v16, v15, s30
	v_or_b32_e32 v21, 0x400000, v15
	v_cmp_u_f32_e32 vcc, v15, v15
	v_cndmask_b32_e32 v15, v16, v21, vcc
	v_mul_f32_e32 v16, s31, v35
	v_bfe_u32 v21, v16, 16, 1
	v_add3_u32 v21, v21, v16, s30
	v_or_b32_e32 v22, 0x400000, v16
	v_cmp_u_f32_e32 vcc, v16, v16
	v_mul_f32_e32 v19, s31, v19
	v_cndmask_b32_e32 v16, v21, v22, vcc
	v_bfe_u32 v21, v19, 16, 1
	v_add3_u32 v21, v21, v19, s30
	v_or_b32_e32 v22, 0x400000, v19
	v_cmp_u_f32_e32 vcc, v19, v19
	v_cndmask_b32_e32 v19, v21, v22, vcc
	v_mul_f32_e32 v21, s31, v52
	v_bfe_u32 v22, v21, 16, 1
	v_add3_u32 v22, v22, v21, s30
	v_or_b32_e32 v24, 0x400000, v21
	v_cmp_u_f32_e32 vcc, v21, v21
	v_cndmask_b32_e32 v21, v22, v24, vcc
	v_mul_f32_e32 v18, s31, v18
	v_lshrrev_b32_e32 v52, 16, v21
	v_bfe_u32 v21, v18, 16, 1
	v_add3_u32 v21, v21, v18, s30
	v_or_b32_e32 v22, 0x400000, v18
	v_cmp_u_f32_e32 vcc, v18, v18
	v_cndmask_b32_e32 v18, v21, v22, vcc
	v_mul_f32_e32 v17, s31, v17
	v_lshrrev_b32_e32 v53, 16, v18
	v_bfe_u32 v18, v17, 16, 1
	v_add3_u32 v18, v18, v17, s30
	v_or_b32_e32 v21, 0x400000, v17
	v_cmp_u_f32_e32 vcc, v17, v17
	v_mul_f32_e32 v12, s31, v12
	v_cndmask_b32_e32 v17, v18, v21, vcc
	v_bfe_u32 v18, v12, 16, 1
	v_add3_u32 v18, v18, v12, s30
	v_or_b32_e32 v21, 0x400000, v12
	v_cmp_u_f32_e32 vcc, v12, v12
	v_cndmask_b32_e32 v12, v18, v21, vcc
	v_lshrrev_b32_e32 v9, 16, v9
	v_lshrrev_b32_e32 v15, 16, v15
	;; [unrolled: 1-line block ×6, first 2 shown]
	s_and_saveexec_b64 s[16:17], s[0:1]
	s_cbranch_execz .LBB317_614
; %bb.1216:                             ;   in Loop: Header=BB317_616 Depth=1
	v_cmp_gt_i32_e32 vcc, s33, v58
	v_cndmask_b32_e32 v53, 0, v53, vcc
	v_cmp_gt_i32_e32 vcc, s33, v20
	v_cndmask_b32_e32 v52, 0, v52, vcc
	v_cmp_gt_i32_e32 vcc, s33, v23
	v_cndmask_b32_e32 v19, 0, v19, vcc
	v_cmp_gt_i32_e32 vcc, s33, v63
	v_cndmask_b32_e32 v16, 0, v16, vcc
	v_cmp_gt_i32_e32 vcc, s33, v62
	v_cndmask_b32_e32 v15, 0, v15, vcc
	v_cmp_gt_i32_e32 vcc, s33, v61
	v_cndmask_b32_e32 v9, 0, v9, vcc
	v_cmp_gt_i32_e32 vcc, s33, v60
	v_cndmask_b32_e32 v17, 0, v17, vcc
	v_cmp_gt_i32_e32 vcc, s33, v59
	v_cndmask_b32_e32 v18, 0, v18, vcc
	s_branch .LBB317_614
.LBB317_1217:
	s_or_b64 exec, exec, s[6:7]
	buffer_load_dword v19, off, s[60:63], 0 offset:360 ; 4-byte Folded Reload
	buffer_load_dword v14, off, s[60:63], 0 offset:364 ; 4-byte Folded Reload
	;; [unrolled: 1-line block ×15, first 2 shown]
.LBB317_1218:
	s_or_b64 exec, exec, s[2:3]
	s_waitcnt vmcnt(1)
	ds_bpermute_b32 v0, v14, v4
	s_waitcnt vmcnt(0)
	ds_bpermute_b32 v1, v14, v7
	ds_bpermute_b32 v2, v14, v5
	;; [unrolled: 1-line block ×4, first 2 shown]
	s_waitcnt lgkmcnt(4)
	v_add_f32_e32 v0, v4, v0
	s_waitcnt lgkmcnt(3)
	v_add_f32_e32 v1, v7, v1
	ds_bpermute_b32 v4, v18, v0
	s_waitcnt lgkmcnt(3)
	v_add_f32_e32 v2, v5, v2
	ds_bpermute_b32 v5, v18, v1
	;; [unrolled: 3-line block ×5, first 2 shown]
	ds_bpermute_b32 v5, v14, v9
	s_waitcnt lgkmcnt(3)
	v_add_f32_e32 v2, v2, v7
	s_waitcnt lgkmcnt(2)
	v_add_f32_e32 v1, v3, v0
	ds_bpermute_b32 v0, v14, v10
	s_waitcnt lgkmcnt(2)
	v_add_f32_e32 v3, v11, v4
	s_waitcnt lgkmcnt(1)
	v_add_f32_e32 v5, v9, v5
	ds_bpermute_b32 v4, v18, v3
	ds_bpermute_b32 v9, v18, v5
	s_waitcnt lgkmcnt(2)
	v_add_f32_e32 v0, v10, v0
	ds_bpermute_b32 v10, v18, v0
	ds_bpermute_b32 v11, v14, v21
	s_waitcnt lgkmcnt(3)
	v_add_f32_e32 v7, v3, v4
	s_waitcnt lgkmcnt(2)
	v_add_f32_e32 v4, v5, v9
	ds_bpermute_b32 v5, v14, v17
	s_waitcnt lgkmcnt(2)
	v_add_f32_e32 v3, v0, v10
	ds_bpermute_b32 v10, v14, v15
	s_waitcnt lgkmcnt(2)
	v_add_f32_e32 v0, v21, v11
	ds_bpermute_b32 v11, v14, v16
	s_waitcnt lgkmcnt(2)
	v_add_f32_e32 v5, v17, v5
	ds_bpermute_b32 v12, v18, v5
	s_waitcnt lgkmcnt(2)
	v_add_f32_e32 v14, v15, v10
	s_waitcnt lgkmcnt(0)
	s_barrier
	v_add_f32_e32 v10, v5, v12
	buffer_load_dword v12, off, s[60:63], 0 offset:452 ; 4-byte Folded Reload
	v_add_f32_e32 v16, v16, v11
	v_add_f32_e32 v13, v37, v13
	ds_bpermute_b32 v9, v18, v0
	ds_bpermute_b32 v15, v18, v14
	;; [unrolled: 1-line block ×4, first 2 shown]
	s_waitcnt lgkmcnt(3)
	v_add_f32_e32 v11, v0, v9
	s_waitcnt lgkmcnt(2)
	v_add_f32_e32 v9, v14, v15
	;; [unrolled: 2-line block ×4, first 2 shown]
	s_waitcnt vmcnt(0)
	v_and_b32_e32 v13, 0x3c3, v12
	v_cmp_eq_u32_e32 vcc, 64, v13
	s_and_saveexec_b64 s[0:1], vcc
	s_cbranch_execz .LBB317_1220
; %bb.1219:
	v_add_u32_e32 v12, 0x190, v19
	ds_write2_b32 v12, v8, v6 offset1:16
	ds_write2_b32 v12, v2, v1 offset0:32 offset1:48
	ds_write2_b32 v12, v7, v4 offset0:64 offset1:80
	;; [unrolled: 1-line block ×5, first 2 shown]
.LBB317_1220:
	s_or_b64 exec, exec, s[0:1]
	buffer_load_dword v12, off, s[60:63], 0 offset:452 ; 4-byte Folded Reload
	s_waitcnt vmcnt(0) lgkmcnt(0)
	s_barrier
	v_cmp_gt_u32_e32 vcc, 64, v12
	v_lshrrev_b32_e32 v12, 2, v12
	s_and_saveexec_b64 s[0:1], vcc
	s_cbranch_execz .LBB317_1235
; %bb.1221:
	v_mov_b32_e32 v14, 0x190
	v_cmp_eq_u32_e32 vcc, 0, v20
	v_lshl_add_u32 v14, v12, 2, v14
	s_and_saveexec_b64 s[2:3], vcc
	s_cbranch_execnz .LBB317_1238
; %bb.1222:
	s_or_b64 exec, exec, s[2:3]
	s_and_saveexec_b64 s[2:3], vcc
	s_cbranch_execnz .LBB317_1239
.LBB317_1223:
	s_or_b64 exec, exec, s[2:3]
	s_and_saveexec_b64 s[2:3], vcc
	s_cbranch_execnz .LBB317_1240
.LBB317_1224:
	s_or_b64 exec, exec, s[2:3]
	s_and_saveexec_b64 s[2:3], vcc
	s_cbranch_execnz .LBB317_1241
.LBB317_1225:
	s_or_b64 exec, exec, s[2:3]
	s_and_saveexec_b64 s[2:3], vcc
	s_cbranch_execnz .LBB317_1242
.LBB317_1226:
	s_or_b64 exec, exec, s[2:3]
	s_and_saveexec_b64 s[2:3], vcc
	s_cbranch_execnz .LBB317_1243
.LBB317_1227:
	s_or_b64 exec, exec, s[2:3]
	s_and_saveexec_b64 s[2:3], vcc
	s_cbranch_execnz .LBB317_1244
.LBB317_1228:
	s_or_b64 exec, exec, s[2:3]
	s_and_saveexec_b64 s[2:3], vcc
	s_cbranch_execnz .LBB317_1245
.LBB317_1229:
	s_or_b64 exec, exec, s[2:3]
	s_and_saveexec_b64 s[2:3], vcc
	s_cbranch_execnz .LBB317_1246
.LBB317_1230:
	s_or_b64 exec, exec, s[2:3]
	s_and_saveexec_b64 s[2:3], vcc
	s_cbranch_execnz .LBB317_1247
.LBB317_1231:
	s_or_b64 exec, exec, s[2:3]
	s_and_saveexec_b64 s[2:3], vcc
	s_cbranch_execnz .LBB317_1248
.LBB317_1232:
	s_or_b64 exec, exec, s[2:3]
	s_and_saveexec_b64 s[2:3], vcc
	s_cbranch_execz .LBB317_1234
.LBB317_1233:
	ds_read_b32 v14, v14 offset:704
	s_waitcnt lgkmcnt(0)
	v_add_f32_e32 v0, v0, v14
.LBB317_1234:
	s_or_b64 exec, exec, s[2:3]
.LBB317_1235:
	s_or_b64 exec, exec, s[0:1]
	v_cmp_eq_u32_e32 vcc, 0, v13
	s_barrier
	s_and_saveexec_b64 s[0:1], vcc
	s_cbranch_execz .LBB317_1237
; %bb.1236:
	s_mul_i32 s0, s10, s11
	s_mul_i32 s0, s0, s9
	s_mulk_i32 s0, 0xc0
	s_ashr_i32 s1, s0, 31
	s_lshl_b64 s[0:1], s[0:1], 1
	s_add_u32 s2, s26, s0
	s_mul_i32 s0, s11, s24
	s_addc_u32 s3, s27, s1
	s_ashr_i32 s1, s0, 31
	s_lshl_b64 s[0:1], s[0:1], 1
	s_add_u32 s2, s2, s0
	s_mul_i32 s0, s8, 0xc0
	s_addc_u32 s3, s3, s1
	s_ashr_i32 s1, s0, 31
	s_lshl_b64 s[0:1], s[0:1], 1
	s_add_u32 s0, s2, s0
	v_bfe_u32 v13, v8, 16, 1
	s_movk_i32 s2, 0x7fff
	v_add3_u32 v13, v13, v8, s2
	v_or_b32_e32 v14, 0x400000, v8
	v_cmp_u_f32_e32 vcc, v8, v8
	s_addc_u32 s1, s3, s1
	v_lshlrev_b32_e32 v12, 1, v12
	v_cndmask_b32_e32 v8, v13, v14, vcc
	global_store_short_d16_hi v12, v8, s[0:1]
	v_bfe_u32 v8, v6, 16, 1
	v_add3_u32 v8, v8, v6, s2
	v_or_b32_e32 v13, 0x400000, v6
	v_cmp_u_f32_e32 vcc, v6, v6
	v_cndmask_b32_e32 v6, v8, v13, vcc
	global_store_short_d16_hi v12, v6, s[0:1] offset:32
	v_bfe_u32 v6, v2, 16, 1
	v_add3_u32 v6, v6, v2, s2
	v_or_b32_e32 v8, 0x400000, v2
	v_cmp_u_f32_e32 vcc, v2, v2
	v_cndmask_b32_e32 v2, v6, v8, vcc
	global_store_short_d16_hi v12, v2, s[0:1] offset:64
	;; [unrolled: 6-line block ×11, first 2 shown]
.LBB317_1237:
	s_endpgm
.LBB317_1238:
	ds_read_b32 v15, v14
	s_waitcnt lgkmcnt(0)
	v_add_f32_e32 v8, v8, v15
	s_or_b64 exec, exec, s[2:3]
	s_and_saveexec_b64 s[2:3], vcc
	s_cbranch_execz .LBB317_1223
.LBB317_1239:
	ds_read_b32 v15, v14 offset:64
	s_waitcnt lgkmcnt(0)
	v_add_f32_e32 v6, v6, v15
	s_or_b64 exec, exec, s[2:3]
	s_and_saveexec_b64 s[2:3], vcc
	s_cbranch_execz .LBB317_1224
.LBB317_1240:
	ds_read_b32 v15, v14 offset:128
	s_waitcnt lgkmcnt(0)
	v_add_f32_e32 v2, v2, v15
	s_or_b64 exec, exec, s[2:3]
	s_and_saveexec_b64 s[2:3], vcc
	s_cbranch_execz .LBB317_1225
.LBB317_1241:
	ds_read_b32 v15, v14 offset:192
	s_waitcnt lgkmcnt(0)
	v_add_f32_e32 v1, v1, v15
	s_or_b64 exec, exec, s[2:3]
	s_and_saveexec_b64 s[2:3], vcc
	s_cbranch_execz .LBB317_1226
.LBB317_1242:
	ds_read_b32 v15, v14 offset:256
	s_waitcnt lgkmcnt(0)
	v_add_f32_e32 v7, v7, v15
	s_or_b64 exec, exec, s[2:3]
	s_and_saveexec_b64 s[2:3], vcc
	s_cbranch_execz .LBB317_1227
.LBB317_1243:
	ds_read_b32 v15, v14 offset:320
	s_waitcnt lgkmcnt(0)
	v_add_f32_e32 v4, v4, v15
	s_or_b64 exec, exec, s[2:3]
	s_and_saveexec_b64 s[2:3], vcc
	s_cbranch_execz .LBB317_1228
.LBB317_1244:
	ds_read_b32 v15, v14 offset:384
	s_waitcnt lgkmcnt(0)
	v_add_f32_e32 v3, v3, v15
	s_or_b64 exec, exec, s[2:3]
	s_and_saveexec_b64 s[2:3], vcc
	s_cbranch_execz .LBB317_1229
.LBB317_1245:
	ds_read_b32 v15, v14 offset:448
	s_waitcnt lgkmcnt(0)
	v_add_f32_e32 v11, v11, v15
	s_or_b64 exec, exec, s[2:3]
	s_and_saveexec_b64 s[2:3], vcc
	s_cbranch_execz .LBB317_1230
.LBB317_1246:
	ds_read_b32 v15, v14 offset:512
	s_waitcnt lgkmcnt(0)
	v_add_f32_e32 v10, v10, v15
	s_or_b64 exec, exec, s[2:3]
	s_and_saveexec_b64 s[2:3], vcc
	s_cbranch_execz .LBB317_1231
.LBB317_1247:
	ds_read_b32 v15, v14 offset:576
	s_waitcnt lgkmcnt(0)
	v_add_f32_e32 v9, v9, v15
	s_or_b64 exec, exec, s[2:3]
	s_and_saveexec_b64 s[2:3], vcc
	s_cbranch_execz .LBB317_1232
.LBB317_1248:
	ds_read_b32 v15, v14 offset:640
	s_waitcnt lgkmcnt(0)
	v_add_f32_e32 v5, v5, v15
	s_or_b64 exec, exec, s[2:3]
	s_and_saveexec_b64 s[2:3], vcc
	s_cbranch_execnz .LBB317_1233
	s_branch .LBB317_1234
	.section	.rodata,"a",@progbits
	.p2align	6, 0x0
	.amdhsa_kernel _ZN4vllm25paged_attention_v1_kernelI14__hip_bfloat16hLi192ELi32ELi128ELNS_18Fp8KVCacheDataTypeE1ELb1EEEvPT_PKS3_PKT0_S9_ifPKiSB_iPKfiiiSD_SD_iiiii
		.amdhsa_group_segment_fixed_size 400
		.amdhsa_private_segment_fixed_size 492
		.amdhsa_kernarg_size 384
		.amdhsa_user_sgpr_count 6
		.amdhsa_user_sgpr_private_segment_buffer 1
		.amdhsa_user_sgpr_dispatch_ptr 0
		.amdhsa_user_sgpr_queue_ptr 0
		.amdhsa_user_sgpr_kernarg_segment_ptr 1
		.amdhsa_user_sgpr_dispatch_id 0
		.amdhsa_user_sgpr_flat_scratch_init 0
		.amdhsa_user_sgpr_private_segment_size 0
		.amdhsa_uses_dynamic_stack 0
		.amdhsa_system_sgpr_private_segment_wavefront_offset 1
		.amdhsa_system_sgpr_workgroup_id_x 1
		.amdhsa_system_sgpr_workgroup_id_y 1
		.amdhsa_system_sgpr_workgroup_id_z 1
		.amdhsa_system_sgpr_workgroup_info 0
		.amdhsa_system_vgpr_workitem_id 0
		.amdhsa_next_free_vgpr 64
		.amdhsa_next_free_sgpr 64
		.amdhsa_reserve_vcc 1
		.amdhsa_reserve_flat_scratch 0
		.amdhsa_float_round_mode_32 0
		.amdhsa_float_round_mode_16_64 0
		.amdhsa_float_denorm_mode_32 3
		.amdhsa_float_denorm_mode_16_64 3
		.amdhsa_dx10_clamp 1
		.amdhsa_ieee_mode 1
		.amdhsa_fp16_overflow 0
		.amdhsa_exception_fp_ieee_invalid_op 0
		.amdhsa_exception_fp_denorm_src 0
		.amdhsa_exception_fp_ieee_div_zero 0
		.amdhsa_exception_fp_ieee_overflow 0
		.amdhsa_exception_fp_ieee_underflow 0
		.amdhsa_exception_fp_ieee_inexact 0
		.amdhsa_exception_int_div_zero 0
	.end_amdhsa_kernel
	.section	.text._ZN4vllm25paged_attention_v1_kernelI14__hip_bfloat16hLi192ELi32ELi128ELNS_18Fp8KVCacheDataTypeE1ELb1EEEvPT_PKS3_PKT0_S9_ifPKiSB_iPKfiiiSD_SD_iiiii,"axG",@progbits,_ZN4vllm25paged_attention_v1_kernelI14__hip_bfloat16hLi192ELi32ELi128ELNS_18Fp8KVCacheDataTypeE1ELb1EEEvPT_PKS3_PKT0_S9_ifPKiSB_iPKfiiiSD_SD_iiiii,comdat
.Lfunc_end317:
	.size	_ZN4vllm25paged_attention_v1_kernelI14__hip_bfloat16hLi192ELi32ELi128ELNS_18Fp8KVCacheDataTypeE1ELb1EEEvPT_PKS3_PKT0_S9_ifPKiSB_iPKfiiiSD_SD_iiiii, .Lfunc_end317-_ZN4vllm25paged_attention_v1_kernelI14__hip_bfloat16hLi192ELi32ELi128ELNS_18Fp8KVCacheDataTypeE1ELb1EEEvPT_PKS3_PKT0_S9_ifPKiSB_iPKfiiiSD_SD_iiiii
                                        ; -- End function
	.set _ZN4vllm25paged_attention_v1_kernelI14__hip_bfloat16hLi192ELi32ELi128ELNS_18Fp8KVCacheDataTypeE1ELb1EEEvPT_PKS3_PKT0_S9_ifPKiSB_iPKfiiiSD_SD_iiiii.num_vgpr, 64
	.set _ZN4vllm25paged_attention_v1_kernelI14__hip_bfloat16hLi192ELi32ELi128ELNS_18Fp8KVCacheDataTypeE1ELb1EEEvPT_PKS3_PKT0_S9_ifPKiSB_iPKfiiiSD_SD_iiiii.num_agpr, 0
	.set _ZN4vllm25paged_attention_v1_kernelI14__hip_bfloat16hLi192ELi32ELi128ELNS_18Fp8KVCacheDataTypeE1ELb1EEEvPT_PKS3_PKT0_S9_ifPKiSB_iPKfiiiSD_SD_iiiii.numbered_sgpr, 64
	.set _ZN4vllm25paged_attention_v1_kernelI14__hip_bfloat16hLi192ELi32ELi128ELNS_18Fp8KVCacheDataTypeE1ELb1EEEvPT_PKS3_PKT0_S9_ifPKiSB_iPKfiiiSD_SD_iiiii.num_named_barrier, 0
	.set _ZN4vllm25paged_attention_v1_kernelI14__hip_bfloat16hLi192ELi32ELi128ELNS_18Fp8KVCacheDataTypeE1ELb1EEEvPT_PKS3_PKT0_S9_ifPKiSB_iPKfiiiSD_SD_iiiii.private_seg_size, 492
	.set _ZN4vllm25paged_attention_v1_kernelI14__hip_bfloat16hLi192ELi32ELi128ELNS_18Fp8KVCacheDataTypeE1ELb1EEEvPT_PKS3_PKT0_S9_ifPKiSB_iPKfiiiSD_SD_iiiii.uses_vcc, 1
	.set _ZN4vllm25paged_attention_v1_kernelI14__hip_bfloat16hLi192ELi32ELi128ELNS_18Fp8KVCacheDataTypeE1ELb1EEEvPT_PKS3_PKT0_S9_ifPKiSB_iPKfiiiSD_SD_iiiii.uses_flat_scratch, 0
	.set _ZN4vllm25paged_attention_v1_kernelI14__hip_bfloat16hLi192ELi32ELi128ELNS_18Fp8KVCacheDataTypeE1ELb1EEEvPT_PKS3_PKT0_S9_ifPKiSB_iPKfiiiSD_SD_iiiii.has_dyn_sized_stack, 0
	.set _ZN4vllm25paged_attention_v1_kernelI14__hip_bfloat16hLi192ELi32ELi128ELNS_18Fp8KVCacheDataTypeE1ELb1EEEvPT_PKS3_PKT0_S9_ifPKiSB_iPKfiiiSD_SD_iiiii.has_recursion, 0
	.set _ZN4vllm25paged_attention_v1_kernelI14__hip_bfloat16hLi192ELi32ELi128ELNS_18Fp8KVCacheDataTypeE1ELb1EEEvPT_PKS3_PKT0_S9_ifPKiSB_iPKfiiiSD_SD_iiiii.has_indirect_call, 0
	.section	.AMDGPU.csdata,"",@progbits
; Kernel info:
; codeLenInByte = 59244
; TotalNumSgprs: 68
; NumVgprs: 64
; ScratchSize: 492
; MemoryBound: 0
; FloatMode: 240
; IeeeMode: 1
; LDSByteSize: 400 bytes/workgroup (compile time only)
; SGPRBlocks: 8
; VGPRBlocks: 15
; NumSGPRsForWavesPerEU: 68
; NumVGPRsForWavesPerEU: 64
; Occupancy: 4
; WaveLimiterHint : 1
; COMPUTE_PGM_RSRC2:SCRATCH_EN: 1
; COMPUTE_PGM_RSRC2:USER_SGPR: 6
; COMPUTE_PGM_RSRC2:TRAP_HANDLER: 0
; COMPUTE_PGM_RSRC2:TGID_X_EN: 1
; COMPUTE_PGM_RSRC2:TGID_Y_EN: 1
; COMPUTE_PGM_RSRC2:TGID_Z_EN: 1
; COMPUTE_PGM_RSRC2:TIDIG_COMP_CNT: 0
	.text
	.p2align	2                               ; -- Begin function _ZN4vllm22paged_attention_kernelI14__hip_bfloat16hLi256ELi32ELi128ELNS_18Fp8KVCacheDataTypeE1ELb1ELi0EEEvPfS3_PT_PKS4_PKT0_SA_ifPKiSC_iPKfiiiSE_SE_iiiii
	.type	_ZN4vllm22paged_attention_kernelI14__hip_bfloat16hLi256ELi32ELi128ELNS_18Fp8KVCacheDataTypeE1ELb1ELi0EEEvPfS3_PT_PKS4_PKT0_SA_ifPKiSC_iPKfiiiSE_SE_iiiii,@function
_ZN4vllm22paged_attention_kernelI14__hip_bfloat16hLi256ELi32ELi128ELNS_18Fp8KVCacheDataTypeE1ELb1ELi0EEEvPfS3_PT_PKS4_PKT0_SA_ifPKiSC_iPKfiiiSE_SE_iiiii: ; @_ZN4vllm22paged_attention_kernelI14__hip_bfloat16hLi256ELi32ELi128ELNS_18Fp8KVCacheDataTypeE1ELb1ELi0EEEvPfS3_PT_PKS4_PKT0_SA_ifPKiSC_iPKfiiiSE_SE_iiiii
; %bb.0:
	s_waitcnt vmcnt(0) expcnt(0) lgkmcnt(0)
	s_mov_b32 s16, s13
	s_ashr_i32 s17, s13, 31
	s_lshl_b64 s[4:5], s[16:17], 2
	buffer_store_dword v40, off, s[0:3], s32 offset:60 ; 4-byte Folded Spill
	buffer_store_dword v41, off, s[0:3], s32 offset:56 ; 4-byte Folded Spill
	;; [unrolled: 1-line block ×15, first 2 shown]
	buffer_store_dword v63, off, s[0:3], s32 ; 4-byte Folded Spill
	buffer_store_dword v26, off, s[0:3], s32 offset:836 ; 4-byte Folded Spill
	buffer_store_dword v18, off, s[0:3], s32 offset:556 ; 4-byte Folded Spill
	;; [unrolled: 1-line block ×9, first 2 shown]
	v_mov_b32_e32 v1, s5
	v_add_co_u32_e32 v0, vcc, s4, v12
	buffer_store_dword v22, off, s[0:3], s32 offset:788 ; 4-byte Folded Spill
	s_nop 0
	buffer_store_dword v23, off, s[0:3], s32 offset:792 ; 4-byte Folded Spill
	buffer_store_dword v20, off, s[0:3], s32 offset:796 ; 4-byte Folded Spill
	s_nop 0
	buffer_store_dword v21, off, s[0:3], s32 offset:800 ; 4-byte Folded Spill
	v_addc_co_u32_e32 v1, vcc, v13, v1, vcc
	flat_load_dword v0, v[0:1]
	v_sub_u32_e32 v6, 0, v8
	v_max_i32_e32 v6, v8, v6
	v_cvt_f32_u32_e32 v7, v6
	s_load_dword s4, s[8:9], 0x10
	s_load_dword s6, s[8:9], 0x0
	v_sub_u32_e32 v1, 0, v6
	s_mov_b32 s20, s15
	s_waitcnt lgkmcnt(0)
	s_lshr_b32 s4, s4, 16
	s_cmp_lg_u32 s4, 0
	s_cselect_b64 s[4:5], -1, 0
	s_cmp_lg_u64 s[4:5], 0
	s_addc_u32 s15, s6, 0
	s_abs_i32 s4, s15
	s_abs_i32 s10, s12
	s_waitcnt vmcnt(0)
	buffer_store_dword v0, off, s[0:3], s32 offset:64 ; 4-byte Folded Spill
	v_rcp_iflag_f32_e32 v0, v7
	v_mul_f32_e32 v0, 0x4f7ffffe, v0
	v_cvt_u32_f32_e32 v0, v0
	v_mul_lo_u32 v1, v1, v0
	v_mul_hi_u32 v1, v0, v1
	v_add_u32_e32 v0, v0, v1
	v_mul_hi_u32 v0, s4, v0
	v_mul_lo_u32 v1, v0, v6
	v_add_u32_e32 v7, 1, v0
	v_sub_u32_e32 v1, s4, v1
	v_cmp_ge_u32_e32 vcc, v1, v6
	v_cndmask_b32_e32 v0, v0, v7, vcc
	v_sub_u32_e32 v7, v1, v6
	v_cndmask_b32_e32 v1, v1, v7, vcc
	v_add_u32_e32 v7, 1, v0
	v_cmp_ge_u32_e32 vcc, v1, v6
	v_xor_b32_e32 v1, s15, v8
	v_cndmask_b32_e32 v0, v0, v7, vcc
	v_ashrrev_i32_e32 v1, 31, v1
	v_xor_b32_e32 v0, v0, v1
	v_sub_u32_e32 v0, v0, v1
	v_sub_u32_e32 v1, 0, v0
	v_max_i32_e32 v1, v0, v1
	v_cvt_f32_u32_e32 v6, v1
	v_sub_u32_e32 v7, 0, v1
	v_cmp_ne_u64_e32 vcc, 0, v[15:16]
	v_rcp_iflag_f32_e32 v6, v6
	v_mul_f32_e32 v6, 0x4f7ffffe, v6
	v_cvt_u32_f32_e32 v6, v6
	v_mul_lo_u32 v7, v7, v6
	v_mul_hi_u32 v7, v6, v7
	v_add_u32_e32 v6, v6, v7
	v_mad_u64_u32 v[12:13], s[4:5], s10, v6, 0
	v_mov_b32_e32 v6, 0
	buffer_store_dword v6, off, s[0:3], s32 offset:820 ; 4-byte Folded Spill
	s_and_saveexec_b64 s[4:5], vcc
	s_cbranch_execz .LBB318_2
; %bb.1:
	s_ashr_i32 s13, s12, 31
	s_lshl_b64 s[6:7], s[12:13], 2
	v_mov_b32_e32 v7, s7
	v_add_co_u32_e32 v6, vcc, s6, v15
	v_addc_co_u32_e32 v7, vcc, v16, v7, vcc
	flat_load_dword v6, v[6:7]
	s_waitcnt vmcnt(0) lgkmcnt(0)
	buffer_store_dword v6, off, s[0:3], s32 offset:820 ; 4-byte Folded Spill
.LBB318_2:
	s_or_b64 exec, exec, s[4:5]
	v_and_b32_e32 v7, 0x3ff, v31
	s_ashr_i32 s11, s12, 31
	v_ashrrev_i32_e32 v6, 31, v0
	v_and_b32_e32 v0, 1, v31
	s_lshl_b32 s18, s12, 8
	v_cmp_gt_u32_e64 s[4:5], 64, v7
	buffer_store_dword v7, off, s[0:3], s32 offset:784 ; 4-byte Folded Spill
	v_lshlrev_b32_e32 v7, 3, v7
	buffer_store_dword v7, off, s[0:3], s32 offset:848 ; 4-byte Folded Spill
	s_and_saveexec_b64 s[6:7], s[4:5]
	s_cbranch_execz .LBB318_4
; %bb.3:
	v_mul_lo_u32 v9, v17, s16
	s_ashr_i32 s19, s18, 31
	s_lshl_b64 s[22:23], s[18:19], 1
	v_mov_b32_e32 v7, s23
	v_ashrrev_i32_e32 v10, 31, v9
	v_lshlrev_b64 v[9:10], 1, v[9:10]
	v_add_co_u32_e32 v2, vcc, v2, v9
	v_addc_co_u32_e32 v3, vcc, v3, v10, vcc
	v_add_co_u32_e32 v2, vcc, s22, v2
	v_addc_co_u32_e32 v3, vcc, v3, v7, vcc
	buffer_load_dword v7, off, s[0:3], s32 offset:848 ; 4-byte Folded Reload
	s_waitcnt vmcnt(0)
	v_add_co_u32_e32 v2, vcc, v2, v7
	buffer_load_dword v7, off, s[0:3], s32 offset:784 ; 4-byte Folded Reload
	v_addc_co_u32_e32 v3, vcc, 0, v3, vcc
	flat_load_dwordx2 v[2:3], v[2:3]
	s_waitcnt vmcnt(0)
	v_lshlrev_b32_e32 v7, 2, v7
	v_and_b32_e32 v7, 0xff8, v7
	v_lshl_add_u32 v7, v0, 8, v7
	s_waitcnt lgkmcnt(0)
	ds_write_b64 v7, v[2:3]
.LBB318_4:
	s_or_b64 exec, exec, s[6:7]
	v_xor_b32_e32 v3, s11, v6
	v_sub_u32_e32 v6, 0, v27
	v_max_i32_e32 v10, v27, v6
	v_cvt_f32_u32_e32 v6, v10
	v_mul_lo_u32 v2, v13, v1
	v_add_u32_e32 v7, 1, v13
	buffer_store_dword v10, off, s[0:3], s32 offset:112 ; 4-byte Folded Spill
	v_rcp_iflag_f32_e32 v6, v6
	v_sub_u32_e32 v2, s10, v2
	v_cmp_ge_u32_e32 vcc, v2, v1
	v_sub_u32_e32 v9, v2, v1
	v_mul_f32_e32 v6, 0x4f7ffffe, v6
	v_cndmask_b32_e32 v7, v13, v7, vcc
	v_cndmask_b32_e32 v2, v2, v9, vcc
	v_cvt_u32_f32_e32 v6, v6
	v_add_u32_e32 v9, 1, v7
	v_cmp_ge_u32_e32 vcc, v2, v1
	v_cndmask_b32_e32 v1, v7, v9, vcc
	v_sub_u32_e32 v2, 0, v10
	v_xor_b32_e32 v1, v1, v3
	v_mul_lo_u32 v7, v2, v6
	v_sub_u32_e32 v2, v1, v3
	s_waitcnt lgkmcnt(0)
	buffer_load_dword v1, off, s[0:3], s32 offset:64 ; 4-byte Folded Reload
	v_mul_hi_u32 v7, v6, v7
	v_cmp_gt_i32_e32 vcc, 0, v28
	v_add_u32_e32 v6, v6, v7
	buffer_store_dword v6, off, s[0:3], s32 offset:120 ; 4-byte Folded Spill
	s_waitcnt vmcnt(0)
	s_barrier
	v_add_u32_e32 v3, -1, v1
	v_sub_u32_e32 v1, 0, v3
	v_max_i32_e32 v1, v3, v1
	v_mad_u64_u32 v[12:13], s[6:7], v1, v6, 0
                                        ; implicit-def: $vgpr6
	buffer_store_dword v6, off, s[0:3], s32 offset:104 ; 4-byte Folded Spill
	s_nop 0
	buffer_store_dword v7, off, s[0:3], s32 offset:108 ; 4-byte Folded Spill
	s_and_saveexec_b64 s[6:7], vcc
	s_xor_b64 s[6:7], exec, s[6:7]
	s_cbranch_execz .LBB318_6
; %bb.5:
	v_mad_u64_u32 v[6:7], s[10:11], v24, v8, v[2:3]
                                        ; implicit-def: $vgpr24
	v_mul_lo_u32 v6, v6, v28
                                        ; implicit-def: $vgpr28
	v_sub_u32_e32 v6, 1, v6
	buffer_store_dword v6, off, s[0:3], s32 offset:104 ; 4-byte Folded Spill
	s_nop 0
	buffer_store_dword v7, off, s[0:3], s32 offset:108 ; 4-byte Folded Spill
.LBB318_6:
	s_or_saveexec_b64 s[6:7], s[6:7]
	v_ashrrev_i32_e32 v3, 31, v3
	v_ashrrev_i32_e32 v6, 31, v27
	buffer_store_dword v6, off, s[0:3], s32 offset:116 ; 4-byte Folded Spill
	s_xor_b64 exec, exec, s[6:7]
	s_cbranch_execz .LBB318_8
; %bb.7:
	v_mul_lo_u32 v6, s15, v24
	v_add_u32_e32 v6, s12, v6
	v_mad_u64_u32 v[6:7], s[10:11], v6, v28, 1
	buffer_store_dword v6, off, s[0:3], s32 offset:104 ; 4-byte Folded Spill
	s_nop 0
	buffer_store_dword v7, off, s[0:3], s32 offset:108 ; 4-byte Folded Spill
.LBB318_8:
	s_or_b64 exec, exec, s[6:7]
	buffer_load_dword v10, off, s[0:3], s32 offset:112 ; 4-byte Folded Reload
	s_load_dword s19, s[8:9], 0x14
	s_load_dword s17, s[8:9], 0x8
	buffer_load_dword v9, off, s[0:3], s32 offset:116 ; 4-byte Folded Reload
	v_mul_lo_u32 v2, v2, v19
	v_mul_lo_u32 v6, v14, s16
	v_ashrrev_i32_e32 v7, 31, v6
	s_waitcnt vmcnt(1)
	v_mul_lo_u32 v8, v13, v10
	s_waitcnt vmcnt(0)
	v_xor_b32_e32 v3, v3, v9
	v_sub_u32_e32 v1, v1, v8
	v_add_u32_e32 v8, 1, v13
	v_cmp_ge_u32_e32 vcc, v1, v10
	v_sub_u32_e32 v9, v1, v10
	v_cndmask_b32_e32 v8, v13, v8, vcc
	v_cndmask_b32_e32 v1, v1, v9, vcc
	v_add_u32_e32 v9, 1, v8
	v_cmp_ge_u32_e32 vcc, v1, v10
	v_cndmask_b32_e32 v1, v8, v9, vcc
	v_xor_b32_e32 v1, v1, v3
	v_sub_u32_e32 v1, v1, v3
	buffer_load_dword v3, off, s[0:3], s32 offset:64 ; 4-byte Folded Reload
	v_sub_u32_e32 v1, v1, v25
	s_waitcnt vmcnt(0)
	v_add_u32_e32 v3, 31, v3
	v_ashrrev_i32_e32 v8, 31, v3
	v_lshrrev_b32_e32 v8, 27, v8
	v_add_u32_e32 v3, v3, v8
	v_ashrrev_i32_e32 v8, 5, v3
	buffer_load_dword v3, off, s[0:3], s32 offset:784 ; 4-byte Folded Reload
	s_waitcnt vmcnt(0)
	v_lshrrev_b32_e32 v9, 6, v3
	v_cmp_ge_i32_e64 s[6:7], v9, v8
	buffer_store_dword v8, off, s[0:3], s32 offset:80 ; 4-byte Folded Spill
	v_cmp_lt_i32_e32 vcc, v9, v8
	v_mov_b32_e32 v8, 0xff7fffff
	buffer_store_dword v8, off, s[0:3], s32 offset:780 ; 4-byte Folded Spill
	buffer_store_dword v1, off, s[0:3], s32 offset:124 ; 4-byte Folded Spill
	;; [unrolled: 1-line block ×3, first 2 shown]
	v_ashrrev_i32_e32 v1, 31, v2
	buffer_store_dword v1, off, s[0:3], s32 offset:868 ; 4-byte Folded Spill
	buffer_load_dword v1, off, s[0:3], s32 offset:836 ; 4-byte Folded Reload
	s_waitcnt vmcnt(0)
	v_sub_u32_e32 v1, 0, v1
	buffer_store_dword v1, off, s[0:3], s32 offset:872 ; 4-byte Folded Spill
	buffer_store_dword v9, off, s[0:3], s32 offset:76 ; 4-byte Folded Spill
	v_lshlrev_b32_e32 v1, 5, v9
	buffer_store_dword v1, off, s[0:3], s32 offset:84 ; 4-byte Folded Spill
	v_lshrrev_b32_e32 v1, 4, v3
	buffer_store_dword v1, off, s[0:3], s32 offset:852 ; 4-byte Folded Spill
	v_lshlrev_b64 v[1:2], 2, v[6:7]
	buffer_store_dword v1, off, s[0:3], s32 offset:856 ; 4-byte Folded Spill
	s_nop 0
	buffer_store_dword v2, off, s[0:3], s32 offset:860 ; 4-byte Folded Spill
	v_mbcnt_lo_u32_b32 v2, -1, 0
	s_and_saveexec_b64 s[22:23], vcc
	s_cbranch_execz .LBB318_788
; %bb.9:
	buffer_load_dword v1, off, s[0:3], s32 offset:784 ; 4-byte Folded Reload
	buffer_load_dword v3, off, s[0:3], s32 offset:868 ; 4-byte Folded Reload
	v_mov_b32_e32 v6, v2
	s_ashr_i32 s21, s20, 31
	s_lshl_b64 s[10:11], s[20:21], 2
	s_getpc_b64 s[12:13]
	s_add_u32 s12, s12, llvm.amdgcn.dynlds.offset.table@rel32@lo+4
	s_addc_u32 s13, s13, llvm.amdgcn.dynlds.offset.table@rel32@hi+12
	s_add_u32 s24, s12, s10
	s_addc_u32 s25, s13, s11
	s_load_dword s21, s[24:25], 0x0
	v_cmp_eq_u32_e64 s[8:9], 0, v0
	v_lshlrev_b32_e32 v55, 8, v0
	s_mov_b64 s[26:27], 0
	s_movk_i32 s44, 0x80
	s_movk_i32 s45, 0x7f
	s_mov_b32 s46, 0xffffff
	s_movk_i32 s47, 0x7fff
	buffer_load_dword v2, off, s[0:3], s32 offset:872 ; 4-byte Folded Reload
	s_waitcnt vmcnt(2)
	v_bfe_u32 v7, v1, 1, 5
	buffer_load_dword v1, off, s[0:3], s32 offset:836 ; 4-byte Folded Reload
	s_waitcnt vmcnt(0)
	v_max_i32_e32 v8, v1, v2
	buffer_load_dword v2, off, s[0:3], s32 offset:864 ; 4-byte Folded Reload
	v_cvt_f32_u32_e32 v1, v8
	buffer_store_dword v8, off, s[0:3], s32 offset:424 ; 4-byte Folded Spill
	v_rcp_iflag_f32_e32 v1, v1
	v_mul_f32_e32 v1, 0x4f7ffffe, v1
	v_cvt_u32_f32_e32 v1, v1
	s_waitcnt vmcnt(1)
	v_add_co_u32_e32 v2, vcc, v4, v2
	v_addc_co_u32_e32 v3, vcc, v5, v3, vcc
	v_lshlrev_b32_e32 v4, 4, v7
	v_add_co_u32_e32 v2, vcc, v2, v4
	v_addc_co_u32_e32 v3, vcc, 0, v3, vcc
	buffer_store_dword v2, off, s[0:3], s32 offset:804 ; 4-byte Folded Spill
	s_nop 0
	buffer_store_dword v3, off, s[0:3], s32 offset:808 ; 4-byte Folded Spill
	v_lshlrev_b32_e32 v3, 2, v0
	buffer_load_dword v0, off, s[0:3], s32 offset:820 ; 4-byte Folded Reload
	v_sub_u32_e32 v5, 0, v8
	v_mul_lo_u32 v5, v5, v1
	buffer_store_dword v3, off, s[0:3], s32 offset:68 ; 4-byte Folded Spill
	buffer_store_dword v7, off, s[0:3], s32 offset:828 ; 4-byte Folded Spill
	v_mul_hi_u32 v2, v1, v5
	s_waitcnt vmcnt(2)
	v_cmp_neq_f32_e64 s[10:11], 0, v0
	v_or_b32_e32 v0, 8, v3
	buffer_store_dword v0, off, s[0:3], s32 offset:72 ; 4-byte Folded Spill
	v_add_u32_e32 v0, v1, v2
	buffer_load_dword v2, off, s[0:3], s32 offset:76 ; 4-byte Folded Reload
	s_waitcnt vmcnt(0)
	v_lshlrev_b32_e32 v5, 5, v2
	buffer_store_dword v0, off, s[0:3], s32 offset:428 ; 4-byte Folded Spill
	v_lshlrev_b32_e32 v0, 2, v7
	v_lshl_or_b32 v0, v2, 7, v0
	buffer_store_dword v0, off, s[0:3], s32 offset:88 ; 4-byte Folded Spill
	buffer_load_dword v0, off, s[0:3], s32 offset:64 ; 4-byte Folded Reload
	s_waitcnt vmcnt(0)
	v_sub_u32_e32 v0, v7, v0
	v_add_u32_e32 v0, 1, v0
	buffer_store_dword v0, off, s[0:3], s32 offset:832 ; 4-byte Folded Spill
	buffer_load_dword v0, off, s[0:3], s32 offset:852 ; 4-byte Folded Reload
	s_nop 0
	buffer_load_dword v3, off, s[0:3], s32 offset:856 ; 4-byte Folded Reload
	buffer_load_dword v4, off, s[0:3], s32 offset:860 ; 4-byte Folded Reload
	s_waitcnt vmcnt(2)
	v_and_b32_e32 v0, 60, v0
	s_waitcnt vmcnt(1)
	v_add_co_u32_e32 v0, vcc, v0, v3
	buffer_load_dword v3, off, s[0:3], s32 offset:844 ; 4-byte Folded Reload
	s_waitcnt vmcnt(1)
	v_addc_co_u32_e32 v1, vcc, 0, v4, vcc
	s_waitcnt vmcnt(0)
	v_add_co_u32_e32 v3, vcc, v3, v0
	buffer_load_dword v0, off, s[0:3], s32 offset:840 ; 4-byte Folded Reload
	s_waitcnt vmcnt(0)
	v_addc_co_u32_e32 v4, vcc, v0, v1, vcc
	buffer_store_dword v3, off, s[0:3], s32 offset:92 ; 4-byte Folded Spill
	s_nop 0
	buffer_store_dword v4, off, s[0:3], s32 offset:96 ; 4-byte Folded Spill
	v_mbcnt_hi_u32_b32 v0, -1, v6
	v_mov_b32_e32 v1, v5
	buffer_store_dword v0, off, s[0:3], s32 offset:816 ; 4-byte Folded Spill
	v_mov_b32_e32 v0, 0xff7fffff
	v_mov_b32_e32 v4, v2
	buffer_store_dword v0, off, s[0:3], s32 offset:780 ; 4-byte Folded Spill
	buffer_store_dword v55, off, s[0:3], s32 offset:812 ; 4-byte Folded Spill
	s_branch .LBB318_12
.LBB318_10:                             ;   in Loop: Header=BB318_12 Depth=1
	s_or_b64 exec, exec, s[28:29]
.LBB318_11:                             ;   in Loop: Header=BB318_12 Depth=1
	s_or_b64 exec, exec, s[12:13]
	s_waitcnt lgkmcnt(0)
	buffer_load_dword v1, off, s[0:3], s32 offset:100 ; 4-byte Folded Reload
	buffer_load_dword v4, off, s[0:3], s32 offset:128 ; 4-byte Folded Reload
	;; [unrolled: 1-line block ×3, first 2 shown]
	s_waitcnt vmcnt(2)
	v_add_u32_e32 v1, 64, v1
	s_waitcnt vmcnt(1)
	v_add_u32_e32 v4, 2, v4
	s_waitcnt vmcnt(0)
	v_add_u32_e32 v0, 0x100, v0
	buffer_store_dword v0, off, s[0:3], s32 offset:88 ; 4-byte Folded Spill
	buffer_load_dword v0, off, s[0:3], s32 offset:80 ; 4-byte Folded Reload
	s_nop 0
	buffer_load_dword v2, off, s[0:3], s32 offset:92 ; 4-byte Folded Reload
	buffer_load_dword v3, off, s[0:3], s32 offset:96 ; 4-byte Folded Reload
	s_waitcnt vmcnt(2)
	v_cmp_ge_i32_e32 vcc, v4, v0
	s_or_b64 s[26:27], vcc, s[26:27]
	s_waitcnt vmcnt(1)
	v_add_co_u32_e32 v2, vcc, 8, v2
	s_waitcnt vmcnt(0)
	v_addc_co_u32_e32 v3, vcc, 0, v3, vcc
	buffer_store_dword v2, off, s[0:3], s32 offset:92 ; 4-byte Folded Spill
	s_nop 0
	buffer_store_dword v3, off, s[0:3], s32 offset:96 ; 4-byte Folded Spill
	s_andn2_b64 exec, exec, s[26:27]
	s_cbranch_execz .LBB318_787
.LBB318_12:                             ; =>This Inner Loop Header: Depth=1
	buffer_load_dword v0, off, s[0:3], s32 offset:120 ; 4-byte Folded Reload
	buffer_load_dword v3, off, s[0:3], s32 offset:112 ; 4-byte Folded Reload
	s_waitcnt vmcnt(1)
	v_mul_hi_u32 v0, v1, v0
	buffer_store_dword v4, off, s[0:3], s32 offset:128 ; 4-byte Folded Spill
	v_mov_b32_e32 v4, v1
	buffer_store_dword v4, off, s[0:3], s32 offset:100 ; 4-byte Folded Spill
	s_waitcnt vmcnt(2)
	v_mul_lo_u32 v1, v0, v3
	v_add_u32_e32 v2, 1, v0
	v_sub_u32_e32 v1, v4, v1
	v_cmp_ge_u32_e32 vcc, v1, v3
	v_cndmask_b32_e32 v0, v0, v2, vcc
	v_sub_u32_e32 v2, v1, v3
	v_cndmask_b32_e32 v1, v1, v2, vcc
	v_cmp_ge_u32_e32 vcc, v1, v3
	buffer_load_dword v1, off, s[0:3], s32 offset:116 ; 4-byte Folded Reload
	v_add_u32_e32 v2, 1, v0
	v_cndmask_b32_e32 v0, v0, v2, vcc
	s_waitcnt vmcnt(0)
	v_xor_b32_e32 v0, v0, v1
	v_sub_u32_e32 v0, v0, v1
	buffer_load_dword v1, off, s[0:3], s32 offset:104 ; 4-byte Folded Reload
	buffer_load_dword v2, off, s[0:3], s32 offset:108 ; 4-byte Folded Reload
	;; [unrolled: 1-line block ×4, first 2 shown]
	s_waitcnt vmcnt(3)
	v_add_u32_e32 v1, v0, v1
	s_waitcnt vmcnt(2)
	v_sub_u32_e32 v2, 0, v1
	v_max_i32_e32 v2, v1, v2
	s_waitcnt vmcnt(1)
	v_mul_hi_u32 v3, v2, v3
	v_ashrrev_i32_e32 v1, 31, v1
	s_waitcnt vmcnt(0)
	v_mul_lo_u32 v3, v3, v4
	v_sub_u32_e32 v2, v2, v3
	v_sub_u32_e32 v3, v2, v4
	v_cmp_ge_u32_e32 vcc, v2, v4
	v_cndmask_b32_e32 v2, v2, v3, vcc
	v_sub_u32_e32 v3, v2, v4
	v_cmp_ge_u32_e32 vcc, v2, v4
	v_cndmask_b32_e32 v2, v2, v3, vcc
	v_xor_b32_e32 v2, v2, v1
	v_sub_u32_e32 v1, v2, v1
	v_cmp_ne_u32_e32 vcc, 0, v1
	buffer_load_dword v1, off, s[0:3], s32 offset:124 ; 4-byte Folded Reload
	s_waitcnt vmcnt(0)
	v_cmp_le_i32_e64 s[12:13], v0, v1
	s_and_b64 s[12:13], vcc, s[12:13]
	s_and_saveexec_b64 s[28:29], s[12:13]
	s_xor_b64 s[12:13], exec, s[28:29]
	s_cbranch_execz .LBB318_16
; %bb.13:                               ;   in Loop: Header=BB318_12 Depth=1
	s_and_saveexec_b64 s[28:29], s[8:9]
	s_cbranch_execz .LBB318_15
; %bb.14:                               ;   in Loop: Header=BB318_12 Depth=1
	buffer_load_dword v0, off, s[0:3], s32 offset:88 ; 4-byte Folded Reload
	v_mov_b32_e32 v1, 0xff7fffff
	s_waitcnt vmcnt(0) lgkmcnt(0)
	v_add_u32_e32 v0, s21, v0
	ds_write_b32 v0, v1
.LBB318_15:                             ;   in Loop: Header=BB318_12 Depth=1
	s_or_b64 exec, exec, s[28:29]
.LBB318_16:                             ;   in Loop: Header=BB318_12 Depth=1
	s_andn2_saveexec_b64 s[12:13], s[12:13]
	s_cbranch_execz .LBB318_11
; %bb.17:                               ;   in Loop: Header=BB318_12 Depth=1
	buffer_load_dword v0, off, s[0:3], s32 offset:92 ; 4-byte Folded Reload
	buffer_load_dword v1, off, s[0:3], s32 offset:96 ; 4-byte Folded Reload
	v_mov_b32_e32 v46, 0
	v_mov_b32_e32 v60, 0
	s_waitcnt vmcnt(0)
	flat_load_dword v0, v[0:1]
	s_nop 0
	buffer_load_dword v1, off, s[0:3], s32 offset:556 ; 4-byte Folded Reload
	buffer_load_dword v2, off, s[0:3], s32 offset:804 ; 4-byte Folded Reload
	;; [unrolled: 1-line block ×3, first 2 shown]
	s_waitcnt vmcnt(0) lgkmcnt(0)
	v_mad_i64_i32 v[39:40], s[28:29], v0, v1, v[2:3]
	buffer_load_dword v0, off, s[0:3], s32 offset:68 ; 4-byte Folded Reload
	s_waitcnt vmcnt(0)
	v_add_co_u32_e32 v41, vcc, v39, v0
	v_addc_co_u32_e32 v42, vcc, 0, v40, vcc
	flat_load_dword v8, v[41:42]
	buffer_load_dword v0, off, s[0:3], s32 offset:796 ; 4-byte Folded Reload
	buffer_load_dword v1, off, s[0:3], s32 offset:800 ; 4-byte Folded Reload
	s_waitcnt vmcnt(0)
	flat_load_dword v9, v[0:1]
	ds_read_b128 v[0:3], v55
	s_waitcnt lgkmcnt(0)
	buffer_store_dword v0, off, s[0:3], s32 offset:516 ; 4-byte Folded Spill
	s_nop 0
	buffer_store_dword v1, off, s[0:3], s32 offset:520 ; 4-byte Folded Spill
	buffer_store_dword v2, off, s[0:3], s32 offset:524 ; 4-byte Folded Spill
	buffer_store_dword v3, off, s[0:3], s32 offset:528 ; 4-byte Folded Spill
	ds_read_b128 v[0:3], v55 offset:16
	s_waitcnt lgkmcnt(0)
	buffer_store_dword v0, off, s[0:3], s32 offset:500 ; 4-byte Folded Spill
	s_nop 0
	buffer_store_dword v1, off, s[0:3], s32 offset:504 ; 4-byte Folded Spill
	buffer_store_dword v2, off, s[0:3], s32 offset:508 ; 4-byte Folded Spill
	buffer_store_dword v3, off, s[0:3], s32 offset:512 ; 4-byte Folded Spill
	ds_read_b128 v[0:3], v55 offset:32
	;; [unrolled: 7-line block ×5, first 2 shown]
	s_waitcnt lgkmcnt(0)
	buffer_store_dword v0, off, s[0:3], s32 offset:432 ; 4-byte Folded Spill
	s_nop 0
	buffer_store_dword v1, off, s[0:3], s32 offset:436 ; 4-byte Folded Spill
	buffer_store_dword v2, off, s[0:3], s32 offset:440 ; 4-byte Folded Spill
	;; [unrolled: 1-line block ×3, first 2 shown]
	ds_read_b32 v0, v55 offset:96
	s_waitcnt lgkmcnt(0)
	buffer_store_dword v0, off, s[0:3], s32 offset:648 ; 4-byte Folded Spill
	ds_read_u16 v0, v55 offset:100
	s_waitcnt lgkmcnt(0)
	buffer_store_dword v0, off, s[0:3], s32 offset:448 ; 4-byte Folded Spill
	v_mov_b32_e32 v0, 0
	v_cmp_ne_u16_sdwa s[40:41], v8, v0 src0_sel:BYTE_0 src1_sel:DWORD
	s_and_saveexec_b64 s[28:29], s[40:41]
	s_cbranch_execz .LBB318_23
; %bb.18:                               ;   in Loop: Header=BB318_12 Depth=1
	v_cmp_ne_u16_sdwa s[42:43], v8, s44 src0_sel:BYTE_0 src1_sel:DWORD
	v_bfrev_b32_e32 v60, 1
	s_and_saveexec_b64 s[40:41], s[42:43]
	s_cbranch_execz .LBB318_22
; %bb.19:                               ;   in Loop: Header=BB318_12 Depth=1
	v_and_b32_e32 v0, 0x7f, v8
	v_cmp_ne_u32_e32 vcc, s45, v0
	v_mov_b32_e32 v60, 0x7f800001
	s_and_saveexec_b64 s[42:43], vcc
	s_cbranch_execz .LBB318_21
; %bb.20:                               ;   in Loop: Header=BB318_12 Depth=1
	v_and_b32_e32 v2, 7, v8
	v_lshrrev_b32_e32 v3, 3, v0
	v_cmp_gt_u32_e32 vcc, 8, v0
	v_ffbh_u32_e32 v0, v2
	v_min_u32_e32 v4, 32, v0
	v_subrev_u32_e32 v0, 28, v4
	s_waitcnt vmcnt(0)
	v_lshlrev_b64 v[0:1], v0, v[8:9]
	v_sub_u32_e32 v1, 29, v4
	v_and_b32_e32 v0, 7, v0
	v_cndmask_b32_e32 v1, v3, v1, vcc
	v_cndmask_b32_e32 v0, v2, v0, vcc
	v_lshlrev_b32_e32 v2, 24, v8
	v_bfrev_b32_e32 v3, 60
	v_lshlrev_b32_e32 v0, 20, v0
	v_and_b32_e32 v2, 0x80000000, v2
	v_lshl_add_u32 v1, v1, 23, v3
	v_or3_b32 v60, v2, v1, v0
.LBB318_21:                             ;   in Loop: Header=BB318_12 Depth=1
	s_or_b64 exec, exec, s[42:43]
.LBB318_22:                             ;   in Loop: Header=BB318_12 Depth=1
	s_or_b64 exec, exec, s[40:41]
.LBB318_23:                             ;   in Loop: Header=BB318_12 Depth=1
	s_or_b64 exec, exec, s[28:29]
	v_lshrrev_b16_e32 v17, 8, v8
	v_cmp_ne_u16_e32 vcc, 0, v17
	s_and_saveexec_b64 s[28:29], vcc
	s_cbranch_execz .LBB318_29
; %bb.24:                               ;   in Loop: Header=BB318_12 Depth=1
	v_cmp_ne_u16_e32 vcc, s44, v17
	v_bfrev_b32_e32 v46, 1
	s_and_saveexec_b64 s[40:41], vcc
	s_cbranch_execz .LBB318_28
; %bb.25:                               ;   in Loop: Header=BB318_12 Depth=1
	v_and_b32_e32 v0, 0x7f, v17
	v_cmp_ne_u32_e32 vcc, s45, v0
	v_mov_b32_e32 v46, 0x7f800001
	s_and_saveexec_b64 s[42:43], vcc
	s_cbranch_execz .LBB318_27
; %bb.26:                               ;   in Loop: Header=BB318_12 Depth=1
	v_and_b32_e32 v2, 7, v17
	v_lshrrev_b32_e32 v3, 3, v0
	v_cmp_gt_u32_e32 vcc, 8, v0
	v_ffbh_u32_e32 v0, v2
	v_min_u32_e32 v4, 32, v0
	v_subrev_u32_e32 v0, 28, v4
	v_lshlrev_b64 v[0:1], v0, v[17:18]
	v_sub_u32_e32 v1, 29, v4
	v_and_b32_e32 v0, 7, v0
	v_cndmask_b32_e32 v1, v3, v1, vcc
	v_cndmask_b32_e32 v0, v2, v0, vcc
	v_lshlrev_b32_e32 v2, 16, v8
	v_bfrev_b32_e32 v3, 60
	v_lshlrev_b32_e32 v0, 20, v0
	v_and_b32_e32 v2, 0x80000000, v2
	v_lshl_add_u32 v1, v1, 23, v3
	v_or3_b32 v46, v2, v1, v0
.LBB318_27:                             ;   in Loop: Header=BB318_12 Depth=1
	s_or_b64 exec, exec, s[42:43]
.LBB318_28:                             ;   in Loop: Header=BB318_12 Depth=1
	s_or_b64 exec, exec, s[40:41]
.LBB318_29:                             ;   in Loop: Header=BB318_12 Depth=1
	s_or_b64 exec, exec, s[28:29]
	v_lshrrev_b32_e32 v17, 16, v8
	v_mov_b32_e32 v0, 0
	v_cmp_ne_u16_sdwa s[40:41], v17, v0 src0_sel:BYTE_0 src1_sel:DWORD
	v_mov_b32_e32 v56, 0
	v_mov_b32_e32 v61, 0
	s_and_saveexec_b64 s[28:29], s[40:41]
	s_cbranch_execz .LBB318_35
; %bb.30:                               ;   in Loop: Header=BB318_12 Depth=1
	v_cmp_ne_u16_sdwa s[42:43], v17, s44 src0_sel:BYTE_0 src1_sel:DWORD
	v_bfrev_b32_e32 v61, 1
	s_and_saveexec_b64 s[40:41], s[42:43]
	s_cbranch_execz .LBB318_34
; %bb.31:                               ;   in Loop: Header=BB318_12 Depth=1
	v_bfe_u32 v0, v8, 16, 7
	v_cmp_ne_u32_e32 vcc, s45, v0
	v_mov_b32_e32 v61, 0x7f800001
	s_and_saveexec_b64 s[42:43], vcc
	s_cbranch_execz .LBB318_33
; %bb.32:                               ;   in Loop: Header=BB318_12 Depth=1
	v_and_b32_e32 v2, 7, v17
	v_lshrrev_b32_e32 v3, 3, v0
	v_cmp_gt_u32_e32 vcc, 8, v0
	v_ffbh_u32_e32 v0, v2
	v_min_u32_e32 v4, 32, v0
	v_subrev_u32_e32 v0, 28, v4
	v_lshlrev_b64 v[0:1], v0, v[17:18]
	v_sub_u32_e32 v1, 29, v4
	v_and_b32_e32 v0, 7, v0
	v_cndmask_b32_e32 v1, v3, v1, vcc
	v_cndmask_b32_e32 v0, v2, v0, vcc
	v_lshlrev_b32_e32 v2, 24, v17
	v_bfrev_b32_e32 v3, 60
	v_lshlrev_b32_e32 v0, 20, v0
	v_and_b32_e32 v2, 0x80000000, v2
	v_lshl_add_u32 v1, v1, 23, v3
	v_or3_b32 v61, v2, v1, v0
.LBB318_33:                             ;   in Loop: Header=BB318_12 Depth=1
	s_or_b64 exec, exec, s[42:43]
.LBB318_34:                             ;   in Loop: Header=BB318_12 Depth=1
	s_or_b64 exec, exec, s[40:41]
.LBB318_35:                             ;   in Loop: Header=BB318_12 Depth=1
	s_or_b64 exec, exec, s[28:29]
	v_cmp_lt_u32_e32 vcc, s46, v8
	s_and_saveexec_b64 s[28:29], vcc
	s_cbranch_execz .LBB318_41
; %bb.36:                               ;   in Loop: Header=BB318_12 Depth=1
	v_lshrrev_b32_e32 v17, 24, v8
	v_cmp_ne_u32_e32 vcc, s44, v17
	v_bfrev_b32_e32 v56, 1
	s_and_saveexec_b64 s[40:41], vcc
	s_cbranch_execz .LBB318_40
; %bb.37:                               ;   in Loop: Header=BB318_12 Depth=1
	v_bfe_u32 v0, v8, 24, 7
	v_cmp_ne_u32_e32 vcc, s45, v0
	v_mov_b32_e32 v56, 0x7f800001
	s_and_saveexec_b64 s[42:43], vcc
	s_cbranch_execz .LBB318_39
; %bb.38:                               ;   in Loop: Header=BB318_12 Depth=1
	v_and_b32_e32 v2, 7, v17
	v_lshrrev_b32_e32 v3, 3, v0
	v_cmp_gt_u32_e32 vcc, 8, v0
	v_ffbh_u32_e32 v0, v2
	v_min_u32_e32 v4, 32, v0
	v_subrev_u32_e32 v0, 28, v4
	v_lshlrev_b64 v[0:1], v0, v[17:18]
	v_sub_u32_e32 v1, 29, v4
	v_and_b32_e32 v0, 7, v0
	v_cndmask_b32_e32 v1, v3, v1, vcc
	v_cndmask_b32_e32 v0, v2, v0, vcc
	v_lshlrev_b32_e32 v2, 24, v17
	v_bfrev_b32_e32 v3, 60
	v_lshlrev_b32_e32 v0, 20, v0
	v_and_b32_e32 v2, 0x80000000, v2
	v_lshl_add_u32 v1, v1, 23, v3
	v_or3_b32 v56, v2, v1, v0
.LBB318_39:                             ;   in Loop: Header=BB318_12 Depth=1
	s_or_b64 exec, exec, s[42:43]
.LBB318_40:                             ;   in Loop: Header=BB318_12 Depth=1
	s_or_b64 exec, exec, s[40:41]
.LBB318_41:                             ;   in Loop: Header=BB318_12 Depth=1
	s_or_b64 exec, exec, s[28:29]
	flat_load_dword v8, v[41:42] offset:8
	v_mov_b32_e32 v0, 0
	v_mov_b32_e32 v24, 0
	;; [unrolled: 1-line block ×3, first 2 shown]
	s_waitcnt vmcnt(0) lgkmcnt(0)
	v_cmp_ne_u16_sdwa s[40:41], v8, v0 src0_sel:BYTE_0 src1_sel:DWORD
	s_and_saveexec_b64 s[28:29], s[40:41]
	s_cbranch_execz .LBB318_47
; %bb.42:                               ;   in Loop: Header=BB318_12 Depth=1
	v_cmp_ne_u16_sdwa s[42:43], v8, s44 src0_sel:BYTE_0 src1_sel:DWORD
	v_bfrev_b32_e32 v62, 1
	s_and_saveexec_b64 s[40:41], s[42:43]
	s_cbranch_execz .LBB318_46
; %bb.43:                               ;   in Loop: Header=BB318_12 Depth=1
	v_and_b32_e32 v0, 0x7f, v8
	v_cmp_ne_u32_e32 vcc, s45, v0
	v_mov_b32_e32 v62, 0x7f800001
	s_and_saveexec_b64 s[42:43], vcc
	s_cbranch_execz .LBB318_45
; %bb.44:                               ;   in Loop: Header=BB318_12 Depth=1
	v_and_b32_e32 v2, 7, v8
	v_lshrrev_b32_e32 v3, 3, v0
	v_cmp_gt_u32_e32 vcc, 8, v0
	v_ffbh_u32_e32 v0, v2
	v_min_u32_e32 v4, 32, v0
	v_subrev_u32_e32 v0, 28, v4
	v_lshlrev_b64 v[0:1], v0, v[8:9]
	v_sub_u32_e32 v1, 29, v4
	v_and_b32_e32 v0, 7, v0
	v_cndmask_b32_e32 v1, v3, v1, vcc
	v_cndmask_b32_e32 v0, v2, v0, vcc
	v_lshlrev_b32_e32 v2, 24, v8
	v_bfrev_b32_e32 v3, 60
	v_lshlrev_b32_e32 v0, 20, v0
	v_and_b32_e32 v2, 0x80000000, v2
	v_lshl_add_u32 v1, v1, 23, v3
	v_or3_b32 v62, v2, v1, v0
.LBB318_45:                             ;   in Loop: Header=BB318_12 Depth=1
	s_or_b64 exec, exec, s[42:43]
.LBB318_46:                             ;   in Loop: Header=BB318_12 Depth=1
	s_or_b64 exec, exec, s[40:41]
.LBB318_47:                             ;   in Loop: Header=BB318_12 Depth=1
	s_or_b64 exec, exec, s[28:29]
	v_lshrrev_b16_e32 v17, 8, v8
	v_cmp_ne_u16_e32 vcc, 0, v17
	s_and_saveexec_b64 s[28:29], vcc
	s_cbranch_execz .LBB318_53
; %bb.48:                               ;   in Loop: Header=BB318_12 Depth=1
	v_cmp_ne_u16_e32 vcc, s44, v17
	v_bfrev_b32_e32 v24, 1
	s_and_saveexec_b64 s[40:41], vcc
	s_cbranch_execz .LBB318_52
; %bb.49:                               ;   in Loop: Header=BB318_12 Depth=1
	v_and_b32_e32 v0, 0x7f, v17
	v_cmp_ne_u32_e32 vcc, s45, v0
	v_mov_b32_e32 v24, 0x7f800001
	s_and_saveexec_b64 s[42:43], vcc
	s_cbranch_execz .LBB318_51
; %bb.50:                               ;   in Loop: Header=BB318_12 Depth=1
	v_and_b32_e32 v2, 7, v17
	v_lshrrev_b32_e32 v3, 3, v0
	v_cmp_gt_u32_e32 vcc, 8, v0
	v_ffbh_u32_e32 v0, v2
	v_min_u32_e32 v4, 32, v0
	v_subrev_u32_e32 v0, 28, v4
	v_lshlrev_b64 v[0:1], v0, v[17:18]
	v_sub_u32_e32 v1, 29, v4
	v_and_b32_e32 v0, 7, v0
	v_cndmask_b32_e32 v1, v3, v1, vcc
	v_cndmask_b32_e32 v0, v2, v0, vcc
	v_lshlrev_b32_e32 v2, 16, v8
	v_bfrev_b32_e32 v3, 60
	v_lshlrev_b32_e32 v0, 20, v0
	v_and_b32_e32 v2, 0x80000000, v2
	v_lshl_add_u32 v1, v1, 23, v3
	v_or3_b32 v24, v2, v1, v0
.LBB318_51:                             ;   in Loop: Header=BB318_12 Depth=1
	s_or_b64 exec, exec, s[42:43]
.LBB318_52:                             ;   in Loop: Header=BB318_12 Depth=1
	s_or_b64 exec, exec, s[40:41]
.LBB318_53:                             ;   in Loop: Header=BB318_12 Depth=1
	s_or_b64 exec, exec, s[28:29]
	v_lshrrev_b32_e32 v17, 16, v8
	v_mov_b32_e32 v0, 0
	v_cmp_ne_u16_sdwa s[40:41], v17, v0 src0_sel:BYTE_0 src1_sel:DWORD
	v_mov_b32_e32 v44, 0
	v_mov_b32_e32 v53, 0
	s_and_saveexec_b64 s[28:29], s[40:41]
	s_cbranch_execz .LBB318_59
; %bb.54:                               ;   in Loop: Header=BB318_12 Depth=1
	v_cmp_ne_u16_sdwa s[42:43], v17, s44 src0_sel:BYTE_0 src1_sel:DWORD
	v_bfrev_b32_e32 v53, 1
	s_and_saveexec_b64 s[40:41], s[42:43]
	s_cbranch_execz .LBB318_58
; %bb.55:                               ;   in Loop: Header=BB318_12 Depth=1
	v_bfe_u32 v0, v8, 16, 7
	v_cmp_ne_u32_e32 vcc, s45, v0
	v_mov_b32_e32 v53, 0x7f800001
	s_and_saveexec_b64 s[42:43], vcc
	s_cbranch_execz .LBB318_57
; %bb.56:                               ;   in Loop: Header=BB318_12 Depth=1
	v_and_b32_e32 v2, 7, v17
	v_lshrrev_b32_e32 v3, 3, v0
	v_cmp_gt_u32_e32 vcc, 8, v0
	v_ffbh_u32_e32 v0, v2
	v_min_u32_e32 v4, 32, v0
	v_subrev_u32_e32 v0, 28, v4
	v_lshlrev_b64 v[0:1], v0, v[17:18]
	v_sub_u32_e32 v1, 29, v4
	v_and_b32_e32 v0, 7, v0
	v_cndmask_b32_e32 v1, v3, v1, vcc
	v_cndmask_b32_e32 v0, v2, v0, vcc
	v_lshlrev_b32_e32 v2, 24, v17
	v_bfrev_b32_e32 v3, 60
	v_lshlrev_b32_e32 v0, 20, v0
	v_and_b32_e32 v2, 0x80000000, v2
	v_lshl_add_u32 v1, v1, 23, v3
	v_or3_b32 v53, v2, v1, v0
.LBB318_57:                             ;   in Loop: Header=BB318_12 Depth=1
	s_or_b64 exec, exec, s[42:43]
.LBB318_58:                             ;   in Loop: Header=BB318_12 Depth=1
	s_or_b64 exec, exec, s[40:41]
.LBB318_59:                             ;   in Loop: Header=BB318_12 Depth=1
	s_or_b64 exec, exec, s[28:29]
	v_cmp_lt_u32_e32 vcc, s46, v8
	s_and_saveexec_b64 s[28:29], vcc
	s_cbranch_execz .LBB318_65
; %bb.60:                               ;   in Loop: Header=BB318_12 Depth=1
	v_lshrrev_b32_e32 v17, 24, v8
	v_cmp_ne_u32_e32 vcc, s44, v17
	v_bfrev_b32_e32 v44, 1
	s_and_saveexec_b64 s[40:41], vcc
	s_cbranch_execz .LBB318_64
; %bb.61:                               ;   in Loop: Header=BB318_12 Depth=1
	v_bfe_u32 v0, v8, 24, 7
	v_cmp_ne_u32_e32 vcc, s45, v0
	v_mov_b32_e32 v44, 0x7f800001
	s_and_saveexec_b64 s[42:43], vcc
	s_cbranch_execz .LBB318_63
; %bb.62:                               ;   in Loop: Header=BB318_12 Depth=1
	v_and_b32_e32 v2, 7, v17
	v_lshrrev_b32_e32 v3, 3, v0
	v_cmp_gt_u32_e32 vcc, 8, v0
	v_ffbh_u32_e32 v0, v2
	v_min_u32_e32 v4, 32, v0
	v_subrev_u32_e32 v0, 28, v4
	v_lshlrev_b64 v[0:1], v0, v[17:18]
	v_sub_u32_e32 v1, 29, v4
	v_and_b32_e32 v0, 7, v0
	v_cndmask_b32_e32 v1, v3, v1, vcc
	v_cndmask_b32_e32 v0, v2, v0, vcc
	v_lshlrev_b32_e32 v2, 24, v17
	v_bfrev_b32_e32 v3, 60
	v_lshlrev_b32_e32 v0, 20, v0
	v_and_b32_e32 v2, 0x80000000, v2
	v_lshl_add_u32 v1, v1, 23, v3
	v_or3_b32 v44, v2, v1, v0
.LBB318_63:                             ;   in Loop: Header=BB318_12 Depth=1
	s_or_b64 exec, exec, s[42:43]
.LBB318_64:                             ;   in Loop: Header=BB318_12 Depth=1
	s_or_b64 exec, exec, s[40:41]
.LBB318_65:                             ;   in Loop: Header=BB318_12 Depth=1
	s_or_b64 exec, exec, s[28:29]
	flat_load_dword v8, v[41:42] offset:512
	v_mov_b32_e32 v0, 0
	v_mov_b32_e32 v45, 0
	;; [unrolled: 1-line block ×3, first 2 shown]
	s_waitcnt vmcnt(0) lgkmcnt(0)
	v_cmp_ne_u16_sdwa s[40:41], v8, v0 src0_sel:BYTE_0 src1_sel:DWORD
	s_and_saveexec_b64 s[28:29], s[40:41]
	s_cbranch_execz .LBB318_71
; %bb.66:                               ;   in Loop: Header=BB318_12 Depth=1
	v_cmp_ne_u16_sdwa s[42:43], v8, s44 src0_sel:BYTE_0 src1_sel:DWORD
	v_bfrev_b32_e32 v47, 1
	s_and_saveexec_b64 s[40:41], s[42:43]
	s_cbranch_execz .LBB318_70
; %bb.67:                               ;   in Loop: Header=BB318_12 Depth=1
	v_and_b32_e32 v0, 0x7f, v8
	v_cmp_ne_u32_e32 vcc, s45, v0
	v_mov_b32_e32 v47, 0x7f800001
	s_and_saveexec_b64 s[42:43], vcc
	s_cbranch_execz .LBB318_69
; %bb.68:                               ;   in Loop: Header=BB318_12 Depth=1
	v_and_b32_e32 v2, 7, v8
	v_lshrrev_b32_e32 v3, 3, v0
	v_cmp_gt_u32_e32 vcc, 8, v0
	v_ffbh_u32_e32 v0, v2
	v_min_u32_e32 v4, 32, v0
	v_subrev_u32_e32 v0, 28, v4
	v_lshlrev_b64 v[0:1], v0, v[8:9]
	v_sub_u32_e32 v1, 29, v4
	v_and_b32_e32 v0, 7, v0
	v_cndmask_b32_e32 v1, v3, v1, vcc
	v_cndmask_b32_e32 v0, v2, v0, vcc
	v_lshlrev_b32_e32 v2, 24, v8
	v_bfrev_b32_e32 v3, 60
	v_lshlrev_b32_e32 v0, 20, v0
	v_and_b32_e32 v2, 0x80000000, v2
	v_lshl_add_u32 v1, v1, 23, v3
	v_or3_b32 v47, v2, v1, v0
.LBB318_69:                             ;   in Loop: Header=BB318_12 Depth=1
	s_or_b64 exec, exec, s[42:43]
.LBB318_70:                             ;   in Loop: Header=BB318_12 Depth=1
	s_or_b64 exec, exec, s[40:41]
.LBB318_71:                             ;   in Loop: Header=BB318_12 Depth=1
	s_or_b64 exec, exec, s[28:29]
	v_lshrrev_b16_e32 v17, 8, v8
	v_cmp_ne_u16_e32 vcc, 0, v17
	s_and_saveexec_b64 s[28:29], vcc
	s_cbranch_execz .LBB318_77
; %bb.72:                               ;   in Loop: Header=BB318_12 Depth=1
	v_cmp_ne_u16_e32 vcc, s44, v17
	v_bfrev_b32_e32 v45, 1
	s_and_saveexec_b64 s[40:41], vcc
	s_cbranch_execz .LBB318_76
; %bb.73:                               ;   in Loop: Header=BB318_12 Depth=1
	v_and_b32_e32 v0, 0x7f, v17
	v_cmp_ne_u32_e32 vcc, s45, v0
	v_mov_b32_e32 v45, 0x7f800001
	s_and_saveexec_b64 s[42:43], vcc
	s_cbranch_execz .LBB318_75
; %bb.74:                               ;   in Loop: Header=BB318_12 Depth=1
	v_and_b32_e32 v2, 7, v17
	v_lshrrev_b32_e32 v3, 3, v0
	v_cmp_gt_u32_e32 vcc, 8, v0
	v_ffbh_u32_e32 v0, v2
	v_min_u32_e32 v4, 32, v0
	v_subrev_u32_e32 v0, 28, v4
	v_lshlrev_b64 v[0:1], v0, v[17:18]
	v_sub_u32_e32 v1, 29, v4
	v_and_b32_e32 v0, 7, v0
	v_cndmask_b32_e32 v1, v3, v1, vcc
	v_cndmask_b32_e32 v0, v2, v0, vcc
	v_lshlrev_b32_e32 v2, 16, v8
	v_bfrev_b32_e32 v3, 60
	v_lshlrev_b32_e32 v0, 20, v0
	v_and_b32_e32 v2, 0x80000000, v2
	v_lshl_add_u32 v1, v1, 23, v3
	v_or3_b32 v45, v2, v1, v0
.LBB318_75:                             ;   in Loop: Header=BB318_12 Depth=1
	s_or_b64 exec, exec, s[42:43]
.LBB318_76:                             ;   in Loop: Header=BB318_12 Depth=1
	s_or_b64 exec, exec, s[40:41]
.LBB318_77:                             ;   in Loop: Header=BB318_12 Depth=1
	s_or_b64 exec, exec, s[28:29]
	v_lshrrev_b32_e32 v17, 16, v8
	v_mov_b32_e32 v0, 0
	v_cmp_ne_u16_sdwa s[40:41], v17, v0 src0_sel:BYTE_0 src1_sel:DWORD
	v_mov_b32_e32 v52, 0
	v_mov_b32_e32 v16, 0
	s_and_saveexec_b64 s[28:29], s[40:41]
	s_cbranch_execz .LBB318_83
; %bb.78:                               ;   in Loop: Header=BB318_12 Depth=1
	v_cmp_ne_u16_sdwa s[42:43], v17, s44 src0_sel:BYTE_0 src1_sel:DWORD
	v_bfrev_b32_e32 v16, 1
	s_and_saveexec_b64 s[40:41], s[42:43]
	s_cbranch_execz .LBB318_82
; %bb.79:                               ;   in Loop: Header=BB318_12 Depth=1
	v_bfe_u32 v0, v8, 16, 7
	v_cmp_ne_u32_e32 vcc, s45, v0
	v_mov_b32_e32 v16, 0x7f800001
	s_and_saveexec_b64 s[42:43], vcc
	s_cbranch_execz .LBB318_81
; %bb.80:                               ;   in Loop: Header=BB318_12 Depth=1
	v_and_b32_e32 v2, 7, v17
	v_lshrrev_b32_e32 v3, 3, v0
	v_cmp_gt_u32_e32 vcc, 8, v0
	v_ffbh_u32_e32 v0, v2
	v_min_u32_e32 v4, 32, v0
	v_subrev_u32_e32 v0, 28, v4
	v_lshlrev_b64 v[0:1], v0, v[17:18]
	v_sub_u32_e32 v1, 29, v4
	v_and_b32_e32 v0, 7, v0
	v_cndmask_b32_e32 v1, v3, v1, vcc
	v_cndmask_b32_e32 v0, v2, v0, vcc
	v_lshlrev_b32_e32 v2, 24, v17
	v_bfrev_b32_e32 v3, 60
	v_lshlrev_b32_e32 v0, 20, v0
	v_and_b32_e32 v2, 0x80000000, v2
	v_lshl_add_u32 v1, v1, 23, v3
	v_or3_b32 v16, v2, v1, v0
.LBB318_81:                             ;   in Loop: Header=BB318_12 Depth=1
	s_or_b64 exec, exec, s[42:43]
.LBB318_82:                             ;   in Loop: Header=BB318_12 Depth=1
	s_or_b64 exec, exec, s[40:41]
.LBB318_83:                             ;   in Loop: Header=BB318_12 Depth=1
	s_or_b64 exec, exec, s[28:29]
	v_cmp_lt_u32_e32 vcc, s46, v8
	s_and_saveexec_b64 s[28:29], vcc
	s_cbranch_execz .LBB318_89
; %bb.84:                               ;   in Loop: Header=BB318_12 Depth=1
	v_lshrrev_b32_e32 v17, 24, v8
	v_cmp_ne_u32_e32 vcc, s44, v17
	v_bfrev_b32_e32 v52, 1
	s_and_saveexec_b64 s[40:41], vcc
	s_cbranch_execz .LBB318_88
; %bb.85:                               ;   in Loop: Header=BB318_12 Depth=1
	v_bfe_u32 v0, v8, 24, 7
	v_cmp_ne_u32_e32 vcc, s45, v0
	v_mov_b32_e32 v52, 0x7f800001
	s_and_saveexec_b64 s[42:43], vcc
	s_cbranch_execz .LBB318_87
; %bb.86:                               ;   in Loop: Header=BB318_12 Depth=1
	v_and_b32_e32 v2, 7, v17
	v_lshrrev_b32_e32 v3, 3, v0
	v_cmp_gt_u32_e32 vcc, 8, v0
	v_ffbh_u32_e32 v0, v2
	v_min_u32_e32 v4, 32, v0
	v_subrev_u32_e32 v0, 28, v4
	v_lshlrev_b64 v[0:1], v0, v[17:18]
	v_sub_u32_e32 v1, 29, v4
	v_and_b32_e32 v0, 7, v0
	v_cndmask_b32_e32 v1, v3, v1, vcc
	v_cndmask_b32_e32 v0, v2, v0, vcc
	v_lshlrev_b32_e32 v2, 24, v17
	v_bfrev_b32_e32 v3, 60
	v_lshlrev_b32_e32 v0, 20, v0
	v_and_b32_e32 v2, 0x80000000, v2
	v_lshl_add_u32 v1, v1, 23, v3
	v_or3_b32 v52, v2, v1, v0
.LBB318_87:                             ;   in Loop: Header=BB318_12 Depth=1
	s_or_b64 exec, exec, s[42:43]
.LBB318_88:                             ;   in Loop: Header=BB318_12 Depth=1
	s_or_b64 exec, exec, s[40:41]
.LBB318_89:                             ;   in Loop: Header=BB318_12 Depth=1
	s_or_b64 exec, exec, s[28:29]
	flat_load_dword v8, v[41:42] offset:520
	v_mov_b32_e32 v0, 0
	v_mov_b32_e32 v49, 0
	;; [unrolled: 1-line block ×3, first 2 shown]
	s_waitcnt vmcnt(0) lgkmcnt(0)
	v_cmp_ne_u16_sdwa s[40:41], v8, v0 src0_sel:BYTE_0 src1_sel:DWORD
	s_and_saveexec_b64 s[28:29], s[40:41]
	s_cbranch_execz .LBB318_95
; %bb.90:                               ;   in Loop: Header=BB318_12 Depth=1
	v_cmp_ne_u16_sdwa s[42:43], v8, s44 src0_sel:BYTE_0 src1_sel:DWORD
	v_bfrev_b32_e32 v59, 1
	s_and_saveexec_b64 s[40:41], s[42:43]
	s_cbranch_execz .LBB318_94
; %bb.91:                               ;   in Loop: Header=BB318_12 Depth=1
	v_and_b32_e32 v0, 0x7f, v8
	v_cmp_ne_u32_e32 vcc, s45, v0
	v_mov_b32_e32 v59, 0x7f800001
	s_and_saveexec_b64 s[42:43], vcc
	s_cbranch_execz .LBB318_93
; %bb.92:                               ;   in Loop: Header=BB318_12 Depth=1
	v_and_b32_e32 v2, 7, v8
	v_lshrrev_b32_e32 v3, 3, v0
	v_cmp_gt_u32_e32 vcc, 8, v0
	v_ffbh_u32_e32 v0, v2
	v_min_u32_e32 v4, 32, v0
	v_subrev_u32_e32 v0, 28, v4
	v_lshlrev_b64 v[0:1], v0, v[8:9]
	v_sub_u32_e32 v1, 29, v4
	v_and_b32_e32 v0, 7, v0
	v_cndmask_b32_e32 v1, v3, v1, vcc
	v_cndmask_b32_e32 v0, v2, v0, vcc
	v_lshlrev_b32_e32 v2, 24, v8
	v_bfrev_b32_e32 v3, 60
	v_lshlrev_b32_e32 v0, 20, v0
	v_and_b32_e32 v2, 0x80000000, v2
	v_lshl_add_u32 v1, v1, 23, v3
	v_or3_b32 v59, v2, v1, v0
.LBB318_93:                             ;   in Loop: Header=BB318_12 Depth=1
	s_or_b64 exec, exec, s[42:43]
.LBB318_94:                             ;   in Loop: Header=BB318_12 Depth=1
	s_or_b64 exec, exec, s[40:41]
.LBB318_95:                             ;   in Loop: Header=BB318_12 Depth=1
	s_or_b64 exec, exec, s[28:29]
	v_lshrrev_b16_e32 v17, 8, v8
	v_cmp_ne_u16_e32 vcc, 0, v17
	s_and_saveexec_b64 s[28:29], vcc
	s_cbranch_execz .LBB318_101
; %bb.96:                               ;   in Loop: Header=BB318_12 Depth=1
	v_cmp_ne_u16_e32 vcc, s44, v17
	v_bfrev_b32_e32 v49, 1
	s_and_saveexec_b64 s[40:41], vcc
	s_cbranch_execz .LBB318_100
; %bb.97:                               ;   in Loop: Header=BB318_12 Depth=1
	v_and_b32_e32 v0, 0x7f, v17
	v_cmp_ne_u32_e32 vcc, s45, v0
	v_mov_b32_e32 v49, 0x7f800001
	s_and_saveexec_b64 s[42:43], vcc
	s_cbranch_execz .LBB318_99
; %bb.98:                               ;   in Loop: Header=BB318_12 Depth=1
	v_and_b32_e32 v2, 7, v17
	v_lshrrev_b32_e32 v3, 3, v0
	v_cmp_gt_u32_e32 vcc, 8, v0
	v_ffbh_u32_e32 v0, v2
	v_min_u32_e32 v4, 32, v0
	v_subrev_u32_e32 v0, 28, v4
	v_lshlrev_b64 v[0:1], v0, v[17:18]
	v_sub_u32_e32 v1, 29, v4
	v_and_b32_e32 v0, 7, v0
	v_cndmask_b32_e32 v1, v3, v1, vcc
	v_cndmask_b32_e32 v0, v2, v0, vcc
	v_lshlrev_b32_e32 v2, 16, v8
	v_bfrev_b32_e32 v3, 60
	v_lshlrev_b32_e32 v0, 20, v0
	v_and_b32_e32 v2, 0x80000000, v2
	v_lshl_add_u32 v1, v1, 23, v3
	v_or3_b32 v49, v2, v1, v0
.LBB318_99:                             ;   in Loop: Header=BB318_12 Depth=1
	s_or_b64 exec, exec, s[42:43]
.LBB318_100:                            ;   in Loop: Header=BB318_12 Depth=1
	s_or_b64 exec, exec, s[40:41]
.LBB318_101:                            ;   in Loop: Header=BB318_12 Depth=1
	s_or_b64 exec, exec, s[28:29]
	v_lshrrev_b32_e32 v17, 16, v8
	v_mov_b32_e32 v0, 0
	v_cmp_ne_u16_sdwa s[40:41], v17, v0 src0_sel:BYTE_0 src1_sel:DWORD
	v_mov_b32_e32 v0, 0
	buffer_store_dword v0, off, s[0:3], s32 offset:320 ; 4-byte Folded Spill
	v_mov_b32_e32 v0, 0
	buffer_store_dword v0, off, s[0:3], s32 offset:336 ; 4-byte Folded Spill
	s_and_saveexec_b64 s[28:29], s[40:41]
	s_cbranch_execz .LBB318_107
; %bb.102:                              ;   in Loop: Header=BB318_12 Depth=1
	v_cmp_ne_u16_sdwa s[42:43], v17, s44 src0_sel:BYTE_0 src1_sel:DWORD
	v_bfrev_b32_e32 v0, 1
	buffer_store_dword v0, off, s[0:3], s32 offset:336 ; 4-byte Folded Spill
	s_and_saveexec_b64 s[40:41], s[42:43]
	s_cbranch_execz .LBB318_106
; %bb.103:                              ;   in Loop: Header=BB318_12 Depth=1
	v_bfe_u32 v0, v8, 16, 7
	v_cmp_ne_u32_e32 vcc, s45, v0
	v_mov_b32_e32 v1, 0x7f800001
	buffer_store_dword v1, off, s[0:3], s32 offset:336 ; 4-byte Folded Spill
	s_and_saveexec_b64 s[42:43], vcc
	s_cbranch_execz .LBB318_105
; %bb.104:                              ;   in Loop: Header=BB318_12 Depth=1
	v_and_b32_e32 v2, 7, v17
	v_lshrrev_b32_e32 v3, 3, v0
	v_cmp_gt_u32_e32 vcc, 8, v0
	v_ffbh_u32_e32 v0, v2
	v_min_u32_e32 v4, 32, v0
	v_subrev_u32_e32 v0, 28, v4
	v_lshlrev_b64 v[0:1], v0, v[17:18]
	v_sub_u32_e32 v1, 29, v4
	v_and_b32_e32 v0, 7, v0
	v_cndmask_b32_e32 v1, v3, v1, vcc
	v_cndmask_b32_e32 v0, v2, v0, vcc
	v_lshlrev_b32_e32 v2, 24, v17
	v_bfrev_b32_e32 v3, 60
	v_lshlrev_b32_e32 v0, 20, v0
	v_and_b32_e32 v2, 0x80000000, v2
	v_lshl_add_u32 v1, v1, 23, v3
	v_or3_b32 v0, v2, v1, v0
	buffer_store_dword v0, off, s[0:3], s32 offset:336 ; 4-byte Folded Spill
.LBB318_105:                            ;   in Loop: Header=BB318_12 Depth=1
	s_or_b64 exec, exec, s[42:43]
.LBB318_106:                            ;   in Loop: Header=BB318_12 Depth=1
	s_or_b64 exec, exec, s[40:41]
.LBB318_107:                            ;   in Loop: Header=BB318_12 Depth=1
	s_or_b64 exec, exec, s[28:29]
	v_cmp_lt_u32_e32 vcc, s46, v8
	s_and_saveexec_b64 s[28:29], vcc
	s_cbranch_execz .LBB318_113
; %bb.108:                              ;   in Loop: Header=BB318_12 Depth=1
	v_lshrrev_b32_e32 v17, 24, v8
	v_cmp_ne_u32_e32 vcc, s44, v17
	v_bfrev_b32_e32 v0, 1
	buffer_store_dword v0, off, s[0:3], s32 offset:320 ; 4-byte Folded Spill
	s_and_saveexec_b64 s[40:41], vcc
	s_cbranch_execz .LBB318_112
; %bb.109:                              ;   in Loop: Header=BB318_12 Depth=1
	v_bfe_u32 v0, v8, 24, 7
	v_cmp_ne_u32_e32 vcc, s45, v0
	v_mov_b32_e32 v1, 0x7f800001
	buffer_store_dword v1, off, s[0:3], s32 offset:320 ; 4-byte Folded Spill
	s_and_saveexec_b64 s[42:43], vcc
	s_cbranch_execz .LBB318_111
; %bb.110:                              ;   in Loop: Header=BB318_12 Depth=1
	v_and_b32_e32 v2, 7, v17
	v_lshrrev_b32_e32 v3, 3, v0
	v_cmp_gt_u32_e32 vcc, 8, v0
	v_ffbh_u32_e32 v0, v2
	v_min_u32_e32 v4, 32, v0
	v_subrev_u32_e32 v0, 28, v4
	v_lshlrev_b64 v[0:1], v0, v[17:18]
	v_sub_u32_e32 v1, 29, v4
	v_and_b32_e32 v0, 7, v0
	v_cndmask_b32_e32 v1, v3, v1, vcc
	v_cndmask_b32_e32 v0, v2, v0, vcc
	v_lshlrev_b32_e32 v2, 24, v17
	v_bfrev_b32_e32 v3, 60
	v_lshlrev_b32_e32 v0, 20, v0
	v_and_b32_e32 v2, 0x80000000, v2
	v_lshl_add_u32 v1, v1, 23, v3
	v_or3_b32 v0, v2, v1, v0
	buffer_store_dword v0, off, s[0:3], s32 offset:320 ; 4-byte Folded Spill
.LBB318_111:                            ;   in Loop: Header=BB318_12 Depth=1
	s_or_b64 exec, exec, s[42:43]
.LBB318_112:                            ;   in Loop: Header=BB318_12 Depth=1
	s_or_b64 exec, exec, s[40:41]
.LBB318_113:                            ;   in Loop: Header=BB318_12 Depth=1
	s_or_b64 exec, exec, s[28:29]
	flat_load_dword v8, v[41:42] offset:1024
	v_mov_b32_e32 v0, 0
	v_mov_b32_e32 v58, 0
	s_waitcnt vmcnt(0) lgkmcnt(0)
	v_cmp_ne_u16_sdwa s[40:41], v8, v0 src0_sel:BYTE_0 src1_sel:DWORD
	v_mov_b32_e32 v0, 0
	buffer_store_dword v0, off, s[0:3], s32 offset:352 ; 4-byte Folded Spill
	s_and_saveexec_b64 s[28:29], s[40:41]
	s_cbranch_execz .LBB318_119
; %bb.114:                              ;   in Loop: Header=BB318_12 Depth=1
	v_cmp_ne_u16_sdwa s[42:43], v8, s44 src0_sel:BYTE_0 src1_sel:DWORD
	v_bfrev_b32_e32 v0, 1
	buffer_store_dword v0, off, s[0:3], s32 offset:352 ; 4-byte Folded Spill
	s_and_saveexec_b64 s[40:41], s[42:43]
	s_cbranch_execz .LBB318_118
; %bb.115:                              ;   in Loop: Header=BB318_12 Depth=1
	v_and_b32_e32 v0, 0x7f, v8
	v_cmp_ne_u32_e32 vcc, s45, v0
	v_mov_b32_e32 v1, 0x7f800001
	buffer_store_dword v1, off, s[0:3], s32 offset:352 ; 4-byte Folded Spill
	s_and_saveexec_b64 s[42:43], vcc
	s_cbranch_execz .LBB318_117
; %bb.116:                              ;   in Loop: Header=BB318_12 Depth=1
	v_and_b32_e32 v2, 7, v8
	v_lshrrev_b32_e32 v3, 3, v0
	v_cmp_gt_u32_e32 vcc, 8, v0
	v_ffbh_u32_e32 v0, v2
	v_min_u32_e32 v4, 32, v0
	v_subrev_u32_e32 v0, 28, v4
	v_lshlrev_b64 v[0:1], v0, v[8:9]
	v_sub_u32_e32 v1, 29, v4
	v_and_b32_e32 v0, 7, v0
	v_cndmask_b32_e32 v1, v3, v1, vcc
	v_cndmask_b32_e32 v0, v2, v0, vcc
	v_lshlrev_b32_e32 v2, 24, v8
	v_bfrev_b32_e32 v3, 60
	v_lshlrev_b32_e32 v0, 20, v0
	v_and_b32_e32 v2, 0x80000000, v2
	v_lshl_add_u32 v1, v1, 23, v3
	v_or3_b32 v0, v2, v1, v0
	buffer_store_dword v0, off, s[0:3], s32 offset:352 ; 4-byte Folded Spill
.LBB318_117:                            ;   in Loop: Header=BB318_12 Depth=1
	s_or_b64 exec, exec, s[42:43]
.LBB318_118:                            ;   in Loop: Header=BB318_12 Depth=1
	s_or_b64 exec, exec, s[40:41]
.LBB318_119:                            ;   in Loop: Header=BB318_12 Depth=1
	s_or_b64 exec, exec, s[28:29]
	v_lshrrev_b16_e32 v17, 8, v8
	v_cmp_ne_u16_e32 vcc, 0, v17
	s_and_saveexec_b64 s[28:29], vcc
	s_cbranch_execz .LBB318_125
; %bb.120:                              ;   in Loop: Header=BB318_12 Depth=1
	v_cmp_ne_u16_e32 vcc, s44, v17
	v_bfrev_b32_e32 v58, 1
	s_and_saveexec_b64 s[40:41], vcc
	s_cbranch_execz .LBB318_124
; %bb.121:                              ;   in Loop: Header=BB318_12 Depth=1
	v_and_b32_e32 v0, 0x7f, v17
	v_cmp_ne_u32_e32 vcc, s45, v0
	v_mov_b32_e32 v58, 0x7f800001
	s_and_saveexec_b64 s[42:43], vcc
	s_cbranch_execz .LBB318_123
; %bb.122:                              ;   in Loop: Header=BB318_12 Depth=1
	v_and_b32_e32 v2, 7, v17
	v_lshrrev_b32_e32 v3, 3, v0
	v_cmp_gt_u32_e32 vcc, 8, v0
	v_ffbh_u32_e32 v0, v2
	v_min_u32_e32 v4, 32, v0
	v_subrev_u32_e32 v0, 28, v4
	v_lshlrev_b64 v[0:1], v0, v[17:18]
	v_sub_u32_e32 v1, 29, v4
	v_and_b32_e32 v0, 7, v0
	v_cndmask_b32_e32 v1, v3, v1, vcc
	v_cndmask_b32_e32 v0, v2, v0, vcc
	v_lshlrev_b32_e32 v2, 16, v8
	v_bfrev_b32_e32 v3, 60
	v_lshlrev_b32_e32 v0, 20, v0
	v_and_b32_e32 v2, 0x80000000, v2
	v_lshl_add_u32 v1, v1, 23, v3
	v_or3_b32 v58, v2, v1, v0
.LBB318_123:                            ;   in Loop: Header=BB318_12 Depth=1
	s_or_b64 exec, exec, s[42:43]
.LBB318_124:                            ;   in Loop: Header=BB318_12 Depth=1
	s_or_b64 exec, exec, s[40:41]
.LBB318_125:                            ;   in Loop: Header=BB318_12 Depth=1
	s_or_b64 exec, exec, s[28:29]
	v_lshrrev_b32_e32 v17, 16, v8
	v_mov_b32_e32 v0, 0
	v_cmp_ne_u16_sdwa s[40:41], v17, v0 src0_sel:BYTE_0 src1_sel:DWORD
	v_mov_b32_e32 v0, 0
	buffer_store_dword v0, off, s[0:3], s32 offset:132 ; 4-byte Folded Spill
	v_mov_b32_e32 v0, 0
	buffer_store_dword v0, off, s[0:3], s32 offset:268 ; 4-byte Folded Spill
	s_and_saveexec_b64 s[28:29], s[40:41]
	s_cbranch_execz .LBB318_131
; %bb.126:                              ;   in Loop: Header=BB318_12 Depth=1
	v_cmp_ne_u16_sdwa s[42:43], v17, s44 src0_sel:BYTE_0 src1_sel:DWORD
	v_bfrev_b32_e32 v0, 1
	buffer_store_dword v0, off, s[0:3], s32 offset:268 ; 4-byte Folded Spill
	s_and_saveexec_b64 s[40:41], s[42:43]
	s_cbranch_execz .LBB318_130
; %bb.127:                              ;   in Loop: Header=BB318_12 Depth=1
	v_bfe_u32 v0, v8, 16, 7
	v_cmp_ne_u32_e32 vcc, s45, v0
	v_mov_b32_e32 v1, 0x7f800001
	buffer_store_dword v1, off, s[0:3], s32 offset:268 ; 4-byte Folded Spill
	s_and_saveexec_b64 s[42:43], vcc
	s_cbranch_execz .LBB318_129
; %bb.128:                              ;   in Loop: Header=BB318_12 Depth=1
	v_and_b32_e32 v2, 7, v17
	v_lshrrev_b32_e32 v3, 3, v0
	v_cmp_gt_u32_e32 vcc, 8, v0
	v_ffbh_u32_e32 v0, v2
	v_min_u32_e32 v4, 32, v0
	v_subrev_u32_e32 v0, 28, v4
	v_lshlrev_b64 v[0:1], v0, v[17:18]
	v_sub_u32_e32 v1, 29, v4
	v_and_b32_e32 v0, 7, v0
	v_cndmask_b32_e32 v1, v3, v1, vcc
	v_cndmask_b32_e32 v0, v2, v0, vcc
	v_lshlrev_b32_e32 v2, 24, v17
	v_bfrev_b32_e32 v3, 60
	v_lshlrev_b32_e32 v0, 20, v0
	v_and_b32_e32 v2, 0x80000000, v2
	v_lshl_add_u32 v1, v1, 23, v3
	v_or3_b32 v0, v2, v1, v0
	buffer_store_dword v0, off, s[0:3], s32 offset:268 ; 4-byte Folded Spill
.LBB318_129:                            ;   in Loop: Header=BB318_12 Depth=1
	s_or_b64 exec, exec, s[42:43]
.LBB318_130:                            ;   in Loop: Header=BB318_12 Depth=1
	s_or_b64 exec, exec, s[40:41]
.LBB318_131:                            ;   in Loop: Header=BB318_12 Depth=1
	s_or_b64 exec, exec, s[28:29]
	v_cmp_lt_u32_e32 vcc, s46, v8
	s_and_saveexec_b64 s[28:29], vcc
	s_cbranch_execz .LBB318_137
; %bb.132:                              ;   in Loop: Header=BB318_12 Depth=1
	v_lshrrev_b32_e32 v17, 24, v8
	v_cmp_ne_u32_e32 vcc, s44, v17
	v_bfrev_b32_e32 v0, 1
	buffer_store_dword v0, off, s[0:3], s32 offset:132 ; 4-byte Folded Spill
	s_and_saveexec_b64 s[40:41], vcc
	s_cbranch_execz .LBB318_136
; %bb.133:                              ;   in Loop: Header=BB318_12 Depth=1
	v_bfe_u32 v0, v8, 24, 7
	v_cmp_ne_u32_e32 vcc, s45, v0
	v_mov_b32_e32 v1, 0x7f800001
	buffer_store_dword v1, off, s[0:3], s32 offset:132 ; 4-byte Folded Spill
	s_and_saveexec_b64 s[42:43], vcc
	s_cbranch_execz .LBB318_135
; %bb.134:                              ;   in Loop: Header=BB318_12 Depth=1
	v_and_b32_e32 v2, 7, v17
	v_lshrrev_b32_e32 v3, 3, v0
	v_cmp_gt_u32_e32 vcc, 8, v0
	v_ffbh_u32_e32 v0, v2
	v_min_u32_e32 v4, 32, v0
	v_subrev_u32_e32 v0, 28, v4
	v_lshlrev_b64 v[0:1], v0, v[17:18]
	v_sub_u32_e32 v1, 29, v4
	v_and_b32_e32 v0, 7, v0
	v_cndmask_b32_e32 v1, v3, v1, vcc
	v_cndmask_b32_e32 v0, v2, v0, vcc
	v_lshlrev_b32_e32 v2, 24, v17
	v_bfrev_b32_e32 v3, 60
	v_lshlrev_b32_e32 v0, 20, v0
	v_and_b32_e32 v2, 0x80000000, v2
	v_lshl_add_u32 v1, v1, 23, v3
	v_or3_b32 v0, v2, v1, v0
	buffer_store_dword v0, off, s[0:3], s32 offset:132 ; 4-byte Folded Spill
.LBB318_135:                            ;   in Loop: Header=BB318_12 Depth=1
	s_or_b64 exec, exec, s[42:43]
.LBB318_136:                            ;   in Loop: Header=BB318_12 Depth=1
	s_or_b64 exec, exec, s[40:41]
.LBB318_137:                            ;   in Loop: Header=BB318_12 Depth=1
	s_or_b64 exec, exec, s[28:29]
	flat_load_dword v8, v[41:42] offset:1032
	v_mov_b32_e32 v0, 0
	buffer_store_dword v0, off, s[0:3], s32 offset:288 ; 4-byte Folded Spill
	v_mov_b32_e32 v0, 0
	s_waitcnt vmcnt(0) lgkmcnt(0)
	v_cmp_ne_u16_sdwa s[40:41], v8, v0 src0_sel:BYTE_0 src1_sel:DWORD
	v_mov_b32_e32 v0, 0
	buffer_store_dword v0, off, s[0:3], s32 offset:272 ; 4-byte Folded Spill
	s_and_saveexec_b64 s[28:29], s[40:41]
	s_cbranch_execz .LBB318_143
; %bb.138:                              ;   in Loop: Header=BB318_12 Depth=1
	v_cmp_ne_u16_sdwa s[42:43], v8, s44 src0_sel:BYTE_0 src1_sel:DWORD
	v_bfrev_b32_e32 v0, 1
	buffer_store_dword v0, off, s[0:3], s32 offset:272 ; 4-byte Folded Spill
	s_and_saveexec_b64 s[40:41], s[42:43]
	s_cbranch_execz .LBB318_142
; %bb.139:                              ;   in Loop: Header=BB318_12 Depth=1
	v_and_b32_e32 v0, 0x7f, v8
	v_cmp_ne_u32_e32 vcc, s45, v0
	v_mov_b32_e32 v1, 0x7f800001
	buffer_store_dword v1, off, s[0:3], s32 offset:272 ; 4-byte Folded Spill
	s_and_saveexec_b64 s[42:43], vcc
	s_cbranch_execz .LBB318_141
; %bb.140:                              ;   in Loop: Header=BB318_12 Depth=1
	v_and_b32_e32 v2, 7, v8
	v_lshrrev_b32_e32 v3, 3, v0
	v_cmp_gt_u32_e32 vcc, 8, v0
	v_ffbh_u32_e32 v0, v2
	v_min_u32_e32 v4, 32, v0
	v_subrev_u32_e32 v0, 28, v4
	v_lshlrev_b64 v[0:1], v0, v[8:9]
	v_sub_u32_e32 v1, 29, v4
	v_and_b32_e32 v0, 7, v0
	v_cndmask_b32_e32 v1, v3, v1, vcc
	v_cndmask_b32_e32 v0, v2, v0, vcc
	v_lshlrev_b32_e32 v2, 24, v8
	v_bfrev_b32_e32 v3, 60
	v_lshlrev_b32_e32 v0, 20, v0
	v_and_b32_e32 v2, 0x80000000, v2
	v_lshl_add_u32 v1, v1, 23, v3
	v_or3_b32 v0, v2, v1, v0
	buffer_store_dword v0, off, s[0:3], s32 offset:272 ; 4-byte Folded Spill
.LBB318_141:                            ;   in Loop: Header=BB318_12 Depth=1
	s_or_b64 exec, exec, s[42:43]
.LBB318_142:                            ;   in Loop: Header=BB318_12 Depth=1
	s_or_b64 exec, exec, s[40:41]
.LBB318_143:                            ;   in Loop: Header=BB318_12 Depth=1
	s_or_b64 exec, exec, s[28:29]
	v_lshrrev_b16_e32 v17, 8, v8
	v_cmp_ne_u16_e32 vcc, 0, v17
	s_and_saveexec_b64 s[28:29], vcc
	s_cbranch_execz .LBB318_149
; %bb.144:                              ;   in Loop: Header=BB318_12 Depth=1
	v_cmp_ne_u16_e32 vcc, s44, v17
	v_bfrev_b32_e32 v0, 1
	buffer_store_dword v0, off, s[0:3], s32 offset:288 ; 4-byte Folded Spill
	s_and_saveexec_b64 s[40:41], vcc
	s_cbranch_execz .LBB318_148
; %bb.145:                              ;   in Loop: Header=BB318_12 Depth=1
	v_and_b32_e32 v0, 0x7f, v17
	v_cmp_ne_u32_e32 vcc, s45, v0
	v_mov_b32_e32 v1, 0x7f800001
	buffer_store_dword v1, off, s[0:3], s32 offset:288 ; 4-byte Folded Spill
	s_and_saveexec_b64 s[42:43], vcc
	s_cbranch_execz .LBB318_147
; %bb.146:                              ;   in Loop: Header=BB318_12 Depth=1
	v_and_b32_e32 v2, 7, v17
	v_lshrrev_b32_e32 v3, 3, v0
	v_cmp_gt_u32_e32 vcc, 8, v0
	v_ffbh_u32_e32 v0, v2
	v_min_u32_e32 v4, 32, v0
	v_subrev_u32_e32 v0, 28, v4
	v_lshlrev_b64 v[0:1], v0, v[17:18]
	v_sub_u32_e32 v1, 29, v4
	v_and_b32_e32 v0, 7, v0
	v_cndmask_b32_e32 v1, v3, v1, vcc
	v_cndmask_b32_e32 v0, v2, v0, vcc
	v_lshlrev_b32_e32 v2, 16, v8
	v_bfrev_b32_e32 v3, 60
	v_lshlrev_b32_e32 v0, 20, v0
	v_and_b32_e32 v2, 0x80000000, v2
	v_lshl_add_u32 v1, v1, 23, v3
	v_or3_b32 v0, v2, v1, v0
	buffer_store_dword v0, off, s[0:3], s32 offset:288 ; 4-byte Folded Spill
.LBB318_147:                            ;   in Loop: Header=BB318_12 Depth=1
	s_or_b64 exec, exec, s[42:43]
.LBB318_148:                            ;   in Loop: Header=BB318_12 Depth=1
	s_or_b64 exec, exec, s[40:41]
.LBB318_149:                            ;   in Loop: Header=BB318_12 Depth=1
	s_or_b64 exec, exec, s[28:29]
	v_lshrrev_b32_e32 v17, 16, v8
	v_mov_b32_e32 v0, 0
	v_cmp_ne_u16_sdwa s[40:41], v17, v0 src0_sel:BYTE_0 src1_sel:DWORD
	v_mov_b32_e32 v0, 0
	v_mov_b32_e32 v57, 0
	buffer_store_dword v0, off, s[0:3], s32 offset:304 ; 4-byte Folded Spill
	s_and_saveexec_b64 s[28:29], s[40:41]
	s_cbranch_execz .LBB318_155
; %bb.150:                              ;   in Loop: Header=BB318_12 Depth=1
	v_cmp_ne_u16_sdwa s[42:43], v17, s44 src0_sel:BYTE_0 src1_sel:DWORD
	v_bfrev_b32_e32 v57, 1
	s_and_saveexec_b64 s[40:41], s[42:43]
	s_cbranch_execz .LBB318_154
; %bb.151:                              ;   in Loop: Header=BB318_12 Depth=1
	v_bfe_u32 v0, v8, 16, 7
	v_cmp_ne_u32_e32 vcc, s45, v0
	v_mov_b32_e32 v57, 0x7f800001
	s_and_saveexec_b64 s[42:43], vcc
	s_cbranch_execz .LBB318_153
; %bb.152:                              ;   in Loop: Header=BB318_12 Depth=1
	v_and_b32_e32 v2, 7, v17
	v_lshrrev_b32_e32 v3, 3, v0
	v_cmp_gt_u32_e32 vcc, 8, v0
	v_ffbh_u32_e32 v0, v2
	v_min_u32_e32 v4, 32, v0
	v_subrev_u32_e32 v0, 28, v4
	v_lshlrev_b64 v[0:1], v0, v[17:18]
	v_sub_u32_e32 v1, 29, v4
	v_and_b32_e32 v0, 7, v0
	v_cndmask_b32_e32 v1, v3, v1, vcc
	v_cndmask_b32_e32 v0, v2, v0, vcc
	v_lshlrev_b32_e32 v2, 24, v17
	v_bfrev_b32_e32 v3, 60
	v_lshlrev_b32_e32 v0, 20, v0
	v_and_b32_e32 v2, 0x80000000, v2
	v_lshl_add_u32 v1, v1, 23, v3
	v_or3_b32 v57, v2, v1, v0
.LBB318_153:                            ;   in Loop: Header=BB318_12 Depth=1
	s_or_b64 exec, exec, s[42:43]
.LBB318_154:                            ;   in Loop: Header=BB318_12 Depth=1
	s_or_b64 exec, exec, s[40:41]
.LBB318_155:                            ;   in Loop: Header=BB318_12 Depth=1
	s_or_b64 exec, exec, s[28:29]
	v_cmp_lt_u32_e32 vcc, s46, v8
	s_and_saveexec_b64 s[28:29], vcc
	s_cbranch_execz .LBB318_161
; %bb.156:                              ;   in Loop: Header=BB318_12 Depth=1
	v_lshrrev_b32_e32 v17, 24, v8
	v_cmp_ne_u32_e32 vcc, s44, v17
	v_bfrev_b32_e32 v0, 1
	buffer_store_dword v0, off, s[0:3], s32 offset:304 ; 4-byte Folded Spill
	s_and_saveexec_b64 s[40:41], vcc
	s_cbranch_execz .LBB318_160
; %bb.157:                              ;   in Loop: Header=BB318_12 Depth=1
	v_bfe_u32 v0, v8, 24, 7
	v_cmp_ne_u32_e32 vcc, s45, v0
	v_mov_b32_e32 v1, 0x7f800001
	buffer_store_dword v1, off, s[0:3], s32 offset:304 ; 4-byte Folded Spill
	s_and_saveexec_b64 s[42:43], vcc
	s_cbranch_execz .LBB318_159
; %bb.158:                              ;   in Loop: Header=BB318_12 Depth=1
	v_and_b32_e32 v2, 7, v17
	v_lshrrev_b32_e32 v3, 3, v0
	v_cmp_gt_u32_e32 vcc, 8, v0
	v_ffbh_u32_e32 v0, v2
	v_min_u32_e32 v4, 32, v0
	v_subrev_u32_e32 v0, 28, v4
	v_lshlrev_b64 v[0:1], v0, v[17:18]
	v_sub_u32_e32 v1, 29, v4
	v_and_b32_e32 v0, 7, v0
	v_cndmask_b32_e32 v1, v3, v1, vcc
	v_cndmask_b32_e32 v0, v2, v0, vcc
	v_lshlrev_b32_e32 v2, 24, v17
	v_bfrev_b32_e32 v3, 60
	v_lshlrev_b32_e32 v0, 20, v0
	v_and_b32_e32 v2, 0x80000000, v2
	v_lshl_add_u32 v1, v1, 23, v3
	v_or3_b32 v0, v2, v1, v0
	buffer_store_dword v0, off, s[0:3], s32 offset:304 ; 4-byte Folded Spill
.LBB318_159:                            ;   in Loop: Header=BB318_12 Depth=1
	s_or_b64 exec, exec, s[42:43]
.LBB318_160:                            ;   in Loop: Header=BB318_12 Depth=1
	s_or_b64 exec, exec, s[40:41]
.LBB318_161:                            ;   in Loop: Header=BB318_12 Depth=1
	s_or_b64 exec, exec, s[28:29]
	flat_load_dword v8, v[41:42] offset:1536
	v_mov_b32_e32 v0, 0
	buffer_store_dword v0, off, s[0:3], s32 offset:140 ; 4-byte Folded Spill
	v_mov_b32_e32 v0, 0
	s_waitcnt vmcnt(0) lgkmcnt(0)
	v_cmp_ne_u16_sdwa s[40:41], v8, v0 src0_sel:BYTE_0 src1_sel:DWORD
	v_mov_b32_e32 v0, 0
	buffer_store_dword v0, off, s[0:3], s32 offset:136 ; 4-byte Folded Spill
	s_and_saveexec_b64 s[28:29], s[40:41]
	s_cbranch_execz .LBB318_167
; %bb.162:                              ;   in Loop: Header=BB318_12 Depth=1
	v_cmp_ne_u16_sdwa s[42:43], v8, s44 src0_sel:BYTE_0 src1_sel:DWORD
	v_bfrev_b32_e32 v0, 1
	buffer_store_dword v0, off, s[0:3], s32 offset:136 ; 4-byte Folded Spill
	s_and_saveexec_b64 s[40:41], s[42:43]
	s_cbranch_execz .LBB318_166
; %bb.163:                              ;   in Loop: Header=BB318_12 Depth=1
	v_and_b32_e32 v0, 0x7f, v8
	v_cmp_ne_u32_e32 vcc, s45, v0
	v_mov_b32_e32 v1, 0x7f800001
	buffer_store_dword v1, off, s[0:3], s32 offset:136 ; 4-byte Folded Spill
	s_and_saveexec_b64 s[42:43], vcc
	s_cbranch_execz .LBB318_165
; %bb.164:                              ;   in Loop: Header=BB318_12 Depth=1
	v_and_b32_e32 v2, 7, v8
	v_lshrrev_b32_e32 v3, 3, v0
	v_cmp_gt_u32_e32 vcc, 8, v0
	v_ffbh_u32_e32 v0, v2
	v_min_u32_e32 v4, 32, v0
	v_subrev_u32_e32 v0, 28, v4
	v_lshlrev_b64 v[0:1], v0, v[8:9]
	v_sub_u32_e32 v1, 29, v4
	v_and_b32_e32 v0, 7, v0
	v_cndmask_b32_e32 v1, v3, v1, vcc
	v_cndmask_b32_e32 v0, v2, v0, vcc
	v_lshlrev_b32_e32 v2, 24, v8
	v_bfrev_b32_e32 v3, 60
	v_lshlrev_b32_e32 v0, 20, v0
	v_and_b32_e32 v2, 0x80000000, v2
	v_lshl_add_u32 v1, v1, 23, v3
	v_or3_b32 v0, v2, v1, v0
	buffer_store_dword v0, off, s[0:3], s32 offset:136 ; 4-byte Folded Spill
.LBB318_165:                            ;   in Loop: Header=BB318_12 Depth=1
	s_or_b64 exec, exec, s[42:43]
.LBB318_166:                            ;   in Loop: Header=BB318_12 Depth=1
	s_or_b64 exec, exec, s[40:41]
.LBB318_167:                            ;   in Loop: Header=BB318_12 Depth=1
	s_or_b64 exec, exec, s[28:29]
	v_lshrrev_b16_e32 v17, 8, v8
	v_cmp_ne_u16_e32 vcc, 0, v17
	s_and_saveexec_b64 s[28:29], vcc
	s_cbranch_execz .LBB318_173
; %bb.168:                              ;   in Loop: Header=BB318_12 Depth=1
	v_cmp_ne_u16_e32 vcc, s44, v17
	v_bfrev_b32_e32 v0, 1
	buffer_store_dword v0, off, s[0:3], s32 offset:140 ; 4-byte Folded Spill
	s_and_saveexec_b64 s[40:41], vcc
	s_cbranch_execz .LBB318_172
; %bb.169:                              ;   in Loop: Header=BB318_12 Depth=1
	v_and_b32_e32 v0, 0x7f, v17
	v_cmp_ne_u32_e32 vcc, s45, v0
	v_mov_b32_e32 v1, 0x7f800001
	buffer_store_dword v1, off, s[0:3], s32 offset:140 ; 4-byte Folded Spill
	s_and_saveexec_b64 s[42:43], vcc
	s_cbranch_execz .LBB318_171
; %bb.170:                              ;   in Loop: Header=BB318_12 Depth=1
	v_and_b32_e32 v2, 7, v17
	v_lshrrev_b32_e32 v3, 3, v0
	v_cmp_gt_u32_e32 vcc, 8, v0
	v_ffbh_u32_e32 v0, v2
	v_min_u32_e32 v4, 32, v0
	v_subrev_u32_e32 v0, 28, v4
	v_lshlrev_b64 v[0:1], v0, v[17:18]
	v_sub_u32_e32 v1, 29, v4
	v_and_b32_e32 v0, 7, v0
	v_cndmask_b32_e32 v1, v3, v1, vcc
	v_cndmask_b32_e32 v0, v2, v0, vcc
	v_lshlrev_b32_e32 v2, 16, v8
	v_bfrev_b32_e32 v3, 60
	v_lshlrev_b32_e32 v0, 20, v0
	v_and_b32_e32 v2, 0x80000000, v2
	v_lshl_add_u32 v1, v1, 23, v3
	v_or3_b32 v0, v2, v1, v0
	buffer_store_dword v0, off, s[0:3], s32 offset:140 ; 4-byte Folded Spill
.LBB318_171:                            ;   in Loop: Header=BB318_12 Depth=1
	s_or_b64 exec, exec, s[42:43]
.LBB318_172:                            ;   in Loop: Header=BB318_12 Depth=1
	s_or_b64 exec, exec, s[40:41]
.LBB318_173:                            ;   in Loop: Header=BB318_12 Depth=1
	s_or_b64 exec, exec, s[28:29]
	v_lshrrev_b32_e32 v17, 16, v8
	v_mov_b32_e32 v0, 0
	v_cmp_ne_u16_sdwa s[40:41], v17, v0 src0_sel:BYTE_0 src1_sel:DWORD
	v_mov_b32_e32 v0, 0
	buffer_store_dword v0, off, s[0:3], s32 offset:372 ; 4-byte Folded Spill
	v_mov_b32_e32 v0, 0
	buffer_store_dword v0, off, s[0:3], s32 offset:144 ; 4-byte Folded Spill
	s_and_saveexec_b64 s[28:29], s[40:41]
	s_cbranch_execz .LBB318_179
; %bb.174:                              ;   in Loop: Header=BB318_12 Depth=1
	v_cmp_ne_u16_sdwa s[42:43], v17, s44 src0_sel:BYTE_0 src1_sel:DWORD
	v_bfrev_b32_e32 v0, 1
	buffer_store_dword v0, off, s[0:3], s32 offset:144 ; 4-byte Folded Spill
	s_and_saveexec_b64 s[40:41], s[42:43]
	s_cbranch_execz .LBB318_178
; %bb.175:                              ;   in Loop: Header=BB318_12 Depth=1
	v_bfe_u32 v0, v8, 16, 7
	v_cmp_ne_u32_e32 vcc, s45, v0
	v_mov_b32_e32 v1, 0x7f800001
	buffer_store_dword v1, off, s[0:3], s32 offset:144 ; 4-byte Folded Spill
	s_and_saveexec_b64 s[42:43], vcc
	s_cbranch_execz .LBB318_177
; %bb.176:                              ;   in Loop: Header=BB318_12 Depth=1
	v_and_b32_e32 v2, 7, v17
	v_lshrrev_b32_e32 v3, 3, v0
	v_cmp_gt_u32_e32 vcc, 8, v0
	v_ffbh_u32_e32 v0, v2
	v_min_u32_e32 v4, 32, v0
	v_subrev_u32_e32 v0, 28, v4
	v_lshlrev_b64 v[0:1], v0, v[17:18]
	v_sub_u32_e32 v1, 29, v4
	v_and_b32_e32 v0, 7, v0
	v_cndmask_b32_e32 v1, v3, v1, vcc
	v_cndmask_b32_e32 v0, v2, v0, vcc
	v_lshlrev_b32_e32 v2, 24, v17
	v_bfrev_b32_e32 v3, 60
	v_lshlrev_b32_e32 v0, 20, v0
	v_and_b32_e32 v2, 0x80000000, v2
	v_lshl_add_u32 v1, v1, 23, v3
	v_or3_b32 v0, v2, v1, v0
	buffer_store_dword v0, off, s[0:3], s32 offset:144 ; 4-byte Folded Spill
.LBB318_177:                            ;   in Loop: Header=BB318_12 Depth=1
	s_or_b64 exec, exec, s[42:43]
.LBB318_178:                            ;   in Loop: Header=BB318_12 Depth=1
	s_or_b64 exec, exec, s[40:41]
.LBB318_179:                            ;   in Loop: Header=BB318_12 Depth=1
	s_or_b64 exec, exec, s[28:29]
	v_cmp_lt_u32_e32 vcc, s46, v8
	s_and_saveexec_b64 s[28:29], vcc
	s_cbranch_execz .LBB318_185
; %bb.180:                              ;   in Loop: Header=BB318_12 Depth=1
	v_lshrrev_b32_e32 v17, 24, v8
	v_cmp_ne_u32_e32 vcc, s44, v17
	v_bfrev_b32_e32 v0, 1
	buffer_store_dword v0, off, s[0:3], s32 offset:372 ; 4-byte Folded Spill
	s_and_saveexec_b64 s[40:41], vcc
	s_cbranch_execz .LBB318_184
; %bb.181:                              ;   in Loop: Header=BB318_12 Depth=1
	v_bfe_u32 v0, v8, 24, 7
	v_cmp_ne_u32_e32 vcc, s45, v0
	v_mov_b32_e32 v1, 0x7f800001
	s_and_saveexec_b64 s[42:43], vcc
	s_cbranch_execz .LBB318_183
; %bb.182:                              ;   in Loop: Header=BB318_12 Depth=1
	v_and_b32_e32 v2, 7, v17
	v_lshrrev_b32_e32 v3, 3, v0
	v_cmp_gt_u32_e32 vcc, 8, v0
	v_ffbh_u32_e32 v0, v2
	v_min_u32_e32 v4, 32, v0
	v_subrev_u32_e32 v0, 28, v4
	v_lshlrev_b64 v[0:1], v0, v[17:18]
	v_sub_u32_e32 v1, 29, v4
	v_and_b32_e32 v0, 7, v0
	v_cndmask_b32_e32 v1, v3, v1, vcc
	v_cndmask_b32_e32 v0, v2, v0, vcc
	v_lshlrev_b32_e32 v2, 24, v17
	v_bfrev_b32_e32 v3, 60
	v_lshlrev_b32_e32 v0, 20, v0
	v_and_b32_e32 v2, 0x80000000, v2
	v_lshl_add_u32 v1, v1, 23, v3
	v_or3_b32 v1, v2, v1, v0
.LBB318_183:                            ;   in Loop: Header=BB318_12 Depth=1
	s_or_b64 exec, exec, s[42:43]
	buffer_store_dword v1, off, s[0:3], s32 offset:372 ; 4-byte Folded Spill
.LBB318_184:                            ;   in Loop: Header=BB318_12 Depth=1
	s_or_b64 exec, exec, s[40:41]
.LBB318_185:                            ;   in Loop: Header=BB318_12 Depth=1
	s_or_b64 exec, exec, s[28:29]
	flat_load_dword v8, v[41:42] offset:1544
	v_mov_b32_e32 v0, 0
	buffer_store_dword v0, off, s[0:3], s32 offset:152 ; 4-byte Folded Spill
	v_mov_b32_e32 v0, 0
	s_waitcnt vmcnt(0) lgkmcnt(0)
	v_cmp_ne_u16_sdwa s[40:41], v8, v0 src0_sel:BYTE_0 src1_sel:DWORD
	v_mov_b32_e32 v0, 0
	buffer_store_dword v0, off, s[0:3], s32 offset:148 ; 4-byte Folded Spill
	s_and_saveexec_b64 s[28:29], s[40:41]
	s_cbranch_execz .LBB318_191
; %bb.186:                              ;   in Loop: Header=BB318_12 Depth=1
	v_cmp_ne_u16_sdwa s[42:43], v8, s44 src0_sel:BYTE_0 src1_sel:DWORD
	v_bfrev_b32_e32 v0, 1
	buffer_store_dword v0, off, s[0:3], s32 offset:148 ; 4-byte Folded Spill
	s_and_saveexec_b64 s[40:41], s[42:43]
	s_cbranch_execz .LBB318_190
; %bb.187:                              ;   in Loop: Header=BB318_12 Depth=1
	v_and_b32_e32 v0, 0x7f, v8
	v_cmp_ne_u32_e32 vcc, s45, v0
	v_mov_b32_e32 v1, 0x7f800001
	buffer_store_dword v1, off, s[0:3], s32 offset:148 ; 4-byte Folded Spill
	s_and_saveexec_b64 s[42:43], vcc
	s_cbranch_execz .LBB318_189
; %bb.188:                              ;   in Loop: Header=BB318_12 Depth=1
	v_and_b32_e32 v2, 7, v8
	v_lshrrev_b32_e32 v3, 3, v0
	v_cmp_gt_u32_e32 vcc, 8, v0
	v_ffbh_u32_e32 v0, v2
	v_min_u32_e32 v4, 32, v0
	v_subrev_u32_e32 v0, 28, v4
	v_lshlrev_b64 v[0:1], v0, v[8:9]
	v_sub_u32_e32 v1, 29, v4
	v_and_b32_e32 v0, 7, v0
	v_cndmask_b32_e32 v1, v3, v1, vcc
	v_cndmask_b32_e32 v0, v2, v0, vcc
	v_lshlrev_b32_e32 v2, 24, v8
	v_bfrev_b32_e32 v3, 60
	v_lshlrev_b32_e32 v0, 20, v0
	v_and_b32_e32 v2, 0x80000000, v2
	v_lshl_add_u32 v1, v1, 23, v3
	v_or3_b32 v0, v2, v1, v0
	buffer_store_dword v0, off, s[0:3], s32 offset:148 ; 4-byte Folded Spill
.LBB318_189:                            ;   in Loop: Header=BB318_12 Depth=1
	s_or_b64 exec, exec, s[42:43]
.LBB318_190:                            ;   in Loop: Header=BB318_12 Depth=1
	s_or_b64 exec, exec, s[40:41]
.LBB318_191:                            ;   in Loop: Header=BB318_12 Depth=1
	s_or_b64 exec, exec, s[28:29]
	v_lshrrev_b16_e32 v17, 8, v8
	v_cmp_ne_u16_e32 vcc, 0, v17
	s_and_saveexec_b64 s[28:29], vcc
	s_cbranch_execz .LBB318_197
; %bb.192:                              ;   in Loop: Header=BB318_12 Depth=1
	v_cmp_ne_u16_e32 vcc, s44, v17
	v_bfrev_b32_e32 v0, 1
	buffer_store_dword v0, off, s[0:3], s32 offset:152 ; 4-byte Folded Spill
	s_and_saveexec_b64 s[40:41], vcc
	s_cbranch_execz .LBB318_196
; %bb.193:                              ;   in Loop: Header=BB318_12 Depth=1
	v_and_b32_e32 v0, 0x7f, v17
	v_cmp_ne_u32_e32 vcc, s45, v0
	v_mov_b32_e32 v1, 0x7f800001
	buffer_store_dword v1, off, s[0:3], s32 offset:152 ; 4-byte Folded Spill
	s_and_saveexec_b64 s[42:43], vcc
	s_cbranch_execz .LBB318_195
; %bb.194:                              ;   in Loop: Header=BB318_12 Depth=1
	v_and_b32_e32 v2, 7, v17
	v_lshrrev_b32_e32 v3, 3, v0
	v_cmp_gt_u32_e32 vcc, 8, v0
	v_ffbh_u32_e32 v0, v2
	v_min_u32_e32 v4, 32, v0
	v_subrev_u32_e32 v0, 28, v4
	v_lshlrev_b64 v[0:1], v0, v[17:18]
	v_sub_u32_e32 v1, 29, v4
	v_and_b32_e32 v0, 7, v0
	v_cndmask_b32_e32 v1, v3, v1, vcc
	v_cndmask_b32_e32 v0, v2, v0, vcc
	v_lshlrev_b32_e32 v2, 16, v8
	v_bfrev_b32_e32 v3, 60
	v_lshlrev_b32_e32 v0, 20, v0
	v_and_b32_e32 v2, 0x80000000, v2
	v_lshl_add_u32 v1, v1, 23, v3
	v_or3_b32 v0, v2, v1, v0
	buffer_store_dword v0, off, s[0:3], s32 offset:152 ; 4-byte Folded Spill
.LBB318_195:                            ;   in Loop: Header=BB318_12 Depth=1
	s_or_b64 exec, exec, s[42:43]
.LBB318_196:                            ;   in Loop: Header=BB318_12 Depth=1
	s_or_b64 exec, exec, s[40:41]
.LBB318_197:                            ;   in Loop: Header=BB318_12 Depth=1
	s_or_b64 exec, exec, s[28:29]
	v_lshrrev_b32_e32 v17, 16, v8
	v_mov_b32_e32 v0, 0
	v_cmp_ne_u16_sdwa s[40:41], v17, v0 src0_sel:BYTE_0 src1_sel:DWORD
	v_mov_b32_e32 v0, 0
	buffer_store_dword v0, off, s[0:3], s32 offset:376 ; 4-byte Folded Spill
	v_mov_b32_e32 v0, 0
	buffer_store_dword v0, off, s[0:3], s32 offset:156 ; 4-byte Folded Spill
	s_and_saveexec_b64 s[28:29], s[40:41]
	s_cbranch_execz .LBB318_203
; %bb.198:                              ;   in Loop: Header=BB318_12 Depth=1
	v_cmp_ne_u16_sdwa s[42:43], v17, s44 src0_sel:BYTE_0 src1_sel:DWORD
	v_bfrev_b32_e32 v0, 1
	buffer_store_dword v0, off, s[0:3], s32 offset:156 ; 4-byte Folded Spill
	s_and_saveexec_b64 s[40:41], s[42:43]
	s_cbranch_execz .LBB318_202
; %bb.199:                              ;   in Loop: Header=BB318_12 Depth=1
	v_bfe_u32 v0, v8, 16, 7
	v_cmp_ne_u32_e32 vcc, s45, v0
	v_mov_b32_e32 v1, 0x7f800001
	buffer_store_dword v1, off, s[0:3], s32 offset:156 ; 4-byte Folded Spill
	s_and_saveexec_b64 s[42:43], vcc
	s_cbranch_execz .LBB318_201
; %bb.200:                              ;   in Loop: Header=BB318_12 Depth=1
	v_and_b32_e32 v2, 7, v17
	v_lshrrev_b32_e32 v3, 3, v0
	v_cmp_gt_u32_e32 vcc, 8, v0
	v_ffbh_u32_e32 v0, v2
	v_min_u32_e32 v4, 32, v0
	v_subrev_u32_e32 v0, 28, v4
	v_lshlrev_b64 v[0:1], v0, v[17:18]
	v_sub_u32_e32 v1, 29, v4
	v_and_b32_e32 v0, 7, v0
	v_cndmask_b32_e32 v1, v3, v1, vcc
	v_cndmask_b32_e32 v0, v2, v0, vcc
	v_lshlrev_b32_e32 v2, 24, v17
	v_bfrev_b32_e32 v3, 60
	v_lshlrev_b32_e32 v0, 20, v0
	v_and_b32_e32 v2, 0x80000000, v2
	v_lshl_add_u32 v1, v1, 23, v3
	v_or3_b32 v0, v2, v1, v0
	buffer_store_dword v0, off, s[0:3], s32 offset:156 ; 4-byte Folded Spill
.LBB318_201:                            ;   in Loop: Header=BB318_12 Depth=1
	s_or_b64 exec, exec, s[42:43]
.LBB318_202:                            ;   in Loop: Header=BB318_12 Depth=1
	s_or_b64 exec, exec, s[40:41]
.LBB318_203:                            ;   in Loop: Header=BB318_12 Depth=1
	s_or_b64 exec, exec, s[28:29]
	v_cmp_lt_u32_e32 vcc, s46, v8
	s_and_saveexec_b64 s[28:29], vcc
	s_cbranch_execz .LBB318_209
; %bb.204:                              ;   in Loop: Header=BB318_12 Depth=1
	v_lshrrev_b32_e32 v17, 24, v8
	v_cmp_ne_u32_e32 vcc, s44, v17
	v_bfrev_b32_e32 v0, 1
	buffer_store_dword v0, off, s[0:3], s32 offset:376 ; 4-byte Folded Spill
	s_and_saveexec_b64 s[40:41], vcc
	s_cbranch_execz .LBB318_208
; %bb.205:                              ;   in Loop: Header=BB318_12 Depth=1
	v_bfe_u32 v0, v8, 24, 7
	v_cmp_ne_u32_e32 vcc, s45, v0
	v_mov_b32_e32 v1, 0x7f800001
	s_and_saveexec_b64 s[42:43], vcc
	s_cbranch_execz .LBB318_207
; %bb.206:                              ;   in Loop: Header=BB318_12 Depth=1
	v_and_b32_e32 v2, 7, v17
	v_lshrrev_b32_e32 v3, 3, v0
	v_cmp_gt_u32_e32 vcc, 8, v0
	v_ffbh_u32_e32 v0, v2
	v_min_u32_e32 v4, 32, v0
	v_subrev_u32_e32 v0, 28, v4
	v_lshlrev_b64 v[0:1], v0, v[17:18]
	v_sub_u32_e32 v1, 29, v4
	v_and_b32_e32 v0, 7, v0
	v_cndmask_b32_e32 v1, v3, v1, vcc
	v_cndmask_b32_e32 v0, v2, v0, vcc
	v_lshlrev_b32_e32 v2, 24, v17
	v_bfrev_b32_e32 v3, 60
	v_lshlrev_b32_e32 v0, 20, v0
	v_and_b32_e32 v2, 0x80000000, v2
	v_lshl_add_u32 v1, v1, 23, v3
	v_or3_b32 v1, v2, v1, v0
.LBB318_207:                            ;   in Loop: Header=BB318_12 Depth=1
	s_or_b64 exec, exec, s[42:43]
	buffer_store_dword v1, off, s[0:3], s32 offset:376 ; 4-byte Folded Spill
.LBB318_208:                            ;   in Loop: Header=BB318_12 Depth=1
	s_or_b64 exec, exec, s[40:41]
.LBB318_209:                            ;   in Loop: Header=BB318_12 Depth=1
	s_or_b64 exec, exec, s[28:29]
	flat_load_dword v8, v[41:42] offset:2048
	v_mov_b32_e32 v0, 0
	buffer_store_dword v0, off, s[0:3], s32 offset:164 ; 4-byte Folded Spill
	v_mov_b32_e32 v0, 0
	s_waitcnt vmcnt(0) lgkmcnt(0)
	v_cmp_ne_u16_sdwa s[40:41], v8, v0 src0_sel:BYTE_0 src1_sel:DWORD
	v_mov_b32_e32 v0, 0
	buffer_store_dword v0, off, s[0:3], s32 offset:160 ; 4-byte Folded Spill
	s_and_saveexec_b64 s[28:29], s[40:41]
	s_cbranch_execz .LBB318_215
; %bb.210:                              ;   in Loop: Header=BB318_12 Depth=1
	v_cmp_ne_u16_sdwa s[42:43], v8, s44 src0_sel:BYTE_0 src1_sel:DWORD
	v_bfrev_b32_e32 v0, 1
	buffer_store_dword v0, off, s[0:3], s32 offset:160 ; 4-byte Folded Spill
	s_and_saveexec_b64 s[40:41], s[42:43]
	s_cbranch_execz .LBB318_214
; %bb.211:                              ;   in Loop: Header=BB318_12 Depth=1
	v_and_b32_e32 v0, 0x7f, v8
	v_cmp_ne_u32_e32 vcc, s45, v0
	v_mov_b32_e32 v1, 0x7f800001
	buffer_store_dword v1, off, s[0:3], s32 offset:160 ; 4-byte Folded Spill
	s_and_saveexec_b64 s[42:43], vcc
	s_cbranch_execz .LBB318_213
; %bb.212:                              ;   in Loop: Header=BB318_12 Depth=1
	v_and_b32_e32 v2, 7, v8
	v_lshrrev_b32_e32 v3, 3, v0
	v_cmp_gt_u32_e32 vcc, 8, v0
	v_ffbh_u32_e32 v0, v2
	v_min_u32_e32 v4, 32, v0
	v_subrev_u32_e32 v0, 28, v4
	v_lshlrev_b64 v[0:1], v0, v[8:9]
	v_sub_u32_e32 v1, 29, v4
	v_and_b32_e32 v0, 7, v0
	v_cndmask_b32_e32 v1, v3, v1, vcc
	v_cndmask_b32_e32 v0, v2, v0, vcc
	v_lshlrev_b32_e32 v2, 24, v8
	v_bfrev_b32_e32 v3, 60
	v_lshlrev_b32_e32 v0, 20, v0
	v_and_b32_e32 v2, 0x80000000, v2
	v_lshl_add_u32 v1, v1, 23, v3
	v_or3_b32 v0, v2, v1, v0
	buffer_store_dword v0, off, s[0:3], s32 offset:160 ; 4-byte Folded Spill
.LBB318_213:                            ;   in Loop: Header=BB318_12 Depth=1
	s_or_b64 exec, exec, s[42:43]
.LBB318_214:                            ;   in Loop: Header=BB318_12 Depth=1
	s_or_b64 exec, exec, s[40:41]
.LBB318_215:                            ;   in Loop: Header=BB318_12 Depth=1
	s_or_b64 exec, exec, s[28:29]
	v_lshrrev_b16_e32 v17, 8, v8
	v_cmp_ne_u16_e32 vcc, 0, v17
	s_and_saveexec_b64 s[28:29], vcc
	s_cbranch_execz .LBB318_221
; %bb.216:                              ;   in Loop: Header=BB318_12 Depth=1
	v_cmp_ne_u16_e32 vcc, s44, v17
	v_bfrev_b32_e32 v0, 1
	buffer_store_dword v0, off, s[0:3], s32 offset:164 ; 4-byte Folded Spill
	s_and_saveexec_b64 s[40:41], vcc
	s_cbranch_execz .LBB318_220
; %bb.217:                              ;   in Loop: Header=BB318_12 Depth=1
	v_and_b32_e32 v0, 0x7f, v17
	v_cmp_ne_u32_e32 vcc, s45, v0
	v_mov_b32_e32 v1, 0x7f800001
	buffer_store_dword v1, off, s[0:3], s32 offset:164 ; 4-byte Folded Spill
	s_and_saveexec_b64 s[42:43], vcc
	s_cbranch_execz .LBB318_219
; %bb.218:                              ;   in Loop: Header=BB318_12 Depth=1
	v_and_b32_e32 v2, 7, v17
	v_lshrrev_b32_e32 v3, 3, v0
	v_cmp_gt_u32_e32 vcc, 8, v0
	v_ffbh_u32_e32 v0, v2
	v_min_u32_e32 v4, 32, v0
	v_subrev_u32_e32 v0, 28, v4
	v_lshlrev_b64 v[0:1], v0, v[17:18]
	v_sub_u32_e32 v1, 29, v4
	v_and_b32_e32 v0, 7, v0
	v_cndmask_b32_e32 v1, v3, v1, vcc
	v_cndmask_b32_e32 v0, v2, v0, vcc
	v_lshlrev_b32_e32 v2, 16, v8
	v_bfrev_b32_e32 v3, 60
	v_lshlrev_b32_e32 v0, 20, v0
	v_and_b32_e32 v2, 0x80000000, v2
	v_lshl_add_u32 v1, v1, 23, v3
	v_or3_b32 v0, v2, v1, v0
	buffer_store_dword v0, off, s[0:3], s32 offset:164 ; 4-byte Folded Spill
.LBB318_219:                            ;   in Loop: Header=BB318_12 Depth=1
	s_or_b64 exec, exec, s[42:43]
.LBB318_220:                            ;   in Loop: Header=BB318_12 Depth=1
	s_or_b64 exec, exec, s[40:41]
.LBB318_221:                            ;   in Loop: Header=BB318_12 Depth=1
	s_or_b64 exec, exec, s[28:29]
	v_lshrrev_b32_e32 v17, 16, v8
	v_mov_b32_e32 v0, 0
	v_cmp_ne_u16_sdwa s[40:41], v17, v0 src0_sel:BYTE_0 src1_sel:DWORD
	v_mov_b32_e32 v0, 0
	buffer_store_dword v0, off, s[0:3], s32 offset:380 ; 4-byte Folded Spill
	v_mov_b32_e32 v0, 0
	buffer_store_dword v0, off, s[0:3], s32 offset:168 ; 4-byte Folded Spill
	s_and_saveexec_b64 s[28:29], s[40:41]
	s_cbranch_execz .LBB318_227
; %bb.222:                              ;   in Loop: Header=BB318_12 Depth=1
	v_cmp_ne_u16_sdwa s[42:43], v17, s44 src0_sel:BYTE_0 src1_sel:DWORD
	v_bfrev_b32_e32 v0, 1
	buffer_store_dword v0, off, s[0:3], s32 offset:168 ; 4-byte Folded Spill
	s_and_saveexec_b64 s[40:41], s[42:43]
	s_cbranch_execz .LBB318_226
; %bb.223:                              ;   in Loop: Header=BB318_12 Depth=1
	v_bfe_u32 v0, v8, 16, 7
	v_cmp_ne_u32_e32 vcc, s45, v0
	v_mov_b32_e32 v1, 0x7f800001
	buffer_store_dword v1, off, s[0:3], s32 offset:168 ; 4-byte Folded Spill
	s_and_saveexec_b64 s[42:43], vcc
	s_cbranch_execz .LBB318_225
; %bb.224:                              ;   in Loop: Header=BB318_12 Depth=1
	v_and_b32_e32 v2, 7, v17
	v_lshrrev_b32_e32 v3, 3, v0
	v_cmp_gt_u32_e32 vcc, 8, v0
	v_ffbh_u32_e32 v0, v2
	v_min_u32_e32 v4, 32, v0
	v_subrev_u32_e32 v0, 28, v4
	v_lshlrev_b64 v[0:1], v0, v[17:18]
	v_sub_u32_e32 v1, 29, v4
	v_and_b32_e32 v0, 7, v0
	v_cndmask_b32_e32 v1, v3, v1, vcc
	v_cndmask_b32_e32 v0, v2, v0, vcc
	v_lshlrev_b32_e32 v2, 24, v17
	v_bfrev_b32_e32 v3, 60
	v_lshlrev_b32_e32 v0, 20, v0
	v_and_b32_e32 v2, 0x80000000, v2
	v_lshl_add_u32 v1, v1, 23, v3
	v_or3_b32 v0, v2, v1, v0
	buffer_store_dword v0, off, s[0:3], s32 offset:168 ; 4-byte Folded Spill
.LBB318_225:                            ;   in Loop: Header=BB318_12 Depth=1
	s_or_b64 exec, exec, s[42:43]
.LBB318_226:                            ;   in Loop: Header=BB318_12 Depth=1
	s_or_b64 exec, exec, s[40:41]
.LBB318_227:                            ;   in Loop: Header=BB318_12 Depth=1
	s_or_b64 exec, exec, s[28:29]
	v_cmp_lt_u32_e32 vcc, s46, v8
	s_and_saveexec_b64 s[28:29], vcc
	s_cbranch_execz .LBB318_233
; %bb.228:                              ;   in Loop: Header=BB318_12 Depth=1
	v_lshrrev_b32_e32 v17, 24, v8
	v_cmp_ne_u32_e32 vcc, s44, v17
	v_bfrev_b32_e32 v0, 1
	buffer_store_dword v0, off, s[0:3], s32 offset:380 ; 4-byte Folded Spill
	s_and_saveexec_b64 s[40:41], vcc
	s_cbranch_execz .LBB318_232
; %bb.229:                              ;   in Loop: Header=BB318_12 Depth=1
	v_bfe_u32 v0, v8, 24, 7
	v_cmp_ne_u32_e32 vcc, s45, v0
	v_mov_b32_e32 v1, 0x7f800001
	s_and_saveexec_b64 s[42:43], vcc
	s_cbranch_execz .LBB318_231
; %bb.230:                              ;   in Loop: Header=BB318_12 Depth=1
	v_and_b32_e32 v2, 7, v17
	v_lshrrev_b32_e32 v3, 3, v0
	v_cmp_gt_u32_e32 vcc, 8, v0
	v_ffbh_u32_e32 v0, v2
	v_min_u32_e32 v4, 32, v0
	v_subrev_u32_e32 v0, 28, v4
	v_lshlrev_b64 v[0:1], v0, v[17:18]
	v_sub_u32_e32 v1, 29, v4
	v_and_b32_e32 v0, 7, v0
	v_cndmask_b32_e32 v1, v3, v1, vcc
	v_cndmask_b32_e32 v0, v2, v0, vcc
	v_lshlrev_b32_e32 v2, 24, v17
	v_bfrev_b32_e32 v3, 60
	v_lshlrev_b32_e32 v0, 20, v0
	v_and_b32_e32 v2, 0x80000000, v2
	v_lshl_add_u32 v1, v1, 23, v3
	v_or3_b32 v1, v2, v1, v0
.LBB318_231:                            ;   in Loop: Header=BB318_12 Depth=1
	s_or_b64 exec, exec, s[42:43]
	buffer_store_dword v1, off, s[0:3], s32 offset:380 ; 4-byte Folded Spill
.LBB318_232:                            ;   in Loop: Header=BB318_12 Depth=1
	s_or_b64 exec, exec, s[40:41]
.LBB318_233:                            ;   in Loop: Header=BB318_12 Depth=1
	s_or_b64 exec, exec, s[28:29]
	flat_load_dword v8, v[41:42] offset:2056
	v_mov_b32_e32 v0, 0
	buffer_store_dword v0, off, s[0:3], s32 offset:176 ; 4-byte Folded Spill
	v_mov_b32_e32 v0, 0
	s_waitcnt vmcnt(0) lgkmcnt(0)
	v_cmp_ne_u16_sdwa s[40:41], v8, v0 src0_sel:BYTE_0 src1_sel:DWORD
	v_mov_b32_e32 v0, 0
	buffer_store_dword v0, off, s[0:3], s32 offset:172 ; 4-byte Folded Spill
	s_and_saveexec_b64 s[28:29], s[40:41]
	s_cbranch_execz .LBB318_239
; %bb.234:                              ;   in Loop: Header=BB318_12 Depth=1
	v_cmp_ne_u16_sdwa s[42:43], v8, s44 src0_sel:BYTE_0 src1_sel:DWORD
	v_bfrev_b32_e32 v0, 1
	buffer_store_dword v0, off, s[0:3], s32 offset:172 ; 4-byte Folded Spill
	s_and_saveexec_b64 s[40:41], s[42:43]
	s_cbranch_execz .LBB318_238
; %bb.235:                              ;   in Loop: Header=BB318_12 Depth=1
	v_and_b32_e32 v0, 0x7f, v8
	v_cmp_ne_u32_e32 vcc, s45, v0
	v_mov_b32_e32 v1, 0x7f800001
	buffer_store_dword v1, off, s[0:3], s32 offset:172 ; 4-byte Folded Spill
	s_and_saveexec_b64 s[42:43], vcc
	s_cbranch_execz .LBB318_237
; %bb.236:                              ;   in Loop: Header=BB318_12 Depth=1
	v_and_b32_e32 v2, 7, v8
	v_lshrrev_b32_e32 v3, 3, v0
	v_cmp_gt_u32_e32 vcc, 8, v0
	v_ffbh_u32_e32 v0, v2
	v_min_u32_e32 v4, 32, v0
	v_subrev_u32_e32 v0, 28, v4
	v_lshlrev_b64 v[0:1], v0, v[8:9]
	v_sub_u32_e32 v1, 29, v4
	v_and_b32_e32 v0, 7, v0
	v_cndmask_b32_e32 v1, v3, v1, vcc
	v_cndmask_b32_e32 v0, v2, v0, vcc
	v_lshlrev_b32_e32 v2, 24, v8
	v_bfrev_b32_e32 v3, 60
	v_lshlrev_b32_e32 v0, 20, v0
	v_and_b32_e32 v2, 0x80000000, v2
	v_lshl_add_u32 v1, v1, 23, v3
	v_or3_b32 v0, v2, v1, v0
	buffer_store_dword v0, off, s[0:3], s32 offset:172 ; 4-byte Folded Spill
.LBB318_237:                            ;   in Loop: Header=BB318_12 Depth=1
	s_or_b64 exec, exec, s[42:43]
.LBB318_238:                            ;   in Loop: Header=BB318_12 Depth=1
	s_or_b64 exec, exec, s[40:41]
.LBB318_239:                            ;   in Loop: Header=BB318_12 Depth=1
	s_or_b64 exec, exec, s[28:29]
	v_lshrrev_b16_e32 v17, 8, v8
	v_cmp_ne_u16_e32 vcc, 0, v17
	s_and_saveexec_b64 s[28:29], vcc
	s_cbranch_execz .LBB318_245
; %bb.240:                              ;   in Loop: Header=BB318_12 Depth=1
	v_cmp_ne_u16_e32 vcc, s44, v17
	v_bfrev_b32_e32 v0, 1
	buffer_store_dword v0, off, s[0:3], s32 offset:176 ; 4-byte Folded Spill
	s_and_saveexec_b64 s[40:41], vcc
	s_cbranch_execz .LBB318_244
; %bb.241:                              ;   in Loop: Header=BB318_12 Depth=1
	v_and_b32_e32 v0, 0x7f, v17
	v_cmp_ne_u32_e32 vcc, s45, v0
	v_mov_b32_e32 v1, 0x7f800001
	buffer_store_dword v1, off, s[0:3], s32 offset:176 ; 4-byte Folded Spill
	s_and_saveexec_b64 s[42:43], vcc
	s_cbranch_execz .LBB318_243
; %bb.242:                              ;   in Loop: Header=BB318_12 Depth=1
	v_and_b32_e32 v2, 7, v17
	v_lshrrev_b32_e32 v3, 3, v0
	v_cmp_gt_u32_e32 vcc, 8, v0
	v_ffbh_u32_e32 v0, v2
	v_min_u32_e32 v4, 32, v0
	v_subrev_u32_e32 v0, 28, v4
	v_lshlrev_b64 v[0:1], v0, v[17:18]
	v_sub_u32_e32 v1, 29, v4
	v_and_b32_e32 v0, 7, v0
	v_cndmask_b32_e32 v1, v3, v1, vcc
	v_cndmask_b32_e32 v0, v2, v0, vcc
	v_lshlrev_b32_e32 v2, 16, v8
	v_bfrev_b32_e32 v3, 60
	v_lshlrev_b32_e32 v0, 20, v0
	v_and_b32_e32 v2, 0x80000000, v2
	v_lshl_add_u32 v1, v1, 23, v3
	v_or3_b32 v0, v2, v1, v0
	buffer_store_dword v0, off, s[0:3], s32 offset:176 ; 4-byte Folded Spill
.LBB318_243:                            ;   in Loop: Header=BB318_12 Depth=1
	s_or_b64 exec, exec, s[42:43]
.LBB318_244:                            ;   in Loop: Header=BB318_12 Depth=1
	s_or_b64 exec, exec, s[40:41]
.LBB318_245:                            ;   in Loop: Header=BB318_12 Depth=1
	s_or_b64 exec, exec, s[28:29]
	v_lshrrev_b32_e32 v17, 16, v8
	v_mov_b32_e32 v0, 0
	v_cmp_ne_u16_sdwa s[40:41], v17, v0 src0_sel:BYTE_0 src1_sel:DWORD
	v_mov_b32_e32 v0, 0
	buffer_store_dword v0, off, s[0:3], s32 offset:384 ; 4-byte Folded Spill
	v_mov_b32_e32 v0, 0
	buffer_store_dword v0, off, s[0:3], s32 offset:180 ; 4-byte Folded Spill
	s_and_saveexec_b64 s[28:29], s[40:41]
	s_cbranch_execz .LBB318_251
; %bb.246:                              ;   in Loop: Header=BB318_12 Depth=1
	v_cmp_ne_u16_sdwa s[42:43], v17, s44 src0_sel:BYTE_0 src1_sel:DWORD
	v_bfrev_b32_e32 v0, 1
	buffer_store_dword v0, off, s[0:3], s32 offset:180 ; 4-byte Folded Spill
	s_and_saveexec_b64 s[40:41], s[42:43]
	s_cbranch_execz .LBB318_250
; %bb.247:                              ;   in Loop: Header=BB318_12 Depth=1
	v_bfe_u32 v0, v8, 16, 7
	v_cmp_ne_u32_e32 vcc, s45, v0
	v_mov_b32_e32 v1, 0x7f800001
	buffer_store_dword v1, off, s[0:3], s32 offset:180 ; 4-byte Folded Spill
	s_and_saveexec_b64 s[42:43], vcc
	s_cbranch_execz .LBB318_249
; %bb.248:                              ;   in Loop: Header=BB318_12 Depth=1
	v_and_b32_e32 v2, 7, v17
	v_lshrrev_b32_e32 v3, 3, v0
	v_cmp_gt_u32_e32 vcc, 8, v0
	v_ffbh_u32_e32 v0, v2
	v_min_u32_e32 v4, 32, v0
	v_subrev_u32_e32 v0, 28, v4
	v_lshlrev_b64 v[0:1], v0, v[17:18]
	v_sub_u32_e32 v1, 29, v4
	v_and_b32_e32 v0, 7, v0
	v_cndmask_b32_e32 v1, v3, v1, vcc
	v_cndmask_b32_e32 v0, v2, v0, vcc
	v_lshlrev_b32_e32 v2, 24, v17
	v_bfrev_b32_e32 v3, 60
	v_lshlrev_b32_e32 v0, 20, v0
	v_and_b32_e32 v2, 0x80000000, v2
	v_lshl_add_u32 v1, v1, 23, v3
	v_or3_b32 v0, v2, v1, v0
	buffer_store_dword v0, off, s[0:3], s32 offset:180 ; 4-byte Folded Spill
.LBB318_249:                            ;   in Loop: Header=BB318_12 Depth=1
	s_or_b64 exec, exec, s[42:43]
.LBB318_250:                            ;   in Loop: Header=BB318_12 Depth=1
	s_or_b64 exec, exec, s[40:41]
.LBB318_251:                            ;   in Loop: Header=BB318_12 Depth=1
	s_or_b64 exec, exec, s[28:29]
	v_cmp_lt_u32_e32 vcc, s46, v8
	s_and_saveexec_b64 s[28:29], vcc
	s_cbranch_execz .LBB318_257
; %bb.252:                              ;   in Loop: Header=BB318_12 Depth=1
	v_lshrrev_b32_e32 v17, 24, v8
	v_cmp_ne_u32_e32 vcc, s44, v17
	v_bfrev_b32_e32 v0, 1
	buffer_store_dword v0, off, s[0:3], s32 offset:384 ; 4-byte Folded Spill
	s_and_saveexec_b64 s[40:41], vcc
	s_cbranch_execz .LBB318_256
; %bb.253:                              ;   in Loop: Header=BB318_12 Depth=1
	v_bfe_u32 v0, v8, 24, 7
	v_cmp_ne_u32_e32 vcc, s45, v0
	v_mov_b32_e32 v1, 0x7f800001
	s_and_saveexec_b64 s[42:43], vcc
	s_cbranch_execz .LBB318_255
; %bb.254:                              ;   in Loop: Header=BB318_12 Depth=1
	v_and_b32_e32 v2, 7, v17
	v_lshrrev_b32_e32 v3, 3, v0
	v_cmp_gt_u32_e32 vcc, 8, v0
	v_ffbh_u32_e32 v0, v2
	v_min_u32_e32 v4, 32, v0
	v_subrev_u32_e32 v0, 28, v4
	v_lshlrev_b64 v[0:1], v0, v[17:18]
	v_sub_u32_e32 v1, 29, v4
	v_and_b32_e32 v0, 7, v0
	v_cndmask_b32_e32 v1, v3, v1, vcc
	v_cndmask_b32_e32 v0, v2, v0, vcc
	v_lshlrev_b32_e32 v2, 24, v17
	v_bfrev_b32_e32 v3, 60
	v_lshlrev_b32_e32 v0, 20, v0
	v_and_b32_e32 v2, 0x80000000, v2
	v_lshl_add_u32 v1, v1, 23, v3
	v_or3_b32 v1, v2, v1, v0
.LBB318_255:                            ;   in Loop: Header=BB318_12 Depth=1
	s_or_b64 exec, exec, s[42:43]
	buffer_store_dword v1, off, s[0:3], s32 offset:384 ; 4-byte Folded Spill
.LBB318_256:                            ;   in Loop: Header=BB318_12 Depth=1
	s_or_b64 exec, exec, s[40:41]
.LBB318_257:                            ;   in Loop: Header=BB318_12 Depth=1
	s_or_b64 exec, exec, s[28:29]
	flat_load_dword v8, v[41:42] offset:2560
	v_mov_b32_e32 v0, 0
	buffer_store_dword v0, off, s[0:3], s32 offset:188 ; 4-byte Folded Spill
	v_mov_b32_e32 v0, 0
	s_waitcnt vmcnt(0) lgkmcnt(0)
	v_cmp_ne_u16_sdwa s[40:41], v8, v0 src0_sel:BYTE_0 src1_sel:DWORD
	v_mov_b32_e32 v0, 0
	buffer_store_dword v0, off, s[0:3], s32 offset:184 ; 4-byte Folded Spill
	s_and_saveexec_b64 s[28:29], s[40:41]
	s_cbranch_execz .LBB318_263
; %bb.258:                              ;   in Loop: Header=BB318_12 Depth=1
	v_cmp_ne_u16_sdwa s[42:43], v8, s44 src0_sel:BYTE_0 src1_sel:DWORD
	v_bfrev_b32_e32 v0, 1
	buffer_store_dword v0, off, s[0:3], s32 offset:184 ; 4-byte Folded Spill
	s_and_saveexec_b64 s[40:41], s[42:43]
	s_cbranch_execz .LBB318_262
; %bb.259:                              ;   in Loop: Header=BB318_12 Depth=1
	v_and_b32_e32 v0, 0x7f, v8
	v_cmp_ne_u32_e32 vcc, s45, v0
	v_mov_b32_e32 v1, 0x7f800001
	buffer_store_dword v1, off, s[0:3], s32 offset:184 ; 4-byte Folded Spill
	s_and_saveexec_b64 s[42:43], vcc
	s_cbranch_execz .LBB318_261
; %bb.260:                              ;   in Loop: Header=BB318_12 Depth=1
	v_and_b32_e32 v2, 7, v8
	v_lshrrev_b32_e32 v3, 3, v0
	v_cmp_gt_u32_e32 vcc, 8, v0
	v_ffbh_u32_e32 v0, v2
	v_min_u32_e32 v4, 32, v0
	v_subrev_u32_e32 v0, 28, v4
	v_lshlrev_b64 v[0:1], v0, v[8:9]
	v_sub_u32_e32 v1, 29, v4
	v_and_b32_e32 v0, 7, v0
	v_cndmask_b32_e32 v1, v3, v1, vcc
	v_cndmask_b32_e32 v0, v2, v0, vcc
	v_lshlrev_b32_e32 v2, 24, v8
	v_bfrev_b32_e32 v3, 60
	v_lshlrev_b32_e32 v0, 20, v0
	v_and_b32_e32 v2, 0x80000000, v2
	v_lshl_add_u32 v1, v1, 23, v3
	v_or3_b32 v0, v2, v1, v0
	buffer_store_dword v0, off, s[0:3], s32 offset:184 ; 4-byte Folded Spill
.LBB318_261:                            ;   in Loop: Header=BB318_12 Depth=1
	s_or_b64 exec, exec, s[42:43]
.LBB318_262:                            ;   in Loop: Header=BB318_12 Depth=1
	s_or_b64 exec, exec, s[40:41]
.LBB318_263:                            ;   in Loop: Header=BB318_12 Depth=1
	s_or_b64 exec, exec, s[28:29]
	v_lshrrev_b16_e32 v17, 8, v8
	v_cmp_ne_u16_e32 vcc, 0, v17
	s_and_saveexec_b64 s[28:29], vcc
	s_cbranch_execz .LBB318_269
; %bb.264:                              ;   in Loop: Header=BB318_12 Depth=1
	v_cmp_ne_u16_e32 vcc, s44, v17
	v_bfrev_b32_e32 v0, 1
	buffer_store_dword v0, off, s[0:3], s32 offset:188 ; 4-byte Folded Spill
	s_and_saveexec_b64 s[40:41], vcc
	s_cbranch_execz .LBB318_268
; %bb.265:                              ;   in Loop: Header=BB318_12 Depth=1
	v_and_b32_e32 v0, 0x7f, v17
	v_cmp_ne_u32_e32 vcc, s45, v0
	v_mov_b32_e32 v1, 0x7f800001
	buffer_store_dword v1, off, s[0:3], s32 offset:188 ; 4-byte Folded Spill
	s_and_saveexec_b64 s[42:43], vcc
	s_cbranch_execz .LBB318_267
; %bb.266:                              ;   in Loop: Header=BB318_12 Depth=1
	v_and_b32_e32 v2, 7, v17
	v_lshrrev_b32_e32 v3, 3, v0
	v_cmp_gt_u32_e32 vcc, 8, v0
	v_ffbh_u32_e32 v0, v2
	v_min_u32_e32 v4, 32, v0
	v_subrev_u32_e32 v0, 28, v4
	v_lshlrev_b64 v[0:1], v0, v[17:18]
	v_sub_u32_e32 v1, 29, v4
	v_and_b32_e32 v0, 7, v0
	v_cndmask_b32_e32 v1, v3, v1, vcc
	v_cndmask_b32_e32 v0, v2, v0, vcc
	v_lshlrev_b32_e32 v2, 16, v8
	v_bfrev_b32_e32 v3, 60
	v_lshlrev_b32_e32 v0, 20, v0
	v_and_b32_e32 v2, 0x80000000, v2
	v_lshl_add_u32 v1, v1, 23, v3
	v_or3_b32 v0, v2, v1, v0
	buffer_store_dword v0, off, s[0:3], s32 offset:188 ; 4-byte Folded Spill
.LBB318_267:                            ;   in Loop: Header=BB318_12 Depth=1
	s_or_b64 exec, exec, s[42:43]
.LBB318_268:                            ;   in Loop: Header=BB318_12 Depth=1
	s_or_b64 exec, exec, s[40:41]
.LBB318_269:                            ;   in Loop: Header=BB318_12 Depth=1
	s_or_b64 exec, exec, s[28:29]
	v_lshrrev_b32_e32 v17, 16, v8
	v_mov_b32_e32 v0, 0
	v_cmp_ne_u16_sdwa s[40:41], v17, v0 src0_sel:BYTE_0 src1_sel:DWORD
	v_mov_b32_e32 v0, 0
	buffer_store_dword v0, off, s[0:3], s32 offset:388 ; 4-byte Folded Spill
	v_mov_b32_e32 v0, 0
	buffer_store_dword v0, off, s[0:3], s32 offset:192 ; 4-byte Folded Spill
	s_and_saveexec_b64 s[28:29], s[40:41]
	s_cbranch_execz .LBB318_275
; %bb.270:                              ;   in Loop: Header=BB318_12 Depth=1
	v_cmp_ne_u16_sdwa s[42:43], v17, s44 src0_sel:BYTE_0 src1_sel:DWORD
	v_bfrev_b32_e32 v0, 1
	buffer_store_dword v0, off, s[0:3], s32 offset:192 ; 4-byte Folded Spill
	s_and_saveexec_b64 s[40:41], s[42:43]
	s_cbranch_execz .LBB318_274
; %bb.271:                              ;   in Loop: Header=BB318_12 Depth=1
	v_bfe_u32 v0, v8, 16, 7
	v_cmp_ne_u32_e32 vcc, s45, v0
	v_mov_b32_e32 v1, 0x7f800001
	buffer_store_dword v1, off, s[0:3], s32 offset:192 ; 4-byte Folded Spill
	s_and_saveexec_b64 s[42:43], vcc
	s_cbranch_execz .LBB318_273
; %bb.272:                              ;   in Loop: Header=BB318_12 Depth=1
	v_and_b32_e32 v2, 7, v17
	v_lshrrev_b32_e32 v3, 3, v0
	v_cmp_gt_u32_e32 vcc, 8, v0
	v_ffbh_u32_e32 v0, v2
	v_min_u32_e32 v4, 32, v0
	v_subrev_u32_e32 v0, 28, v4
	v_lshlrev_b64 v[0:1], v0, v[17:18]
	v_sub_u32_e32 v1, 29, v4
	v_and_b32_e32 v0, 7, v0
	v_cndmask_b32_e32 v1, v3, v1, vcc
	v_cndmask_b32_e32 v0, v2, v0, vcc
	v_lshlrev_b32_e32 v2, 24, v17
	v_bfrev_b32_e32 v3, 60
	v_lshlrev_b32_e32 v0, 20, v0
	v_and_b32_e32 v2, 0x80000000, v2
	v_lshl_add_u32 v1, v1, 23, v3
	v_or3_b32 v0, v2, v1, v0
	buffer_store_dword v0, off, s[0:3], s32 offset:192 ; 4-byte Folded Spill
.LBB318_273:                            ;   in Loop: Header=BB318_12 Depth=1
	s_or_b64 exec, exec, s[42:43]
.LBB318_274:                            ;   in Loop: Header=BB318_12 Depth=1
	s_or_b64 exec, exec, s[40:41]
.LBB318_275:                            ;   in Loop: Header=BB318_12 Depth=1
	s_or_b64 exec, exec, s[28:29]
	v_cmp_lt_u32_e32 vcc, s46, v8
	s_and_saveexec_b64 s[28:29], vcc
	s_cbranch_execz .LBB318_281
; %bb.276:                              ;   in Loop: Header=BB318_12 Depth=1
	v_lshrrev_b32_e32 v17, 24, v8
	v_cmp_ne_u32_e32 vcc, s44, v17
	v_bfrev_b32_e32 v0, 1
	buffer_store_dword v0, off, s[0:3], s32 offset:388 ; 4-byte Folded Spill
	s_and_saveexec_b64 s[40:41], vcc
	s_cbranch_execz .LBB318_280
; %bb.277:                              ;   in Loop: Header=BB318_12 Depth=1
	v_bfe_u32 v0, v8, 24, 7
	v_cmp_ne_u32_e32 vcc, s45, v0
	v_mov_b32_e32 v1, 0x7f800001
	s_and_saveexec_b64 s[42:43], vcc
	s_cbranch_execz .LBB318_279
; %bb.278:                              ;   in Loop: Header=BB318_12 Depth=1
	v_and_b32_e32 v2, 7, v17
	v_lshrrev_b32_e32 v3, 3, v0
	v_cmp_gt_u32_e32 vcc, 8, v0
	v_ffbh_u32_e32 v0, v2
	v_min_u32_e32 v4, 32, v0
	v_subrev_u32_e32 v0, 28, v4
	v_lshlrev_b64 v[0:1], v0, v[17:18]
	v_sub_u32_e32 v1, 29, v4
	v_and_b32_e32 v0, 7, v0
	v_cndmask_b32_e32 v1, v3, v1, vcc
	v_cndmask_b32_e32 v0, v2, v0, vcc
	v_lshlrev_b32_e32 v2, 24, v17
	v_bfrev_b32_e32 v3, 60
	v_lshlrev_b32_e32 v0, 20, v0
	v_and_b32_e32 v2, 0x80000000, v2
	v_lshl_add_u32 v1, v1, 23, v3
	v_or3_b32 v1, v2, v1, v0
.LBB318_279:                            ;   in Loop: Header=BB318_12 Depth=1
	s_or_b64 exec, exec, s[42:43]
	buffer_store_dword v1, off, s[0:3], s32 offset:388 ; 4-byte Folded Spill
.LBB318_280:                            ;   in Loop: Header=BB318_12 Depth=1
	s_or_b64 exec, exec, s[40:41]
.LBB318_281:                            ;   in Loop: Header=BB318_12 Depth=1
	s_or_b64 exec, exec, s[28:29]
	flat_load_dword v8, v[41:42] offset:2568
	v_mov_b32_e32 v0, 0
	buffer_store_dword v0, off, s[0:3], s32 offset:200 ; 4-byte Folded Spill
	v_mov_b32_e32 v0, 0
	s_waitcnt vmcnt(0) lgkmcnt(0)
	v_cmp_ne_u16_sdwa s[40:41], v8, v0 src0_sel:BYTE_0 src1_sel:DWORD
	v_mov_b32_e32 v0, 0
	buffer_store_dword v0, off, s[0:3], s32 offset:196 ; 4-byte Folded Spill
	s_and_saveexec_b64 s[28:29], s[40:41]
	s_cbranch_execz .LBB318_287
; %bb.282:                              ;   in Loop: Header=BB318_12 Depth=1
	v_cmp_ne_u16_sdwa s[42:43], v8, s44 src0_sel:BYTE_0 src1_sel:DWORD
	v_bfrev_b32_e32 v0, 1
	buffer_store_dword v0, off, s[0:3], s32 offset:196 ; 4-byte Folded Spill
	s_and_saveexec_b64 s[40:41], s[42:43]
	s_cbranch_execz .LBB318_286
; %bb.283:                              ;   in Loop: Header=BB318_12 Depth=1
	v_and_b32_e32 v0, 0x7f, v8
	v_cmp_ne_u32_e32 vcc, s45, v0
	v_mov_b32_e32 v1, 0x7f800001
	buffer_store_dword v1, off, s[0:3], s32 offset:196 ; 4-byte Folded Spill
	s_and_saveexec_b64 s[42:43], vcc
	s_cbranch_execz .LBB318_285
; %bb.284:                              ;   in Loop: Header=BB318_12 Depth=1
	v_and_b32_e32 v2, 7, v8
	v_lshrrev_b32_e32 v3, 3, v0
	v_cmp_gt_u32_e32 vcc, 8, v0
	v_ffbh_u32_e32 v0, v2
	v_min_u32_e32 v4, 32, v0
	v_subrev_u32_e32 v0, 28, v4
	v_lshlrev_b64 v[0:1], v0, v[8:9]
	v_sub_u32_e32 v1, 29, v4
	v_and_b32_e32 v0, 7, v0
	v_cndmask_b32_e32 v1, v3, v1, vcc
	v_cndmask_b32_e32 v0, v2, v0, vcc
	v_lshlrev_b32_e32 v2, 24, v8
	v_bfrev_b32_e32 v3, 60
	v_lshlrev_b32_e32 v0, 20, v0
	v_and_b32_e32 v2, 0x80000000, v2
	v_lshl_add_u32 v1, v1, 23, v3
	v_or3_b32 v0, v2, v1, v0
	buffer_store_dword v0, off, s[0:3], s32 offset:196 ; 4-byte Folded Spill
.LBB318_285:                            ;   in Loop: Header=BB318_12 Depth=1
	s_or_b64 exec, exec, s[42:43]
.LBB318_286:                            ;   in Loop: Header=BB318_12 Depth=1
	s_or_b64 exec, exec, s[40:41]
.LBB318_287:                            ;   in Loop: Header=BB318_12 Depth=1
	s_or_b64 exec, exec, s[28:29]
	v_lshrrev_b16_e32 v17, 8, v8
	v_cmp_ne_u16_e32 vcc, 0, v17
	s_and_saveexec_b64 s[28:29], vcc
	s_cbranch_execz .LBB318_293
; %bb.288:                              ;   in Loop: Header=BB318_12 Depth=1
	v_cmp_ne_u16_e32 vcc, s44, v17
	v_bfrev_b32_e32 v0, 1
	buffer_store_dword v0, off, s[0:3], s32 offset:200 ; 4-byte Folded Spill
	s_and_saveexec_b64 s[40:41], vcc
	s_cbranch_execz .LBB318_292
; %bb.289:                              ;   in Loop: Header=BB318_12 Depth=1
	v_and_b32_e32 v0, 0x7f, v17
	v_cmp_ne_u32_e32 vcc, s45, v0
	v_mov_b32_e32 v1, 0x7f800001
	buffer_store_dword v1, off, s[0:3], s32 offset:200 ; 4-byte Folded Spill
	s_and_saveexec_b64 s[42:43], vcc
	s_cbranch_execz .LBB318_291
; %bb.290:                              ;   in Loop: Header=BB318_12 Depth=1
	v_and_b32_e32 v2, 7, v17
	v_lshrrev_b32_e32 v3, 3, v0
	v_cmp_gt_u32_e32 vcc, 8, v0
	v_ffbh_u32_e32 v0, v2
	v_min_u32_e32 v4, 32, v0
	v_subrev_u32_e32 v0, 28, v4
	v_lshlrev_b64 v[0:1], v0, v[17:18]
	v_sub_u32_e32 v1, 29, v4
	v_and_b32_e32 v0, 7, v0
	v_cndmask_b32_e32 v1, v3, v1, vcc
	v_cndmask_b32_e32 v0, v2, v0, vcc
	v_lshlrev_b32_e32 v2, 16, v8
	v_bfrev_b32_e32 v3, 60
	v_lshlrev_b32_e32 v0, 20, v0
	v_and_b32_e32 v2, 0x80000000, v2
	v_lshl_add_u32 v1, v1, 23, v3
	v_or3_b32 v0, v2, v1, v0
	buffer_store_dword v0, off, s[0:3], s32 offset:200 ; 4-byte Folded Spill
.LBB318_291:                            ;   in Loop: Header=BB318_12 Depth=1
	s_or_b64 exec, exec, s[42:43]
.LBB318_292:                            ;   in Loop: Header=BB318_12 Depth=1
	s_or_b64 exec, exec, s[40:41]
.LBB318_293:                            ;   in Loop: Header=BB318_12 Depth=1
	s_or_b64 exec, exec, s[28:29]
	v_lshrrev_b32_e32 v17, 16, v8
	v_mov_b32_e32 v0, 0
	v_cmp_ne_u16_sdwa s[40:41], v17, v0 src0_sel:BYTE_0 src1_sel:DWORD
	v_mov_b32_e32 v0, 0
	buffer_store_dword v0, off, s[0:3], s32 offset:392 ; 4-byte Folded Spill
	v_mov_b32_e32 v0, 0
	buffer_store_dword v0, off, s[0:3], s32 offset:204 ; 4-byte Folded Spill
	s_and_saveexec_b64 s[28:29], s[40:41]
	s_cbranch_execz .LBB318_299
; %bb.294:                              ;   in Loop: Header=BB318_12 Depth=1
	v_cmp_ne_u16_sdwa s[42:43], v17, s44 src0_sel:BYTE_0 src1_sel:DWORD
	v_bfrev_b32_e32 v0, 1
	buffer_store_dword v0, off, s[0:3], s32 offset:204 ; 4-byte Folded Spill
	s_and_saveexec_b64 s[40:41], s[42:43]
	s_cbranch_execz .LBB318_298
; %bb.295:                              ;   in Loop: Header=BB318_12 Depth=1
	v_bfe_u32 v0, v8, 16, 7
	v_cmp_ne_u32_e32 vcc, s45, v0
	v_mov_b32_e32 v1, 0x7f800001
	buffer_store_dword v1, off, s[0:3], s32 offset:204 ; 4-byte Folded Spill
	s_and_saveexec_b64 s[42:43], vcc
	s_cbranch_execz .LBB318_297
; %bb.296:                              ;   in Loop: Header=BB318_12 Depth=1
	v_and_b32_e32 v2, 7, v17
	v_lshrrev_b32_e32 v3, 3, v0
	v_cmp_gt_u32_e32 vcc, 8, v0
	v_ffbh_u32_e32 v0, v2
	v_min_u32_e32 v4, 32, v0
	v_subrev_u32_e32 v0, 28, v4
	v_lshlrev_b64 v[0:1], v0, v[17:18]
	v_sub_u32_e32 v1, 29, v4
	v_and_b32_e32 v0, 7, v0
	v_cndmask_b32_e32 v1, v3, v1, vcc
	v_cndmask_b32_e32 v0, v2, v0, vcc
	v_lshlrev_b32_e32 v2, 24, v17
	v_bfrev_b32_e32 v3, 60
	v_lshlrev_b32_e32 v0, 20, v0
	v_and_b32_e32 v2, 0x80000000, v2
	v_lshl_add_u32 v1, v1, 23, v3
	v_or3_b32 v0, v2, v1, v0
	buffer_store_dword v0, off, s[0:3], s32 offset:204 ; 4-byte Folded Spill
.LBB318_297:                            ;   in Loop: Header=BB318_12 Depth=1
	s_or_b64 exec, exec, s[42:43]
.LBB318_298:                            ;   in Loop: Header=BB318_12 Depth=1
	s_or_b64 exec, exec, s[40:41]
.LBB318_299:                            ;   in Loop: Header=BB318_12 Depth=1
	s_or_b64 exec, exec, s[28:29]
	v_cmp_lt_u32_e32 vcc, s46, v8
	s_and_saveexec_b64 s[28:29], vcc
	s_cbranch_execz .LBB318_305
; %bb.300:                              ;   in Loop: Header=BB318_12 Depth=1
	v_lshrrev_b32_e32 v17, 24, v8
	v_cmp_ne_u32_e32 vcc, s44, v17
	v_bfrev_b32_e32 v0, 1
	buffer_store_dword v0, off, s[0:3], s32 offset:392 ; 4-byte Folded Spill
	s_and_saveexec_b64 s[40:41], vcc
	s_cbranch_execz .LBB318_304
; %bb.301:                              ;   in Loop: Header=BB318_12 Depth=1
	v_bfe_u32 v0, v8, 24, 7
	v_cmp_ne_u32_e32 vcc, s45, v0
	v_mov_b32_e32 v1, 0x7f800001
	s_and_saveexec_b64 s[42:43], vcc
	s_cbranch_execz .LBB318_303
; %bb.302:                              ;   in Loop: Header=BB318_12 Depth=1
	v_and_b32_e32 v2, 7, v17
	v_lshrrev_b32_e32 v3, 3, v0
	v_cmp_gt_u32_e32 vcc, 8, v0
	v_ffbh_u32_e32 v0, v2
	v_min_u32_e32 v4, 32, v0
	v_subrev_u32_e32 v0, 28, v4
	v_lshlrev_b64 v[0:1], v0, v[17:18]
	v_sub_u32_e32 v1, 29, v4
	v_and_b32_e32 v0, 7, v0
	v_cndmask_b32_e32 v1, v3, v1, vcc
	v_cndmask_b32_e32 v0, v2, v0, vcc
	v_lshlrev_b32_e32 v2, 24, v17
	v_bfrev_b32_e32 v3, 60
	v_lshlrev_b32_e32 v0, 20, v0
	v_and_b32_e32 v2, 0x80000000, v2
	v_lshl_add_u32 v1, v1, 23, v3
	v_or3_b32 v1, v2, v1, v0
.LBB318_303:                            ;   in Loop: Header=BB318_12 Depth=1
	s_or_b64 exec, exec, s[42:43]
	buffer_store_dword v1, off, s[0:3], s32 offset:392 ; 4-byte Folded Spill
.LBB318_304:                            ;   in Loop: Header=BB318_12 Depth=1
	s_or_b64 exec, exec, s[40:41]
.LBB318_305:                            ;   in Loop: Header=BB318_12 Depth=1
	s_or_b64 exec, exec, s[28:29]
	flat_load_dword v8, v[41:42] offset:3072
	v_mov_b32_e32 v0, 0
	buffer_store_dword v0, off, s[0:3], s32 offset:212 ; 4-byte Folded Spill
	v_mov_b32_e32 v0, 0
	s_waitcnt vmcnt(0) lgkmcnt(0)
	v_cmp_ne_u16_sdwa s[40:41], v8, v0 src0_sel:BYTE_0 src1_sel:DWORD
	v_mov_b32_e32 v0, 0
	buffer_store_dword v0, off, s[0:3], s32 offset:208 ; 4-byte Folded Spill
	s_and_saveexec_b64 s[28:29], s[40:41]
	s_cbranch_execz .LBB318_311
; %bb.306:                              ;   in Loop: Header=BB318_12 Depth=1
	v_cmp_ne_u16_sdwa s[42:43], v8, s44 src0_sel:BYTE_0 src1_sel:DWORD
	v_bfrev_b32_e32 v0, 1
	buffer_store_dword v0, off, s[0:3], s32 offset:208 ; 4-byte Folded Spill
	s_and_saveexec_b64 s[40:41], s[42:43]
	s_cbranch_execz .LBB318_310
; %bb.307:                              ;   in Loop: Header=BB318_12 Depth=1
	v_and_b32_e32 v0, 0x7f, v8
	v_cmp_ne_u32_e32 vcc, s45, v0
	v_mov_b32_e32 v1, 0x7f800001
	buffer_store_dword v1, off, s[0:3], s32 offset:208 ; 4-byte Folded Spill
	s_and_saveexec_b64 s[42:43], vcc
	s_cbranch_execz .LBB318_309
; %bb.308:                              ;   in Loop: Header=BB318_12 Depth=1
	v_and_b32_e32 v2, 7, v8
	v_lshrrev_b32_e32 v3, 3, v0
	v_cmp_gt_u32_e32 vcc, 8, v0
	v_ffbh_u32_e32 v0, v2
	v_min_u32_e32 v4, 32, v0
	v_subrev_u32_e32 v0, 28, v4
	v_lshlrev_b64 v[0:1], v0, v[8:9]
	v_sub_u32_e32 v1, 29, v4
	v_and_b32_e32 v0, 7, v0
	v_cndmask_b32_e32 v1, v3, v1, vcc
	v_cndmask_b32_e32 v0, v2, v0, vcc
	v_lshlrev_b32_e32 v2, 24, v8
	v_bfrev_b32_e32 v3, 60
	v_lshlrev_b32_e32 v0, 20, v0
	v_and_b32_e32 v2, 0x80000000, v2
	v_lshl_add_u32 v1, v1, 23, v3
	v_or3_b32 v0, v2, v1, v0
	buffer_store_dword v0, off, s[0:3], s32 offset:208 ; 4-byte Folded Spill
.LBB318_309:                            ;   in Loop: Header=BB318_12 Depth=1
	s_or_b64 exec, exec, s[42:43]
.LBB318_310:                            ;   in Loop: Header=BB318_12 Depth=1
	s_or_b64 exec, exec, s[40:41]
.LBB318_311:                            ;   in Loop: Header=BB318_12 Depth=1
	s_or_b64 exec, exec, s[28:29]
	v_lshrrev_b16_e32 v17, 8, v8
	v_cmp_ne_u16_e32 vcc, 0, v17
	s_and_saveexec_b64 s[28:29], vcc
	s_cbranch_execz .LBB318_317
; %bb.312:                              ;   in Loop: Header=BB318_12 Depth=1
	v_cmp_ne_u16_e32 vcc, s44, v17
	v_bfrev_b32_e32 v0, 1
	buffer_store_dword v0, off, s[0:3], s32 offset:212 ; 4-byte Folded Spill
	s_and_saveexec_b64 s[40:41], vcc
	s_cbranch_execz .LBB318_316
; %bb.313:                              ;   in Loop: Header=BB318_12 Depth=1
	v_and_b32_e32 v0, 0x7f, v17
	v_cmp_ne_u32_e32 vcc, s45, v0
	v_mov_b32_e32 v1, 0x7f800001
	buffer_store_dword v1, off, s[0:3], s32 offset:212 ; 4-byte Folded Spill
	s_and_saveexec_b64 s[42:43], vcc
	s_cbranch_execz .LBB318_315
; %bb.314:                              ;   in Loop: Header=BB318_12 Depth=1
	v_and_b32_e32 v2, 7, v17
	v_lshrrev_b32_e32 v3, 3, v0
	v_cmp_gt_u32_e32 vcc, 8, v0
	v_ffbh_u32_e32 v0, v2
	v_min_u32_e32 v4, 32, v0
	v_subrev_u32_e32 v0, 28, v4
	v_lshlrev_b64 v[0:1], v0, v[17:18]
	v_sub_u32_e32 v1, 29, v4
	v_and_b32_e32 v0, 7, v0
	v_cndmask_b32_e32 v1, v3, v1, vcc
	v_cndmask_b32_e32 v0, v2, v0, vcc
	v_lshlrev_b32_e32 v2, 16, v8
	v_bfrev_b32_e32 v3, 60
	v_lshlrev_b32_e32 v0, 20, v0
	v_and_b32_e32 v2, 0x80000000, v2
	v_lshl_add_u32 v1, v1, 23, v3
	v_or3_b32 v0, v2, v1, v0
	buffer_store_dword v0, off, s[0:3], s32 offset:212 ; 4-byte Folded Spill
.LBB318_315:                            ;   in Loop: Header=BB318_12 Depth=1
	s_or_b64 exec, exec, s[42:43]
.LBB318_316:                            ;   in Loop: Header=BB318_12 Depth=1
	s_or_b64 exec, exec, s[40:41]
.LBB318_317:                            ;   in Loop: Header=BB318_12 Depth=1
	s_or_b64 exec, exec, s[28:29]
	v_lshrrev_b32_e32 v17, 16, v8
	v_mov_b32_e32 v0, 0
	v_cmp_ne_u16_sdwa s[40:41], v17, v0 src0_sel:BYTE_0 src1_sel:DWORD
	v_mov_b32_e32 v0, 0
	buffer_store_dword v0, off, s[0:3], s32 offset:396 ; 4-byte Folded Spill
	v_mov_b32_e32 v0, 0
	buffer_store_dword v0, off, s[0:3], s32 offset:216 ; 4-byte Folded Spill
	s_and_saveexec_b64 s[28:29], s[40:41]
	s_cbranch_execz .LBB318_323
; %bb.318:                              ;   in Loop: Header=BB318_12 Depth=1
	v_cmp_ne_u16_sdwa s[42:43], v17, s44 src0_sel:BYTE_0 src1_sel:DWORD
	v_bfrev_b32_e32 v0, 1
	buffer_store_dword v0, off, s[0:3], s32 offset:216 ; 4-byte Folded Spill
	s_and_saveexec_b64 s[40:41], s[42:43]
	s_cbranch_execz .LBB318_322
; %bb.319:                              ;   in Loop: Header=BB318_12 Depth=1
	v_bfe_u32 v0, v8, 16, 7
	v_cmp_ne_u32_e32 vcc, s45, v0
	v_mov_b32_e32 v1, 0x7f800001
	buffer_store_dword v1, off, s[0:3], s32 offset:216 ; 4-byte Folded Spill
	s_and_saveexec_b64 s[42:43], vcc
	s_cbranch_execz .LBB318_321
; %bb.320:                              ;   in Loop: Header=BB318_12 Depth=1
	v_and_b32_e32 v2, 7, v17
	v_lshrrev_b32_e32 v3, 3, v0
	v_cmp_gt_u32_e32 vcc, 8, v0
	v_ffbh_u32_e32 v0, v2
	v_min_u32_e32 v4, 32, v0
	v_subrev_u32_e32 v0, 28, v4
	v_lshlrev_b64 v[0:1], v0, v[17:18]
	v_sub_u32_e32 v1, 29, v4
	v_and_b32_e32 v0, 7, v0
	v_cndmask_b32_e32 v1, v3, v1, vcc
	v_cndmask_b32_e32 v0, v2, v0, vcc
	v_lshlrev_b32_e32 v2, 24, v17
	v_bfrev_b32_e32 v3, 60
	v_lshlrev_b32_e32 v0, 20, v0
	v_and_b32_e32 v2, 0x80000000, v2
	v_lshl_add_u32 v1, v1, 23, v3
	v_or3_b32 v0, v2, v1, v0
	buffer_store_dword v0, off, s[0:3], s32 offset:216 ; 4-byte Folded Spill
.LBB318_321:                            ;   in Loop: Header=BB318_12 Depth=1
	s_or_b64 exec, exec, s[42:43]
.LBB318_322:                            ;   in Loop: Header=BB318_12 Depth=1
	s_or_b64 exec, exec, s[40:41]
.LBB318_323:                            ;   in Loop: Header=BB318_12 Depth=1
	s_or_b64 exec, exec, s[28:29]
	v_cmp_lt_u32_e32 vcc, s46, v8
	s_and_saveexec_b64 s[28:29], vcc
	s_cbranch_execz .LBB318_329
; %bb.324:                              ;   in Loop: Header=BB318_12 Depth=1
	v_lshrrev_b32_e32 v17, 24, v8
	v_cmp_ne_u32_e32 vcc, s44, v17
	v_bfrev_b32_e32 v0, 1
	buffer_store_dword v0, off, s[0:3], s32 offset:396 ; 4-byte Folded Spill
	s_and_saveexec_b64 s[40:41], vcc
	s_cbranch_execz .LBB318_328
; %bb.325:                              ;   in Loop: Header=BB318_12 Depth=1
	v_bfe_u32 v0, v8, 24, 7
	v_cmp_ne_u32_e32 vcc, s45, v0
	v_mov_b32_e32 v1, 0x7f800001
	s_and_saveexec_b64 s[42:43], vcc
	s_cbranch_execz .LBB318_327
; %bb.326:                              ;   in Loop: Header=BB318_12 Depth=1
	v_and_b32_e32 v2, 7, v17
	v_lshrrev_b32_e32 v3, 3, v0
	v_cmp_gt_u32_e32 vcc, 8, v0
	v_ffbh_u32_e32 v0, v2
	v_min_u32_e32 v4, 32, v0
	v_subrev_u32_e32 v0, 28, v4
	v_lshlrev_b64 v[0:1], v0, v[17:18]
	v_sub_u32_e32 v1, 29, v4
	v_and_b32_e32 v0, 7, v0
	v_cndmask_b32_e32 v1, v3, v1, vcc
	v_cndmask_b32_e32 v0, v2, v0, vcc
	v_lshlrev_b32_e32 v2, 24, v17
	v_bfrev_b32_e32 v3, 60
	v_lshlrev_b32_e32 v0, 20, v0
	v_and_b32_e32 v2, 0x80000000, v2
	v_lshl_add_u32 v1, v1, 23, v3
	v_or3_b32 v1, v2, v1, v0
.LBB318_327:                            ;   in Loop: Header=BB318_12 Depth=1
	s_or_b64 exec, exec, s[42:43]
	buffer_store_dword v1, off, s[0:3], s32 offset:396 ; 4-byte Folded Spill
.LBB318_328:                            ;   in Loop: Header=BB318_12 Depth=1
	s_or_b64 exec, exec, s[40:41]
.LBB318_329:                            ;   in Loop: Header=BB318_12 Depth=1
	s_or_b64 exec, exec, s[28:29]
	flat_load_dword v8, v[41:42] offset:3080
	v_mov_b32_e32 v0, 0
	buffer_store_dword v0, off, s[0:3], s32 offset:224 ; 4-byte Folded Spill
	v_mov_b32_e32 v0, 0
	s_waitcnt vmcnt(0) lgkmcnt(0)
	v_cmp_ne_u16_sdwa s[40:41], v8, v0 src0_sel:BYTE_0 src1_sel:DWORD
	v_mov_b32_e32 v0, 0
	buffer_store_dword v0, off, s[0:3], s32 offset:220 ; 4-byte Folded Spill
	s_and_saveexec_b64 s[28:29], s[40:41]
	s_cbranch_execz .LBB318_335
; %bb.330:                              ;   in Loop: Header=BB318_12 Depth=1
	v_cmp_ne_u16_sdwa s[42:43], v8, s44 src0_sel:BYTE_0 src1_sel:DWORD
	v_bfrev_b32_e32 v0, 1
	buffer_store_dword v0, off, s[0:3], s32 offset:220 ; 4-byte Folded Spill
	s_and_saveexec_b64 s[40:41], s[42:43]
	s_cbranch_execz .LBB318_334
; %bb.331:                              ;   in Loop: Header=BB318_12 Depth=1
	v_and_b32_e32 v0, 0x7f, v8
	v_cmp_ne_u32_e32 vcc, s45, v0
	v_mov_b32_e32 v1, 0x7f800001
	buffer_store_dword v1, off, s[0:3], s32 offset:220 ; 4-byte Folded Spill
	s_and_saveexec_b64 s[42:43], vcc
	s_cbranch_execz .LBB318_333
; %bb.332:                              ;   in Loop: Header=BB318_12 Depth=1
	v_and_b32_e32 v2, 7, v8
	v_lshrrev_b32_e32 v3, 3, v0
	v_cmp_gt_u32_e32 vcc, 8, v0
	v_ffbh_u32_e32 v0, v2
	v_min_u32_e32 v4, 32, v0
	v_subrev_u32_e32 v0, 28, v4
	v_lshlrev_b64 v[0:1], v0, v[8:9]
	v_sub_u32_e32 v1, 29, v4
	v_and_b32_e32 v0, 7, v0
	v_cndmask_b32_e32 v1, v3, v1, vcc
	v_cndmask_b32_e32 v0, v2, v0, vcc
	v_lshlrev_b32_e32 v2, 24, v8
	v_bfrev_b32_e32 v3, 60
	v_lshlrev_b32_e32 v0, 20, v0
	v_and_b32_e32 v2, 0x80000000, v2
	v_lshl_add_u32 v1, v1, 23, v3
	v_or3_b32 v0, v2, v1, v0
	buffer_store_dword v0, off, s[0:3], s32 offset:220 ; 4-byte Folded Spill
.LBB318_333:                            ;   in Loop: Header=BB318_12 Depth=1
	s_or_b64 exec, exec, s[42:43]
.LBB318_334:                            ;   in Loop: Header=BB318_12 Depth=1
	s_or_b64 exec, exec, s[40:41]
.LBB318_335:                            ;   in Loop: Header=BB318_12 Depth=1
	s_or_b64 exec, exec, s[28:29]
	v_lshrrev_b16_e32 v17, 8, v8
	v_cmp_ne_u16_e32 vcc, 0, v17
	s_and_saveexec_b64 s[28:29], vcc
	s_cbranch_execz .LBB318_341
; %bb.336:                              ;   in Loop: Header=BB318_12 Depth=1
	v_cmp_ne_u16_e32 vcc, s44, v17
	v_bfrev_b32_e32 v0, 1
	buffer_store_dword v0, off, s[0:3], s32 offset:224 ; 4-byte Folded Spill
	s_and_saveexec_b64 s[40:41], vcc
	s_cbranch_execz .LBB318_340
; %bb.337:                              ;   in Loop: Header=BB318_12 Depth=1
	v_and_b32_e32 v0, 0x7f, v17
	v_cmp_ne_u32_e32 vcc, s45, v0
	v_mov_b32_e32 v1, 0x7f800001
	buffer_store_dword v1, off, s[0:3], s32 offset:224 ; 4-byte Folded Spill
	s_and_saveexec_b64 s[42:43], vcc
	s_cbranch_execz .LBB318_339
; %bb.338:                              ;   in Loop: Header=BB318_12 Depth=1
	v_and_b32_e32 v2, 7, v17
	v_lshrrev_b32_e32 v3, 3, v0
	v_cmp_gt_u32_e32 vcc, 8, v0
	v_ffbh_u32_e32 v0, v2
	v_min_u32_e32 v4, 32, v0
	v_subrev_u32_e32 v0, 28, v4
	v_lshlrev_b64 v[0:1], v0, v[17:18]
	v_sub_u32_e32 v1, 29, v4
	v_and_b32_e32 v0, 7, v0
	v_cndmask_b32_e32 v1, v3, v1, vcc
	v_cndmask_b32_e32 v0, v2, v0, vcc
	v_lshlrev_b32_e32 v2, 16, v8
	v_bfrev_b32_e32 v3, 60
	v_lshlrev_b32_e32 v0, 20, v0
	v_and_b32_e32 v2, 0x80000000, v2
	v_lshl_add_u32 v1, v1, 23, v3
	v_or3_b32 v0, v2, v1, v0
	buffer_store_dword v0, off, s[0:3], s32 offset:224 ; 4-byte Folded Spill
.LBB318_339:                            ;   in Loop: Header=BB318_12 Depth=1
	s_or_b64 exec, exec, s[42:43]
.LBB318_340:                            ;   in Loop: Header=BB318_12 Depth=1
	s_or_b64 exec, exec, s[40:41]
.LBB318_341:                            ;   in Loop: Header=BB318_12 Depth=1
	s_or_b64 exec, exec, s[28:29]
	v_lshrrev_b32_e32 v17, 16, v8
	v_mov_b32_e32 v0, 0
	v_cmp_ne_u16_sdwa s[40:41], v17, v0 src0_sel:BYTE_0 src1_sel:DWORD
	v_mov_b32_e32 v0, 0
	buffer_store_dword v0, off, s[0:3], s32 offset:400 ; 4-byte Folded Spill
	v_mov_b32_e32 v0, 0
	buffer_store_dword v0, off, s[0:3], s32 offset:228 ; 4-byte Folded Spill
	s_and_saveexec_b64 s[28:29], s[40:41]
	s_cbranch_execz .LBB318_347
; %bb.342:                              ;   in Loop: Header=BB318_12 Depth=1
	v_cmp_ne_u16_sdwa s[42:43], v17, s44 src0_sel:BYTE_0 src1_sel:DWORD
	v_bfrev_b32_e32 v0, 1
	buffer_store_dword v0, off, s[0:3], s32 offset:228 ; 4-byte Folded Spill
	s_and_saveexec_b64 s[40:41], s[42:43]
	s_cbranch_execz .LBB318_346
; %bb.343:                              ;   in Loop: Header=BB318_12 Depth=1
	v_bfe_u32 v0, v8, 16, 7
	v_cmp_ne_u32_e32 vcc, s45, v0
	v_mov_b32_e32 v1, 0x7f800001
	buffer_store_dword v1, off, s[0:3], s32 offset:228 ; 4-byte Folded Spill
	s_and_saveexec_b64 s[42:43], vcc
	s_cbranch_execz .LBB318_345
; %bb.344:                              ;   in Loop: Header=BB318_12 Depth=1
	v_and_b32_e32 v2, 7, v17
	v_lshrrev_b32_e32 v3, 3, v0
	v_cmp_gt_u32_e32 vcc, 8, v0
	v_ffbh_u32_e32 v0, v2
	v_min_u32_e32 v4, 32, v0
	v_subrev_u32_e32 v0, 28, v4
	v_lshlrev_b64 v[0:1], v0, v[17:18]
	v_sub_u32_e32 v1, 29, v4
	v_and_b32_e32 v0, 7, v0
	v_cndmask_b32_e32 v1, v3, v1, vcc
	v_cndmask_b32_e32 v0, v2, v0, vcc
	v_lshlrev_b32_e32 v2, 24, v17
	v_bfrev_b32_e32 v3, 60
	v_lshlrev_b32_e32 v0, 20, v0
	v_and_b32_e32 v2, 0x80000000, v2
	v_lshl_add_u32 v1, v1, 23, v3
	v_or3_b32 v0, v2, v1, v0
	buffer_store_dword v0, off, s[0:3], s32 offset:228 ; 4-byte Folded Spill
.LBB318_345:                            ;   in Loop: Header=BB318_12 Depth=1
	s_or_b64 exec, exec, s[42:43]
.LBB318_346:                            ;   in Loop: Header=BB318_12 Depth=1
	s_or_b64 exec, exec, s[40:41]
.LBB318_347:                            ;   in Loop: Header=BB318_12 Depth=1
	s_or_b64 exec, exec, s[28:29]
	v_cmp_lt_u32_e32 vcc, s46, v8
	s_and_saveexec_b64 s[28:29], vcc
	s_cbranch_execz .LBB318_353
; %bb.348:                              ;   in Loop: Header=BB318_12 Depth=1
	v_lshrrev_b32_e32 v17, 24, v8
	v_cmp_ne_u32_e32 vcc, s44, v17
	v_bfrev_b32_e32 v0, 1
	buffer_store_dword v0, off, s[0:3], s32 offset:400 ; 4-byte Folded Spill
	s_and_saveexec_b64 s[40:41], vcc
	s_cbranch_execz .LBB318_352
; %bb.349:                              ;   in Loop: Header=BB318_12 Depth=1
	v_bfe_u32 v0, v8, 24, 7
	v_cmp_ne_u32_e32 vcc, s45, v0
	v_mov_b32_e32 v1, 0x7f800001
	s_and_saveexec_b64 s[42:43], vcc
	s_cbranch_execz .LBB318_351
; %bb.350:                              ;   in Loop: Header=BB318_12 Depth=1
	v_and_b32_e32 v2, 7, v17
	v_lshrrev_b32_e32 v3, 3, v0
	v_cmp_gt_u32_e32 vcc, 8, v0
	v_ffbh_u32_e32 v0, v2
	v_min_u32_e32 v4, 32, v0
	v_subrev_u32_e32 v0, 28, v4
	v_lshlrev_b64 v[0:1], v0, v[17:18]
	v_sub_u32_e32 v1, 29, v4
	v_and_b32_e32 v0, 7, v0
	v_cndmask_b32_e32 v1, v3, v1, vcc
	v_cndmask_b32_e32 v0, v2, v0, vcc
	v_lshlrev_b32_e32 v2, 24, v17
	v_bfrev_b32_e32 v3, 60
	v_lshlrev_b32_e32 v0, 20, v0
	v_and_b32_e32 v2, 0x80000000, v2
	v_lshl_add_u32 v1, v1, 23, v3
	v_or3_b32 v1, v2, v1, v0
.LBB318_351:                            ;   in Loop: Header=BB318_12 Depth=1
	s_or_b64 exec, exec, s[42:43]
	buffer_store_dword v1, off, s[0:3], s32 offset:400 ; 4-byte Folded Spill
.LBB318_352:                            ;   in Loop: Header=BB318_12 Depth=1
	s_or_b64 exec, exec, s[40:41]
.LBB318_353:                            ;   in Loop: Header=BB318_12 Depth=1
	s_or_b64 exec, exec, s[28:29]
	flat_load_dword v8, v[41:42] offset:3584
	v_mov_b32_e32 v0, 0
	buffer_store_dword v0, off, s[0:3], s32 offset:236 ; 4-byte Folded Spill
	v_mov_b32_e32 v0, 0
	s_waitcnt vmcnt(0) lgkmcnt(0)
	v_cmp_ne_u16_sdwa s[40:41], v8, v0 src0_sel:BYTE_0 src1_sel:DWORD
	v_mov_b32_e32 v0, 0
	buffer_store_dword v0, off, s[0:3], s32 offset:232 ; 4-byte Folded Spill
	s_and_saveexec_b64 s[28:29], s[40:41]
	s_cbranch_execz .LBB318_359
; %bb.354:                              ;   in Loop: Header=BB318_12 Depth=1
	v_cmp_ne_u16_sdwa s[42:43], v8, s44 src0_sel:BYTE_0 src1_sel:DWORD
	v_bfrev_b32_e32 v0, 1
	buffer_store_dword v0, off, s[0:3], s32 offset:232 ; 4-byte Folded Spill
	s_and_saveexec_b64 s[40:41], s[42:43]
	s_cbranch_execz .LBB318_358
; %bb.355:                              ;   in Loop: Header=BB318_12 Depth=1
	v_and_b32_e32 v0, 0x7f, v8
	v_cmp_ne_u32_e32 vcc, s45, v0
	v_mov_b32_e32 v1, 0x7f800001
	buffer_store_dword v1, off, s[0:3], s32 offset:232 ; 4-byte Folded Spill
	s_and_saveexec_b64 s[42:43], vcc
	s_cbranch_execz .LBB318_357
; %bb.356:                              ;   in Loop: Header=BB318_12 Depth=1
	v_and_b32_e32 v2, 7, v8
	v_lshrrev_b32_e32 v3, 3, v0
	v_cmp_gt_u32_e32 vcc, 8, v0
	v_ffbh_u32_e32 v0, v2
	v_min_u32_e32 v4, 32, v0
	v_subrev_u32_e32 v0, 28, v4
	v_lshlrev_b64 v[0:1], v0, v[8:9]
	v_sub_u32_e32 v1, 29, v4
	v_and_b32_e32 v0, 7, v0
	v_cndmask_b32_e32 v1, v3, v1, vcc
	v_cndmask_b32_e32 v0, v2, v0, vcc
	v_lshlrev_b32_e32 v2, 24, v8
	v_bfrev_b32_e32 v3, 60
	v_lshlrev_b32_e32 v0, 20, v0
	v_and_b32_e32 v2, 0x80000000, v2
	v_lshl_add_u32 v1, v1, 23, v3
	v_or3_b32 v0, v2, v1, v0
	buffer_store_dword v0, off, s[0:3], s32 offset:232 ; 4-byte Folded Spill
.LBB318_357:                            ;   in Loop: Header=BB318_12 Depth=1
	s_or_b64 exec, exec, s[42:43]
.LBB318_358:                            ;   in Loop: Header=BB318_12 Depth=1
	s_or_b64 exec, exec, s[40:41]
.LBB318_359:                            ;   in Loop: Header=BB318_12 Depth=1
	s_or_b64 exec, exec, s[28:29]
	v_lshrrev_b16_e32 v17, 8, v8
	v_cmp_ne_u16_e32 vcc, 0, v17
	s_and_saveexec_b64 s[28:29], vcc
	s_cbranch_execz .LBB318_365
; %bb.360:                              ;   in Loop: Header=BB318_12 Depth=1
	v_cmp_ne_u16_e32 vcc, s44, v17
	v_bfrev_b32_e32 v0, 1
	buffer_store_dword v0, off, s[0:3], s32 offset:236 ; 4-byte Folded Spill
	s_and_saveexec_b64 s[40:41], vcc
	s_cbranch_execz .LBB318_364
; %bb.361:                              ;   in Loop: Header=BB318_12 Depth=1
	v_and_b32_e32 v0, 0x7f, v17
	v_cmp_ne_u32_e32 vcc, s45, v0
	v_mov_b32_e32 v1, 0x7f800001
	buffer_store_dword v1, off, s[0:3], s32 offset:236 ; 4-byte Folded Spill
	s_and_saveexec_b64 s[42:43], vcc
	s_cbranch_execz .LBB318_363
; %bb.362:                              ;   in Loop: Header=BB318_12 Depth=1
	v_and_b32_e32 v2, 7, v17
	v_lshrrev_b32_e32 v3, 3, v0
	v_cmp_gt_u32_e32 vcc, 8, v0
	v_ffbh_u32_e32 v0, v2
	v_min_u32_e32 v4, 32, v0
	v_subrev_u32_e32 v0, 28, v4
	v_lshlrev_b64 v[0:1], v0, v[17:18]
	v_sub_u32_e32 v1, 29, v4
	v_and_b32_e32 v0, 7, v0
	v_cndmask_b32_e32 v1, v3, v1, vcc
	v_cndmask_b32_e32 v0, v2, v0, vcc
	v_lshlrev_b32_e32 v2, 16, v8
	v_bfrev_b32_e32 v3, 60
	v_lshlrev_b32_e32 v0, 20, v0
	v_and_b32_e32 v2, 0x80000000, v2
	v_lshl_add_u32 v1, v1, 23, v3
	v_or3_b32 v0, v2, v1, v0
	buffer_store_dword v0, off, s[0:3], s32 offset:236 ; 4-byte Folded Spill
.LBB318_363:                            ;   in Loop: Header=BB318_12 Depth=1
	s_or_b64 exec, exec, s[42:43]
.LBB318_364:                            ;   in Loop: Header=BB318_12 Depth=1
	s_or_b64 exec, exec, s[40:41]
.LBB318_365:                            ;   in Loop: Header=BB318_12 Depth=1
	s_or_b64 exec, exec, s[28:29]
	v_lshrrev_b32_e32 v17, 16, v8
	v_mov_b32_e32 v0, 0
	v_cmp_ne_u16_sdwa s[40:41], v17, v0 src0_sel:BYTE_0 src1_sel:DWORD
	v_mov_b32_e32 v0, 0
	buffer_store_dword v0, off, s[0:3], s32 offset:404 ; 4-byte Folded Spill
	v_mov_b32_e32 v0, 0
	buffer_store_dword v0, off, s[0:3], s32 offset:240 ; 4-byte Folded Spill
	s_and_saveexec_b64 s[28:29], s[40:41]
	s_cbranch_execz .LBB318_371
; %bb.366:                              ;   in Loop: Header=BB318_12 Depth=1
	v_cmp_ne_u16_sdwa s[42:43], v17, s44 src0_sel:BYTE_0 src1_sel:DWORD
	v_bfrev_b32_e32 v0, 1
	buffer_store_dword v0, off, s[0:3], s32 offset:240 ; 4-byte Folded Spill
	s_and_saveexec_b64 s[40:41], s[42:43]
	s_cbranch_execz .LBB318_370
; %bb.367:                              ;   in Loop: Header=BB318_12 Depth=1
	v_bfe_u32 v0, v8, 16, 7
	v_cmp_ne_u32_e32 vcc, s45, v0
	v_mov_b32_e32 v1, 0x7f800001
	buffer_store_dword v1, off, s[0:3], s32 offset:240 ; 4-byte Folded Spill
	s_and_saveexec_b64 s[42:43], vcc
	s_cbranch_execz .LBB318_369
; %bb.368:                              ;   in Loop: Header=BB318_12 Depth=1
	v_and_b32_e32 v2, 7, v17
	v_lshrrev_b32_e32 v3, 3, v0
	v_cmp_gt_u32_e32 vcc, 8, v0
	v_ffbh_u32_e32 v0, v2
	v_min_u32_e32 v4, 32, v0
	v_subrev_u32_e32 v0, 28, v4
	v_lshlrev_b64 v[0:1], v0, v[17:18]
	v_sub_u32_e32 v1, 29, v4
	v_and_b32_e32 v0, 7, v0
	v_cndmask_b32_e32 v1, v3, v1, vcc
	v_cndmask_b32_e32 v0, v2, v0, vcc
	v_lshlrev_b32_e32 v2, 24, v17
	v_bfrev_b32_e32 v3, 60
	v_lshlrev_b32_e32 v0, 20, v0
	v_and_b32_e32 v2, 0x80000000, v2
	v_lshl_add_u32 v1, v1, 23, v3
	v_or3_b32 v0, v2, v1, v0
	buffer_store_dword v0, off, s[0:3], s32 offset:240 ; 4-byte Folded Spill
.LBB318_369:                            ;   in Loop: Header=BB318_12 Depth=1
	s_or_b64 exec, exec, s[42:43]
.LBB318_370:                            ;   in Loop: Header=BB318_12 Depth=1
	s_or_b64 exec, exec, s[40:41]
.LBB318_371:                            ;   in Loop: Header=BB318_12 Depth=1
	s_or_b64 exec, exec, s[28:29]
	v_cmp_lt_u32_e32 vcc, s46, v8
	s_and_saveexec_b64 s[28:29], vcc
	s_cbranch_execz .LBB318_377
; %bb.372:                              ;   in Loop: Header=BB318_12 Depth=1
	v_lshrrev_b32_e32 v17, 24, v8
	v_cmp_ne_u32_e32 vcc, s44, v17
	v_bfrev_b32_e32 v0, 1
	buffer_store_dword v0, off, s[0:3], s32 offset:404 ; 4-byte Folded Spill
	s_and_saveexec_b64 s[40:41], vcc
	s_cbranch_execz .LBB318_376
; %bb.373:                              ;   in Loop: Header=BB318_12 Depth=1
	v_bfe_u32 v0, v8, 24, 7
	v_cmp_ne_u32_e32 vcc, s45, v0
	v_mov_b32_e32 v1, 0x7f800001
	s_and_saveexec_b64 s[42:43], vcc
	s_cbranch_execz .LBB318_375
; %bb.374:                              ;   in Loop: Header=BB318_12 Depth=1
	v_and_b32_e32 v2, 7, v17
	v_lshrrev_b32_e32 v3, 3, v0
	v_cmp_gt_u32_e32 vcc, 8, v0
	v_ffbh_u32_e32 v0, v2
	v_min_u32_e32 v4, 32, v0
	v_subrev_u32_e32 v0, 28, v4
	v_lshlrev_b64 v[0:1], v0, v[17:18]
	v_sub_u32_e32 v1, 29, v4
	v_and_b32_e32 v0, 7, v0
	v_cndmask_b32_e32 v1, v3, v1, vcc
	v_cndmask_b32_e32 v0, v2, v0, vcc
	v_lshlrev_b32_e32 v2, 24, v17
	v_bfrev_b32_e32 v3, 60
	v_lshlrev_b32_e32 v0, 20, v0
	v_and_b32_e32 v2, 0x80000000, v2
	v_lshl_add_u32 v1, v1, 23, v3
	v_or3_b32 v1, v2, v1, v0
.LBB318_375:                            ;   in Loop: Header=BB318_12 Depth=1
	s_or_b64 exec, exec, s[42:43]
	buffer_store_dword v1, off, s[0:3], s32 offset:404 ; 4-byte Folded Spill
.LBB318_376:                            ;   in Loop: Header=BB318_12 Depth=1
	s_or_b64 exec, exec, s[40:41]
.LBB318_377:                            ;   in Loop: Header=BB318_12 Depth=1
	s_or_b64 exec, exec, s[28:29]
	flat_load_dword v8, v[41:42] offset:3592
	v_mov_b32_e32 v0, 0
	v_mov_b32_e32 v6, 0
	;; [unrolled: 1-line block ×3, first 2 shown]
	s_waitcnt vmcnt(0) lgkmcnt(0)
	v_cmp_ne_u16_sdwa s[40:41], v8, v0 src0_sel:BYTE_0 src1_sel:DWORD
	s_and_saveexec_b64 s[28:29], s[40:41]
	s_cbranch_execz .LBB318_383
; %bb.378:                              ;   in Loop: Header=BB318_12 Depth=1
	v_cmp_ne_u16_sdwa s[42:43], v8, s44 src0_sel:BYTE_0 src1_sel:DWORD
	v_bfrev_b32_e32 v42, 1
	s_and_saveexec_b64 s[40:41], s[42:43]
	s_cbranch_execz .LBB318_382
; %bb.379:                              ;   in Loop: Header=BB318_12 Depth=1
	v_and_b32_e32 v0, 0x7f, v8
	v_cmp_ne_u32_e32 vcc, s45, v0
	v_mov_b32_e32 v42, 0x7f800001
	s_and_saveexec_b64 s[42:43], vcc
	s_cbranch_execz .LBB318_381
; %bb.380:                              ;   in Loop: Header=BB318_12 Depth=1
	v_and_b32_e32 v2, 7, v8
	v_lshrrev_b32_e32 v3, 3, v0
	v_cmp_gt_u32_e32 vcc, 8, v0
	v_ffbh_u32_e32 v0, v2
	v_min_u32_e32 v4, 32, v0
	v_subrev_u32_e32 v0, 28, v4
	v_lshlrev_b64 v[0:1], v0, v[8:9]
	v_sub_u32_e32 v1, 29, v4
	v_and_b32_e32 v0, 7, v0
	v_cndmask_b32_e32 v1, v3, v1, vcc
	v_cndmask_b32_e32 v0, v2, v0, vcc
	v_lshlrev_b32_e32 v2, 24, v8
	v_bfrev_b32_e32 v3, 60
	v_lshlrev_b32_e32 v0, 20, v0
	v_and_b32_e32 v2, 0x80000000, v2
	v_lshl_add_u32 v1, v1, 23, v3
	v_or3_b32 v42, v2, v1, v0
.LBB318_381:                            ;   in Loop: Header=BB318_12 Depth=1
	s_or_b64 exec, exec, s[42:43]
.LBB318_382:                            ;   in Loop: Header=BB318_12 Depth=1
	s_or_b64 exec, exec, s[40:41]
.LBB318_383:                            ;   in Loop: Header=BB318_12 Depth=1
	s_or_b64 exec, exec, s[28:29]
	v_lshrrev_b16_e32 v17, 8, v8
	v_cmp_ne_u16_e32 vcc, 0, v17
	s_and_saveexec_b64 s[28:29], vcc
	s_cbranch_execz .LBB318_389
; %bb.384:                              ;   in Loop: Header=BB318_12 Depth=1
	v_cmp_ne_u16_e32 vcc, s44, v17
	v_bfrev_b32_e32 v6, 1
	s_and_saveexec_b64 s[40:41], vcc
	s_cbranch_execz .LBB318_388
; %bb.385:                              ;   in Loop: Header=BB318_12 Depth=1
	v_and_b32_e32 v0, 0x7f, v17
	v_cmp_ne_u32_e32 vcc, s45, v0
	v_mov_b32_e32 v6, 0x7f800001
	s_and_saveexec_b64 s[42:43], vcc
	s_cbranch_execz .LBB318_387
; %bb.386:                              ;   in Loop: Header=BB318_12 Depth=1
	v_and_b32_e32 v2, 7, v17
	v_lshrrev_b32_e32 v3, 3, v0
	v_cmp_gt_u32_e32 vcc, 8, v0
	v_ffbh_u32_e32 v0, v2
	v_min_u32_e32 v4, 32, v0
	v_subrev_u32_e32 v0, 28, v4
	v_lshlrev_b64 v[0:1], v0, v[17:18]
	v_sub_u32_e32 v1, 29, v4
	v_and_b32_e32 v0, 7, v0
	v_cndmask_b32_e32 v1, v3, v1, vcc
	v_cndmask_b32_e32 v0, v2, v0, vcc
	v_lshlrev_b32_e32 v2, 16, v8
	v_bfrev_b32_e32 v3, 60
	v_lshlrev_b32_e32 v0, 20, v0
	v_and_b32_e32 v2, 0x80000000, v2
	v_lshl_add_u32 v1, v1, 23, v3
	v_or3_b32 v6, v2, v1, v0
.LBB318_387:                            ;   in Loop: Header=BB318_12 Depth=1
	s_or_b64 exec, exec, s[42:43]
.LBB318_388:                            ;   in Loop: Header=BB318_12 Depth=1
	s_or_b64 exec, exec, s[40:41]
.LBB318_389:                            ;   in Loop: Header=BB318_12 Depth=1
	s_or_b64 exec, exec, s[28:29]
	v_lshrrev_b32_e32 v17, 16, v8
	v_mov_b32_e32 v0, 0
	v_cmp_ne_u16_sdwa s[40:41], v17, v0 src0_sel:BYTE_0 src1_sel:DWORD
	v_mov_b32_e32 v18, 0
	v_mov_b32_e32 v25, 0
	s_and_saveexec_b64 s[28:29], s[40:41]
	s_cbranch_execz .LBB318_395
; %bb.390:                              ;   in Loop: Header=BB318_12 Depth=1
	v_cmp_ne_u16_sdwa s[42:43], v17, s44 src0_sel:BYTE_0 src1_sel:DWORD
	v_bfrev_b32_e32 v25, 1
	s_and_saveexec_b64 s[40:41], s[42:43]
	s_cbranch_execz .LBB318_394
; %bb.391:                              ;   in Loop: Header=BB318_12 Depth=1
	v_bfe_u32 v0, v8, 16, 7
	v_cmp_ne_u32_e32 vcc, s45, v0
	v_mov_b32_e32 v25, 0x7f800001
	s_and_saveexec_b64 s[42:43], vcc
	s_cbranch_execz .LBB318_393
; %bb.392:                              ;   in Loop: Header=BB318_12 Depth=1
	v_and_b32_e32 v2, 7, v17
	v_lshrrev_b32_e32 v3, 3, v0
	v_cmp_gt_u32_e32 vcc, 8, v0
	v_ffbh_u32_e32 v0, v2
	v_min_u32_e32 v4, 32, v0
	v_subrev_u32_e32 v0, 28, v4
	v_lshlrev_b64 v[0:1], v0, v[17:18]
	v_sub_u32_e32 v1, 29, v4
	v_and_b32_e32 v0, 7, v0
	v_cndmask_b32_e32 v1, v3, v1, vcc
	v_cndmask_b32_e32 v0, v2, v0, vcc
	v_lshlrev_b32_e32 v2, 24, v17
	v_bfrev_b32_e32 v3, 60
	v_lshlrev_b32_e32 v0, 20, v0
	v_and_b32_e32 v2, 0x80000000, v2
	v_lshl_add_u32 v1, v1, 23, v3
	v_or3_b32 v25, v2, v1, v0
.LBB318_393:                            ;   in Loop: Header=BB318_12 Depth=1
	s_or_b64 exec, exec, s[42:43]
.LBB318_394:                            ;   in Loop: Header=BB318_12 Depth=1
	s_or_b64 exec, exec, s[40:41]
.LBB318_395:                            ;   in Loop: Header=BB318_12 Depth=1
	s_or_b64 exec, exec, s[28:29]
	v_cmp_lt_u32_e32 vcc, s46, v8
	s_and_saveexec_b64 s[28:29], vcc
	s_cbranch_execz .LBB318_401
; %bb.396:                              ;   in Loop: Header=BB318_12 Depth=1
	v_lshrrev_b32_e32 v17, 24, v8
	v_cmp_ne_u32_e32 vcc, s44, v17
	v_bfrev_b32_e32 v18, 1
	s_and_saveexec_b64 s[40:41], vcc
	s_cbranch_execz .LBB318_400
; %bb.397:                              ;   in Loop: Header=BB318_12 Depth=1
	v_bfe_u32 v0, v8, 24, 7
	v_cmp_ne_u32_e32 vcc, s45, v0
	v_mov_b32_e32 v18, 0x7f800001
	s_and_saveexec_b64 s[42:43], vcc
	s_cbranch_execz .LBB318_399
; %bb.398:                              ;   in Loop: Header=BB318_12 Depth=1
	v_and_b32_e32 v2, 7, v17
	v_lshrrev_b32_e32 v3, 3, v0
	v_cmp_gt_u32_e32 vcc, 8, v0
	v_ffbh_u32_e32 v0, v2
	v_min_u32_e32 v4, 32, v0
	v_subrev_u32_e32 v0, 28, v4
	v_lshlrev_b64 v[0:1], v0, v[17:18]
	v_sub_u32_e32 v1, 29, v4
	v_and_b32_e32 v0, 7, v0
	v_cndmask_b32_e32 v1, v3, v1, vcc
	v_cndmask_b32_e32 v0, v2, v0, vcc
	v_lshlrev_b32_e32 v2, 24, v17
	v_bfrev_b32_e32 v3, 60
	v_lshlrev_b32_e32 v0, 20, v0
	v_and_b32_e32 v2, 0x80000000, v2
	v_lshl_add_u32 v1, v1, 23, v3
	v_or3_b32 v18, v2, v1, v0
.LBB318_399:                            ;   in Loop: Header=BB318_12 Depth=1
	s_or_b64 exec, exec, s[42:43]
.LBB318_400:                            ;   in Loop: Header=BB318_12 Depth=1
	s_or_b64 exec, exec, s[40:41]
.LBB318_401:                            ;   in Loop: Header=BB318_12 Depth=1
	s_or_b64 exec, exec, s[28:29]
	buffer_load_dword v2, off, s[0:3], s32 offset:68 ; 4-byte Folded Reload
	v_add_co_u32_e32 v0, vcc, 0x1000, v39
	v_addc_co_u32_e32 v1, vcc, 0, v40, vcc
	v_mov_b32_e32 v22, 0
	v_mov_b32_e32 v20, 0
	s_waitcnt vmcnt(0)
	v_add_co_u32_e32 v2, vcc, v0, v2
	v_addc_co_u32_e32 v3, vcc, 0, v1, vcc
	flat_load_dword v8, v[2:3]
	v_mov_b32_e32 v2, 0
	s_waitcnt vmcnt(0) lgkmcnt(0)
	v_cmp_ne_u16_sdwa s[40:41], v8, v2 src0_sel:BYTE_0 src1_sel:DWORD
	s_and_saveexec_b64 s[28:29], s[40:41]
	s_cbranch_execz .LBB318_407
; %bb.402:                              ;   in Loop: Header=BB318_12 Depth=1
	v_cmp_ne_u16_sdwa s[42:43], v8, s44 src0_sel:BYTE_0 src1_sel:DWORD
	v_bfrev_b32_e32 v20, 1
	s_and_saveexec_b64 s[40:41], s[42:43]
	s_cbranch_execz .LBB318_406
; %bb.403:                              ;   in Loop: Header=BB318_12 Depth=1
	v_and_b32_e32 v2, 0x7f, v8
	v_cmp_ne_u32_e32 vcc, s45, v2
	v_mov_b32_e32 v20, 0x7f800001
	s_and_saveexec_b64 s[42:43], vcc
	s_cbranch_execz .LBB318_405
; %bb.404:                              ;   in Loop: Header=BB318_12 Depth=1
	v_and_b32_e32 v4, 7, v8
	v_lshrrev_b32_e32 v5, 3, v2
	v_cmp_gt_u32_e32 vcc, 8, v2
	v_ffbh_u32_e32 v2, v4
	v_min_u32_e32 v7, 32, v2
	v_subrev_u32_e32 v2, 28, v7
	v_lshlrev_b64 v[2:3], v2, v[8:9]
	v_sub_u32_e32 v3, 29, v7
	v_and_b32_e32 v2, 7, v2
	v_cndmask_b32_e32 v3, v5, v3, vcc
	v_cndmask_b32_e32 v2, v4, v2, vcc
	v_lshlrev_b32_e32 v4, 24, v8
	v_bfrev_b32_e32 v5, 60
	v_lshlrev_b32_e32 v2, 20, v2
	v_and_b32_e32 v4, 0x80000000, v4
	v_lshl_add_u32 v3, v3, 23, v5
	v_or3_b32 v20, v4, v3, v2
.LBB318_405:                            ;   in Loop: Header=BB318_12 Depth=1
	s_or_b64 exec, exec, s[42:43]
.LBB318_406:                            ;   in Loop: Header=BB318_12 Depth=1
	s_or_b64 exec, exec, s[40:41]
.LBB318_407:                            ;   in Loop: Header=BB318_12 Depth=1
	s_or_b64 exec, exec, s[28:29]
	v_lshrrev_b16_e32 v17, 8, v8
	v_cmp_ne_u16_e32 vcc, 0, v17
	s_and_saveexec_b64 s[28:29], vcc
	s_cbranch_execz .LBB318_413
; %bb.408:                              ;   in Loop: Header=BB318_12 Depth=1
	v_cmp_ne_u16_e32 vcc, s44, v17
	v_bfrev_b32_e32 v22, 1
	s_and_saveexec_b64 s[40:41], vcc
	s_cbranch_execz .LBB318_412
; %bb.409:                              ;   in Loop: Header=BB318_12 Depth=1
	v_and_b32_e32 v2, 0x7f, v17
	v_cmp_ne_u32_e32 vcc, s45, v2
	v_mov_b32_e32 v22, 0x7f800001
	s_and_saveexec_b64 s[42:43], vcc
	s_cbranch_execz .LBB318_411
; %bb.410:                              ;   in Loop: Header=BB318_12 Depth=1
	v_and_b32_e32 v4, 7, v17
	v_lshrrev_b32_e32 v5, 3, v2
	v_cmp_gt_u32_e32 vcc, 8, v2
	v_ffbh_u32_e32 v2, v4
	v_min_u32_e32 v7, 32, v2
	v_subrev_u32_e32 v2, 28, v7
	v_lshlrev_b64 v[2:3], v2, v[17:18]
	v_sub_u32_e32 v3, 29, v7
	v_and_b32_e32 v2, 7, v2
	v_cndmask_b32_e32 v3, v5, v3, vcc
	v_cndmask_b32_e32 v2, v4, v2, vcc
	v_lshlrev_b32_e32 v4, 16, v8
	v_bfrev_b32_e32 v5, 60
	v_lshlrev_b32_e32 v2, 20, v2
	v_and_b32_e32 v4, 0x80000000, v4
	v_lshl_add_u32 v3, v3, 23, v5
	v_or3_b32 v22, v4, v3, v2
.LBB318_411:                            ;   in Loop: Header=BB318_12 Depth=1
	s_or_b64 exec, exec, s[42:43]
.LBB318_412:                            ;   in Loop: Header=BB318_12 Depth=1
	s_or_b64 exec, exec, s[40:41]
.LBB318_413:                            ;   in Loop: Header=BB318_12 Depth=1
	s_or_b64 exec, exec, s[28:29]
	v_lshrrev_b32_e32 v17, 16, v8
	v_mov_b32_e32 v2, 0
	v_cmp_ne_u16_sdwa s[40:41], v17, v2 src0_sel:BYTE_0 src1_sel:DWORD
	v_mov_b32_e32 v2, 0
	buffer_store_dword v2, off, s[0:3], s32 offset:408 ; 4-byte Folded Spill
	v_mov_b32_e32 v2, 0
	buffer_store_dword v2, off, s[0:3], s32 offset:244 ; 4-byte Folded Spill
	s_and_saveexec_b64 s[28:29], s[40:41]
	s_cbranch_execz .LBB318_419
; %bb.414:                              ;   in Loop: Header=BB318_12 Depth=1
	v_cmp_ne_u16_sdwa s[42:43], v17, s44 src0_sel:BYTE_0 src1_sel:DWORD
	v_bfrev_b32_e32 v2, 1
	buffer_store_dword v2, off, s[0:3], s32 offset:244 ; 4-byte Folded Spill
	s_and_saveexec_b64 s[40:41], s[42:43]
	s_cbranch_execz .LBB318_418
; %bb.415:                              ;   in Loop: Header=BB318_12 Depth=1
	v_bfe_u32 v2, v8, 16, 7
	v_cmp_ne_u32_e32 vcc, s45, v2
	v_mov_b32_e32 v3, 0x7f800001
	buffer_store_dword v3, off, s[0:3], s32 offset:244 ; 4-byte Folded Spill
	s_and_saveexec_b64 s[42:43], vcc
	s_cbranch_execz .LBB318_417
; %bb.416:                              ;   in Loop: Header=BB318_12 Depth=1
	v_and_b32_e32 v4, 7, v17
	v_lshrrev_b32_e32 v5, 3, v2
	v_cmp_gt_u32_e32 vcc, 8, v2
	v_ffbh_u32_e32 v2, v4
	v_min_u32_e32 v7, 32, v2
	v_subrev_u32_e32 v2, 28, v7
	v_lshlrev_b64 v[2:3], v2, v[17:18]
	v_sub_u32_e32 v3, 29, v7
	v_and_b32_e32 v2, 7, v2
	v_cndmask_b32_e32 v3, v5, v3, vcc
	v_cndmask_b32_e32 v2, v4, v2, vcc
	v_lshlrev_b32_e32 v4, 24, v17
	v_bfrev_b32_e32 v5, 60
	v_lshlrev_b32_e32 v2, 20, v2
	v_and_b32_e32 v4, 0x80000000, v4
	v_lshl_add_u32 v3, v3, 23, v5
	v_or3_b32 v2, v4, v3, v2
	buffer_store_dword v2, off, s[0:3], s32 offset:244 ; 4-byte Folded Spill
.LBB318_417:                            ;   in Loop: Header=BB318_12 Depth=1
	s_or_b64 exec, exec, s[42:43]
.LBB318_418:                            ;   in Loop: Header=BB318_12 Depth=1
	s_or_b64 exec, exec, s[40:41]
.LBB318_419:                            ;   in Loop: Header=BB318_12 Depth=1
	s_or_b64 exec, exec, s[28:29]
	v_cmp_lt_u32_e32 vcc, s46, v8
	s_and_saveexec_b64 s[28:29], vcc
	s_cbranch_execz .LBB318_425
; %bb.420:                              ;   in Loop: Header=BB318_12 Depth=1
	v_lshrrev_b32_e32 v17, 24, v8
	v_cmp_ne_u32_e32 vcc, s44, v17
	v_bfrev_b32_e32 v2, 1
	buffer_store_dword v2, off, s[0:3], s32 offset:408 ; 4-byte Folded Spill
	s_and_saveexec_b64 s[40:41], vcc
	s_cbranch_execz .LBB318_424
; %bb.421:                              ;   in Loop: Header=BB318_12 Depth=1
	v_bfe_u32 v2, v8, 24, 7
	v_cmp_ne_u32_e32 vcc, s45, v2
	v_mov_b32_e32 v3, 0x7f800001
	s_and_saveexec_b64 s[42:43], vcc
	s_cbranch_execz .LBB318_423
; %bb.422:                              ;   in Loop: Header=BB318_12 Depth=1
	v_and_b32_e32 v4, 7, v17
	v_lshrrev_b32_e32 v5, 3, v2
	v_cmp_gt_u32_e32 vcc, 8, v2
	v_ffbh_u32_e32 v2, v4
	v_min_u32_e32 v7, 32, v2
	v_subrev_u32_e32 v2, 28, v7
	v_lshlrev_b64 v[2:3], v2, v[17:18]
	v_sub_u32_e32 v3, 29, v7
	v_and_b32_e32 v2, 7, v2
	v_cndmask_b32_e32 v3, v5, v3, vcc
	v_cndmask_b32_e32 v2, v4, v2, vcc
	v_lshlrev_b32_e32 v4, 24, v17
	v_bfrev_b32_e32 v5, 60
	v_lshlrev_b32_e32 v2, 20, v2
	v_and_b32_e32 v4, 0x80000000, v4
	v_lshl_add_u32 v3, v3, 23, v5
	v_or3_b32 v3, v4, v3, v2
.LBB318_423:                            ;   in Loop: Header=BB318_12 Depth=1
	s_or_b64 exec, exec, s[42:43]
	buffer_store_dword v3, off, s[0:3], s32 offset:408 ; 4-byte Folded Spill
.LBB318_424:                            ;   in Loop: Header=BB318_12 Depth=1
	s_or_b64 exec, exec, s[40:41]
.LBB318_425:                            ;   in Loop: Header=BB318_12 Depth=1
	s_or_b64 exec, exec, s[28:29]
	buffer_load_dword v2, off, s[0:3], s32 offset:72 ; 4-byte Folded Reload
	s_waitcnt vmcnt(0)
	v_add_co_u32_e32 v0, vcc, v0, v2
	v_addc_co_u32_e32 v1, vcc, 0, v1, vcc
	flat_load_dword v8, v[0:1]
	v_mov_b32_e32 v0, 0
	buffer_store_dword v0, off, s[0:3], s32 offset:252 ; 4-byte Folded Spill
	v_mov_b32_e32 v0, 0
	s_waitcnt vmcnt(0) lgkmcnt(0)
	v_cmp_ne_u16_sdwa s[40:41], v8, v0 src0_sel:BYTE_0 src1_sel:DWORD
	v_mov_b32_e32 v0, 0
	buffer_store_dword v0, off, s[0:3], s32 offset:248 ; 4-byte Folded Spill
	s_and_saveexec_b64 s[28:29], s[40:41]
	s_cbranch_execz .LBB318_431
; %bb.426:                              ;   in Loop: Header=BB318_12 Depth=1
	v_cmp_ne_u16_sdwa s[42:43], v8, s44 src0_sel:BYTE_0 src1_sel:DWORD
	v_bfrev_b32_e32 v0, 1
	buffer_store_dword v0, off, s[0:3], s32 offset:248 ; 4-byte Folded Spill
	s_and_saveexec_b64 s[40:41], s[42:43]
	s_cbranch_execz .LBB318_430
; %bb.427:                              ;   in Loop: Header=BB318_12 Depth=1
	v_and_b32_e32 v0, 0x7f, v8
	v_cmp_ne_u32_e32 vcc, s45, v0
	v_mov_b32_e32 v1, 0x7f800001
	buffer_store_dword v1, off, s[0:3], s32 offset:248 ; 4-byte Folded Spill
	s_and_saveexec_b64 s[42:43], vcc
	s_cbranch_execz .LBB318_429
; %bb.428:                              ;   in Loop: Header=BB318_12 Depth=1
	v_and_b32_e32 v2, 7, v8
	v_lshrrev_b32_e32 v3, 3, v0
	v_cmp_gt_u32_e32 vcc, 8, v0
	v_ffbh_u32_e32 v0, v2
	v_min_u32_e32 v4, 32, v0
	v_subrev_u32_e32 v0, 28, v4
	v_lshlrev_b64 v[0:1], v0, v[8:9]
	v_sub_u32_e32 v1, 29, v4
	v_and_b32_e32 v0, 7, v0
	v_cndmask_b32_e32 v1, v3, v1, vcc
	v_cndmask_b32_e32 v0, v2, v0, vcc
	v_lshlrev_b32_e32 v2, 24, v8
	v_bfrev_b32_e32 v3, 60
	v_lshlrev_b32_e32 v0, 20, v0
	v_and_b32_e32 v2, 0x80000000, v2
	v_lshl_add_u32 v1, v1, 23, v3
	v_or3_b32 v0, v2, v1, v0
	buffer_store_dword v0, off, s[0:3], s32 offset:248 ; 4-byte Folded Spill
.LBB318_429:                            ;   in Loop: Header=BB318_12 Depth=1
	s_or_b64 exec, exec, s[42:43]
.LBB318_430:                            ;   in Loop: Header=BB318_12 Depth=1
	s_or_b64 exec, exec, s[40:41]
.LBB318_431:                            ;   in Loop: Header=BB318_12 Depth=1
	s_or_b64 exec, exec, s[28:29]
	v_lshrrev_b16_e32 v17, 8, v8
	v_cmp_ne_u16_e32 vcc, 0, v17
	s_and_saveexec_b64 s[28:29], vcc
	s_cbranch_execz .LBB318_437
; %bb.432:                              ;   in Loop: Header=BB318_12 Depth=1
	v_cmp_ne_u16_e32 vcc, s44, v17
	v_bfrev_b32_e32 v0, 1
	buffer_store_dword v0, off, s[0:3], s32 offset:252 ; 4-byte Folded Spill
	s_and_saveexec_b64 s[40:41], vcc
	s_cbranch_execz .LBB318_436
; %bb.433:                              ;   in Loop: Header=BB318_12 Depth=1
	v_and_b32_e32 v0, 0x7f, v17
	v_cmp_ne_u32_e32 vcc, s45, v0
	v_mov_b32_e32 v1, 0x7f800001
	buffer_store_dword v1, off, s[0:3], s32 offset:252 ; 4-byte Folded Spill
	s_and_saveexec_b64 s[42:43], vcc
	s_cbranch_execz .LBB318_435
; %bb.434:                              ;   in Loop: Header=BB318_12 Depth=1
	v_and_b32_e32 v2, 7, v17
	v_lshrrev_b32_e32 v3, 3, v0
	v_cmp_gt_u32_e32 vcc, 8, v0
	v_ffbh_u32_e32 v0, v2
	v_min_u32_e32 v4, 32, v0
	v_subrev_u32_e32 v0, 28, v4
	v_lshlrev_b64 v[0:1], v0, v[17:18]
	v_sub_u32_e32 v1, 29, v4
	v_and_b32_e32 v0, 7, v0
	v_cndmask_b32_e32 v1, v3, v1, vcc
	v_cndmask_b32_e32 v0, v2, v0, vcc
	v_lshlrev_b32_e32 v2, 16, v8
	v_bfrev_b32_e32 v3, 60
	v_lshlrev_b32_e32 v0, 20, v0
	v_and_b32_e32 v2, 0x80000000, v2
	v_lshl_add_u32 v1, v1, 23, v3
	v_or3_b32 v0, v2, v1, v0
	buffer_store_dword v0, off, s[0:3], s32 offset:252 ; 4-byte Folded Spill
.LBB318_435:                            ;   in Loop: Header=BB318_12 Depth=1
	s_or_b64 exec, exec, s[42:43]
.LBB318_436:                            ;   in Loop: Header=BB318_12 Depth=1
	s_or_b64 exec, exec, s[40:41]
.LBB318_437:                            ;   in Loop: Header=BB318_12 Depth=1
	s_or_b64 exec, exec, s[28:29]
	v_lshrrev_b32_e32 v17, 16, v8
	v_mov_b32_e32 v0, 0
	v_cmp_ne_u16_sdwa s[40:41], v17, v0 src0_sel:BYTE_0 src1_sel:DWORD
	v_mov_b32_e32 v0, 0
	buffer_store_dword v0, off, s[0:3], s32 offset:412 ; 4-byte Folded Spill
	v_mov_b32_e32 v0, 0
	buffer_store_dword v0, off, s[0:3], s32 offset:256 ; 4-byte Folded Spill
	s_and_saveexec_b64 s[28:29], s[40:41]
	s_cbranch_execz .LBB318_443
; %bb.438:                              ;   in Loop: Header=BB318_12 Depth=1
	v_cmp_ne_u16_sdwa s[42:43], v17, s44 src0_sel:BYTE_0 src1_sel:DWORD
	v_bfrev_b32_e32 v0, 1
	buffer_store_dword v0, off, s[0:3], s32 offset:256 ; 4-byte Folded Spill
	s_and_saveexec_b64 s[40:41], s[42:43]
	s_cbranch_execz .LBB318_442
; %bb.439:                              ;   in Loop: Header=BB318_12 Depth=1
	v_bfe_u32 v0, v8, 16, 7
	v_cmp_ne_u32_e32 vcc, s45, v0
	v_mov_b32_e32 v1, 0x7f800001
	buffer_store_dword v1, off, s[0:3], s32 offset:256 ; 4-byte Folded Spill
	s_and_saveexec_b64 s[42:43], vcc
	s_cbranch_execz .LBB318_441
; %bb.440:                              ;   in Loop: Header=BB318_12 Depth=1
	v_and_b32_e32 v2, 7, v17
	v_lshrrev_b32_e32 v3, 3, v0
	v_cmp_gt_u32_e32 vcc, 8, v0
	v_ffbh_u32_e32 v0, v2
	v_min_u32_e32 v4, 32, v0
	v_subrev_u32_e32 v0, 28, v4
	v_lshlrev_b64 v[0:1], v0, v[17:18]
	v_sub_u32_e32 v1, 29, v4
	v_and_b32_e32 v0, 7, v0
	v_cndmask_b32_e32 v1, v3, v1, vcc
	v_cndmask_b32_e32 v0, v2, v0, vcc
	v_lshlrev_b32_e32 v2, 24, v17
	v_bfrev_b32_e32 v3, 60
	v_lshlrev_b32_e32 v0, 20, v0
	v_and_b32_e32 v2, 0x80000000, v2
	v_lshl_add_u32 v1, v1, 23, v3
	v_or3_b32 v0, v2, v1, v0
	buffer_store_dword v0, off, s[0:3], s32 offset:256 ; 4-byte Folded Spill
.LBB318_441:                            ;   in Loop: Header=BB318_12 Depth=1
	s_or_b64 exec, exec, s[42:43]
.LBB318_442:                            ;   in Loop: Header=BB318_12 Depth=1
	s_or_b64 exec, exec, s[40:41]
.LBB318_443:                            ;   in Loop: Header=BB318_12 Depth=1
	s_or_b64 exec, exec, s[28:29]
	v_cmp_lt_u32_e32 vcc, s46, v8
	s_and_saveexec_b64 s[28:29], vcc
	s_cbranch_execz .LBB318_449
; %bb.444:                              ;   in Loop: Header=BB318_12 Depth=1
	v_lshrrev_b32_e32 v17, 24, v8
	v_cmp_ne_u32_e32 vcc, s44, v17
	v_bfrev_b32_e32 v0, 1
	buffer_store_dword v0, off, s[0:3], s32 offset:412 ; 4-byte Folded Spill
	s_and_saveexec_b64 s[40:41], vcc
	s_cbranch_execz .LBB318_448
; %bb.445:                              ;   in Loop: Header=BB318_12 Depth=1
	v_bfe_u32 v0, v8, 24, 7
	v_cmp_ne_u32_e32 vcc, s45, v0
	v_mov_b32_e32 v1, 0x7f800001
	s_and_saveexec_b64 s[42:43], vcc
	s_cbranch_execz .LBB318_447
; %bb.446:                              ;   in Loop: Header=BB318_12 Depth=1
	v_and_b32_e32 v2, 7, v17
	v_lshrrev_b32_e32 v3, 3, v0
	v_cmp_gt_u32_e32 vcc, 8, v0
	v_ffbh_u32_e32 v0, v2
	v_min_u32_e32 v4, 32, v0
	v_subrev_u32_e32 v0, 28, v4
	v_lshlrev_b64 v[0:1], v0, v[17:18]
	v_sub_u32_e32 v1, 29, v4
	v_and_b32_e32 v0, 7, v0
	v_cndmask_b32_e32 v1, v3, v1, vcc
	v_cndmask_b32_e32 v0, v2, v0, vcc
	v_lshlrev_b32_e32 v2, 24, v17
	v_bfrev_b32_e32 v3, 60
	v_lshlrev_b32_e32 v0, 20, v0
	v_and_b32_e32 v2, 0x80000000, v2
	v_lshl_add_u32 v1, v1, 23, v3
	v_or3_b32 v1, v2, v1, v0
.LBB318_447:                            ;   in Loop: Header=BB318_12 Depth=1
	s_or_b64 exec, exec, s[42:43]
	buffer_store_dword v1, off, s[0:3], s32 offset:412 ; 4-byte Folded Spill
.LBB318_448:                            ;   in Loop: Header=BB318_12 Depth=1
	s_or_b64 exec, exec, s[40:41]
.LBB318_449:                            ;   in Loop: Header=BB318_12 Depth=1
	s_or_b64 exec, exec, s[28:29]
	buffer_load_dword v2, off, s[0:3], s32 offset:68 ; 4-byte Folded Reload
	v_add_co_u32_e32 v0, vcc, 0x1200, v39
	v_addc_co_u32_e32 v1, vcc, 0, v40, vcc
	s_waitcnt vmcnt(0)
	v_add_co_u32_e32 v2, vcc, v0, v2
	v_addc_co_u32_e32 v3, vcc, 0, v1, vcc
	flat_load_dword v8, v[2:3]
	v_mov_b32_e32 v2, 0
	buffer_store_dword v2, off, s[0:3], s32 offset:264 ; 4-byte Folded Spill
	v_mov_b32_e32 v2, 0
	s_waitcnt vmcnt(0) lgkmcnt(0)
	v_cmp_ne_u16_sdwa s[40:41], v8, v2 src0_sel:BYTE_0 src1_sel:DWORD
	v_mov_b32_e32 v2, 0
	buffer_store_dword v2, off, s[0:3], s32 offset:260 ; 4-byte Folded Spill
	s_and_saveexec_b64 s[28:29], s[40:41]
	s_cbranch_execz .LBB318_455
; %bb.450:                              ;   in Loop: Header=BB318_12 Depth=1
	v_cmp_ne_u16_sdwa s[42:43], v8, s44 src0_sel:BYTE_0 src1_sel:DWORD
	v_bfrev_b32_e32 v2, 1
	buffer_store_dword v2, off, s[0:3], s32 offset:260 ; 4-byte Folded Spill
	s_and_saveexec_b64 s[40:41], s[42:43]
	s_cbranch_execz .LBB318_454
; %bb.451:                              ;   in Loop: Header=BB318_12 Depth=1
	v_and_b32_e32 v2, 0x7f, v8
	v_cmp_ne_u32_e32 vcc, s45, v2
	v_mov_b32_e32 v3, 0x7f800001
	buffer_store_dword v3, off, s[0:3], s32 offset:260 ; 4-byte Folded Spill
	s_and_saveexec_b64 s[42:43], vcc
	s_cbranch_execz .LBB318_453
; %bb.452:                              ;   in Loop: Header=BB318_12 Depth=1
	v_and_b32_e32 v4, 7, v8
	v_lshrrev_b32_e32 v5, 3, v2
	v_cmp_gt_u32_e32 vcc, 8, v2
	v_ffbh_u32_e32 v2, v4
	v_min_u32_e32 v7, 32, v2
	v_subrev_u32_e32 v2, 28, v7
	v_lshlrev_b64 v[2:3], v2, v[8:9]
	v_sub_u32_e32 v3, 29, v7
	v_and_b32_e32 v2, 7, v2
	v_cndmask_b32_e32 v3, v5, v3, vcc
	v_cndmask_b32_e32 v2, v4, v2, vcc
	v_lshlrev_b32_e32 v4, 24, v8
	v_bfrev_b32_e32 v5, 60
	v_lshlrev_b32_e32 v2, 20, v2
	v_and_b32_e32 v4, 0x80000000, v4
	v_lshl_add_u32 v3, v3, 23, v5
	v_or3_b32 v2, v4, v3, v2
	buffer_store_dword v2, off, s[0:3], s32 offset:260 ; 4-byte Folded Spill
.LBB318_453:                            ;   in Loop: Header=BB318_12 Depth=1
	s_or_b64 exec, exec, s[42:43]
.LBB318_454:                            ;   in Loop: Header=BB318_12 Depth=1
	s_or_b64 exec, exec, s[40:41]
.LBB318_455:                            ;   in Loop: Header=BB318_12 Depth=1
	s_or_b64 exec, exec, s[28:29]
	v_lshrrev_b16_e32 v17, 8, v8
	v_cmp_ne_u16_e32 vcc, 0, v17
	s_and_saveexec_b64 s[28:29], vcc
	s_cbranch_execz .LBB318_461
; %bb.456:                              ;   in Loop: Header=BB318_12 Depth=1
	v_cmp_ne_u16_e32 vcc, s44, v17
	v_bfrev_b32_e32 v2, 1
	buffer_store_dword v2, off, s[0:3], s32 offset:264 ; 4-byte Folded Spill
	s_and_saveexec_b64 s[40:41], vcc
	s_cbranch_execz .LBB318_460
; %bb.457:                              ;   in Loop: Header=BB318_12 Depth=1
	v_and_b32_e32 v2, 0x7f, v17
	v_cmp_ne_u32_e32 vcc, s45, v2
	v_mov_b32_e32 v3, 0x7f800001
	buffer_store_dword v3, off, s[0:3], s32 offset:264 ; 4-byte Folded Spill
	s_and_saveexec_b64 s[42:43], vcc
	s_cbranch_execz .LBB318_459
; %bb.458:                              ;   in Loop: Header=BB318_12 Depth=1
	v_and_b32_e32 v4, 7, v17
	v_lshrrev_b32_e32 v5, 3, v2
	v_cmp_gt_u32_e32 vcc, 8, v2
	v_ffbh_u32_e32 v2, v4
	v_min_u32_e32 v7, 32, v2
	v_subrev_u32_e32 v2, 28, v7
	v_lshlrev_b64 v[2:3], v2, v[17:18]
	v_sub_u32_e32 v3, 29, v7
	v_and_b32_e32 v2, 7, v2
	v_cndmask_b32_e32 v3, v5, v3, vcc
	v_cndmask_b32_e32 v2, v4, v2, vcc
	v_lshlrev_b32_e32 v4, 16, v8
	v_bfrev_b32_e32 v5, 60
	v_lshlrev_b32_e32 v2, 20, v2
	v_and_b32_e32 v4, 0x80000000, v4
	v_lshl_add_u32 v3, v3, 23, v5
	v_or3_b32 v2, v4, v3, v2
	buffer_store_dword v2, off, s[0:3], s32 offset:264 ; 4-byte Folded Spill
.LBB318_459:                            ;   in Loop: Header=BB318_12 Depth=1
	s_or_b64 exec, exec, s[42:43]
.LBB318_460:                            ;   in Loop: Header=BB318_12 Depth=1
	s_or_b64 exec, exec, s[40:41]
.LBB318_461:                            ;   in Loop: Header=BB318_12 Depth=1
	s_or_b64 exec, exec, s[28:29]
	v_lshrrev_b32_e32 v17, 16, v8
	v_mov_b32_e32 v2, 0
	v_cmp_ne_u16_sdwa s[40:41], v17, v2 src0_sel:BYTE_0 src1_sel:DWORD
	v_mov_b32_e32 v7, 0
	v_mov_b32_e32 v2, 0
	buffer_store_dword v2, off, s[0:3], s32 offset:276 ; 4-byte Folded Spill
	s_and_saveexec_b64 s[28:29], s[40:41]
	s_cbranch_execz .LBB318_467
; %bb.462:                              ;   in Loop: Header=BB318_12 Depth=1
	v_cmp_ne_u16_sdwa s[42:43], v17, s44 src0_sel:BYTE_0 src1_sel:DWORD
	v_bfrev_b32_e32 v2, 1
	buffer_store_dword v2, off, s[0:3], s32 offset:276 ; 4-byte Folded Spill
	s_and_saveexec_b64 s[40:41], s[42:43]
	s_cbranch_execz .LBB318_466
; %bb.463:                              ;   in Loop: Header=BB318_12 Depth=1
	v_bfe_u32 v2, v8, 16, 7
	v_cmp_ne_u32_e32 vcc, s45, v2
	v_mov_b32_e32 v3, 0x7f800001
	buffer_store_dword v3, off, s[0:3], s32 offset:276 ; 4-byte Folded Spill
	s_and_saveexec_b64 s[42:43], vcc
	s_cbranch_execz .LBB318_465
; %bb.464:                              ;   in Loop: Header=BB318_12 Depth=1
	v_and_b32_e32 v4, 7, v17
	v_lshrrev_b32_e32 v5, 3, v2
	v_cmp_gt_u32_e32 vcc, 8, v2
	v_ffbh_u32_e32 v2, v4
	v_min_u32_e32 v7, 32, v2
	v_subrev_u32_e32 v2, 28, v7
	v_lshlrev_b64 v[2:3], v2, v[17:18]
	v_sub_u32_e32 v3, 29, v7
	v_and_b32_e32 v2, 7, v2
	v_cndmask_b32_e32 v3, v5, v3, vcc
	v_cndmask_b32_e32 v2, v4, v2, vcc
	v_lshlrev_b32_e32 v4, 24, v17
	v_bfrev_b32_e32 v5, 60
	v_lshlrev_b32_e32 v2, 20, v2
	v_and_b32_e32 v4, 0x80000000, v4
	v_lshl_add_u32 v3, v3, 23, v5
	v_mov_b32_e32 v7, 0
	v_or3_b32 v2, v4, v3, v2
	buffer_store_dword v2, off, s[0:3], s32 offset:276 ; 4-byte Folded Spill
.LBB318_465:                            ;   in Loop: Header=BB318_12 Depth=1
	s_or_b64 exec, exec, s[42:43]
.LBB318_466:                            ;   in Loop: Header=BB318_12 Depth=1
	s_or_b64 exec, exec, s[40:41]
.LBB318_467:                            ;   in Loop: Header=BB318_12 Depth=1
	s_or_b64 exec, exec, s[28:29]
	v_cmp_lt_u32_e32 vcc, s46, v8
	s_and_saveexec_b64 s[28:29], vcc
	s_cbranch_execz .LBB318_473
; %bb.468:                              ;   in Loop: Header=BB318_12 Depth=1
	v_lshrrev_b32_e32 v17, 24, v8
	v_cmp_ne_u32_e32 vcc, s44, v17
	v_bfrev_b32_e32 v7, 1
	s_and_saveexec_b64 s[40:41], vcc
	s_cbranch_execz .LBB318_472
; %bb.469:                              ;   in Loop: Header=BB318_12 Depth=1
	v_bfe_u32 v2, v8, 24, 7
	v_cmp_ne_u32_e32 vcc, s45, v2
	v_mov_b32_e32 v7, 0x7f800001
	s_and_saveexec_b64 s[42:43], vcc
	s_cbranch_execz .LBB318_471
; %bb.470:                              ;   in Loop: Header=BB318_12 Depth=1
	v_and_b32_e32 v4, 7, v17
	v_lshrrev_b32_e32 v5, 3, v2
	v_cmp_gt_u32_e32 vcc, 8, v2
	v_ffbh_u32_e32 v2, v4
	v_min_u32_e32 v7, 32, v2
	v_subrev_u32_e32 v2, 28, v7
	v_lshlrev_b64 v[2:3], v2, v[17:18]
	v_sub_u32_e32 v3, 29, v7
	v_and_b32_e32 v2, 7, v2
	v_cndmask_b32_e32 v3, v5, v3, vcc
	v_cndmask_b32_e32 v2, v4, v2, vcc
	v_lshlrev_b32_e32 v4, 24, v17
	v_bfrev_b32_e32 v5, 60
	v_lshlrev_b32_e32 v2, 20, v2
	v_and_b32_e32 v4, 0x80000000, v4
	v_lshl_add_u32 v3, v3, 23, v5
	v_or3_b32 v7, v4, v3, v2
.LBB318_471:                            ;   in Loop: Header=BB318_12 Depth=1
	s_or_b64 exec, exec, s[42:43]
.LBB318_472:                            ;   in Loop: Header=BB318_12 Depth=1
	s_or_b64 exec, exec, s[40:41]
.LBB318_473:                            ;   in Loop: Header=BB318_12 Depth=1
	s_or_b64 exec, exec, s[28:29]
	buffer_load_dword v2, off, s[0:3], s32 offset:72 ; 4-byte Folded Reload
	s_waitcnt vmcnt(0)
	v_add_co_u32_e32 v0, vcc, v0, v2
	v_addc_co_u32_e32 v1, vcc, 0, v1, vcc
	flat_load_dword v8, v[0:1]
	v_mov_b32_e32 v0, 0
	buffer_store_dword v0, off, s[0:3], s32 offset:284 ; 4-byte Folded Spill
	v_mov_b32_e32 v0, 0
	s_waitcnt vmcnt(0) lgkmcnt(0)
	v_cmp_ne_u16_sdwa s[40:41], v8, v0 src0_sel:BYTE_0 src1_sel:DWORD
	v_mov_b32_e32 v0, 0
	buffer_store_dword v0, off, s[0:3], s32 offset:280 ; 4-byte Folded Spill
	s_and_saveexec_b64 s[28:29], s[40:41]
	s_cbranch_execz .LBB318_479
; %bb.474:                              ;   in Loop: Header=BB318_12 Depth=1
	v_cmp_ne_u16_sdwa s[42:43], v8, s44 src0_sel:BYTE_0 src1_sel:DWORD
	v_bfrev_b32_e32 v0, 1
	buffer_store_dword v0, off, s[0:3], s32 offset:280 ; 4-byte Folded Spill
	s_and_saveexec_b64 s[40:41], s[42:43]
	s_cbranch_execz .LBB318_478
; %bb.475:                              ;   in Loop: Header=BB318_12 Depth=1
	v_and_b32_e32 v1, 0x7f, v8
	v_cmp_ne_u32_e32 vcc, s45, v1
	v_mov_b32_e32 v0, 0x7f800001
	buffer_store_dword v0, off, s[0:3], s32 offset:280 ; 4-byte Folded Spill
	s_and_saveexec_b64 s[42:43], vcc
	s_cbranch_execz .LBB318_477
; %bb.476:                              ;   in Loop: Header=BB318_12 Depth=1
	v_and_b32_e32 v2, 7, v8
	v_ffbh_u32_e32 v0, v2
	v_min_u32_e32 v4, 32, v0
	v_subrev_u32_e32 v0, 28, v4
	v_lshrrev_b32_e32 v3, 3, v1
	v_cmp_gt_u32_e32 vcc, 8, v1
	v_lshlrev_b64 v[0:1], v0, v[8:9]
	v_sub_u32_e32 v1, 29, v4
	v_and_b32_e32 v0, 7, v0
	v_cndmask_b32_e32 v1, v3, v1, vcc
	v_cndmask_b32_e32 v0, v2, v0, vcc
	v_lshlrev_b32_e32 v2, 24, v8
	v_bfrev_b32_e32 v3, 60
	v_lshlrev_b32_e32 v0, 20, v0
	v_and_b32_e32 v2, 0x80000000, v2
	v_lshl_add_u32 v1, v1, 23, v3
	v_or3_b32 v0, v2, v1, v0
	buffer_store_dword v0, off, s[0:3], s32 offset:280 ; 4-byte Folded Spill
.LBB318_477:                            ;   in Loop: Header=BB318_12 Depth=1
	s_or_b64 exec, exec, s[42:43]
.LBB318_478:                            ;   in Loop: Header=BB318_12 Depth=1
	s_or_b64 exec, exec, s[40:41]
.LBB318_479:                            ;   in Loop: Header=BB318_12 Depth=1
	s_or_b64 exec, exec, s[28:29]
	v_lshrrev_b16_e32 v17, 8, v8
	v_cmp_ne_u16_e32 vcc, 0, v17
	s_and_saveexec_b64 s[28:29], vcc
	s_cbranch_execz .LBB318_485
; %bb.480:                              ;   in Loop: Header=BB318_12 Depth=1
	v_cmp_ne_u16_e32 vcc, s44, v17
	v_bfrev_b32_e32 v0, 1
	buffer_store_dword v0, off, s[0:3], s32 offset:284 ; 4-byte Folded Spill
	s_and_saveexec_b64 s[40:41], vcc
	s_cbranch_execz .LBB318_484
; %bb.481:                              ;   in Loop: Header=BB318_12 Depth=1
	v_and_b32_e32 v1, 0x7f, v17
	v_cmp_ne_u32_e32 vcc, s45, v1
	v_mov_b32_e32 v0, 0x7f800001
	buffer_store_dword v0, off, s[0:3], s32 offset:284 ; 4-byte Folded Spill
	s_and_saveexec_b64 s[42:43], vcc
	s_cbranch_execz .LBB318_483
; %bb.482:                              ;   in Loop: Header=BB318_12 Depth=1
	v_and_b32_e32 v3, 7, v17
	v_lshrrev_b32_e32 v4, 3, v1
	v_cmp_gt_u32_e32 vcc, 8, v1
	v_ffbh_u32_e32 v1, v3
	v_min_u32_e32 v5, 32, v1
	v_subrev_u32_e32 v1, 28, v5
	v_lshlrev_b64 v[1:2], v1, v[17:18]
	v_sub_u32_e32 v2, 29, v5
	v_and_b32_e32 v1, 7, v1
	v_cndmask_b32_e32 v2, v4, v2, vcc
	v_cndmask_b32_e32 v1, v3, v1, vcc
	v_lshlrev_b32_e32 v3, 16, v8
	v_bfrev_b32_e32 v0, 60
	v_lshlrev_b32_e32 v1, 20, v1
	v_and_b32_e32 v3, 0x80000000, v3
	v_lshl_add_u32 v2, v2, 23, v0
	v_or3_b32 v0, v3, v2, v1
	buffer_store_dword v0, off, s[0:3], s32 offset:284 ; 4-byte Folded Spill
.LBB318_483:                            ;   in Loop: Header=BB318_12 Depth=1
	s_or_b64 exec, exec, s[42:43]
.LBB318_484:                            ;   in Loop: Header=BB318_12 Depth=1
	s_or_b64 exec, exec, s[40:41]
.LBB318_485:                            ;   in Loop: Header=BB318_12 Depth=1
	s_or_b64 exec, exec, s[28:29]
	v_lshrrev_b32_e32 v17, 16, v8
	v_mov_b32_e32 v0, 0
	v_cmp_ne_u16_sdwa s[40:41], v17, v0 src0_sel:BYTE_0 src1_sel:DWORD
	v_mov_b32_e32 v0, 0
	buffer_store_dword v0, off, s[0:3], s32 offset:416 ; 4-byte Folded Spill
	v_mov_b32_e32 v0, 0
	buffer_store_dword v0, off, s[0:3], s32 offset:292 ; 4-byte Folded Spill
	s_and_saveexec_b64 s[28:29], s[40:41]
	s_cbranch_execz .LBB318_491
; %bb.486:                              ;   in Loop: Header=BB318_12 Depth=1
	v_cmp_ne_u16_sdwa s[42:43], v17, s44 src0_sel:BYTE_0 src1_sel:DWORD
	v_bfrev_b32_e32 v0, 1
	buffer_store_dword v0, off, s[0:3], s32 offset:292 ; 4-byte Folded Spill
	s_and_saveexec_b64 s[40:41], s[42:43]
	s_cbranch_execz .LBB318_490
; %bb.487:                              ;   in Loop: Header=BB318_12 Depth=1
	v_bfe_u32 v1, v8, 16, 7
	v_cmp_ne_u32_e32 vcc, s45, v1
	v_mov_b32_e32 v0, 0x7f800001
	buffer_store_dword v0, off, s[0:3], s32 offset:292 ; 4-byte Folded Spill
	s_and_saveexec_b64 s[42:43], vcc
	s_cbranch_execz .LBB318_489
; %bb.488:                              ;   in Loop: Header=BB318_12 Depth=1
	v_and_b32_e32 v3, 7, v17
	v_lshrrev_b32_e32 v4, 3, v1
	v_cmp_gt_u32_e32 vcc, 8, v1
	v_ffbh_u32_e32 v1, v3
	v_min_u32_e32 v5, 32, v1
	v_subrev_u32_e32 v1, 28, v5
	v_lshlrev_b64 v[1:2], v1, v[17:18]
	v_sub_u32_e32 v2, 29, v5
	v_and_b32_e32 v1, 7, v1
	v_cndmask_b32_e32 v2, v4, v2, vcc
	v_cndmask_b32_e32 v1, v3, v1, vcc
	v_lshlrev_b32_e32 v3, 24, v17
	v_bfrev_b32_e32 v0, 60
	v_lshlrev_b32_e32 v1, 20, v1
	v_and_b32_e32 v3, 0x80000000, v3
	v_lshl_add_u32 v2, v2, 23, v0
	v_or3_b32 v0, v3, v2, v1
	buffer_store_dword v0, off, s[0:3], s32 offset:292 ; 4-byte Folded Spill
.LBB318_489:                            ;   in Loop: Header=BB318_12 Depth=1
	s_or_b64 exec, exec, s[42:43]
.LBB318_490:                            ;   in Loop: Header=BB318_12 Depth=1
	s_or_b64 exec, exec, s[40:41]
.LBB318_491:                            ;   in Loop: Header=BB318_12 Depth=1
	s_or_b64 exec, exec, s[28:29]
	v_cmp_lt_u32_e32 vcc, s46, v8
	s_and_saveexec_b64 s[28:29], vcc
	s_cbranch_execz .LBB318_497
; %bb.492:                              ;   in Loop: Header=BB318_12 Depth=1
	v_lshrrev_b32_e32 v17, 24, v8
	v_cmp_ne_u32_e32 vcc, s44, v17
	v_bfrev_b32_e32 v0, 1
	buffer_store_dword v0, off, s[0:3], s32 offset:416 ; 4-byte Folded Spill
	s_and_saveexec_b64 s[40:41], vcc
	s_cbranch_execz .LBB318_496
; %bb.493:                              ;   in Loop: Header=BB318_12 Depth=1
	v_bfe_u32 v1, v8, 24, 7
	v_cmp_ne_u32_e32 vcc, s45, v1
	v_mov_b32_e32 v0, 0x7f800001
	s_and_saveexec_b64 s[42:43], vcc
	s_cbranch_execz .LBB318_495
; %bb.494:                              ;   in Loop: Header=BB318_12 Depth=1
	v_and_b32_e32 v3, 7, v17
	v_lshrrev_b32_e32 v4, 3, v1
	v_cmp_gt_u32_e32 vcc, 8, v1
	v_ffbh_u32_e32 v1, v3
	v_min_u32_e32 v5, 32, v1
	v_subrev_u32_e32 v1, 28, v5
	v_lshlrev_b64 v[1:2], v1, v[17:18]
	v_sub_u32_e32 v2, 29, v5
	v_and_b32_e32 v1, 7, v1
	v_cndmask_b32_e32 v2, v4, v2, vcc
	v_cndmask_b32_e32 v1, v3, v1, vcc
	v_lshlrev_b32_e32 v3, 24, v17
	v_bfrev_b32_e32 v0, 60
	v_lshlrev_b32_e32 v1, 20, v1
	v_and_b32_e32 v3, 0x80000000, v3
	v_lshl_add_u32 v2, v2, 23, v0
	v_or3_b32 v0, v3, v2, v1
.LBB318_495:                            ;   in Loop: Header=BB318_12 Depth=1
	s_or_b64 exec, exec, s[42:43]
	buffer_store_dword v0, off, s[0:3], s32 offset:416 ; 4-byte Folded Spill
.LBB318_496:                            ;   in Loop: Header=BB318_12 Depth=1
	s_or_b64 exec, exec, s[40:41]
.LBB318_497:                            ;   in Loop: Header=BB318_12 Depth=1
	s_or_b64 exec, exec, s[28:29]
	buffer_load_dword v0, off, s[0:3], s32 offset:68 ; 4-byte Folded Reload
	v_add_co_u32_e32 v1, vcc, 0x1400, v39
	v_addc_co_u32_e32 v2, vcc, 0, v40, vcc
	s_waitcnt vmcnt(0)
	v_add_co_u32_e32 v3, vcc, v1, v0
	v_addc_co_u32_e32 v4, vcc, 0, v2, vcc
	flat_load_dword v8, v[3:4]
	v_mov_b32_e32 v0, 0
	buffer_store_dword v0, off, s[0:3], s32 offset:300 ; 4-byte Folded Spill
	v_mov_b32_e32 v0, 0
	s_waitcnt vmcnt(0) lgkmcnt(0)
	v_cmp_ne_u16_sdwa s[40:41], v8, v0 src0_sel:BYTE_0 src1_sel:DWORD
	v_mov_b32_e32 v0, 0
	buffer_store_dword v0, off, s[0:3], s32 offset:296 ; 4-byte Folded Spill
	s_mov_b64 s[28:29], exec
	s_and_b64 s[40:41], s[28:29], s[40:41]
	buffer_store_dword v7, off, s[0:3], s32 offset:420 ; 4-byte Folded Spill
	s_mov_b64 exec, s[40:41]
	s_cbranch_execz .LBB318_503
; %bb.498:                              ;   in Loop: Header=BB318_12 Depth=1
	v_cmp_ne_u16_sdwa s[42:43], v8, s44 src0_sel:BYTE_0 src1_sel:DWORD
	v_bfrev_b32_e32 v0, 1
	buffer_store_dword v0, off, s[0:3], s32 offset:296 ; 4-byte Folded Spill
	s_and_saveexec_b64 s[40:41], s[42:43]
	s_cbranch_execz .LBB318_502
; %bb.499:                              ;   in Loop: Header=BB318_12 Depth=1
	v_and_b32_e32 v3, 0x7f, v8
	v_cmp_ne_u32_e32 vcc, s45, v3
	v_mov_b32_e32 v0, 0x7f800001
	buffer_store_dword v0, off, s[0:3], s32 offset:296 ; 4-byte Folded Spill
	s_and_saveexec_b64 s[42:43], vcc
	s_cbranch_execz .LBB318_501
; %bb.500:                              ;   in Loop: Header=BB318_12 Depth=1
	v_and_b32_e32 v5, 7, v8
	v_lshrrev_b32_e32 v7, 3, v3
	v_cmp_gt_u32_e32 vcc, 8, v3
	v_ffbh_u32_e32 v3, v5
	v_min_u32_e32 v11, 32, v3
	v_subrev_u32_e32 v3, 28, v11
	v_lshlrev_b64 v[3:4], v3, v[8:9]
	v_sub_u32_e32 v4, 29, v11
	v_cndmask_b32_e32 v4, v7, v4, vcc
	buffer_load_dword v7, off, s[0:3], s32 offset:420 ; 4-byte Folded Reload
	v_and_b32_e32 v3, 7, v3
	v_cndmask_b32_e32 v3, v5, v3, vcc
	v_lshlrev_b32_e32 v5, 24, v8
	v_bfrev_b32_e32 v0, 60
	v_lshlrev_b32_e32 v3, 20, v3
	v_and_b32_e32 v5, 0x80000000, v5
	v_lshl_add_u32 v4, v4, 23, v0
	v_or3_b32 v0, v5, v4, v3
	buffer_store_dword v0, off, s[0:3], s32 offset:296 ; 4-byte Folded Spill
.LBB318_501:                            ;   in Loop: Header=BB318_12 Depth=1
	s_or_b64 exec, exec, s[42:43]
.LBB318_502:                            ;   in Loop: Header=BB318_12 Depth=1
	s_or_b64 exec, exec, s[40:41]
.LBB318_503:                            ;   in Loop: Header=BB318_12 Depth=1
	s_or_b64 exec, exec, s[28:29]
	v_lshrrev_b16_e32 v17, 8, v8
	v_cmp_ne_u16_e32 vcc, 0, v17
	s_and_saveexec_b64 s[28:29], vcc
	s_cbranch_execz .LBB318_509
; %bb.504:                              ;   in Loop: Header=BB318_12 Depth=1
	v_cmp_ne_u16_e32 vcc, s44, v17
	v_bfrev_b32_e32 v0, 1
	buffer_store_dword v0, off, s[0:3], s32 offset:300 ; 4-byte Folded Spill
	s_and_saveexec_b64 s[40:41], vcc
	s_cbranch_execz .LBB318_508
; %bb.505:                              ;   in Loop: Header=BB318_12 Depth=1
	v_and_b32_e32 v3, 0x7f, v17
	v_cmp_ne_u32_e32 vcc, s45, v3
	v_mov_b32_e32 v0, 0x7f800001
	buffer_store_dword v0, off, s[0:3], s32 offset:300 ; 4-byte Folded Spill
	s_and_saveexec_b64 s[42:43], vcc
	s_cbranch_execz .LBB318_507
; %bb.506:                              ;   in Loop: Header=BB318_12 Depth=1
	v_and_b32_e32 v5, 7, v17
	s_waitcnt vmcnt(3)
	v_lshrrev_b32_e32 v7, 3, v3
	v_cmp_gt_u32_e32 vcc, 8, v3
	v_ffbh_u32_e32 v3, v5
	v_min_u32_e32 v11, 32, v3
	v_subrev_u32_e32 v3, 28, v11
	v_lshlrev_b64 v[3:4], v3, v[17:18]
	v_sub_u32_e32 v4, 29, v11
	v_cndmask_b32_e32 v4, v7, v4, vcc
	buffer_load_dword v7, off, s[0:3], s32 offset:420 ; 4-byte Folded Reload
	v_and_b32_e32 v3, 7, v3
	v_cndmask_b32_e32 v3, v5, v3, vcc
	v_lshlrev_b32_e32 v5, 16, v8
	v_bfrev_b32_e32 v0, 60
	v_lshlrev_b32_e32 v3, 20, v3
	v_and_b32_e32 v5, 0x80000000, v5
	v_lshl_add_u32 v4, v4, 23, v0
	v_or3_b32 v0, v5, v4, v3
	buffer_store_dword v0, off, s[0:3], s32 offset:300 ; 4-byte Folded Spill
.LBB318_507:                            ;   in Loop: Header=BB318_12 Depth=1
	s_or_b64 exec, exec, s[42:43]
.LBB318_508:                            ;   in Loop: Header=BB318_12 Depth=1
	s_or_b64 exec, exec, s[40:41]
.LBB318_509:                            ;   in Loop: Header=BB318_12 Depth=1
	s_or_b64 exec, exec, s[28:29]
	v_lshrrev_b32_e32 v17, 16, v8
	v_mov_b32_e32 v0, 0
	v_cmp_ne_u16_sdwa s[40:41], v17, v0 src0_sel:BYTE_0 src1_sel:DWORD
	v_mov_b32_e32 v21, 0
	v_mov_b32_e32 v0, 0
	buffer_store_dword v0, off, s[0:3], s32 offset:308 ; 4-byte Folded Spill
	s_and_saveexec_b64 s[28:29], s[40:41]
	s_cbranch_execz .LBB318_515
; %bb.510:                              ;   in Loop: Header=BB318_12 Depth=1
	v_cmp_ne_u16_sdwa s[42:43], v17, s44 src0_sel:BYTE_0 src1_sel:DWORD
	v_bfrev_b32_e32 v0, 1
	buffer_store_dword v0, off, s[0:3], s32 offset:308 ; 4-byte Folded Spill
	s_and_saveexec_b64 s[40:41], s[42:43]
	s_cbranch_execz .LBB318_514
; %bb.511:                              ;   in Loop: Header=BB318_12 Depth=1
	v_bfe_u32 v3, v8, 16, 7
	v_cmp_ne_u32_e32 vcc, s45, v3
	v_mov_b32_e32 v0, 0x7f800001
	buffer_store_dword v0, off, s[0:3], s32 offset:308 ; 4-byte Folded Spill
	s_and_saveexec_b64 s[42:43], vcc
	s_cbranch_execz .LBB318_513
; %bb.512:                              ;   in Loop: Header=BB318_12 Depth=1
	v_and_b32_e32 v5, 7, v17
	s_waitcnt vmcnt(4)
	v_lshrrev_b32_e32 v7, 3, v3
	v_cmp_gt_u32_e32 vcc, 8, v3
	v_ffbh_u32_e32 v3, v5
	v_min_u32_e32 v11, 32, v3
	v_subrev_u32_e32 v3, 28, v11
	v_lshlrev_b64 v[3:4], v3, v[17:18]
	v_sub_u32_e32 v4, 29, v11
	v_cndmask_b32_e32 v4, v7, v4, vcc
	buffer_load_dword v7, off, s[0:3], s32 offset:420 ; 4-byte Folded Reload
	v_and_b32_e32 v3, 7, v3
	v_cndmask_b32_e32 v3, v5, v3, vcc
	v_lshlrev_b32_e32 v5, 24, v17
	v_bfrev_b32_e32 v0, 60
	v_lshlrev_b32_e32 v3, 20, v3
	v_and_b32_e32 v5, 0x80000000, v5
	v_lshl_add_u32 v4, v4, 23, v0
	v_or3_b32 v0, v5, v4, v3
	buffer_store_dword v0, off, s[0:3], s32 offset:308 ; 4-byte Folded Spill
.LBB318_513:                            ;   in Loop: Header=BB318_12 Depth=1
	s_or_b64 exec, exec, s[42:43]
.LBB318_514:                            ;   in Loop: Header=BB318_12 Depth=1
	s_or_b64 exec, exec, s[40:41]
.LBB318_515:                            ;   in Loop: Header=BB318_12 Depth=1
	s_or_b64 exec, exec, s[28:29]
	v_cmp_lt_u32_e32 vcc, s46, v8
	s_and_saveexec_b64 s[28:29], vcc
	s_cbranch_execz .LBB318_521
; %bb.516:                              ;   in Loop: Header=BB318_12 Depth=1
	v_lshrrev_b32_e32 v17, 24, v8
	v_cmp_ne_u32_e32 vcc, s44, v17
	v_bfrev_b32_e32 v21, 1
	s_and_saveexec_b64 s[40:41], vcc
	s_cbranch_execz .LBB318_520
; %bb.517:                              ;   in Loop: Header=BB318_12 Depth=1
	v_bfe_u32 v3, v8, 24, 7
	v_cmp_ne_u32_e32 vcc, s45, v3
	v_mov_b32_e32 v21, 0x7f800001
	s_and_saveexec_b64 s[42:43], vcc
	s_cbranch_execz .LBB318_519
; %bb.518:                              ;   in Loop: Header=BB318_12 Depth=1
	v_and_b32_e32 v5, 7, v17
	v_lshrrev_b32_e32 v8, 3, v3
	v_cmp_gt_u32_e32 vcc, 8, v3
	v_ffbh_u32_e32 v3, v5
	v_min_u32_e32 v11, 32, v3
	v_subrev_u32_e32 v3, 28, v11
	v_lshlrev_b64 v[3:4], v3, v[17:18]
	v_sub_u32_e32 v4, 29, v11
	v_and_b32_e32 v3, 7, v3
	v_cndmask_b32_e32 v4, v8, v4, vcc
	v_cndmask_b32_e32 v3, v5, v3, vcc
	v_lshlrev_b32_e32 v5, 24, v17
	v_bfrev_b32_e32 v0, 60
	v_lshlrev_b32_e32 v3, 20, v3
	v_and_b32_e32 v5, 0x80000000, v5
	v_lshl_add_u32 v4, v4, 23, v0
	v_or3_b32 v21, v5, v4, v3
.LBB318_519:                            ;   in Loop: Header=BB318_12 Depth=1
	s_or_b64 exec, exec, s[42:43]
.LBB318_520:                            ;   in Loop: Header=BB318_12 Depth=1
	s_or_b64 exec, exec, s[40:41]
.LBB318_521:                            ;   in Loop: Header=BB318_12 Depth=1
	s_or_b64 exec, exec, s[28:29]
	buffer_load_dword v0, off, s[0:3], s32 offset:72 ; 4-byte Folded Reload
	s_waitcnt vmcnt(0)
	v_add_co_u32_e32 v1, vcc, v1, v0
	v_addc_co_u32_e32 v2, vcc, 0, v2, vcc
	flat_load_dword v8, v[1:2]
	v_mov_b32_e32 v0, 0
	buffer_store_dword v0, off, s[0:3], s32 offset:316 ; 4-byte Folded Spill
	v_mov_b32_e32 v0, 0
	s_waitcnt vmcnt(0) lgkmcnt(0)
	v_cmp_ne_u16_sdwa s[40:41], v8, v0 src0_sel:BYTE_0 src1_sel:DWORD
	v_mov_b32_e32 v0, 0
	buffer_store_dword v0, off, s[0:3], s32 offset:312 ; 4-byte Folded Spill
	s_and_saveexec_b64 s[28:29], s[40:41]
	s_cbranch_execz .LBB318_527
; %bb.522:                              ;   in Loop: Header=BB318_12 Depth=1
	v_cmp_ne_u16_sdwa s[42:43], v8, s44 src0_sel:BYTE_0 src1_sel:DWORD
	v_bfrev_b32_e32 v0, 1
	buffer_store_dword v0, off, s[0:3], s32 offset:312 ; 4-byte Folded Spill
	s_and_saveexec_b64 s[40:41], s[42:43]
	s_cbranch_execz .LBB318_526
; %bb.523:                              ;   in Loop: Header=BB318_12 Depth=1
	v_and_b32_e32 v1, 0x7f, v8
	v_cmp_ne_u32_e32 vcc, s45, v1
	v_mov_b32_e32 v0, 0x7f800001
	buffer_store_dword v0, off, s[0:3], s32 offset:312 ; 4-byte Folded Spill
	s_and_saveexec_b64 s[42:43], vcc
	s_cbranch_execz .LBB318_525
; %bb.524:                              ;   in Loop: Header=BB318_12 Depth=1
	v_and_b32_e32 v3, 7, v8
	v_lshrrev_b32_e32 v4, 3, v1
	v_cmp_gt_u32_e32 vcc, 8, v1
	v_ffbh_u32_e32 v1, v3
	v_min_u32_e32 v5, 32, v1
	v_subrev_u32_e32 v1, 28, v5
	v_lshlrev_b64 v[1:2], v1, v[8:9]
	v_sub_u32_e32 v2, 29, v5
	v_and_b32_e32 v1, 7, v1
	v_cndmask_b32_e32 v2, v4, v2, vcc
	v_cndmask_b32_e32 v1, v3, v1, vcc
	v_lshlrev_b32_e32 v3, 24, v8
	v_bfrev_b32_e32 v0, 60
	v_lshlrev_b32_e32 v1, 20, v1
	v_and_b32_e32 v3, 0x80000000, v3
	v_lshl_add_u32 v2, v2, 23, v0
	v_or3_b32 v0, v3, v2, v1
	buffer_store_dword v0, off, s[0:3], s32 offset:312 ; 4-byte Folded Spill
.LBB318_525:                            ;   in Loop: Header=BB318_12 Depth=1
	s_or_b64 exec, exec, s[42:43]
.LBB318_526:                            ;   in Loop: Header=BB318_12 Depth=1
	s_or_b64 exec, exec, s[40:41]
.LBB318_527:                            ;   in Loop: Header=BB318_12 Depth=1
	s_or_b64 exec, exec, s[28:29]
	v_lshrrev_b16_e32 v17, 8, v8
	v_cmp_ne_u16_e32 vcc, 0, v17
	s_and_saveexec_b64 s[28:29], vcc
	s_cbranch_execz .LBB318_533
; %bb.528:                              ;   in Loop: Header=BB318_12 Depth=1
	v_cmp_ne_u16_e32 vcc, s44, v17
	v_bfrev_b32_e32 v0, 1
	buffer_store_dword v0, off, s[0:3], s32 offset:316 ; 4-byte Folded Spill
	s_and_saveexec_b64 s[40:41], vcc
	s_cbranch_execz .LBB318_532
; %bb.529:                              ;   in Loop: Header=BB318_12 Depth=1
	v_and_b32_e32 v1, 0x7f, v17
	v_cmp_ne_u32_e32 vcc, s45, v1
	v_mov_b32_e32 v0, 0x7f800001
	buffer_store_dword v0, off, s[0:3], s32 offset:316 ; 4-byte Folded Spill
	s_and_saveexec_b64 s[42:43], vcc
	s_cbranch_execz .LBB318_531
; %bb.530:                              ;   in Loop: Header=BB318_12 Depth=1
	v_and_b32_e32 v3, 7, v17
	v_lshrrev_b32_e32 v4, 3, v1
	v_cmp_gt_u32_e32 vcc, 8, v1
	v_ffbh_u32_e32 v1, v3
	v_min_u32_e32 v5, 32, v1
	v_subrev_u32_e32 v1, 28, v5
	v_lshlrev_b64 v[1:2], v1, v[17:18]
	v_sub_u32_e32 v2, 29, v5
	v_and_b32_e32 v1, 7, v1
	v_cndmask_b32_e32 v2, v4, v2, vcc
	v_cndmask_b32_e32 v1, v3, v1, vcc
	v_lshlrev_b32_e32 v3, 16, v8
	v_bfrev_b32_e32 v0, 60
	v_lshlrev_b32_e32 v1, 20, v1
	v_and_b32_e32 v3, 0x80000000, v3
	v_lshl_add_u32 v2, v2, 23, v0
	v_or3_b32 v0, v3, v2, v1
	buffer_store_dword v0, off, s[0:3], s32 offset:316 ; 4-byte Folded Spill
.LBB318_531:                            ;   in Loop: Header=BB318_12 Depth=1
	s_or_b64 exec, exec, s[42:43]
.LBB318_532:                            ;   in Loop: Header=BB318_12 Depth=1
	s_or_b64 exec, exec, s[40:41]
.LBB318_533:                            ;   in Loop: Header=BB318_12 Depth=1
	s_or_b64 exec, exec, s[28:29]
	v_lshrrev_b32_e32 v17, 16, v8
	v_mov_b32_e32 v0, 0
	v_cmp_ne_u16_sdwa s[40:41], v17, v0 src0_sel:BYTE_0 src1_sel:DWORD
	v_mov_b32_e32 v23, 0
	v_mov_b32_e32 v0, 0
	buffer_store_dword v0, off, s[0:3], s32 offset:324 ; 4-byte Folded Spill
	s_and_saveexec_b64 s[28:29], s[40:41]
	s_cbranch_execz .LBB318_539
; %bb.534:                              ;   in Loop: Header=BB318_12 Depth=1
	v_cmp_ne_u16_sdwa s[42:43], v17, s44 src0_sel:BYTE_0 src1_sel:DWORD
	v_bfrev_b32_e32 v0, 1
	buffer_store_dword v0, off, s[0:3], s32 offset:324 ; 4-byte Folded Spill
	s_and_saveexec_b64 s[40:41], s[42:43]
	s_cbranch_execz .LBB318_538
; %bb.535:                              ;   in Loop: Header=BB318_12 Depth=1
	v_bfe_u32 v1, v8, 16, 7
	v_cmp_ne_u32_e32 vcc, s45, v1
	v_mov_b32_e32 v0, 0x7f800001
	buffer_store_dword v0, off, s[0:3], s32 offset:324 ; 4-byte Folded Spill
	s_and_saveexec_b64 s[42:43], vcc
	s_cbranch_execz .LBB318_537
; %bb.536:                              ;   in Loop: Header=BB318_12 Depth=1
	v_and_b32_e32 v3, 7, v17
	v_lshrrev_b32_e32 v4, 3, v1
	v_cmp_gt_u32_e32 vcc, 8, v1
	v_ffbh_u32_e32 v1, v3
	v_min_u32_e32 v5, 32, v1
	v_subrev_u32_e32 v1, 28, v5
	v_lshlrev_b64 v[1:2], v1, v[17:18]
	v_sub_u32_e32 v2, 29, v5
	v_and_b32_e32 v1, 7, v1
	v_cndmask_b32_e32 v2, v4, v2, vcc
	v_cndmask_b32_e32 v1, v3, v1, vcc
	v_lshlrev_b32_e32 v3, 24, v17
	v_bfrev_b32_e32 v0, 60
	v_lshlrev_b32_e32 v1, 20, v1
	v_and_b32_e32 v3, 0x80000000, v3
	v_lshl_add_u32 v2, v2, 23, v0
	v_or3_b32 v0, v3, v2, v1
	buffer_store_dword v0, off, s[0:3], s32 offset:324 ; 4-byte Folded Spill
.LBB318_537:                            ;   in Loop: Header=BB318_12 Depth=1
	s_or_b64 exec, exec, s[42:43]
.LBB318_538:                            ;   in Loop: Header=BB318_12 Depth=1
	s_or_b64 exec, exec, s[40:41]
.LBB318_539:                            ;   in Loop: Header=BB318_12 Depth=1
	s_or_b64 exec, exec, s[28:29]
	v_cmp_lt_u32_e32 vcc, s46, v8
	s_and_saveexec_b64 s[28:29], vcc
	s_cbranch_execz .LBB318_545
; %bb.540:                              ;   in Loop: Header=BB318_12 Depth=1
	v_lshrrev_b32_e32 v17, 24, v8
	v_cmp_ne_u32_e32 vcc, s44, v17
	v_bfrev_b32_e32 v23, 1
	s_and_saveexec_b64 s[40:41], vcc
	s_cbranch_execz .LBB318_544
; %bb.541:                              ;   in Loop: Header=BB318_12 Depth=1
	v_bfe_u32 v1, v8, 24, 7
	v_cmp_ne_u32_e32 vcc, s45, v1
	v_mov_b32_e32 v23, 0x7f800001
	s_and_saveexec_b64 s[42:43], vcc
	s_cbranch_execz .LBB318_543
; %bb.542:                              ;   in Loop: Header=BB318_12 Depth=1
	v_and_b32_e32 v3, 7, v17
	v_lshrrev_b32_e32 v4, 3, v1
	v_cmp_gt_u32_e32 vcc, 8, v1
	v_ffbh_u32_e32 v1, v3
	v_min_u32_e32 v5, 32, v1
	v_subrev_u32_e32 v1, 28, v5
	v_lshlrev_b64 v[1:2], v1, v[17:18]
	v_sub_u32_e32 v2, 29, v5
	v_and_b32_e32 v1, 7, v1
	v_cndmask_b32_e32 v2, v4, v2, vcc
	v_cndmask_b32_e32 v1, v3, v1, vcc
	v_lshlrev_b32_e32 v3, 24, v17
	v_bfrev_b32_e32 v0, 60
	v_lshlrev_b32_e32 v1, 20, v1
	v_and_b32_e32 v3, 0x80000000, v3
	v_lshl_add_u32 v2, v2, 23, v0
	v_or3_b32 v23, v3, v2, v1
.LBB318_543:                            ;   in Loop: Header=BB318_12 Depth=1
	s_or_b64 exec, exec, s[42:43]
.LBB318_544:                            ;   in Loop: Header=BB318_12 Depth=1
	s_or_b64 exec, exec, s[40:41]
.LBB318_545:                            ;   in Loop: Header=BB318_12 Depth=1
	s_or_b64 exec, exec, s[28:29]
	buffer_load_dword v0, off, s[0:3], s32 offset:68 ; 4-byte Folded Reload
	v_add_co_u32_e32 v2, vcc, 0x1600, v39
	v_addc_co_u32_e32 v3, vcc, 0, v40, vcc
	s_waitcnt vmcnt(0)
	v_add_co_u32_e32 v4, vcc, v2, v0
	v_addc_co_u32_e32 v5, vcc, 0, v3, vcc
	flat_load_dword v8, v[4:5]
	v_mov_b32_e32 v0, 0
	buffer_store_dword v0, off, s[0:3], s32 offset:332 ; 4-byte Folded Spill
	v_mov_b32_e32 v0, 0
	s_waitcnt vmcnt(0) lgkmcnt(0)
	v_cmp_ne_u16_sdwa s[40:41], v8, v0 src0_sel:BYTE_0 src1_sel:DWORD
	v_mov_b32_e32 v0, 0
	buffer_store_dword v0, off, s[0:3], s32 offset:328 ; 4-byte Folded Spill
	s_and_saveexec_b64 s[28:29], s[40:41]
	s_cbranch_execz .LBB318_551
; %bb.546:                              ;   in Loop: Header=BB318_12 Depth=1
	v_cmp_ne_u16_sdwa s[42:43], v8, s44 src0_sel:BYTE_0 src1_sel:DWORD
	v_bfrev_b32_e32 v0, 1
	buffer_store_dword v0, off, s[0:3], s32 offset:328 ; 4-byte Folded Spill
	s_and_saveexec_b64 s[40:41], s[42:43]
	s_cbranch_execz .LBB318_550
; %bb.547:                              ;   in Loop: Header=BB318_12 Depth=1
	v_and_b32_e32 v4, 0x7f, v8
	v_cmp_ne_u32_e32 vcc, s45, v4
	v_mov_b32_e32 v0, 0x7f800001
	buffer_store_dword v0, off, s[0:3], s32 offset:328 ; 4-byte Folded Spill
	s_and_saveexec_b64 s[42:43], vcc
	s_cbranch_execz .LBB318_549
; %bb.548:                              ;   in Loop: Header=BB318_12 Depth=1
	v_and_b32_e32 v11, 7, v8
	v_lshrrev_b32_e32 v12, 3, v4
	v_cmp_gt_u32_e32 vcc, 8, v4
	v_ffbh_u32_e32 v4, v11
	v_min_u32_e32 v13, 32, v4
	v_subrev_u32_e32 v4, 28, v13
	v_lshlrev_b64 v[4:5], v4, v[8:9]
	v_sub_u32_e32 v5, 29, v13
	v_and_b32_e32 v4, 7, v4
	v_cndmask_b32_e32 v5, v12, v5, vcc
	v_cndmask_b32_e32 v4, v11, v4, vcc
	v_lshlrev_b32_e32 v11, 24, v8
	v_bfrev_b32_e32 v0, 60
	v_lshlrev_b32_e32 v4, 20, v4
	v_and_b32_e32 v11, 0x80000000, v11
	v_lshl_add_u32 v5, v5, 23, v0
	v_or3_b32 v0, v11, v5, v4
	buffer_store_dword v0, off, s[0:3], s32 offset:328 ; 4-byte Folded Spill
.LBB318_549:                            ;   in Loop: Header=BB318_12 Depth=1
	s_or_b64 exec, exec, s[42:43]
.LBB318_550:                            ;   in Loop: Header=BB318_12 Depth=1
	s_or_b64 exec, exec, s[40:41]
.LBB318_551:                            ;   in Loop: Header=BB318_12 Depth=1
	s_or_b64 exec, exec, s[28:29]
	v_lshrrev_b16_e32 v17, 8, v8
	v_cmp_ne_u16_e32 vcc, 0, v17
	s_and_saveexec_b64 s[28:29], vcc
	s_cbranch_execz .LBB318_557
; %bb.552:                              ;   in Loop: Header=BB318_12 Depth=1
	v_cmp_ne_u16_e32 vcc, s44, v17
	v_bfrev_b32_e32 v0, 1
	buffer_store_dword v0, off, s[0:3], s32 offset:332 ; 4-byte Folded Spill
	s_and_saveexec_b64 s[40:41], vcc
	s_cbranch_execz .LBB318_556
; %bb.553:                              ;   in Loop: Header=BB318_12 Depth=1
	v_and_b32_e32 v4, 0x7f, v17
	v_cmp_ne_u32_e32 vcc, s45, v4
	v_mov_b32_e32 v0, 0x7f800001
	buffer_store_dword v0, off, s[0:3], s32 offset:332 ; 4-byte Folded Spill
	s_and_saveexec_b64 s[42:43], vcc
	s_cbranch_execz .LBB318_555
; %bb.554:                              ;   in Loop: Header=BB318_12 Depth=1
	v_and_b32_e32 v1, 7, v17
	v_lshrrev_b32_e32 v11, 3, v4
	v_cmp_gt_u32_e32 vcc, 8, v4
	v_ffbh_u32_e32 v4, v1
	v_min_u32_e32 v12, 32, v4
	v_subrev_u32_e32 v4, 28, v12
	v_lshlrev_b64 v[4:5], v4, v[17:18]
	v_sub_u32_e32 v5, 29, v12
	v_and_b32_e32 v4, 7, v4
	v_cndmask_b32_e32 v5, v11, v5, vcc
	v_cndmask_b32_e32 v1, v1, v4, vcc
	v_lshlrev_b32_e32 v4, 16, v8
	v_bfrev_b32_e32 v0, 60
	v_lshlrev_b32_e32 v1, 20, v1
	v_and_b32_e32 v4, 0x80000000, v4
	v_lshl_add_u32 v5, v5, 23, v0
	v_or3_b32 v0, v4, v5, v1
	buffer_store_dword v0, off, s[0:3], s32 offset:332 ; 4-byte Folded Spill
.LBB318_555:                            ;   in Loop: Header=BB318_12 Depth=1
	s_or_b64 exec, exec, s[42:43]
.LBB318_556:                            ;   in Loop: Header=BB318_12 Depth=1
	s_or_b64 exec, exec, s[40:41]
.LBB318_557:                            ;   in Loop: Header=BB318_12 Depth=1
	s_or_b64 exec, exec, s[28:29]
	v_lshrrev_b32_e32 v17, 16, v8
	v_mov_b32_e32 v0, 0
	v_cmp_ne_u16_sdwa s[40:41], v17, v0 src0_sel:BYTE_0 src1_sel:DWORD
	v_mov_b32_e32 v11, 0
	v_mov_b32_e32 v0, 0
	buffer_store_dword v0, off, s[0:3], s32 offset:340 ; 4-byte Folded Spill
	s_and_saveexec_b64 s[28:29], s[40:41]
	s_cbranch_execz .LBB318_563
; %bb.558:                              ;   in Loop: Header=BB318_12 Depth=1
	v_cmp_ne_u16_sdwa s[42:43], v17, s44 src0_sel:BYTE_0 src1_sel:DWORD
	v_bfrev_b32_e32 v0, 1
	buffer_store_dword v0, off, s[0:3], s32 offset:340 ; 4-byte Folded Spill
	s_and_saveexec_b64 s[40:41], s[42:43]
	s_cbranch_execz .LBB318_562
; %bb.559:                              ;   in Loop: Header=BB318_12 Depth=1
	v_bfe_u32 v4, v8, 16, 7
	v_cmp_ne_u32_e32 vcc, s45, v4
	v_mov_b32_e32 v0, 0x7f800001
	buffer_store_dword v0, off, s[0:3], s32 offset:340 ; 4-byte Folded Spill
	s_and_saveexec_b64 s[42:43], vcc
	s_cbranch_execz .LBB318_561
; %bb.560:                              ;   in Loop: Header=BB318_12 Depth=1
	v_and_b32_e32 v11, 7, v17
	v_lshrrev_b32_e32 v12, 3, v4
	v_cmp_gt_u32_e32 vcc, 8, v4
	v_ffbh_u32_e32 v4, v11
	v_min_u32_e32 v13, 32, v4
	v_subrev_u32_e32 v4, 28, v13
	v_lshlrev_b64 v[4:5], v4, v[17:18]
	v_sub_u32_e32 v5, 29, v13
	v_and_b32_e32 v4, 7, v4
	v_cndmask_b32_e32 v5, v12, v5, vcc
	v_cndmask_b32_e32 v4, v11, v4, vcc
	v_lshlrev_b32_e32 v11, 24, v17
	v_bfrev_b32_e32 v0, 60
	v_lshlrev_b32_e32 v4, 20, v4
	v_and_b32_e32 v11, 0x80000000, v11
	v_lshl_add_u32 v5, v5, 23, v0
	v_or3_b32 v0, v11, v5, v4
	v_mov_b32_e32 v11, 0
	buffer_store_dword v0, off, s[0:3], s32 offset:340 ; 4-byte Folded Spill
.LBB318_561:                            ;   in Loop: Header=BB318_12 Depth=1
	s_or_b64 exec, exec, s[42:43]
.LBB318_562:                            ;   in Loop: Header=BB318_12 Depth=1
	s_or_b64 exec, exec, s[40:41]
.LBB318_563:                            ;   in Loop: Header=BB318_12 Depth=1
	s_or_b64 exec, exec, s[28:29]
	v_cmp_lt_u32_e32 vcc, s46, v8
	s_and_saveexec_b64 s[28:29], vcc
	s_cbranch_execz .LBB318_569
; %bb.564:                              ;   in Loop: Header=BB318_12 Depth=1
	v_lshrrev_b32_e32 v17, 24, v8
	v_cmp_ne_u32_e32 vcc, s44, v17
	v_bfrev_b32_e32 v11, 1
	s_and_saveexec_b64 s[40:41], vcc
	s_cbranch_execz .LBB318_568
; %bb.565:                              ;   in Loop: Header=BB318_12 Depth=1
	v_bfe_u32 v4, v8, 24, 7
	v_cmp_ne_u32_e32 vcc, s45, v4
	v_mov_b32_e32 v11, 0x7f800001
	s_and_saveexec_b64 s[42:43], vcc
	s_cbranch_execz .LBB318_567
; %bb.566:                              ;   in Loop: Header=BB318_12 Depth=1
	v_and_b32_e32 v8, 7, v17
	v_lshrrev_b32_e32 v11, 3, v4
	v_cmp_gt_u32_e32 vcc, 8, v4
	v_ffbh_u32_e32 v4, v8
	v_min_u32_e32 v12, 32, v4
	v_subrev_u32_e32 v4, 28, v12
	v_lshlrev_b64 v[4:5], v4, v[17:18]
	v_sub_u32_e32 v5, 29, v12
	v_and_b32_e32 v4, 7, v4
	v_cndmask_b32_e32 v5, v11, v5, vcc
	v_cndmask_b32_e32 v4, v8, v4, vcc
	v_lshlrev_b32_e32 v8, 24, v17
	v_bfrev_b32_e32 v0, 60
	v_lshlrev_b32_e32 v4, 20, v4
	v_and_b32_e32 v8, 0x80000000, v8
	v_lshl_add_u32 v5, v5, 23, v0
	v_or3_b32 v11, v8, v5, v4
.LBB318_567:                            ;   in Loop: Header=BB318_12 Depth=1
	s_or_b64 exec, exec, s[42:43]
.LBB318_568:                            ;   in Loop: Header=BB318_12 Depth=1
	s_or_b64 exec, exec, s[40:41]
.LBB318_569:                            ;   in Loop: Header=BB318_12 Depth=1
	s_or_b64 exec, exec, s[28:29]
	buffer_load_dword v0, off, s[0:3], s32 offset:72 ; 4-byte Folded Reload
	s_waitcnt vmcnt(0)
	v_add_co_u32_e32 v2, vcc, v2, v0
	v_addc_co_u32_e32 v3, vcc, 0, v3, vcc
	flat_load_dword v8, v[2:3]
	v_mov_b32_e32 v0, 0
	buffer_store_dword v0, off, s[0:3], s32 offset:348 ; 4-byte Folded Spill
	v_mov_b32_e32 v0, 0
	s_waitcnt vmcnt(0) lgkmcnt(0)
	v_cmp_ne_u16_sdwa s[40:41], v8, v0 src0_sel:BYTE_0 src1_sel:DWORD
	v_mov_b32_e32 v0, 0
	buffer_store_dword v0, off, s[0:3], s32 offset:344 ; 4-byte Folded Spill
	s_mov_b64 s[28:29], exec
	s_and_b64 s[40:41], s[28:29], s[40:41]
	v_mov_b32_e32 v19, v11
	s_mov_b64 exec, s[40:41]
	s_cbranch_execz .LBB318_575
; %bb.570:                              ;   in Loop: Header=BB318_12 Depth=1
	v_cmp_ne_u16_sdwa s[42:43], v8, s44 src0_sel:BYTE_0 src1_sel:DWORD
	v_bfrev_b32_e32 v0, 1
	buffer_store_dword v0, off, s[0:3], s32 offset:344 ; 4-byte Folded Spill
	s_and_saveexec_b64 s[40:41], s[42:43]
	s_cbranch_execz .LBB318_574
; %bb.571:                              ;   in Loop: Header=BB318_12 Depth=1
	v_and_b32_e32 v2, 0x7f, v8
	v_cmp_ne_u32_e32 vcc, s45, v2
	v_mov_b32_e32 v0, 0x7f800001
	buffer_store_dword v0, off, s[0:3], s32 offset:344 ; 4-byte Folded Spill
	s_and_saveexec_b64 s[42:43], vcc
	s_cbranch_execz .LBB318_573
; %bb.572:                              ;   in Loop: Header=BB318_12 Depth=1
	v_and_b32_e32 v4, 7, v8
	v_lshrrev_b32_e32 v5, 3, v2
	v_cmp_gt_u32_e32 vcc, 8, v2
	v_ffbh_u32_e32 v2, v4
	v_min_u32_e32 v11, 32, v2
	v_subrev_u32_e32 v2, 28, v11
	v_lshlrev_b64 v[2:3], v2, v[8:9]
	v_sub_u32_e32 v3, 29, v11
	v_and_b32_e32 v2, 7, v2
	v_cndmask_b32_e32 v3, v5, v3, vcc
	v_cndmask_b32_e32 v2, v4, v2, vcc
	v_lshlrev_b32_e32 v4, 24, v8
	v_bfrev_b32_e32 v0, 60
	v_lshlrev_b32_e32 v2, 20, v2
	v_and_b32_e32 v4, 0x80000000, v4
	v_lshl_add_u32 v3, v3, 23, v0
	v_mov_b32_e32 v11, v19
	v_or3_b32 v0, v4, v3, v2
	buffer_store_dword v0, off, s[0:3], s32 offset:344 ; 4-byte Folded Spill
.LBB318_573:                            ;   in Loop: Header=BB318_12 Depth=1
	s_or_b64 exec, exec, s[42:43]
.LBB318_574:                            ;   in Loop: Header=BB318_12 Depth=1
	s_or_b64 exec, exec, s[40:41]
.LBB318_575:                            ;   in Loop: Header=BB318_12 Depth=1
	s_or_b64 exec, exec, s[28:29]
	v_lshrrev_b16_e32 v17, 8, v8
	v_cmp_ne_u16_e32 vcc, 0, v17
	s_and_saveexec_b64 s[28:29], vcc
	s_cbranch_execz .LBB318_581
; %bb.576:                              ;   in Loop: Header=BB318_12 Depth=1
	v_cmp_ne_u16_e32 vcc, s44, v17
	v_bfrev_b32_e32 v0, 1
	buffer_store_dword v0, off, s[0:3], s32 offset:348 ; 4-byte Folded Spill
	s_and_saveexec_b64 s[40:41], vcc
	s_cbranch_execz .LBB318_580
; %bb.577:                              ;   in Loop: Header=BB318_12 Depth=1
	v_and_b32_e32 v2, 0x7f, v17
	v_cmp_ne_u32_e32 vcc, s45, v2
	v_mov_b32_e32 v0, 0x7f800001
	buffer_store_dword v0, off, s[0:3], s32 offset:348 ; 4-byte Folded Spill
	s_and_saveexec_b64 s[42:43], vcc
	s_cbranch_execz .LBB318_579
; %bb.578:                              ;   in Loop: Header=BB318_12 Depth=1
	v_and_b32_e32 v4, 7, v17
	v_lshrrev_b32_e32 v5, 3, v2
	v_cmp_gt_u32_e32 vcc, 8, v2
	v_ffbh_u32_e32 v2, v4
	v_min_u32_e32 v11, 32, v2
	v_subrev_u32_e32 v2, 28, v11
	v_lshlrev_b64 v[2:3], v2, v[17:18]
	v_sub_u32_e32 v3, 29, v11
	v_and_b32_e32 v2, 7, v2
	v_cndmask_b32_e32 v3, v5, v3, vcc
	v_cndmask_b32_e32 v2, v4, v2, vcc
	v_lshlrev_b32_e32 v4, 16, v8
	v_bfrev_b32_e32 v0, 60
	v_lshlrev_b32_e32 v2, 20, v2
	v_and_b32_e32 v4, 0x80000000, v4
	v_lshl_add_u32 v3, v3, 23, v0
	v_mov_b32_e32 v11, v19
	v_or3_b32 v0, v4, v3, v2
	buffer_store_dword v0, off, s[0:3], s32 offset:348 ; 4-byte Folded Spill
.LBB318_579:                            ;   in Loop: Header=BB318_12 Depth=1
	s_or_b64 exec, exec, s[42:43]
.LBB318_580:                            ;   in Loop: Header=BB318_12 Depth=1
	s_or_b64 exec, exec, s[40:41]
.LBB318_581:                            ;   in Loop: Header=BB318_12 Depth=1
	s_or_b64 exec, exec, s[28:29]
	v_lshrrev_b32_e32 v17, 16, v8
	v_mov_b32_e32 v0, 0
	v_cmp_ne_u16_sdwa s[40:41], v17, v0 src0_sel:BYTE_0 src1_sel:DWORD
	v_mov_b32_e32 v10, 0
	v_mov_b32_e32 v0, 0
	buffer_store_dword v0, off, s[0:3], s32 offset:356 ; 4-byte Folded Spill
	s_and_saveexec_b64 s[28:29], s[40:41]
	s_cbranch_execz .LBB318_587
; %bb.582:                              ;   in Loop: Header=BB318_12 Depth=1
	v_cmp_ne_u16_sdwa s[42:43], v17, s44 src0_sel:BYTE_0 src1_sel:DWORD
	v_bfrev_b32_e32 v0, 1
	buffer_store_dword v0, off, s[0:3], s32 offset:356 ; 4-byte Folded Spill
	s_and_saveexec_b64 s[40:41], s[42:43]
	s_cbranch_execz .LBB318_586
; %bb.583:                              ;   in Loop: Header=BB318_12 Depth=1
	v_bfe_u32 v2, v8, 16, 7
	v_cmp_ne_u32_e32 vcc, s45, v2
	v_mov_b32_e32 v0, 0x7f800001
	buffer_store_dword v0, off, s[0:3], s32 offset:356 ; 4-byte Folded Spill
	s_and_saveexec_b64 s[42:43], vcc
	s_cbranch_execz .LBB318_585
; %bb.584:                              ;   in Loop: Header=BB318_12 Depth=1
	v_and_b32_e32 v4, 7, v17
	v_lshrrev_b32_e32 v5, 3, v2
	v_cmp_gt_u32_e32 vcc, 8, v2
	v_ffbh_u32_e32 v2, v4
	v_min_u32_e32 v11, 32, v2
	v_subrev_u32_e32 v2, 28, v11
	v_lshlrev_b64 v[2:3], v2, v[17:18]
	v_sub_u32_e32 v3, 29, v11
	v_and_b32_e32 v2, 7, v2
	v_cndmask_b32_e32 v3, v5, v3, vcc
	v_cndmask_b32_e32 v2, v4, v2, vcc
	v_lshlrev_b32_e32 v4, 24, v17
	v_bfrev_b32_e32 v0, 60
	v_lshlrev_b32_e32 v2, 20, v2
	v_and_b32_e32 v4, 0x80000000, v4
	v_lshl_add_u32 v3, v3, 23, v0
	v_mov_b32_e32 v11, v19
	v_or3_b32 v0, v4, v3, v2
	buffer_store_dword v0, off, s[0:3], s32 offset:356 ; 4-byte Folded Spill
.LBB318_585:                            ;   in Loop: Header=BB318_12 Depth=1
	s_or_b64 exec, exec, s[42:43]
.LBB318_586:                            ;   in Loop: Header=BB318_12 Depth=1
	s_or_b64 exec, exec, s[40:41]
.LBB318_587:                            ;   in Loop: Header=BB318_12 Depth=1
	s_or_b64 exec, exec, s[28:29]
	v_cmp_lt_u32_e32 vcc, s46, v8
	s_and_saveexec_b64 s[28:29], vcc
	s_cbranch_execz .LBB318_593
; %bb.588:                              ;   in Loop: Header=BB318_12 Depth=1
	v_lshrrev_b32_e32 v17, 24, v8
	v_cmp_ne_u32_e32 vcc, s44, v17
	v_bfrev_b32_e32 v10, 1
	s_and_saveexec_b64 s[40:41], vcc
	s_cbranch_execz .LBB318_592
; %bb.589:                              ;   in Loop: Header=BB318_12 Depth=1
	v_bfe_u32 v2, v8, 24, 7
	v_cmp_ne_u32_e32 vcc, s45, v2
	v_mov_b32_e32 v10, 0x7f800001
	s_and_saveexec_b64 s[42:43], vcc
	s_cbranch_execz .LBB318_591
; %bb.590:                              ;   in Loop: Header=BB318_12 Depth=1
	v_and_b32_e32 v4, 7, v17
	v_lshrrev_b32_e32 v5, 3, v2
	v_cmp_gt_u32_e32 vcc, 8, v2
	v_ffbh_u32_e32 v2, v4
	v_min_u32_e32 v8, 32, v2
	v_subrev_u32_e32 v2, 28, v8
	v_lshlrev_b64 v[2:3], v2, v[17:18]
	v_sub_u32_e32 v3, 29, v8
	v_and_b32_e32 v2, 7, v2
	v_cndmask_b32_e32 v3, v5, v3, vcc
	v_cndmask_b32_e32 v2, v4, v2, vcc
	v_lshlrev_b32_e32 v4, 24, v17
	v_bfrev_b32_e32 v0, 60
	v_lshlrev_b32_e32 v2, 20, v2
	v_and_b32_e32 v4, 0x80000000, v4
	v_lshl_add_u32 v3, v3, 23, v0
	v_or3_b32 v10, v4, v3, v2
.LBB318_591:                            ;   in Loop: Header=BB318_12 Depth=1
	s_or_b64 exec, exec, s[42:43]
.LBB318_592:                            ;   in Loop: Header=BB318_12 Depth=1
	s_or_b64 exec, exec, s[40:41]
.LBB318_593:                            ;   in Loop: Header=BB318_12 Depth=1
	s_or_b64 exec, exec, s[28:29]
	buffer_load_dword v0, off, s[0:3], s32 offset:68 ; 4-byte Folded Reload
	v_add_co_u32_e32 v2, vcc, 0x1800, v39
	v_addc_co_u32_e32 v3, vcc, 0, v40, vcc
	s_waitcnt vmcnt(0)
	v_add_co_u32_e32 v4, vcc, v2, v0
	v_addc_co_u32_e32 v5, vcc, 0, v3, vcc
	flat_load_dword v8, v[4:5]
	v_mov_b32_e32 v0, 0
	buffer_store_dword v0, off, s[0:3], s32 offset:364 ; 4-byte Folded Spill
	v_mov_b32_e32 v0, 0
	s_waitcnt vmcnt(0) lgkmcnt(0)
	v_cmp_ne_u16_sdwa s[40:41], v8, v0 src0_sel:BYTE_0 src1_sel:DWORD
	v_mov_b32_e32 v0, 0
	buffer_store_dword v0, off, s[0:3], s32 offset:360 ; 4-byte Folded Spill
	s_and_saveexec_b64 s[28:29], s[40:41]
	s_cbranch_execz .LBB318_599
; %bb.594:                              ;   in Loop: Header=BB318_12 Depth=1
	v_cmp_ne_u16_sdwa s[42:43], v8, s44 src0_sel:BYTE_0 src1_sel:DWORD
	v_bfrev_b32_e32 v0, 1
	buffer_store_dword v0, off, s[0:3], s32 offset:360 ; 4-byte Folded Spill
	s_and_saveexec_b64 s[40:41], s[42:43]
	s_cbranch_execz .LBB318_598
; %bb.595:                              ;   in Loop: Header=BB318_12 Depth=1
	v_and_b32_e32 v4, 0x7f, v8
	v_cmp_ne_u32_e32 vcc, s45, v4
	v_mov_b32_e32 v0, 0x7f800001
	buffer_store_dword v0, off, s[0:3], s32 offset:360 ; 4-byte Folded Spill
	s_and_saveexec_b64 s[42:43], vcc
	s_cbranch_execz .LBB318_597
; %bb.596:                              ;   in Loop: Header=BB318_12 Depth=1
	v_and_b32_e32 v11, 7, v8
	v_lshrrev_b32_e32 v12, 3, v4
	v_cmp_gt_u32_e32 vcc, 8, v4
	v_ffbh_u32_e32 v4, v11
	v_min_u32_e32 v13, 32, v4
	v_subrev_u32_e32 v4, 28, v13
	v_lshlrev_b64 v[4:5], v4, v[8:9]
	v_sub_u32_e32 v5, 29, v13
	v_and_b32_e32 v4, 7, v4
	v_cndmask_b32_e32 v5, v12, v5, vcc
	v_cndmask_b32_e32 v4, v11, v4, vcc
	v_lshlrev_b32_e32 v11, 24, v8
	v_bfrev_b32_e32 v0, 60
	v_lshlrev_b32_e32 v4, 20, v4
	v_and_b32_e32 v11, 0x80000000, v11
	v_lshl_add_u32 v5, v5, 23, v0
	v_or3_b32 v0, v11, v5, v4
	v_mov_b32_e32 v11, v19
	buffer_store_dword v0, off, s[0:3], s32 offset:360 ; 4-byte Folded Spill
.LBB318_597:                            ;   in Loop: Header=BB318_12 Depth=1
	s_or_b64 exec, exec, s[42:43]
.LBB318_598:                            ;   in Loop: Header=BB318_12 Depth=1
	s_or_b64 exec, exec, s[40:41]
.LBB318_599:                            ;   in Loop: Header=BB318_12 Depth=1
	s_or_b64 exec, exec, s[28:29]
	v_lshrrev_b16_e32 v17, 8, v8
	v_cmp_ne_u16_e32 vcc, 0, v17
	s_and_saveexec_b64 s[28:29], vcc
	s_cbranch_execz .LBB318_605
; %bb.600:                              ;   in Loop: Header=BB318_12 Depth=1
	v_cmp_ne_u16_e32 vcc, s44, v17
	v_bfrev_b32_e32 v0, 1
	buffer_store_dword v0, off, s[0:3], s32 offset:364 ; 4-byte Folded Spill
	s_and_saveexec_b64 s[40:41], vcc
	s_cbranch_execz .LBB318_604
; %bb.601:                              ;   in Loop: Header=BB318_12 Depth=1
	v_and_b32_e32 v4, 0x7f, v17
	v_cmp_ne_u32_e32 vcc, s45, v4
	v_mov_b32_e32 v0, 0x7f800001
	buffer_store_dword v0, off, s[0:3], s32 offset:364 ; 4-byte Folded Spill
	s_and_saveexec_b64 s[42:43], vcc
	s_cbranch_execz .LBB318_603
; %bb.602:                              ;   in Loop: Header=BB318_12 Depth=1
	v_and_b32_e32 v11, 7, v17
	v_lshrrev_b32_e32 v12, 3, v4
	v_cmp_gt_u32_e32 vcc, 8, v4
	v_ffbh_u32_e32 v4, v11
	v_min_u32_e32 v13, 32, v4
	v_subrev_u32_e32 v4, 28, v13
	v_lshlrev_b64 v[4:5], v4, v[17:18]
	v_sub_u32_e32 v5, 29, v13
	v_and_b32_e32 v4, 7, v4
	v_cndmask_b32_e32 v5, v12, v5, vcc
	v_cndmask_b32_e32 v4, v11, v4, vcc
	v_lshlrev_b32_e32 v11, 16, v8
	v_bfrev_b32_e32 v0, 60
	v_lshlrev_b32_e32 v4, 20, v4
	v_and_b32_e32 v11, 0x80000000, v11
	v_lshl_add_u32 v5, v5, 23, v0
	v_or3_b32 v0, v11, v5, v4
	v_mov_b32_e32 v11, v19
	buffer_store_dword v0, off, s[0:3], s32 offset:364 ; 4-byte Folded Spill
.LBB318_603:                            ;   in Loop: Header=BB318_12 Depth=1
	s_or_b64 exec, exec, s[42:43]
.LBB318_604:                            ;   in Loop: Header=BB318_12 Depth=1
	s_or_b64 exec, exec, s[40:41]
.LBB318_605:                            ;   in Loop: Header=BB318_12 Depth=1
	s_or_b64 exec, exec, s[28:29]
	v_lshrrev_b32_e32 v17, 16, v8
	v_mov_b32_e32 v0, 0
	v_cmp_ne_u16_sdwa s[40:41], v17, v0 src0_sel:BYTE_0 src1_sel:DWORD
	v_mov_b32_e32 v26, 0
	v_mov_b32_e32 v0, 0
	buffer_store_dword v0, off, s[0:3], s32 offset:368 ; 4-byte Folded Spill
	s_and_saveexec_b64 s[28:29], s[40:41]
	s_cbranch_execz .LBB318_611
; %bb.606:                              ;   in Loop: Header=BB318_12 Depth=1
	v_cmp_ne_u16_sdwa s[42:43], v17, s44 src0_sel:BYTE_0 src1_sel:DWORD
	v_bfrev_b32_e32 v0, 1
	buffer_store_dword v0, off, s[0:3], s32 offset:368 ; 4-byte Folded Spill
	s_and_saveexec_b64 s[40:41], s[42:43]
	s_cbranch_execz .LBB318_610
; %bb.607:                              ;   in Loop: Header=BB318_12 Depth=1
	v_bfe_u32 v4, v8, 16, 7
	v_cmp_ne_u32_e32 vcc, s45, v4
	v_mov_b32_e32 v0, 0x7f800001
	buffer_store_dword v0, off, s[0:3], s32 offset:368 ; 4-byte Folded Spill
	s_and_saveexec_b64 s[42:43], vcc
	s_cbranch_execz .LBB318_609
; %bb.608:                              ;   in Loop: Header=BB318_12 Depth=1
	v_and_b32_e32 v11, 7, v17
	v_lshrrev_b32_e32 v12, 3, v4
	v_cmp_gt_u32_e32 vcc, 8, v4
	v_ffbh_u32_e32 v4, v11
	v_min_u32_e32 v13, 32, v4
	v_subrev_u32_e32 v4, 28, v13
	v_lshlrev_b64 v[4:5], v4, v[17:18]
	v_sub_u32_e32 v5, 29, v13
	v_and_b32_e32 v4, 7, v4
	v_cndmask_b32_e32 v5, v12, v5, vcc
	v_cndmask_b32_e32 v4, v11, v4, vcc
	v_lshlrev_b32_e32 v11, 24, v17
	v_bfrev_b32_e32 v0, 60
	v_lshlrev_b32_e32 v4, 20, v4
	v_and_b32_e32 v11, 0x80000000, v11
	v_lshl_add_u32 v5, v5, 23, v0
	v_or3_b32 v0, v11, v5, v4
	v_mov_b32_e32 v11, v19
	buffer_store_dword v0, off, s[0:3], s32 offset:368 ; 4-byte Folded Spill
.LBB318_609:                            ;   in Loop: Header=BB318_12 Depth=1
	s_or_b64 exec, exec, s[42:43]
.LBB318_610:                            ;   in Loop: Header=BB318_12 Depth=1
	s_or_b64 exec, exec, s[40:41]
.LBB318_611:                            ;   in Loop: Header=BB318_12 Depth=1
	s_or_b64 exec, exec, s[28:29]
	v_cmp_lt_u32_e32 vcc, s46, v8
	s_and_saveexec_b64 s[28:29], vcc
	s_cbranch_execz .LBB318_617
; %bb.612:                              ;   in Loop: Header=BB318_12 Depth=1
	v_lshrrev_b32_e32 v17, 24, v8
	v_cmp_ne_u32_e32 vcc, s44, v17
	v_bfrev_b32_e32 v26, 1
	s_and_saveexec_b64 s[40:41], vcc
	s_cbranch_execz .LBB318_616
; %bb.613:                              ;   in Loop: Header=BB318_12 Depth=1
	v_bfe_u32 v4, v8, 24, 7
	v_cmp_ne_u32_e32 vcc, s45, v4
	v_mov_b32_e32 v26, 0x7f800001
	s_and_saveexec_b64 s[42:43], vcc
	s_cbranch_execz .LBB318_615
; %bb.614:                              ;   in Loop: Header=BB318_12 Depth=1
	v_and_b32_e32 v8, 7, v17
	v_lshrrev_b32_e32 v11, 3, v4
	v_cmp_gt_u32_e32 vcc, 8, v4
	v_ffbh_u32_e32 v4, v8
	v_min_u32_e32 v12, 32, v4
	v_subrev_u32_e32 v4, 28, v12
	v_lshlrev_b64 v[4:5], v4, v[17:18]
	v_sub_u32_e32 v5, 29, v12
	v_and_b32_e32 v4, 7, v4
	v_cndmask_b32_e32 v5, v11, v5, vcc
	v_cndmask_b32_e32 v4, v8, v4, vcc
	v_lshlrev_b32_e32 v8, 24, v17
	v_bfrev_b32_e32 v0, 60
	v_lshlrev_b32_e32 v4, 20, v4
	v_and_b32_e32 v8, 0x80000000, v8
	v_lshl_add_u32 v5, v5, 23, v0
	v_mov_b32_e32 v11, v19
	v_or3_b32 v26, v8, v5, v4
.LBB318_615:                            ;   in Loop: Header=BB318_12 Depth=1
	s_or_b64 exec, exec, s[42:43]
.LBB318_616:                            ;   in Loop: Header=BB318_12 Depth=1
	s_or_b64 exec, exec, s[40:41]
.LBB318_617:                            ;   in Loop: Header=BB318_12 Depth=1
	s_or_b64 exec, exec, s[28:29]
	buffer_load_dword v0, off, s[0:3], s32 offset:72 ; 4-byte Folded Reload
	v_mov_b32_e32 v41, 0
	v_mov_b32_e32 v63, 0
	s_waitcnt vmcnt(0)
	v_add_co_u32_e32 v2, vcc, v2, v0
	v_addc_co_u32_e32 v3, vcc, 0, v3, vcc
	flat_load_dword v8, v[2:3]
	v_mov_b32_e32 v0, 0
	s_waitcnt vmcnt(0) lgkmcnt(0)
	v_cmp_ne_u16_sdwa s[40:41], v8, v0 src0_sel:BYTE_0 src1_sel:DWORD
	s_and_saveexec_b64 s[28:29], s[40:41]
	s_cbranch_execz .LBB318_623
; %bb.618:                              ;   in Loop: Header=BB318_12 Depth=1
	v_cmp_ne_u16_sdwa s[42:43], v8, s44 src0_sel:BYTE_0 src1_sel:DWORD
	v_bfrev_b32_e32 v63, 1
	s_and_saveexec_b64 s[40:41], s[42:43]
	s_cbranch_execz .LBB318_622
; %bb.619:                              ;   in Loop: Header=BB318_12 Depth=1
	v_and_b32_e32 v3, 0x7f, v8
	v_cmp_ne_u32_e32 vcc, s45, v3
	v_mov_b32_e32 v63, 0x7f800001
	s_and_saveexec_b64 s[42:43], vcc
	s_cbranch_execz .LBB318_621
; %bb.620:                              ;   in Loop: Header=BB318_12 Depth=1
	v_and_b32_e32 v5, 7, v8
	v_lshrrev_b32_e32 v11, 3, v3
	v_cmp_gt_u32_e32 vcc, 8, v3
	v_ffbh_u32_e32 v3, v5
	v_min_u32_e32 v12, 32, v3
	v_subrev_u32_e32 v3, 28, v12
	v_lshlrev_b64 v[3:4], v3, v[8:9]
	v_sub_u32_e32 v4, 29, v12
	v_and_b32_e32 v3, 7, v3
	v_cndmask_b32_e32 v4, v11, v4, vcc
	v_cndmask_b32_e32 v3, v5, v3, vcc
	v_lshlrev_b32_e32 v5, 24, v8
	v_bfrev_b32_e32 v0, 60
	v_lshlrev_b32_e32 v3, 20, v3
	v_and_b32_e32 v5, 0x80000000, v5
	v_lshl_add_u32 v4, v4, 23, v0
	v_mov_b32_e32 v11, v19
	v_or3_b32 v63, v5, v4, v3
.LBB318_621:                            ;   in Loop: Header=BB318_12 Depth=1
	s_or_b64 exec, exec, s[42:43]
.LBB318_622:                            ;   in Loop: Header=BB318_12 Depth=1
	s_or_b64 exec, exec, s[40:41]
.LBB318_623:                            ;   in Loop: Header=BB318_12 Depth=1
	s_or_b64 exec, exec, s[28:29]
	v_lshrrev_b16_e32 v17, 8, v8
	v_cmp_ne_u16_e32 vcc, 0, v17
	s_and_saveexec_b64 s[28:29], vcc
	s_cbranch_execz .LBB318_629
; %bb.624:                              ;   in Loop: Header=BB318_12 Depth=1
	v_cmp_ne_u16_e32 vcc, s44, v17
	v_bfrev_b32_e32 v41, 1
	s_and_saveexec_b64 s[40:41], vcc
	s_cbranch_execz .LBB318_628
; %bb.625:                              ;   in Loop: Header=BB318_12 Depth=1
	v_and_b32_e32 v3, 0x7f, v17
	v_cmp_ne_u32_e32 vcc, s45, v3
	v_mov_b32_e32 v41, 0x7f800001
	s_and_saveexec_b64 s[42:43], vcc
	s_cbranch_execz .LBB318_627
; %bb.626:                              ;   in Loop: Header=BB318_12 Depth=1
	v_and_b32_e32 v4, 7, v17
	v_ffbh_u32_e32 v2, v4
	v_min_u32_e32 v12, 32, v2
	v_subrev_u32_e32 v2, 28, v12
	v_lshrrev_b32_e32 v5, 3, v3
	v_cmp_gt_u32_e32 vcc, 8, v3
	v_lshlrev_b64 v[2:3], v2, v[17:18]
	v_sub_u32_e32 v3, 29, v12
	v_and_b32_e32 v2, 7, v2
	v_cndmask_b32_e32 v3, v5, v3, vcc
	v_cndmask_b32_e32 v2, v4, v2, vcc
	v_lshlrev_b32_e32 v4, 16, v8
	v_bfrev_b32_e32 v0, 60
	v_lshlrev_b32_e32 v2, 20, v2
	v_and_b32_e32 v4, 0x80000000, v4
	v_lshl_add_u32 v3, v3, 23, v0
	v_or3_b32 v41, v4, v3, v2
.LBB318_627:                            ;   in Loop: Header=BB318_12 Depth=1
	s_or_b64 exec, exec, s[42:43]
.LBB318_628:                            ;   in Loop: Header=BB318_12 Depth=1
	s_or_b64 exec, exec, s[40:41]
.LBB318_629:                            ;   in Loop: Header=BB318_12 Depth=1
	s_or_b64 exec, exec, s[28:29]
	v_lshrrev_b32_e32 v17, 16, v8
	v_mov_b32_e32 v0, 0
	v_cmp_ne_u16_sdwa s[40:41], v17, v0 src0_sel:BYTE_0 src1_sel:DWORD
	v_mov_b32_e32 v3, 0
	v_mov_b32_e32 v4, 0
	s_and_saveexec_b64 s[28:29], s[40:41]
	s_cbranch_execz .LBB318_635
; %bb.630:                              ;   in Loop: Header=BB318_12 Depth=1
	v_cmp_ne_u16_sdwa s[42:43], v17, s44 src0_sel:BYTE_0 src1_sel:DWORD
	v_bfrev_b32_e32 v4, 1
	s_and_saveexec_b64 s[40:41], s[42:43]
	s_cbranch_execz .LBB318_634
; %bb.631:                              ;   in Loop: Header=BB318_12 Depth=1
	v_bfe_u32 v5, v8, 16, 7
	v_cmp_ne_u32_e32 vcc, s45, v5
	v_mov_b32_e32 v4, 0x7f800001
	s_and_saveexec_b64 s[42:43], vcc
	s_cbranch_execz .LBB318_633
; %bb.632:                              ;   in Loop: Header=BB318_12 Depth=1
	v_and_b32_e32 v12, 7, v17
	v_ffbh_u32_e32 v4, v12
	v_min_u32_e32 v14, 32, v4
	v_subrev_u32_e32 v4, 28, v14
	v_lshrrev_b32_e32 v13, 3, v5
	v_cmp_gt_u32_e32 vcc, 8, v5
	v_lshlrev_b64 v[4:5], v4, v[17:18]
	v_sub_u32_e32 v5, 29, v14
	v_and_b32_e32 v4, 7, v4
	v_cndmask_b32_e32 v5, v13, v5, vcc
	v_cndmask_b32_e32 v4, v12, v4, vcc
	v_lshlrev_b32_e32 v12, 24, v17
	v_bfrev_b32_e32 v0, 60
	v_lshlrev_b32_e32 v4, 20, v4
	v_and_b32_e32 v12, 0x80000000, v12
	v_lshl_add_u32 v5, v5, 23, v0
	v_or3_b32 v4, v12, v5, v4
.LBB318_633:                            ;   in Loop: Header=BB318_12 Depth=1
	s_or_b64 exec, exec, s[42:43]
.LBB318_634:                            ;   in Loop: Header=BB318_12 Depth=1
	s_or_b64 exec, exec, s[40:41]
.LBB318_635:                            ;   in Loop: Header=BB318_12 Depth=1
	s_or_b64 exec, exec, s[28:29]
	v_cmp_lt_u32_e32 vcc, s46, v8
	s_and_saveexec_b64 s[28:29], vcc
	s_cbranch_execz .LBB318_641
; %bb.636:                              ;   in Loop: Header=BB318_12 Depth=1
	v_lshrrev_b32_e32 v17, 24, v8
	v_cmp_ne_u32_e32 vcc, s44, v17
	v_bfrev_b32_e32 v3, 1
	s_and_saveexec_b64 s[40:41], vcc
	s_cbranch_execz .LBB318_640
; %bb.637:                              ;   in Loop: Header=BB318_12 Depth=1
	v_bfe_u32 v5, v8, 24, 7
	v_cmp_ne_u32_e32 vcc, s45, v5
	v_mov_b32_e32 v3, 0x7f800001
	s_and_saveexec_b64 s[42:43], vcc
	s_cbranch_execz .LBB318_639
; %bb.638:                              ;   in Loop: Header=BB318_12 Depth=1
	v_and_b32_e32 v3, 7, v17
	v_lshrrev_b32_e32 v8, 3, v5
	v_cmp_gt_u32_e32 vcc, 8, v5
	v_ffbh_u32_e32 v5, v3
	v_min_u32_e32 v5, 32, v5
	v_subrev_u32_e32 v12, 28, v5
	v_lshlrev_b64 v[12:13], v12, v[17:18]
	v_sub_u32_e32 v5, 29, v5
	v_and_b32_e32 v12, 7, v12
	v_cndmask_b32_e32 v5, v8, v5, vcc
	v_cndmask_b32_e32 v3, v3, v12, vcc
	v_lshlrev_b32_e32 v8, 24, v17
	v_bfrev_b32_e32 v0, 60
	v_lshlrev_b32_e32 v3, 20, v3
	v_and_b32_e32 v8, 0x80000000, v8
	v_lshl_add_u32 v5, v5, 23, v0
	v_or3_b32 v3, v8, v5, v3
.LBB318_639:                            ;   in Loop: Header=BB318_12 Depth=1
	s_or_b64 exec, exec, s[42:43]
.LBB318_640:                            ;   in Loop: Header=BB318_12 Depth=1
	s_or_b64 exec, exec, s[40:41]
.LBB318_641:                            ;   in Loop: Header=BB318_12 Depth=1
	s_or_b64 exec, exec, s[28:29]
	buffer_load_dword v0, off, s[0:3], s32 offset:68 ; 4-byte Folded Reload
	v_add_co_u32_e32 v15, vcc, 0x1a00, v39
	v_addc_co_u32_e32 v27, vcc, 0, v40, vcc
	v_mov_b32_e32 v5, 0
	s_waitcnt vmcnt(0)
	v_add_co_u32_e32 v12, vcc, v15, v0
	v_addc_co_u32_e32 v13, vcc, 0, v27, vcc
	flat_load_dword v8, v[12:13]
	v_mov_b32_e32 v0, 0
	v_mov_b32_e32 v12, 0
	s_waitcnt vmcnt(0) lgkmcnt(0)
	v_cmp_ne_u16_sdwa s[40:41], v8, v0 src0_sel:BYTE_0 src1_sel:DWORD
	s_and_saveexec_b64 s[28:29], s[40:41]
	s_cbranch_execz .LBB318_647
; %bb.642:                              ;   in Loop: Header=BB318_12 Depth=1
	v_cmp_ne_u16_sdwa s[42:43], v8, s44 src0_sel:BYTE_0 src1_sel:DWORD
	v_bfrev_b32_e32 v5, 1
	s_and_saveexec_b64 s[40:41], s[42:43]
	s_cbranch_execz .LBB318_646
; %bb.643:                              ;   in Loop: Header=BB318_12 Depth=1
	v_and_b32_e32 v13, 0x7f, v8
	v_cmp_ne_u32_e32 vcc, s45, v13
	v_mov_b32_e32 v5, 0x7f800001
	s_and_saveexec_b64 s[42:43], vcc
	s_cbranch_execz .LBB318_645
; %bb.644:                              ;   in Loop: Header=BB318_12 Depth=1
	v_and_b32_e32 v5, 7, v8
	v_lshrrev_b32_e32 v17, 3, v13
	v_cmp_gt_u32_e32 vcc, 8, v13
	v_ffbh_u32_e32 v13, v5
	v_min_u32_e32 v28, 32, v13
	v_subrev_u32_e32 v13, 28, v28
	v_lshlrev_b64 v[13:14], v13, v[8:9]
	v_sub_u32_e32 v14, 29, v28
	v_and_b32_e32 v13, 7, v13
	v_cndmask_b32_e32 v14, v17, v14, vcc
	v_cndmask_b32_e32 v5, v5, v13, vcc
	v_lshlrev_b32_e32 v13, 24, v8
	v_bfrev_b32_e32 v0, 60
	v_lshlrev_b32_e32 v5, 20, v5
	v_and_b32_e32 v13, 0x80000000, v13
	v_lshl_add_u32 v14, v14, 23, v0
	v_or3_b32 v5, v13, v14, v5
.LBB318_645:                            ;   in Loop: Header=BB318_12 Depth=1
	s_or_b64 exec, exec, s[42:43]
.LBB318_646:                            ;   in Loop: Header=BB318_12 Depth=1
	s_or_b64 exec, exec, s[40:41]
.LBB318_647:                            ;   in Loop: Header=BB318_12 Depth=1
	s_or_b64 exec, exec, s[28:29]
	v_lshrrev_b16_e32 v17, 8, v8
	v_cmp_ne_u16_e32 vcc, 0, v17
	s_and_saveexec_b64 s[28:29], vcc
	s_cbranch_execz .LBB318_653
; %bb.648:                              ;   in Loop: Header=BB318_12 Depth=1
	v_cmp_ne_u16_e32 vcc, s44, v17
	v_bfrev_b32_e32 v12, 1
	s_and_saveexec_b64 s[40:41], vcc
	s_cbranch_execz .LBB318_652
; %bb.649:                              ;   in Loop: Header=BB318_12 Depth=1
	v_and_b32_e32 v13, 0x7f, v17
	v_cmp_ne_u32_e32 vcc, s45, v13
	v_mov_b32_e32 v12, 0x7f800001
	s_and_saveexec_b64 s[42:43], vcc
	s_cbranch_execz .LBB318_651
; %bb.650:                              ;   in Loop: Header=BB318_12 Depth=1
	v_and_b32_e32 v14, 7, v17
	v_ffbh_u32_e32 v12, v14
	v_min_u32_e32 v29, 32, v12
	v_subrev_u32_e32 v12, 28, v29
	v_lshrrev_b32_e32 v28, 3, v13
	v_cmp_gt_u32_e32 vcc, 8, v13
	v_lshlrev_b64 v[12:13], v12, v[17:18]
	v_sub_u32_e32 v13, 29, v29
	v_and_b32_e32 v12, 7, v12
	v_cndmask_b32_e32 v13, v28, v13, vcc
	v_cndmask_b32_e32 v12, v14, v12, vcc
	v_lshlrev_b32_e32 v14, 16, v8
	v_bfrev_b32_e32 v0, 60
	v_lshlrev_b32_e32 v12, 20, v12
	v_and_b32_e32 v14, 0x80000000, v14
	v_lshl_add_u32 v13, v13, 23, v0
	v_or3_b32 v12, v14, v13, v12
.LBB318_651:                            ;   in Loop: Header=BB318_12 Depth=1
	s_or_b64 exec, exec, s[42:43]
.LBB318_652:                            ;   in Loop: Header=BB318_12 Depth=1
	s_or_b64 exec, exec, s[40:41]
.LBB318_653:                            ;   in Loop: Header=BB318_12 Depth=1
	s_or_b64 exec, exec, s[28:29]
	v_lshrrev_b32_e32 v17, 16, v8
	v_mov_b32_e32 v0, 0
	v_cmp_ne_u16_sdwa s[40:41], v17, v0 src0_sel:BYTE_0 src1_sel:DWORD
	v_mov_b32_e32 v13, 0
	v_mov_b32_e32 v14, 0
	s_and_saveexec_b64 s[28:29], s[40:41]
	s_cbranch_execz .LBB318_659
; %bb.654:                              ;   in Loop: Header=BB318_12 Depth=1
	v_cmp_ne_u16_sdwa s[42:43], v17, s44 src0_sel:BYTE_0 src1_sel:DWORD
	v_bfrev_b32_e32 v14, 1
	s_and_saveexec_b64 s[40:41], s[42:43]
	s_cbranch_execz .LBB318_658
; %bb.655:                              ;   in Loop: Header=BB318_12 Depth=1
	v_bfe_u32 v28, v8, 16, 7
	v_cmp_ne_u32_e32 vcc, s45, v28
	v_mov_b32_e32 v14, 0x7f800001
	s_and_saveexec_b64 s[42:43], vcc
	s_cbranch_execz .LBB318_657
; %bb.656:                              ;   in Loop: Header=BB318_12 Depth=1
	v_and_b32_e32 v14, 7, v17
	v_lshrrev_b32_e32 v30, 3, v28
	v_cmp_gt_u32_e32 vcc, 8, v28
	v_ffbh_u32_e32 v28, v14
	v_min_u32_e32 v31, 32, v28
	v_subrev_u32_e32 v28, 28, v31
	v_lshlrev_b64 v[28:29], v28, v[17:18]
	v_sub_u32_e32 v29, 29, v31
	v_and_b32_e32 v28, 7, v28
	v_cndmask_b32_e32 v29, v30, v29, vcc
	v_cndmask_b32_e32 v14, v14, v28, vcc
	v_lshlrev_b32_e32 v17, 24, v17
	v_bfrev_b32_e32 v0, 60
	v_lshlrev_b32_e32 v14, 20, v14
	v_and_b32_e32 v17, 0x80000000, v17
	v_lshl_add_u32 v28, v29, 23, v0
	v_or3_b32 v14, v17, v28, v14
.LBB318_657:                            ;   in Loop: Header=BB318_12 Depth=1
	s_or_b64 exec, exec, s[42:43]
.LBB318_658:                            ;   in Loop: Header=BB318_12 Depth=1
	s_or_b64 exec, exec, s[40:41]
.LBB318_659:                            ;   in Loop: Header=BB318_12 Depth=1
	s_or_b64 exec, exec, s[28:29]
	v_cmp_lt_u32_e32 vcc, s46, v8
	s_and_saveexec_b64 s[28:29], vcc
	s_cbranch_execz .LBB318_665
; %bb.660:                              ;   in Loop: Header=BB318_12 Depth=1
	v_lshrrev_b32_e32 v17, 24, v8
	v_cmp_ne_u32_e32 vcc, s44, v17
	v_bfrev_b32_e32 v13, 1
	s_and_saveexec_b64 s[40:41], vcc
	s_cbranch_execz .LBB318_664
; %bb.661:                              ;   in Loop: Header=BB318_12 Depth=1
	v_bfe_u32 v8, v8, 24, 7
	v_cmp_ne_u32_e32 vcc, s45, v8
	v_mov_b32_e32 v13, 0x7f800001
	s_and_saveexec_b64 s[42:43], vcc
	s_cbranch_execz .LBB318_663
; %bb.662:                              ;   in Loop: Header=BB318_12 Depth=1
	v_and_b32_e32 v13, 7, v17
	v_lshrrev_b32_e32 v30, 3, v8
	v_cmp_gt_u32_e32 vcc, 8, v8
	v_ffbh_u32_e32 v8, v13
	v_min_u32_e32 v8, 32, v8
	v_subrev_u32_e32 v28, 28, v8
	v_lshlrev_b64 v[28:29], v28, v[17:18]
	v_sub_u32_e32 v8, 29, v8
	v_and_b32_e32 v28, 7, v28
	v_cndmask_b32_e32 v8, v30, v8, vcc
	v_cndmask_b32_e32 v13, v13, v28, vcc
	v_lshlrev_b32_e32 v17, 24, v17
	v_bfrev_b32_e32 v0, 60
	v_lshlrev_b32_e32 v13, 20, v13
	v_and_b32_e32 v17, 0x80000000, v17
	v_lshl_add_u32 v8, v8, 23, v0
	v_or3_b32 v13, v17, v8, v13
.LBB318_663:                            ;   in Loop: Header=BB318_12 Depth=1
	s_or_b64 exec, exec, s[42:43]
.LBB318_664:                            ;   in Loop: Header=BB318_12 Depth=1
	s_or_b64 exec, exec, s[40:41]
.LBB318_665:                            ;   in Loop: Header=BB318_12 Depth=1
	s_or_b64 exec, exec, s[28:29]
	buffer_load_dword v0, off, s[0:3], s32 offset:72 ; 4-byte Folded Reload
	s_waitcnt vmcnt(0)
	v_add_co_u32_e32 v28, vcc, v15, v0
	v_addc_co_u32_e32 v29, vcc, 0, v27, vcc
	flat_load_dword v8, v[28:29]
	v_mov_b32_e32 v0, 0
	v_mov_b32_e32 v27, 0
	v_mov_b32_e32 v15, 0
	s_waitcnt vmcnt(0) lgkmcnt(0)
	v_cmp_ne_u16_sdwa s[40:41], v8, v0 src0_sel:BYTE_0 src1_sel:DWORD
	s_and_saveexec_b64 s[28:29], s[40:41]
	s_cbranch_execz .LBB318_671
; %bb.666:                              ;   in Loop: Header=BB318_12 Depth=1
	v_cmp_ne_u16_sdwa s[42:43], v8, s44 src0_sel:BYTE_0 src1_sel:DWORD
	v_bfrev_b32_e32 v15, 1
	s_and_saveexec_b64 s[40:41], s[42:43]
	s_cbranch_execz .LBB318_670
; %bb.667:                              ;   in Loop: Header=BB318_12 Depth=1
	v_and_b32_e32 v17, 0x7f, v8
	v_cmp_ne_u32_e32 vcc, s45, v17
	v_mov_b32_e32 v15, 0x7f800001
	s_and_saveexec_b64 s[42:43], vcc
	s_cbranch_execz .LBB318_669
; %bb.668:                              ;   in Loop: Header=BB318_12 Depth=1
	v_and_b32_e32 v15, 7, v8
	v_lshrrev_b32_e32 v30, 3, v17
	v_cmp_gt_u32_e32 vcc, 8, v17
	v_ffbh_u32_e32 v17, v15
	v_min_u32_e32 v17, 32, v17
	v_subrev_u32_e32 v28, 28, v17
	v_lshlrev_b64 v[28:29], v28, v[8:9]
	v_sub_u32_e32 v17, 29, v17
	v_and_b32_e32 v28, 7, v28
	v_cndmask_b32_e32 v17, v30, v17, vcc
	v_cndmask_b32_e32 v15, v15, v28, vcc
	v_lshlrev_b32_e32 v28, 24, v8
	v_bfrev_b32_e32 v0, 60
	v_lshlrev_b32_e32 v15, 20, v15
	v_and_b32_e32 v28, 0x80000000, v28
	v_lshl_add_u32 v17, v17, 23, v0
	v_or3_b32 v15, v28, v17, v15
.LBB318_669:                            ;   in Loop: Header=BB318_12 Depth=1
	s_or_b64 exec, exec, s[42:43]
.LBB318_670:                            ;   in Loop: Header=BB318_12 Depth=1
	s_or_b64 exec, exec, s[40:41]
.LBB318_671:                            ;   in Loop: Header=BB318_12 Depth=1
	s_or_b64 exec, exec, s[28:29]
	v_lshrrev_b16_e32 v17, 8, v8
	v_cmp_ne_u16_e32 vcc, 0, v17
	s_and_saveexec_b64 s[28:29], vcc
	s_cbranch_execz .LBB318_677
; %bb.672:                              ;   in Loop: Header=BB318_12 Depth=1
	v_cmp_ne_u16_e32 vcc, s44, v17
	v_bfrev_b32_e32 v27, 1
	s_and_saveexec_b64 s[40:41], vcc
	s_cbranch_execz .LBB318_676
; %bb.673:                              ;   in Loop: Header=BB318_12 Depth=1
	v_and_b32_e32 v28, 0x7f, v17
	v_cmp_ne_u32_e32 vcc, s45, v28
	v_mov_b32_e32 v27, 0x7f800001
	s_and_saveexec_b64 s[42:43], vcc
	s_cbranch_execz .LBB318_675
; %bb.674:                              ;   in Loop: Header=BB318_12 Depth=1
	v_and_b32_e32 v29, 7, v17
	v_ffbh_u32_e32 v27, v29
	v_min_u32_e32 v31, 32, v27
	v_subrev_u32_e32 v27, 28, v31
	v_lshrrev_b32_e32 v30, 3, v28
	v_cmp_gt_u32_e32 vcc, 8, v28
	v_lshlrev_b64 v[27:28], v27, v[17:18]
	v_sub_u32_e32 v17, 29, v31
	v_and_b32_e32 v27, 7, v27
	v_cndmask_b32_e32 v17, v30, v17, vcc
	v_cndmask_b32_e32 v27, v29, v27, vcc
	v_lshlrev_b32_e32 v28, 16, v8
	v_bfrev_b32_e32 v0, 60
	v_lshlrev_b32_e32 v27, 20, v27
	v_and_b32_e32 v28, 0x80000000, v28
	v_lshl_add_u32 v17, v17, 23, v0
	v_or3_b32 v27, v28, v17, v27
.LBB318_675:                            ;   in Loop: Header=BB318_12 Depth=1
	s_or_b64 exec, exec, s[42:43]
.LBB318_676:                            ;   in Loop: Header=BB318_12 Depth=1
	s_or_b64 exec, exec, s[40:41]
.LBB318_677:                            ;   in Loop: Header=BB318_12 Depth=1
	s_or_b64 exec, exec, s[28:29]
	v_lshrrev_b32_e32 v17, 16, v8
	v_mov_b32_e32 v0, 0
	v_cmp_ne_u16_sdwa s[40:41], v17, v0 src0_sel:BYTE_0 src1_sel:DWORD
	v_mov_b32_e32 v28, 0
	v_mov_b32_e32 v29, 0
	s_and_saveexec_b64 s[28:29], s[40:41]
	s_cbranch_execz .LBB318_683
; %bb.678:                              ;   in Loop: Header=BB318_12 Depth=1
	v_cmp_ne_u16_sdwa s[42:43], v17, s44 src0_sel:BYTE_0 src1_sel:DWORD
	v_bfrev_b32_e32 v29, 1
	s_and_saveexec_b64 s[40:41], s[42:43]
	s_cbranch_execz .LBB318_682
; %bb.679:                              ;   in Loop: Header=BB318_12 Depth=1
	v_bfe_u32 v30, v8, 16, 7
	v_cmp_ne_u32_e32 vcc, s45, v30
	v_mov_b32_e32 v29, 0x7f800001
	s_and_saveexec_b64 s[42:43], vcc
	s_cbranch_execz .LBB318_681
; %bb.680:                              ;   in Loop: Header=BB318_12 Depth=1
	v_and_b32_e32 v31, 7, v17
	v_ffbh_u32_e32 v29, v31
	v_min_u32_e32 v33, 32, v29
	v_subrev_u32_e32 v29, 28, v33
	v_lshrrev_b32_e32 v32, 3, v30
	v_cmp_gt_u32_e32 vcc, 8, v30
	v_lshlrev_b64 v[29:30], v29, v[17:18]
	v_sub_u32_e32 v30, 29, v33
	v_and_b32_e32 v29, 7, v29
	v_cndmask_b32_e32 v30, v32, v30, vcc
	v_cndmask_b32_e32 v29, v31, v29, vcc
	v_lshlrev_b32_e32 v17, 24, v17
	v_bfrev_b32_e32 v0, 60
	v_lshlrev_b32_e32 v29, 20, v29
	v_and_b32_e32 v17, 0x80000000, v17
	v_lshl_add_u32 v30, v30, 23, v0
	v_or3_b32 v29, v17, v30, v29
.LBB318_681:                            ;   in Loop: Header=BB318_12 Depth=1
	s_or_b64 exec, exec, s[42:43]
.LBB318_682:                            ;   in Loop: Header=BB318_12 Depth=1
	s_or_b64 exec, exec, s[40:41]
.LBB318_683:                            ;   in Loop: Header=BB318_12 Depth=1
	s_or_b64 exec, exec, s[28:29]
	v_cmp_lt_u32_e32 vcc, s46, v8
	s_and_saveexec_b64 s[28:29], vcc
	s_cbranch_execz .LBB318_689
; %bb.684:                              ;   in Loop: Header=BB318_12 Depth=1
	v_lshrrev_b32_e32 v17, 24, v8
	v_cmp_ne_u32_e32 vcc, s44, v17
	v_bfrev_b32_e32 v28, 1
	s_and_saveexec_b64 s[40:41], vcc
	s_cbranch_execz .LBB318_688
; %bb.685:                              ;   in Loop: Header=BB318_12 Depth=1
	v_bfe_u32 v8, v8, 24, 7
	v_cmp_ne_u32_e32 vcc, s45, v8
	v_mov_b32_e32 v28, 0x7f800001
	s_and_saveexec_b64 s[42:43], vcc
	s_cbranch_execz .LBB318_687
; %bb.686:                              ;   in Loop: Header=BB318_12 Depth=1
	v_and_b32_e32 v28, 7, v17
	v_lshrrev_b32_e32 v32, 3, v8
	v_cmp_gt_u32_e32 vcc, 8, v8
	v_ffbh_u32_e32 v8, v28
	v_min_u32_e32 v8, 32, v8
	v_subrev_u32_e32 v30, 28, v8
	v_lshlrev_b64 v[30:31], v30, v[17:18]
	v_sub_u32_e32 v8, 29, v8
	v_and_b32_e32 v30, 7, v30
	v_cndmask_b32_e32 v8, v32, v8, vcc
	v_cndmask_b32_e32 v28, v28, v30, vcc
	v_lshlrev_b32_e32 v17, 24, v17
	v_bfrev_b32_e32 v0, 60
	v_lshlrev_b32_e32 v28, 20, v28
	v_and_b32_e32 v17, 0x80000000, v17
	v_lshl_add_u32 v8, v8, 23, v0
	v_or3_b32 v28, v17, v8, v28
.LBB318_687:                            ;   in Loop: Header=BB318_12 Depth=1
	s_or_b64 exec, exec, s[42:43]
.LBB318_688:                            ;   in Loop: Header=BB318_12 Depth=1
	s_or_b64 exec, exec, s[40:41]
.LBB318_689:                            ;   in Loop: Header=BB318_12 Depth=1
	s_or_b64 exec, exec, s[28:29]
	buffer_load_dword v0, off, s[0:3], s32 offset:68 ; 4-byte Folded Reload
	v_add_co_u32_e32 v34, vcc, 0x1c00, v39
	v_addc_co_u32_e32 v35, vcc, 0, v40, vcc
	s_waitcnt vmcnt(0)
	v_add_co_u32_e32 v30, vcc, v34, v0
	v_addc_co_u32_e32 v31, vcc, 0, v35, vcc
	flat_load_dword v8, v[30:31]
	v_mov_b32_e32 v0, 0
	v_mov_b32_e32 v31, 0
	;; [unrolled: 1-line block ×3, first 2 shown]
	s_waitcnt vmcnt(0) lgkmcnt(0)
	v_cmp_ne_u16_sdwa s[40:41], v8, v0 src0_sel:BYTE_0 src1_sel:DWORD
	s_and_saveexec_b64 s[28:29], s[40:41]
	s_cbranch_execz .LBB318_695
; %bb.690:                              ;   in Loop: Header=BB318_12 Depth=1
	v_cmp_ne_u16_sdwa s[42:43], v8, s44 src0_sel:BYTE_0 src1_sel:DWORD
	v_bfrev_b32_e32 v30, 1
	s_and_saveexec_b64 s[40:41], s[42:43]
	s_cbranch_execz .LBB318_694
; %bb.691:                              ;   in Loop: Header=BB318_12 Depth=1
	v_and_b32_e32 v17, 0x7f, v8
	v_cmp_ne_u32_e32 vcc, s45, v17
	v_mov_b32_e32 v30, 0x7f800001
	s_and_saveexec_b64 s[42:43], vcc
	s_cbranch_execz .LBB318_693
; %bb.692:                              ;   in Loop: Header=BB318_12 Depth=1
	v_and_b32_e32 v30, 7, v8
	v_lshrrev_b32_e32 v36, 3, v17
	v_cmp_gt_u32_e32 vcc, 8, v17
	v_ffbh_u32_e32 v17, v30
	v_min_u32_e32 v17, 32, v17
	v_subrev_u32_e32 v32, 28, v17
	v_lshlrev_b64 v[32:33], v32, v[8:9]
	v_sub_u32_e32 v17, 29, v17
	v_and_b32_e32 v32, 7, v32
	v_cndmask_b32_e32 v17, v36, v17, vcc
	v_cndmask_b32_e32 v30, v30, v32, vcc
	v_lshlrev_b32_e32 v32, 24, v8
	v_bfrev_b32_e32 v0, 60
	v_lshlrev_b32_e32 v30, 20, v30
	v_and_b32_e32 v32, 0x80000000, v32
	v_lshl_add_u32 v17, v17, 23, v0
	v_or3_b32 v30, v32, v17, v30
.LBB318_693:                            ;   in Loop: Header=BB318_12 Depth=1
	s_or_b64 exec, exec, s[42:43]
.LBB318_694:                            ;   in Loop: Header=BB318_12 Depth=1
	s_or_b64 exec, exec, s[40:41]
.LBB318_695:                            ;   in Loop: Header=BB318_12 Depth=1
	s_or_b64 exec, exec, s[28:29]
	v_lshrrev_b16_e32 v17, 8, v8
	v_cmp_ne_u16_e32 vcc, 0, v17
	s_and_saveexec_b64 s[28:29], vcc
	s_cbranch_execz .LBB318_701
; %bb.696:                              ;   in Loop: Header=BB318_12 Depth=1
	v_cmp_ne_u16_e32 vcc, s44, v17
	v_bfrev_b32_e32 v31, 1
	s_and_saveexec_b64 s[40:41], vcc
	s_cbranch_execz .LBB318_700
; %bb.697:                              ;   in Loop: Header=BB318_12 Depth=1
	v_and_b32_e32 v32, 0x7f, v17
	v_cmp_ne_u32_e32 vcc, s45, v32
	v_mov_b32_e32 v31, 0x7f800001
	s_and_saveexec_b64 s[42:43], vcc
	s_cbranch_execz .LBB318_699
; %bb.698:                              ;   in Loop: Header=BB318_12 Depth=1
	v_and_b32_e32 v33, 7, v17
	v_ffbh_u32_e32 v31, v33
	v_min_u32_e32 v37, 32, v31
	v_subrev_u32_e32 v31, 28, v37
	v_lshrrev_b32_e32 v36, 3, v32
	v_cmp_gt_u32_e32 vcc, 8, v32
	v_lshlrev_b64 v[31:32], v31, v[17:18]
	v_sub_u32_e32 v17, 29, v37
	v_and_b32_e32 v31, 7, v31
	v_cndmask_b32_e32 v17, v36, v17, vcc
	v_cndmask_b32_e32 v31, v33, v31, vcc
	v_lshlrev_b32_e32 v32, 16, v8
	v_bfrev_b32_e32 v0, 60
	v_lshlrev_b32_e32 v31, 20, v31
	v_and_b32_e32 v32, 0x80000000, v32
	v_lshl_add_u32 v17, v17, 23, v0
	v_or3_b32 v31, v32, v17, v31
.LBB318_699:                            ;   in Loop: Header=BB318_12 Depth=1
	s_or_b64 exec, exec, s[42:43]
.LBB318_700:                            ;   in Loop: Header=BB318_12 Depth=1
	s_or_b64 exec, exec, s[40:41]
.LBB318_701:                            ;   in Loop: Header=BB318_12 Depth=1
	s_or_b64 exec, exec, s[28:29]
	v_lshrrev_b32_e32 v17, 16, v8
	v_mov_b32_e32 v0, 0
	v_cmp_ne_u16_sdwa s[40:41], v17, v0 src0_sel:BYTE_0 src1_sel:DWORD
	v_mov_b32_e32 v32, 0
	v_mov_b32_e32 v33, 0
	s_and_saveexec_b64 s[28:29], s[40:41]
	s_cbranch_execz .LBB318_707
; %bb.702:                              ;   in Loop: Header=BB318_12 Depth=1
	v_cmp_ne_u16_sdwa s[42:43], v17, s44 src0_sel:BYTE_0 src1_sel:DWORD
	v_bfrev_b32_e32 v33, 1
	s_and_saveexec_b64 s[40:41], s[42:43]
	s_cbranch_execz .LBB318_706
; %bb.703:                              ;   in Loop: Header=BB318_12 Depth=1
	v_bfe_u32 v36, v8, 16, 7
	v_cmp_ne_u32_e32 vcc, s45, v36
	v_mov_b32_e32 v33, 0x7f800001
	s_and_saveexec_b64 s[42:43], vcc
	s_cbranch_execz .LBB318_705
; %bb.704:                              ;   in Loop: Header=BB318_12 Depth=1
	v_and_b32_e32 v33, 7, v17
	v_lshrrev_b32_e32 v38, 3, v36
	v_cmp_gt_u32_e32 vcc, 8, v36
	v_ffbh_u32_e32 v36, v33
	v_min_u32_e32 v48, 32, v36
	v_subrev_u32_e32 v36, 28, v48
	v_lshlrev_b64 v[36:37], v36, v[17:18]
	v_sub_u32_e32 v37, 29, v48
	v_and_b32_e32 v36, 7, v36
	v_cndmask_b32_e32 v37, v38, v37, vcc
	v_cndmask_b32_e32 v33, v33, v36, vcc
	v_lshlrev_b32_e32 v17, 24, v17
	v_bfrev_b32_e32 v0, 60
	v_lshlrev_b32_e32 v33, 20, v33
	v_and_b32_e32 v17, 0x80000000, v17
	v_lshl_add_u32 v36, v37, 23, v0
	v_or3_b32 v33, v17, v36, v33
.LBB318_705:                            ;   in Loop: Header=BB318_12 Depth=1
	s_or_b64 exec, exec, s[42:43]
.LBB318_706:                            ;   in Loop: Header=BB318_12 Depth=1
	s_or_b64 exec, exec, s[40:41]
.LBB318_707:                            ;   in Loop: Header=BB318_12 Depth=1
	s_or_b64 exec, exec, s[28:29]
	v_cmp_lt_u32_e32 vcc, s46, v8
	s_and_saveexec_b64 s[28:29], vcc
	s_cbranch_execz .LBB318_713
; %bb.708:                              ;   in Loop: Header=BB318_12 Depth=1
	v_lshrrev_b32_e32 v17, 24, v8
	v_cmp_ne_u32_e32 vcc, s44, v17
	v_bfrev_b32_e32 v32, 1
	s_and_saveexec_b64 s[40:41], vcc
	s_cbranch_execz .LBB318_712
; %bb.709:                              ;   in Loop: Header=BB318_12 Depth=1
	v_bfe_u32 v8, v8, 24, 7
	v_cmp_ne_u32_e32 vcc, s45, v8
	v_mov_b32_e32 v32, 0x7f800001
	s_and_saveexec_b64 s[42:43], vcc
	s_cbranch_execz .LBB318_711
; %bb.710:                              ;   in Loop: Header=BB318_12 Depth=1
	v_and_b32_e32 v32, 7, v17
	v_lshrrev_b32_e32 v38, 3, v8
	v_cmp_gt_u32_e32 vcc, 8, v8
	v_ffbh_u32_e32 v8, v32
	v_min_u32_e32 v8, 32, v8
	v_subrev_u32_e32 v36, 28, v8
	v_lshlrev_b64 v[36:37], v36, v[17:18]
	v_sub_u32_e32 v8, 29, v8
	v_and_b32_e32 v36, 7, v36
	v_cndmask_b32_e32 v8, v38, v8, vcc
	v_cndmask_b32_e32 v32, v32, v36, vcc
	v_lshlrev_b32_e32 v17, 24, v17
	v_bfrev_b32_e32 v0, 60
	v_lshlrev_b32_e32 v32, 20, v32
	v_and_b32_e32 v17, 0x80000000, v17
	v_lshl_add_u32 v8, v8, 23, v0
	v_or3_b32 v32, v17, v8, v32
.LBB318_711:                            ;   in Loop: Header=BB318_12 Depth=1
	s_or_b64 exec, exec, s[42:43]
.LBB318_712:                            ;   in Loop: Header=BB318_12 Depth=1
	s_or_b64 exec, exec, s[40:41]
.LBB318_713:                            ;   in Loop: Header=BB318_12 Depth=1
	s_or_b64 exec, exec, s[28:29]
	buffer_load_dword v0, off, s[0:3], s32 offset:72 ; 4-byte Folded Reload
	s_waitcnt vmcnt(0)
	v_add_co_u32_e32 v34, vcc, v34, v0
	v_addc_co_u32_e32 v35, vcc, 0, v35, vcc
	flat_load_dword v8, v[34:35]
	v_mov_b32_e32 v0, 0
	v_mov_b32_e32 v35, 0
	;; [unrolled: 1-line block ×3, first 2 shown]
	s_waitcnt vmcnt(0) lgkmcnt(0)
	v_cmp_ne_u16_sdwa s[40:41], v8, v0 src0_sel:BYTE_0 src1_sel:DWORD
	s_and_saveexec_b64 s[28:29], s[40:41]
	s_cbranch_execz .LBB318_719
; %bb.714:                              ;   in Loop: Header=BB318_12 Depth=1
	v_cmp_ne_u16_sdwa s[42:43], v8, s44 src0_sel:BYTE_0 src1_sel:DWORD
	v_bfrev_b32_e32 v34, 1
	s_and_saveexec_b64 s[40:41], s[42:43]
	s_cbranch_execz .LBB318_718
; %bb.715:                              ;   in Loop: Header=BB318_12 Depth=1
	v_and_b32_e32 v17, 0x7f, v8
	v_cmp_ne_u32_e32 vcc, s45, v17
	v_mov_b32_e32 v34, 0x7f800001
	s_and_saveexec_b64 s[42:43], vcc
	s_cbranch_execz .LBB318_717
; %bb.716:                              ;   in Loop: Header=BB318_12 Depth=1
	v_and_b32_e32 v34, 7, v8
	v_lshrrev_b32_e32 v38, 3, v17
	v_cmp_gt_u32_e32 vcc, 8, v17
	v_ffbh_u32_e32 v17, v34
	v_min_u32_e32 v17, 32, v17
	v_subrev_u32_e32 v36, 28, v17
	v_lshlrev_b64 v[36:37], v36, v[8:9]
	v_sub_u32_e32 v17, 29, v17
	v_and_b32_e32 v36, 7, v36
	v_cndmask_b32_e32 v17, v38, v17, vcc
	v_cndmask_b32_e32 v34, v34, v36, vcc
	v_lshlrev_b32_e32 v36, 24, v8
	v_bfrev_b32_e32 v0, 60
	v_lshlrev_b32_e32 v34, 20, v34
	v_and_b32_e32 v36, 0x80000000, v36
	v_lshl_add_u32 v17, v17, 23, v0
	v_or3_b32 v34, v36, v17, v34
.LBB318_717:                            ;   in Loop: Header=BB318_12 Depth=1
	s_or_b64 exec, exec, s[42:43]
.LBB318_718:                            ;   in Loop: Header=BB318_12 Depth=1
	s_or_b64 exec, exec, s[40:41]
.LBB318_719:                            ;   in Loop: Header=BB318_12 Depth=1
	s_or_b64 exec, exec, s[28:29]
	v_lshrrev_b16_e32 v17, 8, v8
	v_cmp_ne_u16_e32 vcc, 0, v17
	s_and_saveexec_b64 s[28:29], vcc
	s_cbranch_execz .LBB318_725
; %bb.720:                              ;   in Loop: Header=BB318_12 Depth=1
	v_cmp_ne_u16_e32 vcc, s44, v17
	v_bfrev_b32_e32 v35, 1
	s_and_saveexec_b64 s[40:41], vcc
	s_cbranch_execz .LBB318_724
; %bb.721:                              ;   in Loop: Header=BB318_12 Depth=1
	v_and_b32_e32 v36, 0x7f, v17
	v_cmp_ne_u32_e32 vcc, s45, v36
	v_mov_b32_e32 v35, 0x7f800001
	s_and_saveexec_b64 s[42:43], vcc
	s_cbranch_execz .LBB318_723
; %bb.722:                              ;   in Loop: Header=BB318_12 Depth=1
	v_and_b32_e32 v37, 7, v17
	v_ffbh_u32_e32 v35, v37
	v_min_u32_e32 v48, 32, v35
	v_subrev_u32_e32 v35, 28, v48
	v_lshrrev_b32_e32 v38, 3, v36
	v_cmp_gt_u32_e32 vcc, 8, v36
	v_lshlrev_b64 v[35:36], v35, v[17:18]
	v_sub_u32_e32 v17, 29, v48
	v_and_b32_e32 v35, 7, v35
	v_cndmask_b32_e32 v17, v38, v17, vcc
	v_cndmask_b32_e32 v35, v37, v35, vcc
	v_lshlrev_b32_e32 v36, 16, v8
	v_bfrev_b32_e32 v0, 60
	v_lshlrev_b32_e32 v35, 20, v35
	v_and_b32_e32 v36, 0x80000000, v36
	v_lshl_add_u32 v17, v17, 23, v0
	v_or3_b32 v35, v36, v17, v35
.LBB318_723:                            ;   in Loop: Header=BB318_12 Depth=1
	s_or_b64 exec, exec, s[42:43]
.LBB318_724:                            ;   in Loop: Header=BB318_12 Depth=1
	s_or_b64 exec, exec, s[40:41]
.LBB318_725:                            ;   in Loop: Header=BB318_12 Depth=1
	s_or_b64 exec, exec, s[28:29]
	v_lshrrev_b32_e32 v17, 16, v8
	v_mov_b32_e32 v0, 0
	v_cmp_ne_u16_sdwa s[40:41], v17, v0 src0_sel:BYTE_0 src1_sel:DWORD
	v_mov_b32_e32 v36, 0
	v_mov_b32_e32 v37, 0
	s_and_saveexec_b64 s[28:29], s[40:41]
	s_cbranch_execz .LBB318_731
; %bb.726:                              ;   in Loop: Header=BB318_12 Depth=1
	v_cmp_ne_u16_sdwa s[42:43], v17, s44 src0_sel:BYTE_0 src1_sel:DWORD
	v_bfrev_b32_e32 v37, 1
	s_and_saveexec_b64 s[40:41], s[42:43]
	s_cbranch_execz .LBB318_730
; %bb.727:                              ;   in Loop: Header=BB318_12 Depth=1
	v_bfe_u32 v38, v8, 16, 7
	v_cmp_ne_u32_e32 vcc, s45, v38
	v_mov_b32_e32 v37, 0x7f800001
	s_and_saveexec_b64 s[42:43], vcc
	s_cbranch_execz .LBB318_729
; %bb.728:                              ;   in Loop: Header=BB318_12 Depth=1
	v_and_b32_e32 v48, 7, v17
	v_ffbh_u32_e32 v37, v48
	v_min_u32_e32 v51, 32, v37
	v_subrev_u32_e32 v37, 28, v51
	v_lshrrev_b32_e32 v50, 3, v38
	v_cmp_gt_u32_e32 vcc, 8, v38
	v_lshlrev_b64 v[37:38], v37, v[17:18]
	v_sub_u32_e32 v38, 29, v51
	v_and_b32_e32 v37, 7, v37
	v_cndmask_b32_e32 v38, v50, v38, vcc
	v_cndmask_b32_e32 v37, v48, v37, vcc
	v_lshlrev_b32_e32 v17, 24, v17
	v_bfrev_b32_e32 v0, 60
	v_lshlrev_b32_e32 v37, 20, v37
	v_and_b32_e32 v17, 0x80000000, v17
	v_lshl_add_u32 v38, v38, 23, v0
	v_or3_b32 v37, v17, v38, v37
.LBB318_729:                            ;   in Loop: Header=BB318_12 Depth=1
	s_or_b64 exec, exec, s[42:43]
.LBB318_730:                            ;   in Loop: Header=BB318_12 Depth=1
	s_or_b64 exec, exec, s[40:41]
.LBB318_731:                            ;   in Loop: Header=BB318_12 Depth=1
	s_or_b64 exec, exec, s[28:29]
	v_cmp_lt_u32_e32 vcc, s46, v8
	s_and_saveexec_b64 s[28:29], vcc
	s_cbranch_execz .LBB318_737
; %bb.732:                              ;   in Loop: Header=BB318_12 Depth=1
	v_lshrrev_b32_e32 v17, 24, v8
	v_cmp_ne_u32_e32 vcc, s44, v17
	v_bfrev_b32_e32 v36, 1
	s_and_saveexec_b64 s[40:41], vcc
	s_cbranch_execz .LBB318_736
; %bb.733:                              ;   in Loop: Header=BB318_12 Depth=1
	v_bfe_u32 v8, v8, 24, 7
	v_cmp_ne_u32_e32 vcc, s45, v8
	v_mov_b32_e32 v36, 0x7f800001
	s_and_saveexec_b64 s[42:43], vcc
	s_cbranch_execz .LBB318_735
; %bb.734:                              ;   in Loop: Header=BB318_12 Depth=1
	v_and_b32_e32 v36, 7, v17
	v_lshrrev_b32_e32 v38, 3, v8
	v_cmp_gt_u32_e32 vcc, 8, v8
	v_ffbh_u32_e32 v8, v36
	v_min_u32_e32 v8, 32, v8
	v_subrev_u32_e32 v48, 28, v8
	v_lshlrev_b64 v[50:51], v48, v[17:18]
	v_sub_u32_e32 v8, 29, v8
	v_and_b32_e32 v48, 7, v50
	v_cndmask_b32_e32 v8, v38, v8, vcc
	v_cndmask_b32_e32 v36, v36, v48, vcc
	v_lshlrev_b32_e32 v17, 24, v17
	v_bfrev_b32_e32 v0, 60
	v_lshlrev_b32_e32 v36, 20, v36
	v_and_b32_e32 v17, 0x80000000, v17
	v_lshl_add_u32 v8, v8, 23, v0
	v_or3_b32 v36, v17, v8, v36
.LBB318_735:                            ;   in Loop: Header=BB318_12 Depth=1
	s_or_b64 exec, exec, s[42:43]
.LBB318_736:                            ;   in Loop: Header=BB318_12 Depth=1
	s_or_b64 exec, exec, s[40:41]
.LBB318_737:                            ;   in Loop: Header=BB318_12 Depth=1
	s_or_b64 exec, exec, s[28:29]
	buffer_load_dword v0, off, s[0:3], s32 offset:68 ; 4-byte Folded Reload
	v_add_co_u32_e32 v50, vcc, 0x1e00, v39
	v_addc_co_u32_e32 v51, vcc, 0, v40, vcc
	v_mov_b32_e32 v40, 0
	s_waitcnt vmcnt(0)
	v_add_co_u32_e32 v38, vcc, v50, v0
	v_addc_co_u32_e32 v39, vcc, 0, v51, vcc
	flat_load_dword v8, v[38:39]
	v_mov_b32_e32 v0, 0
	v_mov_b32_e32 v38, 0
	s_waitcnt vmcnt(0) lgkmcnt(0)
	v_cmp_ne_u16_sdwa s[40:41], v8, v0 src0_sel:BYTE_0 src1_sel:DWORD
	s_mov_b64 s[28:29], exec
	s_and_b64 s[40:41], s[28:29], s[40:41]
	v_mov_b32_e32 v54, v57
	s_mov_b64 exec, s[40:41]
	s_cbranch_execz .LBB318_743
; %bb.738:                              ;   in Loop: Header=BB318_12 Depth=1
	v_cmp_ne_u16_sdwa s[42:43], v8, s44 src0_sel:BYTE_0 src1_sel:DWORD
	v_bfrev_b32_e32 v38, 1
	s_and_saveexec_b64 s[40:41], s[42:43]
	s_cbranch_execz .LBB318_742
; %bb.739:                              ;   in Loop: Header=BB318_12 Depth=1
	v_and_b32_e32 v17, 0x7f, v8
	v_cmp_ne_u32_e32 vcc, s45, v17
	v_mov_b32_e32 v38, 0x7f800001
	s_and_saveexec_b64 s[42:43], vcc
	s_cbranch_execz .LBB318_741
; %bb.740:                              ;   in Loop: Header=BB318_12 Depth=1
	v_and_b32_e32 v48, 7, v8
	v_lshrrev_b32_e32 v57, 3, v17
	v_cmp_gt_u32_e32 vcc, 8, v17
	v_ffbh_u32_e32 v17, v48
	v_min_u32_e32 v17, 32, v17
	v_subrev_u32_e32 v38, 28, v17
	v_lshlrev_b64 v[38:39], v38, v[8:9]
	v_sub_u32_e32 v17, 29, v17
	v_and_b32_e32 v38, 7, v38
	v_cndmask_b32_e32 v17, v57, v17, vcc
	v_cndmask_b32_e32 v38, v48, v38, vcc
	v_lshlrev_b32_e32 v39, 24, v8
	v_bfrev_b32_e32 v0, 60
	v_lshlrev_b32_e32 v38, 20, v38
	v_and_b32_e32 v39, 0x80000000, v39
	v_lshl_add_u32 v17, v17, 23, v0
	v_mov_b32_e32 v57, v54
	v_or3_b32 v38, v39, v17, v38
.LBB318_741:                            ;   in Loop: Header=BB318_12 Depth=1
	s_or_b64 exec, exec, s[42:43]
.LBB318_742:                            ;   in Loop: Header=BB318_12 Depth=1
	s_or_b64 exec, exec, s[40:41]
.LBB318_743:                            ;   in Loop: Header=BB318_12 Depth=1
	s_or_b64 exec, exec, s[28:29]
	v_lshrrev_b16_e32 v17, 8, v8
	v_cmp_ne_u16_e32 vcc, 0, v17
	s_and_saveexec_b64 s[28:29], vcc
	s_cbranch_execz .LBB318_749
; %bb.744:                              ;   in Loop: Header=BB318_12 Depth=1
	v_cmp_ne_u16_e32 vcc, s44, v17
	v_bfrev_b32_e32 v40, 1
	s_and_saveexec_b64 s[40:41], vcc
	s_cbranch_execz .LBB318_748
; %bb.745:                              ;   in Loop: Header=BB318_12 Depth=1
	v_and_b32_e32 v39, 0x7f, v17
	v_cmp_ne_u32_e32 vcc, s45, v39
	v_mov_b32_e32 v40, 0x7f800001
	s_and_saveexec_b64 s[42:43], vcc
	s_cbranch_execz .LBB318_747
; %bb.746:                              ;   in Loop: Header=BB318_12 Depth=1
	v_and_b32_e32 v48, 7, v17
	v_lshrrev_b32_e32 v57, 3, v39
	v_cmp_gt_u32_e32 vcc, 8, v39
	v_ffbh_u32_e32 v39, v48
	v_mov_b32_e32 v0, v58
	v_min_u32_e32 v58, 32, v39
	v_subrev_u32_e32 v39, 28, v58
	v_lshlrev_b64 v[39:40], v39, v[17:18]
	v_sub_u32_e32 v17, 29, v58
	v_and_b32_e32 v39, 7, v39
	v_mov_b32_e32 v58, v0
	v_cndmask_b32_e32 v17, v57, v17, vcc
	v_cndmask_b32_e32 v39, v48, v39, vcc
	v_lshlrev_b32_e32 v48, 16, v8
	v_bfrev_b32_e32 v0, 60
	v_lshlrev_b32_e32 v39, 20, v39
	v_and_b32_e32 v48, 0x80000000, v48
	v_lshl_add_u32 v17, v17, 23, v0
	v_mov_b32_e32 v57, v54
	v_or3_b32 v40, v48, v17, v39
.LBB318_747:                            ;   in Loop: Header=BB318_12 Depth=1
	s_or_b64 exec, exec, s[42:43]
.LBB318_748:                            ;   in Loop: Header=BB318_12 Depth=1
	s_or_b64 exec, exec, s[40:41]
.LBB318_749:                            ;   in Loop: Header=BB318_12 Depth=1
	s_or_b64 exec, exec, s[28:29]
	v_lshrrev_b32_e32 v17, 16, v8
	v_mov_b32_e32 v0, 0
	v_cmp_ne_u16_sdwa s[40:41], v17, v0 src0_sel:BYTE_0 src1_sel:DWORD
	v_mov_b32_e32 v39, 0
	v_mov_b32_e32 v48, 0
	s_and_saveexec_b64 s[28:29], s[40:41]
	s_cbranch_execz .LBB318_755
; %bb.750:                              ;   in Loop: Header=BB318_12 Depth=1
	v_cmp_ne_u16_sdwa s[42:43], v17, s44 src0_sel:BYTE_0 src1_sel:DWORD
	v_bfrev_b32_e32 v48, 1
	s_and_saveexec_b64 s[40:41], s[42:43]
	s_cbranch_execz .LBB318_754
; %bb.751:                              ;   in Loop: Header=BB318_12 Depth=1
	v_bfe_u32 v57, v8, 16, 7
	v_cmp_ne_u32_e32 vcc, s45, v57
	v_mov_b32_e32 v48, 0x7f800001
	s_and_saveexec_b64 s[42:43], vcc
	s_cbranch_execz .LBB318_753
; %bb.752:                              ;   in Loop: Header=BB318_12 Depth=1
	v_mov_b32_e32 v7, v59
	v_mov_b32_e32 v59, v16
	;; [unrolled: 1-line block ×16, first 2 shown]
	buffer_load_dword v7, off, s[0:3], s32 offset:420 ; 4-byte Folded Reload
	v_and_b32_e32 v48, 7, v17
	v_mov_b32_e32 v43, v44
	v_mov_b32_e32 v44, v24
	v_lshrrev_b32_e32 v24, 3, v57
	v_cmp_gt_u32_e32 vcc, 8, v57
	v_ffbh_u32_e32 v57, v48
	v_mov_b32_e32 v0, v49
	v_min_u32_e32 v49, 32, v57
	v_subrev_u32_e32 v57, 28, v49
	v_mov_b32_e32 v1, v42
	v_mov_b32_e32 v42, v58
	v_lshlrev_b64 v[57:58], v57, v[17:18]
	v_sub_u32_e32 v49, 29, v49
	v_and_b32_e32 v57, 7, v57
	v_cndmask_b32_e32 v24, v24, v49, vcc
	v_mov_b32_e32 v49, v0
	v_cndmask_b32_e32 v48, v48, v57, vcc
	v_lshlrev_b32_e32 v17, 24, v17
	v_bfrev_b32_e32 v0, 60
	v_lshlrev_b32_e32 v48, 20, v48
	v_and_b32_e32 v17, 0x80000000, v17
	v_lshl_add_u32 v24, v24, 23, v0
	v_mov_b32_e32 v58, v42
	v_mov_b32_e32 v42, v1
	v_or3_b32 v48, v17, v24, v48
	v_mov_b32_e32 v24, v44
	v_mov_b32_e32 v44, v43
.LBB318_753:                            ;   in Loop: Header=BB318_12 Depth=1
	s_or_b64 exec, exec, s[42:43]
	v_mov_b32_e32 v57, v54
.LBB318_754:                            ;   in Loop: Header=BB318_12 Depth=1
	s_or_b64 exec, exec, s[40:41]
.LBB318_755:                            ;   in Loop: Header=BB318_12 Depth=1
	s_or_b64 exec, exec, s[28:29]
	v_cmp_lt_u32_e32 vcc, s46, v8
	s_and_saveexec_b64 s[28:29], vcc
	s_cbranch_execz .LBB318_761
; %bb.756:                              ;   in Loop: Header=BB318_12 Depth=1
	v_lshrrev_b32_e32 v17, 24, v8
	v_cmp_ne_u32_e32 vcc, s44, v17
	v_bfrev_b32_e32 v39, 1
	s_and_saveexec_b64 s[40:41], vcc
	s_cbranch_execz .LBB318_760
; %bb.757:                              ;   in Loop: Header=BB318_12 Depth=1
	v_bfe_u32 v8, v8, 24, 7
	v_cmp_ne_u32_e32 vcc, s45, v8
	v_mov_b32_e32 v39, 0x7f800001
	s_and_saveexec_b64 s[42:43], vcc
	s_cbranch_execz .LBB318_759
; %bb.758:                              ;   in Loop: Header=BB318_12 Depth=1
	s_waitcnt vmcnt(0)
	v_mov_b32_e32 v7, v59
	v_mov_b32_e32 v59, v16
	;; [unrolled: 1-line block ×16, first 2 shown]
	buffer_load_dword v7, off, s[0:3], s32 offset:420 ; 4-byte Folded Reload
	v_mov_b32_e32 v43, v44
	v_mov_b32_e32 v44, v24
	v_and_b32_e32 v24, 7, v17
	v_lshrrev_b32_e32 v39, 3, v8
	v_cmp_gt_u32_e32 vcc, 8, v8
	v_ffbh_u32_e32 v8, v24
	v_min_u32_e32 v8, 32, v8
	v_mov_b32_e32 v0, v49
	v_subrev_u32_e32 v49, 28, v8
	v_mov_b32_e32 v1, v42
	v_mov_b32_e32 v42, v58
	v_lshlrev_b64 v[57:58], v49, v[17:18]
	v_sub_u32_e32 v8, 29, v8
	v_and_b32_e32 v49, 7, v57
	v_cndmask_b32_e32 v8, v39, v8, vcc
	v_cndmask_b32_e32 v24, v24, v49, vcc
	v_mov_b32_e32 v49, v0
	v_lshlrev_b32_e32 v17, 24, v17
	v_bfrev_b32_e32 v0, 60
	v_lshlrev_b32_e32 v24, 20, v24
	v_and_b32_e32 v17, 0x80000000, v17
	v_lshl_add_u32 v8, v8, 23, v0
	v_mov_b32_e32 v58, v42
	v_mov_b32_e32 v42, v1
	;; [unrolled: 1-line block ×3, first 2 shown]
	v_or3_b32 v39, v17, v8, v24
	v_mov_b32_e32 v24, v44
	v_mov_b32_e32 v44, v43
.LBB318_759:                            ;   in Loop: Header=BB318_12 Depth=1
	s_or_b64 exec, exec, s[42:43]
.LBB318_760:                            ;   in Loop: Header=BB318_12 Depth=1
	s_or_b64 exec, exec, s[40:41]
.LBB318_761:                            ;   in Loop: Header=BB318_12 Depth=1
	s_or_b64 exec, exec, s[28:29]
	buffer_load_dword v0, off, s[0:3], s32 offset:72 ; 4-byte Folded Reload
	s_waitcnt vmcnt(0)
	v_add_co_u32_e32 v50, vcc, v50, v0
	v_addc_co_u32_e32 v51, vcc, 0, v51, vcc
	flat_load_dword v8, v[50:51]
	v_mov_b32_e32 v0, 0
	v_mov_b32_e32 v51, 0
	;; [unrolled: 1-line block ×3, first 2 shown]
	s_waitcnt vmcnt(0) lgkmcnt(0)
	v_cmp_ne_u16_sdwa s[40:41], v8, v0 src0_sel:BYTE_0 src1_sel:DWORD
	s_and_saveexec_b64 s[28:29], s[40:41]
	s_cbranch_execz .LBB318_767
; %bb.762:                              ;   in Loop: Header=BB318_12 Depth=1
	v_cmp_ne_u16_sdwa s[42:43], v8, s44 src0_sel:BYTE_0 src1_sel:DWORD
	v_bfrev_b32_e32 v50, 1
	s_and_saveexec_b64 s[40:41], s[42:43]
	s_cbranch_execz .LBB318_766
; %bb.763:                              ;   in Loop: Header=BB318_12 Depth=1
	v_and_b32_e32 v17, 0x7f, v8
	v_cmp_ne_u32_e32 vcc, s45, v17
	v_mov_b32_e32 v50, 0x7f800001
	s_and_saveexec_b64 s[42:43], vcc
	s_cbranch_execz .LBB318_765
; %bb.764:                              ;   in Loop: Header=BB318_12 Depth=1
	v_mov_b32_e32 v43, v44
	v_mov_b32_e32 v44, v24
	v_and_b32_e32 v24, 7, v8
	v_mov_b32_e32 v7, v59
	v_mov_b32_e32 v59, v16
	;; [unrolled: 1-line block ×12, first 2 shown]
	v_lshrrev_b32_e32 v49, 3, v17
	v_cmp_gt_u32_e32 vcc, 8, v17
	v_ffbh_u32_e32 v17, v24
	v_min_u32_e32 v17, 32, v17
	v_subrev_u32_e32 v50, 28, v17
	v_mov_b32_e32 v0, v58
	v_lshlrev_b64 v[57:58], v50, v[8:9]
	v_sub_u32_e32 v17, 29, v17
	v_and_b32_e32 v50, 7, v57
	v_mov_b32_e32 v58, v0
	v_cndmask_b32_e32 v17, v49, v17, vcc
	v_cndmask_b32_e32 v24, v24, v50, vcc
	v_lshlrev_b32_e32 v49, 24, v8
	v_bfrev_b32_e32 v0, 60
	v_lshlrev_b32_e32 v24, 20, v24
	v_and_b32_e32 v49, 0x80000000, v49
	v_lshl_add_u32 v17, v17, 23, v0
	v_or3_b32 v50, v49, v17, v24
	v_mov_b32_e32 v49, v60
	v_mov_b32_e32 v60, v46
	;; [unrolled: 1-line block ×12, first 2 shown]
	buffer_load_dword v7, off, s[0:3], s32 offset:420 ; 4-byte Folded Reload
	v_mov_b32_e32 v57, v54
	v_mov_b32_e32 v24, v44
	;; [unrolled: 1-line block ×3, first 2 shown]
.LBB318_765:                            ;   in Loop: Header=BB318_12 Depth=1
	s_or_b64 exec, exec, s[42:43]
.LBB318_766:                            ;   in Loop: Header=BB318_12 Depth=1
	s_or_b64 exec, exec, s[40:41]
.LBB318_767:                            ;   in Loop: Header=BB318_12 Depth=1
	s_or_b64 exec, exec, s[28:29]
	v_lshrrev_b16_e32 v17, 8, v8
	v_cmp_ne_u16_e32 vcc, 0, v17
	s_and_saveexec_b64 s[28:29], vcc
	s_cbranch_execz .LBB318_773
; %bb.768:                              ;   in Loop: Header=BB318_12 Depth=1
	v_cmp_ne_u16_e32 vcc, s44, v17
	v_bfrev_b32_e32 v51, 1
	s_and_saveexec_b64 s[40:41], vcc
	s_cbranch_execz .LBB318_772
; %bb.769:                              ;   in Loop: Header=BB318_12 Depth=1
	v_and_b32_e32 v57, 0x7f, v17
	v_cmp_ne_u32_e32 vcc, s45, v57
	v_mov_b32_e32 v51, 0x7f800001
	s_and_saveexec_b64 s[42:43], vcc
	s_cbranch_execz .LBB318_771
; %bb.770:                              ;   in Loop: Header=BB318_12 Depth=1
	v_mov_b32_e32 v43, v44
	v_mov_b32_e32 v44, v24
	v_and_b32_e32 v24, 7, v17
	v_ffbh_u32_e32 v51, v24
	v_min_u32_e32 v51, 32, v51
	s_waitcnt vmcnt(0)
	v_mov_b32_e32 v7, v59
	v_mov_b32_e32 v59, v16
	;; [unrolled: 1-line block ×12, first 2 shown]
	v_lshrrev_b32_e32 v49, 3, v57
	v_cmp_gt_u32_e32 vcc, 8, v57
	v_subrev_u32_e32 v57, 28, v51
	v_mov_b32_e32 v0, v58
	v_lshlrev_b64 v[57:58], v57, v[17:18]
	v_sub_u32_e32 v17, 29, v51
	v_and_b32_e32 v51, 7, v57
	v_mov_b32_e32 v58, v0
	v_cndmask_b32_e32 v17, v49, v17, vcc
	v_cndmask_b32_e32 v24, v24, v51, vcc
	v_lshlrev_b32_e32 v49, 16, v8
	v_bfrev_b32_e32 v0, 60
	v_lshlrev_b32_e32 v24, 20, v24
	v_and_b32_e32 v49, 0x80000000, v49
	v_lshl_add_u32 v17, v17, 23, v0
	v_or3_b32 v51, v49, v17, v24
	v_mov_b32_e32 v49, v60
	v_mov_b32_e32 v60, v46
	;; [unrolled: 1-line block ×12, first 2 shown]
	buffer_load_dword v7, off, s[0:3], s32 offset:420 ; 4-byte Folded Reload
	v_mov_b32_e32 v24, v44
	v_mov_b32_e32 v44, v43
.LBB318_771:                            ;   in Loop: Header=BB318_12 Depth=1
	s_or_b64 exec, exec, s[42:43]
	v_mov_b32_e32 v57, v54
.LBB318_772:                            ;   in Loop: Header=BB318_12 Depth=1
	s_or_b64 exec, exec, s[40:41]
.LBB318_773:                            ;   in Loop: Header=BB318_12 Depth=1
	s_or_b64 exec, exec, s[28:29]
	v_lshrrev_b32_e32 v17, 16, v8
	v_mov_b32_e32 v0, 0
	v_cmp_ne_u16_sdwa s[40:41], v17, v0 src0_sel:BYTE_0 src1_sel:DWORD
	v_mov_b32_e32 v0, 0
	v_mov_b32_e32 v1, 0
	s_and_saveexec_b64 s[28:29], s[40:41]
	s_cbranch_execz .LBB318_779
; %bb.774:                              ;   in Loop: Header=BB318_12 Depth=1
	v_cmp_ne_u16_sdwa s[42:43], v17, s44 src0_sel:BYTE_0 src1_sel:DWORD
	v_bfrev_b32_e32 v1, 1
	s_and_saveexec_b64 s[40:41], s[42:43]
	s_cbranch_execz .LBB318_778
; %bb.775:                              ;   in Loop: Header=BB318_12 Depth=1
	v_bfe_u32 v57, v8, 16, 7
	v_cmp_ne_u32_e32 vcc, s45, v57
	v_mov_b32_e32 v1, 0x7f800001
	s_and_saveexec_b64 s[42:43], vcc
	s_cbranch_execz .LBB318_777
; %bb.776:                              ;   in Loop: Header=BB318_12 Depth=1
	v_mov_b32_e32 v43, v44
	v_mov_b32_e32 v44, v24
	v_and_b32_e32 v24, 7, v17
	s_waitcnt vmcnt(0)
	v_mov_b32_e32 v7, v59
	v_mov_b32_e32 v59, v16
	;; [unrolled: 1-line block ×12, first 2 shown]
	v_lshrrev_b32_e32 v49, 3, v57
	v_cmp_gt_u32_e32 vcc, 8, v57
	v_ffbh_u32_e32 v57, v24
	v_min_u32_e32 v0, 32, v57
	v_subrev_u32_e32 v57, 28, v0
	v_sub_u32_e32 v0, 29, v0
	v_cndmask_b32_e32 v0, v49, v0, vcc
	v_bfrev_b32_e32 v49, 60
	v_lshl_add_u32 v0, v0, 23, v49
	v_mov_b32_e32 v49, v60
	v_mov_b32_e32 v60, v46
	v_mov_b32_e32 v46, v56
	v_mov_b32_e32 v56, v61
	v_mov_b32_e32 v61, v62
	v_mov_b32_e32 v62, v53
	v_mov_b32_e32 v53, v47
	v_mov_b32_e32 v47, v45
	v_mov_b32_e32 v45, v52
	v_mov_b32_e32 v52, v16
	v_mov_b32_e32 v16, v59
	v_mov_b32_e32 v59, v7
	buffer_load_dword v7, off, s[0:3], s32 offset:420 ; 4-byte Folded Reload
	v_mov_b32_e32 v11, v22
	v_mov_b32_e32 v22, v20
	;; [unrolled: 1-line block ×5, first 2 shown]
	v_lshlrev_b64 v[1:2], v57, v[17:18]
	v_lshlrev_b32_e32 v17, 24, v17
	v_and_b32_e32 v57, 7, v1
	v_cndmask_b32_e32 v24, v24, v57, vcc
	v_lshlrev_b32_e32 v24, 20, v24
	v_and_b32_e32 v17, 0x80000000, v17
	v_mov_b32_e32 v18, v25
	v_mov_b32_e32 v25, v20
	;; [unrolled: 1-line block ×5, first 2 shown]
	v_or3_b32 v1, v17, v0, v24
	v_mov_b32_e32 v0, 0
	v_mov_b32_e32 v24, v44
	;; [unrolled: 1-line block ×3, first 2 shown]
.LBB318_777:                            ;   in Loop: Header=BB318_12 Depth=1
	s_or_b64 exec, exec, s[42:43]
	v_mov_b32_e32 v57, v54
.LBB318_778:                            ;   in Loop: Header=BB318_12 Depth=1
	s_or_b64 exec, exec, s[40:41]
.LBB318_779:                            ;   in Loop: Header=BB318_12 Depth=1
	s_or_b64 exec, exec, s[28:29]
	v_mov_b32_e32 v43, v1
	v_cmp_lt_u32_e32 vcc, s46, v8
	s_and_saveexec_b64 s[28:29], vcc
	s_cbranch_execz .LBB318_785
; %bb.780:                              ;   in Loop: Header=BB318_12 Depth=1
	v_lshrrev_b32_e32 v17, 24, v8
	v_cmp_ne_u32_e32 vcc, s44, v17
	v_bfrev_b32_e32 v0, 1
	s_and_saveexec_b64 s[40:41], vcc
	s_cbranch_execz .LBB318_784
; %bb.781:                              ;   in Loop: Header=BB318_12 Depth=1
	v_bfe_u32 v8, v8, 24, 7
	v_cmp_ne_u32_e32 vcc, s45, v8
	v_mov_b32_e32 v0, 0x7f800001
	s_and_saveexec_b64 s[42:43], vcc
	s_cbranch_execz .LBB318_783
; %bb.782:                              ;   in Loop: Header=BB318_12 Depth=1
	v_and_b32_e32 v0, 7, v17
	v_mov_b32_e32 v55, v24
	v_lshrrev_b32_e32 v24, 3, v8
	v_cmp_gt_u32_e32 vcc, 8, v8
	v_ffbh_u32_e32 v8, v0
	v_min_u32_e32 v8, 32, v8
	s_waitcnt vmcnt(0)
	v_mov_b32_e32 v7, v49
	v_subrev_u32_e32 v49, 28, v8
	v_mov_b32_e32 v1, v42
	v_mov_b32_e32 v42, v58
	v_lshlrev_b64 v[57:58], v49, v[17:18]
	v_sub_u32_e32 v8, 29, v8
	v_and_b32_e32 v49, 7, v57
	v_cndmask_b32_e32 v0, v0, v49, vcc
	v_mov_b32_e32 v49, v7
	buffer_load_dword v7, off, s[0:3], s32 offset:420 ; 4-byte Folded Reload
	v_cndmask_b32_e32 v8, v24, v8, vcc
	v_lshlrev_b32_e32 v17, 24, v17
	v_bfrev_b32_e32 v24, 60
	v_lshlrev_b32_e32 v0, 20, v0
	v_and_b32_e32 v17, 0x80000000, v17
	v_lshl_add_u32 v8, v8, 23, v24
	v_mov_b32_e32 v58, v42
	v_mov_b32_e32 v42, v1
	;; [unrolled: 1-line block ×4, first 2 shown]
	v_or3_b32 v0, v17, v8, v0
.LBB318_783:                            ;   in Loop: Header=BB318_12 Depth=1
	s_or_b64 exec, exec, s[42:43]
.LBB318_784:                            ;   in Loop: Header=BB318_12 Depth=1
	s_or_b64 exec, exec, s[40:41]
.LBB318_785:                            ;   in Loop: Header=BB318_12 Depth=1
	s_or_b64 exec, exec, s[28:29]
	v_mov_b32_e32 v54, v0
	v_mul_f32_e32 v0, v9, v51
	v_bfe_u32 v8, v0, 16, 1
	v_add3_u32 v8, v8, v0, s47
	v_or_b32_e32 v17, 0x400000, v0
	v_cmp_u_f32_e32 vcc, v0, v0
	v_cndmask_b32_e32 v0, v8, v17, vcc
	buffer_store_dword v0, off, s[0:3], s32 offset:420 ; 4-byte Folded Spill
	v_mul_f32_e32 v0, v9, v50
	v_bfe_u32 v8, v0, 16, 1
	v_add3_u32 v8, v8, v0, s47
	v_or_b32_e32 v17, 0x400000, v0
	v_cmp_u_f32_e32 vcc, v0, v0
	v_cndmask_b32_e32 v0, v8, v17, vcc
	buffer_store_dword v0, off, s[0:3], s32 offset:532 ; 4-byte Folded Spill
	;; [unrolled: 7-line block ×26, first 2 shown]
	buffer_load_dword v0, off, s[0:3], s32 offset:368 ; 4-byte Folded Reload
	s_waitcnt vmcnt(0)
	v_mul_f32_e32 v0, v9, v0
	v_bfe_u32 v2, v0, 16, 1
	v_add3_u32 v2, v2, v0, s47
	v_or_b32_e32 v3, 0x400000, v0
	v_cmp_u_f32_e32 vcc, v0, v0
	v_cndmask_b32_e32 v0, v2, v3, vcc
	buffer_store_dword v0, off, s[0:3], s32 offset:368 ; 4-byte Folded Spill
	v_mul_f32_e32 v0, v9, v26
	v_bfe_u32 v2, v0, 16, 1
	v_add3_u32 v2, v2, v0, s47
	v_or_b32_e32 v3, 0x400000, v0
	v_cmp_u_f32_e32 vcc, v0, v0
	v_cndmask_b32_e32 v0, v2, v3, vcc
	buffer_store_dword v0, off, s[0:3], s32 offset:636 ; 4-byte Folded Spill
	buffer_load_dword v0, off, s[0:3], s32 offset:364 ; 4-byte Folded Reload
	s_waitcnt vmcnt(0)
	v_mul_f32_e32 v0, v9, v0
	v_bfe_u32 v2, v0, 16, 1
	v_add3_u32 v2, v2, v0, s47
	v_or_b32_e32 v3, 0x400000, v0
	v_cmp_u_f32_e32 vcc, v0, v0
	v_cndmask_b32_e32 v0, v2, v3, vcc
	buffer_store_dword v0, off, s[0:3], s32 offset:364 ; 4-byte Folded Spill
	buffer_load_dword v0, off, s[0:3], s32 offset:360 ; 4-byte Folded Reload
	s_waitcnt vmcnt(0)
	v_mul_f32_e32 v0, v9, v0
	v_bfe_u32 v2, v0, 16, 1
	v_add3_u32 v2, v2, v0, s47
	v_or_b32_e32 v3, 0x400000, v0
	v_cmp_u_f32_e32 vcc, v0, v0
	v_cndmask_b32_e32 v0, v2, v3, vcc
	buffer_store_dword v0, off, s[0:3], s32 offset:360 ; 4-byte Folded Spill
	buffer_load_dword v0, off, s[0:3], s32 offset:356 ; 4-byte Folded Reload
	s_waitcnt vmcnt(0)
	v_mul_f32_e32 v0, v9, v0
	v_bfe_u32 v2, v0, 16, 1
	v_add3_u32 v2, v2, v0, s47
	v_or_b32_e32 v3, 0x400000, v0
	v_cmp_u_f32_e32 vcc, v0, v0
	v_cndmask_b32_e32 v0, v2, v3, vcc
	buffer_store_dword v0, off, s[0:3], s32 offset:356 ; 4-byte Folded Spill
	v_mul_f32_e32 v0, v9, v10
	v_bfe_u32 v2, v0, 16, 1
	v_add3_u32 v2, v2, v0, s47
	v_or_b32_e32 v3, 0x400000, v0
	v_cmp_u_f32_e32 vcc, v0, v0
	v_cndmask_b32_e32 v0, v2, v3, vcc
	buffer_store_dword v0, off, s[0:3], s32 offset:644 ; 4-byte Folded Spill
	buffer_load_dword v0, off, s[0:3], s32 offset:348 ; 4-byte Folded Reload
	s_waitcnt vmcnt(0)
	v_mul_f32_e32 v0, v9, v0
	v_bfe_u32 v2, v0, 16, 1
	v_add3_u32 v2, v2, v0, s47
	v_or_b32_e32 v3, 0x400000, v0
	v_cmp_u_f32_e32 vcc, v0, v0
	v_cndmask_b32_e32 v0, v2, v3, vcc
	buffer_store_dword v0, off, s[0:3], s32 offset:348 ; 4-byte Folded Spill
	buffer_load_dword v0, off, s[0:3], s32 offset:344 ; 4-byte Folded Reload
	s_waitcnt vmcnt(0)
	v_mul_f32_e32 v0, v9, v0
	v_bfe_u32 v2, v0, 16, 1
	v_add3_u32 v2, v2, v0, s47
	v_or_b32_e32 v3, 0x400000, v0
	v_cmp_u_f32_e32 vcc, v0, v0
	v_cndmask_b32_e32 v0, v2, v3, vcc
	buffer_store_dword v0, off, s[0:3], s32 offset:344 ; 4-byte Folded Spill
	;; [unrolled: 34-line block ×5, first 2 shown]
	buffer_load_dword v0, off, s[0:3], s32 offset:292 ; 4-byte Folded Reload
	s_waitcnt vmcnt(0)
	v_mul_f32_e32 v0, v9, v0
	v_bfe_u32 v1, v0, 16, 1
	v_add3_u32 v1, v1, v0, s47
	v_or_b32_e32 v2, 0x400000, v0
	v_cmp_u_f32_e32 vcc, v0, v0
	v_cndmask_b32_e32 v0, v1, v2, vcc
	buffer_store_dword v0, off, s[0:3], s32 offset:292 ; 4-byte Folded Spill
	buffer_load_dword v0, off, s[0:3], s32 offset:416 ; 4-byte Folded Reload
	s_waitcnt vmcnt(0)
	v_mul_f32_e32 v0, v9, v0
	v_bfe_u32 v1, v0, 16, 1
	v_add3_u32 v1, v1, v0, s47
	v_or_b32_e32 v2, 0x400000, v0
	v_cmp_u_f32_e32 vcc, v0, v0
	v_cndmask_b32_e32 v0, v1, v2, vcc
	buffer_store_dword v0, off, s[0:3], s32 offset:416 ; 4-byte Folded Spill
	;; [unrolled: 9-line block ×5, first 2 shown]
	v_mul_f32_e32 v0, v9, v7
	v_bfe_u32 v1, v0, 16, 1
	v_add3_u32 v1, v1, v0, s47
	v_or_b32_e32 v2, 0x400000, v0
	v_cmp_u_f32_e32 vcc, v0, v0
	v_cndmask_b32_e32 v0, v1, v2, vcc
	buffer_store_dword v0, off, s[0:3], s32 offset:664 ; 4-byte Folded Spill
	buffer_load_dword v0, off, s[0:3], s32 offset:264 ; 4-byte Folded Reload
	s_waitcnt vmcnt(0)
	v_mul_f32_e32 v0, v9, v0
	v_bfe_u32 v1, v0, 16, 1
	v_add3_u32 v1, v1, v0, s47
	v_or_b32_e32 v2, 0x400000, v0
	v_cmp_u_f32_e32 vcc, v0, v0
	v_cndmask_b32_e32 v0, v1, v2, vcc
	buffer_store_dword v0, off, s[0:3], s32 offset:264 ; 4-byte Folded Spill
	buffer_load_dword v0, off, s[0:3], s32 offset:260 ; 4-byte Folded Reload
	s_waitcnt vmcnt(0)
	;; [unrolled: 9-line block ×8, first 2 shown]
	v_mul_f32_e32 v0, v9, v0
	v_bfe_u32 v1, v0, 16, 1
	v_add3_u32 v1, v1, v0, s47
	v_or_b32_e32 v2, 0x400000, v0
	v_cmp_u_f32_e32 vcc, v0, v0
	v_cndmask_b32_e32 v0, v1, v2, vcc
	buffer_store_dword v0, off, s[0:3], s32 offset:408 ; 4-byte Folded Spill
	v_mul_f32_e32 v0, v9, v22
	v_bfe_u32 v1, v0, 16, 1
	v_add3_u32 v1, v1, v0, s47
	v_or_b32_e32 v2, 0x400000, v0
	v_cmp_u_f32_e32 vcc, v0, v0
	v_cndmask_b32_e32 v0, v1, v2, vcc
	buffer_store_dword v0, off, s[0:3], s32 offset:668 ; 4-byte Folded Spill
	;; [unrolled: 7-line block ×7, first 2 shown]
	buffer_load_dword v0, off, s[0:3], s32 offset:240 ; 4-byte Folded Reload
	s_waitcnt vmcnt(0)
	v_mul_f32_e32 v0, v9, v0
	v_bfe_u32 v1, v0, 16, 1
	v_add3_u32 v1, v1, v0, s47
	v_or_b32_e32 v2, 0x400000, v0
	v_cmp_u_f32_e32 vcc, v0, v0
	v_cndmask_b32_e32 v0, v1, v2, vcc
	buffer_store_dword v0, off, s[0:3], s32 offset:240 ; 4-byte Folded Spill
	buffer_load_dword v0, off, s[0:3], s32 offset:404 ; 4-byte Folded Reload
	s_waitcnt vmcnt(0)
	v_mul_f32_e32 v0, v9, v0
	v_bfe_u32 v1, v0, 16, 1
	v_add3_u32 v1, v1, v0, s47
	v_or_b32_e32 v2, 0x400000, v0
	v_cmp_u_f32_e32 vcc, v0, v0
	v_cndmask_b32_e32 v0, v1, v2, vcc
	buffer_store_dword v0, off, s[0:3], s32 offset:404 ; 4-byte Folded Spill
	;; [unrolled: 9-line block ×36, first 2 shown]
	v_mul_f32_e32 v0, v9, v57
	v_bfe_u32 v1, v0, 16, 1
	v_add3_u32 v1, v1, v0, s47
	v_or_b32_e32 v2, 0x400000, v0
	v_cmp_u_f32_e32 vcc, v0, v0
	v_cndmask_b32_e32 v0, v1, v2, vcc
	buffer_store_dword v0, off, s[0:3], s32 offset:696 ; 4-byte Folded Spill
	buffer_load_dword v0, off, s[0:3], s32 offset:304 ; 4-byte Folded Reload
	s_waitcnt vmcnt(0)
	v_mul_f32_e32 v0, v9, v0
	v_bfe_u32 v1, v0, 16, 1
	v_add3_u32 v1, v1, v0, s47
	v_or_b32_e32 v2, 0x400000, v0
	v_cmp_u_f32_e32 vcc, v0, v0
	v_cndmask_b32_e32 v0, v1, v2, vcc
	buffer_store_dword v0, off, s[0:3], s32 offset:304 ; 4-byte Folded Spill
	buffer_load_dword v0, off, s[0:3], s32 offset:288 ; 4-byte Folded Reload
	s_waitcnt vmcnt(0)
	;; [unrolled: 9-line block ×5, first 2 shown]
	v_mul_f32_e32 v0, v9, v0
	v_bfe_u32 v1, v0, 16, 1
	v_add3_u32 v1, v1, v0, s47
	v_or_b32_e32 v2, 0x400000, v0
	v_cmp_u_f32_e32 vcc, v0, v0
	v_cndmask_b32_e32 v0, v1, v2, vcc
	buffer_store_dword v0, off, s[0:3], s32 offset:700 ; 4-byte Folded Spill
	v_mul_f32_e32 v0, v9, v58
	v_bfe_u32 v1, v0, 16, 1
	v_add3_u32 v1, v1, v0, s47
	v_or_b32_e32 v2, 0x400000, v0
	v_cmp_u_f32_e32 vcc, v0, v0
	v_cndmask_b32_e32 v0, v1, v2, vcc
	buffer_store_dword v0, off, s[0:3], s32 offset:704 ; 4-byte Folded Spill
	buffer_load_dword v0, off, s[0:3], s32 offset:352 ; 4-byte Folded Reload
	s_waitcnt vmcnt(0)
	v_mul_f32_e32 v0, v9, v0
	v_bfe_u32 v1, v0, 16, 1
	v_add3_u32 v1, v1, v0, s47
	v_or_b32_e32 v2, 0x400000, v0
	v_cmp_u_f32_e32 vcc, v0, v0
	v_cndmask_b32_e32 v0, v1, v2, vcc
	buffer_store_dword v0, off, s[0:3], s32 offset:352 ; 4-byte Folded Spill
	buffer_load_dword v0, off, s[0:3], s32 offset:336 ; 4-byte Folded Reload
	s_waitcnt vmcnt(0)
	;; [unrolled: 9-line block ×3, first 2 shown]
	v_mul_f32_e32 v0, v9, v0
	v_bfe_u32 v1, v0, 16, 1
	v_add3_u32 v1, v1, v0, s47
	v_or_b32_e32 v2, 0x400000, v0
	v_cmp_u_f32_e32 vcc, v0, v0
	v_cndmask_b32_e32 v0, v1, v2, vcc
	buffer_store_dword v0, off, s[0:3], s32 offset:320 ; 4-byte Folded Spill
	v_mul_f32_e32 v0, v9, v49
	v_bfe_u32 v1, v0, 16, 1
	v_add3_u32 v1, v1, v0, s47
	v_or_b32_e32 v2, 0x400000, v0
	v_cmp_u_f32_e32 vcc, v0, v0
	v_cndmask_b32_e32 v0, v1, v2, vcc
	buffer_store_dword v0, off, s[0:3], s32 offset:708 ; 4-byte Folded Spill
	;; [unrolled: 7-line block ×9, first 2 shown]
	v_mul_f32_e32 v0, v9, v24
	v_bfe_u32 v1, v0, 16, 1
	v_add3_u32 v1, v1, v0, s47
	v_or_b32_e32 v2, 0x400000, v0
	v_cmp_u_f32_e32 vcc, v0, v0
	v_mul_f32_e32 v0, v9, v62
	v_cndmask_b32_e32 v42, v1, v2, vcc
	v_bfe_u32 v1, v0, 16, 1
	v_add3_u32 v1, v1, v0, s47
	v_or_b32_e32 v2, 0x400000, v0
	v_cmp_u_f32_e32 vcc, v0, v0
	v_mul_f32_e32 v0, v9, v61
	v_cndmask_b32_e32 v41, v1, v2, vcc
	;; [unrolled: 6-line block ×3, first 2 shown]
	v_bfe_u32 v1, v0, 16, 1
	v_add3_u32 v1, v1, v0, s47
	v_or_b32_e32 v2, 0x400000, v0
	v_cmp_u_f32_e32 vcc, v0, v0
	v_cndmask_b32_e32 v0, v1, v2, vcc
	buffer_store_dword v0, off, s[0:3], s32 offset:740 ; 4-byte Folded Spill
	v_mul_f32_e32 v0, v9, v46
	v_bfe_u32 v1, v0, 16, 1
	v_add3_u32 v1, v1, v0, s47
	v_or_b32_e32 v2, 0x400000, v0
	v_cmp_u_f32_e32 vcc, v0, v0
	v_cndmask_b32_e32 v0, v1, v2, vcc
	buffer_store_dword v0, off, s[0:3], s32 offset:744 ; 4-byte Folded Spill
	v_mul_f32_e32 v0, v9, v60
	v_bfe_u32 v1, v0, 16, 1
	v_add3_u32 v1, v1, v0, s47
	v_or_b32_e32 v3, 0x400000, v0
	v_cmp_u_f32_e32 vcc, v0, v0
	v_cndmask_b32_e32 v0, v1, v3, vcc
	buffer_store_dword v0, off, s[0:3], s32 offset:748 ; 4-byte Folded Spill
	buffer_load_dword v59, off, s[0:3], s32 offset:516 ; 4-byte Folded Reload
	buffer_load_dword v60, off, s[0:3], s32 offset:520 ; 4-byte Folded Reload
	;; [unrolled: 1-line block ×20, first 2 shown]
	s_waitcnt vmcnt(19)
	v_lshlrev_b32_e32 v24, 16, v59
	s_waitcnt vmcnt(15)
	v_lshlrev_b32_e32 v50, 16, v1
	;; [unrolled: 2-line block ×5, first 2 shown]
	buffer_store_dword v0, off, s[0:3], s32 offset:776 ; 4-byte Folded Spill
	s_waitcnt vmcnt(2)
	v_lshlrev_b32_e32 v0, 16, v16
	buffer_store_dword v0, off, s[0:3], s32 offset:772 ; 4-byte Folded Spill
	buffer_load_dword v18, off, s[0:3], s32 offset:432 ; 4-byte Folded Reload
	buffer_load_dword v19, off, s[0:3], s32 offset:436 ; 4-byte Folded Reload
	;; [unrolled: 1-line block ×5, first 2 shown]
	v_and_b32_e32 v52, 0xffff0000, v2
	v_and_b32_e32 v25, 0xffff0000, v5
	buffer_load_dword v5, off, s[0:3], s32 offset:724 ; 4-byte Folded Reload
	buffer_load_dword v2, off, s[0:3], s32 offset:448 ; 4-byte Folded Reload
	v_lshlrev_b32_e32 v31, 16, v10
	v_lshlrev_b32_e32 v33, 16, v7
	v_and_b32_e32 v26, 0xffff0000, v7
	v_lshlrev_b32_e32 v57, 16, v61
	v_lshlrev_b32_e32 v32, 16, v8
	v_and_b32_e32 v47, 0xffff0000, v61
	v_and_b32_e32 v61, 0xffff0000, v8
	v_lshlrev_b32_e32 v30, 16, v11
	v_and_b32_e32 v22, 0xffff0000, v11
	v_lshlrev_b32_e32 v48, 16, v3
	s_waitcnt vmcnt(9)
	v_lshlrev_b32_e32 v63, 16, v17
	v_lshlrev_b32_e32 v27, 16, v62
	;; [unrolled: 1-line block ×4, first 2 shown]
	v_and_b32_e32 v45, 0xffff0000, v1
	v_lshlrev_b32_e32 v34, 16, v6
	v_lshlrev_b32_e32 v29, 16, v12
	v_and_b32_e32 v55, 0xffff0000, v12
	v_lshlrev_b32_e32 v28, 16, v13
	v_and_b32_e32 v56, 0xffff0000, v13
	v_and_b32_e32 v23, 0xffff0000, v15
	v_lshlrev_b32_e32 v39, 16, v15
	s_waitcnt vmcnt(6)
	v_lshlrev_b32_e32 v0, 16, v18
	buffer_store_dword v0, off, s[0:3], s32 offset:768 ; 4-byte Folded Spill
	s_waitcnt vmcnt(6)
	v_lshlrev_b32_e32 v0, 16, v19
	buffer_store_dword v0, off, s[0:3], s32 offset:764 ; 4-byte Folded Spill
	;; [unrolled: 3-line block ×4, first 2 shown]
	s_waitcnt vmcnt(6)
	v_and_b32_e32 v0, 0xffff0000, v44
	buffer_store_dword v0, off, s[0:3], s32 offset:752 ; 4-byte Folded Spill
	buffer_load_dword v0, off, s[0:3], s32 offset:816 ; 4-byte Folded Reload
	v_and_b32_e32 v46, 0xffff0000, v18
	v_and_b32_e32 v18, 0xffff0000, v41
	v_mul_f32_e32 v57, v57, v18
	v_and_b32_e32 v1, 0xffff0000, v21
	s_waitcnt vmcnt(0)
	v_and_b32_e32 v36, 64, v0
	v_xor_b32_e32 v35, 1, v0
	v_add_u32_e32 v36, 64, v36
	v_cmp_lt_i32_e32 vcc, v35, v36
	v_cndmask_b32_e32 v58, v0, v35, vcc
	v_mul_f32_e32 v35, v9, v43
	v_bfe_u32 v36, v35, 16, 1
	v_mul_f32_e32 v9, v9, v54
	v_add3_u32 v36, v36, v35, s47
	v_or_b32_e32 v53, 0x400000, v35
	v_cmp_u_f32_e32 vcc, v35, v35
	v_bfe_u32 v35, v9, 16, 1
	v_cndmask_b32_e32 v0, v36, v53, vcc
	v_add3_u32 v35, v35, v9, s47
	v_or_b32_e32 v36, 0x400000, v9
	v_cmp_u_f32_e32 vcc, v9, v9
	buffer_store_dword v0, off, s[0:3], s32 offset:132 ; 4-byte Folded Spill
	v_cndmask_b32_e32 v0, v35, v36, vcc
	v_mov_b32_e32 v35, v44
	v_and_b32_e32 v54, 0xffff0000, v10
	v_lshlrev_b32_e32 v10, 16, v35
	v_lshlrev_b32_e32 v35, 16, v2
	buffer_load_dword v2, off, s[0:3], s32 offset:748 ; 4-byte Folded Reload
	v_and_b32_e32 v53, 0xffff0000, v59
	v_and_b32_e32 v59, 0xffff0000, v3
	;; [unrolled: 1-line block ×4, first 2 shown]
	v_mul_f32_e32 v18, v47, v17
	v_and_b32_e32 v44, 0xffff0000, v19
	v_and_b32_e32 v9, 0xffff0000, v60
	v_and_b32_e32 v60, 0xffff0000, v62
	v_and_b32_e32 v62, 0xffff0000, v4
	v_and_b32_e32 v4, 0xffff0000, v16
	v_and_b32_e32 v16, 0xffff0000, v40
	buffer_store_dword v0, off, s[0:3], s32 offset:136 ; 4-byte Folded Spill
	v_and_b32_e32 v0, 0xffff0000, v20
	v_and_b32_e32 v36, 0xffff0000, v6
	;; [unrolled: 1-line block ×3, first 2 shown]
	v_lshlrev_b32_e32 v58, 2, v58
	s_waitcnt vmcnt(1)
	v_and_b32_e32 v7, 0xffff0000, v2
	buffer_load_dword v2, off, s[0:3], s32 offset:744 ; 4-byte Folded Reload
	v_fmac_f32_e32 v57, v24, v7
	s_waitcnt vmcnt(0)
	v_and_b32_e32 v8, 0xffff0000, v2
	buffer_load_dword v2, off, s[0:3], s32 offset:740 ; 4-byte Folded Reload
	v_fmac_f32_e32 v18, v53, v8
	s_waitcnt vmcnt(0)
	v_and_b32_e32 v11, 0xffff0000, v2
	buffer_load_dword v2, off, s[0:3], s32 offset:732 ; 4-byte Folded Reload
	s_waitcnt vmcnt(0)
	v_and_b32_e32 v7, 0xffff0000, v2
	buffer_load_dword v2, off, s[0:3], s32 offset:736 ; 4-byte Folded Reload
	v_mul_f32_e32 v19, v27, v7
	v_and_b32_e32 v7, 0xffff0000, v5
	buffer_load_dword v5, off, s[0:3], s32 offset:720 ; 4-byte Folded Reload
	v_fmac_f32_e32 v19, v51, v16
	v_fmac_f32_e32 v18, v45, v7
	s_waitcnt vmcnt(1)
	v_and_b32_e32 v8, 0xffff0000, v2
	buffer_load_dword v2, off, s[0:3], s32 offset:728 ; 4-byte Folded Reload
	v_mul_f32_e32 v20, v60, v8
	v_fmac_f32_e32 v20, v9, v11
	s_waitcnt vmcnt(0)
	v_and_b32_e32 v2, 0xffff0000, v2
	v_fmac_f32_e32 v57, v50, v2
	buffer_load_dword v2, off, s[0:3], s32 offset:716 ; 4-byte Folded Reload
	s_waitcnt vmcnt(0)
	v_and_b32_e32 v2, 0xffff0000, v2
	v_fmac_f32_e32 v19, v49, v2
	buffer_load_dword v2, off, s[0:3], s32 offset:712 ; 4-byte Folded Reload
	v_and_b32_e32 v7, 0xffff0000, v5
	buffer_load_dword v5, off, s[0:3], s32 offset:708 ; 4-byte Folded Reload
	v_fmac_f32_e32 v20, v52, v7
	s_waitcnt vmcnt(1)
	v_and_b32_e32 v2, 0xffff0000, v2
	v_fmac_f32_e32 v57, v48, v2
	buffer_load_dword v2, off, s[0:3], s32 offset:336 ; 4-byte Folded Reload
	s_waitcnt vmcnt(1)
	v_and_b32_e32 v7, 0xffff0000, v5
	buffer_load_dword v5, off, s[0:3], s32 offset:320 ; 4-byte Folded Reload
	v_fmac_f32_e32 v18, v59, v7
	s_waitcnt vmcnt(1)
	v_and_b32_e32 v2, 0xffff0000, v2
	v_fmac_f32_e32 v19, v38, v2
	s_waitcnt vmcnt(0)
	v_and_b32_e32 v7, 0xffff0000, v5
	buffer_load_dword v2, off, s[0:3], s32 offset:352 ; 4-byte Folded Reload
	buffer_load_dword v5, off, s[0:3], s32 offset:704 ; 4-byte Folded Reload
	v_fmac_f32_e32 v20, v62, v7
	s_waitcnt vmcnt(0)
	v_and_b32_e32 v7, 0xffff0000, v5
	buffer_load_dword v5, off, s[0:3], s32 offset:700 ; 4-byte Folded Reload
	v_and_b32_e32 v2, 0xffff0000, v2
	v_fmac_f32_e32 v57, v37, v2
	buffer_load_dword v2, off, s[0:3], s32 offset:268 ; 4-byte Folded Reload
	v_fmac_f32_e32 v18, v25, v7
	s_waitcnt vmcnt(1)
	v_and_b32_e32 v7, 0xffff0000, v5
	buffer_load_dword v5, off, s[0:3], s32 offset:288 ; 4-byte Folded Reload
	v_fmac_f32_e32 v20, v36, v7
	s_waitcnt vmcnt(1)
	v_and_b32_e32 v2, 0xffff0000, v2
	v_fmac_f32_e32 v19, v34, v2
	buffer_load_dword v2, off, s[0:3], s32 offset:272 ; 4-byte Folded Reload
	s_waitcnt vmcnt(1)
	v_and_b32_e32 v7, 0xffff0000, v5
	buffer_load_dword v5, off, s[0:3], s32 offset:304 ; 4-byte Folded Reload
	v_fmac_f32_e32 v18, v26, v7
	s_waitcnt vmcnt(1)
	v_and_b32_e32 v2, 0xffff0000, v2
	v_fmac_f32_e32 v57, v33, v2
	buffer_load_dword v2, off, s[0:3], s32 offset:696 ; 4-byte Folded Reload
	;; [unrolled: 8-line block ×3, first 2 shown]
	s_waitcnt vmcnt(0)
	v_and_b32_e32 v2, 0xffff0000, v2
	v_fmac_f32_e32 v57, v31, v2
	buffer_load_dword v2, off, s[0:3], s32 offset:144 ; 4-byte Folded Reload
	v_and_b32_e32 v7, 0xffff0000, v5
	buffer_load_dword v5, off, s[0:3], s32 offset:372 ; 4-byte Folded Reload
	v_fmac_f32_e32 v18, v54, v7
	s_waitcnt vmcnt(1)
	v_and_b32_e32 v2, 0xffff0000, v2
	v_fmac_f32_e32 v19, v30, v2
	s_waitcnt vmcnt(0)
	v_and_b32_e32 v7, 0xffff0000, v5
	buffer_load_dword v2, off, s[0:3], s32 offset:148 ; 4-byte Folded Reload
	buffer_load_dword v5, off, s[0:3], s32 offset:152 ; 4-byte Folded Reload
	v_fmac_f32_e32 v20, v22, v7
	s_waitcnt vmcnt(1)
	v_and_b32_e32 v2, 0xffff0000, v2
	s_waitcnt vmcnt(0)
	v_and_b32_e32 v7, 0xffff0000, v5
	buffer_load_dword v5, off, s[0:3], s32 offset:376 ; 4-byte Folded Reload
	v_fmac_f32_e32 v57, v29, v2
	buffer_load_dword v2, off, s[0:3], s32 offset:156 ; 4-byte Folded Reload
	v_fmac_f32_e32 v18, v55, v7
	buffer_load_dword v55, off, s[0:3], s32 offset:812 ; 4-byte Folded Reload
	s_waitcnt vmcnt(2)
	v_and_b32_e32 v7, 0xffff0000, v5
	buffer_load_dword v5, off, s[0:3], s32 offset:164 ; 4-byte Folded Reload
	s_waitcnt vmcnt(2)
	v_and_b32_e32 v2, 0xffff0000, v2
	v_fmac_f32_e32 v19, v28, v2
	buffer_load_dword v2, off, s[0:3], s32 offset:160 ; 4-byte Folded Reload
	v_fmac_f32_e32 v20, v56, v7
	s_waitcnt vmcnt(1)
	v_and_b32_e32 v7, 0xffff0000, v5
	buffer_load_dword v5, off, s[0:3], s32 offset:776 ; 4-byte Folded Reload
	v_fmac_f32_e32 v18, v43, v7
	s_waitcnt vmcnt(1)
	v_and_b32_e32 v2, 0xffff0000, v2
	s_waitcnt vmcnt(0)
	v_fmac_f32_e32 v57, v5, v2
	buffer_load_dword v5, off, s[0:3], s32 offset:380 ; 4-byte Folded Reload
	buffer_load_dword v2, off, s[0:3], s32 offset:168 ; 4-byte Folded Reload
	s_waitcnt vmcnt(1)
	v_and_b32_e32 v6, 0xffff0000, v5
	buffer_load_dword v5, off, s[0:3], s32 offset:176 ; 4-byte Folded Reload
	v_fmac_f32_e32 v20, v23, v6
	s_waitcnt vmcnt(1)
	v_and_b32_e32 v2, 0xffff0000, v2
	v_fmac_f32_e32 v19, v39, v2
	buffer_load_dword v2, off, s[0:3], s32 offset:172 ; 4-byte Folded Reload
	s_waitcnt vmcnt(1)
	v_and_b32_e32 v6, 0xffff0000, v5
	v_fmac_f32_e32 v18, v4, v6
	buffer_load_dword v4, off, s[0:3], s32 offset:384 ; 4-byte Folded Reload
	buffer_load_dword v5, off, s[0:3], s32 offset:772 ; 4-byte Folded Reload
	s_waitcnt vmcnt(1)
	v_and_b32_e32 v6, 0xffff0000, v4
	v_fmac_f32_e32 v20, v3, v6
	buffer_load_dword v3, off, s[0:3], s32 offset:188 ; 4-byte Folded Reload
	v_and_b32_e32 v2, 0xffff0000, v2
	s_waitcnt vmcnt(1)
	v_fmac_f32_e32 v57, v5, v2
	buffer_load_dword v2, off, s[0:3], s32 offset:180 ; 4-byte Folded Reload
	s_waitcnt vmcnt(1)
	v_and_b32_e32 v6, 0xffff0000, v3
	buffer_load_dword v3, off, s[0:3], s32 offset:768 ; 4-byte Folded Reload
	v_fmac_f32_e32 v18, v46, v6
	s_waitcnt vmcnt(1)
	v_and_b32_e32 v2, 0xffff0000, v2
	v_fmac_f32_e32 v19, v63, v2
	buffer_load_dword v2, off, s[0:3], s32 offset:184 ; 4-byte Folded Reload
	s_waitcnt vmcnt(0)
	v_and_b32_e32 v2, 0xffff0000, v2
	v_fmac_f32_e32 v57, v3, v2
	buffer_load_dword v2, off, s[0:3], s32 offset:192 ; 4-byte Folded Reload
	buffer_load_dword v3, off, s[0:3], s32 offset:388 ; 4-byte Folded Reload
	s_waitcnt vmcnt(1)
	v_and_b32_e32 v2, 0xffff0000, v2
	s_waitcnt vmcnt(0)
	v_and_b32_e32 v6, 0xffff0000, v3
	buffer_load_dword v3, off, s[0:3], s32 offset:764 ; 4-byte Folded Reload
	v_fmac_f32_e32 v20, v44, v6
	s_waitcnt vmcnt(0)
	v_fmac_f32_e32 v19, v3, v2
	buffer_load_dword v2, off, s[0:3], s32 offset:196 ; 4-byte Folded Reload
	buffer_load_dword v3, off, s[0:3], s32 offset:200 ; 4-byte Folded Reload
	s_waitcnt vmcnt(1)
	v_and_b32_e32 v2, 0xffff0000, v2
	s_waitcnt vmcnt(0)
	v_and_b32_e32 v5, 0xffff0000, v3
	buffer_load_dword v3, off, s[0:3], s32 offset:760 ; 4-byte Folded Reload
	v_fmac_f32_e32 v18, v0, v5
	buffer_load_dword v0, off, s[0:3], s32 offset:204 ; 4-byte Folded Reload
	s_waitcnt vmcnt(1)
	v_fmac_f32_e32 v57, v3, v2
	buffer_load_dword v2, off, s[0:3], s32 offset:392 ; 4-byte Folded Reload
	buffer_load_dword v3, off, s[0:3], s32 offset:756 ; 4-byte Folded Reload
	s_waitcnt vmcnt(2)
	v_and_b32_e32 v0, 0xffff0000, v0
	s_waitcnt vmcnt(1)
	v_and_b32_e32 v2, 0xffff0000, v2
	s_waitcnt vmcnt(0)
	v_fmac_f32_e32 v19, v3, v0
	v_fmac_f32_e32 v20, v1, v2
	ds_read_b128 v[31:34], v55 offset:102
	ds_read_b128 v[27:30], v55 offset:118
	;; [unrolled: 1-line block ×4, first 2 shown]
	buffer_load_dword v0, off, s[0:3], s32 offset:208 ; 4-byte Folded Reload
	buffer_load_dword v1, off, s[0:3], s32 offset:212 ; 4-byte Folded Reload
	;; [unrolled: 1-line block ×4, first 2 shown]
	s_waitcnt vmcnt(3)
	v_and_b32_e32 v0, 0xffff0000, v0
	v_fmac_f32_e32 v57, v10, v0
	buffer_load_dword v0, off, s[0:3], s32 offset:752 ; 4-byte Folded Reload
	s_waitcnt vmcnt(3)
	v_and_b32_e32 v1, 0xffff0000, v1
	s_waitcnt vmcnt(2)
	v_and_b32_e32 v6, 0xffff0000, v6
	;; [unrolled: 2-line block ×3, first 2 shown]
	s_waitcnt vmcnt(0)
	v_fmac_f32_e32 v18, v0, v1
	buffer_load_dword v1, off, s[0:3], s32 offset:216 ; 4-byte Folded Reload
	s_waitcnt lgkmcnt(3)
	v_lshlrev_b32_e32 v0, 16, v31
	v_fmac_f32_e32 v20, v0, v6
	buffer_load_dword v6, off, s[0:3], s32 offset:220 ; 4-byte Folded Reload
	v_and_b32_e32 v0, 0xffff0000, v31
	s_waitcnt vmcnt(1)
	v_and_b32_e32 v1, 0xffff0000, v1
	v_fmac_f32_e32 v19, v35, v1
	v_lshlrev_b32_e32 v1, 16, v32
	v_fmac_f32_e32 v18, v1, v7
	buffer_load_dword v7, off, s[0:3], s32 offset:400 ; 4-byte Folded Reload
	s_waitcnt vmcnt(1)
	v_and_b32_e32 v6, 0xffff0000, v6
	v_lshlrev_b32_e32 v1, 16, v33
	v_fmac_f32_e32 v57, v0, v6
	buffer_load_dword v6, off, s[0:3], s32 offset:228 ; 4-byte Folded Reload
	v_and_b32_e32 v0, 0xffff0000, v32
	s_waitcnt vmcnt(1)
	v_and_b32_e32 v7, 0xffff0000, v7
	v_fmac_f32_e32 v20, v1, v7
	buffer_load_dword v7, off, s[0:3], s32 offset:236 ; 4-byte Folded Reload
	v_lshlrev_b32_e32 v1, 16, v34
	s_waitcnt vmcnt(1)
	v_and_b32_e32 v6, 0xffff0000, v6
	v_fmac_f32_e32 v19, v0, v6
	buffer_load_dword v6, off, s[0:3], s32 offset:232 ; 4-byte Folded Reload
	v_and_b32_e32 v0, 0xffff0000, v33
	s_waitcnt vmcnt(1)
	v_and_b32_e32 v7, 0xffff0000, v7
	v_fmac_f32_e32 v18, v1, v7
	buffer_load_dword v7, off, s[0:3], s32 offset:404 ; 4-byte Folded Reload
	s_waitcnt lgkmcnt(2)
	v_lshlrev_b32_e32 v1, 16, v27
	s_waitcnt vmcnt(0)
	v_and_b32_e32 v7, 0xffff0000, v7
	v_fmac_f32_e32 v20, v1, v7
	buffer_load_dword v7, off, s[0:3], s32 offset:684 ; 4-byte Folded Reload
	v_lshlrev_b32_e32 v1, 16, v28
	s_waitcnt vmcnt(0)
	v_and_b32_e32 v7, 0xffff0000, v7
	v_fmac_f32_e32 v18, v1, v7
	buffer_load_dword v7, off, s[0:3], s32 offset:680 ; 4-byte Folded Reload
	;; [unrolled: 5-line block ×4, first 2 shown]
	s_waitcnt lgkmcnt(1)
	v_lshlrev_b32_e32 v1, 16, v12
	s_waitcnt vmcnt(0)
	v_and_b32_e32 v7, 0xffff0000, v7
	v_fmac_f32_e32 v20, v1, v7
	buffer_load_dword v7, off, s[0:3], s32 offset:252 ; 4-byte Folded Reload
	v_lshlrev_b32_e32 v1, 16, v13
	v_and_b32_e32 v6, 0xffff0000, v6
	v_fmac_f32_e32 v57, v0, v6
	buffer_load_dword v6, off, s[0:3], s32 offset:240 ; 4-byte Folded Reload
	v_and_b32_e32 v0, 0xffff0000, v34
	s_waitcnt vmcnt(1)
	v_and_b32_e32 v7, 0xffff0000, v7
	v_fmac_f32_e32 v18, v1, v7
	buffer_load_dword v7, off, s[0:3], s32 offset:412 ; 4-byte Folded Reload
	v_lshlrev_b32_e32 v1, 16, v14
	s_waitcnt vmcnt(0)
	v_and_b32_e32 v7, 0xffff0000, v7
	v_fmac_f32_e32 v20, v1, v7
	buffer_load_dword v7, off, s[0:3], s32 offset:264 ; 4-byte Folded Reload
	v_and_b32_e32 v6, 0xffff0000, v6
	v_fmac_f32_e32 v19, v0, v6
	buffer_load_dword v6, off, s[0:3], s32 offset:688 ; 4-byte Folded Reload
	v_and_b32_e32 v0, 0xffff0000, v27
	v_lshlrev_b32_e32 v1, 16, v15
	s_waitcnt vmcnt(1)
	v_and_b32_e32 v7, 0xffff0000, v7
	v_fmac_f32_e32 v18, v1, v7
	buffer_load_dword v7, off, s[0:3], s32 offset:664 ; 4-byte Folded Reload
	s_waitcnt vmcnt(1)
	v_and_b32_e32 v6, 0xffff0000, v6
	v_fmac_f32_e32 v57, v0, v6
	buffer_load_dword v6, off, s[0:3], s32 offset:676 ; 4-byte Folded Reload
	v_and_b32_e32 v0, 0xffff0000, v28
	v_and_b32_e32 v1, 0xffff0000, v15
	s_waitcnt vmcnt(1)
	v_and_b32_e32 v7, 0xffff0000, v7
	s_waitcnt vmcnt(0)
	v_and_b32_e32 v6, 0xffff0000, v6
	v_fmac_f32_e32 v19, v0, v6
	buffer_load_dword v6, off, s[0:3], s32 offset:672 ; 4-byte Folded Reload
	v_and_b32_e32 v0, 0xffff0000, v29
	s_waitcnt vmcnt(0)
	v_and_b32_e32 v6, 0xffff0000, v6
	v_fmac_f32_e32 v57, v0, v6
	buffer_load_dword v6, off, s[0:3], s32 offset:244 ; 4-byte Folded Reload
	v_and_b32_e32 v0, 0xffff0000, v30
	ds_read_b128 v[27:30], v55 offset:182
	s_waitcnt vmcnt(0)
	v_and_b32_e32 v6, 0xffff0000, v6
	v_fmac_f32_e32 v19, v0, v6
	buffer_load_dword v6, off, s[0:3], s32 offset:248 ; 4-byte Folded Reload
	v_and_b32_e32 v0, 0xffff0000, v12
	s_waitcnt vmcnt(0)
	v_and_b32_e32 v6, 0xffff0000, v6
	v_fmac_f32_e32 v57, v0, v6
	buffer_load_dword v6, off, s[0:3], s32 offset:256 ; 4-byte Folded Reload
	v_and_b32_e32 v0, 0xffff0000, v13
	;; [unrolled: 5-line block ×3, first 2 shown]
	ds_read_b128 v[12:15], v55 offset:166
	s_waitcnt vmcnt(0)
	v_and_b32_e32 v6, 0xffff0000, v6
	v_fmac_f32_e32 v57, v0, v6
	buffer_load_dword v6, off, s[0:3], s32 offset:276 ; 4-byte Folded Reload
	s_waitcnt lgkmcnt(2)
	v_lshlrev_b32_e32 v0, 16, v2
	v_fmac_f32_e32 v20, v0, v7
	buffer_load_dword v7, off, s[0:3], s32 offset:364 ; 4-byte Folded Reload
	v_lshlrev_b32_e32 v0, 16, v3
	s_waitcnt vmcnt(1)
	v_and_b32_e32 v6, 0xffff0000, v6
	v_fmac_f32_e32 v19, v1, v6
	v_and_b32_e32 v1, 0xffff0000, v2
	buffer_load_dword v2, off, s[0:3], s32 offset:280 ; 4-byte Folded Reload
	buffer_load_dword v6, off, s[0:3], s32 offset:284 ; 4-byte Folded Reload
	s_waitcnt vmcnt(2)
	v_and_b32_e32 v7, 0xffff0000, v7
	s_waitcnt vmcnt(1)
	v_and_b32_e32 v2, 0xffff0000, v2
	v_fmac_f32_e32 v57, v1, v2
	buffer_load_dword v1, off, s[0:3], s32 offset:292 ; 4-byte Folded Reload
	s_waitcnt vmcnt(1)
	v_and_b32_e32 v6, 0xffff0000, v6
	v_fmac_f32_e32 v18, v0, v6
	v_and_b32_e32 v2, 0xffff0000, v3
	buffer_load_dword v6, off, s[0:3], s32 offset:360 ; 4-byte Folded Reload
	v_lshlrev_b32_e32 v0, 16, v4
	s_waitcnt vmcnt(1)
	v_and_b32_e32 v3, 0xffff0000, v1
	buffer_load_dword v1, off, s[0:3], s32 offset:416 ; 4-byte Folded Reload
	v_fmac_f32_e32 v19, v2, v3
	buffer_load_dword v2, off, s[0:3], s32 offset:296 ; 4-byte Folded Reload
	buffer_load_dword v3, off, s[0:3], s32 offset:300 ; 4-byte Folded Reload
	s_waitcnt vmcnt(3)
	v_and_b32_e32 v6, 0xffff0000, v6
	s_waitcnt vmcnt(2)
	v_and_b32_e32 v1, 0xffff0000, v1
	v_fmac_f32_e32 v20, v0, v1
	v_lshlrev_b32_e32 v1, 16, v5
	s_waitcnt vmcnt(0)
	v_and_b32_e32 v3, 0xffff0000, v3
	v_fmac_f32_e32 v18, v1, v3
	buffer_load_dword v3, off, s[0:3], s32 offset:660 ; 4-byte Folded Reload
	v_and_b32_e32 v0, 0xffff0000, v4
	v_and_b32_e32 v2, 0xffff0000, v2
	s_waitcnt lgkmcnt(0)
	v_lshlrev_b32_e32 v1, 16, v12
	v_fmac_f32_e32 v57, v0, v2
	buffer_load_dword v2, off, s[0:3], s32 offset:308 ; 4-byte Folded Reload
	v_and_b32_e32 v0, 0xffff0000, v5
	s_waitcnt vmcnt(1)
	v_and_b32_e32 v3, 0xffff0000, v3
	v_fmac_f32_e32 v20, v1, v3
	buffer_load_dword v3, off, s[0:3], s32 offset:316 ; 4-byte Folded Reload
	v_lshlrev_b32_e32 v1, 16, v13
	s_waitcnt vmcnt(1)
	v_and_b32_e32 v2, 0xffff0000, v2
	v_fmac_f32_e32 v19, v0, v2
	buffer_load_dword v2, off, s[0:3], s32 offset:312 ; 4-byte Folded Reload
	v_and_b32_e32 v0, 0xffff0000, v12
	s_waitcnt vmcnt(1)
	v_and_b32_e32 v3, 0xffff0000, v3
	v_fmac_f32_e32 v18, v1, v3
	buffer_load_dword v3, off, s[0:3], s32 offset:656 ; 4-byte Folded Reload
	v_lshlrev_b32_e32 v1, 16, v14
	s_waitcnt vmcnt(0)
	v_and_b32_e32 v3, 0xffff0000, v3
	v_fmac_f32_e32 v20, v1, v3
	buffer_load_dword v3, off, s[0:3], s32 offset:332 ; 4-byte Folded Reload
	v_lshlrev_b32_e32 v1, 16, v15
	v_and_b32_e32 v2, 0xffff0000, v2
	v_fmac_f32_e32 v57, v0, v2
	buffer_load_dword v2, off, s[0:3], s32 offset:324 ; 4-byte Folded Reload
	v_and_b32_e32 v0, 0xffff0000, v13
	s_waitcnt vmcnt(1)
	v_and_b32_e32 v3, 0xffff0000, v3
	v_fmac_f32_e32 v18, v1, v3
	buffer_load_dword v3, off, s[0:3], s32 offset:652 ; 4-byte Folded Reload
	v_lshlrev_b32_e32 v1, 16, v27
	s_waitcnt vmcnt(0)
	v_and_b32_e32 v3, 0xffff0000, v3
	v_fmac_f32_e32 v20, v1, v3
	buffer_load_dword v3, off, s[0:3], s32 offset:348 ; 4-byte Folded Reload
	v_lshlrev_b32_e32 v1, 16, v28
	v_and_b32_e32 v2, 0xffff0000, v2
	v_fmac_f32_e32 v19, v0, v2
	buffer_load_dword v2, off, s[0:3], s32 offset:328 ; 4-byte Folded Reload
	v_and_b32_e32 v0, 0xffff0000, v14
	ds_read_b128 v[11:14], v55 offset:214
	s_waitcnt vmcnt(1)
	v_and_b32_e32 v3, 0xffff0000, v3
	v_fmac_f32_e32 v18, v1, v3
	buffer_load_dword v3, off, s[0:3], s32 offset:644 ; 4-byte Folded Reload
	v_lshlrev_b32_e32 v1, 16, v29
	s_waitcnt vmcnt(0)
	v_and_b32_e32 v3, 0xffff0000, v3
	v_fmac_f32_e32 v20, v1, v3
	v_lshlrev_b32_e32 v1, 16, v30
	v_fmac_f32_e32 v18, v1, v7
	buffer_load_dword v7, off, s[0:3], s32 offset:636 ; 4-byte Folded Reload
	v_and_b32_e32 v2, 0xffff0000, v2
	v_fmac_f32_e32 v57, v0, v2
	buffer_load_dword v2, off, s[0:3], s32 offset:340 ; 4-byte Folded Reload
	v_and_b32_e32 v0, 0xffff0000, v15
	s_waitcnt vmcnt(1)
	v_and_b32_e32 v7, 0xffff0000, v7
	s_waitcnt vmcnt(0)
	v_and_b32_e32 v2, 0xffff0000, v2
	v_fmac_f32_e32 v19, v0, v2
	buffer_load_dword v2, off, s[0:3], s32 offset:344 ; 4-byte Folded Reload
	v_and_b32_e32 v0, 0xffff0000, v27
	s_waitcnt vmcnt(0)
	v_and_b32_e32 v2, 0xffff0000, v2
	v_fmac_f32_e32 v57, v0, v2
	buffer_load_dword v2, off, s[0:3], s32 offset:356 ; 4-byte Folded Reload
	v_and_b32_e32 v0, 0xffff0000, v28
	s_waitcnt vmcnt(0)
	v_and_b32_e32 v2, 0xffff0000, v2
	v_fmac_f32_e32 v19, v0, v2
	v_and_b32_e32 v0, 0xffff0000, v29
	v_fmac_f32_e32 v57, v0, v6
	buffer_load_dword v6, off, s[0:3], s32 offset:368 ; 4-byte Folded Reload
	ds_read_b128 v[2:5], v55 offset:198
	v_and_b32_e32 v0, 0xffff0000, v30
	s_waitcnt lgkmcnt(0)
	v_lshlrev_b32_e32 v1, 16, v2
	v_fmac_f32_e32 v20, v1, v7
	buffer_load_dword v7, off, s[0:3], s32 offset:580 ; 4-byte Folded Reload
	v_lshlrev_b32_e32 v1, 16, v3
	s_waitcnt vmcnt(1)
	v_and_b32_e32 v6, 0xffff0000, v6
	v_fmac_f32_e32 v19, v0, v6
	v_and_b32_e32 v0, 0xffff0000, v2
	buffer_load_dword v2, off, s[0:3], s32 offset:632 ; 4-byte Folded Reload
	buffer_load_dword v6, off, s[0:3], s32 offset:628 ; 4-byte Folded Reload
	s_waitcnt vmcnt(2)
	v_and_b32_e32 v7, 0xffff0000, v7
	s_waitcnt vmcnt(1)
	v_and_b32_e32 v2, 0xffff0000, v2
	v_fmac_f32_e32 v57, v0, v2
	buffer_load_dword v2, off, s[0:3], s32 offset:620 ; 4-byte Folded Reload
	v_and_b32_e32 v0, 0xffff0000, v3
	buffer_load_dword v3, off, s[0:3], s32 offset:624 ; 4-byte Folded Reload
	s_waitcnt vmcnt(2)
	v_and_b32_e32 v6, 0xffff0000, v6
	v_fmac_f32_e32 v18, v1, v6
	v_lshlrev_b32_e32 v1, 16, v4
	buffer_load_dword v6, off, s[0:3], s32 offset:584 ; 4-byte Folded Reload
	s_waitcnt vmcnt(2)
	v_and_b32_e32 v2, 0xffff0000, v2
	v_fmac_f32_e32 v19, v0, v2
	buffer_load_dword v2, off, s[0:3], s32 offset:616 ; 4-byte Folded Reload
	s_waitcnt vmcnt(2)
	v_and_b32_e32 v3, 0xffff0000, v3
	v_fmac_f32_e32 v20, v1, v3
	buffer_load_dword v3, off, s[0:3], s32 offset:612 ; 4-byte Folded Reload
	v_and_b32_e32 v0, 0xffff0000, v4
	v_lshlrev_b32_e32 v1, 16, v5
	s_waitcnt vmcnt(2)
	v_and_b32_e32 v6, 0xffff0000, v6
	s_waitcnt vmcnt(1)
	v_and_b32_e32 v2, 0xffff0000, v2
	v_fmac_f32_e32 v57, v0, v2
	buffer_load_dword v2, off, s[0:3], s32 offset:604 ; 4-byte Folded Reload
	s_waitcnt vmcnt(1)
	v_and_b32_e32 v3, 0xffff0000, v3
	v_fmac_f32_e32 v18, v1, v3
	buffer_load_dword v3, off, s[0:3], s32 offset:608 ; 4-byte Folded Reload
	v_and_b32_e32 v0, 0xffff0000, v5
	v_lshlrev_b32_e32 v1, 16, v11
	s_waitcnt vmcnt(1)
	v_and_b32_e32 v2, 0xffff0000, v2
	v_fmac_f32_e32 v19, v0, v2
	buffer_load_dword v2, off, s[0:3], s32 offset:600 ; 4-byte Folded Reload
	s_waitcnt vmcnt(1)
	v_and_b32_e32 v3, 0xffff0000, v3
	v_fmac_f32_e32 v20, v1, v3
	buffer_load_dword v3, off, s[0:3], s32 offset:596 ; 4-byte Folded Reload
	v_and_b32_e32 v0, 0xffff0000, v11
	v_lshlrev_b32_e32 v1, 16, v12
	;; [unrolled: 10-line block ×3, first 2 shown]
	s_waitcnt vmcnt(1)
	v_and_b32_e32 v2, 0xffff0000, v2
	v_fmac_f32_e32 v19, v0, v2
	v_and_b32_e32 v0, 0xffff0000, v13
	v_fmac_f32_e32 v57, v0, v6
	buffer_load_dword v6, off, s[0:3], s32 offset:572 ; 4-byte Folded Reload
	s_waitcnt vmcnt(1)
	v_and_b32_e32 v3, 0xffff0000, v3
	v_fmac_f32_e32 v20, v1, v3
	ds_read_b128 v[2:5], v55 offset:230
	v_lshlrev_b32_e32 v1, 16, v14
	v_and_b32_e32 v0, 0xffff0000, v14
	v_fmac_f32_e32 v18, v1, v7
	buffer_load_dword v7, off, s[0:3], s32 offset:576 ; 4-byte Folded Reload
	s_waitcnt lgkmcnt(0)
	v_lshlrev_b32_e32 v1, 16, v2
	s_waitcnt vmcnt(1)
	v_and_b32_e32 v6, 0xffff0000, v6
	v_fmac_f32_e32 v19, v0, v6
	v_and_b32_e32 v0, 0xffff0000, v2
	buffer_load_dword v2, off, s[0:3], s32 offset:568 ; 4-byte Folded Reload
	buffer_load_dword v6, off, s[0:3], s32 offset:564 ; 4-byte Folded Reload
	s_waitcnt vmcnt(2)
	v_and_b32_e32 v7, 0xffff0000, v7
	v_fmac_f32_e32 v20, v1, v7
	v_lshlrev_b32_e32 v1, 16, v3
	s_waitcnt vmcnt(1)
	v_and_b32_e32 v2, 0xffff0000, v2
	v_fmac_f32_e32 v57, v0, v2
	buffer_load_dword v2, off, s[0:3], s32 offset:552 ; 4-byte Folded Reload
	s_waitcnt vmcnt(1)
	v_and_b32_e32 v6, 0xffff0000, v6
	v_and_b32_e32 v0, 0xffff0000, v3
	v_fmac_f32_e32 v18, v1, v6
	v_lshlrev_b32_e32 v1, 16, v4
	buffer_load_dword v3, off, s[0:3], s32 offset:560 ; 4-byte Folded Reload
	buffer_load_dword v6, off, s[0:3], s32 offset:544 ; 4-byte Folded Reload
	s_waitcnt vmcnt(2)
	v_and_b32_e32 v2, 0xffff0000, v2
	v_fmac_f32_e32 v19, v0, v2
	v_and_b32_e32 v2, 0xffff0000, v4
	buffer_load_dword v4, off, s[0:3], s32 offset:548 ; 4-byte Folded Reload
	s_waitcnt vmcnt(2)
	v_and_b32_e32 v3, 0xffff0000, v3
	v_fmac_f32_e32 v20, v1, v3
	v_lshlrev_b32_e32 v3, 16, v5
	ds_read_b64 v[0:1], v55 offset:246
	s_waitcnt vmcnt(0)
	v_and_b32_e32 v4, 0xffff0000, v4
	v_fmac_f32_e32 v57, v2, v4
	v_and_b32_e32 v2, 0xffff0000, v5
	buffer_load_dword v4, off, s[0:3], s32 offset:536 ; 4-byte Folded Reload
	buffer_load_dword v5, off, s[0:3], s32 offset:540 ; 4-byte Folded Reload
	v_and_b32_e32 v6, 0xffff0000, v6
	v_fmac_f32_e32 v18, v3, v6
	s_waitcnt lgkmcnt(0)
	v_lshlrev_b32_e32 v3, 16, v0
	v_and_b32_e32 v0, 0xffff0000, v0
	s_waitcnt vmcnt(0)
	v_and_b32_e32 v5, 0xffff0000, v5
	v_fmac_f32_e32 v20, v3, v5
	buffer_load_dword v3, off, s[0:3], s32 offset:532 ; 4-byte Folded Reload
	v_and_b32_e32 v4, 0xffff0000, v4
	v_fmac_f32_e32 v19, v2, v4
	buffer_load_dword v4, off, s[0:3], s32 offset:420 ; 4-byte Folded Reload
	v_lshlrev_b32_e32 v2, 16, v1
	s_waitcnt vmcnt(1)
	v_and_b32_e32 v3, 0xffff0000, v3
	v_fmac_f32_e32 v57, v0, v3
	buffer_load_dword v3, off, s[0:3], s32 offset:136 ; 4-byte Folded Reload
	s_waitcnt vmcnt(1)
	v_and_b32_e32 v4, 0xffff0000, v4
	v_fmac_f32_e32 v18, v2, v4
	buffer_load_dword v2, off, s[0:3], s32 offset:132 ; 4-byte Folded Reload
	v_and_b32_e32 v0, 0xffff0000, v1
	ds_read_u16 v1, v55 offset:254
	s_waitcnt lgkmcnt(0)
	v_lshlrev_b32_e32 v1, 16, v1
	s_waitcnt vmcnt(1)
	v_and_b32_e32 v3, 0xffff0000, v3
	v_fmac_f32_e32 v20, v1, v3
	s_waitcnt vmcnt(0)
	v_and_b32_e32 v2, 0xffff0000, v2
	v_fmac_f32_e32 v19, v0, v2
	v_add_f32_e32 v0, v57, v18
	v_add_f32_e32 v0, v0, v19
	;; [unrolled: 1-line block ×3, first 2 shown]
	ds_bpermute_b32 v1, v58, v0
	s_and_saveexec_b64 s[28:29], s[8:9]
	s_cbranch_execz .LBB318_10
; %bb.786:                              ;   in Loop: Header=BB318_12 Depth=1
	buffer_load_dword v4, off, s[0:3], s32 offset:100 ; 4-byte Folded Reload
	buffer_load_dword v2, off, s[0:3], s32 offset:832 ; 4-byte Folded Reload
	;; [unrolled: 1-line block ×3, first 2 shown]
	s_waitcnt lgkmcnt(0)
	v_add_f32_e32 v0, v0, v1
	s_load_dword s40, s[24:25], 0x0
	buffer_load_dword v1, off, s[0:3], s32 offset:824 ; 4-byte Folded Reload
	s_waitcnt vmcnt(2)
	v_add_u32_e32 v2, v2, v4
	s_waitcnt vmcnt(1)
	v_add_u32_e32 v3, v3, v4
	buffer_load_dword v4, off, s[0:3], s32 offset:820 ; 4-byte Folded Reload
	v_cvt_f32_i32_e32 v2, v2
	s_waitcnt vmcnt(0)
	v_mul_f32_e32 v2, v4, v2
	v_cndmask_b32_e64 v2, 0, v2, s[10:11]
	buffer_load_dword v4, off, s[0:3], s32 offset:88 ; 4-byte Folded Reload
	v_fmac_f32_e32 v2, v1, v0
	buffer_load_dword v1, off, s[0:3], s32 offset:780 ; 4-byte Folded Reload
	buffer_load_dword v0, off, s[0:3], s32 offset:64 ; 4-byte Folded Reload
	s_waitcnt vmcnt(2) lgkmcnt(0)
	v_add_u32_e32 v4, s40, v4
	s_waitcnt vmcnt(0)
	v_cmp_lt_i32_e32 vcc, v3, v0
	v_cndmask_b32_e32 v0, 0, v2, vcc
	ds_write_b32 v4, v0
	v_max_f32_e32 v0, v1, v1
	v_max_f32_e32 v0, v0, v2
	v_cndmask_b32_e32 v1, v1, v0, vcc
	buffer_store_dword v1, off, s[0:3], s32 offset:780 ; 4-byte Folded Spill
	s_branch .LBB318_10
.LBB318_787:
	s_or_b64 exec, exec, s[26:27]
	v_mbcnt_lo_u32_b32 v2, -1, 0
.LBB318_788:
	s_or_b64 exec, exec, s[22:23]
	buffer_load_dword v4, off, s[0:3], s32 offset:780 ; 4-byte Folded Reload
	v_mbcnt_hi_u32_b32 v0, -1, v2
	v_and_b32_e32 v1, 64, v0
	v_add_u32_e32 v8, 64, v1
	v_xor_b32_e32 v2, 32, v0
	v_cmp_lt_i32_e32 vcc, v2, v8
	v_cndmask_b32_e32 v2, v0, v2, vcc
	v_lshlrev_b32_e32 v2, 2, v2
	v_xor_b32_e32 v5, 16, v0
	v_cmp_lt_i32_e32 vcc, v5, v8
	v_xor_b32_e32 v6, 8, v0
	v_xor_b32_e32 v7, 4, v0
	;; [unrolled: 1-line block ×3, first 2 shown]
	s_waitcnt lgkmcnt(0)
	s_lshr_b32 s19, s19, 16
	s_waitcnt vmcnt(0)
	ds_bpermute_b32 v3, v2, v4
	v_max_f32_e32 v4, v4, v4
	s_waitcnt lgkmcnt(0)
	v_max_f32_e32 v3, v3, v3
	v_max_f32_e32 v4, v4, v3
	v_cndmask_b32_e32 v3, v0, v5, vcc
	v_lshlrev_b32_e32 v3, 2, v3
	ds_bpermute_b32 v5, v3, v4
	v_cmp_lt_i32_e32 vcc, v6, v8
	s_waitcnt lgkmcnt(0)
	v_max_f32_e32 v5, v5, v5
	v_max_f32_e32 v5, v4, v5
	v_cndmask_b32_e32 v4, v0, v6, vcc
	v_lshlrev_b32_e32 v4, 2, v4
	ds_bpermute_b32 v6, v4, v5
	v_cmp_lt_i32_e32 vcc, v7, v8
	;; [unrolled: 7-line block ×3, first 2 shown]
	s_waitcnt lgkmcnt(0)
	v_max_f32_e32 v7, v7, v7
	v_max_f32_e32 v7, v6, v7
	v_cndmask_b32_e32 v6, v0, v9, vcc
	v_lshlrev_b32_e32 v17, 2, v6
	buffer_load_dword v6, off, s[0:3], s32 offset:784 ; 4-byte Folded Reload
	ds_bpermute_b32 v9, v17, v7
	s_waitcnt vmcnt(0)
	v_and_b32_e32 v24, 63, v6
	buffer_load_dword v6, off, s[0:3], s32 offset:76 ; 4-byte Folded Reload
	v_cmp_eq_u32_e32 vcc, 0, v24
	s_waitcnt vmcnt(0)
	v_lshlrev_b32_e32 v6, 2, v6
	s_and_saveexec_b64 s[8:9], vcc
	s_cbranch_execz .LBB318_790
; %bb.789:
	s_waitcnt lgkmcnt(0)
	v_max_f32_e32 v9, v9, v9
	v_max_f32_e32 v7, v7, v7
	;; [unrolled: 1-line block ×3, first 2 shown]
	ds_write_b32 v6, v7 offset:512
.LBB318_790:
	s_or_b64 exec, exec, s[8:9]
	v_cmp_gt_u32_e64 s[8:9], 2, v24
	s_waitcnt lgkmcnt(0)
	v_mov_b32_e32 v9, 0xff7fffff
	v_lshlrev_b32_e32 v7, 2, v24
	s_barrier
	s_and_saveexec_b64 s[10:11], s[8:9]
; %bb.791:
	ds_read_b32 v9, v7 offset:512
; %bb.792:
	s_or_b64 exec, exec, s[10:11]
	v_xor_b32_e32 v10, 1, v0
	v_cmp_lt_i32_e64 s[10:11], v10, v8
	v_cndmask_b32_e64 v8, v0, v10, s[10:11]
	v_lshlrev_b32_e32 v23, 2, v8
	s_waitcnt lgkmcnt(0)
	ds_bpermute_b32 v8, v23, v9
	v_max_f32_e32 v9, v9, v9
	v_lshlrev_b32_e32 v1, 2, v1
	s_waitcnt lgkmcnt(0)
	v_max_f32_e32 v8, v8, v8
	v_max_f32_e32 v8, v9, v8
	ds_bpermute_b32 v8, v1, v8
	buffer_load_dword v1, off, s[0:3], s32 offset:80 ; 4-byte Folded Reload
	buffer_load_dword v9, off, s[0:3], s32 offset:64 ; 4-byte Folded Reload
	s_waitcnt vmcnt(1)
	v_lshlrev_b32_e32 v1, 5, v1
	s_waitcnt vmcnt(0)
	v_min_i32_e32 v1, v1, v9
	buffer_load_dword v9, off, s[0:3], s32 offset:784 ; 4-byte Folded Reload
	s_waitcnt vmcnt(0)
	v_cmp_lt_i32_e64 s[10:11], v9, v1
	v_mov_b32_e32 v9, 0
	s_and_saveexec_b64 s[22:23], s[10:11]
	s_cbranch_execz .LBB318_796
; %bb.793:
	buffer_load_dword v11, off, s[0:3], s32 offset:784 ; 4-byte Folded Reload
	s_ashr_i32 s21, s20, 31
	s_lshl_b64 s[12:13], s[20:21], 2
	s_getpc_b64 s[24:25]
	s_add_u32 s24, s24, llvm.amdgcn.dynlds.offset.table@rel32@lo+4
	s_addc_u32 s25, s25, llvm.amdgcn.dynlds.offset.table@rel32@hi+12
	s_add_u32 s12, s24, s12
	s_addc_u32 s13, s25, s13
	s_load_dword s12, s[12:13], 0x0
	v_mov_b32_e32 v9, 0
	s_mov_b64 s[24:25], 0
	s_waitcnt vmcnt(0) lgkmcnt(0)
	v_lshl_add_u32 v10, v11, 2, s12
.LBB318_794:                            ; =>This Inner Loop Header: Depth=1
	ds_read_b32 v12, v10
	v_add_u32_e32 v11, 0x80, v11
	v_cmp_ge_i32_e64 s[12:13], v11, v1
	s_or_b64 s[24:25], s[12:13], s[24:25]
	s_waitcnt lgkmcnt(0)
	v_sub_f32_e32 v12, v12, v8
	v_mul_f32_e32 v12, 0x3fb8aa3b, v12
	v_exp_f32_e32 v12, v12
	ds_write_b32 v10, v12
	v_add_f32_e32 v9, v9, v12
	v_add_u32_e32 v10, 0x200, v10
	s_andn2_b64 exec, exec, s[24:25]
	s_cbranch_execnz .LBB318_794
; %bb.795:
	s_or_b64 exec, exec, s[24:25]
.LBB318_796:
	s_or_b64 exec, exec, s[22:23]
	ds_bpermute_b32 v2, v2, v9
	s_waitcnt lgkmcnt(0)
	v_add_f32_e32 v2, v9, v2
	ds_bpermute_b32 v3, v3, v2
	s_waitcnt lgkmcnt(0)
	v_add_f32_e32 v2, v2, v3
	;; [unrolled: 3-line block ×6, first 2 shown]
	s_and_saveexec_b64 s[12:13], vcc
; %bb.797:
	ds_write_b32 v6, v2 offset:520
; %bb.798:
	s_or_b64 exec, exec, s[12:13]
	s_waitcnt lgkmcnt(0)
	s_barrier
	s_and_saveexec_b64 s[12:13], s[8:9]
; %bb.799:
	ds_read_b32 v2, v7 offset:520
; %bb.800:
	s_or_b64 exec, exec, s[12:13]
	s_waitcnt lgkmcnt(0)
	ds_bpermute_b32 v3, v23, v2
	v_lshlrev_b32_e32 v0, 2, v0
	v_and_b32_e32 v0, 0x100, v0
	s_waitcnt lgkmcnt(0)
	v_add_f32_e32 v2, v2, v3
	ds_bpermute_b32 v0, v0, v2
	s_and_saveexec_b64 s[8:9], s[10:11]
	s_cbranch_execz .LBB318_803
; %bb.801:
	s_waitcnt lgkmcnt(0)
	v_add_f32_e32 v2, 0x358637bd, v0
	v_div_scale_f32 v0, s[10:11], v2, v2, 1.0
	v_div_scale_f32 v3, vcc, 1.0, v2, 1.0
	s_ashr_i32 s21, s20, 31
	s_getpc_b64 s[10:11]
	s_add_u32 s10, s10, llvm.amdgcn.dynlds.offset.table@rel32@lo+4
	s_addc_u32 s11, s11, llvm.amdgcn.dynlds.offset.table@rel32@hi+12
	s_lshl_b64 s[12:13], s[20:21], 2
	s_add_u32 s10, s10, s12
	s_addc_u32 s11, s11, s13
	s_load_dword s12, s[10:11], 0x0
	s_mov_b64 s[10:11], 0
	v_rcp_f32_e32 v4, v0
	v_fma_f32 v5, -v0, v4, 1.0
	v_fmac_f32_e32 v4, v5, v4
	v_mul_f32_e32 v5, v3, v4
	v_fma_f32 v6, -v0, v5, v3
	v_fmac_f32_e32 v5, v6, v4
	v_fma_f32 v0, -v0, v5, v3
	v_div_fmas_f32 v3, v0, v4, v5
	buffer_load_dword v4, off, s[0:3], s32 offset:784 ; 4-byte Folded Reload
	v_div_fixup_f32 v2, v3, v2, 1.0
	s_waitcnt vmcnt(0) lgkmcnt(0)
	v_lshl_add_u32 v0, v4, 2, s12
	v_mov_b32_e32 v3, v4
.LBB318_802:                            ; =>This Inner Loop Header: Depth=1
	ds_read_b32 v4, v0
	v_add_u32_e32 v3, 0x80, v3
	v_cmp_ge_i32_e32 vcc, v3, v1
	s_or_b64 s[10:11], vcc, s[10:11]
	s_waitcnt lgkmcnt(0)
	v_mul_f32_e32 v4, v2, v4
	ds_write_b32 v0, v4
	v_add_u32_e32 v0, 0x200, v0
	s_andn2_b64 exec, exec, s[10:11]
	s_cbranch_execnz .LBB318_802
.LBB318_803:
	s_or_b64 exec, exec, s[8:9]
	s_waitcnt lgkmcnt(0)
	s_barrier
	s_and_saveexec_b64 s[8:9], s[6:7]
	s_xor_b64 s[6:7], exec, s[8:9]
	s_cbranch_execz .LBB318_805
; %bb.804:
                                        ; implicit-def: $vgpr0
                                        ; kill: killed $vgpr0
	s_ashr_i32 s21, s20, 31
                                        ; implicit-def: $vgpr0
                                        ; kill: killed $vgpr0
                                        ; implicit-def: $vgpr0
                                        ; kill: killed $vgpr0
                                        ; implicit-def: $vgpr0
	buffer_store_dword v0, off, s[0:3], s32 offset:104 ; 4-byte Folded Spill
	s_nop 0
	buffer_store_dword v1, off, s[0:3], s32 offset:108 ; 4-byte Folded Spill
                                        ; implicit-def: $vgpr0
                                        ; kill: killed $vgpr0
                                        ; implicit-def: $vgpr0
                                        ; kill: killed $vgpr0
	;; [unrolled: 2-line block ×9, first 2 shown]
                                        ; implicit-def: $vgpr0_vgpr1
                                        ; kill: killed $vgpr0_vgpr1
                                        ; implicit-def: $vgpr0
                                        ; kill: killed $vgpr0
                                        ; implicit-def: $vgpr0
                                        ; kill: killed $vgpr0
	;; [unrolled: 2-line block ×6, first 2 shown]
                                        ; implicit-def: $vgpr0_vgpr1
                                        ; kill: killed $vgpr0_vgpr1
                                        ; implicit-def: $vgpr0
                                        ; kill: killed $vgpr0
.LBB318_805:
	s_or_saveexec_b64 s[8:9], s[6:7]
	buffer_load_dword v0, off, s[0:3], s32 offset:784 ; 4-byte Folded Reload
	v_mov_b32_e32 v2, s20
	v_mov_b32_e32 v13, 0
	;; [unrolled: 1-line block ×16, first 2 shown]
	s_waitcnt vmcnt(0)
	v_and_b32_e32 v25, 3, v0
	v_mov_b32_e32 v0, 0
	buffer_store_dword v0, off, s[0:3], s32 offset:548 ; 4-byte Folded Spill
	v_mov_b32_e32 v0, 0
	buffer_store_dword v0, off, s[0:3], s32 offset:552 ; 4-byte Folded Spill
	s_xor_b64 exec, exec, s[8:9]
	s_cbranch_execz .LBB318_1611
; %bb.806:
	buffer_store_dword v23, off, s[0:3], s32 offset:660 ; 4-byte Folded Spill
	buffer_store_dword v17, off, s[0:3], s32 offset:656 ; 4-byte Folded Spill
	buffer_store_dword v24, off, s[0:3], s32 offset:652 ; 4-byte Folded Spill
	buffer_load_dword v0, off, s[0:3], s32 offset:836 ; 4-byte Folded Reload
	buffer_load_dword v1, off, s[0:3], s32 offset:872 ; 4-byte Folded Reload
	;; [unrolled: 1-line block ×3, first 2 shown]
	s_ashr_i32 s21, s20, 31
	s_getpc_b64 s[6:7]
	s_add_u32 s6, s6, llvm.amdgcn.dynlds.offset.table@rel32@lo+4
	s_addc_u32 s7, s7, llvm.amdgcn.dynlds.offset.table@rel32@hi+12
	s_lshl_b64 s[12:13], s[20:21], 2
	s_mov_b32 s10, -1
	s_add_u32 s12, s6, s12
	s_mov_b32 s11, 0xffffff
	v_mov_b32_e32 v15, 0
	s_addc_u32 s13, s7, s13
	s_mov_b64 s[22:23], 0
	s_movk_i32 s42, 0x80
	s_movk_i32 s43, 0x7f
	;; [unrolled: 1-line block ×3, first 2 shown]
	v_mov_b32_e32 v27, 0
	v_mov_b32_e32 v13, 0
	s_waitcnt vmcnt(1)
	v_max_i32_e32 v4, v0, v1
	s_waitcnt vmcnt(0)
	v_and_b32_e32 v1, 24, v2
	buffer_store_dword v1, off, s[0:3], s32 offset:632 ; 4-byte Folded Spill
	buffer_load_dword v1, off, s[0:3], s32 offset:888 ; 4-byte Folded Reload
	s_nop 0
	buffer_load_dword v3, off, s[0:3], s32 offset:864 ; 4-byte Folded Reload
	v_cvt_f32_u32_e32 v0, v4
	v_rcp_iflag_f32_e32 v0, v0
	v_mul_f32_e32 v0, 0x4f7ffffe, v0
	v_cvt_u32_f32_e32 v0, v0
	s_waitcnt vmcnt(0)
	v_add_co_u32_e32 v5, vcc, v1, v3
	buffer_load_dword v1, off, s[0:3], s32 offset:884 ; 4-byte Folded Reload
	buffer_load_dword v3, off, s[0:3], s32 offset:868 ; 4-byte Folded Reload
	s_waitcnt vmcnt(0)
	v_addc_co_u32_e32 v6, vcc, v1, v3, vcc
	v_and_b32_e32 v1, 0x1f8, v2
	buffer_store_dword v5, off, s[0:3], s32 offset:636 ; 4-byte Folded Spill
	s_nop 0
	buffer_store_dword v6, off, s[0:3], s32 offset:640 ; 4-byte Folded Spill
	buffer_store_dword v1, off, s[0:3], s32 offset:644 ; 4-byte Folded Spill
	v_sub_u32_e32 v1, 0, v4
	v_mul_lo_u32 v1, v1, v0
	v_or_b32_e32 v2, 0x1e00, v2
	buffer_store_dword v4, off, s[0:3], s32 offset:608 ; 4-byte Folded Spill
	buffer_store_dword v2, off, s[0:3], s32 offset:648 ; 4-byte Folded Spill
	v_mul_hi_u32 v1, v0, v1
	v_add_u32_e32 v0, v0, v1
	buffer_store_dword v0, off, s[0:3], s32 offset:612 ; 4-byte Folded Spill
	buffer_store_dword v25, off, s[0:3], s32 offset:664 ; 4-byte Folded Spill
	buffer_load_dword v1, off, s[0:3], s32 offset:76 ; 4-byte Folded Reload
	v_lshlrev_b32_e32 v0, 5, v25
	s_waitcnt vmcnt(0)
	v_lshl_or_b32 v57, v1, 7, v0
	buffer_load_dword v0, off, s[0:3], s32 offset:852 ; 4-byte Folded Reload
	buffer_load_dword v1, off, s[0:3], s32 offset:856 ; 4-byte Folded Reload
	;; [unrolled: 1-line block ×4, first 2 shown]
	s_waitcnt vmcnt(3)
	v_and_b32_e32 v0, 60, v0
	s_waitcnt vmcnt(2)
	v_add_co_u32_e32 v0, vcc, v0, v1
	s_waitcnt vmcnt(1)
	v_addc_co_u32_e32 v1, vcc, 0, v2, vcc
	buffer_load_dword v2, off, s[0:3], s32 offset:844 ; 4-byte Folded Reload
	s_waitcnt vmcnt(0)
	v_add_co_u32_e32 v10, vcc, v2, v0
	buffer_load_dword v0, off, s[0:3], s32 offset:840 ; 4-byte Folded Reload
	s_waitcnt vmcnt(0)
	v_addc_co_u32_e32 v11, vcc, v0, v1, vcc
	v_mov_b32_e32 v0, 0
	buffer_store_dword v0, off, s[0:3], s32 offset:552 ; 4-byte Folded Spill
	v_mov_b32_e32 v0, 0
	buffer_store_dword v0, off, s[0:3], s32 offset:548 ; 4-byte Folded Spill
	;; [unrolled: 2-line block ×14, first 2 shown]
	s_branch .LBB318_809
.LBB318_807:                            ;   in Loop: Header=BB318_809 Depth=1
	s_or_b64 exec, exec, s[26:27]
	v_bfe_u32 v0, v6, 16, 1
	v_add3_u32 v0, v0, v6, s44
	v_or_b32_e32 v34, 0x400000, v6
	v_cmp_u_f32_e32 vcc, v6, v6
	v_cndmask_b32_e32 v34, v0, v34, vcc
	v_bfe_u32 v0, v7, 16, 1
	v_add3_u32 v0, v0, v7, s44
	v_or_b32_e32 v6, 0x400000, v7
	v_cmp_u_f32_e32 vcc, v7, v7
	v_cndmask_b32_e32 v35, v0, v6, vcc
	v_bfe_u32 v0, v8, 16, 1
	v_add3_u32 v0, v0, v8, s44
	v_or_b32_e32 v6, 0x400000, v8
	v_cmp_u_f32_e32 vcc, v8, v8
	v_cndmask_b32_e32 v6, v0, v6, vcc
	v_bfe_u32 v0, v9, 16, 1
	v_add3_u32 v0, v0, v9, s44
	v_or_b32_e32 v7, 0x400000, v9
	v_cmp_u_f32_e32 vcc, v9, v9
	v_cndmask_b32_e32 v7, v0, v7, vcc
	v_bfe_u32 v0, v2, 16, 1
	v_add3_u32 v0, v0, v2, s44
	v_or_b32_e32 v8, 0x400000, v2
	v_cmp_u_f32_e32 vcc, v2, v2
	v_cndmask_b32_e32 v8, v0, v8, vcc
	v_bfe_u32 v0, v3, 16, 1
	v_add3_u32 v0, v0, v3, s44
	v_or_b32_e32 v2, 0x400000, v3
	v_cmp_u_f32_e32 vcc, v3, v3
	v_cndmask_b32_e32 v0, v0, v2, vcc
	v_bfe_u32 v2, v4, 16, 1
	v_add3_u32 v2, v2, v4, s44
	v_or_b32_e32 v3, 0x400000, v4
	v_cmp_u_f32_e32 vcc, v4, v4
	v_cndmask_b32_e32 v9, v2, v3, vcc
	v_bfe_u32 v2, v5, 16, 1
	v_add3_u32 v2, v2, v5, s44
	v_or_b32_e32 v3, 0x400000, v5
	v_cmp_u_f32_e32 vcc, v5, v5
	v_cndmask_b32_e32 v36, v2, v3, vcc
	v_and_b32_e32 v2, 0xffff0000, v35
	v_lshlrev_b32_e32 v3, 16, v61
	v_mul_f32_e32 v3, v2, v3
	v_bfe_u32 v4, v3, 16, 1
	v_add3_u32 v4, v4, v3, s44
	v_or_b32_e32 v5, 0x400000, v3
	v_cmp_u_f32_e32 vcc, v3, v3
	v_cndmask_b32_e32 v35, v4, v5, vcc
	v_and_b32_e32 v5, 0xffff0000, v34
	v_lshlrev_b32_e32 v3, 16, v53
	v_mul_f32_e32 v3, v5, v3
	v_bfe_u32 v4, v3, 16, 1
	v_add3_u32 v4, v4, v3, s44
	v_or_b32_e32 v34, 0x400000, v3
	v_cmp_u_f32_e32 vcc, v3, v3
	v_cndmask_b32_e32 v34, v4, v34, vcc
	;; [unrolled: 8-line block ×3, first 2 shown]
	v_and_b32_e32 v7, 0xffff0000, v6
	v_lshlrev_b32_e32 v4, 16, v50
	v_mul_f32_e32 v4, v7, v4
	v_bfe_u32 v6, v4, 16, 1
	v_add3_u32 v6, v6, v4, s44
	v_or_b32_e32 v38, 0x400000, v4
	v_cmp_u_f32_e32 vcc, v4, v4
	v_and_b32_e32 v4, 0xffff0000, v0
	v_lshlrev_b32_e32 v0, 16, v32
	v_mul_f32_e32 v0, v4, v0
	v_cndmask_b32_e32 v38, v6, v38, vcc
	v_bfe_u32 v6, v0, 16, 1
	v_add3_u32 v6, v6, v0, s44
	v_or_b32_e32 v32, 0x400000, v0
	v_cmp_u_f32_e32 vcc, v0, v0
	v_cndmask_b32_e32 v0, v6, v32, vcc
	v_and_b32_e32 v8, 0xffff0000, v8
	v_lshlrev_b32_e32 v6, 16, v60
	v_mul_f32_e32 v6, v8, v6
	v_bfe_u32 v32, v6, 16, 1
	v_add3_u32 v32, v32, v6, s44
	v_or_b32_e32 v39, 0x400000, v6
	v_cmp_u_f32_e32 vcc, v6, v6
	v_and_b32_e32 v6, 0xffff0000, v36
	v_lshlrev_b32_e32 v36, 16, v51
	v_mul_f32_e32 v36, v6, v36
	v_cndmask_b32_e32 v32, v32, v39, vcc
	v_bfe_u32 v39, v36, 16, 1
	v_and_b32_e32 v9, 0xffff0000, v9
	v_lshlrev_b32_e32 v33, 16, v33
	v_add3_u32 v39, v39, v36, s44
	v_or_b32_e32 v48, 0x400000, v36
	v_cmp_u_f32_e32 vcc, v36, v36
	v_mul_f32_e32 v33, v9, v33
	v_cndmask_b32_e32 v36, v39, v48, vcc
	v_bfe_u32 v39, v33, 16, 1
	v_and_b32_e32 v34, 0xffff0000, v34
	v_and_b32_e32 v35, 0xffff0000, v35
	v_add3_u32 v39, v39, v33, s44
	v_or_b32_e32 v48, 0x400000, v33
	v_cmp_u_f32_e32 vcc, v33, v33
	v_add_f32_e32 v34, v34, v35
	v_and_b32_e32 v35, 0xffff0000, v38
	v_and_b32_e32 v37, 0xffff0000, v37
	v_cndmask_b32_e32 v33, v39, v48, vcc
	v_add_f32_e32 v35, v35, v37
	v_and_b32_e32 v32, 0xffff0000, v32
	v_and_b32_e32 v0, 0xffff0000, v0
	v_add_f32_e32 v34, v34, v35
	v_add_f32_e32 v0, v32, v0
	v_and_b32_e32 v32, 0xffff0000, v33
	v_and_b32_e32 v33, 0xffff0000, v36
	v_add_f32_e32 v0, v34, v0
	v_add_f32_e32 v32, v32, v33
	;; [unrolled: 1-line block ×3, first 2 shown]
	buffer_load_dword v32, off, s[0:3], s32 offset:548 ; 4-byte Folded Reload
	buffer_load_dword v1, off, s[0:3], s32 offset:540 ; 4-byte Folded Reload
	v_lshlrev_b32_e32 v21, 16, v21
	v_mul_f32_e32 v21, v5, v21
	v_lshlrev_b32_e32 v27, 16, v27
	v_mul_f32_e32 v27, v4, v27
	;; [unrolled: 2-line block ×5, first 2 shown]
	s_waitcnt vmcnt(1)
	v_add_f32_e32 v32, v32, v0
	v_lshlrev_b32_e32 v0, 16, v28
	v_mul_f32_e32 v0, v2, v0
	v_bfe_u32 v28, v0, 16, 1
	buffer_store_dword v32, off, s[0:3], s32 offset:548 ; 4-byte Folded Spill
	v_add3_u32 v28, v28, v0, s44
	v_or_b32_e32 v32, 0x400000, v0
	v_cmp_u_f32_e32 vcc, v0, v0
	v_cndmask_b32_e32 v0, v28, v32, vcc
	v_bfe_u32 v28, v21, 16, 1
	v_add3_u32 v28, v28, v21, s44
	v_or_b32_e32 v32, 0x400000, v21
	v_cmp_u_f32_e32 vcc, v21, v21
	v_cndmask_b32_e32 v21, v28, v32, vcc
	v_lshlrev_b32_e32 v28, 16, v42
	v_mul_f32_e32 v28, v3, v28
	v_bfe_u32 v32, v28, 16, 1
	v_add3_u32 v32, v32, v28, s44
	v_or_b32_e32 v33, 0x400000, v28
	v_cmp_u_f32_e32 vcc, v28, v28
	v_cndmask_b32_e32 v28, v32, v33, vcc
	v_lshlrev_b32_e32 v32, 16, v58
	v_mul_f32_e32 v32, v7, v32
	v_bfe_u32 v33, v32, 16, 1
	v_add3_u32 v33, v33, v32, s44
	v_or_b32_e32 v34, 0x400000, v32
	v_cmp_u_f32_e32 vcc, v32, v32
	v_cndmask_b32_e32 v32, v33, v34, vcc
	v_bfe_u32 v33, v27, 16, 1
	v_add3_u32 v33, v33, v27, s44
	v_or_b32_e32 v34, 0x400000, v27
	v_cmp_u_f32_e32 vcc, v27, v27
	v_cndmask_b32_e32 v27, v33, v34, vcc
	;; [unrolled: 5-line block ×3, first 2 shown]
	v_lshlrev_b32_e32 v33, 16, v56
	v_mul_f32_e32 v33, v6, v33
	v_bfe_u32 v34, v33, 16, 1
	v_and_b32_e32 v21, 0xffff0000, v21
	v_and_b32_e32 v0, 0xffff0000, v0
	v_add3_u32 v34, v34, v33, s44
	v_or_b32_e32 v35, 0x400000, v33
	v_cmp_u_f32_e32 vcc, v33, v33
	v_add_f32_e32 v0, v21, v0
	v_and_b32_e32 v21, 0xffff0000, v32
	v_and_b32_e32 v28, 0xffff0000, v28
	v_cndmask_b32_e32 v33, v34, v35, vcc
	v_bfe_u32 v34, v16, 16, 1
	v_add_f32_e32 v21, v21, v28
	v_add3_u32 v34, v34, v16, s44
	v_or_b32_e32 v35, 0x400000, v16
	v_cmp_u_f32_e32 vcc, v16, v16
	v_add_f32_e32 v0, v0, v21
	v_and_b32_e32 v21, 0xffff0000, v26
	v_and_b32_e32 v26, 0xffff0000, v27
	v_cndmask_b32_e32 v16, v34, v35, vcc
	v_add_f32_e32 v21, v21, v26
	v_add_f32_e32 v0, v0, v21
	v_and_b32_e32 v16, 0xffff0000, v16
	v_and_b32_e32 v21, 0xffff0000, v33
	v_add_f32_e32 v16, v16, v21
	v_add_f32_e32 v0, v0, v16
	buffer_load_dword v16, off, s[0:3], s32 offset:560 ; 4-byte Folded Reload
	s_waitcnt vmcnt(0)
	v_add_f32_e32 v16, v16, v0
	v_lshlrev_b32_e32 v0, 16, v13
	v_mul_f32_e32 v0, v2, v0
	v_bfe_u32 v13, v0, 16, 1
	buffer_store_dword v16, off, s[0:3], s32 offset:560 ; 4-byte Folded Spill
	v_add3_u32 v13, v13, v0, s44
	v_or_b32_e32 v16, 0x400000, v0
	v_cmp_u_f32_e32 vcc, v0, v0
	v_cndmask_b32_e32 v0, v13, v16, vcc
	v_bfe_u32 v13, v12, 16, 1
	v_add3_u32 v13, v13, v12, s44
	v_or_b32_e32 v16, 0x400000, v12
	v_cmp_u_f32_e32 vcc, v12, v12
	v_cndmask_b32_e32 v12, v13, v16, vcc
	v_lshlrev_b32_e32 v13, 16, v40
	v_mul_f32_e32 v13, v3, v13
	v_bfe_u32 v16, v13, 16, 1
	v_add3_u32 v16, v16, v13, s44
	v_or_b32_e32 v21, 0x400000, v13
	v_cmp_u_f32_e32 vcc, v13, v13
	v_cndmask_b32_e32 v13, v16, v21, vcc
	v_lshlrev_b32_e32 v16, 16, v18
	v_mul_f32_e32 v16, v7, v16
	v_bfe_u32 v18, v16, 16, 1
	v_add3_u32 v18, v18, v16, s44
	v_or_b32_e32 v21, 0x400000, v16
	v_cmp_u_f32_e32 vcc, v16, v16
	v_cndmask_b32_e32 v16, v18, v21, vcc
	v_lshlrev_b32_e32 v18, 16, v47
	v_mul_f32_e32 v18, v4, v18
	v_bfe_u32 v21, v18, 16, 1
	v_add3_u32 v21, v21, v18, s44
	v_or_b32_e32 v26, 0x400000, v18
	v_cmp_u_f32_e32 vcc, v18, v18
	v_cndmask_b32_e32 v18, v21, v26, vcc
	v_lshlrev_b32_e32 v21, 16, v59
	v_mul_f32_e32 v21, v8, v21
	v_bfe_u32 v22, v21, 16, 1
	v_add3_u32 v22, v22, v21, s44
	v_or_b32_e32 v26, 0x400000, v21
	v_cmp_u_f32_e32 vcc, v21, v21
	v_cndmask_b32_e32 v21, v22, v26, vcc
	v_lshlrev_b32_e32 v22, 16, v41
	v_mul_f32_e32 v22, v6, v22
	v_bfe_u32 v26, v22, 16, 1
	v_add3_u32 v26, v26, v22, s44
	v_or_b32_e32 v27, 0x400000, v22
	v_cmp_u_f32_e32 vcc, v22, v22
	v_cndmask_b32_e32 v22, v26, v27, vcc
	v_lshlrev_b32_e32 v26, 16, v55
	v_mul_f32_e32 v26, v9, v26
	v_bfe_u32 v27, v26, 16, 1
	v_add3_u32 v27, v27, v26, s44
	v_or_b32_e32 v28, 0x400000, v26
	v_cmp_u_f32_e32 vcc, v26, v26
	v_cndmask_b32_e32 v26, v27, v28, vcc
	buffer_load_dword v27, off, s[0:3], s32 offset:616 ; 4-byte Folded Reload
	v_and_b32_e32 v12, 0xffff0000, v12
	v_and_b32_e32 v0, 0xffff0000, v0
	v_add_f32_e32 v0, v12, v0
	v_and_b32_e32 v12, 0xffff0000, v16
	v_and_b32_e32 v13, 0xffff0000, v13
	v_add_f32_e32 v12, v12, v13
	v_add_f32_e32 v0, v0, v12
	v_and_b32_e32 v12, 0xffff0000, v21
	v_and_b32_e32 v13, 0xffff0000, v18
	v_add_f32_e32 v12, v12, v13
	;; [unrolled: 4-line block ×3, first 2 shown]
	v_add_f32_e32 v0, v0, v12
	s_waitcnt vmcnt(0)
	v_add_f32_e32 v27, v27, v0
	v_lshlrev_b32_e32 v0, 16, v49
	v_mul_f32_e32 v0, v2, v0
	v_bfe_u32 v12, v0, 16, 1
	v_add3_u32 v12, v12, v0, s44
	v_or_b32_e32 v13, 0x400000, v0
	v_cmp_u_f32_e32 vcc, v0, v0
	v_cndmask_b32_e32 v0, v12, v13, vcc
	v_lshlrev_b32_e32 v12, 16, v43
	v_mul_f32_e32 v12, v5, v12
	v_bfe_u32 v13, v12, 16, 1
	v_add3_u32 v13, v13, v12, s44
	v_or_b32_e32 v16, 0x400000, v12
	v_cmp_u_f32_e32 vcc, v12, v12
	v_cndmask_b32_e32 v12, v13, v16, vcc
	v_lshlrev_b32_e32 v13, 16, v1
	buffer_load_dword v1, off, s[0:3], s32 offset:536 ; 4-byte Folded Reload
	v_mul_f32_e32 v13, v3, v13
	v_bfe_u32 v16, v13, 16, 1
	v_add3_u32 v16, v16, v13, s44
	v_or_b32_e32 v18, 0x400000, v13
	v_cmp_u_f32_e32 vcc, v13, v13
	v_cndmask_b32_e32 v13, v16, v18, vcc
	v_and_b32_e32 v12, 0xffff0000, v12
	v_and_b32_e32 v0, 0xffff0000, v0
	v_add_f32_e32 v0, v12, v0
	v_and_b32_e32 v13, 0xffff0000, v13
	s_waitcnt vmcnt(0)
	v_lshlrev_b32_e32 v16, 16, v1
	buffer_load_dword v1, off, s[0:3], s32 offset:516 ; 4-byte Folded Reload
	v_mul_f32_e32 v16, v7, v16
	v_bfe_u32 v18, v16, 16, 1
	v_add3_u32 v18, v18, v16, s44
	v_or_b32_e32 v21, 0x400000, v16
	v_cmp_u_f32_e32 vcc, v16, v16
	v_cndmask_b32_e32 v16, v18, v21, vcc
	v_and_b32_e32 v12, 0xffff0000, v16
	v_add_f32_e32 v12, v12, v13
	v_add_f32_e32 v0, v0, v12
	s_waitcnt vmcnt(0)
	v_lshlrev_b32_e32 v18, 16, v1
	buffer_load_dword v1, off, s[0:3], s32 offset:500 ; 4-byte Folded Reload
	v_mul_f32_e32 v18, v4, v18
	v_bfe_u32 v21, v18, 16, 1
	v_add3_u32 v21, v21, v18, s44
	v_or_b32_e32 v22, 0x400000, v18
	v_cmp_u_f32_e32 vcc, v18, v18
	v_cndmask_b32_e32 v18, v21, v22, vcc
	v_and_b32_e32 v13, 0xffff0000, v18
	s_waitcnt vmcnt(0)
	v_lshlrev_b32_e32 v21, 16, v1
	buffer_load_dword v1, off, s[0:3], s32 offset:544 ; 4-byte Folded Reload
	v_mul_f32_e32 v21, v8, v21
	v_bfe_u32 v22, v21, 16, 1
	v_add3_u32 v22, v22, v21, s44
	v_or_b32_e32 v23, 0x400000, v21
	v_cmp_u_f32_e32 vcc, v21, v21
	v_cndmask_b32_e32 v21, v22, v23, vcc
	v_and_b32_e32 v12, 0xffff0000, v21
	v_add_f32_e32 v12, v12, v13
	v_add_f32_e32 v0, v0, v12
	s_waitcnt vmcnt(0)
	v_lshlrev_b32_e32 v1, 16, v1
	v_mul_f32_e32 v1, v6, v1
	v_bfe_u32 v22, v1, 16, 1
	v_add3_u32 v22, v22, v1, s44
	v_or_b32_e32 v23, 0x400000, v1
	v_cmp_u_f32_e32 vcc, v1, v1
	v_cndmask_b32_e32 v1, v22, v23, vcc
	buffer_load_dword v22, off, s[0:3], s32 offset:532 ; 4-byte Folded Reload
	v_and_b32_e32 v1, 0xffff0000, v1
	s_waitcnt vmcnt(0)
	v_lshlrev_b32_e32 v22, 16, v22
	v_mul_f32_e32 v22, v9, v22
	v_bfe_u32 v23, v22, 16, 1
	v_add3_u32 v23, v23, v22, s44
	v_or_b32_e32 v26, 0x400000, v22
	v_cmp_u_f32_e32 vcc, v22, v22
	v_cndmask_b32_e32 v22, v23, v26, vcc
	v_and_b32_e32 v12, 0xffff0000, v22
	v_add_f32_e32 v1, v12, v1
	v_add_f32_e32 v0, v0, v1
	buffer_load_dword v1, off, s[0:3], s32 offset:564 ; 4-byte Folded Reload
	s_waitcnt vmcnt(0)
	v_add_f32_e32 v1, v1, v0
	buffer_load_dword v0, off, s[0:3], s32 offset:484 ; 4-byte Folded Reload
	s_waitcnt vmcnt(0)
	v_lshlrev_b32_e32 v0, 16, v0
	v_mul_f32_e32 v0, v2, v0
	buffer_store_dword v1, off, s[0:3], s32 offset:564 ; 4-byte Folded Spill
	v_bfe_u32 v1, v0, 16, 1
	v_add3_u32 v1, v1, v0, s44
	v_or_b32_e32 v12, 0x400000, v0
	v_cmp_u_f32_e32 vcc, v0, v0
	v_cndmask_b32_e32 v0, v1, v12, vcc
	buffer_load_dword v1, off, s[0:3], s32 offset:468 ; 4-byte Folded Reload
	v_and_b32_e32 v0, 0xffff0000, v0
	s_waitcnt vmcnt(0)
	v_lshlrev_b32_e32 v1, 16, v1
	v_mul_f32_e32 v1, v5, v1
	v_bfe_u32 v12, v1, 16, 1
	v_add3_u32 v12, v12, v1, s44
	v_or_b32_e32 v13, 0x400000, v1
	v_cmp_u_f32_e32 vcc, v1, v1
	v_cndmask_b32_e32 v1, v12, v13, vcc
	buffer_load_dword v12, off, s[0:3], s32 offset:448 ; 4-byte Folded Reload
	v_and_b32_e32 v1, 0xffff0000, v1
	v_add_f32_e32 v0, v1, v0
	s_waitcnt vmcnt(0)
	v_lshlrev_b32_e32 v12, 16, v12
	v_mul_f32_e32 v12, v3, v12
	v_bfe_u32 v13, v12, 16, 1
	v_add3_u32 v13, v13, v12, s44
	v_or_b32_e32 v16, 0x400000, v12
	v_cmp_u_f32_e32 vcc, v12, v12
	v_cndmask_b32_e32 v12, v13, v16, vcc
	buffer_load_dword v13, off, s[0:3], s32 offset:432 ; 4-byte Folded Reload
	v_and_b32_e32 v12, 0xffff0000, v12
	s_waitcnt vmcnt(0)
	v_lshlrev_b32_e32 v13, 16, v13
	v_mul_f32_e32 v13, v7, v13
	v_bfe_u32 v16, v13, 16, 1
	v_add3_u32 v16, v16, v13, s44
	v_or_b32_e32 v18, 0x400000, v13
	v_cmp_u_f32_e32 vcc, v13, v13
	v_cndmask_b32_e32 v13, v16, v18, vcc
	buffer_load_dword v16, off, s[0:3], s32 offset:424 ; 4-byte Folded Reload
	v_and_b32_e32 v1, 0xffff0000, v13
	v_add_f32_e32 v1, v1, v12
	v_add_f32_e32 v0, v0, v1
	s_waitcnt vmcnt(0)
	v_lshlrev_b32_e32 v16, 16, v16
	v_mul_f32_e32 v16, v4, v16
	v_bfe_u32 v18, v16, 16, 1
	v_add3_u32 v18, v18, v16, s44
	v_or_b32_e32 v21, 0x400000, v16
	v_cmp_u_f32_e32 vcc, v16, v16
	v_cndmask_b32_e32 v16, v18, v21, vcc
	buffer_load_dword v18, off, s[0:3], s32 offset:420 ; 4-byte Folded Reload
	v_and_b32_e32 v12, 0xffff0000, v16
	s_waitcnt vmcnt(0)
	v_lshlrev_b32_e32 v18, 16, v18
	v_mul_f32_e32 v18, v8, v18
	v_bfe_u32 v21, v18, 16, 1
	v_add3_u32 v21, v21, v18, s44
	v_or_b32_e32 v22, 0x400000, v18
	v_cmp_u_f32_e32 vcc, v18, v18
	v_cndmask_b32_e32 v18, v21, v22, vcc
	buffer_load_dword v21, off, s[0:3], s32 offset:452 ; 4-byte Folded Reload
	v_and_b32_e32 v1, 0xffff0000, v18
	v_add_f32_e32 v1, v1, v12
	v_add_f32_e32 v0, v0, v1
	s_waitcnt vmcnt(0)
	v_lshlrev_b32_e32 v21, 16, v21
	v_mul_f32_e32 v21, v6, v21
	v_bfe_u32 v22, v21, 16, 1
	v_add3_u32 v22, v22, v21, s44
	v_or_b32_e32 v23, 0x400000, v21
	v_cmp_u_f32_e32 vcc, v21, v21
	v_cndmask_b32_e32 v21, v22, v23, vcc
	buffer_load_dword v22, off, s[0:3], s32 offset:428 ; 4-byte Folded Reload
	v_and_b32_e32 v12, 0xffff0000, v21
	s_waitcnt vmcnt(0)
	v_lshlrev_b32_e32 v22, 16, v22
	v_mul_f32_e32 v22, v9, v22
	v_bfe_u32 v23, v22, 16, 1
	v_add3_u32 v23, v23, v22, s44
	v_or_b32_e32 v26, 0x400000, v22
	v_cmp_u_f32_e32 vcc, v22, v22
	v_cndmask_b32_e32 v22, v23, v26, vcc
	v_and_b32_e32 v1, 0xffff0000, v22
	v_add_f32_e32 v1, v1, v12
	v_add_f32_e32 v0, v0, v1
	buffer_load_dword v1, off, s[0:3], s32 offset:568 ; 4-byte Folded Reload
	s_waitcnt vmcnt(0)
	v_add_f32_e32 v1, v1, v0
	buffer_load_dword v0, off, s[0:3], s32 offset:416 ; 4-byte Folded Reload
	s_waitcnt vmcnt(0)
	v_lshlrev_b32_e32 v0, 16, v0
	v_mul_f32_e32 v0, v2, v0
	buffer_store_dword v1, off, s[0:3], s32 offset:568 ; 4-byte Folded Spill
	v_bfe_u32 v1, v0, 16, 1
	v_add3_u32 v1, v1, v0, s44
	v_or_b32_e32 v12, 0x400000, v0
	v_cmp_u_f32_e32 vcc, v0, v0
	v_cndmask_b32_e32 v0, v1, v12, vcc
	buffer_load_dword v1, off, s[0:3], s32 offset:412 ; 4-byte Folded Reload
	v_and_b32_e32 v0, 0xffff0000, v0
	s_waitcnt vmcnt(0)
	v_lshlrev_b32_e32 v1, 16, v1
	v_mul_f32_e32 v1, v5, v1
	v_bfe_u32 v12, v1, 16, 1
	v_add3_u32 v12, v12, v1, s44
	v_or_b32_e32 v13, 0x400000, v1
	v_cmp_u_f32_e32 vcc, v1, v1
	v_cndmask_b32_e32 v1, v12, v13, vcc
	buffer_load_dword v12, off, s[0:3], s32 offset:404 ; 4-byte Folded Reload
	v_and_b32_e32 v1, 0xffff0000, v1
	v_add_f32_e32 v0, v1, v0
	s_waitcnt vmcnt(0)
	v_lshlrev_b32_e32 v12, 16, v12
	v_mul_f32_e32 v12, v3, v12
	v_bfe_u32 v13, v12, 16, 1
	v_add3_u32 v13, v13, v12, s44
	v_or_b32_e32 v16, 0x400000, v12
	v_cmp_u_f32_e32 vcc, v12, v12
	v_cndmask_b32_e32 v12, v13, v16, vcc
	buffer_load_dword v13, off, s[0:3], s32 offset:400 ; 4-byte Folded Reload
	v_and_b32_e32 v12, 0xffff0000, v12
	s_waitcnt vmcnt(0)
	v_lshlrev_b32_e32 v13, 16, v13
	v_mul_f32_e32 v13, v7, v13
	v_bfe_u32 v16, v13, 16, 1
	v_add3_u32 v16, v16, v13, s44
	v_or_b32_e32 v18, 0x400000, v13
	v_cmp_u_f32_e32 vcc, v13, v13
	v_cndmask_b32_e32 v13, v16, v18, vcc
	buffer_load_dword v16, off, s[0:3], s32 offset:392 ; 4-byte Folded Reload
	v_and_b32_e32 v1, 0xffff0000, v13
	v_add_f32_e32 v1, v1, v12
	v_add_f32_e32 v0, v0, v1
	s_waitcnt vmcnt(0)
	v_lshlrev_b32_e32 v16, 16, v16
	v_mul_f32_e32 v16, v4, v16
	v_bfe_u32 v18, v16, 16, 1
	v_add3_u32 v18, v18, v16, s44
	v_or_b32_e32 v21, 0x400000, v16
	v_cmp_u_f32_e32 vcc, v16, v16
	v_cndmask_b32_e32 v16, v18, v21, vcc
	buffer_load_dword v18, off, s[0:3], s32 offset:388 ; 4-byte Folded Reload
	v_and_b32_e32 v12, 0xffff0000, v16
	s_waitcnt vmcnt(0)
	v_lshlrev_b32_e32 v18, 16, v18
	v_mul_f32_e32 v18, v8, v18
	v_bfe_u32 v21, v18, 16, 1
	v_add3_u32 v21, v21, v18, s44
	v_or_b32_e32 v22, 0x400000, v18
	v_cmp_u_f32_e32 vcc, v18, v18
	v_cndmask_b32_e32 v18, v21, v22, vcc
	buffer_load_dword v21, off, s[0:3], s32 offset:408 ; 4-byte Folded Reload
	v_and_b32_e32 v1, 0xffff0000, v18
	v_add_f32_e32 v1, v1, v12
	v_add_f32_e32 v0, v0, v1
	s_waitcnt vmcnt(0)
	v_lshlrev_b32_e32 v21, 16, v21
	v_mul_f32_e32 v21, v6, v21
	v_bfe_u32 v22, v21, 16, 1
	v_add3_u32 v22, v22, v21, s44
	v_or_b32_e32 v23, 0x400000, v21
	v_cmp_u_f32_e32 vcc, v21, v21
	v_cndmask_b32_e32 v21, v22, v23, vcc
	buffer_load_dword v22, off, s[0:3], s32 offset:396 ; 4-byte Folded Reload
	v_and_b32_e32 v12, 0xffff0000, v21
	s_waitcnt vmcnt(0)
	v_lshlrev_b32_e32 v22, 16, v22
	v_mul_f32_e32 v22, v9, v22
	v_bfe_u32 v23, v22, 16, 1
	v_add3_u32 v23, v23, v22, s44
	v_or_b32_e32 v26, 0x400000, v22
	v_cmp_u_f32_e32 vcc, v22, v22
	v_cndmask_b32_e32 v22, v23, v26, vcc
	v_and_b32_e32 v1, 0xffff0000, v22
	v_add_f32_e32 v1, v1, v12
	v_add_f32_e32 v0, v0, v1
	buffer_load_dword v1, off, s[0:3], s32 offset:572 ; 4-byte Folded Reload
	s_waitcnt vmcnt(0)
	v_add_f32_e32 v1, v1, v0
	buffer_load_dword v0, off, s[0:3], s32 offset:384 ; 4-byte Folded Reload
	s_waitcnt vmcnt(0)
	v_lshlrev_b32_e32 v0, 16, v0
	v_mul_f32_e32 v0, v2, v0
	buffer_store_dword v1, off, s[0:3], s32 offset:572 ; 4-byte Folded Spill
	v_bfe_u32 v1, v0, 16, 1
	v_add3_u32 v1, v1, v0, s44
	v_or_b32_e32 v12, 0x400000, v0
	v_cmp_u_f32_e32 vcc, v0, v0
	v_cndmask_b32_e32 v0, v1, v12, vcc
	buffer_load_dword v1, off, s[0:3], s32 offset:380 ; 4-byte Folded Reload
	v_and_b32_e32 v0, 0xffff0000, v0
	s_waitcnt vmcnt(0)
	v_lshlrev_b32_e32 v1, 16, v1
	v_mul_f32_e32 v1, v5, v1
	v_bfe_u32 v12, v1, 16, 1
	v_add3_u32 v12, v12, v1, s44
	v_or_b32_e32 v13, 0x400000, v1
	v_cmp_u_f32_e32 vcc, v1, v1
	v_cndmask_b32_e32 v1, v12, v13, vcc
	buffer_load_dword v12, off, s[0:3], s32 offset:372 ; 4-byte Folded Reload
	v_and_b32_e32 v1, 0xffff0000, v1
	v_add_f32_e32 v0, v1, v0
	s_waitcnt vmcnt(0)
	v_lshlrev_b32_e32 v12, 16, v12
	v_mul_f32_e32 v12, v3, v12
	v_bfe_u32 v13, v12, 16, 1
	v_add3_u32 v13, v13, v12, s44
	v_or_b32_e32 v16, 0x400000, v12
	v_cmp_u_f32_e32 vcc, v12, v12
	v_cndmask_b32_e32 v12, v13, v16, vcc
	buffer_load_dword v13, off, s[0:3], s32 offset:368 ; 4-byte Folded Reload
	v_and_b32_e32 v12, 0xffff0000, v12
	s_waitcnt vmcnt(0)
	v_lshlrev_b32_e32 v13, 16, v13
	v_mul_f32_e32 v13, v7, v13
	v_bfe_u32 v16, v13, 16, 1
	v_add3_u32 v16, v16, v13, s44
	v_or_b32_e32 v18, 0x400000, v13
	v_cmp_u_f32_e32 vcc, v13, v13
	v_cndmask_b32_e32 v13, v16, v18, vcc
	buffer_load_dword v16, off, s[0:3], s32 offset:360 ; 4-byte Folded Reload
	v_and_b32_e32 v1, 0xffff0000, v13
	v_add_f32_e32 v1, v1, v12
	v_add_f32_e32 v0, v0, v1
	s_waitcnt vmcnt(0)
	v_lshlrev_b32_e32 v16, 16, v16
	v_mul_f32_e32 v16, v4, v16
	v_bfe_u32 v18, v16, 16, 1
	v_add3_u32 v18, v18, v16, s44
	v_or_b32_e32 v21, 0x400000, v16
	v_cmp_u_f32_e32 vcc, v16, v16
	v_cndmask_b32_e32 v16, v18, v21, vcc
	buffer_load_dword v18, off, s[0:3], s32 offset:356 ; 4-byte Folded Reload
	v_and_b32_e32 v12, 0xffff0000, v16
	s_waitcnt vmcnt(0)
	v_lshlrev_b32_e32 v18, 16, v18
	v_mul_f32_e32 v18, v8, v18
	v_bfe_u32 v21, v18, 16, 1
	v_add3_u32 v21, v21, v18, s44
	v_or_b32_e32 v22, 0x400000, v18
	v_cmp_u_f32_e32 vcc, v18, v18
	v_cndmask_b32_e32 v18, v21, v22, vcc
	buffer_load_dword v21, off, s[0:3], s32 offset:376 ; 4-byte Folded Reload
	v_and_b32_e32 v1, 0xffff0000, v18
	v_add_f32_e32 v1, v1, v12
	v_add_f32_e32 v0, v0, v1
	s_waitcnt vmcnt(0)
	v_lshlrev_b32_e32 v21, 16, v21
	v_mul_f32_e32 v21, v6, v21
	v_bfe_u32 v22, v21, 16, 1
	v_add3_u32 v22, v22, v21, s44
	v_or_b32_e32 v23, 0x400000, v21
	v_cmp_u_f32_e32 vcc, v21, v21
	v_cndmask_b32_e32 v21, v22, v23, vcc
	buffer_load_dword v22, off, s[0:3], s32 offset:364 ; 4-byte Folded Reload
	v_and_b32_e32 v12, 0xffff0000, v21
	s_waitcnt vmcnt(0)
	v_lshlrev_b32_e32 v22, 16, v22
	v_mul_f32_e32 v22, v9, v22
	v_bfe_u32 v23, v22, 16, 1
	v_add3_u32 v23, v23, v22, s44
	v_or_b32_e32 v26, 0x400000, v22
	v_cmp_u_f32_e32 vcc, v22, v22
	v_cndmask_b32_e32 v22, v23, v26, vcc
	v_and_b32_e32 v1, 0xffff0000, v22
	v_add_f32_e32 v1, v1, v12
	v_add_f32_e32 v0, v0, v1
	buffer_load_dword v1, off, s[0:3], s32 offset:576 ; 4-byte Folded Reload
	s_waitcnt vmcnt(0)
	v_add_f32_e32 v1, v1, v0
	buffer_load_dword v0, off, s[0:3], s32 offset:352 ; 4-byte Folded Reload
	s_waitcnt vmcnt(0)
	v_lshlrev_b32_e32 v0, 16, v0
	v_mul_f32_e32 v0, v2, v0
	buffer_store_dword v1, off, s[0:3], s32 offset:576 ; 4-byte Folded Spill
	v_bfe_u32 v1, v0, 16, 1
	v_add3_u32 v1, v1, v0, s44
	v_or_b32_e32 v12, 0x400000, v0
	v_cmp_u_f32_e32 vcc, v0, v0
	v_cndmask_b32_e32 v0, v1, v12, vcc
	buffer_load_dword v1, off, s[0:3], s32 offset:348 ; 4-byte Folded Reload
	v_and_b32_e32 v0, 0xffff0000, v0
	s_waitcnt vmcnt(0)
	v_lshlrev_b32_e32 v1, 16, v1
	v_mul_f32_e32 v1, v5, v1
	v_bfe_u32 v12, v1, 16, 1
	v_add3_u32 v12, v12, v1, s44
	v_or_b32_e32 v13, 0x400000, v1
	v_cmp_u_f32_e32 vcc, v1, v1
	v_cndmask_b32_e32 v1, v12, v13, vcc
	buffer_load_dword v12, off, s[0:3], s32 offset:340 ; 4-byte Folded Reload
	v_and_b32_e32 v1, 0xffff0000, v1
	v_add_f32_e32 v0, v1, v0
	s_waitcnt vmcnt(0)
	v_lshlrev_b32_e32 v12, 16, v12
	v_mul_f32_e32 v12, v3, v12
	v_bfe_u32 v13, v12, 16, 1
	v_add3_u32 v13, v13, v12, s44
	v_or_b32_e32 v16, 0x400000, v12
	v_cmp_u_f32_e32 vcc, v12, v12
	v_cndmask_b32_e32 v12, v13, v16, vcc
	buffer_load_dword v13, off, s[0:3], s32 offset:336 ; 4-byte Folded Reload
	v_and_b32_e32 v12, 0xffff0000, v12
	s_waitcnt vmcnt(0)
	v_lshlrev_b32_e32 v13, 16, v13
	v_mul_f32_e32 v13, v7, v13
	v_bfe_u32 v16, v13, 16, 1
	v_add3_u32 v16, v16, v13, s44
	v_or_b32_e32 v18, 0x400000, v13
	v_cmp_u_f32_e32 vcc, v13, v13
	v_cndmask_b32_e32 v13, v16, v18, vcc
	buffer_load_dword v16, off, s[0:3], s32 offset:328 ; 4-byte Folded Reload
	v_and_b32_e32 v1, 0xffff0000, v13
	v_add_f32_e32 v1, v1, v12
	v_add_f32_e32 v0, v0, v1
	s_waitcnt vmcnt(0)
	v_lshlrev_b32_e32 v16, 16, v16
	v_mul_f32_e32 v16, v4, v16
	v_bfe_u32 v18, v16, 16, 1
	v_add3_u32 v18, v18, v16, s44
	v_or_b32_e32 v21, 0x400000, v16
	v_cmp_u_f32_e32 vcc, v16, v16
	v_cndmask_b32_e32 v16, v18, v21, vcc
	buffer_load_dword v18, off, s[0:3], s32 offset:324 ; 4-byte Folded Reload
	v_and_b32_e32 v12, 0xffff0000, v16
	s_waitcnt vmcnt(0)
	v_lshlrev_b32_e32 v18, 16, v18
	v_mul_f32_e32 v18, v8, v18
	v_bfe_u32 v21, v18, 16, 1
	v_add3_u32 v21, v21, v18, s44
	v_or_b32_e32 v22, 0x400000, v18
	v_cmp_u_f32_e32 vcc, v18, v18
	v_cndmask_b32_e32 v18, v21, v22, vcc
	buffer_load_dword v21, off, s[0:3], s32 offset:344 ; 4-byte Folded Reload
	v_and_b32_e32 v1, 0xffff0000, v18
	v_add_f32_e32 v1, v1, v12
	v_add_f32_e32 v0, v0, v1
	s_waitcnt vmcnt(0)
	v_lshlrev_b32_e32 v21, 16, v21
	v_mul_f32_e32 v21, v6, v21
	v_bfe_u32 v22, v21, 16, 1
	v_add3_u32 v22, v22, v21, s44
	v_or_b32_e32 v23, 0x400000, v21
	v_cmp_u_f32_e32 vcc, v21, v21
	v_cndmask_b32_e32 v21, v22, v23, vcc
	buffer_load_dword v22, off, s[0:3], s32 offset:332 ; 4-byte Folded Reload
	v_and_b32_e32 v12, 0xffff0000, v21
	s_waitcnt vmcnt(0)
	v_lshlrev_b32_e32 v22, 16, v22
	v_mul_f32_e32 v22, v9, v22
	v_bfe_u32 v23, v22, 16, 1
	v_add3_u32 v23, v23, v22, s44
	v_or_b32_e32 v26, 0x400000, v22
	v_cmp_u_f32_e32 vcc, v22, v22
	v_cndmask_b32_e32 v22, v23, v26, vcc
	v_and_b32_e32 v1, 0xffff0000, v22
	v_add_f32_e32 v1, v1, v12
	v_add_f32_e32 v0, v0, v1
	buffer_load_dword v1, off, s[0:3], s32 offset:580 ; 4-byte Folded Reload
	s_waitcnt vmcnt(0)
	v_add_f32_e32 v1, v1, v0
	buffer_load_dword v0, off, s[0:3], s32 offset:320 ; 4-byte Folded Reload
	s_waitcnt vmcnt(0)
	v_lshlrev_b32_e32 v0, 16, v0
	v_mul_f32_e32 v0, v2, v0
	buffer_store_dword v1, off, s[0:3], s32 offset:580 ; 4-byte Folded Spill
	v_bfe_u32 v1, v0, 16, 1
	v_add3_u32 v1, v1, v0, s44
	v_or_b32_e32 v12, 0x400000, v0
	v_cmp_u_f32_e32 vcc, v0, v0
	v_cndmask_b32_e32 v0, v1, v12, vcc
	buffer_load_dword v1, off, s[0:3], s32 offset:316 ; 4-byte Folded Reload
	v_and_b32_e32 v0, 0xffff0000, v0
	s_waitcnt vmcnt(0)
	v_lshlrev_b32_e32 v1, 16, v1
	v_mul_f32_e32 v1, v5, v1
	v_bfe_u32 v12, v1, 16, 1
	v_add3_u32 v12, v12, v1, s44
	v_or_b32_e32 v13, 0x400000, v1
	v_cmp_u_f32_e32 vcc, v1, v1
	v_cndmask_b32_e32 v1, v12, v13, vcc
	buffer_load_dword v12, off, s[0:3], s32 offset:308 ; 4-byte Folded Reload
	v_and_b32_e32 v1, 0xffff0000, v1
	v_add_f32_e32 v0, v1, v0
	s_waitcnt vmcnt(0)
	v_lshlrev_b32_e32 v12, 16, v12
	v_mul_f32_e32 v12, v3, v12
	v_bfe_u32 v13, v12, 16, 1
	v_add3_u32 v13, v13, v12, s44
	v_or_b32_e32 v16, 0x400000, v12
	v_cmp_u_f32_e32 vcc, v12, v12
	v_cndmask_b32_e32 v12, v13, v16, vcc
	buffer_load_dword v13, off, s[0:3], s32 offset:304 ; 4-byte Folded Reload
	v_and_b32_e32 v12, 0xffff0000, v12
	s_waitcnt vmcnt(0)
	v_lshlrev_b32_e32 v13, 16, v13
	v_mul_f32_e32 v13, v7, v13
	v_bfe_u32 v16, v13, 16, 1
	v_add3_u32 v16, v16, v13, s44
	v_or_b32_e32 v18, 0x400000, v13
	v_cmp_u_f32_e32 vcc, v13, v13
	v_cndmask_b32_e32 v13, v16, v18, vcc
	buffer_load_dword v16, off, s[0:3], s32 offset:296 ; 4-byte Folded Reload
	v_and_b32_e32 v1, 0xffff0000, v13
	v_add_f32_e32 v1, v1, v12
	v_add_f32_e32 v0, v0, v1
	s_waitcnt vmcnt(0)
	v_lshlrev_b32_e32 v16, 16, v16
	v_mul_f32_e32 v16, v4, v16
	v_bfe_u32 v18, v16, 16, 1
	v_add3_u32 v18, v18, v16, s44
	v_or_b32_e32 v21, 0x400000, v16
	v_cmp_u_f32_e32 vcc, v16, v16
	v_cndmask_b32_e32 v16, v18, v21, vcc
	buffer_load_dword v18, off, s[0:3], s32 offset:292 ; 4-byte Folded Reload
	v_and_b32_e32 v12, 0xffff0000, v16
	s_waitcnt vmcnt(0)
	v_lshlrev_b32_e32 v18, 16, v18
	v_mul_f32_e32 v18, v8, v18
	v_bfe_u32 v21, v18, 16, 1
	v_add3_u32 v21, v21, v18, s44
	v_or_b32_e32 v22, 0x400000, v18
	v_cmp_u_f32_e32 vcc, v18, v18
	v_cndmask_b32_e32 v18, v21, v22, vcc
	buffer_load_dword v21, off, s[0:3], s32 offset:312 ; 4-byte Folded Reload
	v_and_b32_e32 v1, 0xffff0000, v18
	v_add_f32_e32 v1, v1, v12
	v_add_f32_e32 v0, v0, v1
	s_waitcnt vmcnt(0)
	v_lshlrev_b32_e32 v21, 16, v21
	v_mul_f32_e32 v21, v6, v21
	v_bfe_u32 v22, v21, 16, 1
	v_add3_u32 v22, v22, v21, s44
	v_or_b32_e32 v23, 0x400000, v21
	v_cmp_u_f32_e32 vcc, v21, v21
	v_cndmask_b32_e32 v21, v22, v23, vcc
	buffer_load_dword v22, off, s[0:3], s32 offset:300 ; 4-byte Folded Reload
	v_and_b32_e32 v12, 0xffff0000, v21
	s_waitcnt vmcnt(0)
	v_lshlrev_b32_e32 v22, 16, v22
	v_mul_f32_e32 v22, v9, v22
	v_bfe_u32 v23, v22, 16, 1
	v_add3_u32 v23, v23, v22, s44
	v_or_b32_e32 v26, 0x400000, v22
	v_cmp_u_f32_e32 vcc, v22, v22
	v_cndmask_b32_e32 v22, v23, v26, vcc
	v_and_b32_e32 v1, 0xffff0000, v22
	v_add_f32_e32 v1, v1, v12
	v_add_f32_e32 v0, v0, v1
	buffer_load_dword v1, off, s[0:3], s32 offset:584 ; 4-byte Folded Reload
	s_waitcnt vmcnt(0)
	v_add_f32_e32 v1, v1, v0
	buffer_load_dword v0, off, s[0:3], s32 offset:288 ; 4-byte Folded Reload
	s_waitcnt vmcnt(0)
	v_lshlrev_b32_e32 v0, 16, v0
	v_mul_f32_e32 v0, v2, v0
	buffer_store_dword v1, off, s[0:3], s32 offset:584 ; 4-byte Folded Spill
	v_bfe_u32 v1, v0, 16, 1
	v_add3_u32 v1, v1, v0, s44
	v_or_b32_e32 v12, 0x400000, v0
	v_cmp_u_f32_e32 vcc, v0, v0
	v_cndmask_b32_e32 v0, v1, v12, vcc
	buffer_load_dword v1, off, s[0:3], s32 offset:284 ; 4-byte Folded Reload
	v_and_b32_e32 v0, 0xffff0000, v0
	s_waitcnt vmcnt(0)
	v_lshlrev_b32_e32 v1, 16, v1
	v_mul_f32_e32 v1, v5, v1
	v_bfe_u32 v12, v1, 16, 1
	v_add3_u32 v12, v12, v1, s44
	v_or_b32_e32 v13, 0x400000, v1
	v_cmp_u_f32_e32 vcc, v1, v1
	v_cndmask_b32_e32 v1, v12, v13, vcc
	buffer_load_dword v12, off, s[0:3], s32 offset:276 ; 4-byte Folded Reload
	v_and_b32_e32 v1, 0xffff0000, v1
	v_add_f32_e32 v0, v1, v0
	s_waitcnt vmcnt(0)
	v_lshlrev_b32_e32 v12, 16, v12
	v_mul_f32_e32 v12, v3, v12
	v_bfe_u32 v13, v12, 16, 1
	v_add3_u32 v13, v13, v12, s44
	v_or_b32_e32 v16, 0x400000, v12
	v_cmp_u_f32_e32 vcc, v12, v12
	v_cndmask_b32_e32 v12, v13, v16, vcc
	buffer_load_dword v13, off, s[0:3], s32 offset:272 ; 4-byte Folded Reload
	v_and_b32_e32 v12, 0xffff0000, v12
	s_waitcnt vmcnt(0)
	v_lshlrev_b32_e32 v13, 16, v13
	v_mul_f32_e32 v13, v7, v13
	v_bfe_u32 v16, v13, 16, 1
	v_add3_u32 v16, v16, v13, s44
	v_or_b32_e32 v18, 0x400000, v13
	v_cmp_u_f32_e32 vcc, v13, v13
	v_cndmask_b32_e32 v13, v16, v18, vcc
	buffer_load_dword v16, off, s[0:3], s32 offset:264 ; 4-byte Folded Reload
	v_and_b32_e32 v1, 0xffff0000, v13
	v_add_f32_e32 v1, v1, v12
	v_add_f32_e32 v0, v0, v1
	s_waitcnt vmcnt(0)
	v_lshlrev_b32_e32 v16, 16, v16
	v_mul_f32_e32 v16, v4, v16
	v_bfe_u32 v18, v16, 16, 1
	v_add3_u32 v18, v18, v16, s44
	v_or_b32_e32 v21, 0x400000, v16
	v_cmp_u_f32_e32 vcc, v16, v16
	v_cndmask_b32_e32 v16, v18, v21, vcc
	buffer_load_dword v18, off, s[0:3], s32 offset:260 ; 4-byte Folded Reload
	v_and_b32_e32 v12, 0xffff0000, v16
	s_waitcnt vmcnt(0)
	v_lshlrev_b32_e32 v18, 16, v18
	v_mul_f32_e32 v18, v8, v18
	v_bfe_u32 v21, v18, 16, 1
	v_add3_u32 v21, v21, v18, s44
	v_or_b32_e32 v22, 0x400000, v18
	v_cmp_u_f32_e32 vcc, v18, v18
	v_cndmask_b32_e32 v18, v21, v22, vcc
	buffer_load_dword v21, off, s[0:3], s32 offset:280 ; 4-byte Folded Reload
	v_and_b32_e32 v1, 0xffff0000, v18
	v_add_f32_e32 v1, v1, v12
	v_add_f32_e32 v0, v0, v1
	s_waitcnt vmcnt(0)
	v_lshlrev_b32_e32 v21, 16, v21
	v_mul_f32_e32 v21, v6, v21
	v_bfe_u32 v22, v21, 16, 1
	v_add3_u32 v22, v22, v21, s44
	v_or_b32_e32 v23, 0x400000, v21
	v_cmp_u_f32_e32 vcc, v21, v21
	v_cndmask_b32_e32 v21, v22, v23, vcc
	buffer_load_dword v22, off, s[0:3], s32 offset:268 ; 4-byte Folded Reload
	v_and_b32_e32 v12, 0xffff0000, v21
	s_waitcnt vmcnt(0)
	v_lshlrev_b32_e32 v22, 16, v22
	v_mul_f32_e32 v22, v9, v22
	v_bfe_u32 v23, v22, 16, 1
	v_add3_u32 v23, v23, v22, s44
	v_or_b32_e32 v26, 0x400000, v22
	v_cmp_u_f32_e32 vcc, v22, v22
	v_cndmask_b32_e32 v22, v23, v26, vcc
	v_and_b32_e32 v1, 0xffff0000, v22
	v_add_f32_e32 v1, v1, v12
	v_add_f32_e32 v0, v0, v1
	buffer_load_dword v1, off, s[0:3], s32 offset:588 ; 4-byte Folded Reload
	s_waitcnt vmcnt(0)
	v_add_f32_e32 v1, v1, v0
	buffer_load_dword v0, off, s[0:3], s32 offset:256 ; 4-byte Folded Reload
	s_waitcnt vmcnt(0)
	v_lshlrev_b32_e32 v0, 16, v0
	v_mul_f32_e32 v0, v2, v0
	buffer_store_dword v1, off, s[0:3], s32 offset:588 ; 4-byte Folded Spill
	v_bfe_u32 v1, v0, 16, 1
	v_add3_u32 v1, v1, v0, s44
	v_or_b32_e32 v12, 0x400000, v0
	v_cmp_u_f32_e32 vcc, v0, v0
	v_cndmask_b32_e32 v0, v1, v12, vcc
	buffer_load_dword v1, off, s[0:3], s32 offset:252 ; 4-byte Folded Reload
	v_and_b32_e32 v0, 0xffff0000, v0
	s_waitcnt vmcnt(0)
	v_lshlrev_b32_e32 v1, 16, v1
	v_mul_f32_e32 v1, v5, v1
	v_bfe_u32 v12, v1, 16, 1
	v_add3_u32 v12, v12, v1, s44
	v_or_b32_e32 v13, 0x400000, v1
	v_cmp_u_f32_e32 vcc, v1, v1
	v_cndmask_b32_e32 v1, v12, v13, vcc
	buffer_load_dword v12, off, s[0:3], s32 offset:244 ; 4-byte Folded Reload
	v_and_b32_e32 v1, 0xffff0000, v1
	v_add_f32_e32 v0, v1, v0
	s_waitcnt vmcnt(0)
	v_lshlrev_b32_e32 v12, 16, v12
	v_mul_f32_e32 v12, v3, v12
	v_bfe_u32 v13, v12, 16, 1
	v_add3_u32 v13, v13, v12, s44
	v_or_b32_e32 v16, 0x400000, v12
	v_cmp_u_f32_e32 vcc, v12, v12
	v_cndmask_b32_e32 v12, v13, v16, vcc
	buffer_load_dword v13, off, s[0:3], s32 offset:240 ; 4-byte Folded Reload
	v_and_b32_e32 v12, 0xffff0000, v12
	s_waitcnt vmcnt(0)
	v_lshlrev_b32_e32 v13, 16, v13
	v_mul_f32_e32 v13, v7, v13
	v_bfe_u32 v16, v13, 16, 1
	v_add3_u32 v16, v16, v13, s44
	v_or_b32_e32 v18, 0x400000, v13
	v_cmp_u_f32_e32 vcc, v13, v13
	v_cndmask_b32_e32 v13, v16, v18, vcc
	buffer_load_dword v16, off, s[0:3], s32 offset:232 ; 4-byte Folded Reload
	v_and_b32_e32 v1, 0xffff0000, v13
	v_add_f32_e32 v1, v1, v12
	v_add_f32_e32 v0, v0, v1
	s_waitcnt vmcnt(0)
	v_lshlrev_b32_e32 v16, 16, v16
	v_mul_f32_e32 v16, v4, v16
	v_bfe_u32 v18, v16, 16, 1
	v_add3_u32 v18, v18, v16, s44
	v_or_b32_e32 v21, 0x400000, v16
	v_cmp_u_f32_e32 vcc, v16, v16
	v_cndmask_b32_e32 v16, v18, v21, vcc
	buffer_load_dword v18, off, s[0:3], s32 offset:228 ; 4-byte Folded Reload
	v_and_b32_e32 v12, 0xffff0000, v16
	s_waitcnt vmcnt(0)
	v_lshlrev_b32_e32 v18, 16, v18
	v_mul_f32_e32 v18, v8, v18
	v_bfe_u32 v21, v18, 16, 1
	v_add3_u32 v21, v21, v18, s44
	v_or_b32_e32 v22, 0x400000, v18
	v_cmp_u_f32_e32 vcc, v18, v18
	v_cndmask_b32_e32 v18, v21, v22, vcc
	buffer_load_dword v21, off, s[0:3], s32 offset:248 ; 4-byte Folded Reload
	v_and_b32_e32 v1, 0xffff0000, v18
	v_add_f32_e32 v1, v1, v12
	v_add_f32_e32 v0, v0, v1
	s_waitcnt vmcnt(0)
	v_lshlrev_b32_e32 v21, 16, v21
	v_mul_f32_e32 v21, v6, v21
	v_bfe_u32 v22, v21, 16, 1
	v_add3_u32 v22, v22, v21, s44
	v_or_b32_e32 v23, 0x400000, v21
	v_cmp_u_f32_e32 vcc, v21, v21
	v_cndmask_b32_e32 v21, v22, v23, vcc
	buffer_load_dword v22, off, s[0:3], s32 offset:236 ; 4-byte Folded Reload
	v_and_b32_e32 v12, 0xffff0000, v21
	s_waitcnt vmcnt(0)
	v_lshlrev_b32_e32 v22, 16, v22
	v_mul_f32_e32 v22, v9, v22
	v_bfe_u32 v23, v22, 16, 1
	v_add3_u32 v23, v23, v22, s44
	v_or_b32_e32 v26, 0x400000, v22
	v_cmp_u_f32_e32 vcc, v22, v22
	v_cndmask_b32_e32 v22, v23, v26, vcc
	v_and_b32_e32 v1, 0xffff0000, v22
	v_add_f32_e32 v1, v1, v12
	v_add_f32_e32 v0, v0, v1
	buffer_load_dword v1, off, s[0:3], s32 offset:592 ; 4-byte Folded Reload
	s_waitcnt vmcnt(0)
	v_add_f32_e32 v1, v1, v0
	buffer_load_dword v0, off, s[0:3], s32 offset:224 ; 4-byte Folded Reload
	s_waitcnt vmcnt(0)
	v_lshlrev_b32_e32 v0, 16, v0
	v_mul_f32_e32 v0, v2, v0
	buffer_store_dword v1, off, s[0:3], s32 offset:592 ; 4-byte Folded Spill
	v_bfe_u32 v1, v0, 16, 1
	v_add3_u32 v1, v1, v0, s44
	v_or_b32_e32 v12, 0x400000, v0
	v_cmp_u_f32_e32 vcc, v0, v0
	v_cndmask_b32_e32 v0, v1, v12, vcc
	buffer_load_dword v1, off, s[0:3], s32 offset:220 ; 4-byte Folded Reload
	v_and_b32_e32 v0, 0xffff0000, v0
	s_waitcnt vmcnt(0)
	v_lshlrev_b32_e32 v1, 16, v1
	v_mul_f32_e32 v1, v5, v1
	v_bfe_u32 v12, v1, 16, 1
	v_add3_u32 v12, v12, v1, s44
	v_or_b32_e32 v13, 0x400000, v1
	v_cmp_u_f32_e32 vcc, v1, v1
	v_cndmask_b32_e32 v1, v12, v13, vcc
	buffer_load_dword v12, off, s[0:3], s32 offset:212 ; 4-byte Folded Reload
	v_and_b32_e32 v1, 0xffff0000, v1
	v_add_f32_e32 v0, v1, v0
	s_waitcnt vmcnt(0)
	v_lshlrev_b32_e32 v12, 16, v12
	v_mul_f32_e32 v12, v3, v12
	v_bfe_u32 v13, v12, 16, 1
	v_add3_u32 v13, v13, v12, s44
	v_or_b32_e32 v16, 0x400000, v12
	v_cmp_u_f32_e32 vcc, v12, v12
	v_cndmask_b32_e32 v12, v13, v16, vcc
	buffer_load_dword v13, off, s[0:3], s32 offset:208 ; 4-byte Folded Reload
	v_and_b32_e32 v12, 0xffff0000, v12
	s_waitcnt vmcnt(0)
	v_lshlrev_b32_e32 v13, 16, v13
	v_mul_f32_e32 v13, v7, v13
	v_bfe_u32 v16, v13, 16, 1
	v_add3_u32 v16, v16, v13, s44
	v_or_b32_e32 v18, 0x400000, v13
	v_cmp_u_f32_e32 vcc, v13, v13
	v_cndmask_b32_e32 v13, v16, v18, vcc
	buffer_load_dword v16, off, s[0:3], s32 offset:200 ; 4-byte Folded Reload
	v_and_b32_e32 v1, 0xffff0000, v13
	v_add_f32_e32 v1, v1, v12
	v_add_f32_e32 v0, v0, v1
	s_waitcnt vmcnt(0)
	v_lshlrev_b32_e32 v16, 16, v16
	v_mul_f32_e32 v16, v4, v16
	v_bfe_u32 v18, v16, 16, 1
	v_add3_u32 v18, v18, v16, s44
	v_or_b32_e32 v21, 0x400000, v16
	v_cmp_u_f32_e32 vcc, v16, v16
	v_cndmask_b32_e32 v16, v18, v21, vcc
	buffer_load_dword v18, off, s[0:3], s32 offset:196 ; 4-byte Folded Reload
	v_and_b32_e32 v12, 0xffff0000, v16
	s_waitcnt vmcnt(0)
	v_lshlrev_b32_e32 v18, 16, v18
	v_mul_f32_e32 v18, v8, v18
	v_bfe_u32 v21, v18, 16, 1
	v_add3_u32 v21, v21, v18, s44
	v_or_b32_e32 v22, 0x400000, v18
	v_cmp_u_f32_e32 vcc, v18, v18
	v_cndmask_b32_e32 v18, v21, v22, vcc
	buffer_load_dword v21, off, s[0:3], s32 offset:216 ; 4-byte Folded Reload
	v_and_b32_e32 v1, 0xffff0000, v18
	v_add_f32_e32 v1, v1, v12
	v_add_f32_e32 v0, v0, v1
	s_waitcnt vmcnt(0)
	v_lshlrev_b32_e32 v21, 16, v21
	v_mul_f32_e32 v21, v6, v21
	v_bfe_u32 v22, v21, 16, 1
	v_add3_u32 v22, v22, v21, s44
	v_or_b32_e32 v23, 0x400000, v21
	v_cmp_u_f32_e32 vcc, v21, v21
	v_cndmask_b32_e32 v21, v22, v23, vcc
	buffer_load_dword v22, off, s[0:3], s32 offset:204 ; 4-byte Folded Reload
	v_and_b32_e32 v12, 0xffff0000, v21
	s_waitcnt vmcnt(0)
	v_lshlrev_b32_e32 v22, 16, v22
	v_mul_f32_e32 v22, v9, v22
	v_bfe_u32 v23, v22, 16, 1
	v_add3_u32 v23, v23, v22, s44
	v_or_b32_e32 v26, 0x400000, v22
	v_cmp_u_f32_e32 vcc, v22, v22
	v_cndmask_b32_e32 v22, v23, v26, vcc
	v_and_b32_e32 v1, 0xffff0000, v22
	v_add_f32_e32 v1, v1, v12
	v_add_f32_e32 v0, v0, v1
	buffer_load_dword v1, off, s[0:3], s32 offset:596 ; 4-byte Folded Reload
	s_waitcnt vmcnt(0)
	v_add_f32_e32 v1, v1, v0
	buffer_load_dword v0, off, s[0:3], s32 offset:192 ; 4-byte Folded Reload
	s_waitcnt vmcnt(0)
	v_lshlrev_b32_e32 v0, 16, v0
	v_mul_f32_e32 v0, v2, v0
	buffer_store_dword v1, off, s[0:3], s32 offset:596 ; 4-byte Folded Spill
	v_bfe_u32 v1, v0, 16, 1
	v_add3_u32 v1, v1, v0, s44
	v_or_b32_e32 v12, 0x400000, v0
	v_cmp_u_f32_e32 vcc, v0, v0
	v_cndmask_b32_e32 v0, v1, v12, vcc
	buffer_load_dword v1, off, s[0:3], s32 offset:188 ; 4-byte Folded Reload
	v_and_b32_e32 v0, 0xffff0000, v0
	s_waitcnt vmcnt(0)
	v_lshlrev_b32_e32 v1, 16, v1
	v_mul_f32_e32 v1, v5, v1
	v_bfe_u32 v12, v1, 16, 1
	v_add3_u32 v12, v12, v1, s44
	v_or_b32_e32 v13, 0x400000, v1
	v_cmp_u_f32_e32 vcc, v1, v1
	v_cndmask_b32_e32 v1, v12, v13, vcc
	buffer_load_dword v12, off, s[0:3], s32 offset:180 ; 4-byte Folded Reload
	v_and_b32_e32 v1, 0xffff0000, v1
	v_add_f32_e32 v0, v1, v0
	s_waitcnt vmcnt(0)
	v_lshlrev_b32_e32 v12, 16, v12
	v_mul_f32_e32 v12, v3, v12
	v_bfe_u32 v13, v12, 16, 1
	v_add3_u32 v13, v13, v12, s44
	v_or_b32_e32 v16, 0x400000, v12
	v_cmp_u_f32_e32 vcc, v12, v12
	v_cndmask_b32_e32 v12, v13, v16, vcc
	buffer_load_dword v13, off, s[0:3], s32 offset:176 ; 4-byte Folded Reload
	v_and_b32_e32 v12, 0xffff0000, v12
	s_waitcnt vmcnt(0)
	v_lshlrev_b32_e32 v13, 16, v13
	v_mul_f32_e32 v13, v7, v13
	v_bfe_u32 v16, v13, 16, 1
	v_add3_u32 v16, v16, v13, s44
	v_or_b32_e32 v18, 0x400000, v13
	v_cmp_u_f32_e32 vcc, v13, v13
	v_cndmask_b32_e32 v13, v16, v18, vcc
	buffer_load_dword v16, off, s[0:3], s32 offset:168 ; 4-byte Folded Reload
	v_and_b32_e32 v1, 0xffff0000, v13
	v_add_f32_e32 v1, v1, v12
	v_add_f32_e32 v0, v0, v1
	s_waitcnt vmcnt(0)
	v_lshlrev_b32_e32 v16, 16, v16
	v_mul_f32_e32 v16, v4, v16
	v_bfe_u32 v18, v16, 16, 1
	v_add3_u32 v18, v18, v16, s44
	v_or_b32_e32 v21, 0x400000, v16
	v_cmp_u_f32_e32 vcc, v16, v16
	v_cndmask_b32_e32 v16, v18, v21, vcc
	buffer_load_dword v18, off, s[0:3], s32 offset:164 ; 4-byte Folded Reload
	v_and_b32_e32 v12, 0xffff0000, v16
	s_waitcnt vmcnt(0)
	v_lshlrev_b32_e32 v18, 16, v18
	v_mul_f32_e32 v18, v8, v18
	v_bfe_u32 v21, v18, 16, 1
	v_add3_u32 v21, v21, v18, s44
	v_or_b32_e32 v22, 0x400000, v18
	v_cmp_u_f32_e32 vcc, v18, v18
	v_cndmask_b32_e32 v18, v21, v22, vcc
	buffer_load_dword v21, off, s[0:3], s32 offset:184 ; 4-byte Folded Reload
	v_and_b32_e32 v1, 0xffff0000, v18
	v_add_f32_e32 v1, v1, v12
	v_add_f32_e32 v0, v0, v1
	s_waitcnt vmcnt(0)
	v_lshlrev_b32_e32 v21, 16, v21
	v_mul_f32_e32 v21, v6, v21
	v_bfe_u32 v22, v21, 16, 1
	v_add3_u32 v22, v22, v21, s44
	v_or_b32_e32 v23, 0x400000, v21
	v_cmp_u_f32_e32 vcc, v21, v21
	v_cndmask_b32_e32 v21, v22, v23, vcc
	buffer_load_dword v22, off, s[0:3], s32 offset:172 ; 4-byte Folded Reload
	v_and_b32_e32 v12, 0xffff0000, v21
	s_waitcnt vmcnt(0)
	v_lshlrev_b32_e32 v22, 16, v22
	v_mul_f32_e32 v22, v9, v22
	v_bfe_u32 v23, v22, 16, 1
	v_add3_u32 v23, v23, v22, s44
	v_or_b32_e32 v26, 0x400000, v22
	v_cmp_u_f32_e32 vcc, v22, v22
	v_cndmask_b32_e32 v22, v23, v26, vcc
	v_and_b32_e32 v1, 0xffff0000, v22
	v_add_f32_e32 v1, v1, v12
	v_add_f32_e32 v0, v0, v1
	buffer_load_dword v1, off, s[0:3], s32 offset:600 ; 4-byte Folded Reload
	s_waitcnt vmcnt(0)
	v_add_f32_e32 v1, v1, v0
	buffer_load_dword v0, off, s[0:3], s32 offset:156 ; 4-byte Folded Reload
	s_waitcnt vmcnt(0)
	v_lshlrev_b32_e32 v0, 16, v0
	v_mul_f32_e32 v0, v2, v0
	buffer_store_dword v1, off, s[0:3], s32 offset:600 ; 4-byte Folded Spill
	v_bfe_u32 v1, v0, 16, 1
	v_add3_u32 v1, v1, v0, s44
	v_or_b32_e32 v12, 0x400000, v0
	v_cmp_u_f32_e32 vcc, v0, v0
	v_cndmask_b32_e32 v0, v1, v12, vcc
	buffer_load_dword v1, off, s[0:3], s32 offset:160 ; 4-byte Folded Reload
	v_and_b32_e32 v0, 0xffff0000, v0
	s_waitcnt vmcnt(0)
	v_lshlrev_b32_e32 v1, 16, v1
	v_mul_f32_e32 v1, v5, v1
	v_bfe_u32 v12, v1, 16, 1
	v_add3_u32 v12, v12, v1, s44
	v_or_b32_e32 v13, 0x400000, v1
	v_cmp_u_f32_e32 vcc, v1, v1
	v_cndmask_b32_e32 v1, v12, v13, vcc
	buffer_load_dword v12, off, s[0:3], s32 offset:144 ; 4-byte Folded Reload
	v_and_b32_e32 v1, 0xffff0000, v1
	v_add_f32_e32 v0, v1, v0
	s_waitcnt vmcnt(0)
	v_lshlrev_b32_e32 v12, 16, v12
	v_mul_f32_e32 v12, v3, v12
	v_bfe_u32 v13, v12, 16, 1
	v_add3_u32 v13, v13, v12, s44
	v_or_b32_e32 v16, 0x400000, v12
	v_cmp_u_f32_e32 vcc, v12, v12
	v_cndmask_b32_e32 v12, v13, v16, vcc
	buffer_load_dword v13, off, s[0:3], s32 offset:148 ; 4-byte Folded Reload
	v_and_b32_e32 v12, 0xffff0000, v12
	s_waitcnt vmcnt(0)
	v_lshlrev_b32_e32 v13, 16, v13
	v_mul_f32_e32 v13, v7, v13
	v_bfe_u32 v16, v13, 16, 1
	v_add3_u32 v16, v16, v13, s44
	v_or_b32_e32 v18, 0x400000, v13
	v_cmp_u_f32_e32 vcc, v13, v13
	v_cndmask_b32_e32 v13, v16, v18, vcc
	buffer_load_dword v16, off, s[0:3], s32 offset:132 ; 4-byte Folded Reload
	v_and_b32_e32 v1, 0xffff0000, v13
	v_add_f32_e32 v1, v1, v12
	v_add_f32_e32 v0, v0, v1
	s_waitcnt vmcnt(0)
	v_lshlrev_b32_e32 v16, 16, v16
	v_mul_f32_e32 v16, v4, v16
	v_bfe_u32 v18, v16, 16, 1
	v_add3_u32 v18, v18, v16, s44
	v_or_b32_e32 v21, 0x400000, v16
	v_cmp_u_f32_e32 vcc, v16, v16
	v_cndmask_b32_e32 v16, v18, v21, vcc
	buffer_load_dword v18, off, s[0:3], s32 offset:136 ; 4-byte Folded Reload
	v_and_b32_e32 v12, 0xffff0000, v16
	s_waitcnt vmcnt(0)
	v_lshlrev_b32_e32 v18, 16, v18
	v_mul_f32_e32 v18, v8, v18
	v_bfe_u32 v21, v18, 16, 1
	v_add3_u32 v21, v21, v18, s44
	v_or_b32_e32 v22, 0x400000, v18
	v_cmp_u_f32_e32 vcc, v18, v18
	v_cndmask_b32_e32 v18, v21, v22, vcc
	buffer_load_dword v21, off, s[0:3], s32 offset:152 ; 4-byte Folded Reload
	v_and_b32_e32 v1, 0xffff0000, v18
	v_add_f32_e32 v1, v1, v12
	v_add_f32_e32 v0, v0, v1
	s_waitcnt vmcnt(0)
	v_lshlrev_b32_e32 v21, 16, v21
	v_mul_f32_e32 v21, v6, v21
	v_bfe_u32 v22, v21, 16, 1
	v_add3_u32 v22, v22, v21, s44
	v_or_b32_e32 v23, 0x400000, v21
	v_cmp_u_f32_e32 vcc, v21, v21
	v_cndmask_b32_e32 v21, v22, v23, vcc
	buffer_load_dword v22, off, s[0:3], s32 offset:140 ; 4-byte Folded Reload
	v_and_b32_e32 v12, 0xffff0000, v21
	s_waitcnt vmcnt(0)
	v_lshlrev_b32_e32 v22, 16, v22
	v_mul_f32_e32 v22, v9, v22
	v_bfe_u32 v23, v22, 16, 1
	v_add3_u32 v23, v23, v22, s44
	v_or_b32_e32 v26, 0x400000, v22
	v_cmp_u_f32_e32 vcc, v22, v22
	v_cndmask_b32_e32 v22, v23, v26, vcc
	v_and_b32_e32 v1, 0xffff0000, v22
	v_add_f32_e32 v1, v1, v12
	v_add_f32_e32 v0, v0, v1
	buffer_load_dword v1, off, s[0:3], s32 offset:604 ; 4-byte Folded Reload
	s_waitcnt vmcnt(0)
	v_add_f32_e32 v1, v1, v0
	buffer_load_dword v0, off, s[0:3], s32 offset:100 ; 4-byte Folded Reload
	s_waitcnt vmcnt(0)
	v_lshlrev_b32_e32 v0, 16, v0
	v_mul_f32_e32 v0, v2, v0
	buffer_store_dword v1, off, s[0:3], s32 offset:604 ; 4-byte Folded Spill
	v_bfe_u32 v1, v0, 16, 1
	v_add3_u32 v1, v1, v0, s44
	v_or_b32_e32 v12, 0x400000, v0
	v_cmp_u_f32_e32 vcc, v0, v0
	v_cndmask_b32_e32 v0, v1, v12, vcc
	buffer_load_dword v1, off, s[0:3], s32 offset:128 ; 4-byte Folded Reload
	v_and_b32_e32 v0, 0xffff0000, v0
	s_waitcnt vmcnt(0)
	v_lshlrev_b32_e32 v1, 16, v1
	v_mul_f32_e32 v1, v5, v1
	v_bfe_u32 v12, v1, 16, 1
	v_add3_u32 v12, v12, v1, s44
	v_or_b32_e32 v13, 0x400000, v1
	v_cmp_u_f32_e32 vcc, v1, v1
	v_cndmask_b32_e32 v1, v12, v13, vcc
	buffer_load_dword v12, off, s[0:3], s32 offset:72 ; 4-byte Folded Reload
	v_and_b32_e32 v1, 0xffff0000, v1
	v_add_f32_e32 v0, v1, v0
	s_waitcnt vmcnt(0)
	v_lshlrev_b32_e32 v12, 16, v12
	v_mul_f32_e32 v12, v3, v12
	v_bfe_u32 v13, v12, 16, 1
	v_add3_u32 v13, v13, v12, s44
	v_or_b32_e32 v16, 0x400000, v12
	v_cmp_u_f32_e32 vcc, v12, v12
	v_cndmask_b32_e32 v12, v13, v16, vcc
	buffer_load_dword v13, off, s[0:3], s32 offset:88 ; 4-byte Folded Reload
	v_and_b32_e32 v12, 0xffff0000, v12
	s_waitcnt vmcnt(0)
	v_lshlrev_b32_e32 v13, 16, v13
	v_mul_f32_e32 v13, v7, v13
	v_bfe_u32 v16, v13, 16, 1
	v_add3_u32 v16, v16, v13, s44
	v_or_b32_e32 v18, 0x400000, v13
	v_cmp_u_f32_e32 vcc, v13, v13
	v_cndmask_b32_e32 v13, v16, v18, vcc
	v_lshlrev_b32_e32 v16, 16, v44
	v_mul_f32_e32 v16, v4, v16
	v_bfe_u32 v18, v16, 16, 1
	v_add3_u32 v18, v18, v16, s44
	v_or_b32_e32 v21, 0x400000, v16
	v_cmp_u_f32_e32 vcc, v16, v16
	v_cndmask_b32_e32 v16, v18, v21, vcc
	buffer_load_dword v18, off, s[0:3], s32 offset:68 ; 4-byte Folded Reload
	v_and_b32_e32 v1, 0xffff0000, v13
	buffer_load_dword v13, off, s[0:3], s32 offset:620 ; 4-byte Folded Reload
	v_add_f32_e32 v1, v1, v12
	v_add_f32_e32 v0, v0, v1
	v_and_b32_e32 v12, 0xffff0000, v16
	s_waitcnt vmcnt(1)
	v_lshlrev_b32_e32 v18, 16, v18
	v_mul_f32_e32 v18, v8, v18
	v_bfe_u32 v21, v18, 16, 1
	v_add3_u32 v21, v21, v18, s44
	v_or_b32_e32 v22, 0x400000, v18
	v_cmp_u_f32_e32 vcc, v18, v18
	v_cndmask_b32_e32 v18, v21, v22, vcc
	buffer_load_dword v21, off, s[0:3], s32 offset:92 ; 4-byte Folded Reload
	v_and_b32_e32 v1, 0xffff0000, v18
	v_add_f32_e32 v1, v1, v12
	v_add_f32_e32 v0, v0, v1
	s_waitcnt vmcnt(0)
	v_lshlrev_b32_e32 v21, 16, v21
	v_mul_f32_e32 v21, v6, v21
	v_bfe_u32 v22, v21, 16, 1
	v_add3_u32 v22, v22, v21, s44
	v_or_b32_e32 v23, 0x400000, v21
	v_cmp_u_f32_e32 vcc, v21, v21
	v_cndmask_b32_e32 v21, v22, v23, vcc
	v_lshlrev_b32_e32 v22, 16, v45
	v_mul_f32_e32 v22, v9, v22
	v_bfe_u32 v23, v22, 16, 1
	v_add3_u32 v23, v23, v22, s44
	v_or_b32_e32 v26, 0x400000, v22
	v_cmp_u_f32_e32 vcc, v22, v22
	v_cndmask_b32_e32 v22, v23, v26, vcc
	v_and_b32_e32 v1, 0xffff0000, v22
	v_and_b32_e32 v12, 0xffff0000, v21
	v_add_f32_e32 v1, v1, v12
	v_add_f32_e32 v0, v0, v1
	;; [unrolled: 1-line block ×3, first 2 shown]
	v_lshlrev_b32_e32 v0, 16, v31
	v_mul_f32_e32 v0, v5, v0
	v_bfe_u32 v1, v0, 16, 1
	v_add3_u32 v1, v1, v0, s44
	v_or_b32_e32 v5, 0x400000, v0
	v_cmp_u_f32_e32 vcc, v0, v0
	v_cndmask_b32_e32 v0, v1, v5, vcc
	v_lshlrev_b32_e32 v1, 16, v30
	v_mul_f32_e32 v1, v2, v1
	v_bfe_u32 v2, v1, 16, 1
	v_add3_u32 v2, v2, v1, s44
	v_or_b32_e32 v5, 0x400000, v1
	v_cmp_u_f32_e32 vcc, v1, v1
	v_cndmask_b32_e32 v1, v2, v5, vcc
	;; [unrolled: 7-line block ×7, first 2 shown]
	v_lshlrev_b32_e32 v8, 16, v24
	v_and_b32_e32 v1, 0xffff0000, v1
	v_and_b32_e32 v0, 0xffff0000, v0
	v_mul_f32_e32 v6, v6, v8
	v_add_f32_e32 v0, v0, v1
	v_and_b32_e32 v1, 0xffff0000, v3
	v_and_b32_e32 v2, 0xffff0000, v2
	v_bfe_u32 v8, v6, 16, 1
	v_add_f32_e32 v1, v2, v1
	v_add3_u32 v8, v8, v6, s44
	v_or_b32_e32 v9, 0x400000, v6
	v_cmp_u_f32_e32 vcc, v6, v6
	v_add_f32_e32 v0, v0, v1
	v_and_b32_e32 v1, 0xffff0000, v4
	v_and_b32_e32 v2, 0xffff0000, v5
	v_cndmask_b32_e32 v6, v8, v9, vcc
	v_add_f32_e32 v1, v2, v1
	v_add_f32_e32 v0, v0, v1
	v_and_b32_e32 v1, 0xffff0000, v6
	v_and_b32_e32 v2, 0xffff0000, v7
	v_add_f32_e32 v1, v2, v1
	v_add_f32_e32 v0, v0, v1
	buffer_load_dword v1, off, s[0:3], s32 offset:552 ; 4-byte Folded Reload
	s_waitcnt vmcnt(0)
	v_add_f32_e32 v1, v1, v0
	buffer_store_dword v1, off, s[0:3], s32 offset:552 ; 4-byte Folded Spill
.LBB318_808:                            ;   in Loop: Header=BB318_809 Depth=1
	s_or_b64 exec, exec, s[24:25]
	buffer_load_dword v1, off, s[0:3], s32 offset:76 ; 4-byte Folded Reload
	buffer_load_dword v4, off, s[0:3], s32 offset:84 ; 4-byte Folded Reload
	;; [unrolled: 1-line block ×3, first 2 shown]
	v_add_u32_e32 v57, 0x100, v57
	s_waitcnt vmcnt(2)
	v_add_u32_e32 v1, 2, v1
	s_waitcnt vmcnt(1)
	v_add_u32_e32 v4, 64, v4
	s_waitcnt vmcnt(0)
	v_cmp_ge_i32_e32 vcc, v1, v0
	s_or_b64 s[22:23], vcc, s[22:23]
	v_add_co_u32_e32 v10, vcc, 8, v10
	v_addc_co_u32_e32 v11, vcc, 0, v11, vcc
	buffer_store_dword v1, off, s[0:3], s32 offset:76 ; 4-byte Folded Spill
	s_andn2_b64 exec, exec, s[22:23]
	s_cbranch_execz .LBB318_1610
.LBB318_809:                            ; =>This Inner Loop Header: Depth=1
	buffer_load_dword v0, off, s[0:3], s32 offset:120 ; 4-byte Folded Reload
	buffer_load_dword v3, off, s[0:3], s32 offset:112 ; 4-byte Folded Reload
	s_waitcnt vmcnt(1)
	v_mul_hi_u32 v0, v4, v0
	buffer_store_dword v4, off, s[0:3], s32 offset:84 ; 4-byte Folded Spill
	s_waitcnt vmcnt(1)
	v_mul_lo_u32 v1, v0, v3
	v_add_u32_e32 v2, 1, v0
	v_sub_u32_e32 v1, v4, v1
	v_cmp_ge_u32_e32 vcc, v1, v3
	v_cndmask_b32_e32 v0, v0, v2, vcc
	v_sub_u32_e32 v2, v1, v3
	v_cndmask_b32_e32 v1, v1, v2, vcc
	v_cmp_ge_u32_e32 vcc, v1, v3
	buffer_load_dword v1, off, s[0:3], s32 offset:116 ; 4-byte Folded Reload
	v_add_u32_e32 v2, 1, v0
	v_cndmask_b32_e32 v0, v0, v2, vcc
	s_waitcnt vmcnt(0)
	v_xor_b32_e32 v0, v0, v1
	v_sub_u32_e32 v0, v0, v1
	buffer_load_dword v1, off, s[0:3], s32 offset:104 ; 4-byte Folded Reload
	buffer_load_dword v2, off, s[0:3], s32 offset:108 ; 4-byte Folded Reload
	buffer_load_dword v3, off, s[0:3], s32 offset:612 ; 4-byte Folded Reload
	buffer_load_dword v4, off, s[0:3], s32 offset:608 ; 4-byte Folded Reload
	s_waitcnt vmcnt(3)
	v_add_u32_e32 v1, v0, v1
	s_waitcnt vmcnt(2)
	v_sub_u32_e32 v2, 0, v1
	v_max_i32_e32 v2, v1, v2
	s_waitcnt vmcnt(1)
	v_mul_hi_u32 v3, v2, v3
	v_ashrrev_i32_e32 v1, 31, v1
	s_waitcnt vmcnt(0)
	v_mul_lo_u32 v3, v3, v4
	v_sub_u32_e32 v2, v2, v3
	v_sub_u32_e32 v3, v2, v4
	v_cmp_ge_u32_e32 vcc, v2, v4
	v_cndmask_b32_e32 v2, v2, v3, vcc
	v_sub_u32_e32 v3, v2, v4
	v_cmp_ge_u32_e32 vcc, v2, v4
	v_cndmask_b32_e32 v2, v2, v3, vcc
	v_xor_b32_e32 v2, v2, v1
	v_sub_u32_e32 v1, v2, v1
	v_cmp_eq_u32_e32 vcc, 0, v1
	buffer_load_dword v1, off, s[0:3], s32 offset:124 ; 4-byte Folded Reload
	s_waitcnt vmcnt(0)
	v_cmp_gt_i32_e64 s[6:7], v0, v1
	s_or_b64 s[6:7], vcc, s[6:7]
	s_and_saveexec_b64 s[24:25], s[6:7]
	s_cbranch_execz .LBB318_808
; %bb.810:                              ;   in Loop: Header=BB318_809 Depth=1
	buffer_store_dword v13, off, s[0:3], s32 offset:620 ; 4-byte Folded Spill
	buffer_store_dword v27, off, s[0:3], s32 offset:616 ; 4-byte Folded Spill
	flat_load_dword v0, v[10:11]
	buffer_load_dword v1, off, s[0:3], s32 offset:556 ; 4-byte Folded Reload
	buffer_load_dword v2, off, s[0:3], s32 offset:636 ; 4-byte Folded Reload
	;; [unrolled: 1-line block ×3, first 2 shown]
	s_waitcnt vmcnt(0) lgkmcnt(0)
	v_mad_i64_i32 v[19:20], s[6:7], v0, v1, v[2:3]
	buffer_load_dword v0, off, s[0:3], s32 offset:644 ; 4-byte Folded Reload
	s_waitcnt vmcnt(0)
	v_add_co_u32_e32 v24, vcc, v19, v0
	v_addc_co_u32_e32 v25, vcc, 0, v20, vcc
	flat_load_dwordx2 v[26:27], v[24:25]
	buffer_load_dword v0, off, s[0:3], s32 offset:788 ; 4-byte Folded Reload
	buffer_load_dword v1, off, s[0:3], s32 offset:792 ; 4-byte Folded Reload
	s_load_dword s6, s[12:13], 0x0
	s_waitcnt vmcnt(0) lgkmcnt(0)
	v_cmp_ne_u16_sdwa s[26:27], v26, v15 src0_sel:BYTE_0 src1_sel:DWORD
	flat_load_dword v46, v[0:1]
	v_add_u32_e32 v0, s6, v57
	ds_read2_b64 v[6:9], v0 offset1:1
	ds_read2_b64 v[2:5], v0 offset0:2 offset1:3
	v_mov_b32_e32 v1, 0
	v_mov_b32_e32 v0, 0
	s_and_saveexec_b64 s[6:7], s[26:27]
	s_cbranch_execz .LBB318_816
; %bb.811:                              ;   in Loop: Header=BB318_809 Depth=1
	v_cmp_ne_u16_sdwa s[28:29], v26, s42 src0_sel:BYTE_0 src1_sel:DWORD
	v_bfrev_b32_e32 v0, 1
	s_and_saveexec_b64 s[26:27], s[28:29]
	s_cbranch_execz .LBB318_815
; %bb.812:                              ;   in Loop: Header=BB318_809 Depth=1
	v_and_b32_e32 v12, 0x7f, v26
	v_cmp_ne_u32_e32 vcc, s43, v12
	v_mov_b32_e32 v0, 0x7f800001
	s_and_saveexec_b64 s[28:29], vcc
	s_cbranch_execz .LBB318_814
; %bb.813:                              ;   in Loop: Header=BB318_809 Depth=1
	v_and_b32_e32 v0, 7, v26
	v_ffbh_u32_e32 v0, v0
	v_min_u32_e32 v0, 32, v0
	v_lshrrev_b32_e32 v13, 3, v12
	v_cmp_gt_u32_e32 vcc, 8, v12
	v_subrev_u32_e32 v12, 28, v0
	v_sub_u32_e32 v0, 29, v0
	v_cndmask_b32_e32 v12, 0, v12, vcc
	v_cndmask_b32_e32 v0, v13, v0, vcc
	v_lshlrev_b64 v[12:13], v12, v[26:27]
	v_lshlrev_b32_e32 v13, 24, v26
	v_lshlrev_b32_e32 v12, 20, v12
	v_bfrev_b32_e32 v14, 60
	v_and_b32_e32 v12, 0x700000, v12
	v_and_b32_e32 v13, 0x80000000, v13
	v_lshl_add_u32 v0, v0, 23, v14
	v_or3_b32 v0, v13, v0, v12
.LBB318_814:                            ;   in Loop: Header=BB318_809 Depth=1
	s_or_b64 exec, exec, s[28:29]
.LBB318_815:                            ;   in Loop: Header=BB318_809 Depth=1
	s_or_b64 exec, exec, s[26:27]
.LBB318_816:                            ;   in Loop: Header=BB318_809 Depth=1
	s_or_b64 exec, exec, s[6:7]
	v_lshrrev_b16_e32 v14, 8, v26
	v_cmp_ne_u16_e32 vcc, 0, v14
	s_and_saveexec_b64 s[6:7], vcc
	s_cbranch_execz .LBB318_822
; %bb.817:                              ;   in Loop: Header=BB318_809 Depth=1
	v_cmp_ne_u16_e32 vcc, s42, v14
	v_bfrev_b32_e32 v1, 1
	s_and_saveexec_b64 s[26:27], vcc
	s_cbranch_execz .LBB318_821
; %bb.818:                              ;   in Loop: Header=BB318_809 Depth=1
	v_and_b32_e32 v12, 0x7f, v14
	v_cmp_ne_u32_e32 vcc, s43, v12
	v_mov_b32_e32 v1, 0x7f800001
	s_and_saveexec_b64 s[28:29], vcc
	s_cbranch_execz .LBB318_820
; %bb.819:                              ;   in Loop: Header=BB318_809 Depth=1
	v_and_b32_e32 v1, 7, v14
	v_lshrrev_b32_e32 v16, 3, v12
	v_cmp_gt_u32_e32 vcc, 8, v12
	v_ffbh_u32_e32 v12, v1
	v_min_u32_e32 v17, 32, v12
	v_subrev_u32_e32 v12, 28, v17
	v_lshlrev_b64 v[12:13], v12, v[14:15]
	v_sub_u32_e32 v13, 29, v17
	v_and_b32_e32 v12, 7, v12
	v_cndmask_b32_e32 v13, v16, v13, vcc
	v_cndmask_b32_e32 v1, v1, v12, vcc
	v_lshlrev_b32_e32 v12, 16, v26
	v_bfrev_b32_e32 v14, 60
	v_lshlrev_b32_e32 v1, 20, v1
	v_and_b32_e32 v12, 0x80000000, v12
	v_lshl_add_u32 v13, v13, 23, v14
	v_or3_b32 v1, v12, v13, v1
.LBB318_820:                            ;   in Loop: Header=BB318_809 Depth=1
	s_or_b64 exec, exec, s[28:29]
.LBB318_821:                            ;   in Loop: Header=BB318_809 Depth=1
	s_or_b64 exec, exec, s[26:27]
.LBB318_822:                            ;   in Loop: Header=BB318_809 Depth=1
	s_or_b64 exec, exec, s[6:7]
	v_lshrrev_b32_e32 v14, 16, v26
	v_cmp_ne_u16_sdwa s[26:27], v14, v15 src0_sel:BYTE_0 src1_sel:DWORD
	v_mov_b32_e32 v13, 0
	v_mov_b32_e32 v12, 0
	s_and_saveexec_b64 s[6:7], s[26:27]
	s_cbranch_execz .LBB318_828
; %bb.823:                              ;   in Loop: Header=BB318_809 Depth=1
	v_cmp_ne_u16_sdwa s[28:29], v14, s42 src0_sel:BYTE_0 src1_sel:DWORD
	v_bfrev_b32_e32 v12, 1
	s_and_saveexec_b64 s[26:27], s[28:29]
	s_cbranch_execz .LBB318_827
; %bb.824:                              ;   in Loop: Header=BB318_809 Depth=1
	v_bfe_u32 v16, v26, 16, 7
	v_cmp_ne_u32_e32 vcc, s43, v16
	v_mov_b32_e32 v12, 0x7f800001
	s_and_saveexec_b64 s[28:29], vcc
	s_cbranch_execz .LBB318_826
; %bb.825:                              ;   in Loop: Header=BB318_809 Depth=1
	v_and_b32_e32 v12, 7, v14
	v_lshrrev_b32_e32 v18, 3, v16
	v_cmp_gt_u32_e32 vcc, 8, v16
	v_ffbh_u32_e32 v16, v12
	v_min_u32_e32 v21, 32, v16
	v_subrev_u32_e32 v16, 28, v21
	v_lshlrev_b64 v[16:17], v16, v[14:15]
	v_sub_u32_e32 v17, 29, v21
	v_and_b32_e32 v16, 7, v16
	v_cndmask_b32_e32 v17, v18, v17, vcc
	v_cndmask_b32_e32 v12, v12, v16, vcc
	v_lshlrev_b32_e32 v14, 24, v14
	v_bfrev_b32_e32 v16, 60
	v_lshlrev_b32_e32 v12, 20, v12
	v_and_b32_e32 v14, 0x80000000, v14
	v_lshl_add_u32 v16, v17, 23, v16
	v_or3_b32 v12, v14, v16, v12
.LBB318_826:                            ;   in Loop: Header=BB318_809 Depth=1
	s_or_b64 exec, exec, s[28:29]
.LBB318_827:                            ;   in Loop: Header=BB318_809 Depth=1
	s_or_b64 exec, exec, s[26:27]
.LBB318_828:                            ;   in Loop: Header=BB318_809 Depth=1
	s_or_b64 exec, exec, s[6:7]
	v_cmp_lt_u32_e32 vcc, s11, v26
	s_and_saveexec_b64 s[6:7], vcc
	s_cbranch_execz .LBB318_834
; %bb.829:                              ;   in Loop: Header=BB318_809 Depth=1
	v_lshrrev_b32_e32 v14, 24, v26
	v_cmp_ne_u32_e32 vcc, s42, v14
	v_bfrev_b32_e32 v13, 1
	s_and_saveexec_b64 s[26:27], vcc
	s_cbranch_execz .LBB318_833
; %bb.830:                              ;   in Loop: Header=BB318_809 Depth=1
	v_bfe_u32 v16, v26, 24, 7
	v_cmp_ne_u32_e32 vcc, s43, v16
	v_mov_b32_e32 v13, 0x7f800001
	s_and_saveexec_b64 s[28:29], vcc
	s_cbranch_execz .LBB318_832
; %bb.831:                              ;   in Loop: Header=BB318_809 Depth=1
	v_and_b32_e32 v13, 7, v14
	v_lshrrev_b32_e32 v18, 3, v16
	v_cmp_gt_u32_e32 vcc, 8, v16
	v_ffbh_u32_e32 v16, v13
	v_min_u32_e32 v21, 32, v16
	v_subrev_u32_e32 v16, 28, v21
	v_lshlrev_b64 v[16:17], v16, v[14:15]
	v_sub_u32_e32 v17, 29, v21
	v_and_b32_e32 v16, 7, v16
	v_cndmask_b32_e32 v17, v18, v17, vcc
	v_cndmask_b32_e32 v13, v13, v16, vcc
	v_lshlrev_b32_e32 v14, 24, v14
	v_bfrev_b32_e32 v16, 60
	v_lshlrev_b32_e32 v13, 20, v13
	v_and_b32_e32 v14, 0x80000000, v14
	v_lshl_add_u32 v16, v17, 23, v16
	v_or3_b32 v13, v14, v16, v13
.LBB318_832:                            ;   in Loop: Header=BB318_809 Depth=1
	s_or_b64 exec, exec, s[28:29]
.LBB318_833:                            ;   in Loop: Header=BB318_809 Depth=1
	s_or_b64 exec, exec, s[26:27]
.LBB318_834:                            ;   in Loop: Header=BB318_809 Depth=1
	s_or_b64 exec, exec, s[6:7]
	v_mov_b32_e32 v14, v27
	v_cmp_ne_u16_sdwa s[26:27], v27, v15 src0_sel:BYTE_0 src1_sel:DWORD
	v_mov_b32_e32 v18, 0
	v_mov_b32_e32 v16, 0
	s_and_saveexec_b64 s[6:7], s[26:27]
	s_cbranch_execz .LBB318_840
; %bb.835:                              ;   in Loop: Header=BB318_809 Depth=1
	v_cmp_ne_u16_sdwa s[28:29], v27, s42 src0_sel:BYTE_0 src1_sel:DWORD
	v_bfrev_b32_e32 v16, 1
	s_and_saveexec_b64 s[26:27], s[28:29]
	s_cbranch_execz .LBB318_839
; %bb.836:                              ;   in Loop: Header=BB318_809 Depth=1
	v_and_b32_e32 v17, 0x7f, v27
	v_cmp_ne_u32_e32 vcc, s43, v17
	v_mov_b32_e32 v16, 0x7f800001
	s_and_saveexec_b64 s[28:29], vcc
	s_cbranch_execz .LBB318_838
; %bb.837:                              ;   in Loop: Header=BB318_809 Depth=1
	v_and_b32_e32 v16, 7, v27
	v_ffbh_u32_e32 v16, v16
	v_min_u32_e32 v16, 32, v16
	v_lshrrev_b32_e32 v21, 3, v17
	v_cmp_gt_u32_e32 vcc, 8, v17
	v_subrev_u32_e32 v17, 28, v16
	v_sub_u32_e32 v16, 29, v16
	v_cndmask_b32_e32 v21, v21, v16, vcc
	v_cndmask_b32_e32 v16, 0, v17, vcc
	v_lshlrev_b64 v[16:17], v16, v[14:15]
	v_lshlrev_b32_e32 v17, 24, v14
	v_lshlrev_b32_e32 v16, 20, v16
	v_bfrev_b32_e32 v22, 60
	v_and_b32_e32 v16, 0x700000, v16
	v_and_b32_e32 v17, 0x80000000, v17
	v_lshl_add_u32 v21, v21, 23, v22
	v_or3_b32 v16, v17, v21, v16
.LBB318_838:                            ;   in Loop: Header=BB318_809 Depth=1
	s_or_b64 exec, exec, s[28:29]
.LBB318_839:                            ;   in Loop: Header=BB318_809 Depth=1
	s_or_b64 exec, exec, s[26:27]
.LBB318_840:                            ;   in Loop: Header=BB318_809 Depth=1
	s_or_b64 exec, exec, s[6:7]
	v_lshrrev_b16_e32 v17, 8, v14
	v_cmp_ne_u16_e32 vcc, 0, v17
	s_and_saveexec_b64 s[6:7], vcc
	s_cbranch_execz .LBB318_846
; %bb.841:                              ;   in Loop: Header=BB318_809 Depth=1
	v_cmp_ne_u16_e32 vcc, s42, v17
	v_bfrev_b32_e32 v18, 1
	s_and_saveexec_b64 s[26:27], vcc
	s_cbranch_execz .LBB318_845
; %bb.842:                              ;   in Loop: Header=BB318_809 Depth=1
	v_and_b32_e32 v21, 0x7f, v17
	v_cmp_ne_u32_e32 vcc, s43, v21
	v_mov_b32_e32 v18, 0x7f800001
	s_and_saveexec_b64 s[28:29], vcc
	s_cbranch_execz .LBB318_844
; %bb.843:                              ;   in Loop: Header=BB318_809 Depth=1
	v_and_b32_e32 v22, 7, v17
	v_ffbh_u32_e32 v18, v22
	v_lshrrev_b32_e32 v23, 3, v21
	v_cmp_gt_u32_e32 vcc, 8, v21
	v_min_u32_e32 v21, 32, v18
	v_subrev_u32_e32 v18, 28, v21
	v_lshlrev_b64 v[17:18], v18, v[17:18]
	v_sub_u32_e32 v18, 29, v21
	v_and_b32_e32 v17, 7, v17
	v_cndmask_b32_e32 v18, v23, v18, vcc
	v_cndmask_b32_e32 v17, v22, v17, vcc
	v_lshlrev_b32_e32 v14, 16, v14
	v_bfrev_b32_e32 v21, 60
	v_lshlrev_b32_e32 v17, 20, v17
	v_and_b32_e32 v14, 0x80000000, v14
	v_lshl_add_u32 v18, v18, 23, v21
	v_or3_b32 v18, v14, v18, v17
.LBB318_844:                            ;   in Loop: Header=BB318_809 Depth=1
	s_or_b64 exec, exec, s[28:29]
.LBB318_845:                            ;   in Loop: Header=BB318_809 Depth=1
	s_or_b64 exec, exec, s[26:27]
.LBB318_846:                            ;   in Loop: Header=BB318_809 Depth=1
	s_or_b64 exec, exec, s[6:7]
	v_lshrrev_b32_e32 v14, 16, v27
	v_cmp_ne_u16_sdwa s[26:27], v14, v15 src0_sel:BYTE_0 src1_sel:DWORD
	v_mov_b32_e32 v17, 0
	v_mov_b32_e32 v21, 0
	s_and_saveexec_b64 s[6:7], s[26:27]
	s_cbranch_execz .LBB318_852
; %bb.847:                              ;   in Loop: Header=BB318_809 Depth=1
	v_cmp_ne_u16_sdwa s[28:29], v14, s42 src0_sel:BYTE_0 src1_sel:DWORD
	v_bfrev_b32_e32 v21, 1
	s_and_saveexec_b64 s[26:27], s[28:29]
	s_cbranch_execz .LBB318_851
; %bb.848:                              ;   in Loop: Header=BB318_809 Depth=1
	v_bfe_u32 v22, v27, 16, 7
	v_cmp_ne_u32_e32 vcc, s43, v22
	v_mov_b32_e32 v21, 0x7f800001
	s_and_saveexec_b64 s[28:29], vcc
	s_cbranch_execz .LBB318_850
; %bb.849:                              ;   in Loop: Header=BB318_809 Depth=1
	v_and_b32_e32 v23, 7, v14
	v_ffbh_u32_e32 v21, v23
	v_min_u32_e32 v29, 32, v21
	v_subrev_u32_e32 v21, 28, v29
	v_lshrrev_b32_e32 v28, 3, v22
	v_cmp_gt_u32_e32 vcc, 8, v22
	v_lshlrev_b64 v[21:22], v21, v[14:15]
	v_sub_u32_e32 v22, 29, v29
	v_and_b32_e32 v21, 7, v21
	v_cndmask_b32_e32 v22, v28, v22, vcc
	v_cndmask_b32_e32 v21, v23, v21, vcc
	v_lshlrev_b32_e32 v14, 24, v14
	v_bfrev_b32_e32 v23, 60
	v_lshlrev_b32_e32 v21, 20, v21
	v_and_b32_e32 v14, 0x80000000, v14
	v_lshl_add_u32 v22, v22, 23, v23
	v_or3_b32 v21, v14, v22, v21
.LBB318_850:                            ;   in Loop: Header=BB318_809 Depth=1
	s_or_b64 exec, exec, s[28:29]
.LBB318_851:                            ;   in Loop: Header=BB318_809 Depth=1
	s_or_b64 exec, exec, s[26:27]
.LBB318_852:                            ;   in Loop: Header=BB318_809 Depth=1
	s_or_b64 exec, exec, s[6:7]
	v_cmp_lt_u64_e32 vcc, s[10:11], v[26:27]
	s_and_saveexec_b64 s[6:7], vcc
	s_cbranch_execz .LBB318_858
; %bb.853:                              ;   in Loop: Header=BB318_809 Depth=1
	v_lshrrev_b32_e32 v14, 24, v27
	v_cmp_ne_u32_e32 vcc, s42, v14
	v_bfrev_b32_e32 v17, 1
	s_and_saveexec_b64 s[26:27], vcc
	s_cbranch_execz .LBB318_857
; %bb.854:                              ;   in Loop: Header=BB318_809 Depth=1
	v_bfe_u32 v22, v27, 24, 7
	v_cmp_ne_u32_e32 vcc, s43, v22
	v_mov_b32_e32 v17, 0x7f800001
	s_and_saveexec_b64 s[28:29], vcc
	s_cbranch_execz .LBB318_856
; %bb.855:                              ;   in Loop: Header=BB318_809 Depth=1
	v_and_b32_e32 v17, 7, v14
	v_lshrrev_b32_e32 v26, 3, v22
	v_cmp_gt_u32_e32 vcc, 8, v22
	v_ffbh_u32_e32 v22, v17
	v_min_u32_e32 v27, 32, v22
	v_subrev_u32_e32 v22, 28, v27
	v_lshlrev_b64 v[22:23], v22, v[14:15]
	v_sub_u32_e32 v23, 29, v27
	v_and_b32_e32 v22, 7, v22
	v_cndmask_b32_e32 v23, v26, v23, vcc
	v_cndmask_b32_e32 v17, v17, v22, vcc
	v_lshlrev_b32_e32 v14, 24, v14
	v_bfrev_b32_e32 v22, 60
	v_lshlrev_b32_e32 v17, 20, v17
	v_and_b32_e32 v14, 0x80000000, v14
	v_lshl_add_u32 v22, v23, 23, v22
	v_or3_b32 v17, v14, v22, v17
.LBB318_856:                            ;   in Loop: Header=BB318_809 Depth=1
	s_or_b64 exec, exec, s[28:29]
.LBB318_857:                            ;   in Loop: Header=BB318_809 Depth=1
	s_or_b64 exec, exec, s[26:27]
.LBB318_858:                            ;   in Loop: Header=BB318_809 Depth=1
	s_or_b64 exec, exec, s[6:7]
	buffer_load_dword v14, off, s[0:3], s32 offset:84 ; 4-byte Folded Reload
	buffer_load_dword v22, off, s[0:3], s32 offset:632 ; 4-byte Folded Reload
	s_waitcnt vmcnt(0) lgkmcnt(0)
	v_mul_f32_e32 v13, v46, v13
	v_mul_f32_e32 v12, v46, v12
	;; [unrolled: 1-line block ×4, first 2 shown]
	v_add_u32_e32 v36, v22, v14
	buffer_load_dword v14, off, s[0:3], s32 offset:80 ; 4-byte Folded Reload
	buffer_load_dword v22, off, s[0:3], s32 offset:76 ; 4-byte Folded Reload
	v_add_u32_e32 v23, 1, v36
	v_add_u32_e32 v35, 2, v36
	;; [unrolled: 1-line block ×7, first 2 shown]
	s_waitcnt vmcnt(1)
	v_add_u32_e32 v14, -1, v14
	s_waitcnt vmcnt(0)
	v_cmp_eq_u32_e64 s[6:7], v14, v22
	v_mul_f32_e32 v14, v46, v18
	v_bfe_u32 v18, v14, 16, 1
	v_add3_u32 v18, v18, v14, s44
	v_or_b32_e32 v22, 0x400000, v14
	v_cmp_u_f32_e32 vcc, v14, v14
	v_cndmask_b32_e32 v14, v18, v22, vcc
	v_lshrrev_b32_e32 v44, 16, v14
	v_mul_f32_e32 v14, v46, v16
	v_bfe_u32 v16, v14, 16, 1
	v_add3_u32 v16, v16, v14, s44
	v_or_b32_e32 v18, 0x400000, v14
	v_cmp_u_f32_e32 vcc, v14, v14
	v_cndmask_b32_e32 v14, v16, v18, vcc
	v_lshrrev_b32_e32 v14, 16, v14
	buffer_store_dword v14, off, s[0:3], s32 offset:68 ; 4-byte Folded Spill
	v_bfe_u32 v14, v13, 16, 1
	v_add3_u32 v14, v14, v13, s44
	v_or_b32_e32 v16, 0x400000, v13
	v_cmp_u_f32_e32 vcc, v13, v13
	v_cndmask_b32_e32 v13, v14, v16, vcc
	v_lshrrev_b32_e32 v13, 16, v13
	buffer_store_dword v13, off, s[0:3], s32 offset:72 ; 4-byte Folded Spill
	;; [unrolled: 7-line block ×5, first 2 shown]
	v_mul_f32_e32 v0, v46, v21
	v_bfe_u32 v1, v0, 16, 1
	v_add3_u32 v1, v1, v0, s44
	v_or_b32_e32 v12, 0x400000, v0
	v_cmp_u_f32_e32 vcc, v0, v0
	v_cndmask_b32_e32 v0, v1, v12, vcc
	v_lshrrev_b32_e32 v37, 16, v0
	v_mul_f32_e32 v0, v46, v17
	v_bfe_u32 v1, v0, 16, 1
	v_add3_u32 v1, v1, v0, s44
	v_or_b32_e32 v12, 0x400000, v0
	v_cmp_u_f32_e32 vcc, v0, v0
	v_cndmask_b32_e32 v0, v1, v12, vcc
	v_lshrrev_b32_e32 v0, 16, v0
	buffer_store_dword v0, off, s[0:3], s32 offset:92 ; 4-byte Folded Spill
	s_and_saveexec_b64 s[26:27], s[6:7]
	s_cbranch_execz .LBB318_860
; %bb.859:                              ;   in Loop: Header=BB318_809 Depth=1
	buffer_load_dword v0, off, s[0:3], s32 offset:64 ; 4-byte Folded Reload
	buffer_load_dword v1, off, s[0:3], s32 offset:128 ; 4-byte Folded Reload
	s_waitcnt vmcnt(1)
	v_cmp_lt_i32_e32 vcc, v36, v0
	s_waitcnt vmcnt(0)
	v_cndmask_b32_e32 v1, 0, v1, vcc
	buffer_store_dword v1, off, s[0:3], s32 offset:128 ; 4-byte Folded Spill
	buffer_load_dword v1, off, s[0:3], s32 offset:100 ; 4-byte Folded Reload
	v_cmp_lt_i32_e32 vcc, v23, v0
	s_waitcnt vmcnt(0)
	v_cndmask_b32_e32 v1, 0, v1, vcc
	buffer_store_dword v1, off, s[0:3], s32 offset:100 ; 4-byte Folded Spill
	buffer_load_dword v1, off, s[0:3], s32 offset:88 ; 4-byte Folded Reload
	v_cmp_lt_i32_e32 vcc, v35, v0
	s_waitcnt vmcnt(0)
	v_cndmask_b32_e32 v1, 0, v1, vcc
	buffer_store_dword v1, off, s[0:3], s32 offset:88 ; 4-byte Folded Spill
	buffer_load_dword v1, off, s[0:3], s32 offset:72 ; 4-byte Folded Reload
	v_cmp_lt_i32_e32 vcc, v29, v0
	s_waitcnt vmcnt(0)
	v_cndmask_b32_e32 v1, 0, v1, vcc
	buffer_store_dword v1, off, s[0:3], s32 offset:72 ; 4-byte Folded Spill
	buffer_load_dword v1, off, s[0:3], s32 offset:68 ; 4-byte Folded Reload
	v_cmp_lt_i32_e32 vcc, v63, v0
	s_waitcnt vmcnt(0)
	v_cndmask_b32_e32 v1, 0, v1, vcc
	v_cmp_lt_i32_e32 vcc, v48, v0
	v_cndmask_b32_e32 v44, 0, v44, vcc
	v_cmp_lt_i32_e32 vcc, v39, v0
	;; [unrolled: 2-line block ×3, first 2 shown]
	buffer_load_dword v0, off, s[0:3], s32 offset:92 ; 4-byte Folded Reload
	s_waitcnt vmcnt(0)
	v_cndmask_b32_e32 v0, 0, v0, vcc
	buffer_store_dword v1, off, s[0:3], s32 offset:68 ; 4-byte Folded Spill
	buffer_store_dword v0, off, s[0:3], s32 offset:92 ; 4-byte Folded Spill
.LBB318_860:                            ;   in Loop: Header=BB318_809 Depth=1
	s_or_b64 exec, exec, s[26:27]
	flat_load_dwordx2 v[26:27], v[24:25] offset:512
	v_mov_b32_e32 v1, 0
	v_mov_b32_e32 v0, 0
	s_waitcnt vmcnt(0) lgkmcnt(0)
	v_cmp_ne_u16_sdwa s[28:29], v26, v15 src0_sel:BYTE_0 src1_sel:DWORD
	s_and_saveexec_b64 s[26:27], s[28:29]
	s_cbranch_execz .LBB318_866
; %bb.861:                              ;   in Loop: Header=BB318_809 Depth=1
	v_cmp_ne_u16_sdwa s[40:41], v26, s42 src0_sel:BYTE_0 src1_sel:DWORD
	v_bfrev_b32_e32 v0, 1
	s_and_saveexec_b64 s[28:29], s[40:41]
	s_cbranch_execz .LBB318_865
; %bb.862:                              ;   in Loop: Header=BB318_809 Depth=1
	v_and_b32_e32 v12, 0x7f, v26
	v_cmp_ne_u32_e32 vcc, s43, v12
	v_mov_b32_e32 v0, 0x7f800001
	s_and_saveexec_b64 s[40:41], vcc
	s_cbranch_execz .LBB318_864
; %bb.863:                              ;   in Loop: Header=BB318_809 Depth=1
	v_and_b32_e32 v0, 7, v26
	v_ffbh_u32_e32 v0, v0
	v_min_u32_e32 v0, 32, v0
	v_lshrrev_b32_e32 v13, 3, v12
	v_cmp_gt_u32_e32 vcc, 8, v12
	v_subrev_u32_e32 v12, 28, v0
	v_sub_u32_e32 v0, 29, v0
	v_cndmask_b32_e32 v12, 0, v12, vcc
	v_cndmask_b32_e32 v0, v13, v0, vcc
	v_lshlrev_b64 v[12:13], v12, v[26:27]
	v_lshlrev_b32_e32 v13, 24, v26
	v_lshlrev_b32_e32 v12, 20, v12
	v_bfrev_b32_e32 v14, 60
	v_and_b32_e32 v12, 0x700000, v12
	v_and_b32_e32 v13, 0x80000000, v13
	v_lshl_add_u32 v0, v0, 23, v14
	v_or3_b32 v0, v13, v0, v12
.LBB318_864:                            ;   in Loop: Header=BB318_809 Depth=1
	s_or_b64 exec, exec, s[40:41]
.LBB318_865:                            ;   in Loop: Header=BB318_809 Depth=1
	s_or_b64 exec, exec, s[28:29]
.LBB318_866:                            ;   in Loop: Header=BB318_809 Depth=1
	s_or_b64 exec, exec, s[26:27]
	v_lshrrev_b16_e32 v14, 8, v26
	v_cmp_ne_u16_e32 vcc, 0, v14
	s_and_saveexec_b64 s[26:27], vcc
	s_cbranch_execz .LBB318_872
; %bb.867:                              ;   in Loop: Header=BB318_809 Depth=1
	v_cmp_ne_u16_e32 vcc, s42, v14
	v_bfrev_b32_e32 v1, 1
	s_and_saveexec_b64 s[28:29], vcc
	s_cbranch_execz .LBB318_871
; %bb.868:                              ;   in Loop: Header=BB318_809 Depth=1
	v_and_b32_e32 v12, 0x7f, v14
	v_cmp_ne_u32_e32 vcc, s43, v12
	v_mov_b32_e32 v1, 0x7f800001
	s_and_saveexec_b64 s[40:41], vcc
	s_cbranch_execz .LBB318_870
; %bb.869:                              ;   in Loop: Header=BB318_809 Depth=1
	v_and_b32_e32 v1, 7, v14
	v_lshrrev_b32_e32 v16, 3, v12
	v_cmp_gt_u32_e32 vcc, 8, v12
	v_ffbh_u32_e32 v12, v1
	v_min_u32_e32 v17, 32, v12
	v_subrev_u32_e32 v12, 28, v17
	v_lshlrev_b64 v[12:13], v12, v[14:15]
	v_sub_u32_e32 v13, 29, v17
	v_and_b32_e32 v12, 7, v12
	v_cndmask_b32_e32 v13, v16, v13, vcc
	v_cndmask_b32_e32 v1, v1, v12, vcc
	v_lshlrev_b32_e32 v12, 16, v26
	v_bfrev_b32_e32 v14, 60
	v_lshlrev_b32_e32 v1, 20, v1
	v_and_b32_e32 v12, 0x80000000, v12
	v_lshl_add_u32 v13, v13, 23, v14
	v_or3_b32 v1, v12, v13, v1
.LBB318_870:                            ;   in Loop: Header=BB318_809 Depth=1
	s_or_b64 exec, exec, s[40:41]
.LBB318_871:                            ;   in Loop: Header=BB318_809 Depth=1
	s_or_b64 exec, exec, s[28:29]
.LBB318_872:                            ;   in Loop: Header=BB318_809 Depth=1
	s_or_b64 exec, exec, s[26:27]
	v_lshrrev_b32_e32 v14, 16, v26
	v_cmp_ne_u16_sdwa s[28:29], v14, v15 src0_sel:BYTE_0 src1_sel:DWORD
	v_mov_b32_e32 v13, 0
	v_mov_b32_e32 v12, 0
	s_and_saveexec_b64 s[26:27], s[28:29]
	s_cbranch_execz .LBB318_878
; %bb.873:                              ;   in Loop: Header=BB318_809 Depth=1
	v_cmp_ne_u16_sdwa s[40:41], v14, s42 src0_sel:BYTE_0 src1_sel:DWORD
	v_bfrev_b32_e32 v12, 1
	s_and_saveexec_b64 s[28:29], s[40:41]
	s_cbranch_execz .LBB318_877
; %bb.874:                              ;   in Loop: Header=BB318_809 Depth=1
	v_bfe_u32 v16, v26, 16, 7
	v_cmp_ne_u32_e32 vcc, s43, v16
	v_mov_b32_e32 v12, 0x7f800001
	s_and_saveexec_b64 s[40:41], vcc
	s_cbranch_execz .LBB318_876
; %bb.875:                              ;   in Loop: Header=BB318_809 Depth=1
	v_and_b32_e32 v12, 7, v14
	v_lshrrev_b32_e32 v18, 3, v16
	v_cmp_gt_u32_e32 vcc, 8, v16
	v_ffbh_u32_e32 v16, v12
	v_min_u32_e32 v21, 32, v16
	v_subrev_u32_e32 v16, 28, v21
	v_lshlrev_b64 v[16:17], v16, v[14:15]
	v_sub_u32_e32 v17, 29, v21
	v_and_b32_e32 v16, 7, v16
	v_cndmask_b32_e32 v17, v18, v17, vcc
	v_cndmask_b32_e32 v12, v12, v16, vcc
	v_lshlrev_b32_e32 v14, 24, v14
	v_bfrev_b32_e32 v16, 60
	v_lshlrev_b32_e32 v12, 20, v12
	v_and_b32_e32 v14, 0x80000000, v14
	v_lshl_add_u32 v16, v17, 23, v16
	v_or3_b32 v12, v14, v16, v12
.LBB318_876:                            ;   in Loop: Header=BB318_809 Depth=1
	s_or_b64 exec, exec, s[40:41]
.LBB318_877:                            ;   in Loop: Header=BB318_809 Depth=1
	s_or_b64 exec, exec, s[28:29]
.LBB318_878:                            ;   in Loop: Header=BB318_809 Depth=1
	s_or_b64 exec, exec, s[26:27]
	v_cmp_lt_u32_e32 vcc, s11, v26
	s_and_saveexec_b64 s[26:27], vcc
	s_cbranch_execz .LBB318_884
; %bb.879:                              ;   in Loop: Header=BB318_809 Depth=1
	v_lshrrev_b32_e32 v14, 24, v26
	v_cmp_ne_u32_e32 vcc, s42, v14
	v_bfrev_b32_e32 v13, 1
	s_and_saveexec_b64 s[28:29], vcc
	s_cbranch_execz .LBB318_883
; %bb.880:                              ;   in Loop: Header=BB318_809 Depth=1
	v_bfe_u32 v16, v26, 24, 7
	v_cmp_ne_u32_e32 vcc, s43, v16
	v_mov_b32_e32 v13, 0x7f800001
	s_and_saveexec_b64 s[40:41], vcc
	s_cbranch_execz .LBB318_882
; %bb.881:                              ;   in Loop: Header=BB318_809 Depth=1
	v_and_b32_e32 v13, 7, v14
	v_lshrrev_b32_e32 v18, 3, v16
	v_cmp_gt_u32_e32 vcc, 8, v16
	v_ffbh_u32_e32 v16, v13
	v_min_u32_e32 v21, 32, v16
	v_subrev_u32_e32 v16, 28, v21
	v_lshlrev_b64 v[16:17], v16, v[14:15]
	v_sub_u32_e32 v17, 29, v21
	v_and_b32_e32 v16, 7, v16
	v_cndmask_b32_e32 v17, v18, v17, vcc
	v_cndmask_b32_e32 v13, v13, v16, vcc
	v_lshlrev_b32_e32 v14, 24, v14
	v_bfrev_b32_e32 v16, 60
	v_lshlrev_b32_e32 v13, 20, v13
	v_and_b32_e32 v14, 0x80000000, v14
	v_lshl_add_u32 v16, v17, 23, v16
	v_or3_b32 v13, v14, v16, v13
.LBB318_882:                            ;   in Loop: Header=BB318_809 Depth=1
	s_or_b64 exec, exec, s[40:41]
.LBB318_883:                            ;   in Loop: Header=BB318_809 Depth=1
	s_or_b64 exec, exec, s[28:29]
.LBB318_884:                            ;   in Loop: Header=BB318_809 Depth=1
	s_or_b64 exec, exec, s[26:27]
	v_mov_b32_e32 v14, v27
	v_cmp_ne_u16_sdwa s[28:29], v27, v15 src0_sel:BYTE_0 src1_sel:DWORD
	v_mov_b32_e32 v18, 0
	v_mov_b32_e32 v16, 0
	s_and_saveexec_b64 s[26:27], s[28:29]
	s_cbranch_execz .LBB318_890
; %bb.885:                              ;   in Loop: Header=BB318_809 Depth=1
	v_cmp_ne_u16_sdwa s[40:41], v27, s42 src0_sel:BYTE_0 src1_sel:DWORD
	v_bfrev_b32_e32 v16, 1
	s_and_saveexec_b64 s[28:29], s[40:41]
	s_cbranch_execz .LBB318_889
; %bb.886:                              ;   in Loop: Header=BB318_809 Depth=1
	v_and_b32_e32 v17, 0x7f, v27
	v_cmp_ne_u32_e32 vcc, s43, v17
	v_mov_b32_e32 v16, 0x7f800001
	s_and_saveexec_b64 s[40:41], vcc
	s_cbranch_execz .LBB318_888
; %bb.887:                              ;   in Loop: Header=BB318_809 Depth=1
	v_and_b32_e32 v16, 7, v27
	v_ffbh_u32_e32 v16, v16
	v_min_u32_e32 v16, 32, v16
	v_lshrrev_b32_e32 v21, 3, v17
	v_cmp_gt_u32_e32 vcc, 8, v17
	v_subrev_u32_e32 v17, 28, v16
	v_sub_u32_e32 v16, 29, v16
	v_cndmask_b32_e32 v21, v21, v16, vcc
	v_cndmask_b32_e32 v16, 0, v17, vcc
	v_lshlrev_b64 v[16:17], v16, v[14:15]
	v_lshlrev_b32_e32 v17, 24, v14
	v_lshlrev_b32_e32 v16, 20, v16
	v_bfrev_b32_e32 v22, 60
	v_and_b32_e32 v16, 0x700000, v16
	v_and_b32_e32 v17, 0x80000000, v17
	v_lshl_add_u32 v21, v21, 23, v22
	v_or3_b32 v16, v17, v21, v16
.LBB318_888:                            ;   in Loop: Header=BB318_809 Depth=1
	s_or_b64 exec, exec, s[40:41]
.LBB318_889:                            ;   in Loop: Header=BB318_809 Depth=1
	s_or_b64 exec, exec, s[28:29]
.LBB318_890:                            ;   in Loop: Header=BB318_809 Depth=1
	s_or_b64 exec, exec, s[26:27]
	v_lshrrev_b16_e32 v17, 8, v14
	v_cmp_ne_u16_e32 vcc, 0, v17
	s_mov_b64 s[26:27], exec
	s_and_b64 s[28:29], s[26:27], vcc
	buffer_store_dword v23, off, s[0:3], s32 offset:628 ; 4-byte Folded Spill
	s_mov_b64 exec, s[28:29]
	s_cbranch_execz .LBB318_896
; %bb.891:                              ;   in Loop: Header=BB318_809 Depth=1
	v_cmp_ne_u16_e32 vcc, s42, v17
	v_bfrev_b32_e32 v18, 1
	s_and_saveexec_b64 s[28:29], vcc
	s_cbranch_execz .LBB318_895
; %bb.892:                              ;   in Loop: Header=BB318_809 Depth=1
	v_and_b32_e32 v21, 0x7f, v17
	v_cmp_ne_u32_e32 vcc, s43, v21
	v_mov_b32_e32 v18, 0x7f800001
	s_and_saveexec_b64 s[40:41], vcc
	s_cbranch_execz .LBB318_894
; %bb.893:                              ;   in Loop: Header=BB318_809 Depth=1
	v_and_b32_e32 v22, 7, v17
	v_ffbh_u32_e32 v18, v22
	v_lshrrev_b32_e32 v23, 3, v21
	v_cmp_gt_u32_e32 vcc, 8, v21
	v_min_u32_e32 v21, 32, v18
	v_subrev_u32_e32 v18, 28, v21
	v_lshlrev_b64 v[17:18], v18, v[17:18]
	v_sub_u32_e32 v18, 29, v21
	v_and_b32_e32 v17, 7, v17
	v_cndmask_b32_e32 v18, v23, v18, vcc
	v_cndmask_b32_e32 v17, v22, v17, vcc
	v_lshlrev_b32_e32 v14, 16, v14
	v_bfrev_b32_e32 v21, 60
	v_lshlrev_b32_e32 v17, 20, v17
	v_and_b32_e32 v14, 0x80000000, v14
	v_lshl_add_u32 v18, v18, 23, v21
	v_add_u32_e32 v23, 1, v36
	v_or3_b32 v18, v14, v18, v17
.LBB318_894:                            ;   in Loop: Header=BB318_809 Depth=1
	s_or_b64 exec, exec, s[40:41]
.LBB318_895:                            ;   in Loop: Header=BB318_809 Depth=1
	s_or_b64 exec, exec, s[28:29]
.LBB318_896:                            ;   in Loop: Header=BB318_809 Depth=1
	s_or_b64 exec, exec, s[26:27]
	v_lshrrev_b32_e32 v14, 16, v27
	v_mov_b32_e32 v17, 0
	v_mov_b32_e32 v21, 0
	v_cmp_ne_u16_sdwa s[28:29], v14, v15 src0_sel:BYTE_0 src1_sel:DWORD
	s_mov_b64 s[26:27], exec
	s_and_b64 s[28:29], s[26:27], s[28:29]
	buffer_store_dword v29, off, s[0:3], s32 offset:624 ; 4-byte Folded Spill
	s_mov_b64 exec, s[28:29]
	s_cbranch_execz .LBB318_902
; %bb.897:                              ;   in Loop: Header=BB318_809 Depth=1
	v_cmp_ne_u16_sdwa s[40:41], v14, s42 src0_sel:BYTE_0 src1_sel:DWORD
	v_bfrev_b32_e32 v21, 1
	s_and_saveexec_b64 s[28:29], s[40:41]
	s_cbranch_execz .LBB318_901
; %bb.898:                              ;   in Loop: Header=BB318_809 Depth=1
	v_bfe_u32 v22, v27, 16, 7
	v_cmp_ne_u32_e32 vcc, s43, v22
	v_mov_b32_e32 v21, 0x7f800001
	s_and_saveexec_b64 s[40:41], vcc
	s_cbranch_execz .LBB318_900
; %bb.899:                              ;   in Loop: Header=BB318_809 Depth=1
	v_and_b32_e32 v23, 7, v14
	v_ffbh_u32_e32 v21, v23
	v_min_u32_e32 v29, 32, v21
	v_subrev_u32_e32 v21, 28, v29
	v_lshrrev_b32_e32 v28, 3, v22
	v_cmp_gt_u32_e32 vcc, 8, v22
	v_lshlrev_b64 v[21:22], v21, v[14:15]
	v_sub_u32_e32 v22, 29, v29
	v_and_b32_e32 v21, 7, v21
	v_cndmask_b32_e32 v22, v28, v22, vcc
	v_cndmask_b32_e32 v21, v23, v21, vcc
	v_lshlrev_b32_e32 v14, 24, v14
	v_bfrev_b32_e32 v23, 60
	v_lshlrev_b32_e32 v21, 20, v21
	v_and_b32_e32 v14, 0x80000000, v14
	v_lshl_add_u32 v22, v22, 23, v23
	v_add_u32_e32 v29, 3, v36
	v_add_u32_e32 v23, 1, v36
	v_or3_b32 v21, v14, v22, v21
.LBB318_900:                            ;   in Loop: Header=BB318_809 Depth=1
	s_or_b64 exec, exec, s[40:41]
.LBB318_901:                            ;   in Loop: Header=BB318_809 Depth=1
	s_or_b64 exec, exec, s[28:29]
.LBB318_902:                            ;   in Loop: Header=BB318_809 Depth=1
	s_or_b64 exec, exec, s[26:27]
	v_cmp_lt_u64_e32 vcc, s[10:11], v[26:27]
	s_and_saveexec_b64 s[26:27], vcc
	s_cbranch_execz .LBB318_908
; %bb.903:                              ;   in Loop: Header=BB318_809 Depth=1
	v_lshrrev_b32_e32 v14, 24, v27
	v_cmp_ne_u32_e32 vcc, s42, v14
	v_bfrev_b32_e32 v17, 1
	s_and_saveexec_b64 s[28:29], vcc
	s_cbranch_execz .LBB318_907
; %bb.904:                              ;   in Loop: Header=BB318_809 Depth=1
	v_bfe_u32 v22, v27, 24, 7
	v_cmp_ne_u32_e32 vcc, s43, v22
	v_mov_b32_e32 v17, 0x7f800001
	s_and_saveexec_b64 s[40:41], vcc
	s_cbranch_execz .LBB318_906
; %bb.905:                              ;   in Loop: Header=BB318_809 Depth=1
	v_and_b32_e32 v17, 7, v14
	v_lshrrev_b32_e32 v26, 3, v22
	v_cmp_gt_u32_e32 vcc, 8, v22
	v_ffbh_u32_e32 v22, v17
	v_min_u32_e32 v27, 32, v22
	v_subrev_u32_e32 v22, 28, v27
	v_lshlrev_b64 v[22:23], v22, v[14:15]
	v_sub_u32_e32 v23, 29, v27
	v_and_b32_e32 v22, 7, v22
	v_cndmask_b32_e32 v23, v26, v23, vcc
	v_cndmask_b32_e32 v17, v17, v22, vcc
	v_lshlrev_b32_e32 v14, 24, v14
	v_bfrev_b32_e32 v22, 60
	v_lshlrev_b32_e32 v17, 20, v17
	v_and_b32_e32 v14, 0x80000000, v14
	v_lshl_add_u32 v22, v23, 23, v22
	v_add_u32_e32 v23, 1, v36
	v_or3_b32 v17, v14, v22, v17
.LBB318_906:                            ;   in Loop: Header=BB318_809 Depth=1
	s_or_b64 exec, exec, s[40:41]
.LBB318_907:                            ;   in Loop: Header=BB318_809 Depth=1
	s_or_b64 exec, exec, s[28:29]
.LBB318_908:                            ;   in Loop: Header=BB318_809 Depth=1
	s_or_b64 exec, exec, s[26:27]
	v_mul_f32_e32 v14, v46, v18
	v_bfe_u32 v18, v14, 16, 1
	v_add3_u32 v18, v18, v14, s44
	v_or_b32_e32 v22, 0x400000, v14
	v_cmp_u_f32_e32 vcc, v14, v14
	v_cndmask_b32_e32 v14, v18, v22, vcc
	v_lshrrev_b32_e32 v14, 16, v14
	buffer_store_dword v14, off, s[0:3], s32 offset:132 ; 4-byte Folded Spill
	v_mul_f32_e32 v14, v46, v16
	v_bfe_u32 v16, v14, 16, 1
	v_add3_u32 v16, v16, v14, s44
	v_or_b32_e32 v18, 0x400000, v14
	v_cmp_u_f32_e32 vcc, v14, v14
	v_cndmask_b32_e32 v14, v16, v18, vcc
	v_lshrrev_b32_e32 v14, 16, v14
	v_mul_f32_e32 v13, v46, v13
	buffer_store_dword v14, off, s[0:3], s32 offset:136 ; 4-byte Folded Spill
	v_bfe_u32 v14, v13, 16, 1
	v_add3_u32 v14, v14, v13, s44
	v_or_b32_e32 v16, 0x400000, v13
	v_cmp_u_f32_e32 vcc, v13, v13
	v_cndmask_b32_e32 v13, v14, v16, vcc
	v_lshrrev_b32_e32 v13, 16, v13
	v_mul_f32_e32 v12, v46, v12
	buffer_store_dword v13, off, s[0:3], s32 offset:144 ; 4-byte Folded Spill
	;; [unrolled: 8-line block ×4, first 2 shown]
	v_bfe_u32 v1, v0, 16, 1
	v_add3_u32 v1, v1, v0, s44
	v_or_b32_e32 v12, 0x400000, v0
	v_cmp_u_f32_e32 vcc, v0, v0
	v_cndmask_b32_e32 v0, v1, v12, vcc
	v_lshrrev_b32_e32 v0, 16, v0
	buffer_store_dword v0, off, s[0:3], s32 offset:160 ; 4-byte Folded Spill
	v_mul_f32_e32 v0, v46, v21
	v_bfe_u32 v1, v0, 16, 1
	v_add3_u32 v1, v1, v0, s44
	v_or_b32_e32 v12, 0x400000, v0
	v_cmp_u_f32_e32 vcc, v0, v0
	v_cndmask_b32_e32 v0, v1, v12, vcc
	v_lshrrev_b32_e32 v0, 16, v0
	buffer_store_dword v0, off, s[0:3], s32 offset:140 ; 4-byte Folded Spill
	v_mul_f32_e32 v0, v46, v17
	v_bfe_u32 v1, v0, 16, 1
	v_add3_u32 v1, v1, v0, s44
	v_or_b32_e32 v12, 0x400000, v0
	v_cmp_u_f32_e32 vcc, v0, v0
	v_cndmask_b32_e32 v0, v1, v12, vcc
	v_lshrrev_b32_e32 v0, 16, v0
	buffer_store_dword v0, off, s[0:3], s32 offset:152 ; 4-byte Folded Spill
	s_and_saveexec_b64 s[26:27], s[6:7]
	s_cbranch_execz .LBB318_910
; %bb.909:                              ;   in Loop: Header=BB318_809 Depth=1
	buffer_load_dword v0, off, s[0:3], s32 offset:64 ; 4-byte Folded Reload
	buffer_load_dword v1, off, s[0:3], s32 offset:160 ; 4-byte Folded Reload
	s_waitcnt vmcnt(1)
	v_cmp_lt_i32_e32 vcc, v36, v0
	s_waitcnt vmcnt(0)
	v_cndmask_b32_e32 v1, 0, v1, vcc
	buffer_store_dword v1, off, s[0:3], s32 offset:160 ; 4-byte Folded Spill
	buffer_load_dword v1, off, s[0:3], s32 offset:156 ; 4-byte Folded Reload
	v_cmp_lt_i32_e32 vcc, v23, v0
	s_waitcnt vmcnt(0)
	v_cndmask_b32_e32 v1, 0, v1, vcc
	buffer_store_dword v1, off, s[0:3], s32 offset:156 ; 4-byte Folded Spill
	buffer_load_dword v1, off, s[0:3], s32 offset:148 ; 4-byte Folded Reload
	v_cmp_lt_i32_e32 vcc, v35, v0
	s_waitcnt vmcnt(0)
	v_cndmask_b32_e32 v1, 0, v1, vcc
	buffer_store_dword v1, off, s[0:3], s32 offset:148 ; 4-byte Folded Spill
	buffer_load_dword v1, off, s[0:3], s32 offset:144 ; 4-byte Folded Reload
	v_cmp_lt_i32_e32 vcc, v29, v0
	s_waitcnt vmcnt(0)
	v_cndmask_b32_e32 v1, 0, v1, vcc
	buffer_store_dword v1, off, s[0:3], s32 offset:144 ; 4-byte Folded Spill
	buffer_load_dword v1, off, s[0:3], s32 offset:136 ; 4-byte Folded Reload
	v_cmp_lt_i32_e32 vcc, v63, v0
	s_waitcnt vmcnt(0)
	v_cndmask_b32_e32 v1, 0, v1, vcc
	buffer_store_dword v1, off, s[0:3], s32 offset:136 ; 4-byte Folded Spill
	buffer_load_dword v1, off, s[0:3], s32 offset:132 ; 4-byte Folded Reload
	v_cmp_lt_i32_e32 vcc, v48, v0
	s_waitcnt vmcnt(0)
	v_cndmask_b32_e32 v1, 0, v1, vcc
	buffer_store_dword v1, off, s[0:3], s32 offset:132 ; 4-byte Folded Spill
	buffer_load_dword v1, off, s[0:3], s32 offset:140 ; 4-byte Folded Reload
	v_cmp_lt_i32_e32 vcc, v39, v0
	s_waitcnt vmcnt(0)
	v_cndmask_b32_e32 v1, 0, v1, vcc
	v_cmp_lt_i32_e32 vcc, v38, v0
	buffer_load_dword v0, off, s[0:3], s32 offset:152 ; 4-byte Folded Reload
	s_waitcnt vmcnt(0)
	v_cndmask_b32_e32 v0, 0, v0, vcc
	buffer_store_dword v1, off, s[0:3], s32 offset:140 ; 4-byte Folded Spill
	buffer_store_dword v0, off, s[0:3], s32 offset:152 ; 4-byte Folded Spill
.LBB318_910:                            ;   in Loop: Header=BB318_809 Depth=1
	s_or_b64 exec, exec, s[26:27]
	flat_load_dwordx2 v[26:27], v[24:25] offset:1024
	v_mov_b32_e32 v1, 0
	v_mov_b32_e32 v0, 0
	s_waitcnt vmcnt(0) lgkmcnt(0)
	v_cmp_ne_u16_sdwa s[28:29], v26, v15 src0_sel:BYTE_0 src1_sel:DWORD
	s_and_saveexec_b64 s[26:27], s[28:29]
	s_cbranch_execz .LBB318_916
; %bb.911:                              ;   in Loop: Header=BB318_809 Depth=1
	v_cmp_ne_u16_sdwa s[40:41], v26, s42 src0_sel:BYTE_0 src1_sel:DWORD
	v_bfrev_b32_e32 v0, 1
	s_and_saveexec_b64 s[28:29], s[40:41]
	s_cbranch_execz .LBB318_915
; %bb.912:                              ;   in Loop: Header=BB318_809 Depth=1
	v_and_b32_e32 v12, 0x7f, v26
	v_cmp_ne_u32_e32 vcc, s43, v12
	v_mov_b32_e32 v0, 0x7f800001
	s_and_saveexec_b64 s[40:41], vcc
	s_cbranch_execz .LBB318_914
; %bb.913:                              ;   in Loop: Header=BB318_809 Depth=1
	v_and_b32_e32 v0, 7, v26
	v_ffbh_u32_e32 v0, v0
	v_min_u32_e32 v0, 32, v0
	v_lshrrev_b32_e32 v13, 3, v12
	v_cmp_gt_u32_e32 vcc, 8, v12
	v_subrev_u32_e32 v12, 28, v0
	v_sub_u32_e32 v0, 29, v0
	v_cndmask_b32_e32 v12, 0, v12, vcc
	v_cndmask_b32_e32 v0, v13, v0, vcc
	v_lshlrev_b64 v[12:13], v12, v[26:27]
	v_lshlrev_b32_e32 v13, 24, v26
	v_lshlrev_b32_e32 v12, 20, v12
	v_bfrev_b32_e32 v14, 60
	v_and_b32_e32 v12, 0x700000, v12
	v_and_b32_e32 v13, 0x80000000, v13
	v_lshl_add_u32 v0, v0, 23, v14
	v_or3_b32 v0, v13, v0, v12
.LBB318_914:                            ;   in Loop: Header=BB318_809 Depth=1
	s_or_b64 exec, exec, s[40:41]
.LBB318_915:                            ;   in Loop: Header=BB318_809 Depth=1
	s_or_b64 exec, exec, s[28:29]
.LBB318_916:                            ;   in Loop: Header=BB318_809 Depth=1
	s_or_b64 exec, exec, s[26:27]
	v_lshrrev_b16_e32 v14, 8, v26
	v_cmp_ne_u16_e32 vcc, 0, v14
	s_and_saveexec_b64 s[26:27], vcc
	s_cbranch_execz .LBB318_922
; %bb.917:                              ;   in Loop: Header=BB318_809 Depth=1
	v_cmp_ne_u16_e32 vcc, s42, v14
	v_bfrev_b32_e32 v1, 1
	s_and_saveexec_b64 s[28:29], vcc
	s_cbranch_execz .LBB318_921
; %bb.918:                              ;   in Loop: Header=BB318_809 Depth=1
	v_and_b32_e32 v12, 0x7f, v14
	v_cmp_ne_u32_e32 vcc, s43, v12
	v_mov_b32_e32 v1, 0x7f800001
	s_and_saveexec_b64 s[40:41], vcc
	s_cbranch_execz .LBB318_920
; %bb.919:                              ;   in Loop: Header=BB318_809 Depth=1
	v_and_b32_e32 v1, 7, v14
	v_lshrrev_b32_e32 v16, 3, v12
	v_cmp_gt_u32_e32 vcc, 8, v12
	v_ffbh_u32_e32 v12, v1
	v_min_u32_e32 v17, 32, v12
	v_subrev_u32_e32 v12, 28, v17
	v_lshlrev_b64 v[12:13], v12, v[14:15]
	v_sub_u32_e32 v13, 29, v17
	v_and_b32_e32 v12, 7, v12
	v_cndmask_b32_e32 v13, v16, v13, vcc
	v_cndmask_b32_e32 v1, v1, v12, vcc
	v_lshlrev_b32_e32 v12, 16, v26
	v_bfrev_b32_e32 v14, 60
	v_lshlrev_b32_e32 v1, 20, v1
	v_and_b32_e32 v12, 0x80000000, v12
	v_lshl_add_u32 v13, v13, 23, v14
	v_or3_b32 v1, v12, v13, v1
.LBB318_920:                            ;   in Loop: Header=BB318_809 Depth=1
	s_or_b64 exec, exec, s[40:41]
.LBB318_921:                            ;   in Loop: Header=BB318_809 Depth=1
	s_or_b64 exec, exec, s[28:29]
.LBB318_922:                            ;   in Loop: Header=BB318_809 Depth=1
	s_or_b64 exec, exec, s[26:27]
	v_lshrrev_b32_e32 v14, 16, v26
	v_cmp_ne_u16_sdwa s[28:29], v14, v15 src0_sel:BYTE_0 src1_sel:DWORD
	v_mov_b32_e32 v13, 0
	v_mov_b32_e32 v12, 0
	s_and_saveexec_b64 s[26:27], s[28:29]
	s_cbranch_execz .LBB318_928
; %bb.923:                              ;   in Loop: Header=BB318_809 Depth=1
	v_cmp_ne_u16_sdwa s[40:41], v14, s42 src0_sel:BYTE_0 src1_sel:DWORD
	v_bfrev_b32_e32 v12, 1
	s_and_saveexec_b64 s[28:29], s[40:41]
	s_cbranch_execz .LBB318_927
; %bb.924:                              ;   in Loop: Header=BB318_809 Depth=1
	v_bfe_u32 v16, v26, 16, 7
	v_cmp_ne_u32_e32 vcc, s43, v16
	v_mov_b32_e32 v12, 0x7f800001
	s_and_saveexec_b64 s[40:41], vcc
	s_cbranch_execz .LBB318_926
; %bb.925:                              ;   in Loop: Header=BB318_809 Depth=1
	v_and_b32_e32 v12, 7, v14
	v_lshrrev_b32_e32 v18, 3, v16
	v_cmp_gt_u32_e32 vcc, 8, v16
	v_ffbh_u32_e32 v16, v12
	v_min_u32_e32 v21, 32, v16
	v_subrev_u32_e32 v16, 28, v21
	v_lshlrev_b64 v[16:17], v16, v[14:15]
	v_sub_u32_e32 v17, 29, v21
	v_and_b32_e32 v16, 7, v16
	v_cndmask_b32_e32 v17, v18, v17, vcc
	v_cndmask_b32_e32 v12, v12, v16, vcc
	v_lshlrev_b32_e32 v14, 24, v14
	v_bfrev_b32_e32 v16, 60
	v_lshlrev_b32_e32 v12, 20, v12
	v_and_b32_e32 v14, 0x80000000, v14
	v_lshl_add_u32 v16, v17, 23, v16
	v_or3_b32 v12, v14, v16, v12
.LBB318_926:                            ;   in Loop: Header=BB318_809 Depth=1
	s_or_b64 exec, exec, s[40:41]
.LBB318_927:                            ;   in Loop: Header=BB318_809 Depth=1
	s_or_b64 exec, exec, s[28:29]
.LBB318_928:                            ;   in Loop: Header=BB318_809 Depth=1
	s_or_b64 exec, exec, s[26:27]
	v_cmp_lt_u32_e32 vcc, s11, v26
	s_and_saveexec_b64 s[26:27], vcc
	s_cbranch_execz .LBB318_934
; %bb.929:                              ;   in Loop: Header=BB318_809 Depth=1
	v_lshrrev_b32_e32 v14, 24, v26
	v_cmp_ne_u32_e32 vcc, s42, v14
	v_bfrev_b32_e32 v13, 1
	s_and_saveexec_b64 s[28:29], vcc
	s_cbranch_execz .LBB318_933
; %bb.930:                              ;   in Loop: Header=BB318_809 Depth=1
	v_bfe_u32 v16, v26, 24, 7
	v_cmp_ne_u32_e32 vcc, s43, v16
	v_mov_b32_e32 v13, 0x7f800001
	s_and_saveexec_b64 s[40:41], vcc
	s_cbranch_execz .LBB318_932
; %bb.931:                              ;   in Loop: Header=BB318_809 Depth=1
	v_and_b32_e32 v13, 7, v14
	v_lshrrev_b32_e32 v18, 3, v16
	v_cmp_gt_u32_e32 vcc, 8, v16
	v_ffbh_u32_e32 v16, v13
	v_min_u32_e32 v21, 32, v16
	v_subrev_u32_e32 v16, 28, v21
	v_lshlrev_b64 v[16:17], v16, v[14:15]
	v_sub_u32_e32 v17, 29, v21
	v_and_b32_e32 v16, 7, v16
	v_cndmask_b32_e32 v17, v18, v17, vcc
	v_cndmask_b32_e32 v13, v13, v16, vcc
	v_lshlrev_b32_e32 v14, 24, v14
	v_bfrev_b32_e32 v16, 60
	v_lshlrev_b32_e32 v13, 20, v13
	v_and_b32_e32 v14, 0x80000000, v14
	v_lshl_add_u32 v16, v17, 23, v16
	v_or3_b32 v13, v14, v16, v13
.LBB318_932:                            ;   in Loop: Header=BB318_809 Depth=1
	s_or_b64 exec, exec, s[40:41]
.LBB318_933:                            ;   in Loop: Header=BB318_809 Depth=1
	s_or_b64 exec, exec, s[28:29]
.LBB318_934:                            ;   in Loop: Header=BB318_809 Depth=1
	s_or_b64 exec, exec, s[26:27]
	v_mov_b32_e32 v14, v27
	v_cmp_ne_u16_sdwa s[28:29], v27, v15 src0_sel:BYTE_0 src1_sel:DWORD
	v_mov_b32_e32 v18, 0
	v_mov_b32_e32 v16, 0
	s_and_saveexec_b64 s[26:27], s[28:29]
	s_cbranch_execz .LBB318_940
; %bb.935:                              ;   in Loop: Header=BB318_809 Depth=1
	v_cmp_ne_u16_sdwa s[40:41], v27, s42 src0_sel:BYTE_0 src1_sel:DWORD
	v_bfrev_b32_e32 v16, 1
	s_and_saveexec_b64 s[28:29], s[40:41]
	s_cbranch_execz .LBB318_939
; %bb.936:                              ;   in Loop: Header=BB318_809 Depth=1
	v_and_b32_e32 v17, 0x7f, v27
	v_cmp_ne_u32_e32 vcc, s43, v17
	v_mov_b32_e32 v16, 0x7f800001
	s_and_saveexec_b64 s[40:41], vcc
	s_cbranch_execz .LBB318_938
; %bb.937:                              ;   in Loop: Header=BB318_809 Depth=1
	v_and_b32_e32 v16, 7, v27
	v_ffbh_u32_e32 v16, v16
	v_min_u32_e32 v16, 32, v16
	v_lshrrev_b32_e32 v21, 3, v17
	v_cmp_gt_u32_e32 vcc, 8, v17
	v_subrev_u32_e32 v17, 28, v16
	v_sub_u32_e32 v16, 29, v16
	v_cndmask_b32_e32 v21, v21, v16, vcc
	v_cndmask_b32_e32 v16, 0, v17, vcc
	v_lshlrev_b64 v[16:17], v16, v[14:15]
	v_lshlrev_b32_e32 v17, 24, v14
	v_lshlrev_b32_e32 v16, 20, v16
	v_bfrev_b32_e32 v22, 60
	v_and_b32_e32 v16, 0x700000, v16
	v_and_b32_e32 v17, 0x80000000, v17
	v_lshl_add_u32 v21, v21, 23, v22
	v_or3_b32 v16, v17, v21, v16
.LBB318_938:                            ;   in Loop: Header=BB318_809 Depth=1
	s_or_b64 exec, exec, s[40:41]
.LBB318_939:                            ;   in Loop: Header=BB318_809 Depth=1
	s_or_b64 exec, exec, s[28:29]
.LBB318_940:                            ;   in Loop: Header=BB318_809 Depth=1
	s_or_b64 exec, exec, s[26:27]
	v_lshrrev_b16_e32 v17, 8, v14
	v_cmp_ne_u16_e32 vcc, 0, v17
	s_and_saveexec_b64 s[26:27], vcc
	s_cbranch_execz .LBB318_946
; %bb.941:                              ;   in Loop: Header=BB318_809 Depth=1
	v_cmp_ne_u16_e32 vcc, s42, v17
	v_bfrev_b32_e32 v18, 1
	s_and_saveexec_b64 s[28:29], vcc
	s_cbranch_execz .LBB318_945
; %bb.942:                              ;   in Loop: Header=BB318_809 Depth=1
	v_and_b32_e32 v21, 0x7f, v17
	v_cmp_ne_u32_e32 vcc, s43, v21
	v_mov_b32_e32 v18, 0x7f800001
	s_and_saveexec_b64 s[40:41], vcc
	s_cbranch_execz .LBB318_944
; %bb.943:                              ;   in Loop: Header=BB318_809 Depth=1
	v_and_b32_e32 v22, 7, v17
	v_ffbh_u32_e32 v18, v22
	v_lshrrev_b32_e32 v23, 3, v21
	v_cmp_gt_u32_e32 vcc, 8, v21
	v_min_u32_e32 v21, 32, v18
	v_subrev_u32_e32 v18, 28, v21
	v_lshlrev_b64 v[17:18], v18, v[17:18]
	v_sub_u32_e32 v18, 29, v21
	v_and_b32_e32 v17, 7, v17
	v_cndmask_b32_e32 v18, v23, v18, vcc
	v_cndmask_b32_e32 v17, v22, v17, vcc
	v_lshlrev_b32_e32 v14, 16, v14
	v_bfrev_b32_e32 v21, 60
	v_lshlrev_b32_e32 v17, 20, v17
	v_and_b32_e32 v14, 0x80000000, v14
	v_lshl_add_u32 v18, v18, 23, v21
	v_add_u32_e32 v23, 1, v36
	v_or3_b32 v18, v14, v18, v17
.LBB318_944:                            ;   in Loop: Header=BB318_809 Depth=1
	s_or_b64 exec, exec, s[40:41]
.LBB318_945:                            ;   in Loop: Header=BB318_809 Depth=1
	s_or_b64 exec, exec, s[28:29]
.LBB318_946:                            ;   in Loop: Header=BB318_809 Depth=1
	s_or_b64 exec, exec, s[26:27]
	v_lshrrev_b32_e32 v14, 16, v27
	v_cmp_ne_u16_sdwa s[28:29], v14, v15 src0_sel:BYTE_0 src1_sel:DWORD
	v_mov_b32_e32 v17, 0
	v_mov_b32_e32 v21, 0
	s_and_saveexec_b64 s[26:27], s[28:29]
	s_cbranch_execz .LBB318_952
; %bb.947:                              ;   in Loop: Header=BB318_809 Depth=1
	v_cmp_ne_u16_sdwa s[40:41], v14, s42 src0_sel:BYTE_0 src1_sel:DWORD
	v_bfrev_b32_e32 v21, 1
	s_and_saveexec_b64 s[28:29], s[40:41]
	s_cbranch_execz .LBB318_951
; %bb.948:                              ;   in Loop: Header=BB318_809 Depth=1
	v_bfe_u32 v22, v27, 16, 7
	v_cmp_ne_u32_e32 vcc, s43, v22
	v_mov_b32_e32 v21, 0x7f800001
	s_and_saveexec_b64 s[40:41], vcc
	s_cbranch_execz .LBB318_950
; %bb.949:                              ;   in Loop: Header=BB318_809 Depth=1
	v_and_b32_e32 v23, 7, v14
	v_ffbh_u32_e32 v21, v23
	v_min_u32_e32 v29, 32, v21
	v_subrev_u32_e32 v21, 28, v29
	v_lshrrev_b32_e32 v28, 3, v22
	v_cmp_gt_u32_e32 vcc, 8, v22
	v_lshlrev_b64 v[21:22], v21, v[14:15]
	v_sub_u32_e32 v22, 29, v29
	v_and_b32_e32 v21, 7, v21
	v_cndmask_b32_e32 v22, v28, v22, vcc
	v_cndmask_b32_e32 v21, v23, v21, vcc
	v_lshlrev_b32_e32 v14, 24, v14
	v_bfrev_b32_e32 v23, 60
	v_lshlrev_b32_e32 v21, 20, v21
	v_and_b32_e32 v14, 0x80000000, v14
	v_lshl_add_u32 v22, v22, 23, v23
	v_add_u32_e32 v29, 3, v36
	v_add_u32_e32 v23, 1, v36
	v_or3_b32 v21, v14, v22, v21
.LBB318_950:                            ;   in Loop: Header=BB318_809 Depth=1
	s_or_b64 exec, exec, s[40:41]
.LBB318_951:                            ;   in Loop: Header=BB318_809 Depth=1
	s_or_b64 exec, exec, s[28:29]
.LBB318_952:                            ;   in Loop: Header=BB318_809 Depth=1
	s_or_b64 exec, exec, s[26:27]
	v_cmp_lt_u64_e32 vcc, s[10:11], v[26:27]
	s_and_saveexec_b64 s[26:27], vcc
	s_cbranch_execz .LBB318_958
; %bb.953:                              ;   in Loop: Header=BB318_809 Depth=1
	v_lshrrev_b32_e32 v14, 24, v27
	v_cmp_ne_u32_e32 vcc, s42, v14
	v_bfrev_b32_e32 v17, 1
	s_and_saveexec_b64 s[28:29], vcc
	s_cbranch_execz .LBB318_957
; %bb.954:                              ;   in Loop: Header=BB318_809 Depth=1
	v_bfe_u32 v22, v27, 24, 7
	v_cmp_ne_u32_e32 vcc, s43, v22
	v_mov_b32_e32 v17, 0x7f800001
	s_and_saveexec_b64 s[40:41], vcc
	s_cbranch_execz .LBB318_956
; %bb.955:                              ;   in Loop: Header=BB318_809 Depth=1
	v_and_b32_e32 v17, 7, v14
	v_lshrrev_b32_e32 v26, 3, v22
	v_cmp_gt_u32_e32 vcc, 8, v22
	v_ffbh_u32_e32 v22, v17
	v_min_u32_e32 v27, 32, v22
	v_subrev_u32_e32 v22, 28, v27
	v_lshlrev_b64 v[22:23], v22, v[14:15]
	v_sub_u32_e32 v23, 29, v27
	v_and_b32_e32 v22, 7, v22
	v_cndmask_b32_e32 v23, v26, v23, vcc
	v_cndmask_b32_e32 v17, v17, v22, vcc
	v_lshlrev_b32_e32 v14, 24, v14
	v_bfrev_b32_e32 v22, 60
	v_lshlrev_b32_e32 v17, 20, v17
	v_and_b32_e32 v14, 0x80000000, v14
	v_lshl_add_u32 v22, v23, 23, v22
	v_add_u32_e32 v23, 1, v36
	v_or3_b32 v17, v14, v22, v17
.LBB318_956:                            ;   in Loop: Header=BB318_809 Depth=1
	s_or_b64 exec, exec, s[40:41]
.LBB318_957:                            ;   in Loop: Header=BB318_809 Depth=1
	s_or_b64 exec, exec, s[28:29]
.LBB318_958:                            ;   in Loop: Header=BB318_809 Depth=1
	s_or_b64 exec, exec, s[26:27]
	v_mul_f32_e32 v14, v46, v18
	v_bfe_u32 v18, v14, 16, 1
	v_add3_u32 v18, v18, v14, s44
	v_or_b32_e32 v22, 0x400000, v14
	v_cmp_u_f32_e32 vcc, v14, v14
	v_cndmask_b32_e32 v14, v18, v22, vcc
	v_lshrrev_b32_e32 v14, 16, v14
	buffer_store_dword v14, off, s[0:3], s32 offset:168 ; 4-byte Folded Spill
	v_mul_f32_e32 v14, v46, v16
	v_bfe_u32 v16, v14, 16, 1
	v_add3_u32 v16, v16, v14, s44
	v_or_b32_e32 v18, 0x400000, v14
	v_cmp_u_f32_e32 vcc, v14, v14
	v_cndmask_b32_e32 v14, v16, v18, vcc
	v_lshrrev_b32_e32 v14, 16, v14
	v_mul_f32_e32 v13, v46, v13
	buffer_store_dword v14, off, s[0:3], s32 offset:164 ; 4-byte Folded Spill
	v_bfe_u32 v14, v13, 16, 1
	v_add3_u32 v14, v14, v13, s44
	v_or_b32_e32 v16, 0x400000, v13
	v_cmp_u_f32_e32 vcc, v13, v13
	v_cndmask_b32_e32 v13, v14, v16, vcc
	v_lshrrev_b32_e32 v13, 16, v13
	v_mul_f32_e32 v12, v46, v12
	buffer_store_dword v13, off, s[0:3], s32 offset:180 ; 4-byte Folded Spill
	;; [unrolled: 8-line block ×4, first 2 shown]
	v_bfe_u32 v1, v0, 16, 1
	v_add3_u32 v1, v1, v0, s44
	v_or_b32_e32 v12, 0x400000, v0
	v_cmp_u_f32_e32 vcc, v0, v0
	v_cndmask_b32_e32 v0, v1, v12, vcc
	v_lshrrev_b32_e32 v0, 16, v0
	buffer_store_dword v0, off, s[0:3], s32 offset:188 ; 4-byte Folded Spill
	v_mul_f32_e32 v0, v46, v21
	v_bfe_u32 v1, v0, 16, 1
	v_add3_u32 v1, v1, v0, s44
	v_or_b32_e32 v12, 0x400000, v0
	v_cmp_u_f32_e32 vcc, v0, v0
	v_cndmask_b32_e32 v0, v1, v12, vcc
	v_lshrrev_b32_e32 v0, 16, v0
	buffer_store_dword v0, off, s[0:3], s32 offset:172 ; 4-byte Folded Spill
	v_mul_f32_e32 v0, v46, v17
	v_bfe_u32 v1, v0, 16, 1
	v_add3_u32 v1, v1, v0, s44
	v_or_b32_e32 v12, 0x400000, v0
	v_cmp_u_f32_e32 vcc, v0, v0
	v_cndmask_b32_e32 v0, v1, v12, vcc
	v_lshrrev_b32_e32 v0, 16, v0
	buffer_store_dword v0, off, s[0:3], s32 offset:184 ; 4-byte Folded Spill
	s_and_saveexec_b64 s[26:27], s[6:7]
	s_cbranch_execz .LBB318_960
; %bb.959:                              ;   in Loop: Header=BB318_809 Depth=1
	buffer_load_dword v0, off, s[0:3], s32 offset:64 ; 4-byte Folded Reload
	buffer_load_dword v1, off, s[0:3], s32 offset:188 ; 4-byte Folded Reload
	s_waitcnt vmcnt(1)
	v_cmp_lt_i32_e32 vcc, v36, v0
	s_waitcnt vmcnt(0)
	v_cndmask_b32_e32 v1, 0, v1, vcc
	buffer_store_dword v1, off, s[0:3], s32 offset:188 ; 4-byte Folded Spill
	buffer_load_dword v1, off, s[0:3], s32 offset:192 ; 4-byte Folded Reload
	v_cmp_lt_i32_e32 vcc, v23, v0
	s_waitcnt vmcnt(0)
	v_cndmask_b32_e32 v1, 0, v1, vcc
	buffer_store_dword v1, off, s[0:3], s32 offset:192 ; 4-byte Folded Spill
	buffer_load_dword v1, off, s[0:3], s32 offset:176 ; 4-byte Folded Reload
	;; [unrolled: 5-line block ×6, first 2 shown]
	v_cmp_lt_i32_e32 vcc, v39, v0
	s_waitcnt vmcnt(0)
	v_cndmask_b32_e32 v1, 0, v1, vcc
	v_cmp_lt_i32_e32 vcc, v38, v0
	buffer_load_dword v0, off, s[0:3], s32 offset:184 ; 4-byte Folded Reload
	s_waitcnt vmcnt(0)
	v_cndmask_b32_e32 v0, 0, v0, vcc
	buffer_store_dword v1, off, s[0:3], s32 offset:172 ; 4-byte Folded Spill
	buffer_store_dword v0, off, s[0:3], s32 offset:184 ; 4-byte Folded Spill
.LBB318_960:                            ;   in Loop: Header=BB318_809 Depth=1
	s_or_b64 exec, exec, s[26:27]
	flat_load_dwordx2 v[26:27], v[24:25] offset:1536
	v_mov_b32_e32 v1, 0
	v_mov_b32_e32 v0, 0
	s_waitcnt vmcnt(0) lgkmcnt(0)
	v_cmp_ne_u16_sdwa s[28:29], v26, v15 src0_sel:BYTE_0 src1_sel:DWORD
	s_and_saveexec_b64 s[26:27], s[28:29]
	s_cbranch_execz .LBB318_966
; %bb.961:                              ;   in Loop: Header=BB318_809 Depth=1
	v_cmp_ne_u16_sdwa s[40:41], v26, s42 src0_sel:BYTE_0 src1_sel:DWORD
	v_bfrev_b32_e32 v0, 1
	s_and_saveexec_b64 s[28:29], s[40:41]
	s_cbranch_execz .LBB318_965
; %bb.962:                              ;   in Loop: Header=BB318_809 Depth=1
	v_and_b32_e32 v12, 0x7f, v26
	v_cmp_ne_u32_e32 vcc, s43, v12
	v_mov_b32_e32 v0, 0x7f800001
	s_and_saveexec_b64 s[40:41], vcc
	s_cbranch_execz .LBB318_964
; %bb.963:                              ;   in Loop: Header=BB318_809 Depth=1
	v_and_b32_e32 v0, 7, v26
	v_ffbh_u32_e32 v0, v0
	v_min_u32_e32 v0, 32, v0
	v_lshrrev_b32_e32 v13, 3, v12
	v_cmp_gt_u32_e32 vcc, 8, v12
	v_subrev_u32_e32 v12, 28, v0
	v_sub_u32_e32 v0, 29, v0
	v_cndmask_b32_e32 v12, 0, v12, vcc
	v_cndmask_b32_e32 v0, v13, v0, vcc
	v_lshlrev_b64 v[12:13], v12, v[26:27]
	v_lshlrev_b32_e32 v13, 24, v26
	v_lshlrev_b32_e32 v12, 20, v12
	v_bfrev_b32_e32 v14, 60
	v_and_b32_e32 v12, 0x700000, v12
	v_and_b32_e32 v13, 0x80000000, v13
	v_lshl_add_u32 v0, v0, 23, v14
	v_or3_b32 v0, v13, v0, v12
.LBB318_964:                            ;   in Loop: Header=BB318_809 Depth=1
	s_or_b64 exec, exec, s[40:41]
.LBB318_965:                            ;   in Loop: Header=BB318_809 Depth=1
	s_or_b64 exec, exec, s[28:29]
.LBB318_966:                            ;   in Loop: Header=BB318_809 Depth=1
	s_or_b64 exec, exec, s[26:27]
	v_lshrrev_b16_e32 v14, 8, v26
	v_cmp_ne_u16_e32 vcc, 0, v14
	s_and_saveexec_b64 s[26:27], vcc
	s_cbranch_execz .LBB318_972
; %bb.967:                              ;   in Loop: Header=BB318_809 Depth=1
	v_cmp_ne_u16_e32 vcc, s42, v14
	v_bfrev_b32_e32 v1, 1
	s_and_saveexec_b64 s[28:29], vcc
	s_cbranch_execz .LBB318_971
; %bb.968:                              ;   in Loop: Header=BB318_809 Depth=1
	v_and_b32_e32 v12, 0x7f, v14
	v_cmp_ne_u32_e32 vcc, s43, v12
	v_mov_b32_e32 v1, 0x7f800001
	s_and_saveexec_b64 s[40:41], vcc
	s_cbranch_execz .LBB318_970
; %bb.969:                              ;   in Loop: Header=BB318_809 Depth=1
	v_and_b32_e32 v1, 7, v14
	v_lshrrev_b32_e32 v16, 3, v12
	v_cmp_gt_u32_e32 vcc, 8, v12
	v_ffbh_u32_e32 v12, v1
	v_min_u32_e32 v17, 32, v12
	v_subrev_u32_e32 v12, 28, v17
	v_lshlrev_b64 v[12:13], v12, v[14:15]
	v_sub_u32_e32 v13, 29, v17
	v_and_b32_e32 v12, 7, v12
	v_cndmask_b32_e32 v13, v16, v13, vcc
	v_cndmask_b32_e32 v1, v1, v12, vcc
	v_lshlrev_b32_e32 v12, 16, v26
	v_bfrev_b32_e32 v14, 60
	v_lshlrev_b32_e32 v1, 20, v1
	v_and_b32_e32 v12, 0x80000000, v12
	v_lshl_add_u32 v13, v13, 23, v14
	v_or3_b32 v1, v12, v13, v1
.LBB318_970:                            ;   in Loop: Header=BB318_809 Depth=1
	s_or_b64 exec, exec, s[40:41]
.LBB318_971:                            ;   in Loop: Header=BB318_809 Depth=1
	s_or_b64 exec, exec, s[28:29]
.LBB318_972:                            ;   in Loop: Header=BB318_809 Depth=1
	s_or_b64 exec, exec, s[26:27]
	v_lshrrev_b32_e32 v14, 16, v26
	v_cmp_ne_u16_sdwa s[28:29], v14, v15 src0_sel:BYTE_0 src1_sel:DWORD
	v_mov_b32_e32 v13, 0
	v_mov_b32_e32 v12, 0
	s_and_saveexec_b64 s[26:27], s[28:29]
	s_cbranch_execz .LBB318_978
; %bb.973:                              ;   in Loop: Header=BB318_809 Depth=1
	v_cmp_ne_u16_sdwa s[40:41], v14, s42 src0_sel:BYTE_0 src1_sel:DWORD
	v_bfrev_b32_e32 v12, 1
	s_and_saveexec_b64 s[28:29], s[40:41]
	s_cbranch_execz .LBB318_977
; %bb.974:                              ;   in Loop: Header=BB318_809 Depth=1
	v_bfe_u32 v16, v26, 16, 7
	v_cmp_ne_u32_e32 vcc, s43, v16
	v_mov_b32_e32 v12, 0x7f800001
	s_and_saveexec_b64 s[40:41], vcc
	s_cbranch_execz .LBB318_976
; %bb.975:                              ;   in Loop: Header=BB318_809 Depth=1
	v_and_b32_e32 v12, 7, v14
	v_lshrrev_b32_e32 v18, 3, v16
	v_cmp_gt_u32_e32 vcc, 8, v16
	v_ffbh_u32_e32 v16, v12
	v_min_u32_e32 v21, 32, v16
	v_subrev_u32_e32 v16, 28, v21
	v_lshlrev_b64 v[16:17], v16, v[14:15]
	v_sub_u32_e32 v17, 29, v21
	v_and_b32_e32 v16, 7, v16
	v_cndmask_b32_e32 v17, v18, v17, vcc
	v_cndmask_b32_e32 v12, v12, v16, vcc
	v_lshlrev_b32_e32 v14, 24, v14
	v_bfrev_b32_e32 v16, 60
	v_lshlrev_b32_e32 v12, 20, v12
	v_and_b32_e32 v14, 0x80000000, v14
	v_lshl_add_u32 v16, v17, 23, v16
	v_or3_b32 v12, v14, v16, v12
.LBB318_976:                            ;   in Loop: Header=BB318_809 Depth=1
	s_or_b64 exec, exec, s[40:41]
.LBB318_977:                            ;   in Loop: Header=BB318_809 Depth=1
	s_or_b64 exec, exec, s[28:29]
.LBB318_978:                            ;   in Loop: Header=BB318_809 Depth=1
	s_or_b64 exec, exec, s[26:27]
	v_cmp_lt_u32_e32 vcc, s11, v26
	s_and_saveexec_b64 s[26:27], vcc
	s_cbranch_execz .LBB318_984
; %bb.979:                              ;   in Loop: Header=BB318_809 Depth=1
	v_lshrrev_b32_e32 v14, 24, v26
	v_cmp_ne_u32_e32 vcc, s42, v14
	v_bfrev_b32_e32 v13, 1
	s_and_saveexec_b64 s[28:29], vcc
	s_cbranch_execz .LBB318_983
; %bb.980:                              ;   in Loop: Header=BB318_809 Depth=1
	v_bfe_u32 v16, v26, 24, 7
	v_cmp_ne_u32_e32 vcc, s43, v16
	v_mov_b32_e32 v13, 0x7f800001
	s_and_saveexec_b64 s[40:41], vcc
	s_cbranch_execz .LBB318_982
; %bb.981:                              ;   in Loop: Header=BB318_809 Depth=1
	v_and_b32_e32 v13, 7, v14
	v_lshrrev_b32_e32 v18, 3, v16
	v_cmp_gt_u32_e32 vcc, 8, v16
	v_ffbh_u32_e32 v16, v13
	v_min_u32_e32 v21, 32, v16
	v_subrev_u32_e32 v16, 28, v21
	v_lshlrev_b64 v[16:17], v16, v[14:15]
	v_sub_u32_e32 v17, 29, v21
	v_and_b32_e32 v16, 7, v16
	v_cndmask_b32_e32 v17, v18, v17, vcc
	v_cndmask_b32_e32 v13, v13, v16, vcc
	v_lshlrev_b32_e32 v14, 24, v14
	v_bfrev_b32_e32 v16, 60
	v_lshlrev_b32_e32 v13, 20, v13
	v_and_b32_e32 v14, 0x80000000, v14
	v_lshl_add_u32 v16, v17, 23, v16
	v_or3_b32 v13, v14, v16, v13
.LBB318_982:                            ;   in Loop: Header=BB318_809 Depth=1
	s_or_b64 exec, exec, s[40:41]
.LBB318_983:                            ;   in Loop: Header=BB318_809 Depth=1
	s_or_b64 exec, exec, s[28:29]
.LBB318_984:                            ;   in Loop: Header=BB318_809 Depth=1
	s_or_b64 exec, exec, s[26:27]
	v_mov_b32_e32 v14, v27
	v_cmp_ne_u16_sdwa s[28:29], v27, v15 src0_sel:BYTE_0 src1_sel:DWORD
	v_mov_b32_e32 v18, 0
	v_mov_b32_e32 v16, 0
	s_and_saveexec_b64 s[26:27], s[28:29]
	s_cbranch_execz .LBB318_990
; %bb.985:                              ;   in Loop: Header=BB318_809 Depth=1
	v_cmp_ne_u16_sdwa s[40:41], v27, s42 src0_sel:BYTE_0 src1_sel:DWORD
	v_bfrev_b32_e32 v16, 1
	s_and_saveexec_b64 s[28:29], s[40:41]
	s_cbranch_execz .LBB318_989
; %bb.986:                              ;   in Loop: Header=BB318_809 Depth=1
	v_and_b32_e32 v17, 0x7f, v27
	v_cmp_ne_u32_e32 vcc, s43, v17
	v_mov_b32_e32 v16, 0x7f800001
	s_and_saveexec_b64 s[40:41], vcc
	s_cbranch_execz .LBB318_988
; %bb.987:                              ;   in Loop: Header=BB318_809 Depth=1
	v_and_b32_e32 v16, 7, v27
	v_ffbh_u32_e32 v16, v16
	v_min_u32_e32 v16, 32, v16
	v_lshrrev_b32_e32 v21, 3, v17
	v_cmp_gt_u32_e32 vcc, 8, v17
	v_subrev_u32_e32 v17, 28, v16
	v_sub_u32_e32 v16, 29, v16
	v_cndmask_b32_e32 v21, v21, v16, vcc
	v_cndmask_b32_e32 v16, 0, v17, vcc
	v_lshlrev_b64 v[16:17], v16, v[14:15]
	v_lshlrev_b32_e32 v17, 24, v14
	v_lshlrev_b32_e32 v16, 20, v16
	v_bfrev_b32_e32 v22, 60
	v_and_b32_e32 v16, 0x700000, v16
	v_and_b32_e32 v17, 0x80000000, v17
	v_lshl_add_u32 v21, v21, 23, v22
	v_or3_b32 v16, v17, v21, v16
.LBB318_988:                            ;   in Loop: Header=BB318_809 Depth=1
	s_or_b64 exec, exec, s[40:41]
.LBB318_989:                            ;   in Loop: Header=BB318_809 Depth=1
	s_or_b64 exec, exec, s[28:29]
.LBB318_990:                            ;   in Loop: Header=BB318_809 Depth=1
	s_or_b64 exec, exec, s[26:27]
	v_lshrrev_b16_e32 v17, 8, v14
	v_cmp_ne_u16_e32 vcc, 0, v17
	s_and_saveexec_b64 s[26:27], vcc
	s_cbranch_execz .LBB318_996
; %bb.991:                              ;   in Loop: Header=BB318_809 Depth=1
	v_cmp_ne_u16_e32 vcc, s42, v17
	v_bfrev_b32_e32 v18, 1
	s_and_saveexec_b64 s[28:29], vcc
	s_cbranch_execz .LBB318_995
; %bb.992:                              ;   in Loop: Header=BB318_809 Depth=1
	v_and_b32_e32 v21, 0x7f, v17
	v_cmp_ne_u32_e32 vcc, s43, v21
	v_mov_b32_e32 v18, 0x7f800001
	s_and_saveexec_b64 s[40:41], vcc
	s_cbranch_execz .LBB318_994
; %bb.993:                              ;   in Loop: Header=BB318_809 Depth=1
	v_and_b32_e32 v22, 7, v17
	v_ffbh_u32_e32 v18, v22
	v_lshrrev_b32_e32 v23, 3, v21
	v_cmp_gt_u32_e32 vcc, 8, v21
	v_min_u32_e32 v21, 32, v18
	v_subrev_u32_e32 v18, 28, v21
	v_lshlrev_b64 v[17:18], v18, v[17:18]
	v_sub_u32_e32 v18, 29, v21
	v_and_b32_e32 v17, 7, v17
	v_cndmask_b32_e32 v18, v23, v18, vcc
	v_cndmask_b32_e32 v17, v22, v17, vcc
	v_lshlrev_b32_e32 v14, 16, v14
	v_bfrev_b32_e32 v21, 60
	v_lshlrev_b32_e32 v17, 20, v17
	v_and_b32_e32 v14, 0x80000000, v14
	v_lshl_add_u32 v18, v18, 23, v21
	v_add_u32_e32 v23, 1, v36
	v_or3_b32 v18, v14, v18, v17
.LBB318_994:                            ;   in Loop: Header=BB318_809 Depth=1
	s_or_b64 exec, exec, s[40:41]
.LBB318_995:                            ;   in Loop: Header=BB318_809 Depth=1
	s_or_b64 exec, exec, s[28:29]
.LBB318_996:                            ;   in Loop: Header=BB318_809 Depth=1
	s_or_b64 exec, exec, s[26:27]
	v_lshrrev_b32_e32 v14, 16, v27
	v_cmp_ne_u16_sdwa s[28:29], v14, v15 src0_sel:BYTE_0 src1_sel:DWORD
	v_mov_b32_e32 v17, 0
	v_mov_b32_e32 v21, 0
	s_and_saveexec_b64 s[26:27], s[28:29]
	s_cbranch_execz .LBB318_1002
; %bb.997:                              ;   in Loop: Header=BB318_809 Depth=1
	v_cmp_ne_u16_sdwa s[40:41], v14, s42 src0_sel:BYTE_0 src1_sel:DWORD
	v_bfrev_b32_e32 v21, 1
	s_and_saveexec_b64 s[28:29], s[40:41]
	s_cbranch_execz .LBB318_1001
; %bb.998:                              ;   in Loop: Header=BB318_809 Depth=1
	v_bfe_u32 v22, v27, 16, 7
	v_cmp_ne_u32_e32 vcc, s43, v22
	v_mov_b32_e32 v21, 0x7f800001
	s_and_saveexec_b64 s[40:41], vcc
	s_cbranch_execz .LBB318_1000
; %bb.999:                              ;   in Loop: Header=BB318_809 Depth=1
	v_and_b32_e32 v23, 7, v14
	v_ffbh_u32_e32 v21, v23
	v_min_u32_e32 v29, 32, v21
	v_subrev_u32_e32 v21, 28, v29
	v_lshrrev_b32_e32 v28, 3, v22
	v_cmp_gt_u32_e32 vcc, 8, v22
	v_lshlrev_b64 v[21:22], v21, v[14:15]
	v_sub_u32_e32 v22, 29, v29
	v_and_b32_e32 v21, 7, v21
	v_cndmask_b32_e32 v22, v28, v22, vcc
	v_cndmask_b32_e32 v21, v23, v21, vcc
	v_lshlrev_b32_e32 v14, 24, v14
	v_bfrev_b32_e32 v23, 60
	v_lshlrev_b32_e32 v21, 20, v21
	v_and_b32_e32 v14, 0x80000000, v14
	v_lshl_add_u32 v22, v22, 23, v23
	v_add_u32_e32 v29, 3, v36
	v_add_u32_e32 v23, 1, v36
	v_or3_b32 v21, v14, v22, v21
.LBB318_1000:                           ;   in Loop: Header=BB318_809 Depth=1
	s_or_b64 exec, exec, s[40:41]
.LBB318_1001:                           ;   in Loop: Header=BB318_809 Depth=1
	s_or_b64 exec, exec, s[28:29]
.LBB318_1002:                           ;   in Loop: Header=BB318_809 Depth=1
	s_or_b64 exec, exec, s[26:27]
	v_cmp_lt_u64_e32 vcc, s[10:11], v[26:27]
	s_and_saveexec_b64 s[26:27], vcc
	s_cbranch_execz .LBB318_1008
; %bb.1003:                             ;   in Loop: Header=BB318_809 Depth=1
	v_lshrrev_b32_e32 v14, 24, v27
	v_cmp_ne_u32_e32 vcc, s42, v14
	v_bfrev_b32_e32 v17, 1
	s_and_saveexec_b64 s[28:29], vcc
	s_cbranch_execz .LBB318_1007
; %bb.1004:                             ;   in Loop: Header=BB318_809 Depth=1
	v_bfe_u32 v22, v27, 24, 7
	v_cmp_ne_u32_e32 vcc, s43, v22
	v_mov_b32_e32 v17, 0x7f800001
	s_and_saveexec_b64 s[40:41], vcc
	s_cbranch_execz .LBB318_1006
; %bb.1005:                             ;   in Loop: Header=BB318_809 Depth=1
	v_and_b32_e32 v17, 7, v14
	v_lshrrev_b32_e32 v26, 3, v22
	v_cmp_gt_u32_e32 vcc, 8, v22
	v_ffbh_u32_e32 v22, v17
	v_min_u32_e32 v27, 32, v22
	v_subrev_u32_e32 v22, 28, v27
	v_lshlrev_b64 v[22:23], v22, v[14:15]
	v_sub_u32_e32 v23, 29, v27
	v_and_b32_e32 v22, 7, v22
	v_cndmask_b32_e32 v23, v26, v23, vcc
	v_cndmask_b32_e32 v17, v17, v22, vcc
	v_lshlrev_b32_e32 v14, 24, v14
	v_bfrev_b32_e32 v22, 60
	v_lshlrev_b32_e32 v17, 20, v17
	v_and_b32_e32 v14, 0x80000000, v14
	v_lshl_add_u32 v22, v23, 23, v22
	v_add_u32_e32 v23, 1, v36
	v_or3_b32 v17, v14, v22, v17
.LBB318_1006:                           ;   in Loop: Header=BB318_809 Depth=1
	s_or_b64 exec, exec, s[40:41]
.LBB318_1007:                           ;   in Loop: Header=BB318_809 Depth=1
	s_or_b64 exec, exec, s[28:29]
.LBB318_1008:                           ;   in Loop: Header=BB318_809 Depth=1
	s_or_b64 exec, exec, s[26:27]
	v_mul_f32_e32 v14, v46, v18
	v_bfe_u32 v18, v14, 16, 1
	v_add3_u32 v18, v18, v14, s44
	v_or_b32_e32 v22, 0x400000, v14
	v_cmp_u_f32_e32 vcc, v14, v14
	v_cndmask_b32_e32 v14, v18, v22, vcc
	v_lshrrev_b32_e32 v14, 16, v14
	buffer_store_dword v14, off, s[0:3], s32 offset:200 ; 4-byte Folded Spill
	v_mul_f32_e32 v14, v46, v16
	v_bfe_u32 v16, v14, 16, 1
	v_add3_u32 v16, v16, v14, s44
	v_or_b32_e32 v18, 0x400000, v14
	v_cmp_u_f32_e32 vcc, v14, v14
	v_cndmask_b32_e32 v14, v16, v18, vcc
	v_lshrrev_b32_e32 v14, 16, v14
	v_mul_f32_e32 v13, v46, v13
	buffer_store_dword v14, off, s[0:3], s32 offset:196 ; 4-byte Folded Spill
	v_bfe_u32 v14, v13, 16, 1
	v_add3_u32 v14, v14, v13, s44
	v_or_b32_e32 v16, 0x400000, v13
	v_cmp_u_f32_e32 vcc, v13, v13
	v_cndmask_b32_e32 v13, v14, v16, vcc
	v_lshrrev_b32_e32 v13, 16, v13
	v_mul_f32_e32 v12, v46, v12
	buffer_store_dword v13, off, s[0:3], s32 offset:212 ; 4-byte Folded Spill
	;; [unrolled: 8-line block ×4, first 2 shown]
	v_bfe_u32 v1, v0, 16, 1
	v_add3_u32 v1, v1, v0, s44
	v_or_b32_e32 v12, 0x400000, v0
	v_cmp_u_f32_e32 vcc, v0, v0
	v_cndmask_b32_e32 v0, v1, v12, vcc
	v_lshrrev_b32_e32 v0, 16, v0
	buffer_store_dword v0, off, s[0:3], s32 offset:220 ; 4-byte Folded Spill
	v_mul_f32_e32 v0, v46, v21
	v_bfe_u32 v1, v0, 16, 1
	v_add3_u32 v1, v1, v0, s44
	v_or_b32_e32 v12, 0x400000, v0
	v_cmp_u_f32_e32 vcc, v0, v0
	v_cndmask_b32_e32 v0, v1, v12, vcc
	v_lshrrev_b32_e32 v0, 16, v0
	buffer_store_dword v0, off, s[0:3], s32 offset:204 ; 4-byte Folded Spill
	v_mul_f32_e32 v0, v46, v17
	v_bfe_u32 v1, v0, 16, 1
	v_add3_u32 v1, v1, v0, s44
	v_or_b32_e32 v12, 0x400000, v0
	v_cmp_u_f32_e32 vcc, v0, v0
	v_cndmask_b32_e32 v0, v1, v12, vcc
	v_lshrrev_b32_e32 v0, 16, v0
	buffer_store_dword v0, off, s[0:3], s32 offset:216 ; 4-byte Folded Spill
	s_and_saveexec_b64 s[26:27], s[6:7]
	s_cbranch_execz .LBB318_1010
; %bb.1009:                             ;   in Loop: Header=BB318_809 Depth=1
	buffer_load_dword v0, off, s[0:3], s32 offset:64 ; 4-byte Folded Reload
	buffer_load_dword v1, off, s[0:3], s32 offset:220 ; 4-byte Folded Reload
	s_waitcnt vmcnt(1)
	v_cmp_lt_i32_e32 vcc, v36, v0
	s_waitcnt vmcnt(0)
	v_cndmask_b32_e32 v1, 0, v1, vcc
	buffer_store_dword v1, off, s[0:3], s32 offset:220 ; 4-byte Folded Spill
	buffer_load_dword v1, off, s[0:3], s32 offset:224 ; 4-byte Folded Reload
	v_cmp_lt_i32_e32 vcc, v23, v0
	s_waitcnt vmcnt(0)
	v_cndmask_b32_e32 v1, 0, v1, vcc
	buffer_store_dword v1, off, s[0:3], s32 offset:224 ; 4-byte Folded Spill
	buffer_load_dword v1, off, s[0:3], s32 offset:208 ; 4-byte Folded Reload
	;; [unrolled: 5-line block ×6, first 2 shown]
	v_cmp_lt_i32_e32 vcc, v39, v0
	s_waitcnt vmcnt(0)
	v_cndmask_b32_e32 v1, 0, v1, vcc
	v_cmp_lt_i32_e32 vcc, v38, v0
	buffer_load_dword v0, off, s[0:3], s32 offset:216 ; 4-byte Folded Reload
	s_waitcnt vmcnt(0)
	v_cndmask_b32_e32 v0, 0, v0, vcc
	buffer_store_dword v1, off, s[0:3], s32 offset:204 ; 4-byte Folded Spill
	buffer_store_dword v0, off, s[0:3], s32 offset:216 ; 4-byte Folded Spill
.LBB318_1010:                           ;   in Loop: Header=BB318_809 Depth=1
	s_or_b64 exec, exec, s[26:27]
	flat_load_dwordx2 v[26:27], v[24:25] offset:2048
	v_mov_b32_e32 v1, 0
	v_mov_b32_e32 v0, 0
	s_waitcnt vmcnt(0) lgkmcnt(0)
	v_cmp_ne_u16_sdwa s[28:29], v26, v15 src0_sel:BYTE_0 src1_sel:DWORD
	s_and_saveexec_b64 s[26:27], s[28:29]
	s_cbranch_execz .LBB318_1016
; %bb.1011:                             ;   in Loop: Header=BB318_809 Depth=1
	v_cmp_ne_u16_sdwa s[40:41], v26, s42 src0_sel:BYTE_0 src1_sel:DWORD
	v_bfrev_b32_e32 v0, 1
	s_and_saveexec_b64 s[28:29], s[40:41]
	s_cbranch_execz .LBB318_1015
; %bb.1012:                             ;   in Loop: Header=BB318_809 Depth=1
	v_and_b32_e32 v12, 0x7f, v26
	v_cmp_ne_u32_e32 vcc, s43, v12
	v_mov_b32_e32 v0, 0x7f800001
	s_and_saveexec_b64 s[40:41], vcc
	s_cbranch_execz .LBB318_1014
; %bb.1013:                             ;   in Loop: Header=BB318_809 Depth=1
	v_and_b32_e32 v0, 7, v26
	v_ffbh_u32_e32 v0, v0
	v_min_u32_e32 v0, 32, v0
	v_lshrrev_b32_e32 v13, 3, v12
	v_cmp_gt_u32_e32 vcc, 8, v12
	v_subrev_u32_e32 v12, 28, v0
	v_sub_u32_e32 v0, 29, v0
	v_cndmask_b32_e32 v12, 0, v12, vcc
	v_cndmask_b32_e32 v0, v13, v0, vcc
	v_lshlrev_b64 v[12:13], v12, v[26:27]
	v_lshlrev_b32_e32 v13, 24, v26
	v_lshlrev_b32_e32 v12, 20, v12
	v_bfrev_b32_e32 v14, 60
	v_and_b32_e32 v12, 0x700000, v12
	v_and_b32_e32 v13, 0x80000000, v13
	v_lshl_add_u32 v0, v0, 23, v14
	v_or3_b32 v0, v13, v0, v12
.LBB318_1014:                           ;   in Loop: Header=BB318_809 Depth=1
	s_or_b64 exec, exec, s[40:41]
.LBB318_1015:                           ;   in Loop: Header=BB318_809 Depth=1
	s_or_b64 exec, exec, s[28:29]
.LBB318_1016:                           ;   in Loop: Header=BB318_809 Depth=1
	s_or_b64 exec, exec, s[26:27]
	v_lshrrev_b16_e32 v14, 8, v26
	v_cmp_ne_u16_e32 vcc, 0, v14
	s_and_saveexec_b64 s[26:27], vcc
	s_cbranch_execz .LBB318_1022
; %bb.1017:                             ;   in Loop: Header=BB318_809 Depth=1
	v_cmp_ne_u16_e32 vcc, s42, v14
	v_bfrev_b32_e32 v1, 1
	s_and_saveexec_b64 s[28:29], vcc
	s_cbranch_execz .LBB318_1021
; %bb.1018:                             ;   in Loop: Header=BB318_809 Depth=1
	v_and_b32_e32 v12, 0x7f, v14
	v_cmp_ne_u32_e32 vcc, s43, v12
	v_mov_b32_e32 v1, 0x7f800001
	s_and_saveexec_b64 s[40:41], vcc
	s_cbranch_execz .LBB318_1020
; %bb.1019:                             ;   in Loop: Header=BB318_809 Depth=1
	v_and_b32_e32 v1, 7, v14
	v_lshrrev_b32_e32 v16, 3, v12
	v_cmp_gt_u32_e32 vcc, 8, v12
	v_ffbh_u32_e32 v12, v1
	v_min_u32_e32 v17, 32, v12
	v_subrev_u32_e32 v12, 28, v17
	v_lshlrev_b64 v[12:13], v12, v[14:15]
	v_sub_u32_e32 v13, 29, v17
	v_and_b32_e32 v12, 7, v12
	v_cndmask_b32_e32 v13, v16, v13, vcc
	v_cndmask_b32_e32 v1, v1, v12, vcc
	v_lshlrev_b32_e32 v12, 16, v26
	v_bfrev_b32_e32 v14, 60
	v_lshlrev_b32_e32 v1, 20, v1
	v_and_b32_e32 v12, 0x80000000, v12
	v_lshl_add_u32 v13, v13, 23, v14
	v_or3_b32 v1, v12, v13, v1
.LBB318_1020:                           ;   in Loop: Header=BB318_809 Depth=1
	s_or_b64 exec, exec, s[40:41]
.LBB318_1021:                           ;   in Loop: Header=BB318_809 Depth=1
	s_or_b64 exec, exec, s[28:29]
.LBB318_1022:                           ;   in Loop: Header=BB318_809 Depth=1
	s_or_b64 exec, exec, s[26:27]
	v_lshrrev_b32_e32 v14, 16, v26
	v_cmp_ne_u16_sdwa s[28:29], v14, v15 src0_sel:BYTE_0 src1_sel:DWORD
	v_mov_b32_e32 v13, 0
	v_mov_b32_e32 v12, 0
	s_and_saveexec_b64 s[26:27], s[28:29]
	s_cbranch_execz .LBB318_1028
; %bb.1023:                             ;   in Loop: Header=BB318_809 Depth=1
	v_cmp_ne_u16_sdwa s[40:41], v14, s42 src0_sel:BYTE_0 src1_sel:DWORD
	v_bfrev_b32_e32 v12, 1
	s_and_saveexec_b64 s[28:29], s[40:41]
	s_cbranch_execz .LBB318_1027
; %bb.1024:                             ;   in Loop: Header=BB318_809 Depth=1
	v_bfe_u32 v16, v26, 16, 7
	v_cmp_ne_u32_e32 vcc, s43, v16
	v_mov_b32_e32 v12, 0x7f800001
	s_and_saveexec_b64 s[40:41], vcc
	s_cbranch_execz .LBB318_1026
; %bb.1025:                             ;   in Loop: Header=BB318_809 Depth=1
	v_and_b32_e32 v12, 7, v14
	v_lshrrev_b32_e32 v18, 3, v16
	v_cmp_gt_u32_e32 vcc, 8, v16
	v_ffbh_u32_e32 v16, v12
	v_min_u32_e32 v21, 32, v16
	v_subrev_u32_e32 v16, 28, v21
	v_lshlrev_b64 v[16:17], v16, v[14:15]
	v_sub_u32_e32 v17, 29, v21
	v_and_b32_e32 v16, 7, v16
	v_cndmask_b32_e32 v17, v18, v17, vcc
	v_cndmask_b32_e32 v12, v12, v16, vcc
	v_lshlrev_b32_e32 v14, 24, v14
	v_bfrev_b32_e32 v16, 60
	v_lshlrev_b32_e32 v12, 20, v12
	v_and_b32_e32 v14, 0x80000000, v14
	v_lshl_add_u32 v16, v17, 23, v16
	v_or3_b32 v12, v14, v16, v12
.LBB318_1026:                           ;   in Loop: Header=BB318_809 Depth=1
	s_or_b64 exec, exec, s[40:41]
.LBB318_1027:                           ;   in Loop: Header=BB318_809 Depth=1
	s_or_b64 exec, exec, s[28:29]
.LBB318_1028:                           ;   in Loop: Header=BB318_809 Depth=1
	s_or_b64 exec, exec, s[26:27]
	v_cmp_lt_u32_e32 vcc, s11, v26
	s_and_saveexec_b64 s[26:27], vcc
	s_cbranch_execz .LBB318_1034
; %bb.1029:                             ;   in Loop: Header=BB318_809 Depth=1
	v_lshrrev_b32_e32 v14, 24, v26
	v_cmp_ne_u32_e32 vcc, s42, v14
	v_bfrev_b32_e32 v13, 1
	s_and_saveexec_b64 s[28:29], vcc
	s_cbranch_execz .LBB318_1033
; %bb.1030:                             ;   in Loop: Header=BB318_809 Depth=1
	v_bfe_u32 v16, v26, 24, 7
	v_cmp_ne_u32_e32 vcc, s43, v16
	v_mov_b32_e32 v13, 0x7f800001
	s_and_saveexec_b64 s[40:41], vcc
	s_cbranch_execz .LBB318_1032
; %bb.1031:                             ;   in Loop: Header=BB318_809 Depth=1
	v_and_b32_e32 v13, 7, v14
	v_lshrrev_b32_e32 v18, 3, v16
	v_cmp_gt_u32_e32 vcc, 8, v16
	v_ffbh_u32_e32 v16, v13
	v_min_u32_e32 v21, 32, v16
	v_subrev_u32_e32 v16, 28, v21
	v_lshlrev_b64 v[16:17], v16, v[14:15]
	v_sub_u32_e32 v17, 29, v21
	v_and_b32_e32 v16, 7, v16
	v_cndmask_b32_e32 v17, v18, v17, vcc
	v_cndmask_b32_e32 v13, v13, v16, vcc
	v_lshlrev_b32_e32 v14, 24, v14
	v_bfrev_b32_e32 v16, 60
	v_lshlrev_b32_e32 v13, 20, v13
	v_and_b32_e32 v14, 0x80000000, v14
	v_lshl_add_u32 v16, v17, 23, v16
	v_or3_b32 v13, v14, v16, v13
.LBB318_1032:                           ;   in Loop: Header=BB318_809 Depth=1
	s_or_b64 exec, exec, s[40:41]
.LBB318_1033:                           ;   in Loop: Header=BB318_809 Depth=1
	s_or_b64 exec, exec, s[28:29]
.LBB318_1034:                           ;   in Loop: Header=BB318_809 Depth=1
	s_or_b64 exec, exec, s[26:27]
	v_mov_b32_e32 v14, v27
	v_cmp_ne_u16_sdwa s[28:29], v27, v15 src0_sel:BYTE_0 src1_sel:DWORD
	v_mov_b32_e32 v18, 0
	v_mov_b32_e32 v16, 0
	s_and_saveexec_b64 s[26:27], s[28:29]
	s_cbranch_execz .LBB318_1040
; %bb.1035:                             ;   in Loop: Header=BB318_809 Depth=1
	v_cmp_ne_u16_sdwa s[40:41], v27, s42 src0_sel:BYTE_0 src1_sel:DWORD
	v_bfrev_b32_e32 v16, 1
	s_and_saveexec_b64 s[28:29], s[40:41]
	s_cbranch_execz .LBB318_1039
; %bb.1036:                             ;   in Loop: Header=BB318_809 Depth=1
	v_and_b32_e32 v17, 0x7f, v27
	v_cmp_ne_u32_e32 vcc, s43, v17
	v_mov_b32_e32 v16, 0x7f800001
	s_and_saveexec_b64 s[40:41], vcc
	s_cbranch_execz .LBB318_1038
; %bb.1037:                             ;   in Loop: Header=BB318_809 Depth=1
	v_and_b32_e32 v16, 7, v27
	v_ffbh_u32_e32 v16, v16
	v_min_u32_e32 v16, 32, v16
	v_lshrrev_b32_e32 v21, 3, v17
	v_cmp_gt_u32_e32 vcc, 8, v17
	v_subrev_u32_e32 v17, 28, v16
	v_sub_u32_e32 v16, 29, v16
	v_cndmask_b32_e32 v21, v21, v16, vcc
	v_cndmask_b32_e32 v16, 0, v17, vcc
	v_lshlrev_b64 v[16:17], v16, v[14:15]
	v_lshlrev_b32_e32 v17, 24, v14
	v_lshlrev_b32_e32 v16, 20, v16
	v_bfrev_b32_e32 v22, 60
	v_and_b32_e32 v16, 0x700000, v16
	v_and_b32_e32 v17, 0x80000000, v17
	v_lshl_add_u32 v21, v21, 23, v22
	v_or3_b32 v16, v17, v21, v16
.LBB318_1038:                           ;   in Loop: Header=BB318_809 Depth=1
	s_or_b64 exec, exec, s[40:41]
.LBB318_1039:                           ;   in Loop: Header=BB318_809 Depth=1
	s_or_b64 exec, exec, s[28:29]
.LBB318_1040:                           ;   in Loop: Header=BB318_809 Depth=1
	s_or_b64 exec, exec, s[26:27]
	v_lshrrev_b16_e32 v17, 8, v14
	v_cmp_ne_u16_e32 vcc, 0, v17
	s_and_saveexec_b64 s[26:27], vcc
	s_cbranch_execz .LBB318_1046
; %bb.1041:                             ;   in Loop: Header=BB318_809 Depth=1
	v_cmp_ne_u16_e32 vcc, s42, v17
	v_bfrev_b32_e32 v18, 1
	s_and_saveexec_b64 s[28:29], vcc
	s_cbranch_execz .LBB318_1045
; %bb.1042:                             ;   in Loop: Header=BB318_809 Depth=1
	v_and_b32_e32 v21, 0x7f, v17
	v_cmp_ne_u32_e32 vcc, s43, v21
	v_mov_b32_e32 v18, 0x7f800001
	s_and_saveexec_b64 s[40:41], vcc
	s_cbranch_execz .LBB318_1044
; %bb.1043:                             ;   in Loop: Header=BB318_809 Depth=1
	v_and_b32_e32 v22, 7, v17
	v_ffbh_u32_e32 v18, v22
	v_lshrrev_b32_e32 v23, 3, v21
	v_cmp_gt_u32_e32 vcc, 8, v21
	v_min_u32_e32 v21, 32, v18
	v_subrev_u32_e32 v18, 28, v21
	v_lshlrev_b64 v[17:18], v18, v[17:18]
	v_sub_u32_e32 v18, 29, v21
	v_and_b32_e32 v17, 7, v17
	v_cndmask_b32_e32 v18, v23, v18, vcc
	v_cndmask_b32_e32 v17, v22, v17, vcc
	v_lshlrev_b32_e32 v14, 16, v14
	v_bfrev_b32_e32 v21, 60
	v_lshlrev_b32_e32 v17, 20, v17
	v_and_b32_e32 v14, 0x80000000, v14
	v_lshl_add_u32 v18, v18, 23, v21
	v_add_u32_e32 v23, 1, v36
	v_or3_b32 v18, v14, v18, v17
.LBB318_1044:                           ;   in Loop: Header=BB318_809 Depth=1
	s_or_b64 exec, exec, s[40:41]
.LBB318_1045:                           ;   in Loop: Header=BB318_809 Depth=1
	s_or_b64 exec, exec, s[28:29]
.LBB318_1046:                           ;   in Loop: Header=BB318_809 Depth=1
	s_or_b64 exec, exec, s[26:27]
	v_lshrrev_b32_e32 v14, 16, v27
	v_cmp_ne_u16_sdwa s[28:29], v14, v15 src0_sel:BYTE_0 src1_sel:DWORD
	v_mov_b32_e32 v17, 0
	v_mov_b32_e32 v21, 0
	s_and_saveexec_b64 s[26:27], s[28:29]
	s_cbranch_execz .LBB318_1052
; %bb.1047:                             ;   in Loop: Header=BB318_809 Depth=1
	v_cmp_ne_u16_sdwa s[40:41], v14, s42 src0_sel:BYTE_0 src1_sel:DWORD
	v_bfrev_b32_e32 v21, 1
	s_and_saveexec_b64 s[28:29], s[40:41]
	s_cbranch_execz .LBB318_1051
; %bb.1048:                             ;   in Loop: Header=BB318_809 Depth=1
	v_bfe_u32 v22, v27, 16, 7
	v_cmp_ne_u32_e32 vcc, s43, v22
	v_mov_b32_e32 v21, 0x7f800001
	s_and_saveexec_b64 s[40:41], vcc
	s_cbranch_execz .LBB318_1050
; %bb.1049:                             ;   in Loop: Header=BB318_809 Depth=1
	v_and_b32_e32 v23, 7, v14
	v_ffbh_u32_e32 v21, v23
	v_min_u32_e32 v29, 32, v21
	v_subrev_u32_e32 v21, 28, v29
	v_lshrrev_b32_e32 v28, 3, v22
	v_cmp_gt_u32_e32 vcc, 8, v22
	v_lshlrev_b64 v[21:22], v21, v[14:15]
	v_sub_u32_e32 v22, 29, v29
	v_and_b32_e32 v21, 7, v21
	v_cndmask_b32_e32 v22, v28, v22, vcc
	v_cndmask_b32_e32 v21, v23, v21, vcc
	v_lshlrev_b32_e32 v14, 24, v14
	v_bfrev_b32_e32 v23, 60
	v_lshlrev_b32_e32 v21, 20, v21
	v_and_b32_e32 v14, 0x80000000, v14
	v_lshl_add_u32 v22, v22, 23, v23
	v_add_u32_e32 v29, 3, v36
	v_add_u32_e32 v23, 1, v36
	v_or3_b32 v21, v14, v22, v21
.LBB318_1050:                           ;   in Loop: Header=BB318_809 Depth=1
	s_or_b64 exec, exec, s[40:41]
.LBB318_1051:                           ;   in Loop: Header=BB318_809 Depth=1
	s_or_b64 exec, exec, s[28:29]
.LBB318_1052:                           ;   in Loop: Header=BB318_809 Depth=1
	s_or_b64 exec, exec, s[26:27]
	v_cmp_lt_u64_e32 vcc, s[10:11], v[26:27]
	s_and_saveexec_b64 s[26:27], vcc
	s_cbranch_execz .LBB318_1058
; %bb.1053:                             ;   in Loop: Header=BB318_809 Depth=1
	v_lshrrev_b32_e32 v14, 24, v27
	v_cmp_ne_u32_e32 vcc, s42, v14
	v_bfrev_b32_e32 v17, 1
	s_and_saveexec_b64 s[28:29], vcc
	s_cbranch_execz .LBB318_1057
; %bb.1054:                             ;   in Loop: Header=BB318_809 Depth=1
	v_bfe_u32 v22, v27, 24, 7
	v_cmp_ne_u32_e32 vcc, s43, v22
	v_mov_b32_e32 v17, 0x7f800001
	s_and_saveexec_b64 s[40:41], vcc
	s_cbranch_execz .LBB318_1056
; %bb.1055:                             ;   in Loop: Header=BB318_809 Depth=1
	v_and_b32_e32 v17, 7, v14
	v_lshrrev_b32_e32 v26, 3, v22
	v_cmp_gt_u32_e32 vcc, 8, v22
	v_ffbh_u32_e32 v22, v17
	v_min_u32_e32 v27, 32, v22
	v_subrev_u32_e32 v22, 28, v27
	v_lshlrev_b64 v[22:23], v22, v[14:15]
	v_sub_u32_e32 v23, 29, v27
	v_and_b32_e32 v22, 7, v22
	v_cndmask_b32_e32 v23, v26, v23, vcc
	v_cndmask_b32_e32 v17, v17, v22, vcc
	v_lshlrev_b32_e32 v14, 24, v14
	v_bfrev_b32_e32 v22, 60
	v_lshlrev_b32_e32 v17, 20, v17
	v_and_b32_e32 v14, 0x80000000, v14
	v_lshl_add_u32 v22, v23, 23, v22
	v_add_u32_e32 v23, 1, v36
	v_or3_b32 v17, v14, v22, v17
.LBB318_1056:                           ;   in Loop: Header=BB318_809 Depth=1
	s_or_b64 exec, exec, s[40:41]
.LBB318_1057:                           ;   in Loop: Header=BB318_809 Depth=1
	s_or_b64 exec, exec, s[28:29]
.LBB318_1058:                           ;   in Loop: Header=BB318_809 Depth=1
	s_or_b64 exec, exec, s[26:27]
	v_mul_f32_e32 v14, v46, v18
	v_bfe_u32 v18, v14, 16, 1
	v_add3_u32 v18, v18, v14, s44
	v_or_b32_e32 v22, 0x400000, v14
	v_cmp_u_f32_e32 vcc, v14, v14
	v_cndmask_b32_e32 v14, v18, v22, vcc
	v_lshrrev_b32_e32 v14, 16, v14
	buffer_store_dword v14, off, s[0:3], s32 offset:232 ; 4-byte Folded Spill
	v_mul_f32_e32 v14, v46, v16
	v_bfe_u32 v16, v14, 16, 1
	v_add3_u32 v16, v16, v14, s44
	v_or_b32_e32 v18, 0x400000, v14
	v_cmp_u_f32_e32 vcc, v14, v14
	v_cndmask_b32_e32 v14, v16, v18, vcc
	v_lshrrev_b32_e32 v14, 16, v14
	v_mul_f32_e32 v13, v46, v13
	buffer_store_dword v14, off, s[0:3], s32 offset:228 ; 4-byte Folded Spill
	v_bfe_u32 v14, v13, 16, 1
	v_add3_u32 v14, v14, v13, s44
	v_or_b32_e32 v16, 0x400000, v13
	v_cmp_u_f32_e32 vcc, v13, v13
	v_cndmask_b32_e32 v13, v14, v16, vcc
	v_lshrrev_b32_e32 v13, 16, v13
	v_mul_f32_e32 v12, v46, v12
	buffer_store_dword v13, off, s[0:3], s32 offset:244 ; 4-byte Folded Spill
	;; [unrolled: 8-line block ×4, first 2 shown]
	v_bfe_u32 v1, v0, 16, 1
	v_add3_u32 v1, v1, v0, s44
	v_or_b32_e32 v12, 0x400000, v0
	v_cmp_u_f32_e32 vcc, v0, v0
	v_cndmask_b32_e32 v0, v1, v12, vcc
	v_lshrrev_b32_e32 v0, 16, v0
	buffer_store_dword v0, off, s[0:3], s32 offset:252 ; 4-byte Folded Spill
	v_mul_f32_e32 v0, v46, v21
	v_bfe_u32 v1, v0, 16, 1
	v_add3_u32 v1, v1, v0, s44
	v_or_b32_e32 v12, 0x400000, v0
	v_cmp_u_f32_e32 vcc, v0, v0
	v_cndmask_b32_e32 v0, v1, v12, vcc
	v_lshrrev_b32_e32 v0, 16, v0
	buffer_store_dword v0, off, s[0:3], s32 offset:236 ; 4-byte Folded Spill
	v_mul_f32_e32 v0, v46, v17
	v_bfe_u32 v1, v0, 16, 1
	v_add3_u32 v1, v1, v0, s44
	v_or_b32_e32 v12, 0x400000, v0
	v_cmp_u_f32_e32 vcc, v0, v0
	v_cndmask_b32_e32 v0, v1, v12, vcc
	v_lshrrev_b32_e32 v0, 16, v0
	buffer_store_dword v0, off, s[0:3], s32 offset:248 ; 4-byte Folded Spill
	s_and_saveexec_b64 s[26:27], s[6:7]
	s_cbranch_execz .LBB318_1060
; %bb.1059:                             ;   in Loop: Header=BB318_809 Depth=1
	buffer_load_dword v0, off, s[0:3], s32 offset:64 ; 4-byte Folded Reload
	buffer_load_dword v1, off, s[0:3], s32 offset:252 ; 4-byte Folded Reload
	s_waitcnt vmcnt(1)
	v_cmp_lt_i32_e32 vcc, v36, v0
	s_waitcnt vmcnt(0)
	v_cndmask_b32_e32 v1, 0, v1, vcc
	buffer_store_dword v1, off, s[0:3], s32 offset:252 ; 4-byte Folded Spill
	buffer_load_dword v1, off, s[0:3], s32 offset:256 ; 4-byte Folded Reload
	v_cmp_lt_i32_e32 vcc, v23, v0
	s_waitcnt vmcnt(0)
	v_cndmask_b32_e32 v1, 0, v1, vcc
	buffer_store_dword v1, off, s[0:3], s32 offset:256 ; 4-byte Folded Spill
	buffer_load_dword v1, off, s[0:3], s32 offset:240 ; 4-byte Folded Reload
	;; [unrolled: 5-line block ×6, first 2 shown]
	v_cmp_lt_i32_e32 vcc, v39, v0
	s_waitcnt vmcnt(0)
	v_cndmask_b32_e32 v1, 0, v1, vcc
	v_cmp_lt_i32_e32 vcc, v38, v0
	buffer_load_dword v0, off, s[0:3], s32 offset:248 ; 4-byte Folded Reload
	s_waitcnt vmcnt(0)
	v_cndmask_b32_e32 v0, 0, v0, vcc
	buffer_store_dword v1, off, s[0:3], s32 offset:236 ; 4-byte Folded Spill
	buffer_store_dword v0, off, s[0:3], s32 offset:248 ; 4-byte Folded Spill
.LBB318_1060:                           ;   in Loop: Header=BB318_809 Depth=1
	s_or_b64 exec, exec, s[26:27]
	flat_load_dwordx2 v[26:27], v[24:25] offset:2560
	v_mov_b32_e32 v1, 0
	v_mov_b32_e32 v0, 0
	s_waitcnt vmcnt(0) lgkmcnt(0)
	v_cmp_ne_u16_sdwa s[28:29], v26, v15 src0_sel:BYTE_0 src1_sel:DWORD
	s_and_saveexec_b64 s[26:27], s[28:29]
	s_cbranch_execz .LBB318_1066
; %bb.1061:                             ;   in Loop: Header=BB318_809 Depth=1
	v_cmp_ne_u16_sdwa s[40:41], v26, s42 src0_sel:BYTE_0 src1_sel:DWORD
	v_bfrev_b32_e32 v0, 1
	s_and_saveexec_b64 s[28:29], s[40:41]
	s_cbranch_execz .LBB318_1065
; %bb.1062:                             ;   in Loop: Header=BB318_809 Depth=1
	v_and_b32_e32 v12, 0x7f, v26
	v_cmp_ne_u32_e32 vcc, s43, v12
	v_mov_b32_e32 v0, 0x7f800001
	s_and_saveexec_b64 s[40:41], vcc
	s_cbranch_execz .LBB318_1064
; %bb.1063:                             ;   in Loop: Header=BB318_809 Depth=1
	v_and_b32_e32 v0, 7, v26
	v_ffbh_u32_e32 v0, v0
	v_min_u32_e32 v0, 32, v0
	v_lshrrev_b32_e32 v13, 3, v12
	v_cmp_gt_u32_e32 vcc, 8, v12
	v_subrev_u32_e32 v12, 28, v0
	v_sub_u32_e32 v0, 29, v0
	v_cndmask_b32_e32 v12, 0, v12, vcc
	v_cndmask_b32_e32 v0, v13, v0, vcc
	v_lshlrev_b64 v[12:13], v12, v[26:27]
	v_lshlrev_b32_e32 v13, 24, v26
	v_lshlrev_b32_e32 v12, 20, v12
	v_bfrev_b32_e32 v14, 60
	v_and_b32_e32 v12, 0x700000, v12
	v_and_b32_e32 v13, 0x80000000, v13
	v_lshl_add_u32 v0, v0, 23, v14
	v_or3_b32 v0, v13, v0, v12
.LBB318_1064:                           ;   in Loop: Header=BB318_809 Depth=1
	s_or_b64 exec, exec, s[40:41]
.LBB318_1065:                           ;   in Loop: Header=BB318_809 Depth=1
	s_or_b64 exec, exec, s[28:29]
.LBB318_1066:                           ;   in Loop: Header=BB318_809 Depth=1
	s_or_b64 exec, exec, s[26:27]
	v_lshrrev_b16_e32 v14, 8, v26
	v_cmp_ne_u16_e32 vcc, 0, v14
	s_and_saveexec_b64 s[26:27], vcc
	s_cbranch_execz .LBB318_1072
; %bb.1067:                             ;   in Loop: Header=BB318_809 Depth=1
	v_cmp_ne_u16_e32 vcc, s42, v14
	v_bfrev_b32_e32 v1, 1
	s_and_saveexec_b64 s[28:29], vcc
	s_cbranch_execz .LBB318_1071
; %bb.1068:                             ;   in Loop: Header=BB318_809 Depth=1
	v_and_b32_e32 v12, 0x7f, v14
	v_cmp_ne_u32_e32 vcc, s43, v12
	v_mov_b32_e32 v1, 0x7f800001
	s_and_saveexec_b64 s[40:41], vcc
	s_cbranch_execz .LBB318_1070
; %bb.1069:                             ;   in Loop: Header=BB318_809 Depth=1
	v_and_b32_e32 v1, 7, v14
	v_lshrrev_b32_e32 v16, 3, v12
	v_cmp_gt_u32_e32 vcc, 8, v12
	v_ffbh_u32_e32 v12, v1
	v_min_u32_e32 v17, 32, v12
	v_subrev_u32_e32 v12, 28, v17
	v_lshlrev_b64 v[12:13], v12, v[14:15]
	v_sub_u32_e32 v13, 29, v17
	v_and_b32_e32 v12, 7, v12
	v_cndmask_b32_e32 v13, v16, v13, vcc
	v_cndmask_b32_e32 v1, v1, v12, vcc
	v_lshlrev_b32_e32 v12, 16, v26
	v_bfrev_b32_e32 v14, 60
	v_lshlrev_b32_e32 v1, 20, v1
	v_and_b32_e32 v12, 0x80000000, v12
	v_lshl_add_u32 v13, v13, 23, v14
	v_or3_b32 v1, v12, v13, v1
.LBB318_1070:                           ;   in Loop: Header=BB318_809 Depth=1
	s_or_b64 exec, exec, s[40:41]
.LBB318_1071:                           ;   in Loop: Header=BB318_809 Depth=1
	s_or_b64 exec, exec, s[28:29]
.LBB318_1072:                           ;   in Loop: Header=BB318_809 Depth=1
	s_or_b64 exec, exec, s[26:27]
	v_lshrrev_b32_e32 v14, 16, v26
	v_cmp_ne_u16_sdwa s[28:29], v14, v15 src0_sel:BYTE_0 src1_sel:DWORD
	v_mov_b32_e32 v13, 0
	v_mov_b32_e32 v12, 0
	s_and_saveexec_b64 s[26:27], s[28:29]
	s_cbranch_execz .LBB318_1078
; %bb.1073:                             ;   in Loop: Header=BB318_809 Depth=1
	v_cmp_ne_u16_sdwa s[40:41], v14, s42 src0_sel:BYTE_0 src1_sel:DWORD
	v_bfrev_b32_e32 v12, 1
	s_and_saveexec_b64 s[28:29], s[40:41]
	s_cbranch_execz .LBB318_1077
; %bb.1074:                             ;   in Loop: Header=BB318_809 Depth=1
	v_bfe_u32 v16, v26, 16, 7
	v_cmp_ne_u32_e32 vcc, s43, v16
	v_mov_b32_e32 v12, 0x7f800001
	s_and_saveexec_b64 s[40:41], vcc
	s_cbranch_execz .LBB318_1076
; %bb.1075:                             ;   in Loop: Header=BB318_809 Depth=1
	v_and_b32_e32 v12, 7, v14
	v_lshrrev_b32_e32 v18, 3, v16
	v_cmp_gt_u32_e32 vcc, 8, v16
	v_ffbh_u32_e32 v16, v12
	v_min_u32_e32 v21, 32, v16
	v_subrev_u32_e32 v16, 28, v21
	v_lshlrev_b64 v[16:17], v16, v[14:15]
	v_sub_u32_e32 v17, 29, v21
	v_and_b32_e32 v16, 7, v16
	v_cndmask_b32_e32 v17, v18, v17, vcc
	v_cndmask_b32_e32 v12, v12, v16, vcc
	v_lshlrev_b32_e32 v14, 24, v14
	v_bfrev_b32_e32 v16, 60
	v_lshlrev_b32_e32 v12, 20, v12
	v_and_b32_e32 v14, 0x80000000, v14
	v_lshl_add_u32 v16, v17, 23, v16
	v_or3_b32 v12, v14, v16, v12
.LBB318_1076:                           ;   in Loop: Header=BB318_809 Depth=1
	s_or_b64 exec, exec, s[40:41]
.LBB318_1077:                           ;   in Loop: Header=BB318_809 Depth=1
	s_or_b64 exec, exec, s[28:29]
.LBB318_1078:                           ;   in Loop: Header=BB318_809 Depth=1
	s_or_b64 exec, exec, s[26:27]
	v_cmp_lt_u32_e32 vcc, s11, v26
	s_and_saveexec_b64 s[26:27], vcc
	s_cbranch_execz .LBB318_1084
; %bb.1079:                             ;   in Loop: Header=BB318_809 Depth=1
	v_lshrrev_b32_e32 v14, 24, v26
	v_cmp_ne_u32_e32 vcc, s42, v14
	v_bfrev_b32_e32 v13, 1
	s_and_saveexec_b64 s[28:29], vcc
	s_cbranch_execz .LBB318_1083
; %bb.1080:                             ;   in Loop: Header=BB318_809 Depth=1
	v_bfe_u32 v16, v26, 24, 7
	v_cmp_ne_u32_e32 vcc, s43, v16
	v_mov_b32_e32 v13, 0x7f800001
	s_and_saveexec_b64 s[40:41], vcc
	s_cbranch_execz .LBB318_1082
; %bb.1081:                             ;   in Loop: Header=BB318_809 Depth=1
	v_and_b32_e32 v13, 7, v14
	v_lshrrev_b32_e32 v18, 3, v16
	v_cmp_gt_u32_e32 vcc, 8, v16
	v_ffbh_u32_e32 v16, v13
	v_min_u32_e32 v21, 32, v16
	v_subrev_u32_e32 v16, 28, v21
	v_lshlrev_b64 v[16:17], v16, v[14:15]
	v_sub_u32_e32 v17, 29, v21
	v_and_b32_e32 v16, 7, v16
	v_cndmask_b32_e32 v17, v18, v17, vcc
	v_cndmask_b32_e32 v13, v13, v16, vcc
	v_lshlrev_b32_e32 v14, 24, v14
	v_bfrev_b32_e32 v16, 60
	v_lshlrev_b32_e32 v13, 20, v13
	v_and_b32_e32 v14, 0x80000000, v14
	v_lshl_add_u32 v16, v17, 23, v16
	v_or3_b32 v13, v14, v16, v13
.LBB318_1082:                           ;   in Loop: Header=BB318_809 Depth=1
	s_or_b64 exec, exec, s[40:41]
.LBB318_1083:                           ;   in Loop: Header=BB318_809 Depth=1
	s_or_b64 exec, exec, s[28:29]
.LBB318_1084:                           ;   in Loop: Header=BB318_809 Depth=1
	s_or_b64 exec, exec, s[26:27]
	v_mov_b32_e32 v14, v27
	v_cmp_ne_u16_sdwa s[28:29], v27, v15 src0_sel:BYTE_0 src1_sel:DWORD
	v_mov_b32_e32 v18, 0
	v_mov_b32_e32 v16, 0
	s_and_saveexec_b64 s[26:27], s[28:29]
	s_cbranch_execz .LBB318_1090
; %bb.1085:                             ;   in Loop: Header=BB318_809 Depth=1
	v_cmp_ne_u16_sdwa s[40:41], v27, s42 src0_sel:BYTE_0 src1_sel:DWORD
	v_bfrev_b32_e32 v16, 1
	s_and_saveexec_b64 s[28:29], s[40:41]
	s_cbranch_execz .LBB318_1089
; %bb.1086:                             ;   in Loop: Header=BB318_809 Depth=1
	v_and_b32_e32 v17, 0x7f, v27
	v_cmp_ne_u32_e32 vcc, s43, v17
	v_mov_b32_e32 v16, 0x7f800001
	s_and_saveexec_b64 s[40:41], vcc
	s_cbranch_execz .LBB318_1088
; %bb.1087:                             ;   in Loop: Header=BB318_809 Depth=1
	v_and_b32_e32 v16, 7, v27
	v_ffbh_u32_e32 v16, v16
	v_min_u32_e32 v16, 32, v16
	v_lshrrev_b32_e32 v21, 3, v17
	v_cmp_gt_u32_e32 vcc, 8, v17
	v_subrev_u32_e32 v17, 28, v16
	v_sub_u32_e32 v16, 29, v16
	v_cndmask_b32_e32 v21, v21, v16, vcc
	v_cndmask_b32_e32 v16, 0, v17, vcc
	v_lshlrev_b64 v[16:17], v16, v[14:15]
	v_lshlrev_b32_e32 v17, 24, v14
	v_lshlrev_b32_e32 v16, 20, v16
	v_bfrev_b32_e32 v22, 60
	v_and_b32_e32 v16, 0x700000, v16
	v_and_b32_e32 v17, 0x80000000, v17
	v_lshl_add_u32 v21, v21, 23, v22
	v_or3_b32 v16, v17, v21, v16
.LBB318_1088:                           ;   in Loop: Header=BB318_809 Depth=1
	s_or_b64 exec, exec, s[40:41]
.LBB318_1089:                           ;   in Loop: Header=BB318_809 Depth=1
	s_or_b64 exec, exec, s[28:29]
.LBB318_1090:                           ;   in Loop: Header=BB318_809 Depth=1
	s_or_b64 exec, exec, s[26:27]
	v_lshrrev_b16_e32 v17, 8, v14
	v_cmp_ne_u16_e32 vcc, 0, v17
	s_and_saveexec_b64 s[26:27], vcc
	s_cbranch_execz .LBB318_1096
; %bb.1091:                             ;   in Loop: Header=BB318_809 Depth=1
	v_cmp_ne_u16_e32 vcc, s42, v17
	v_bfrev_b32_e32 v18, 1
	s_and_saveexec_b64 s[28:29], vcc
	s_cbranch_execz .LBB318_1095
; %bb.1092:                             ;   in Loop: Header=BB318_809 Depth=1
	v_and_b32_e32 v21, 0x7f, v17
	v_cmp_ne_u32_e32 vcc, s43, v21
	v_mov_b32_e32 v18, 0x7f800001
	s_and_saveexec_b64 s[40:41], vcc
	s_cbranch_execz .LBB318_1094
; %bb.1093:                             ;   in Loop: Header=BB318_809 Depth=1
	v_and_b32_e32 v22, 7, v17
	v_ffbh_u32_e32 v18, v22
	v_lshrrev_b32_e32 v23, 3, v21
	v_cmp_gt_u32_e32 vcc, 8, v21
	v_min_u32_e32 v21, 32, v18
	v_subrev_u32_e32 v18, 28, v21
	v_lshlrev_b64 v[17:18], v18, v[17:18]
	v_sub_u32_e32 v18, 29, v21
	v_and_b32_e32 v17, 7, v17
	v_cndmask_b32_e32 v18, v23, v18, vcc
	v_cndmask_b32_e32 v17, v22, v17, vcc
	v_lshlrev_b32_e32 v14, 16, v14
	v_bfrev_b32_e32 v21, 60
	v_lshlrev_b32_e32 v17, 20, v17
	v_and_b32_e32 v14, 0x80000000, v14
	v_lshl_add_u32 v18, v18, 23, v21
	v_add_u32_e32 v23, 1, v36
	v_or3_b32 v18, v14, v18, v17
.LBB318_1094:                           ;   in Loop: Header=BB318_809 Depth=1
	s_or_b64 exec, exec, s[40:41]
.LBB318_1095:                           ;   in Loop: Header=BB318_809 Depth=1
	s_or_b64 exec, exec, s[28:29]
.LBB318_1096:                           ;   in Loop: Header=BB318_809 Depth=1
	s_or_b64 exec, exec, s[26:27]
	v_lshrrev_b32_e32 v14, 16, v27
	v_cmp_ne_u16_sdwa s[28:29], v14, v15 src0_sel:BYTE_0 src1_sel:DWORD
	v_mov_b32_e32 v17, 0
	v_mov_b32_e32 v21, 0
	s_and_saveexec_b64 s[26:27], s[28:29]
	s_cbranch_execz .LBB318_1102
; %bb.1097:                             ;   in Loop: Header=BB318_809 Depth=1
	v_cmp_ne_u16_sdwa s[40:41], v14, s42 src0_sel:BYTE_0 src1_sel:DWORD
	v_bfrev_b32_e32 v21, 1
	s_and_saveexec_b64 s[28:29], s[40:41]
	s_cbranch_execz .LBB318_1101
; %bb.1098:                             ;   in Loop: Header=BB318_809 Depth=1
	v_bfe_u32 v22, v27, 16, 7
	v_cmp_ne_u32_e32 vcc, s43, v22
	v_mov_b32_e32 v21, 0x7f800001
	s_and_saveexec_b64 s[40:41], vcc
	s_cbranch_execz .LBB318_1100
; %bb.1099:                             ;   in Loop: Header=BB318_809 Depth=1
	v_and_b32_e32 v23, 7, v14
	v_ffbh_u32_e32 v21, v23
	v_min_u32_e32 v29, 32, v21
	v_subrev_u32_e32 v21, 28, v29
	v_lshrrev_b32_e32 v28, 3, v22
	v_cmp_gt_u32_e32 vcc, 8, v22
	v_lshlrev_b64 v[21:22], v21, v[14:15]
	v_sub_u32_e32 v22, 29, v29
	v_and_b32_e32 v21, 7, v21
	v_cndmask_b32_e32 v22, v28, v22, vcc
	v_cndmask_b32_e32 v21, v23, v21, vcc
	v_lshlrev_b32_e32 v14, 24, v14
	v_bfrev_b32_e32 v23, 60
	v_lshlrev_b32_e32 v21, 20, v21
	v_and_b32_e32 v14, 0x80000000, v14
	v_lshl_add_u32 v22, v22, 23, v23
	v_add_u32_e32 v29, 3, v36
	v_add_u32_e32 v23, 1, v36
	v_or3_b32 v21, v14, v22, v21
.LBB318_1100:                           ;   in Loop: Header=BB318_809 Depth=1
	s_or_b64 exec, exec, s[40:41]
.LBB318_1101:                           ;   in Loop: Header=BB318_809 Depth=1
	s_or_b64 exec, exec, s[28:29]
.LBB318_1102:                           ;   in Loop: Header=BB318_809 Depth=1
	s_or_b64 exec, exec, s[26:27]
	v_cmp_lt_u64_e32 vcc, s[10:11], v[26:27]
	s_and_saveexec_b64 s[26:27], vcc
	s_cbranch_execz .LBB318_1108
; %bb.1103:                             ;   in Loop: Header=BB318_809 Depth=1
	v_lshrrev_b32_e32 v14, 24, v27
	v_cmp_ne_u32_e32 vcc, s42, v14
	v_bfrev_b32_e32 v17, 1
	s_and_saveexec_b64 s[28:29], vcc
	s_cbranch_execz .LBB318_1107
; %bb.1104:                             ;   in Loop: Header=BB318_809 Depth=1
	v_bfe_u32 v22, v27, 24, 7
	v_cmp_ne_u32_e32 vcc, s43, v22
	v_mov_b32_e32 v17, 0x7f800001
	s_and_saveexec_b64 s[40:41], vcc
	s_cbranch_execz .LBB318_1106
; %bb.1105:                             ;   in Loop: Header=BB318_809 Depth=1
	v_and_b32_e32 v17, 7, v14
	v_lshrrev_b32_e32 v26, 3, v22
	v_cmp_gt_u32_e32 vcc, 8, v22
	v_ffbh_u32_e32 v22, v17
	v_min_u32_e32 v27, 32, v22
	v_subrev_u32_e32 v22, 28, v27
	v_lshlrev_b64 v[22:23], v22, v[14:15]
	v_sub_u32_e32 v23, 29, v27
	v_and_b32_e32 v22, 7, v22
	v_cndmask_b32_e32 v23, v26, v23, vcc
	v_cndmask_b32_e32 v17, v17, v22, vcc
	v_lshlrev_b32_e32 v14, 24, v14
	v_bfrev_b32_e32 v22, 60
	v_lshlrev_b32_e32 v17, 20, v17
	v_and_b32_e32 v14, 0x80000000, v14
	v_lshl_add_u32 v22, v23, 23, v22
	v_add_u32_e32 v23, 1, v36
	v_or3_b32 v17, v14, v22, v17
.LBB318_1106:                           ;   in Loop: Header=BB318_809 Depth=1
	s_or_b64 exec, exec, s[40:41]
.LBB318_1107:                           ;   in Loop: Header=BB318_809 Depth=1
	s_or_b64 exec, exec, s[28:29]
.LBB318_1108:                           ;   in Loop: Header=BB318_809 Depth=1
	s_or_b64 exec, exec, s[26:27]
	v_mul_f32_e32 v14, v46, v18
	v_bfe_u32 v18, v14, 16, 1
	v_add3_u32 v18, v18, v14, s44
	v_or_b32_e32 v22, 0x400000, v14
	v_cmp_u_f32_e32 vcc, v14, v14
	v_cndmask_b32_e32 v14, v18, v22, vcc
	v_lshrrev_b32_e32 v14, 16, v14
	buffer_store_dword v14, off, s[0:3], s32 offset:264 ; 4-byte Folded Spill
	v_mul_f32_e32 v14, v46, v16
	v_bfe_u32 v16, v14, 16, 1
	v_add3_u32 v16, v16, v14, s44
	v_or_b32_e32 v18, 0x400000, v14
	v_cmp_u_f32_e32 vcc, v14, v14
	v_cndmask_b32_e32 v14, v16, v18, vcc
	v_lshrrev_b32_e32 v14, 16, v14
	v_mul_f32_e32 v13, v46, v13
	buffer_store_dword v14, off, s[0:3], s32 offset:260 ; 4-byte Folded Spill
	v_bfe_u32 v14, v13, 16, 1
	v_add3_u32 v14, v14, v13, s44
	v_or_b32_e32 v16, 0x400000, v13
	v_cmp_u_f32_e32 vcc, v13, v13
	v_cndmask_b32_e32 v13, v14, v16, vcc
	v_lshrrev_b32_e32 v13, 16, v13
	v_mul_f32_e32 v12, v46, v12
	buffer_store_dword v13, off, s[0:3], s32 offset:276 ; 4-byte Folded Spill
	;; [unrolled: 8-line block ×4, first 2 shown]
	v_bfe_u32 v1, v0, 16, 1
	v_add3_u32 v1, v1, v0, s44
	v_or_b32_e32 v12, 0x400000, v0
	v_cmp_u_f32_e32 vcc, v0, v0
	v_cndmask_b32_e32 v0, v1, v12, vcc
	v_lshrrev_b32_e32 v0, 16, v0
	buffer_store_dword v0, off, s[0:3], s32 offset:284 ; 4-byte Folded Spill
	v_mul_f32_e32 v0, v46, v21
	v_bfe_u32 v1, v0, 16, 1
	v_add3_u32 v1, v1, v0, s44
	v_or_b32_e32 v12, 0x400000, v0
	v_cmp_u_f32_e32 vcc, v0, v0
	v_cndmask_b32_e32 v0, v1, v12, vcc
	v_lshrrev_b32_e32 v0, 16, v0
	buffer_store_dword v0, off, s[0:3], s32 offset:268 ; 4-byte Folded Spill
	v_mul_f32_e32 v0, v46, v17
	v_bfe_u32 v1, v0, 16, 1
	v_add3_u32 v1, v1, v0, s44
	v_or_b32_e32 v12, 0x400000, v0
	v_cmp_u_f32_e32 vcc, v0, v0
	v_cndmask_b32_e32 v0, v1, v12, vcc
	v_lshrrev_b32_e32 v0, 16, v0
	buffer_store_dword v0, off, s[0:3], s32 offset:280 ; 4-byte Folded Spill
	s_and_saveexec_b64 s[26:27], s[6:7]
	s_cbranch_execz .LBB318_1110
; %bb.1109:                             ;   in Loop: Header=BB318_809 Depth=1
	buffer_load_dword v0, off, s[0:3], s32 offset:64 ; 4-byte Folded Reload
	buffer_load_dword v1, off, s[0:3], s32 offset:284 ; 4-byte Folded Reload
	s_waitcnt vmcnt(1)
	v_cmp_lt_i32_e32 vcc, v36, v0
	s_waitcnt vmcnt(0)
	v_cndmask_b32_e32 v1, 0, v1, vcc
	buffer_store_dword v1, off, s[0:3], s32 offset:284 ; 4-byte Folded Spill
	buffer_load_dword v1, off, s[0:3], s32 offset:288 ; 4-byte Folded Reload
	v_cmp_lt_i32_e32 vcc, v23, v0
	s_waitcnt vmcnt(0)
	v_cndmask_b32_e32 v1, 0, v1, vcc
	buffer_store_dword v1, off, s[0:3], s32 offset:288 ; 4-byte Folded Spill
	buffer_load_dword v1, off, s[0:3], s32 offset:272 ; 4-byte Folded Reload
	v_cmp_lt_i32_e32 vcc, v35, v0
	s_waitcnt vmcnt(0)
	v_cndmask_b32_e32 v1, 0, v1, vcc
	buffer_store_dword v1, off, s[0:3], s32 offset:272 ; 4-byte Folded Spill
	buffer_load_dword v1, off, s[0:3], s32 offset:276 ; 4-byte Folded Reload
	v_cmp_lt_i32_e32 vcc, v29, v0
	s_waitcnt vmcnt(0)
	v_cndmask_b32_e32 v1, 0, v1, vcc
	buffer_store_dword v1, off, s[0:3], s32 offset:276 ; 4-byte Folded Spill
	buffer_load_dword v1, off, s[0:3], s32 offset:260 ; 4-byte Folded Reload
	v_cmp_lt_i32_e32 vcc, v63, v0
	s_waitcnt vmcnt(0)
	v_cndmask_b32_e32 v1, 0, v1, vcc
	buffer_store_dword v1, off, s[0:3], s32 offset:260 ; 4-byte Folded Spill
	buffer_load_dword v1, off, s[0:3], s32 offset:264 ; 4-byte Folded Reload
	v_cmp_lt_i32_e32 vcc, v48, v0
	s_waitcnt vmcnt(0)
	v_cndmask_b32_e32 v1, 0, v1, vcc
	buffer_store_dword v1, off, s[0:3], s32 offset:264 ; 4-byte Folded Spill
	buffer_load_dword v1, off, s[0:3], s32 offset:268 ; 4-byte Folded Reload
	v_cmp_lt_i32_e32 vcc, v39, v0
	s_waitcnt vmcnt(0)
	v_cndmask_b32_e32 v1, 0, v1, vcc
	v_cmp_lt_i32_e32 vcc, v38, v0
	buffer_load_dword v0, off, s[0:3], s32 offset:280 ; 4-byte Folded Reload
	s_waitcnt vmcnt(0)
	v_cndmask_b32_e32 v0, 0, v0, vcc
	buffer_store_dword v1, off, s[0:3], s32 offset:268 ; 4-byte Folded Spill
	buffer_store_dword v0, off, s[0:3], s32 offset:280 ; 4-byte Folded Spill
.LBB318_1110:                           ;   in Loop: Header=BB318_809 Depth=1
	s_or_b64 exec, exec, s[26:27]
	flat_load_dwordx2 v[26:27], v[24:25] offset:3072
	v_mov_b32_e32 v1, 0
	v_mov_b32_e32 v0, 0
	s_waitcnt vmcnt(0) lgkmcnt(0)
	v_cmp_ne_u16_sdwa s[28:29], v26, v15 src0_sel:BYTE_0 src1_sel:DWORD
	s_and_saveexec_b64 s[26:27], s[28:29]
	s_cbranch_execz .LBB318_1116
; %bb.1111:                             ;   in Loop: Header=BB318_809 Depth=1
	v_cmp_ne_u16_sdwa s[40:41], v26, s42 src0_sel:BYTE_0 src1_sel:DWORD
	v_bfrev_b32_e32 v0, 1
	s_and_saveexec_b64 s[28:29], s[40:41]
	s_cbranch_execz .LBB318_1115
; %bb.1112:                             ;   in Loop: Header=BB318_809 Depth=1
	v_and_b32_e32 v12, 0x7f, v26
	v_cmp_ne_u32_e32 vcc, s43, v12
	v_mov_b32_e32 v0, 0x7f800001
	s_and_saveexec_b64 s[40:41], vcc
	s_cbranch_execz .LBB318_1114
; %bb.1113:                             ;   in Loop: Header=BB318_809 Depth=1
	v_and_b32_e32 v0, 7, v26
	v_ffbh_u32_e32 v0, v0
	v_min_u32_e32 v0, 32, v0
	v_lshrrev_b32_e32 v13, 3, v12
	v_cmp_gt_u32_e32 vcc, 8, v12
	v_subrev_u32_e32 v12, 28, v0
	v_sub_u32_e32 v0, 29, v0
	v_cndmask_b32_e32 v12, 0, v12, vcc
	v_cndmask_b32_e32 v0, v13, v0, vcc
	v_lshlrev_b64 v[12:13], v12, v[26:27]
	v_lshlrev_b32_e32 v13, 24, v26
	v_lshlrev_b32_e32 v12, 20, v12
	v_bfrev_b32_e32 v14, 60
	v_and_b32_e32 v12, 0x700000, v12
	v_and_b32_e32 v13, 0x80000000, v13
	v_lshl_add_u32 v0, v0, 23, v14
	v_or3_b32 v0, v13, v0, v12
.LBB318_1114:                           ;   in Loop: Header=BB318_809 Depth=1
	s_or_b64 exec, exec, s[40:41]
.LBB318_1115:                           ;   in Loop: Header=BB318_809 Depth=1
	s_or_b64 exec, exec, s[28:29]
.LBB318_1116:                           ;   in Loop: Header=BB318_809 Depth=1
	s_or_b64 exec, exec, s[26:27]
	v_lshrrev_b16_e32 v14, 8, v26
	v_cmp_ne_u16_e32 vcc, 0, v14
	s_and_saveexec_b64 s[26:27], vcc
	s_cbranch_execz .LBB318_1122
; %bb.1117:                             ;   in Loop: Header=BB318_809 Depth=1
	v_cmp_ne_u16_e32 vcc, s42, v14
	v_bfrev_b32_e32 v1, 1
	s_and_saveexec_b64 s[28:29], vcc
	s_cbranch_execz .LBB318_1121
; %bb.1118:                             ;   in Loop: Header=BB318_809 Depth=1
	v_and_b32_e32 v12, 0x7f, v14
	v_cmp_ne_u32_e32 vcc, s43, v12
	v_mov_b32_e32 v1, 0x7f800001
	s_and_saveexec_b64 s[40:41], vcc
	s_cbranch_execz .LBB318_1120
; %bb.1119:                             ;   in Loop: Header=BB318_809 Depth=1
	v_and_b32_e32 v1, 7, v14
	v_lshrrev_b32_e32 v16, 3, v12
	v_cmp_gt_u32_e32 vcc, 8, v12
	v_ffbh_u32_e32 v12, v1
	v_min_u32_e32 v17, 32, v12
	v_subrev_u32_e32 v12, 28, v17
	v_lshlrev_b64 v[12:13], v12, v[14:15]
	v_sub_u32_e32 v13, 29, v17
	v_and_b32_e32 v12, 7, v12
	v_cndmask_b32_e32 v13, v16, v13, vcc
	v_cndmask_b32_e32 v1, v1, v12, vcc
	v_lshlrev_b32_e32 v12, 16, v26
	v_bfrev_b32_e32 v14, 60
	v_lshlrev_b32_e32 v1, 20, v1
	v_and_b32_e32 v12, 0x80000000, v12
	v_lshl_add_u32 v13, v13, 23, v14
	v_or3_b32 v1, v12, v13, v1
.LBB318_1120:                           ;   in Loop: Header=BB318_809 Depth=1
	s_or_b64 exec, exec, s[40:41]
.LBB318_1121:                           ;   in Loop: Header=BB318_809 Depth=1
	s_or_b64 exec, exec, s[28:29]
.LBB318_1122:                           ;   in Loop: Header=BB318_809 Depth=1
	s_or_b64 exec, exec, s[26:27]
	v_lshrrev_b32_e32 v14, 16, v26
	v_cmp_ne_u16_sdwa s[28:29], v14, v15 src0_sel:BYTE_0 src1_sel:DWORD
	v_mov_b32_e32 v13, 0
	v_mov_b32_e32 v12, 0
	s_and_saveexec_b64 s[26:27], s[28:29]
	s_cbranch_execz .LBB318_1128
; %bb.1123:                             ;   in Loop: Header=BB318_809 Depth=1
	v_cmp_ne_u16_sdwa s[40:41], v14, s42 src0_sel:BYTE_0 src1_sel:DWORD
	v_bfrev_b32_e32 v12, 1
	s_and_saveexec_b64 s[28:29], s[40:41]
	s_cbranch_execz .LBB318_1127
; %bb.1124:                             ;   in Loop: Header=BB318_809 Depth=1
	v_bfe_u32 v16, v26, 16, 7
	v_cmp_ne_u32_e32 vcc, s43, v16
	v_mov_b32_e32 v12, 0x7f800001
	s_and_saveexec_b64 s[40:41], vcc
	s_cbranch_execz .LBB318_1126
; %bb.1125:                             ;   in Loop: Header=BB318_809 Depth=1
	v_and_b32_e32 v12, 7, v14
	v_lshrrev_b32_e32 v18, 3, v16
	v_cmp_gt_u32_e32 vcc, 8, v16
	v_ffbh_u32_e32 v16, v12
	v_min_u32_e32 v21, 32, v16
	v_subrev_u32_e32 v16, 28, v21
	v_lshlrev_b64 v[16:17], v16, v[14:15]
	v_sub_u32_e32 v17, 29, v21
	v_and_b32_e32 v16, 7, v16
	v_cndmask_b32_e32 v17, v18, v17, vcc
	v_cndmask_b32_e32 v12, v12, v16, vcc
	v_lshlrev_b32_e32 v14, 24, v14
	v_bfrev_b32_e32 v16, 60
	v_lshlrev_b32_e32 v12, 20, v12
	v_and_b32_e32 v14, 0x80000000, v14
	v_lshl_add_u32 v16, v17, 23, v16
	v_or3_b32 v12, v14, v16, v12
.LBB318_1126:                           ;   in Loop: Header=BB318_809 Depth=1
	s_or_b64 exec, exec, s[40:41]
.LBB318_1127:                           ;   in Loop: Header=BB318_809 Depth=1
	s_or_b64 exec, exec, s[28:29]
.LBB318_1128:                           ;   in Loop: Header=BB318_809 Depth=1
	s_or_b64 exec, exec, s[26:27]
	v_cmp_lt_u32_e32 vcc, s11, v26
	s_and_saveexec_b64 s[26:27], vcc
	s_cbranch_execz .LBB318_1134
; %bb.1129:                             ;   in Loop: Header=BB318_809 Depth=1
	v_lshrrev_b32_e32 v14, 24, v26
	v_cmp_ne_u32_e32 vcc, s42, v14
	v_bfrev_b32_e32 v13, 1
	s_and_saveexec_b64 s[28:29], vcc
	s_cbranch_execz .LBB318_1133
; %bb.1130:                             ;   in Loop: Header=BB318_809 Depth=1
	v_bfe_u32 v16, v26, 24, 7
	v_cmp_ne_u32_e32 vcc, s43, v16
	v_mov_b32_e32 v13, 0x7f800001
	s_and_saveexec_b64 s[40:41], vcc
	s_cbranch_execz .LBB318_1132
; %bb.1131:                             ;   in Loop: Header=BB318_809 Depth=1
	v_and_b32_e32 v13, 7, v14
	v_lshrrev_b32_e32 v18, 3, v16
	v_cmp_gt_u32_e32 vcc, 8, v16
	v_ffbh_u32_e32 v16, v13
	v_min_u32_e32 v21, 32, v16
	v_subrev_u32_e32 v16, 28, v21
	v_lshlrev_b64 v[16:17], v16, v[14:15]
	v_sub_u32_e32 v17, 29, v21
	v_and_b32_e32 v16, 7, v16
	v_cndmask_b32_e32 v17, v18, v17, vcc
	v_cndmask_b32_e32 v13, v13, v16, vcc
	v_lshlrev_b32_e32 v14, 24, v14
	v_bfrev_b32_e32 v16, 60
	v_lshlrev_b32_e32 v13, 20, v13
	v_and_b32_e32 v14, 0x80000000, v14
	v_lshl_add_u32 v16, v17, 23, v16
	v_or3_b32 v13, v14, v16, v13
.LBB318_1132:                           ;   in Loop: Header=BB318_809 Depth=1
	s_or_b64 exec, exec, s[40:41]
.LBB318_1133:                           ;   in Loop: Header=BB318_809 Depth=1
	s_or_b64 exec, exec, s[28:29]
.LBB318_1134:                           ;   in Loop: Header=BB318_809 Depth=1
	s_or_b64 exec, exec, s[26:27]
	v_mov_b32_e32 v14, v27
	v_cmp_ne_u16_sdwa s[28:29], v27, v15 src0_sel:BYTE_0 src1_sel:DWORD
	v_mov_b32_e32 v18, 0
	v_mov_b32_e32 v16, 0
	s_and_saveexec_b64 s[26:27], s[28:29]
	s_cbranch_execz .LBB318_1140
; %bb.1135:                             ;   in Loop: Header=BB318_809 Depth=1
	v_cmp_ne_u16_sdwa s[40:41], v27, s42 src0_sel:BYTE_0 src1_sel:DWORD
	v_bfrev_b32_e32 v16, 1
	s_and_saveexec_b64 s[28:29], s[40:41]
	s_cbranch_execz .LBB318_1139
; %bb.1136:                             ;   in Loop: Header=BB318_809 Depth=1
	v_and_b32_e32 v17, 0x7f, v27
	v_cmp_ne_u32_e32 vcc, s43, v17
	v_mov_b32_e32 v16, 0x7f800001
	s_and_saveexec_b64 s[40:41], vcc
	s_cbranch_execz .LBB318_1138
; %bb.1137:                             ;   in Loop: Header=BB318_809 Depth=1
	v_and_b32_e32 v16, 7, v27
	v_ffbh_u32_e32 v16, v16
	v_min_u32_e32 v16, 32, v16
	v_lshrrev_b32_e32 v21, 3, v17
	v_cmp_gt_u32_e32 vcc, 8, v17
	v_subrev_u32_e32 v17, 28, v16
	v_sub_u32_e32 v16, 29, v16
	v_cndmask_b32_e32 v21, v21, v16, vcc
	v_cndmask_b32_e32 v16, 0, v17, vcc
	v_lshlrev_b64 v[16:17], v16, v[14:15]
	v_lshlrev_b32_e32 v17, 24, v14
	v_lshlrev_b32_e32 v16, 20, v16
	v_bfrev_b32_e32 v22, 60
	v_and_b32_e32 v16, 0x700000, v16
	v_and_b32_e32 v17, 0x80000000, v17
	v_lshl_add_u32 v21, v21, 23, v22
	v_or3_b32 v16, v17, v21, v16
.LBB318_1138:                           ;   in Loop: Header=BB318_809 Depth=1
	s_or_b64 exec, exec, s[40:41]
.LBB318_1139:                           ;   in Loop: Header=BB318_809 Depth=1
	s_or_b64 exec, exec, s[28:29]
.LBB318_1140:                           ;   in Loop: Header=BB318_809 Depth=1
	s_or_b64 exec, exec, s[26:27]
	v_lshrrev_b16_e32 v17, 8, v14
	v_cmp_ne_u16_e32 vcc, 0, v17
	s_and_saveexec_b64 s[26:27], vcc
	s_cbranch_execz .LBB318_1146
; %bb.1141:                             ;   in Loop: Header=BB318_809 Depth=1
	v_cmp_ne_u16_e32 vcc, s42, v17
	v_bfrev_b32_e32 v18, 1
	s_and_saveexec_b64 s[28:29], vcc
	s_cbranch_execz .LBB318_1145
; %bb.1142:                             ;   in Loop: Header=BB318_809 Depth=1
	v_and_b32_e32 v21, 0x7f, v17
	v_cmp_ne_u32_e32 vcc, s43, v21
	v_mov_b32_e32 v18, 0x7f800001
	s_and_saveexec_b64 s[40:41], vcc
	s_cbranch_execz .LBB318_1144
; %bb.1143:                             ;   in Loop: Header=BB318_809 Depth=1
	v_and_b32_e32 v22, 7, v17
	v_ffbh_u32_e32 v18, v22
	v_lshrrev_b32_e32 v23, 3, v21
	v_cmp_gt_u32_e32 vcc, 8, v21
	v_min_u32_e32 v21, 32, v18
	v_subrev_u32_e32 v18, 28, v21
	v_lshlrev_b64 v[17:18], v18, v[17:18]
	v_sub_u32_e32 v18, 29, v21
	v_and_b32_e32 v17, 7, v17
	v_cndmask_b32_e32 v18, v23, v18, vcc
	v_cndmask_b32_e32 v17, v22, v17, vcc
	v_lshlrev_b32_e32 v14, 16, v14
	v_bfrev_b32_e32 v21, 60
	v_lshlrev_b32_e32 v17, 20, v17
	v_and_b32_e32 v14, 0x80000000, v14
	v_lshl_add_u32 v18, v18, 23, v21
	v_add_u32_e32 v23, 1, v36
	v_or3_b32 v18, v14, v18, v17
.LBB318_1144:                           ;   in Loop: Header=BB318_809 Depth=1
	s_or_b64 exec, exec, s[40:41]
.LBB318_1145:                           ;   in Loop: Header=BB318_809 Depth=1
	s_or_b64 exec, exec, s[28:29]
.LBB318_1146:                           ;   in Loop: Header=BB318_809 Depth=1
	s_or_b64 exec, exec, s[26:27]
	v_lshrrev_b32_e32 v14, 16, v27
	v_cmp_ne_u16_sdwa s[28:29], v14, v15 src0_sel:BYTE_0 src1_sel:DWORD
	v_mov_b32_e32 v17, 0
	v_mov_b32_e32 v21, 0
	s_and_saveexec_b64 s[26:27], s[28:29]
	s_cbranch_execz .LBB318_1152
; %bb.1147:                             ;   in Loop: Header=BB318_809 Depth=1
	v_cmp_ne_u16_sdwa s[40:41], v14, s42 src0_sel:BYTE_0 src1_sel:DWORD
	v_bfrev_b32_e32 v21, 1
	s_and_saveexec_b64 s[28:29], s[40:41]
	s_cbranch_execz .LBB318_1151
; %bb.1148:                             ;   in Loop: Header=BB318_809 Depth=1
	v_bfe_u32 v22, v27, 16, 7
	v_cmp_ne_u32_e32 vcc, s43, v22
	v_mov_b32_e32 v21, 0x7f800001
	s_and_saveexec_b64 s[40:41], vcc
	s_cbranch_execz .LBB318_1150
; %bb.1149:                             ;   in Loop: Header=BB318_809 Depth=1
	v_and_b32_e32 v23, 7, v14
	v_ffbh_u32_e32 v21, v23
	v_min_u32_e32 v29, 32, v21
	v_subrev_u32_e32 v21, 28, v29
	v_lshrrev_b32_e32 v28, 3, v22
	v_cmp_gt_u32_e32 vcc, 8, v22
	v_lshlrev_b64 v[21:22], v21, v[14:15]
	v_sub_u32_e32 v22, 29, v29
	v_and_b32_e32 v21, 7, v21
	v_cndmask_b32_e32 v22, v28, v22, vcc
	v_cndmask_b32_e32 v21, v23, v21, vcc
	v_lshlrev_b32_e32 v14, 24, v14
	v_bfrev_b32_e32 v23, 60
	v_lshlrev_b32_e32 v21, 20, v21
	v_and_b32_e32 v14, 0x80000000, v14
	v_lshl_add_u32 v22, v22, 23, v23
	v_add_u32_e32 v29, 3, v36
	v_add_u32_e32 v23, 1, v36
	v_or3_b32 v21, v14, v22, v21
.LBB318_1150:                           ;   in Loop: Header=BB318_809 Depth=1
	s_or_b64 exec, exec, s[40:41]
.LBB318_1151:                           ;   in Loop: Header=BB318_809 Depth=1
	s_or_b64 exec, exec, s[28:29]
.LBB318_1152:                           ;   in Loop: Header=BB318_809 Depth=1
	s_or_b64 exec, exec, s[26:27]
	v_cmp_lt_u64_e32 vcc, s[10:11], v[26:27]
	s_and_saveexec_b64 s[26:27], vcc
	s_cbranch_execz .LBB318_1158
; %bb.1153:                             ;   in Loop: Header=BB318_809 Depth=1
	v_lshrrev_b32_e32 v14, 24, v27
	v_cmp_ne_u32_e32 vcc, s42, v14
	v_bfrev_b32_e32 v17, 1
	s_and_saveexec_b64 s[28:29], vcc
	s_cbranch_execz .LBB318_1157
; %bb.1154:                             ;   in Loop: Header=BB318_809 Depth=1
	v_bfe_u32 v22, v27, 24, 7
	v_cmp_ne_u32_e32 vcc, s43, v22
	v_mov_b32_e32 v17, 0x7f800001
	s_and_saveexec_b64 s[40:41], vcc
	s_cbranch_execz .LBB318_1156
; %bb.1155:                             ;   in Loop: Header=BB318_809 Depth=1
	v_and_b32_e32 v17, 7, v14
	v_lshrrev_b32_e32 v26, 3, v22
	v_cmp_gt_u32_e32 vcc, 8, v22
	v_ffbh_u32_e32 v22, v17
	v_min_u32_e32 v27, 32, v22
	v_subrev_u32_e32 v22, 28, v27
	v_lshlrev_b64 v[22:23], v22, v[14:15]
	v_sub_u32_e32 v23, 29, v27
	v_and_b32_e32 v22, 7, v22
	v_cndmask_b32_e32 v23, v26, v23, vcc
	v_cndmask_b32_e32 v17, v17, v22, vcc
	v_lshlrev_b32_e32 v14, 24, v14
	v_bfrev_b32_e32 v22, 60
	v_lshlrev_b32_e32 v17, 20, v17
	v_and_b32_e32 v14, 0x80000000, v14
	v_lshl_add_u32 v22, v23, 23, v22
	v_add_u32_e32 v23, 1, v36
	v_or3_b32 v17, v14, v22, v17
.LBB318_1156:                           ;   in Loop: Header=BB318_809 Depth=1
	s_or_b64 exec, exec, s[40:41]
.LBB318_1157:                           ;   in Loop: Header=BB318_809 Depth=1
	s_or_b64 exec, exec, s[28:29]
.LBB318_1158:                           ;   in Loop: Header=BB318_809 Depth=1
	s_or_b64 exec, exec, s[26:27]
	v_mul_f32_e32 v14, v46, v18
	v_bfe_u32 v18, v14, 16, 1
	v_add3_u32 v18, v18, v14, s44
	v_or_b32_e32 v22, 0x400000, v14
	v_cmp_u_f32_e32 vcc, v14, v14
	v_cndmask_b32_e32 v14, v18, v22, vcc
	v_lshrrev_b32_e32 v14, 16, v14
	buffer_store_dword v14, off, s[0:3], s32 offset:296 ; 4-byte Folded Spill
	v_mul_f32_e32 v14, v46, v16
	v_bfe_u32 v16, v14, 16, 1
	v_add3_u32 v16, v16, v14, s44
	v_or_b32_e32 v18, 0x400000, v14
	v_cmp_u_f32_e32 vcc, v14, v14
	v_cndmask_b32_e32 v14, v16, v18, vcc
	v_lshrrev_b32_e32 v14, 16, v14
	v_mul_f32_e32 v13, v46, v13
	buffer_store_dword v14, off, s[0:3], s32 offset:292 ; 4-byte Folded Spill
	v_bfe_u32 v14, v13, 16, 1
	v_add3_u32 v14, v14, v13, s44
	v_or_b32_e32 v16, 0x400000, v13
	v_cmp_u_f32_e32 vcc, v13, v13
	v_cndmask_b32_e32 v13, v14, v16, vcc
	v_lshrrev_b32_e32 v13, 16, v13
	v_mul_f32_e32 v12, v46, v12
	buffer_store_dword v13, off, s[0:3], s32 offset:308 ; 4-byte Folded Spill
	;; [unrolled: 8-line block ×4, first 2 shown]
	v_bfe_u32 v1, v0, 16, 1
	v_add3_u32 v1, v1, v0, s44
	v_or_b32_e32 v12, 0x400000, v0
	v_cmp_u_f32_e32 vcc, v0, v0
	v_cndmask_b32_e32 v0, v1, v12, vcc
	v_lshrrev_b32_e32 v0, 16, v0
	buffer_store_dword v0, off, s[0:3], s32 offset:316 ; 4-byte Folded Spill
	v_mul_f32_e32 v0, v46, v21
	v_bfe_u32 v1, v0, 16, 1
	v_add3_u32 v1, v1, v0, s44
	v_or_b32_e32 v12, 0x400000, v0
	v_cmp_u_f32_e32 vcc, v0, v0
	v_cndmask_b32_e32 v0, v1, v12, vcc
	v_lshrrev_b32_e32 v0, 16, v0
	buffer_store_dword v0, off, s[0:3], s32 offset:300 ; 4-byte Folded Spill
	v_mul_f32_e32 v0, v46, v17
	v_bfe_u32 v1, v0, 16, 1
	v_add3_u32 v1, v1, v0, s44
	v_or_b32_e32 v12, 0x400000, v0
	v_cmp_u_f32_e32 vcc, v0, v0
	v_cndmask_b32_e32 v0, v1, v12, vcc
	v_lshrrev_b32_e32 v0, 16, v0
	buffer_store_dword v0, off, s[0:3], s32 offset:312 ; 4-byte Folded Spill
	s_and_saveexec_b64 s[26:27], s[6:7]
	s_cbranch_execz .LBB318_1160
; %bb.1159:                             ;   in Loop: Header=BB318_809 Depth=1
	buffer_load_dword v0, off, s[0:3], s32 offset:64 ; 4-byte Folded Reload
	buffer_load_dword v1, off, s[0:3], s32 offset:316 ; 4-byte Folded Reload
	s_waitcnt vmcnt(1)
	v_cmp_lt_i32_e32 vcc, v36, v0
	s_waitcnt vmcnt(0)
	v_cndmask_b32_e32 v1, 0, v1, vcc
	buffer_store_dword v1, off, s[0:3], s32 offset:316 ; 4-byte Folded Spill
	buffer_load_dword v1, off, s[0:3], s32 offset:320 ; 4-byte Folded Reload
	v_cmp_lt_i32_e32 vcc, v23, v0
	s_waitcnt vmcnt(0)
	v_cndmask_b32_e32 v1, 0, v1, vcc
	buffer_store_dword v1, off, s[0:3], s32 offset:320 ; 4-byte Folded Spill
	buffer_load_dword v1, off, s[0:3], s32 offset:304 ; 4-byte Folded Reload
	;; [unrolled: 5-line block ×6, first 2 shown]
	v_cmp_lt_i32_e32 vcc, v39, v0
	s_waitcnt vmcnt(0)
	v_cndmask_b32_e32 v1, 0, v1, vcc
	v_cmp_lt_i32_e32 vcc, v38, v0
	buffer_load_dword v0, off, s[0:3], s32 offset:312 ; 4-byte Folded Reload
	s_waitcnt vmcnt(0)
	v_cndmask_b32_e32 v0, 0, v0, vcc
	buffer_store_dword v1, off, s[0:3], s32 offset:300 ; 4-byte Folded Spill
	buffer_store_dword v0, off, s[0:3], s32 offset:312 ; 4-byte Folded Spill
.LBB318_1160:                           ;   in Loop: Header=BB318_809 Depth=1
	s_or_b64 exec, exec, s[26:27]
	flat_load_dwordx2 v[26:27], v[24:25] offset:3584
	v_mov_b32_e32 v1, 0
	v_mov_b32_e32 v0, 0
	s_waitcnt vmcnt(0) lgkmcnt(0)
	v_cmp_ne_u16_sdwa s[28:29], v26, v15 src0_sel:BYTE_0 src1_sel:DWORD
	s_and_saveexec_b64 s[26:27], s[28:29]
	s_cbranch_execz .LBB318_1166
; %bb.1161:                             ;   in Loop: Header=BB318_809 Depth=1
	v_cmp_ne_u16_sdwa s[40:41], v26, s42 src0_sel:BYTE_0 src1_sel:DWORD
	v_bfrev_b32_e32 v0, 1
	s_and_saveexec_b64 s[28:29], s[40:41]
	s_cbranch_execz .LBB318_1165
; %bb.1162:                             ;   in Loop: Header=BB318_809 Depth=1
	v_and_b32_e32 v12, 0x7f, v26
	v_cmp_ne_u32_e32 vcc, s43, v12
	v_mov_b32_e32 v0, 0x7f800001
	s_and_saveexec_b64 s[40:41], vcc
	s_cbranch_execz .LBB318_1164
; %bb.1163:                             ;   in Loop: Header=BB318_809 Depth=1
	v_and_b32_e32 v0, 7, v26
	v_ffbh_u32_e32 v0, v0
	v_min_u32_e32 v0, 32, v0
	v_lshrrev_b32_e32 v13, 3, v12
	v_cmp_gt_u32_e32 vcc, 8, v12
	v_subrev_u32_e32 v12, 28, v0
	v_sub_u32_e32 v0, 29, v0
	v_cndmask_b32_e32 v12, 0, v12, vcc
	v_cndmask_b32_e32 v0, v13, v0, vcc
	v_lshlrev_b64 v[12:13], v12, v[26:27]
	v_lshlrev_b32_e32 v13, 24, v26
	v_lshlrev_b32_e32 v12, 20, v12
	v_bfrev_b32_e32 v14, 60
	v_and_b32_e32 v12, 0x700000, v12
	v_and_b32_e32 v13, 0x80000000, v13
	v_lshl_add_u32 v0, v0, 23, v14
	v_or3_b32 v0, v13, v0, v12
.LBB318_1164:                           ;   in Loop: Header=BB318_809 Depth=1
	s_or_b64 exec, exec, s[40:41]
.LBB318_1165:                           ;   in Loop: Header=BB318_809 Depth=1
	s_or_b64 exec, exec, s[28:29]
.LBB318_1166:                           ;   in Loop: Header=BB318_809 Depth=1
	s_or_b64 exec, exec, s[26:27]
	v_lshrrev_b16_e32 v14, 8, v26
	v_cmp_ne_u16_e32 vcc, 0, v14
	s_and_saveexec_b64 s[26:27], vcc
	s_cbranch_execz .LBB318_1172
; %bb.1167:                             ;   in Loop: Header=BB318_809 Depth=1
	v_cmp_ne_u16_e32 vcc, s42, v14
	v_bfrev_b32_e32 v1, 1
	s_and_saveexec_b64 s[28:29], vcc
	s_cbranch_execz .LBB318_1171
; %bb.1168:                             ;   in Loop: Header=BB318_809 Depth=1
	v_and_b32_e32 v12, 0x7f, v14
	v_cmp_ne_u32_e32 vcc, s43, v12
	v_mov_b32_e32 v1, 0x7f800001
	s_and_saveexec_b64 s[40:41], vcc
	s_cbranch_execz .LBB318_1170
; %bb.1169:                             ;   in Loop: Header=BB318_809 Depth=1
	v_and_b32_e32 v1, 7, v14
	v_lshrrev_b32_e32 v16, 3, v12
	v_cmp_gt_u32_e32 vcc, 8, v12
	v_ffbh_u32_e32 v12, v1
	v_min_u32_e32 v17, 32, v12
	v_subrev_u32_e32 v12, 28, v17
	v_lshlrev_b64 v[12:13], v12, v[14:15]
	v_sub_u32_e32 v13, 29, v17
	v_and_b32_e32 v12, 7, v12
	v_cndmask_b32_e32 v13, v16, v13, vcc
	v_cndmask_b32_e32 v1, v1, v12, vcc
	v_lshlrev_b32_e32 v12, 16, v26
	v_bfrev_b32_e32 v14, 60
	v_lshlrev_b32_e32 v1, 20, v1
	v_and_b32_e32 v12, 0x80000000, v12
	v_lshl_add_u32 v13, v13, 23, v14
	v_or3_b32 v1, v12, v13, v1
.LBB318_1170:                           ;   in Loop: Header=BB318_809 Depth=1
	s_or_b64 exec, exec, s[40:41]
.LBB318_1171:                           ;   in Loop: Header=BB318_809 Depth=1
	s_or_b64 exec, exec, s[28:29]
.LBB318_1172:                           ;   in Loop: Header=BB318_809 Depth=1
	s_or_b64 exec, exec, s[26:27]
	v_lshrrev_b32_e32 v14, 16, v26
	v_cmp_ne_u16_sdwa s[28:29], v14, v15 src0_sel:BYTE_0 src1_sel:DWORD
	v_mov_b32_e32 v13, 0
	v_mov_b32_e32 v12, 0
	s_and_saveexec_b64 s[26:27], s[28:29]
	s_cbranch_execz .LBB318_1178
; %bb.1173:                             ;   in Loop: Header=BB318_809 Depth=1
	v_cmp_ne_u16_sdwa s[40:41], v14, s42 src0_sel:BYTE_0 src1_sel:DWORD
	v_bfrev_b32_e32 v12, 1
	s_and_saveexec_b64 s[28:29], s[40:41]
	s_cbranch_execz .LBB318_1177
; %bb.1174:                             ;   in Loop: Header=BB318_809 Depth=1
	v_bfe_u32 v16, v26, 16, 7
	v_cmp_ne_u32_e32 vcc, s43, v16
	v_mov_b32_e32 v12, 0x7f800001
	s_and_saveexec_b64 s[40:41], vcc
	s_cbranch_execz .LBB318_1176
; %bb.1175:                             ;   in Loop: Header=BB318_809 Depth=1
	v_and_b32_e32 v12, 7, v14
	v_lshrrev_b32_e32 v18, 3, v16
	v_cmp_gt_u32_e32 vcc, 8, v16
	v_ffbh_u32_e32 v16, v12
	v_min_u32_e32 v21, 32, v16
	v_subrev_u32_e32 v16, 28, v21
	v_lshlrev_b64 v[16:17], v16, v[14:15]
	v_sub_u32_e32 v17, 29, v21
	v_and_b32_e32 v16, 7, v16
	v_cndmask_b32_e32 v17, v18, v17, vcc
	v_cndmask_b32_e32 v12, v12, v16, vcc
	v_lshlrev_b32_e32 v14, 24, v14
	v_bfrev_b32_e32 v16, 60
	v_lshlrev_b32_e32 v12, 20, v12
	v_and_b32_e32 v14, 0x80000000, v14
	v_lshl_add_u32 v16, v17, 23, v16
	v_or3_b32 v12, v14, v16, v12
.LBB318_1176:                           ;   in Loop: Header=BB318_809 Depth=1
	s_or_b64 exec, exec, s[40:41]
.LBB318_1177:                           ;   in Loop: Header=BB318_809 Depth=1
	s_or_b64 exec, exec, s[28:29]
.LBB318_1178:                           ;   in Loop: Header=BB318_809 Depth=1
	s_or_b64 exec, exec, s[26:27]
	v_cmp_lt_u32_e32 vcc, s11, v26
	s_and_saveexec_b64 s[26:27], vcc
	s_cbranch_execz .LBB318_1184
; %bb.1179:                             ;   in Loop: Header=BB318_809 Depth=1
	v_lshrrev_b32_e32 v14, 24, v26
	v_cmp_ne_u32_e32 vcc, s42, v14
	v_bfrev_b32_e32 v13, 1
	s_and_saveexec_b64 s[28:29], vcc
	s_cbranch_execz .LBB318_1183
; %bb.1180:                             ;   in Loop: Header=BB318_809 Depth=1
	v_bfe_u32 v16, v26, 24, 7
	v_cmp_ne_u32_e32 vcc, s43, v16
	v_mov_b32_e32 v13, 0x7f800001
	s_and_saveexec_b64 s[40:41], vcc
	s_cbranch_execz .LBB318_1182
; %bb.1181:                             ;   in Loop: Header=BB318_809 Depth=1
	v_and_b32_e32 v13, 7, v14
	v_lshrrev_b32_e32 v18, 3, v16
	v_cmp_gt_u32_e32 vcc, 8, v16
	v_ffbh_u32_e32 v16, v13
	v_min_u32_e32 v21, 32, v16
	v_subrev_u32_e32 v16, 28, v21
	v_lshlrev_b64 v[16:17], v16, v[14:15]
	v_sub_u32_e32 v17, 29, v21
	v_and_b32_e32 v16, 7, v16
	v_cndmask_b32_e32 v17, v18, v17, vcc
	v_cndmask_b32_e32 v13, v13, v16, vcc
	v_lshlrev_b32_e32 v14, 24, v14
	v_bfrev_b32_e32 v16, 60
	v_lshlrev_b32_e32 v13, 20, v13
	v_and_b32_e32 v14, 0x80000000, v14
	v_lshl_add_u32 v16, v17, 23, v16
	v_or3_b32 v13, v14, v16, v13
.LBB318_1182:                           ;   in Loop: Header=BB318_809 Depth=1
	s_or_b64 exec, exec, s[40:41]
.LBB318_1183:                           ;   in Loop: Header=BB318_809 Depth=1
	s_or_b64 exec, exec, s[28:29]
.LBB318_1184:                           ;   in Loop: Header=BB318_809 Depth=1
	s_or_b64 exec, exec, s[26:27]
	v_mov_b32_e32 v14, v27
	v_cmp_ne_u16_sdwa s[28:29], v27, v15 src0_sel:BYTE_0 src1_sel:DWORD
	v_mov_b32_e32 v18, 0
	v_mov_b32_e32 v16, 0
	s_and_saveexec_b64 s[26:27], s[28:29]
	s_cbranch_execz .LBB318_1190
; %bb.1185:                             ;   in Loop: Header=BB318_809 Depth=1
	v_cmp_ne_u16_sdwa s[40:41], v27, s42 src0_sel:BYTE_0 src1_sel:DWORD
	v_bfrev_b32_e32 v16, 1
	s_and_saveexec_b64 s[28:29], s[40:41]
	s_cbranch_execz .LBB318_1189
; %bb.1186:                             ;   in Loop: Header=BB318_809 Depth=1
	v_and_b32_e32 v17, 0x7f, v27
	v_cmp_ne_u32_e32 vcc, s43, v17
	v_mov_b32_e32 v16, 0x7f800001
	s_and_saveexec_b64 s[40:41], vcc
	s_cbranch_execz .LBB318_1188
; %bb.1187:                             ;   in Loop: Header=BB318_809 Depth=1
	v_and_b32_e32 v16, 7, v27
	v_ffbh_u32_e32 v16, v16
	v_min_u32_e32 v16, 32, v16
	v_lshrrev_b32_e32 v21, 3, v17
	v_cmp_gt_u32_e32 vcc, 8, v17
	v_subrev_u32_e32 v17, 28, v16
	v_sub_u32_e32 v16, 29, v16
	v_cndmask_b32_e32 v21, v21, v16, vcc
	v_cndmask_b32_e32 v16, 0, v17, vcc
	v_lshlrev_b64 v[16:17], v16, v[14:15]
	v_lshlrev_b32_e32 v17, 24, v14
	v_lshlrev_b32_e32 v16, 20, v16
	v_bfrev_b32_e32 v22, 60
	v_and_b32_e32 v16, 0x700000, v16
	v_and_b32_e32 v17, 0x80000000, v17
	v_lshl_add_u32 v21, v21, 23, v22
	v_or3_b32 v16, v17, v21, v16
.LBB318_1188:                           ;   in Loop: Header=BB318_809 Depth=1
	s_or_b64 exec, exec, s[40:41]
.LBB318_1189:                           ;   in Loop: Header=BB318_809 Depth=1
	s_or_b64 exec, exec, s[28:29]
.LBB318_1190:                           ;   in Loop: Header=BB318_809 Depth=1
	s_or_b64 exec, exec, s[26:27]
	v_lshrrev_b16_e32 v17, 8, v14
	v_cmp_ne_u16_e32 vcc, 0, v17
	s_and_saveexec_b64 s[26:27], vcc
	s_cbranch_execz .LBB318_1196
; %bb.1191:                             ;   in Loop: Header=BB318_809 Depth=1
	v_cmp_ne_u16_e32 vcc, s42, v17
	v_bfrev_b32_e32 v18, 1
	s_and_saveexec_b64 s[28:29], vcc
	s_cbranch_execz .LBB318_1195
; %bb.1192:                             ;   in Loop: Header=BB318_809 Depth=1
	v_and_b32_e32 v21, 0x7f, v17
	v_cmp_ne_u32_e32 vcc, s43, v21
	v_mov_b32_e32 v18, 0x7f800001
	s_and_saveexec_b64 s[40:41], vcc
	s_cbranch_execz .LBB318_1194
; %bb.1193:                             ;   in Loop: Header=BB318_809 Depth=1
	v_and_b32_e32 v22, 7, v17
	v_ffbh_u32_e32 v18, v22
	v_lshrrev_b32_e32 v23, 3, v21
	v_cmp_gt_u32_e32 vcc, 8, v21
	v_min_u32_e32 v21, 32, v18
	v_subrev_u32_e32 v18, 28, v21
	v_lshlrev_b64 v[17:18], v18, v[17:18]
	v_sub_u32_e32 v18, 29, v21
	v_and_b32_e32 v17, 7, v17
	v_cndmask_b32_e32 v18, v23, v18, vcc
	v_cndmask_b32_e32 v17, v22, v17, vcc
	v_lshlrev_b32_e32 v14, 16, v14
	v_bfrev_b32_e32 v21, 60
	v_lshlrev_b32_e32 v17, 20, v17
	v_and_b32_e32 v14, 0x80000000, v14
	v_lshl_add_u32 v18, v18, 23, v21
	v_add_u32_e32 v23, 1, v36
	v_or3_b32 v18, v14, v18, v17
.LBB318_1194:                           ;   in Loop: Header=BB318_809 Depth=1
	s_or_b64 exec, exec, s[40:41]
.LBB318_1195:                           ;   in Loop: Header=BB318_809 Depth=1
	s_or_b64 exec, exec, s[28:29]
.LBB318_1196:                           ;   in Loop: Header=BB318_809 Depth=1
	s_or_b64 exec, exec, s[26:27]
	v_lshrrev_b32_e32 v14, 16, v27
	v_cmp_ne_u16_sdwa s[28:29], v14, v15 src0_sel:BYTE_0 src1_sel:DWORD
	v_mov_b32_e32 v17, 0
	v_mov_b32_e32 v21, 0
	s_and_saveexec_b64 s[26:27], s[28:29]
	s_cbranch_execz .LBB318_1202
; %bb.1197:                             ;   in Loop: Header=BB318_809 Depth=1
	v_cmp_ne_u16_sdwa s[40:41], v14, s42 src0_sel:BYTE_0 src1_sel:DWORD
	v_bfrev_b32_e32 v21, 1
	s_and_saveexec_b64 s[28:29], s[40:41]
	s_cbranch_execz .LBB318_1201
; %bb.1198:                             ;   in Loop: Header=BB318_809 Depth=1
	v_bfe_u32 v22, v27, 16, 7
	v_cmp_ne_u32_e32 vcc, s43, v22
	v_mov_b32_e32 v21, 0x7f800001
	s_and_saveexec_b64 s[40:41], vcc
	s_cbranch_execz .LBB318_1200
; %bb.1199:                             ;   in Loop: Header=BB318_809 Depth=1
	v_and_b32_e32 v23, 7, v14
	v_ffbh_u32_e32 v21, v23
	v_min_u32_e32 v29, 32, v21
	v_subrev_u32_e32 v21, 28, v29
	v_lshrrev_b32_e32 v28, 3, v22
	v_cmp_gt_u32_e32 vcc, 8, v22
	v_lshlrev_b64 v[21:22], v21, v[14:15]
	v_sub_u32_e32 v22, 29, v29
	v_and_b32_e32 v21, 7, v21
	v_cndmask_b32_e32 v22, v28, v22, vcc
	v_cndmask_b32_e32 v21, v23, v21, vcc
	v_lshlrev_b32_e32 v14, 24, v14
	v_bfrev_b32_e32 v23, 60
	v_lshlrev_b32_e32 v21, 20, v21
	v_and_b32_e32 v14, 0x80000000, v14
	v_lshl_add_u32 v22, v22, 23, v23
	v_add_u32_e32 v29, 3, v36
	v_add_u32_e32 v23, 1, v36
	v_or3_b32 v21, v14, v22, v21
.LBB318_1200:                           ;   in Loop: Header=BB318_809 Depth=1
	s_or_b64 exec, exec, s[40:41]
.LBB318_1201:                           ;   in Loop: Header=BB318_809 Depth=1
	s_or_b64 exec, exec, s[28:29]
.LBB318_1202:                           ;   in Loop: Header=BB318_809 Depth=1
	s_or_b64 exec, exec, s[26:27]
	v_cmp_lt_u64_e32 vcc, s[10:11], v[26:27]
	s_and_saveexec_b64 s[26:27], vcc
	s_cbranch_execz .LBB318_1208
; %bb.1203:                             ;   in Loop: Header=BB318_809 Depth=1
	v_lshrrev_b32_e32 v14, 24, v27
	v_cmp_ne_u32_e32 vcc, s42, v14
	v_bfrev_b32_e32 v17, 1
	s_and_saveexec_b64 s[28:29], vcc
	s_cbranch_execz .LBB318_1207
; %bb.1204:                             ;   in Loop: Header=BB318_809 Depth=1
	v_bfe_u32 v22, v27, 24, 7
	v_cmp_ne_u32_e32 vcc, s43, v22
	v_mov_b32_e32 v17, 0x7f800001
	s_and_saveexec_b64 s[40:41], vcc
	s_cbranch_execz .LBB318_1206
; %bb.1205:                             ;   in Loop: Header=BB318_809 Depth=1
	v_and_b32_e32 v17, 7, v14
	v_lshrrev_b32_e32 v26, 3, v22
	v_cmp_gt_u32_e32 vcc, 8, v22
	v_ffbh_u32_e32 v22, v17
	v_min_u32_e32 v27, 32, v22
	v_subrev_u32_e32 v22, 28, v27
	v_lshlrev_b64 v[22:23], v22, v[14:15]
	v_sub_u32_e32 v23, 29, v27
	v_and_b32_e32 v22, 7, v22
	v_cndmask_b32_e32 v23, v26, v23, vcc
	v_cndmask_b32_e32 v17, v17, v22, vcc
	v_lshlrev_b32_e32 v14, 24, v14
	v_bfrev_b32_e32 v22, 60
	v_lshlrev_b32_e32 v17, 20, v17
	v_and_b32_e32 v14, 0x80000000, v14
	v_lshl_add_u32 v22, v23, 23, v22
	v_add_u32_e32 v23, 1, v36
	v_or3_b32 v17, v14, v22, v17
.LBB318_1206:                           ;   in Loop: Header=BB318_809 Depth=1
	s_or_b64 exec, exec, s[40:41]
.LBB318_1207:                           ;   in Loop: Header=BB318_809 Depth=1
	s_or_b64 exec, exec, s[28:29]
.LBB318_1208:                           ;   in Loop: Header=BB318_809 Depth=1
	s_or_b64 exec, exec, s[26:27]
	v_mul_f32_e32 v14, v46, v18
	v_bfe_u32 v18, v14, 16, 1
	v_add3_u32 v18, v18, v14, s44
	v_or_b32_e32 v22, 0x400000, v14
	v_cmp_u_f32_e32 vcc, v14, v14
	v_cndmask_b32_e32 v14, v18, v22, vcc
	v_lshrrev_b32_e32 v14, 16, v14
	buffer_store_dword v14, off, s[0:3], s32 offset:328 ; 4-byte Folded Spill
	v_mul_f32_e32 v14, v46, v16
	v_bfe_u32 v16, v14, 16, 1
	v_add3_u32 v16, v16, v14, s44
	v_or_b32_e32 v18, 0x400000, v14
	v_cmp_u_f32_e32 vcc, v14, v14
	v_cndmask_b32_e32 v14, v16, v18, vcc
	v_lshrrev_b32_e32 v14, 16, v14
	v_mul_f32_e32 v13, v46, v13
	buffer_store_dword v14, off, s[0:3], s32 offset:324 ; 4-byte Folded Spill
	v_bfe_u32 v14, v13, 16, 1
	v_add3_u32 v14, v14, v13, s44
	v_or_b32_e32 v16, 0x400000, v13
	v_cmp_u_f32_e32 vcc, v13, v13
	v_cndmask_b32_e32 v13, v14, v16, vcc
	v_lshrrev_b32_e32 v13, 16, v13
	v_mul_f32_e32 v12, v46, v12
	buffer_store_dword v13, off, s[0:3], s32 offset:340 ; 4-byte Folded Spill
	;; [unrolled: 8-line block ×4, first 2 shown]
	v_bfe_u32 v1, v0, 16, 1
	v_add3_u32 v1, v1, v0, s44
	v_or_b32_e32 v12, 0x400000, v0
	v_cmp_u_f32_e32 vcc, v0, v0
	v_cndmask_b32_e32 v0, v1, v12, vcc
	v_lshrrev_b32_e32 v0, 16, v0
	buffer_store_dword v0, off, s[0:3], s32 offset:348 ; 4-byte Folded Spill
	v_mul_f32_e32 v0, v46, v21
	v_bfe_u32 v1, v0, 16, 1
	v_add3_u32 v1, v1, v0, s44
	v_or_b32_e32 v12, 0x400000, v0
	v_cmp_u_f32_e32 vcc, v0, v0
	v_cndmask_b32_e32 v0, v1, v12, vcc
	v_lshrrev_b32_e32 v0, 16, v0
	buffer_store_dword v0, off, s[0:3], s32 offset:332 ; 4-byte Folded Spill
	v_mul_f32_e32 v0, v46, v17
	v_bfe_u32 v1, v0, 16, 1
	v_add3_u32 v1, v1, v0, s44
	v_or_b32_e32 v12, 0x400000, v0
	v_cmp_u_f32_e32 vcc, v0, v0
	v_cndmask_b32_e32 v0, v1, v12, vcc
	v_lshrrev_b32_e32 v0, 16, v0
	buffer_store_dword v0, off, s[0:3], s32 offset:344 ; 4-byte Folded Spill
	s_and_saveexec_b64 s[26:27], s[6:7]
	s_cbranch_execz .LBB318_1210
; %bb.1209:                             ;   in Loop: Header=BB318_809 Depth=1
	buffer_load_dword v0, off, s[0:3], s32 offset:64 ; 4-byte Folded Reload
	buffer_load_dword v1, off, s[0:3], s32 offset:348 ; 4-byte Folded Reload
	s_waitcnt vmcnt(1)
	v_cmp_lt_i32_e32 vcc, v36, v0
	s_waitcnt vmcnt(0)
	v_cndmask_b32_e32 v1, 0, v1, vcc
	buffer_store_dword v1, off, s[0:3], s32 offset:348 ; 4-byte Folded Spill
	buffer_load_dword v1, off, s[0:3], s32 offset:352 ; 4-byte Folded Reload
	v_cmp_lt_i32_e32 vcc, v23, v0
	s_waitcnt vmcnt(0)
	v_cndmask_b32_e32 v1, 0, v1, vcc
	buffer_store_dword v1, off, s[0:3], s32 offset:352 ; 4-byte Folded Spill
	buffer_load_dword v1, off, s[0:3], s32 offset:336 ; 4-byte Folded Reload
	;; [unrolled: 5-line block ×6, first 2 shown]
	v_cmp_lt_i32_e32 vcc, v39, v0
	s_waitcnt vmcnt(0)
	v_cndmask_b32_e32 v1, 0, v1, vcc
	v_cmp_lt_i32_e32 vcc, v38, v0
	buffer_load_dword v0, off, s[0:3], s32 offset:344 ; 4-byte Folded Reload
	s_waitcnt vmcnt(0)
	v_cndmask_b32_e32 v0, 0, v0, vcc
	buffer_store_dword v1, off, s[0:3], s32 offset:332 ; 4-byte Folded Spill
	buffer_store_dword v0, off, s[0:3], s32 offset:344 ; 4-byte Folded Spill
.LBB318_1210:                           ;   in Loop: Header=BB318_809 Depth=1
	s_or_b64 exec, exec, s[26:27]
	v_add_co_u32_e32 v0, vcc, 0x1000, v24
	v_addc_co_u32_e32 v1, vcc, 0, v25, vcc
	flat_load_dwordx2 v[26:27], v[0:1]
	v_mov_b32_e32 v1, 0
	v_mov_b32_e32 v0, 0
	s_waitcnt vmcnt(0) lgkmcnt(0)
	v_cmp_ne_u16_sdwa s[28:29], v26, v15 src0_sel:BYTE_0 src1_sel:DWORD
	s_and_saveexec_b64 s[26:27], s[28:29]
	s_cbranch_execz .LBB318_1216
; %bb.1211:                             ;   in Loop: Header=BB318_809 Depth=1
	v_cmp_ne_u16_sdwa s[40:41], v26, s42 src0_sel:BYTE_0 src1_sel:DWORD
	v_bfrev_b32_e32 v0, 1
	s_and_saveexec_b64 s[28:29], s[40:41]
	s_cbranch_execz .LBB318_1215
; %bb.1212:                             ;   in Loop: Header=BB318_809 Depth=1
	v_and_b32_e32 v12, 0x7f, v26
	v_cmp_ne_u32_e32 vcc, s43, v12
	v_mov_b32_e32 v0, 0x7f800001
	s_and_saveexec_b64 s[40:41], vcc
	s_cbranch_execz .LBB318_1214
; %bb.1213:                             ;   in Loop: Header=BB318_809 Depth=1
	v_and_b32_e32 v0, 7, v26
	v_ffbh_u32_e32 v0, v0
	v_min_u32_e32 v0, 32, v0
	v_lshrrev_b32_e32 v13, 3, v12
	v_cmp_gt_u32_e32 vcc, 8, v12
	v_subrev_u32_e32 v12, 28, v0
	v_sub_u32_e32 v0, 29, v0
	v_cndmask_b32_e32 v12, 0, v12, vcc
	v_cndmask_b32_e32 v0, v13, v0, vcc
	v_lshlrev_b64 v[12:13], v12, v[26:27]
	v_lshlrev_b32_e32 v13, 24, v26
	v_lshlrev_b32_e32 v12, 20, v12
	v_bfrev_b32_e32 v14, 60
	v_and_b32_e32 v12, 0x700000, v12
	v_and_b32_e32 v13, 0x80000000, v13
	v_lshl_add_u32 v0, v0, 23, v14
	v_or3_b32 v0, v13, v0, v12
.LBB318_1214:                           ;   in Loop: Header=BB318_809 Depth=1
	s_or_b64 exec, exec, s[40:41]
.LBB318_1215:                           ;   in Loop: Header=BB318_809 Depth=1
	s_or_b64 exec, exec, s[28:29]
.LBB318_1216:                           ;   in Loop: Header=BB318_809 Depth=1
	s_or_b64 exec, exec, s[26:27]
	v_lshrrev_b16_e32 v14, 8, v26
	v_cmp_ne_u16_e32 vcc, 0, v14
	s_and_saveexec_b64 s[26:27], vcc
	s_cbranch_execz .LBB318_1222
; %bb.1217:                             ;   in Loop: Header=BB318_809 Depth=1
	v_cmp_ne_u16_e32 vcc, s42, v14
	v_bfrev_b32_e32 v1, 1
	s_and_saveexec_b64 s[28:29], vcc
	s_cbranch_execz .LBB318_1221
; %bb.1218:                             ;   in Loop: Header=BB318_809 Depth=1
	v_and_b32_e32 v12, 0x7f, v14
	v_cmp_ne_u32_e32 vcc, s43, v12
	v_mov_b32_e32 v1, 0x7f800001
	s_and_saveexec_b64 s[40:41], vcc
	s_cbranch_execz .LBB318_1220
; %bb.1219:                             ;   in Loop: Header=BB318_809 Depth=1
	v_and_b32_e32 v1, 7, v14
	v_lshrrev_b32_e32 v16, 3, v12
	v_cmp_gt_u32_e32 vcc, 8, v12
	v_ffbh_u32_e32 v12, v1
	v_min_u32_e32 v17, 32, v12
	v_subrev_u32_e32 v12, 28, v17
	v_lshlrev_b64 v[12:13], v12, v[14:15]
	v_sub_u32_e32 v13, 29, v17
	v_and_b32_e32 v12, 7, v12
	v_cndmask_b32_e32 v13, v16, v13, vcc
	v_cndmask_b32_e32 v1, v1, v12, vcc
	v_lshlrev_b32_e32 v12, 16, v26
	v_bfrev_b32_e32 v14, 60
	v_lshlrev_b32_e32 v1, 20, v1
	v_and_b32_e32 v12, 0x80000000, v12
	v_lshl_add_u32 v13, v13, 23, v14
	v_or3_b32 v1, v12, v13, v1
.LBB318_1220:                           ;   in Loop: Header=BB318_809 Depth=1
	s_or_b64 exec, exec, s[40:41]
.LBB318_1221:                           ;   in Loop: Header=BB318_809 Depth=1
	s_or_b64 exec, exec, s[28:29]
.LBB318_1222:                           ;   in Loop: Header=BB318_809 Depth=1
	s_or_b64 exec, exec, s[26:27]
	v_lshrrev_b32_e32 v14, 16, v26
	v_cmp_ne_u16_sdwa s[28:29], v14, v15 src0_sel:BYTE_0 src1_sel:DWORD
	v_mov_b32_e32 v13, 0
	v_mov_b32_e32 v12, 0
	s_and_saveexec_b64 s[26:27], s[28:29]
	s_cbranch_execz .LBB318_1228
; %bb.1223:                             ;   in Loop: Header=BB318_809 Depth=1
	v_cmp_ne_u16_sdwa s[40:41], v14, s42 src0_sel:BYTE_0 src1_sel:DWORD
	v_bfrev_b32_e32 v12, 1
	s_and_saveexec_b64 s[28:29], s[40:41]
	s_cbranch_execz .LBB318_1227
; %bb.1224:                             ;   in Loop: Header=BB318_809 Depth=1
	v_bfe_u32 v16, v26, 16, 7
	v_cmp_ne_u32_e32 vcc, s43, v16
	v_mov_b32_e32 v12, 0x7f800001
	s_and_saveexec_b64 s[40:41], vcc
	s_cbranch_execz .LBB318_1226
; %bb.1225:                             ;   in Loop: Header=BB318_809 Depth=1
	v_and_b32_e32 v12, 7, v14
	v_lshrrev_b32_e32 v18, 3, v16
	v_cmp_gt_u32_e32 vcc, 8, v16
	v_ffbh_u32_e32 v16, v12
	v_min_u32_e32 v21, 32, v16
	v_subrev_u32_e32 v16, 28, v21
	v_lshlrev_b64 v[16:17], v16, v[14:15]
	v_sub_u32_e32 v17, 29, v21
	v_and_b32_e32 v16, 7, v16
	v_cndmask_b32_e32 v17, v18, v17, vcc
	v_cndmask_b32_e32 v12, v12, v16, vcc
	v_lshlrev_b32_e32 v14, 24, v14
	v_bfrev_b32_e32 v16, 60
	v_lshlrev_b32_e32 v12, 20, v12
	v_and_b32_e32 v14, 0x80000000, v14
	v_lshl_add_u32 v16, v17, 23, v16
	v_or3_b32 v12, v14, v16, v12
.LBB318_1226:                           ;   in Loop: Header=BB318_809 Depth=1
	s_or_b64 exec, exec, s[40:41]
.LBB318_1227:                           ;   in Loop: Header=BB318_809 Depth=1
	s_or_b64 exec, exec, s[28:29]
.LBB318_1228:                           ;   in Loop: Header=BB318_809 Depth=1
	s_or_b64 exec, exec, s[26:27]
	v_cmp_lt_u32_e32 vcc, s11, v26
	s_and_saveexec_b64 s[26:27], vcc
	s_cbranch_execz .LBB318_1234
; %bb.1229:                             ;   in Loop: Header=BB318_809 Depth=1
	v_lshrrev_b32_e32 v14, 24, v26
	v_cmp_ne_u32_e32 vcc, s42, v14
	v_bfrev_b32_e32 v13, 1
	s_and_saveexec_b64 s[28:29], vcc
	s_cbranch_execz .LBB318_1233
; %bb.1230:                             ;   in Loop: Header=BB318_809 Depth=1
	v_bfe_u32 v16, v26, 24, 7
	v_cmp_ne_u32_e32 vcc, s43, v16
	v_mov_b32_e32 v13, 0x7f800001
	s_and_saveexec_b64 s[40:41], vcc
	s_cbranch_execz .LBB318_1232
; %bb.1231:                             ;   in Loop: Header=BB318_809 Depth=1
	v_and_b32_e32 v13, 7, v14
	v_lshrrev_b32_e32 v18, 3, v16
	v_cmp_gt_u32_e32 vcc, 8, v16
	v_ffbh_u32_e32 v16, v13
	v_min_u32_e32 v21, 32, v16
	v_subrev_u32_e32 v16, 28, v21
	v_lshlrev_b64 v[16:17], v16, v[14:15]
	v_sub_u32_e32 v17, 29, v21
	v_and_b32_e32 v16, 7, v16
	v_cndmask_b32_e32 v17, v18, v17, vcc
	v_cndmask_b32_e32 v13, v13, v16, vcc
	v_lshlrev_b32_e32 v14, 24, v14
	v_bfrev_b32_e32 v16, 60
	v_lshlrev_b32_e32 v13, 20, v13
	v_and_b32_e32 v14, 0x80000000, v14
	v_lshl_add_u32 v16, v17, 23, v16
	v_or3_b32 v13, v14, v16, v13
.LBB318_1232:                           ;   in Loop: Header=BB318_809 Depth=1
	s_or_b64 exec, exec, s[40:41]
.LBB318_1233:                           ;   in Loop: Header=BB318_809 Depth=1
	s_or_b64 exec, exec, s[28:29]
.LBB318_1234:                           ;   in Loop: Header=BB318_809 Depth=1
	s_or_b64 exec, exec, s[26:27]
	v_mov_b32_e32 v14, v27
	v_cmp_ne_u16_sdwa s[28:29], v27, v15 src0_sel:BYTE_0 src1_sel:DWORD
	v_mov_b32_e32 v18, 0
	v_mov_b32_e32 v16, 0
	s_and_saveexec_b64 s[26:27], s[28:29]
	s_cbranch_execz .LBB318_1240
; %bb.1235:                             ;   in Loop: Header=BB318_809 Depth=1
	v_cmp_ne_u16_sdwa s[40:41], v27, s42 src0_sel:BYTE_0 src1_sel:DWORD
	v_bfrev_b32_e32 v16, 1
	s_and_saveexec_b64 s[28:29], s[40:41]
	s_cbranch_execz .LBB318_1239
; %bb.1236:                             ;   in Loop: Header=BB318_809 Depth=1
	v_and_b32_e32 v17, 0x7f, v27
	v_cmp_ne_u32_e32 vcc, s43, v17
	v_mov_b32_e32 v16, 0x7f800001
	s_and_saveexec_b64 s[40:41], vcc
	s_cbranch_execz .LBB318_1238
; %bb.1237:                             ;   in Loop: Header=BB318_809 Depth=1
	v_and_b32_e32 v16, 7, v27
	v_ffbh_u32_e32 v16, v16
	v_min_u32_e32 v16, 32, v16
	v_lshrrev_b32_e32 v21, 3, v17
	v_cmp_gt_u32_e32 vcc, 8, v17
	v_subrev_u32_e32 v17, 28, v16
	v_sub_u32_e32 v16, 29, v16
	v_cndmask_b32_e32 v21, v21, v16, vcc
	v_cndmask_b32_e32 v16, 0, v17, vcc
	v_lshlrev_b64 v[16:17], v16, v[14:15]
	v_lshlrev_b32_e32 v17, 24, v14
	v_lshlrev_b32_e32 v16, 20, v16
	v_bfrev_b32_e32 v22, 60
	v_and_b32_e32 v16, 0x700000, v16
	v_and_b32_e32 v17, 0x80000000, v17
	v_lshl_add_u32 v21, v21, 23, v22
	v_or3_b32 v16, v17, v21, v16
.LBB318_1238:                           ;   in Loop: Header=BB318_809 Depth=1
	s_or_b64 exec, exec, s[40:41]
.LBB318_1239:                           ;   in Loop: Header=BB318_809 Depth=1
	s_or_b64 exec, exec, s[28:29]
.LBB318_1240:                           ;   in Loop: Header=BB318_809 Depth=1
	s_or_b64 exec, exec, s[26:27]
	v_lshrrev_b16_e32 v17, 8, v14
	v_cmp_ne_u16_e32 vcc, 0, v17
	s_and_saveexec_b64 s[26:27], vcc
	s_cbranch_execz .LBB318_1246
; %bb.1241:                             ;   in Loop: Header=BB318_809 Depth=1
	v_cmp_ne_u16_e32 vcc, s42, v17
	v_bfrev_b32_e32 v18, 1
	s_and_saveexec_b64 s[28:29], vcc
	s_cbranch_execz .LBB318_1245
; %bb.1242:                             ;   in Loop: Header=BB318_809 Depth=1
	v_and_b32_e32 v21, 0x7f, v17
	v_cmp_ne_u32_e32 vcc, s43, v21
	v_mov_b32_e32 v18, 0x7f800001
	s_and_saveexec_b64 s[40:41], vcc
	s_cbranch_execz .LBB318_1244
; %bb.1243:                             ;   in Loop: Header=BB318_809 Depth=1
	v_and_b32_e32 v22, 7, v17
	v_ffbh_u32_e32 v18, v22
	v_lshrrev_b32_e32 v23, 3, v21
	v_cmp_gt_u32_e32 vcc, 8, v21
	v_min_u32_e32 v21, 32, v18
	v_subrev_u32_e32 v18, 28, v21
	v_lshlrev_b64 v[17:18], v18, v[17:18]
	v_sub_u32_e32 v18, 29, v21
	v_and_b32_e32 v17, 7, v17
	v_cndmask_b32_e32 v18, v23, v18, vcc
	v_cndmask_b32_e32 v17, v22, v17, vcc
	v_lshlrev_b32_e32 v14, 16, v14
	v_bfrev_b32_e32 v21, 60
	v_lshlrev_b32_e32 v17, 20, v17
	v_and_b32_e32 v14, 0x80000000, v14
	v_lshl_add_u32 v18, v18, 23, v21
	v_add_u32_e32 v23, 1, v36
	v_or3_b32 v18, v14, v18, v17
.LBB318_1244:                           ;   in Loop: Header=BB318_809 Depth=1
	s_or_b64 exec, exec, s[40:41]
.LBB318_1245:                           ;   in Loop: Header=BB318_809 Depth=1
	s_or_b64 exec, exec, s[28:29]
.LBB318_1246:                           ;   in Loop: Header=BB318_809 Depth=1
	s_or_b64 exec, exec, s[26:27]
	v_lshrrev_b32_e32 v14, 16, v27
	v_cmp_ne_u16_sdwa s[28:29], v14, v15 src0_sel:BYTE_0 src1_sel:DWORD
	v_mov_b32_e32 v17, 0
	v_mov_b32_e32 v21, 0
	s_and_saveexec_b64 s[26:27], s[28:29]
	s_cbranch_execz .LBB318_1252
; %bb.1247:                             ;   in Loop: Header=BB318_809 Depth=1
	v_cmp_ne_u16_sdwa s[40:41], v14, s42 src0_sel:BYTE_0 src1_sel:DWORD
	v_bfrev_b32_e32 v21, 1
	s_and_saveexec_b64 s[28:29], s[40:41]
	s_cbranch_execz .LBB318_1251
; %bb.1248:                             ;   in Loop: Header=BB318_809 Depth=1
	v_bfe_u32 v22, v27, 16, 7
	v_cmp_ne_u32_e32 vcc, s43, v22
	v_mov_b32_e32 v21, 0x7f800001
	s_and_saveexec_b64 s[40:41], vcc
	s_cbranch_execz .LBB318_1250
; %bb.1249:                             ;   in Loop: Header=BB318_809 Depth=1
	v_and_b32_e32 v23, 7, v14
	v_ffbh_u32_e32 v21, v23
	v_min_u32_e32 v29, 32, v21
	v_subrev_u32_e32 v21, 28, v29
	v_lshrrev_b32_e32 v28, 3, v22
	v_cmp_gt_u32_e32 vcc, 8, v22
	v_lshlrev_b64 v[21:22], v21, v[14:15]
	v_sub_u32_e32 v22, 29, v29
	v_and_b32_e32 v21, 7, v21
	v_cndmask_b32_e32 v22, v28, v22, vcc
	v_cndmask_b32_e32 v21, v23, v21, vcc
	v_lshlrev_b32_e32 v14, 24, v14
	v_bfrev_b32_e32 v23, 60
	v_lshlrev_b32_e32 v21, 20, v21
	v_and_b32_e32 v14, 0x80000000, v14
	v_lshl_add_u32 v22, v22, 23, v23
	v_add_u32_e32 v29, 3, v36
	v_add_u32_e32 v23, 1, v36
	v_or3_b32 v21, v14, v22, v21
.LBB318_1250:                           ;   in Loop: Header=BB318_809 Depth=1
	s_or_b64 exec, exec, s[40:41]
.LBB318_1251:                           ;   in Loop: Header=BB318_809 Depth=1
	s_or_b64 exec, exec, s[28:29]
.LBB318_1252:                           ;   in Loop: Header=BB318_809 Depth=1
	s_or_b64 exec, exec, s[26:27]
	v_cmp_lt_u64_e32 vcc, s[10:11], v[26:27]
	s_and_saveexec_b64 s[26:27], vcc
	s_cbranch_execz .LBB318_1258
; %bb.1253:                             ;   in Loop: Header=BB318_809 Depth=1
	v_lshrrev_b32_e32 v14, 24, v27
	v_cmp_ne_u32_e32 vcc, s42, v14
	v_bfrev_b32_e32 v17, 1
	s_and_saveexec_b64 s[28:29], vcc
	s_cbranch_execz .LBB318_1257
; %bb.1254:                             ;   in Loop: Header=BB318_809 Depth=1
	v_bfe_u32 v22, v27, 24, 7
	v_cmp_ne_u32_e32 vcc, s43, v22
	v_mov_b32_e32 v17, 0x7f800001
	s_and_saveexec_b64 s[40:41], vcc
	s_cbranch_execz .LBB318_1256
; %bb.1255:                             ;   in Loop: Header=BB318_809 Depth=1
	v_and_b32_e32 v17, 7, v14
	v_lshrrev_b32_e32 v26, 3, v22
	v_cmp_gt_u32_e32 vcc, 8, v22
	v_ffbh_u32_e32 v22, v17
	v_min_u32_e32 v27, 32, v22
	v_subrev_u32_e32 v22, 28, v27
	v_lshlrev_b64 v[22:23], v22, v[14:15]
	v_sub_u32_e32 v23, 29, v27
	v_and_b32_e32 v22, 7, v22
	v_cndmask_b32_e32 v23, v26, v23, vcc
	v_cndmask_b32_e32 v17, v17, v22, vcc
	v_lshlrev_b32_e32 v14, 24, v14
	v_bfrev_b32_e32 v22, 60
	v_lshlrev_b32_e32 v17, 20, v17
	v_and_b32_e32 v14, 0x80000000, v14
	v_lshl_add_u32 v22, v23, 23, v22
	v_add_u32_e32 v23, 1, v36
	v_or3_b32 v17, v14, v22, v17
.LBB318_1256:                           ;   in Loop: Header=BB318_809 Depth=1
	s_or_b64 exec, exec, s[40:41]
.LBB318_1257:                           ;   in Loop: Header=BB318_809 Depth=1
	s_or_b64 exec, exec, s[28:29]
.LBB318_1258:                           ;   in Loop: Header=BB318_809 Depth=1
	s_or_b64 exec, exec, s[26:27]
	v_mul_f32_e32 v14, v46, v18
	v_bfe_u32 v18, v14, 16, 1
	v_add3_u32 v18, v18, v14, s44
	v_or_b32_e32 v22, 0x400000, v14
	v_cmp_u_f32_e32 vcc, v14, v14
	v_cndmask_b32_e32 v14, v18, v22, vcc
	v_lshrrev_b32_e32 v14, 16, v14
	buffer_store_dword v14, off, s[0:3], s32 offset:360 ; 4-byte Folded Spill
	v_mul_f32_e32 v14, v46, v16
	v_bfe_u32 v16, v14, 16, 1
	v_add3_u32 v16, v16, v14, s44
	v_or_b32_e32 v18, 0x400000, v14
	v_cmp_u_f32_e32 vcc, v14, v14
	v_cndmask_b32_e32 v14, v16, v18, vcc
	v_lshrrev_b32_e32 v14, 16, v14
	v_mul_f32_e32 v13, v46, v13
	buffer_store_dword v14, off, s[0:3], s32 offset:356 ; 4-byte Folded Spill
	v_bfe_u32 v14, v13, 16, 1
	v_add3_u32 v14, v14, v13, s44
	v_or_b32_e32 v16, 0x400000, v13
	v_cmp_u_f32_e32 vcc, v13, v13
	v_cndmask_b32_e32 v13, v14, v16, vcc
	v_lshrrev_b32_e32 v13, 16, v13
	v_mul_f32_e32 v12, v46, v12
	buffer_store_dword v13, off, s[0:3], s32 offset:372 ; 4-byte Folded Spill
	;; [unrolled: 8-line block ×4, first 2 shown]
	v_bfe_u32 v1, v0, 16, 1
	v_add3_u32 v1, v1, v0, s44
	v_or_b32_e32 v12, 0x400000, v0
	v_cmp_u_f32_e32 vcc, v0, v0
	v_cndmask_b32_e32 v0, v1, v12, vcc
	v_lshrrev_b32_e32 v0, 16, v0
	buffer_store_dword v0, off, s[0:3], s32 offset:380 ; 4-byte Folded Spill
	v_mul_f32_e32 v0, v46, v21
	v_bfe_u32 v1, v0, 16, 1
	v_add3_u32 v1, v1, v0, s44
	v_or_b32_e32 v12, 0x400000, v0
	v_cmp_u_f32_e32 vcc, v0, v0
	v_cndmask_b32_e32 v0, v1, v12, vcc
	v_lshrrev_b32_e32 v0, 16, v0
	buffer_store_dword v0, off, s[0:3], s32 offset:364 ; 4-byte Folded Spill
	v_mul_f32_e32 v0, v46, v17
	v_bfe_u32 v1, v0, 16, 1
	v_add3_u32 v1, v1, v0, s44
	v_or_b32_e32 v12, 0x400000, v0
	v_cmp_u_f32_e32 vcc, v0, v0
	v_cndmask_b32_e32 v0, v1, v12, vcc
	v_lshrrev_b32_e32 v0, 16, v0
	buffer_store_dword v0, off, s[0:3], s32 offset:376 ; 4-byte Folded Spill
	s_and_saveexec_b64 s[26:27], s[6:7]
	s_cbranch_execz .LBB318_1260
; %bb.1259:                             ;   in Loop: Header=BB318_809 Depth=1
	buffer_load_dword v0, off, s[0:3], s32 offset:64 ; 4-byte Folded Reload
	buffer_load_dword v1, off, s[0:3], s32 offset:380 ; 4-byte Folded Reload
	s_waitcnt vmcnt(1)
	v_cmp_lt_i32_e32 vcc, v36, v0
	s_waitcnt vmcnt(0)
	v_cndmask_b32_e32 v1, 0, v1, vcc
	buffer_store_dword v1, off, s[0:3], s32 offset:380 ; 4-byte Folded Spill
	buffer_load_dword v1, off, s[0:3], s32 offset:384 ; 4-byte Folded Reload
	v_cmp_lt_i32_e32 vcc, v23, v0
	s_waitcnt vmcnt(0)
	v_cndmask_b32_e32 v1, 0, v1, vcc
	buffer_store_dword v1, off, s[0:3], s32 offset:384 ; 4-byte Folded Spill
	buffer_load_dword v1, off, s[0:3], s32 offset:368 ; 4-byte Folded Reload
	;; [unrolled: 5-line block ×6, first 2 shown]
	v_cmp_lt_i32_e32 vcc, v39, v0
	s_waitcnt vmcnt(0)
	v_cndmask_b32_e32 v1, 0, v1, vcc
	v_cmp_lt_i32_e32 vcc, v38, v0
	buffer_load_dword v0, off, s[0:3], s32 offset:376 ; 4-byte Folded Reload
	s_waitcnt vmcnt(0)
	v_cndmask_b32_e32 v0, 0, v0, vcc
	buffer_store_dword v1, off, s[0:3], s32 offset:364 ; 4-byte Folded Spill
	buffer_store_dword v0, off, s[0:3], s32 offset:376 ; 4-byte Folded Spill
.LBB318_1260:                           ;   in Loop: Header=BB318_809 Depth=1
	s_or_b64 exec, exec, s[26:27]
	v_add_co_u32_e32 v0, vcc, 0x1000, v24
	v_addc_co_u32_e32 v1, vcc, 0, v25, vcc
	flat_load_dwordx2 v[26:27], v[0:1] offset:512
	v_mov_b32_e32 v1, 0
	v_mov_b32_e32 v0, 0
	s_waitcnt vmcnt(0) lgkmcnt(0)
	v_cmp_ne_u16_sdwa s[28:29], v26, v15 src0_sel:BYTE_0 src1_sel:DWORD
	s_and_saveexec_b64 s[26:27], s[28:29]
	s_cbranch_execz .LBB318_1266
; %bb.1261:                             ;   in Loop: Header=BB318_809 Depth=1
	v_cmp_ne_u16_sdwa s[40:41], v26, s42 src0_sel:BYTE_0 src1_sel:DWORD
	v_bfrev_b32_e32 v0, 1
	s_and_saveexec_b64 s[28:29], s[40:41]
	s_cbranch_execz .LBB318_1265
; %bb.1262:                             ;   in Loop: Header=BB318_809 Depth=1
	v_and_b32_e32 v12, 0x7f, v26
	v_cmp_ne_u32_e32 vcc, s43, v12
	v_mov_b32_e32 v0, 0x7f800001
	s_and_saveexec_b64 s[40:41], vcc
	s_cbranch_execz .LBB318_1264
; %bb.1263:                             ;   in Loop: Header=BB318_809 Depth=1
	v_and_b32_e32 v0, 7, v26
	v_ffbh_u32_e32 v0, v0
	v_min_u32_e32 v0, 32, v0
	v_lshrrev_b32_e32 v13, 3, v12
	v_cmp_gt_u32_e32 vcc, 8, v12
	v_subrev_u32_e32 v12, 28, v0
	v_sub_u32_e32 v0, 29, v0
	v_cndmask_b32_e32 v12, 0, v12, vcc
	v_cndmask_b32_e32 v0, v13, v0, vcc
	v_lshlrev_b64 v[12:13], v12, v[26:27]
	v_lshlrev_b32_e32 v13, 24, v26
	v_lshlrev_b32_e32 v12, 20, v12
	v_bfrev_b32_e32 v14, 60
	v_and_b32_e32 v12, 0x700000, v12
	v_and_b32_e32 v13, 0x80000000, v13
	v_lshl_add_u32 v0, v0, 23, v14
	v_or3_b32 v0, v13, v0, v12
.LBB318_1264:                           ;   in Loop: Header=BB318_809 Depth=1
	s_or_b64 exec, exec, s[40:41]
.LBB318_1265:                           ;   in Loop: Header=BB318_809 Depth=1
	s_or_b64 exec, exec, s[28:29]
.LBB318_1266:                           ;   in Loop: Header=BB318_809 Depth=1
	s_or_b64 exec, exec, s[26:27]
	v_lshrrev_b16_e32 v14, 8, v26
	v_cmp_ne_u16_e32 vcc, 0, v14
	s_and_saveexec_b64 s[26:27], vcc
	s_cbranch_execz .LBB318_1272
; %bb.1267:                             ;   in Loop: Header=BB318_809 Depth=1
	v_cmp_ne_u16_e32 vcc, s42, v14
	v_bfrev_b32_e32 v1, 1
	s_and_saveexec_b64 s[28:29], vcc
	s_cbranch_execz .LBB318_1271
; %bb.1268:                             ;   in Loop: Header=BB318_809 Depth=1
	v_and_b32_e32 v12, 0x7f, v14
	v_cmp_ne_u32_e32 vcc, s43, v12
	v_mov_b32_e32 v1, 0x7f800001
	s_and_saveexec_b64 s[40:41], vcc
	s_cbranch_execz .LBB318_1270
; %bb.1269:                             ;   in Loop: Header=BB318_809 Depth=1
	v_and_b32_e32 v1, 7, v14
	v_lshrrev_b32_e32 v16, 3, v12
	v_cmp_gt_u32_e32 vcc, 8, v12
	v_ffbh_u32_e32 v12, v1
	v_min_u32_e32 v17, 32, v12
	v_subrev_u32_e32 v12, 28, v17
	v_lshlrev_b64 v[12:13], v12, v[14:15]
	v_sub_u32_e32 v13, 29, v17
	v_and_b32_e32 v12, 7, v12
	v_cndmask_b32_e32 v13, v16, v13, vcc
	v_cndmask_b32_e32 v1, v1, v12, vcc
	v_lshlrev_b32_e32 v12, 16, v26
	v_bfrev_b32_e32 v14, 60
	v_lshlrev_b32_e32 v1, 20, v1
	v_and_b32_e32 v12, 0x80000000, v12
	v_lshl_add_u32 v13, v13, 23, v14
	v_or3_b32 v1, v12, v13, v1
.LBB318_1270:                           ;   in Loop: Header=BB318_809 Depth=1
	s_or_b64 exec, exec, s[40:41]
.LBB318_1271:                           ;   in Loop: Header=BB318_809 Depth=1
	s_or_b64 exec, exec, s[28:29]
.LBB318_1272:                           ;   in Loop: Header=BB318_809 Depth=1
	s_or_b64 exec, exec, s[26:27]
	v_lshrrev_b32_e32 v14, 16, v26
	v_cmp_ne_u16_sdwa s[28:29], v14, v15 src0_sel:BYTE_0 src1_sel:DWORD
	v_mov_b32_e32 v13, 0
	v_mov_b32_e32 v12, 0
	s_and_saveexec_b64 s[26:27], s[28:29]
	s_cbranch_execz .LBB318_1278
; %bb.1273:                             ;   in Loop: Header=BB318_809 Depth=1
	v_cmp_ne_u16_sdwa s[40:41], v14, s42 src0_sel:BYTE_0 src1_sel:DWORD
	v_bfrev_b32_e32 v12, 1
	s_and_saveexec_b64 s[28:29], s[40:41]
	s_cbranch_execz .LBB318_1277
; %bb.1274:                             ;   in Loop: Header=BB318_809 Depth=1
	v_bfe_u32 v16, v26, 16, 7
	v_cmp_ne_u32_e32 vcc, s43, v16
	v_mov_b32_e32 v12, 0x7f800001
	s_and_saveexec_b64 s[40:41], vcc
	s_cbranch_execz .LBB318_1276
; %bb.1275:                             ;   in Loop: Header=BB318_809 Depth=1
	v_and_b32_e32 v12, 7, v14
	v_lshrrev_b32_e32 v18, 3, v16
	v_cmp_gt_u32_e32 vcc, 8, v16
	v_ffbh_u32_e32 v16, v12
	v_min_u32_e32 v21, 32, v16
	v_subrev_u32_e32 v16, 28, v21
	v_lshlrev_b64 v[16:17], v16, v[14:15]
	v_sub_u32_e32 v17, 29, v21
	v_and_b32_e32 v16, 7, v16
	v_cndmask_b32_e32 v17, v18, v17, vcc
	v_cndmask_b32_e32 v12, v12, v16, vcc
	v_lshlrev_b32_e32 v14, 24, v14
	v_bfrev_b32_e32 v16, 60
	v_lshlrev_b32_e32 v12, 20, v12
	v_and_b32_e32 v14, 0x80000000, v14
	v_lshl_add_u32 v16, v17, 23, v16
	v_or3_b32 v12, v14, v16, v12
.LBB318_1276:                           ;   in Loop: Header=BB318_809 Depth=1
	s_or_b64 exec, exec, s[40:41]
.LBB318_1277:                           ;   in Loop: Header=BB318_809 Depth=1
	s_or_b64 exec, exec, s[28:29]
.LBB318_1278:                           ;   in Loop: Header=BB318_809 Depth=1
	s_or_b64 exec, exec, s[26:27]
	v_cmp_lt_u32_e32 vcc, s11, v26
	s_and_saveexec_b64 s[26:27], vcc
	s_cbranch_execz .LBB318_1284
; %bb.1279:                             ;   in Loop: Header=BB318_809 Depth=1
	v_lshrrev_b32_e32 v14, 24, v26
	v_cmp_ne_u32_e32 vcc, s42, v14
	v_bfrev_b32_e32 v13, 1
	s_and_saveexec_b64 s[28:29], vcc
	s_cbranch_execz .LBB318_1283
; %bb.1280:                             ;   in Loop: Header=BB318_809 Depth=1
	v_bfe_u32 v16, v26, 24, 7
	v_cmp_ne_u32_e32 vcc, s43, v16
	v_mov_b32_e32 v13, 0x7f800001
	s_and_saveexec_b64 s[40:41], vcc
	s_cbranch_execz .LBB318_1282
; %bb.1281:                             ;   in Loop: Header=BB318_809 Depth=1
	v_and_b32_e32 v13, 7, v14
	v_lshrrev_b32_e32 v18, 3, v16
	v_cmp_gt_u32_e32 vcc, 8, v16
	v_ffbh_u32_e32 v16, v13
	v_min_u32_e32 v21, 32, v16
	v_subrev_u32_e32 v16, 28, v21
	v_lshlrev_b64 v[16:17], v16, v[14:15]
	v_sub_u32_e32 v17, 29, v21
	v_and_b32_e32 v16, 7, v16
	v_cndmask_b32_e32 v17, v18, v17, vcc
	v_cndmask_b32_e32 v13, v13, v16, vcc
	v_lshlrev_b32_e32 v14, 24, v14
	v_bfrev_b32_e32 v16, 60
	v_lshlrev_b32_e32 v13, 20, v13
	v_and_b32_e32 v14, 0x80000000, v14
	v_lshl_add_u32 v16, v17, 23, v16
	v_or3_b32 v13, v14, v16, v13
.LBB318_1282:                           ;   in Loop: Header=BB318_809 Depth=1
	s_or_b64 exec, exec, s[40:41]
.LBB318_1283:                           ;   in Loop: Header=BB318_809 Depth=1
	s_or_b64 exec, exec, s[28:29]
.LBB318_1284:                           ;   in Loop: Header=BB318_809 Depth=1
	s_or_b64 exec, exec, s[26:27]
	v_mov_b32_e32 v14, v27
	v_cmp_ne_u16_sdwa s[28:29], v27, v15 src0_sel:BYTE_0 src1_sel:DWORD
	v_mov_b32_e32 v18, 0
	v_mov_b32_e32 v16, 0
	s_and_saveexec_b64 s[26:27], s[28:29]
	s_cbranch_execz .LBB318_1290
; %bb.1285:                             ;   in Loop: Header=BB318_809 Depth=1
	v_cmp_ne_u16_sdwa s[40:41], v27, s42 src0_sel:BYTE_0 src1_sel:DWORD
	v_bfrev_b32_e32 v16, 1
	s_and_saveexec_b64 s[28:29], s[40:41]
	s_cbranch_execz .LBB318_1289
; %bb.1286:                             ;   in Loop: Header=BB318_809 Depth=1
	v_and_b32_e32 v17, 0x7f, v27
	v_cmp_ne_u32_e32 vcc, s43, v17
	v_mov_b32_e32 v16, 0x7f800001
	s_and_saveexec_b64 s[40:41], vcc
	s_cbranch_execz .LBB318_1288
; %bb.1287:                             ;   in Loop: Header=BB318_809 Depth=1
	v_and_b32_e32 v16, 7, v27
	v_ffbh_u32_e32 v16, v16
	v_min_u32_e32 v16, 32, v16
	v_lshrrev_b32_e32 v21, 3, v17
	v_cmp_gt_u32_e32 vcc, 8, v17
	v_subrev_u32_e32 v17, 28, v16
	v_sub_u32_e32 v16, 29, v16
	v_cndmask_b32_e32 v21, v21, v16, vcc
	v_cndmask_b32_e32 v16, 0, v17, vcc
	v_lshlrev_b64 v[16:17], v16, v[14:15]
	v_lshlrev_b32_e32 v17, 24, v14
	v_lshlrev_b32_e32 v16, 20, v16
	v_bfrev_b32_e32 v22, 60
	v_and_b32_e32 v16, 0x700000, v16
	v_and_b32_e32 v17, 0x80000000, v17
	v_lshl_add_u32 v21, v21, 23, v22
	v_or3_b32 v16, v17, v21, v16
.LBB318_1288:                           ;   in Loop: Header=BB318_809 Depth=1
	s_or_b64 exec, exec, s[40:41]
.LBB318_1289:                           ;   in Loop: Header=BB318_809 Depth=1
	s_or_b64 exec, exec, s[28:29]
.LBB318_1290:                           ;   in Loop: Header=BB318_809 Depth=1
	s_or_b64 exec, exec, s[26:27]
	v_lshrrev_b16_e32 v17, 8, v14
	v_cmp_ne_u16_e32 vcc, 0, v17
	s_and_saveexec_b64 s[26:27], vcc
	s_cbranch_execz .LBB318_1296
; %bb.1291:                             ;   in Loop: Header=BB318_809 Depth=1
	v_cmp_ne_u16_e32 vcc, s42, v17
	v_bfrev_b32_e32 v18, 1
	s_and_saveexec_b64 s[28:29], vcc
	s_cbranch_execz .LBB318_1295
; %bb.1292:                             ;   in Loop: Header=BB318_809 Depth=1
	v_and_b32_e32 v21, 0x7f, v17
	v_cmp_ne_u32_e32 vcc, s43, v21
	v_mov_b32_e32 v18, 0x7f800001
	s_and_saveexec_b64 s[40:41], vcc
	s_cbranch_execz .LBB318_1294
; %bb.1293:                             ;   in Loop: Header=BB318_809 Depth=1
	v_and_b32_e32 v22, 7, v17
	v_ffbh_u32_e32 v18, v22
	v_lshrrev_b32_e32 v23, 3, v21
	v_cmp_gt_u32_e32 vcc, 8, v21
	v_min_u32_e32 v21, 32, v18
	v_subrev_u32_e32 v18, 28, v21
	v_lshlrev_b64 v[17:18], v18, v[17:18]
	v_sub_u32_e32 v18, 29, v21
	v_and_b32_e32 v17, 7, v17
	v_cndmask_b32_e32 v18, v23, v18, vcc
	v_cndmask_b32_e32 v17, v22, v17, vcc
	v_lshlrev_b32_e32 v14, 16, v14
	v_bfrev_b32_e32 v21, 60
	v_lshlrev_b32_e32 v17, 20, v17
	v_and_b32_e32 v14, 0x80000000, v14
	v_lshl_add_u32 v18, v18, 23, v21
	v_add_u32_e32 v23, 1, v36
	v_or3_b32 v18, v14, v18, v17
.LBB318_1294:                           ;   in Loop: Header=BB318_809 Depth=1
	s_or_b64 exec, exec, s[40:41]
.LBB318_1295:                           ;   in Loop: Header=BB318_809 Depth=1
	s_or_b64 exec, exec, s[28:29]
.LBB318_1296:                           ;   in Loop: Header=BB318_809 Depth=1
	s_or_b64 exec, exec, s[26:27]
	v_lshrrev_b32_e32 v14, 16, v27
	v_cmp_ne_u16_sdwa s[28:29], v14, v15 src0_sel:BYTE_0 src1_sel:DWORD
	v_mov_b32_e32 v17, 0
	v_mov_b32_e32 v21, 0
	s_and_saveexec_b64 s[26:27], s[28:29]
	s_cbranch_execz .LBB318_1302
; %bb.1297:                             ;   in Loop: Header=BB318_809 Depth=1
	v_cmp_ne_u16_sdwa s[40:41], v14, s42 src0_sel:BYTE_0 src1_sel:DWORD
	v_bfrev_b32_e32 v21, 1
	s_and_saveexec_b64 s[28:29], s[40:41]
	s_cbranch_execz .LBB318_1301
; %bb.1298:                             ;   in Loop: Header=BB318_809 Depth=1
	v_bfe_u32 v22, v27, 16, 7
	v_cmp_ne_u32_e32 vcc, s43, v22
	v_mov_b32_e32 v21, 0x7f800001
	s_and_saveexec_b64 s[40:41], vcc
	s_cbranch_execz .LBB318_1300
; %bb.1299:                             ;   in Loop: Header=BB318_809 Depth=1
	v_and_b32_e32 v23, 7, v14
	v_ffbh_u32_e32 v21, v23
	v_min_u32_e32 v29, 32, v21
	v_subrev_u32_e32 v21, 28, v29
	v_lshrrev_b32_e32 v28, 3, v22
	v_cmp_gt_u32_e32 vcc, 8, v22
	v_lshlrev_b64 v[21:22], v21, v[14:15]
	v_sub_u32_e32 v22, 29, v29
	v_and_b32_e32 v21, 7, v21
	v_cndmask_b32_e32 v22, v28, v22, vcc
	v_cndmask_b32_e32 v21, v23, v21, vcc
	v_lshlrev_b32_e32 v14, 24, v14
	v_bfrev_b32_e32 v23, 60
	v_lshlrev_b32_e32 v21, 20, v21
	v_and_b32_e32 v14, 0x80000000, v14
	v_lshl_add_u32 v22, v22, 23, v23
	v_add_u32_e32 v29, 3, v36
	v_add_u32_e32 v23, 1, v36
	v_or3_b32 v21, v14, v22, v21
.LBB318_1300:                           ;   in Loop: Header=BB318_809 Depth=1
	s_or_b64 exec, exec, s[40:41]
.LBB318_1301:                           ;   in Loop: Header=BB318_809 Depth=1
	s_or_b64 exec, exec, s[28:29]
.LBB318_1302:                           ;   in Loop: Header=BB318_809 Depth=1
	s_or_b64 exec, exec, s[26:27]
	v_cmp_lt_u64_e32 vcc, s[10:11], v[26:27]
	s_and_saveexec_b64 s[26:27], vcc
	s_cbranch_execz .LBB318_1308
; %bb.1303:                             ;   in Loop: Header=BB318_809 Depth=1
	v_lshrrev_b32_e32 v14, 24, v27
	v_cmp_ne_u32_e32 vcc, s42, v14
	v_bfrev_b32_e32 v17, 1
	s_and_saveexec_b64 s[28:29], vcc
	s_cbranch_execz .LBB318_1307
; %bb.1304:                             ;   in Loop: Header=BB318_809 Depth=1
	v_bfe_u32 v22, v27, 24, 7
	v_cmp_ne_u32_e32 vcc, s43, v22
	v_mov_b32_e32 v17, 0x7f800001
	s_and_saveexec_b64 s[40:41], vcc
	s_cbranch_execz .LBB318_1306
; %bb.1305:                             ;   in Loop: Header=BB318_809 Depth=1
	v_and_b32_e32 v17, 7, v14
	v_lshrrev_b32_e32 v26, 3, v22
	v_cmp_gt_u32_e32 vcc, 8, v22
	v_ffbh_u32_e32 v22, v17
	v_min_u32_e32 v27, 32, v22
	v_subrev_u32_e32 v22, 28, v27
	v_lshlrev_b64 v[22:23], v22, v[14:15]
	v_sub_u32_e32 v23, 29, v27
	v_and_b32_e32 v22, 7, v22
	v_cndmask_b32_e32 v23, v26, v23, vcc
	v_cndmask_b32_e32 v17, v17, v22, vcc
	v_lshlrev_b32_e32 v14, 24, v14
	v_bfrev_b32_e32 v22, 60
	v_lshlrev_b32_e32 v17, 20, v17
	v_and_b32_e32 v14, 0x80000000, v14
	v_lshl_add_u32 v22, v23, 23, v22
	v_add_u32_e32 v23, 1, v36
	v_or3_b32 v17, v14, v22, v17
.LBB318_1306:                           ;   in Loop: Header=BB318_809 Depth=1
	s_or_b64 exec, exec, s[40:41]
.LBB318_1307:                           ;   in Loop: Header=BB318_809 Depth=1
	s_or_b64 exec, exec, s[28:29]
.LBB318_1308:                           ;   in Loop: Header=BB318_809 Depth=1
	s_or_b64 exec, exec, s[26:27]
	v_mul_f32_e32 v14, v46, v18
	v_bfe_u32 v18, v14, 16, 1
	v_add3_u32 v18, v18, v14, s44
	v_or_b32_e32 v22, 0x400000, v14
	v_cmp_u_f32_e32 vcc, v14, v14
	v_cndmask_b32_e32 v14, v18, v22, vcc
	v_lshrrev_b32_e32 v14, 16, v14
	buffer_store_dword v14, off, s[0:3], s32 offset:392 ; 4-byte Folded Spill
	v_mul_f32_e32 v14, v46, v16
	v_bfe_u32 v16, v14, 16, 1
	v_add3_u32 v16, v16, v14, s44
	v_or_b32_e32 v18, 0x400000, v14
	v_cmp_u_f32_e32 vcc, v14, v14
	v_cndmask_b32_e32 v14, v16, v18, vcc
	v_lshrrev_b32_e32 v14, 16, v14
	v_mul_f32_e32 v13, v46, v13
	buffer_store_dword v14, off, s[0:3], s32 offset:388 ; 4-byte Folded Spill
	v_bfe_u32 v14, v13, 16, 1
	v_add3_u32 v14, v14, v13, s44
	v_or_b32_e32 v16, 0x400000, v13
	v_cmp_u_f32_e32 vcc, v13, v13
	v_cndmask_b32_e32 v13, v14, v16, vcc
	v_lshrrev_b32_e32 v13, 16, v13
	v_mul_f32_e32 v12, v46, v12
	buffer_store_dword v13, off, s[0:3], s32 offset:404 ; 4-byte Folded Spill
	;; [unrolled: 8-line block ×4, first 2 shown]
	v_bfe_u32 v1, v0, 16, 1
	v_add3_u32 v1, v1, v0, s44
	v_or_b32_e32 v12, 0x400000, v0
	v_cmp_u_f32_e32 vcc, v0, v0
	v_cndmask_b32_e32 v0, v1, v12, vcc
	v_lshrrev_b32_e32 v0, 16, v0
	buffer_store_dword v0, off, s[0:3], s32 offset:412 ; 4-byte Folded Spill
	v_mul_f32_e32 v0, v46, v21
	v_bfe_u32 v1, v0, 16, 1
	v_add3_u32 v1, v1, v0, s44
	v_or_b32_e32 v12, 0x400000, v0
	v_cmp_u_f32_e32 vcc, v0, v0
	v_cndmask_b32_e32 v0, v1, v12, vcc
	v_lshrrev_b32_e32 v0, 16, v0
	buffer_store_dword v0, off, s[0:3], s32 offset:396 ; 4-byte Folded Spill
	v_mul_f32_e32 v0, v46, v17
	v_bfe_u32 v1, v0, 16, 1
	v_add3_u32 v1, v1, v0, s44
	v_or_b32_e32 v12, 0x400000, v0
	v_cmp_u_f32_e32 vcc, v0, v0
	v_cndmask_b32_e32 v0, v1, v12, vcc
	v_lshrrev_b32_e32 v0, 16, v0
	buffer_store_dword v0, off, s[0:3], s32 offset:408 ; 4-byte Folded Spill
	s_and_saveexec_b64 s[26:27], s[6:7]
	s_cbranch_execz .LBB318_1310
; %bb.1309:                             ;   in Loop: Header=BB318_809 Depth=1
	buffer_load_dword v0, off, s[0:3], s32 offset:64 ; 4-byte Folded Reload
	buffer_load_dword v1, off, s[0:3], s32 offset:412 ; 4-byte Folded Reload
	s_waitcnt vmcnt(1)
	v_cmp_lt_i32_e32 vcc, v36, v0
	s_waitcnt vmcnt(0)
	v_cndmask_b32_e32 v1, 0, v1, vcc
	buffer_store_dword v1, off, s[0:3], s32 offset:412 ; 4-byte Folded Spill
	buffer_load_dword v1, off, s[0:3], s32 offset:416 ; 4-byte Folded Reload
	v_cmp_lt_i32_e32 vcc, v23, v0
	s_waitcnt vmcnt(0)
	v_cndmask_b32_e32 v1, 0, v1, vcc
	buffer_store_dword v1, off, s[0:3], s32 offset:416 ; 4-byte Folded Spill
	buffer_load_dword v1, off, s[0:3], s32 offset:400 ; 4-byte Folded Reload
	;; [unrolled: 5-line block ×6, first 2 shown]
	v_cmp_lt_i32_e32 vcc, v39, v0
	s_waitcnt vmcnt(0)
	v_cndmask_b32_e32 v1, 0, v1, vcc
	v_cmp_lt_i32_e32 vcc, v38, v0
	buffer_load_dword v0, off, s[0:3], s32 offset:408 ; 4-byte Folded Reload
	s_waitcnt vmcnt(0)
	v_cndmask_b32_e32 v0, 0, v0, vcc
	buffer_store_dword v1, off, s[0:3], s32 offset:396 ; 4-byte Folded Spill
	buffer_store_dword v0, off, s[0:3], s32 offset:408 ; 4-byte Folded Spill
.LBB318_1310:                           ;   in Loop: Header=BB318_809 Depth=1
	s_or_b64 exec, exec, s[26:27]
	v_add_co_u32_e32 v0, vcc, 0x1000, v24
	v_addc_co_u32_e32 v1, vcc, 0, v25, vcc
	flat_load_dwordx2 v[26:27], v[0:1] offset:1024
	v_mov_b32_e32 v1, 0
	v_mov_b32_e32 v0, 0
	s_waitcnt vmcnt(0) lgkmcnt(0)
	v_cmp_ne_u16_sdwa s[28:29], v26, v15 src0_sel:BYTE_0 src1_sel:DWORD
	s_and_saveexec_b64 s[26:27], s[28:29]
	s_cbranch_execz .LBB318_1316
; %bb.1311:                             ;   in Loop: Header=BB318_809 Depth=1
	v_cmp_ne_u16_sdwa s[40:41], v26, s42 src0_sel:BYTE_0 src1_sel:DWORD
	v_bfrev_b32_e32 v0, 1
	s_and_saveexec_b64 s[28:29], s[40:41]
	s_cbranch_execz .LBB318_1315
; %bb.1312:                             ;   in Loop: Header=BB318_809 Depth=1
	v_and_b32_e32 v12, 0x7f, v26
	v_cmp_ne_u32_e32 vcc, s43, v12
	v_mov_b32_e32 v0, 0x7f800001
	s_and_saveexec_b64 s[40:41], vcc
	s_cbranch_execz .LBB318_1314
; %bb.1313:                             ;   in Loop: Header=BB318_809 Depth=1
	v_and_b32_e32 v0, 7, v26
	v_ffbh_u32_e32 v0, v0
	v_min_u32_e32 v0, 32, v0
	v_lshrrev_b32_e32 v13, 3, v12
	v_cmp_gt_u32_e32 vcc, 8, v12
	v_subrev_u32_e32 v12, 28, v0
	v_sub_u32_e32 v0, 29, v0
	v_cndmask_b32_e32 v12, 0, v12, vcc
	v_cndmask_b32_e32 v0, v13, v0, vcc
	v_lshlrev_b64 v[12:13], v12, v[26:27]
	v_lshlrev_b32_e32 v13, 24, v26
	v_lshlrev_b32_e32 v12, 20, v12
	v_bfrev_b32_e32 v14, 60
	v_and_b32_e32 v12, 0x700000, v12
	v_and_b32_e32 v13, 0x80000000, v13
	v_lshl_add_u32 v0, v0, 23, v14
	v_or3_b32 v0, v13, v0, v12
.LBB318_1314:                           ;   in Loop: Header=BB318_809 Depth=1
	s_or_b64 exec, exec, s[40:41]
.LBB318_1315:                           ;   in Loop: Header=BB318_809 Depth=1
	s_or_b64 exec, exec, s[28:29]
.LBB318_1316:                           ;   in Loop: Header=BB318_809 Depth=1
	s_or_b64 exec, exec, s[26:27]
	v_lshrrev_b16_e32 v14, 8, v26
	v_cmp_ne_u16_e32 vcc, 0, v14
	s_and_saveexec_b64 s[26:27], vcc
	s_cbranch_execz .LBB318_1322
; %bb.1317:                             ;   in Loop: Header=BB318_809 Depth=1
	v_cmp_ne_u16_e32 vcc, s42, v14
	v_bfrev_b32_e32 v1, 1
	s_and_saveexec_b64 s[28:29], vcc
	s_cbranch_execz .LBB318_1321
; %bb.1318:                             ;   in Loop: Header=BB318_809 Depth=1
	v_and_b32_e32 v12, 0x7f, v14
	v_cmp_ne_u32_e32 vcc, s43, v12
	v_mov_b32_e32 v1, 0x7f800001
	s_and_saveexec_b64 s[40:41], vcc
	s_cbranch_execz .LBB318_1320
; %bb.1319:                             ;   in Loop: Header=BB318_809 Depth=1
	v_and_b32_e32 v1, 7, v14
	v_lshrrev_b32_e32 v16, 3, v12
	v_cmp_gt_u32_e32 vcc, 8, v12
	v_ffbh_u32_e32 v12, v1
	v_min_u32_e32 v17, 32, v12
	v_subrev_u32_e32 v12, 28, v17
	v_lshlrev_b64 v[12:13], v12, v[14:15]
	v_sub_u32_e32 v13, 29, v17
	v_and_b32_e32 v12, 7, v12
	v_cndmask_b32_e32 v13, v16, v13, vcc
	v_cndmask_b32_e32 v1, v1, v12, vcc
	v_lshlrev_b32_e32 v12, 16, v26
	v_bfrev_b32_e32 v14, 60
	v_lshlrev_b32_e32 v1, 20, v1
	v_and_b32_e32 v12, 0x80000000, v12
	v_lshl_add_u32 v13, v13, 23, v14
	v_or3_b32 v1, v12, v13, v1
.LBB318_1320:                           ;   in Loop: Header=BB318_809 Depth=1
	s_or_b64 exec, exec, s[40:41]
.LBB318_1321:                           ;   in Loop: Header=BB318_809 Depth=1
	s_or_b64 exec, exec, s[28:29]
.LBB318_1322:                           ;   in Loop: Header=BB318_809 Depth=1
	s_or_b64 exec, exec, s[26:27]
	v_lshrrev_b32_e32 v14, 16, v26
	v_cmp_ne_u16_sdwa s[28:29], v14, v15 src0_sel:BYTE_0 src1_sel:DWORD
	v_mov_b32_e32 v13, 0
	v_mov_b32_e32 v12, 0
	s_and_saveexec_b64 s[26:27], s[28:29]
	s_cbranch_execz .LBB318_1328
; %bb.1323:                             ;   in Loop: Header=BB318_809 Depth=1
	v_cmp_ne_u16_sdwa s[40:41], v14, s42 src0_sel:BYTE_0 src1_sel:DWORD
	v_bfrev_b32_e32 v12, 1
	s_and_saveexec_b64 s[28:29], s[40:41]
	s_cbranch_execz .LBB318_1327
; %bb.1324:                             ;   in Loop: Header=BB318_809 Depth=1
	v_bfe_u32 v16, v26, 16, 7
	v_cmp_ne_u32_e32 vcc, s43, v16
	v_mov_b32_e32 v12, 0x7f800001
	s_and_saveexec_b64 s[40:41], vcc
	s_cbranch_execz .LBB318_1326
; %bb.1325:                             ;   in Loop: Header=BB318_809 Depth=1
	v_and_b32_e32 v12, 7, v14
	v_lshrrev_b32_e32 v18, 3, v16
	v_cmp_gt_u32_e32 vcc, 8, v16
	v_ffbh_u32_e32 v16, v12
	v_min_u32_e32 v21, 32, v16
	v_subrev_u32_e32 v16, 28, v21
	v_lshlrev_b64 v[16:17], v16, v[14:15]
	v_sub_u32_e32 v17, 29, v21
	v_and_b32_e32 v16, 7, v16
	v_cndmask_b32_e32 v17, v18, v17, vcc
	v_cndmask_b32_e32 v12, v12, v16, vcc
	v_lshlrev_b32_e32 v14, 24, v14
	v_bfrev_b32_e32 v16, 60
	v_lshlrev_b32_e32 v12, 20, v12
	v_and_b32_e32 v14, 0x80000000, v14
	v_lshl_add_u32 v16, v17, 23, v16
	v_or3_b32 v12, v14, v16, v12
.LBB318_1326:                           ;   in Loop: Header=BB318_809 Depth=1
	s_or_b64 exec, exec, s[40:41]
.LBB318_1327:                           ;   in Loop: Header=BB318_809 Depth=1
	s_or_b64 exec, exec, s[28:29]
.LBB318_1328:                           ;   in Loop: Header=BB318_809 Depth=1
	s_or_b64 exec, exec, s[26:27]
	v_cmp_lt_u32_e32 vcc, s11, v26
	s_and_saveexec_b64 s[26:27], vcc
	s_cbranch_execz .LBB318_1334
; %bb.1329:                             ;   in Loop: Header=BB318_809 Depth=1
	v_lshrrev_b32_e32 v14, 24, v26
	v_cmp_ne_u32_e32 vcc, s42, v14
	v_bfrev_b32_e32 v13, 1
	s_and_saveexec_b64 s[28:29], vcc
	s_cbranch_execz .LBB318_1333
; %bb.1330:                             ;   in Loop: Header=BB318_809 Depth=1
	v_bfe_u32 v16, v26, 24, 7
	v_cmp_ne_u32_e32 vcc, s43, v16
	v_mov_b32_e32 v13, 0x7f800001
	s_and_saveexec_b64 s[40:41], vcc
	s_cbranch_execz .LBB318_1332
; %bb.1331:                             ;   in Loop: Header=BB318_809 Depth=1
	v_and_b32_e32 v13, 7, v14
	v_lshrrev_b32_e32 v18, 3, v16
	v_cmp_gt_u32_e32 vcc, 8, v16
	v_ffbh_u32_e32 v16, v13
	v_min_u32_e32 v21, 32, v16
	v_subrev_u32_e32 v16, 28, v21
	v_lshlrev_b64 v[16:17], v16, v[14:15]
	v_sub_u32_e32 v17, 29, v21
	v_and_b32_e32 v16, 7, v16
	v_cndmask_b32_e32 v17, v18, v17, vcc
	v_cndmask_b32_e32 v13, v13, v16, vcc
	v_lshlrev_b32_e32 v14, 24, v14
	v_bfrev_b32_e32 v16, 60
	v_lshlrev_b32_e32 v13, 20, v13
	v_and_b32_e32 v14, 0x80000000, v14
	v_lshl_add_u32 v16, v17, 23, v16
	v_or3_b32 v13, v14, v16, v13
.LBB318_1332:                           ;   in Loop: Header=BB318_809 Depth=1
	s_or_b64 exec, exec, s[40:41]
.LBB318_1333:                           ;   in Loop: Header=BB318_809 Depth=1
	s_or_b64 exec, exec, s[28:29]
.LBB318_1334:                           ;   in Loop: Header=BB318_809 Depth=1
	s_or_b64 exec, exec, s[26:27]
	v_mov_b32_e32 v14, v27
	v_cmp_ne_u16_sdwa s[28:29], v27, v15 src0_sel:BYTE_0 src1_sel:DWORD
	v_mov_b32_e32 v18, 0
	v_mov_b32_e32 v16, 0
	s_and_saveexec_b64 s[26:27], s[28:29]
	s_cbranch_execz .LBB318_1340
; %bb.1335:                             ;   in Loop: Header=BB318_809 Depth=1
	v_cmp_ne_u16_sdwa s[40:41], v27, s42 src0_sel:BYTE_0 src1_sel:DWORD
	v_bfrev_b32_e32 v16, 1
	s_and_saveexec_b64 s[28:29], s[40:41]
	s_cbranch_execz .LBB318_1339
; %bb.1336:                             ;   in Loop: Header=BB318_809 Depth=1
	v_and_b32_e32 v17, 0x7f, v27
	v_cmp_ne_u32_e32 vcc, s43, v17
	v_mov_b32_e32 v16, 0x7f800001
	s_and_saveexec_b64 s[40:41], vcc
	s_cbranch_execz .LBB318_1338
; %bb.1337:                             ;   in Loop: Header=BB318_809 Depth=1
	v_and_b32_e32 v16, 7, v27
	v_ffbh_u32_e32 v16, v16
	v_min_u32_e32 v16, 32, v16
	v_lshrrev_b32_e32 v21, 3, v17
	v_cmp_gt_u32_e32 vcc, 8, v17
	v_subrev_u32_e32 v17, 28, v16
	v_sub_u32_e32 v16, 29, v16
	v_cndmask_b32_e32 v21, v21, v16, vcc
	v_cndmask_b32_e32 v16, 0, v17, vcc
	v_lshlrev_b64 v[16:17], v16, v[14:15]
	v_lshlrev_b32_e32 v17, 24, v14
	v_lshlrev_b32_e32 v16, 20, v16
	v_bfrev_b32_e32 v22, 60
	v_and_b32_e32 v16, 0x700000, v16
	v_and_b32_e32 v17, 0x80000000, v17
	v_lshl_add_u32 v21, v21, 23, v22
	v_or3_b32 v16, v17, v21, v16
.LBB318_1338:                           ;   in Loop: Header=BB318_809 Depth=1
	s_or_b64 exec, exec, s[40:41]
.LBB318_1339:                           ;   in Loop: Header=BB318_809 Depth=1
	s_or_b64 exec, exec, s[28:29]
.LBB318_1340:                           ;   in Loop: Header=BB318_809 Depth=1
	s_or_b64 exec, exec, s[26:27]
	v_lshrrev_b16_e32 v17, 8, v14
	v_cmp_ne_u16_e32 vcc, 0, v17
	s_and_saveexec_b64 s[26:27], vcc
	s_cbranch_execz .LBB318_1346
; %bb.1341:                             ;   in Loop: Header=BB318_809 Depth=1
	v_cmp_ne_u16_e32 vcc, s42, v17
	v_bfrev_b32_e32 v18, 1
	s_and_saveexec_b64 s[28:29], vcc
	s_cbranch_execz .LBB318_1345
; %bb.1342:                             ;   in Loop: Header=BB318_809 Depth=1
	v_and_b32_e32 v21, 0x7f, v17
	v_cmp_ne_u32_e32 vcc, s43, v21
	v_mov_b32_e32 v18, 0x7f800001
	s_and_saveexec_b64 s[40:41], vcc
	s_cbranch_execz .LBB318_1344
; %bb.1343:                             ;   in Loop: Header=BB318_809 Depth=1
	v_and_b32_e32 v22, 7, v17
	v_ffbh_u32_e32 v18, v22
	v_lshrrev_b32_e32 v23, 3, v21
	v_cmp_gt_u32_e32 vcc, 8, v21
	v_min_u32_e32 v21, 32, v18
	v_subrev_u32_e32 v18, 28, v21
	v_lshlrev_b64 v[17:18], v18, v[17:18]
	v_sub_u32_e32 v18, 29, v21
	v_and_b32_e32 v17, 7, v17
	v_cndmask_b32_e32 v18, v23, v18, vcc
	v_cndmask_b32_e32 v17, v22, v17, vcc
	v_lshlrev_b32_e32 v14, 16, v14
	v_bfrev_b32_e32 v21, 60
	v_lshlrev_b32_e32 v17, 20, v17
	v_and_b32_e32 v14, 0x80000000, v14
	v_lshl_add_u32 v18, v18, 23, v21
	v_add_u32_e32 v23, 1, v36
	v_or3_b32 v18, v14, v18, v17
.LBB318_1344:                           ;   in Loop: Header=BB318_809 Depth=1
	s_or_b64 exec, exec, s[40:41]
.LBB318_1345:                           ;   in Loop: Header=BB318_809 Depth=1
	s_or_b64 exec, exec, s[28:29]
.LBB318_1346:                           ;   in Loop: Header=BB318_809 Depth=1
	s_or_b64 exec, exec, s[26:27]
	v_lshrrev_b32_e32 v14, 16, v27
	v_cmp_ne_u16_sdwa s[28:29], v14, v15 src0_sel:BYTE_0 src1_sel:DWORD
	v_mov_b32_e32 v17, 0
	v_mov_b32_e32 v21, 0
	s_and_saveexec_b64 s[26:27], s[28:29]
	s_cbranch_execz .LBB318_1352
; %bb.1347:                             ;   in Loop: Header=BB318_809 Depth=1
	v_cmp_ne_u16_sdwa s[40:41], v14, s42 src0_sel:BYTE_0 src1_sel:DWORD
	v_bfrev_b32_e32 v21, 1
	s_and_saveexec_b64 s[28:29], s[40:41]
	s_cbranch_execz .LBB318_1351
; %bb.1348:                             ;   in Loop: Header=BB318_809 Depth=1
	v_bfe_u32 v22, v27, 16, 7
	v_cmp_ne_u32_e32 vcc, s43, v22
	v_mov_b32_e32 v21, 0x7f800001
	s_and_saveexec_b64 s[40:41], vcc
	s_cbranch_execz .LBB318_1350
; %bb.1349:                             ;   in Loop: Header=BB318_809 Depth=1
	v_and_b32_e32 v23, 7, v14
	v_ffbh_u32_e32 v21, v23
	v_min_u32_e32 v29, 32, v21
	v_subrev_u32_e32 v21, 28, v29
	v_lshrrev_b32_e32 v28, 3, v22
	v_cmp_gt_u32_e32 vcc, 8, v22
	v_lshlrev_b64 v[21:22], v21, v[14:15]
	v_sub_u32_e32 v22, 29, v29
	v_and_b32_e32 v21, 7, v21
	v_cndmask_b32_e32 v22, v28, v22, vcc
	v_cndmask_b32_e32 v21, v23, v21, vcc
	v_lshlrev_b32_e32 v14, 24, v14
	v_bfrev_b32_e32 v23, 60
	v_lshlrev_b32_e32 v21, 20, v21
	v_and_b32_e32 v14, 0x80000000, v14
	v_lshl_add_u32 v22, v22, 23, v23
	v_add_u32_e32 v29, 3, v36
	v_add_u32_e32 v23, 1, v36
	v_or3_b32 v21, v14, v22, v21
.LBB318_1350:                           ;   in Loop: Header=BB318_809 Depth=1
	s_or_b64 exec, exec, s[40:41]
.LBB318_1351:                           ;   in Loop: Header=BB318_809 Depth=1
	s_or_b64 exec, exec, s[28:29]
.LBB318_1352:                           ;   in Loop: Header=BB318_809 Depth=1
	s_or_b64 exec, exec, s[26:27]
	v_cmp_lt_u64_e32 vcc, s[10:11], v[26:27]
	s_and_saveexec_b64 s[26:27], vcc
	s_cbranch_execz .LBB318_1358
; %bb.1353:                             ;   in Loop: Header=BB318_809 Depth=1
	v_lshrrev_b32_e32 v14, 24, v27
	v_cmp_ne_u32_e32 vcc, s42, v14
	v_bfrev_b32_e32 v17, 1
	s_and_saveexec_b64 s[28:29], vcc
	s_cbranch_execz .LBB318_1357
; %bb.1354:                             ;   in Loop: Header=BB318_809 Depth=1
	v_bfe_u32 v22, v27, 24, 7
	v_cmp_ne_u32_e32 vcc, s43, v22
	v_mov_b32_e32 v17, 0x7f800001
	s_and_saveexec_b64 s[40:41], vcc
	s_cbranch_execz .LBB318_1356
; %bb.1355:                             ;   in Loop: Header=BB318_809 Depth=1
	v_and_b32_e32 v17, 7, v14
	v_lshrrev_b32_e32 v26, 3, v22
	v_cmp_gt_u32_e32 vcc, 8, v22
	v_ffbh_u32_e32 v22, v17
	v_min_u32_e32 v27, 32, v22
	v_subrev_u32_e32 v22, 28, v27
	v_lshlrev_b64 v[22:23], v22, v[14:15]
	v_sub_u32_e32 v23, 29, v27
	v_and_b32_e32 v22, 7, v22
	v_cndmask_b32_e32 v23, v26, v23, vcc
	v_cndmask_b32_e32 v17, v17, v22, vcc
	v_lshlrev_b32_e32 v14, 24, v14
	v_bfrev_b32_e32 v22, 60
	v_lshlrev_b32_e32 v17, 20, v17
	v_and_b32_e32 v14, 0x80000000, v14
	v_lshl_add_u32 v22, v23, 23, v22
	v_add_u32_e32 v23, 1, v36
	v_or3_b32 v17, v14, v22, v17
.LBB318_1356:                           ;   in Loop: Header=BB318_809 Depth=1
	s_or_b64 exec, exec, s[40:41]
.LBB318_1357:                           ;   in Loop: Header=BB318_809 Depth=1
	s_or_b64 exec, exec, s[28:29]
.LBB318_1358:                           ;   in Loop: Header=BB318_809 Depth=1
	s_or_b64 exec, exec, s[26:27]
	v_mul_f32_e32 v14, v46, v18
	v_bfe_u32 v18, v14, 16, 1
	v_add3_u32 v18, v18, v14, s44
	v_or_b32_e32 v22, 0x400000, v14
	v_cmp_u_f32_e32 vcc, v14, v14
	v_cndmask_b32_e32 v14, v18, v22, vcc
	v_lshrrev_b32_e32 v14, 16, v14
	buffer_store_dword v14, off, s[0:3], s32 offset:424 ; 4-byte Folded Spill
	v_mul_f32_e32 v14, v46, v16
	v_bfe_u32 v16, v14, 16, 1
	v_add3_u32 v16, v16, v14, s44
	v_or_b32_e32 v18, 0x400000, v14
	v_cmp_u_f32_e32 vcc, v14, v14
	v_cndmask_b32_e32 v14, v16, v18, vcc
	v_lshrrev_b32_e32 v14, 16, v14
	v_mul_f32_e32 v13, v46, v13
	buffer_store_dword v14, off, s[0:3], s32 offset:420 ; 4-byte Folded Spill
	v_bfe_u32 v14, v13, 16, 1
	v_add3_u32 v14, v14, v13, s44
	v_or_b32_e32 v16, 0x400000, v13
	v_cmp_u_f32_e32 vcc, v13, v13
	v_cndmask_b32_e32 v13, v14, v16, vcc
	v_lshrrev_b32_e32 v13, 16, v13
	v_mul_f32_e32 v12, v46, v12
	buffer_store_dword v13, off, s[0:3], s32 offset:448 ; 4-byte Folded Spill
	;; [unrolled: 8-line block ×4, first 2 shown]
	v_bfe_u32 v1, v0, 16, 1
	v_add3_u32 v1, v1, v0, s44
	v_or_b32_e32 v12, 0x400000, v0
	v_cmp_u_f32_e32 vcc, v0, v0
	v_cndmask_b32_e32 v0, v1, v12, vcc
	v_lshrrev_b32_e32 v0, 16, v0
	buffer_store_dword v0, off, s[0:3], s32 offset:468 ; 4-byte Folded Spill
	v_mul_f32_e32 v0, v46, v21
	v_bfe_u32 v1, v0, 16, 1
	v_add3_u32 v1, v1, v0, s44
	v_or_b32_e32 v12, 0x400000, v0
	v_cmp_u_f32_e32 vcc, v0, v0
	v_cndmask_b32_e32 v0, v1, v12, vcc
	v_lshrrev_b32_e32 v0, 16, v0
	buffer_store_dword v0, off, s[0:3], s32 offset:428 ; 4-byte Folded Spill
	v_mul_f32_e32 v0, v46, v17
	v_bfe_u32 v1, v0, 16, 1
	v_add3_u32 v1, v1, v0, s44
	v_or_b32_e32 v12, 0x400000, v0
	v_cmp_u_f32_e32 vcc, v0, v0
	v_cndmask_b32_e32 v0, v1, v12, vcc
	v_lshrrev_b32_e32 v0, 16, v0
	buffer_store_dword v0, off, s[0:3], s32 offset:452 ; 4-byte Folded Spill
	s_and_saveexec_b64 s[26:27], s[6:7]
	s_cbranch_execz .LBB318_1360
; %bb.1359:                             ;   in Loop: Header=BB318_809 Depth=1
	buffer_load_dword v0, off, s[0:3], s32 offset:64 ; 4-byte Folded Reload
	buffer_load_dword v1, off, s[0:3], s32 offset:468 ; 4-byte Folded Reload
	s_waitcnt vmcnt(1)
	v_cmp_lt_i32_e32 vcc, v36, v0
	s_waitcnt vmcnt(0)
	v_cndmask_b32_e32 v1, 0, v1, vcc
	buffer_store_dword v1, off, s[0:3], s32 offset:468 ; 4-byte Folded Spill
	buffer_load_dword v1, off, s[0:3], s32 offset:484 ; 4-byte Folded Reload
	v_cmp_lt_i32_e32 vcc, v23, v0
	s_waitcnt vmcnt(0)
	v_cndmask_b32_e32 v1, 0, v1, vcc
	buffer_store_dword v1, off, s[0:3], s32 offset:484 ; 4-byte Folded Spill
	buffer_load_dword v1, off, s[0:3], s32 offset:432 ; 4-byte Folded Reload
	v_cmp_lt_i32_e32 vcc, v35, v0
	s_waitcnt vmcnt(0)
	v_cndmask_b32_e32 v1, 0, v1, vcc
	buffer_store_dword v1, off, s[0:3], s32 offset:432 ; 4-byte Folded Spill
	buffer_load_dword v1, off, s[0:3], s32 offset:448 ; 4-byte Folded Reload
	v_cmp_lt_i32_e32 vcc, v29, v0
	s_waitcnt vmcnt(0)
	v_cndmask_b32_e32 v1, 0, v1, vcc
	buffer_store_dword v1, off, s[0:3], s32 offset:448 ; 4-byte Folded Spill
	buffer_load_dword v1, off, s[0:3], s32 offset:420 ; 4-byte Folded Reload
	v_cmp_lt_i32_e32 vcc, v63, v0
	s_waitcnt vmcnt(0)
	v_cndmask_b32_e32 v1, 0, v1, vcc
	buffer_store_dword v1, off, s[0:3], s32 offset:420 ; 4-byte Folded Spill
	buffer_load_dword v1, off, s[0:3], s32 offset:424 ; 4-byte Folded Reload
	v_cmp_lt_i32_e32 vcc, v48, v0
	s_waitcnt vmcnt(0)
	v_cndmask_b32_e32 v1, 0, v1, vcc
	buffer_store_dword v1, off, s[0:3], s32 offset:424 ; 4-byte Folded Spill
	buffer_load_dword v1, off, s[0:3], s32 offset:428 ; 4-byte Folded Reload
	v_cmp_lt_i32_e32 vcc, v39, v0
	s_waitcnt vmcnt(0)
	v_cndmask_b32_e32 v1, 0, v1, vcc
	v_cmp_lt_i32_e32 vcc, v38, v0
	buffer_load_dword v0, off, s[0:3], s32 offset:452 ; 4-byte Folded Reload
	s_waitcnt vmcnt(0)
	v_cndmask_b32_e32 v0, 0, v0, vcc
	buffer_store_dword v1, off, s[0:3], s32 offset:428 ; 4-byte Folded Spill
	buffer_store_dword v0, off, s[0:3], s32 offset:452 ; 4-byte Folded Spill
.LBB318_1360:                           ;   in Loop: Header=BB318_809 Depth=1
	s_or_b64 exec, exec, s[26:27]
	v_add_co_u32_e32 v0, vcc, 0x1000, v24
	v_addc_co_u32_e32 v1, vcc, 0, v25, vcc
	flat_load_dwordx2 v[26:27], v[0:1] offset:1536
	v_mov_b32_e32 v12, 0
	v_mov_b32_e32 v1, 0
	s_waitcnt vmcnt(0) lgkmcnt(0)
	v_cmp_ne_u16_sdwa s[28:29], v26, v15 src0_sel:BYTE_0 src1_sel:DWORD
	s_and_saveexec_b64 s[26:27], s[28:29]
	s_cbranch_execz .LBB318_1366
; %bb.1361:                             ;   in Loop: Header=BB318_809 Depth=1
	v_cmp_ne_u16_sdwa s[40:41], v26, s42 src0_sel:BYTE_0 src1_sel:DWORD
	v_bfrev_b32_e32 v1, 1
	s_and_saveexec_b64 s[28:29], s[40:41]
	s_cbranch_execz .LBB318_1365
; %bb.1362:                             ;   in Loop: Header=BB318_809 Depth=1
	v_and_b32_e32 v0, 0x7f, v26
	v_cmp_ne_u32_e32 vcc, s43, v0
	v_mov_b32_e32 v1, 0x7f800001
	s_and_saveexec_b64 s[40:41], vcc
	s_cbranch_execz .LBB318_1364
; %bb.1363:                             ;   in Loop: Header=BB318_809 Depth=1
	v_and_b32_e32 v1, 7, v26
	v_lshrrev_b32_e32 v13, 3, v0
	v_cmp_gt_u32_e32 vcc, 8, v0
	v_ffbh_u32_e32 v0, v1
	v_min_u32_e32 v0, 32, v0
	v_subrev_u32_e32 v1, 28, v0
	v_sub_u32_e32 v0, 29, v0
	v_cndmask_b32_e32 v13, v13, v0, vcc
	v_cndmask_b32_e32 v0, 0, v1, vcc
	v_lshlrev_b64 v[0:1], v0, v[26:27]
	v_lshlrev_b32_e32 v1, 24, v26
	v_lshlrev_b32_e32 v0, 20, v0
	v_bfrev_b32_e32 v14, 60
	v_and_b32_e32 v0, 0x700000, v0
	v_and_b32_e32 v1, 0x80000000, v1
	v_lshl_add_u32 v13, v13, 23, v14
	v_or3_b32 v1, v1, v13, v0
.LBB318_1364:                           ;   in Loop: Header=BB318_809 Depth=1
	s_or_b64 exec, exec, s[40:41]
.LBB318_1365:                           ;   in Loop: Header=BB318_809 Depth=1
	s_or_b64 exec, exec, s[28:29]
.LBB318_1366:                           ;   in Loop: Header=BB318_809 Depth=1
	s_or_b64 exec, exec, s[26:27]
	v_lshrrev_b16_e32 v14, 8, v26
	v_cmp_ne_u16_e32 vcc, 0, v14
	s_and_saveexec_b64 s[26:27], vcc
	s_cbranch_execz .LBB318_1372
; %bb.1367:                             ;   in Loop: Header=BB318_809 Depth=1
	v_cmp_ne_u16_e32 vcc, s42, v14
	v_bfrev_b32_e32 v12, 1
	s_and_saveexec_b64 s[28:29], vcc
	s_cbranch_execz .LBB318_1371
; %bb.1368:                             ;   in Loop: Header=BB318_809 Depth=1
	v_and_b32_e32 v0, 0x7f, v14
	v_cmp_ne_u32_e32 vcc, s43, v0
	v_mov_b32_e32 v12, 0x7f800001
	s_and_saveexec_b64 s[40:41], vcc
	s_cbranch_execz .LBB318_1370
; %bb.1369:                             ;   in Loop: Header=BB318_809 Depth=1
	v_and_b32_e32 v16, 7, v14
	v_lshrrev_b32_e32 v17, 3, v0
	v_cmp_gt_u32_e32 vcc, 8, v0
	v_ffbh_u32_e32 v0, v16
	v_min_u32_e32 v0, 32, v0
	v_subrev_u32_e32 v12, 28, v0
	v_lshlrev_b64 v[12:13], v12, v[14:15]
	v_sub_u32_e32 v0, 29, v0
	v_and_b32_e32 v12, 7, v12
	v_cndmask_b32_e32 v0, v17, v0, vcc
	v_cndmask_b32_e32 v12, v16, v12, vcc
	v_lshlrev_b32_e32 v13, 16, v26
	v_bfrev_b32_e32 v14, 60
	v_lshlrev_b32_e32 v12, 20, v12
	v_and_b32_e32 v13, 0x80000000, v13
	v_lshl_add_u32 v0, v0, 23, v14
	v_or3_b32 v12, v13, v0, v12
.LBB318_1370:                           ;   in Loop: Header=BB318_809 Depth=1
	s_or_b64 exec, exec, s[40:41]
.LBB318_1371:                           ;   in Loop: Header=BB318_809 Depth=1
	s_or_b64 exec, exec, s[28:29]
.LBB318_1372:                           ;   in Loop: Header=BB318_809 Depth=1
	s_or_b64 exec, exec, s[26:27]
	v_lshrrev_b32_e32 v14, 16, v26
	v_cmp_ne_u16_sdwa s[28:29], v14, v15 src0_sel:BYTE_0 src1_sel:DWORD
	v_mov_b32_e32 v16, 0
	v_mov_b32_e32 v13, 0
	s_and_saveexec_b64 s[26:27], s[28:29]
	s_cbranch_execz .LBB318_1378
; %bb.1373:                             ;   in Loop: Header=BB318_809 Depth=1
	v_cmp_ne_u16_sdwa s[40:41], v14, s42 src0_sel:BYTE_0 src1_sel:DWORD
	v_bfrev_b32_e32 v13, 1
	s_and_saveexec_b64 s[28:29], s[40:41]
	s_cbranch_execz .LBB318_1377
; %bb.1374:                             ;   in Loop: Header=BB318_809 Depth=1
	v_bfe_u32 v0, v26, 16, 7
	v_cmp_ne_u32_e32 vcc, s43, v0
	v_mov_b32_e32 v13, 0x7f800001
	s_and_saveexec_b64 s[40:41], vcc
	s_cbranch_execz .LBB318_1376
; %bb.1375:                             ;   in Loop: Header=BB318_809 Depth=1
	v_and_b32_e32 v13, 7, v14
	v_lshrrev_b32_e32 v21, 3, v0
	v_cmp_gt_u32_e32 vcc, 8, v0
	v_ffbh_u32_e32 v0, v13
	v_min_u32_e32 v0, 32, v0
	v_subrev_u32_e32 v17, 28, v0
	v_lshlrev_b64 v[17:18], v17, v[14:15]
	v_sub_u32_e32 v0, 29, v0
	v_and_b32_e32 v17, 7, v17
	v_cndmask_b32_e32 v0, v21, v0, vcc
	v_cndmask_b32_e32 v13, v13, v17, vcc
	v_lshlrev_b32_e32 v14, 24, v14
	v_bfrev_b32_e32 v17, 60
	v_lshlrev_b32_e32 v13, 20, v13
	v_and_b32_e32 v14, 0x80000000, v14
	v_lshl_add_u32 v0, v0, 23, v17
	v_or3_b32 v13, v14, v0, v13
.LBB318_1376:                           ;   in Loop: Header=BB318_809 Depth=1
	s_or_b64 exec, exec, s[40:41]
.LBB318_1377:                           ;   in Loop: Header=BB318_809 Depth=1
	s_or_b64 exec, exec, s[28:29]
.LBB318_1378:                           ;   in Loop: Header=BB318_809 Depth=1
	s_or_b64 exec, exec, s[26:27]
	v_cmp_lt_u32_e32 vcc, s11, v26
	s_and_saveexec_b64 s[26:27], vcc
	s_cbranch_execz .LBB318_1384
; %bb.1379:                             ;   in Loop: Header=BB318_809 Depth=1
	v_lshrrev_b32_e32 v14, 24, v26
	v_cmp_ne_u32_e32 vcc, s42, v14
	v_bfrev_b32_e32 v16, 1
	s_and_saveexec_b64 s[28:29], vcc
	s_cbranch_execz .LBB318_1383
; %bb.1380:                             ;   in Loop: Header=BB318_809 Depth=1
	v_bfe_u32 v0, v26, 24, 7
	v_cmp_ne_u32_e32 vcc, s43, v0
	v_mov_b32_e32 v16, 0x7f800001
	s_and_saveexec_b64 s[40:41], vcc
	s_cbranch_execz .LBB318_1382
; %bb.1381:                             ;   in Loop: Header=BB318_809 Depth=1
	v_and_b32_e32 v18, 7, v14
	v_lshrrev_b32_e32 v21, 3, v0
	v_cmp_gt_u32_e32 vcc, 8, v0
	v_ffbh_u32_e32 v0, v18
	v_min_u32_e32 v0, 32, v0
	v_subrev_u32_e32 v16, 28, v0
	v_lshlrev_b64 v[16:17], v16, v[14:15]
	v_sub_u32_e32 v0, 29, v0
	v_and_b32_e32 v16, 7, v16
	v_cndmask_b32_e32 v0, v21, v0, vcc
	v_cndmask_b32_e32 v16, v18, v16, vcc
	v_lshlrev_b32_e32 v14, 24, v14
	v_bfrev_b32_e32 v17, 60
	v_lshlrev_b32_e32 v16, 20, v16
	v_and_b32_e32 v14, 0x80000000, v14
	v_lshl_add_u32 v0, v0, 23, v17
	v_or3_b32 v16, v14, v0, v16
.LBB318_1382:                           ;   in Loop: Header=BB318_809 Depth=1
	s_or_b64 exec, exec, s[40:41]
.LBB318_1383:                           ;   in Loop: Header=BB318_809 Depth=1
	s_or_b64 exec, exec, s[28:29]
.LBB318_1384:                           ;   in Loop: Header=BB318_809 Depth=1
	s_or_b64 exec, exec, s[26:27]
	v_mov_b32_e32 v14, v27
	v_cmp_ne_u16_sdwa s[28:29], v27, v15 src0_sel:BYTE_0 src1_sel:DWORD
	v_mov_b32_e32 v18, 0
	v_mov_b32_e32 v0, 0
	s_and_saveexec_b64 s[26:27], s[28:29]
	s_cbranch_execz .LBB318_1390
; %bb.1385:                             ;   in Loop: Header=BB318_809 Depth=1
	v_cmp_ne_u16_sdwa s[40:41], v27, s42 src0_sel:BYTE_0 src1_sel:DWORD
	v_bfrev_b32_e32 v0, 1
	s_and_saveexec_b64 s[28:29], s[40:41]
	s_cbranch_execz .LBB318_1389
; %bb.1386:                             ;   in Loop: Header=BB318_809 Depth=1
	v_and_b32_e32 v17, 0x7f, v27
	v_cmp_ne_u32_e32 vcc, s43, v17
	v_mov_b32_e32 v0, 0x7f800001
	s_and_saveexec_b64 s[40:41], vcc
	s_cbranch_execz .LBB318_1388
; %bb.1387:                             ;   in Loop: Header=BB318_809 Depth=1
	v_and_b32_e32 v0, 7, v27
	v_ffbh_u32_e32 v0, v0
	v_min_u32_e32 v0, 32, v0
	v_lshrrev_b32_e32 v21, 3, v17
	v_cmp_gt_u32_e32 vcc, 8, v17
	v_subrev_u32_e32 v17, 28, v0
	v_sub_u32_e32 v0, 29, v0
	v_cndmask_b32_e32 v17, 0, v17, vcc
	v_cndmask_b32_e32 v0, v21, v0, vcc
	v_lshlrev_b64 v[21:22], v17, v[14:15]
	v_bfrev_b32_e32 v22, 60
	v_lshlrev_b32_e32 v17, 20, v21
	v_lshlrev_b32_e32 v21, 24, v14
	v_and_b32_e32 v17, 0x700000, v17
	v_and_b32_e32 v21, 0x80000000, v21
	v_lshl_add_u32 v0, v0, 23, v22
	v_or3_b32 v0, v21, v0, v17
.LBB318_1388:                           ;   in Loop: Header=BB318_809 Depth=1
	s_or_b64 exec, exec, s[40:41]
.LBB318_1389:                           ;   in Loop: Header=BB318_809 Depth=1
	s_or_b64 exec, exec, s[28:29]
.LBB318_1390:                           ;   in Loop: Header=BB318_809 Depth=1
	s_or_b64 exec, exec, s[26:27]
	v_lshrrev_b16_e32 v17, 8, v14
	v_cmp_ne_u16_e32 vcc, 0, v17
	s_and_saveexec_b64 s[26:27], vcc
	s_cbranch_execz .LBB318_1396
; %bb.1391:                             ;   in Loop: Header=BB318_809 Depth=1
	v_cmp_ne_u16_e32 vcc, s42, v17
	v_bfrev_b32_e32 v18, 1
	s_and_saveexec_b64 s[28:29], vcc
	s_cbranch_execz .LBB318_1395
; %bb.1392:                             ;   in Loop: Header=BB318_809 Depth=1
	v_and_b32_e32 v21, 0x7f, v17
	v_cmp_ne_u32_e32 vcc, s43, v21
	v_mov_b32_e32 v18, 0x7f800001
	s_and_saveexec_b64 s[40:41], vcc
	s_cbranch_execz .LBB318_1394
; %bb.1393:                             ;   in Loop: Header=BB318_809 Depth=1
	v_and_b32_e32 v22, 7, v17
	v_ffbh_u32_e32 v18, v22
	v_lshrrev_b32_e32 v23, 3, v21
	v_cmp_gt_u32_e32 vcc, 8, v21
	v_min_u32_e32 v21, 32, v18
	v_subrev_u32_e32 v18, 28, v21
	v_lshlrev_b64 v[17:18], v18, v[17:18]
	v_sub_u32_e32 v18, 29, v21
	v_and_b32_e32 v17, 7, v17
	v_cndmask_b32_e32 v18, v23, v18, vcc
	v_cndmask_b32_e32 v17, v22, v17, vcc
	v_lshlrev_b32_e32 v14, 16, v14
	v_bfrev_b32_e32 v21, 60
	v_lshlrev_b32_e32 v17, 20, v17
	v_and_b32_e32 v14, 0x80000000, v14
	v_lshl_add_u32 v18, v18, 23, v21
	v_add_u32_e32 v23, 1, v36
	v_or3_b32 v18, v14, v18, v17
.LBB318_1394:                           ;   in Loop: Header=BB318_809 Depth=1
	s_or_b64 exec, exec, s[40:41]
.LBB318_1395:                           ;   in Loop: Header=BB318_809 Depth=1
	s_or_b64 exec, exec, s[28:29]
.LBB318_1396:                           ;   in Loop: Header=BB318_809 Depth=1
	s_or_b64 exec, exec, s[26:27]
	v_lshrrev_b32_e32 v14, 16, v27
	v_cmp_ne_u16_sdwa s[28:29], v14, v15 src0_sel:BYTE_0 src1_sel:DWORD
	v_mov_b32_e32 v17, 0
	v_mov_b32_e32 v21, 0
	s_and_saveexec_b64 s[26:27], s[28:29]
	s_cbranch_execz .LBB318_1402
; %bb.1397:                             ;   in Loop: Header=BB318_809 Depth=1
	v_cmp_ne_u16_sdwa s[40:41], v14, s42 src0_sel:BYTE_0 src1_sel:DWORD
	v_bfrev_b32_e32 v21, 1
	s_and_saveexec_b64 s[28:29], s[40:41]
	s_cbranch_execz .LBB318_1401
; %bb.1398:                             ;   in Loop: Header=BB318_809 Depth=1
	v_bfe_u32 v22, v27, 16, 7
	v_cmp_ne_u32_e32 vcc, s43, v22
	v_mov_b32_e32 v21, 0x7f800001
	s_and_saveexec_b64 s[40:41], vcc
	s_cbranch_execz .LBB318_1400
; %bb.1399:                             ;   in Loop: Header=BB318_809 Depth=1
	v_and_b32_e32 v23, 7, v14
	v_ffbh_u32_e32 v21, v23
	v_min_u32_e32 v29, 32, v21
	v_subrev_u32_e32 v21, 28, v29
	v_lshrrev_b32_e32 v28, 3, v22
	v_cmp_gt_u32_e32 vcc, 8, v22
	v_lshlrev_b64 v[21:22], v21, v[14:15]
	v_sub_u32_e32 v22, 29, v29
	v_and_b32_e32 v21, 7, v21
	v_cndmask_b32_e32 v22, v28, v22, vcc
	v_cndmask_b32_e32 v21, v23, v21, vcc
	v_lshlrev_b32_e32 v14, 24, v14
	v_bfrev_b32_e32 v23, 60
	v_lshlrev_b32_e32 v21, 20, v21
	v_and_b32_e32 v14, 0x80000000, v14
	v_lshl_add_u32 v22, v22, 23, v23
	v_add_u32_e32 v29, 3, v36
	v_add_u32_e32 v23, 1, v36
	v_or3_b32 v21, v14, v22, v21
.LBB318_1400:                           ;   in Loop: Header=BB318_809 Depth=1
	s_or_b64 exec, exec, s[40:41]
.LBB318_1401:                           ;   in Loop: Header=BB318_809 Depth=1
	s_or_b64 exec, exec, s[28:29]
.LBB318_1402:                           ;   in Loop: Header=BB318_809 Depth=1
	s_or_b64 exec, exec, s[26:27]
	v_cmp_lt_u64_e32 vcc, s[10:11], v[26:27]
	s_and_saveexec_b64 s[26:27], vcc
	s_cbranch_execz .LBB318_1408
; %bb.1403:                             ;   in Loop: Header=BB318_809 Depth=1
	v_lshrrev_b32_e32 v14, 24, v27
	v_cmp_ne_u32_e32 vcc, s42, v14
	v_bfrev_b32_e32 v17, 1
	s_and_saveexec_b64 s[28:29], vcc
	s_cbranch_execz .LBB318_1407
; %bb.1404:                             ;   in Loop: Header=BB318_809 Depth=1
	v_bfe_u32 v22, v27, 24, 7
	v_cmp_ne_u32_e32 vcc, s43, v22
	v_mov_b32_e32 v17, 0x7f800001
	s_and_saveexec_b64 s[40:41], vcc
	s_cbranch_execz .LBB318_1406
; %bb.1405:                             ;   in Loop: Header=BB318_809 Depth=1
	v_and_b32_e32 v17, 7, v14
	v_lshrrev_b32_e32 v26, 3, v22
	v_cmp_gt_u32_e32 vcc, 8, v22
	v_ffbh_u32_e32 v22, v17
	v_min_u32_e32 v27, 32, v22
	v_subrev_u32_e32 v22, 28, v27
	v_lshlrev_b64 v[22:23], v22, v[14:15]
	v_sub_u32_e32 v23, 29, v27
	v_and_b32_e32 v22, 7, v22
	v_cndmask_b32_e32 v23, v26, v23, vcc
	v_cndmask_b32_e32 v17, v17, v22, vcc
	v_lshlrev_b32_e32 v14, 24, v14
	v_bfrev_b32_e32 v22, 60
	v_lshlrev_b32_e32 v17, 20, v17
	v_and_b32_e32 v14, 0x80000000, v14
	v_lshl_add_u32 v22, v23, 23, v22
	v_add_u32_e32 v23, 1, v36
	v_or3_b32 v17, v14, v22, v17
.LBB318_1406:                           ;   in Loop: Header=BB318_809 Depth=1
	s_or_b64 exec, exec, s[40:41]
.LBB318_1407:                           ;   in Loop: Header=BB318_809 Depth=1
	s_or_b64 exec, exec, s[28:29]
.LBB318_1408:                           ;   in Loop: Header=BB318_809 Depth=1
	s_or_b64 exec, exec, s[26:27]
	v_mul_f32_e32 v14, v46, v18
	v_bfe_u32 v18, v14, 16, 1
	v_add3_u32 v18, v18, v14, s44
	v_or_b32_e32 v22, 0x400000, v14
	v_cmp_u_f32_e32 vcc, v14, v14
	v_cndmask_b32_e32 v14, v18, v22, vcc
	v_lshrrev_b32_e32 v14, 16, v14
	v_mul_f32_e32 v0, v46, v0
	buffer_store_dword v14, off, s[0:3], s32 offset:516 ; 4-byte Folded Spill
	v_bfe_u32 v14, v0, 16, 1
	v_add3_u32 v14, v14, v0, s44
	v_or_b32_e32 v18, 0x400000, v0
	v_cmp_u_f32_e32 vcc, v0, v0
	v_cndmask_b32_e32 v0, v14, v18, vcc
	v_lshrrev_b32_e32 v0, 16, v0
	buffer_store_dword v0, off, s[0:3], s32 offset:500 ; 4-byte Folded Spill
	v_mul_f32_e32 v0, v46, v16
	v_bfe_u32 v14, v0, 16, 1
	v_add3_u32 v14, v14, v0, s44
	v_or_b32_e32 v16, 0x400000, v0
	v_cmp_u_f32_e32 vcc, v0, v0
	v_cndmask_b32_e32 v0, v14, v16, vcc
	v_lshrrev_b32_e32 v0, 16, v0
	buffer_store_dword v0, off, s[0:3], s32 offset:540 ; 4-byte Folded Spill
	v_mul_f32_e32 v0, v46, v13
	v_bfe_u32 v13, v0, 16, 1
	v_add3_u32 v13, v13, v0, s44
	v_or_b32_e32 v14, 0x400000, v0
	v_cmp_u_f32_e32 vcc, v0, v0
	v_cndmask_b32_e32 v0, v13, v14, vcc
	v_lshrrev_b32_e32 v0, 16, v0
	buffer_store_dword v0, off, s[0:3], s32 offset:536 ; 4-byte Folded Spill
	v_mul_f32_e32 v0, v46, v12
	v_bfe_u32 v12, v0, 16, 1
	v_add3_u32 v12, v12, v0, s44
	v_or_b32_e32 v13, 0x400000, v0
	v_cmp_u_f32_e32 vcc, v0, v0
	v_cndmask_b32_e32 v0, v12, v13, vcc
	v_lshrrev_b32_e32 v49, 16, v0
	v_mul_f32_e32 v0, v46, v1
	v_bfe_u32 v1, v0, 16, 1
	v_add3_u32 v1, v1, v0, s44
	v_or_b32_e32 v12, 0x400000, v0
	v_cmp_u_f32_e32 vcc, v0, v0
	v_cndmask_b32_e32 v0, v1, v12, vcc
	v_lshrrev_b32_e32 v43, 16, v0
	v_mul_f32_e32 v0, v46, v21
	v_bfe_u32 v1, v0, 16, 1
	v_add3_u32 v1, v1, v0, s44
	v_or_b32_e32 v12, 0x400000, v0
	v_cmp_u_f32_e32 vcc, v0, v0
	v_cndmask_b32_e32 v0, v1, v12, vcc
	v_lshrrev_b32_e32 v0, 16, v0
	buffer_store_dword v0, off, s[0:3], s32 offset:532 ; 4-byte Folded Spill
	v_mul_f32_e32 v0, v46, v17
	v_bfe_u32 v1, v0, 16, 1
	v_add3_u32 v1, v1, v0, s44
	v_or_b32_e32 v12, 0x400000, v0
	v_cmp_u_f32_e32 vcc, v0, v0
	v_cndmask_b32_e32 v0, v1, v12, vcc
	v_lshrrev_b32_e32 v0, 16, v0
	buffer_store_dword v0, off, s[0:3], s32 offset:544 ; 4-byte Folded Spill
	s_and_saveexec_b64 s[26:27], s[6:7]
	s_cbranch_execz .LBB318_1410
; %bb.1409:                             ;   in Loop: Header=BB318_809 Depth=1
	buffer_load_dword v0, off, s[0:3], s32 offset:64 ; 4-byte Folded Reload
	buffer_load_dword v1, off, s[0:3], s32 offset:536 ; 4-byte Folded Reload
	s_waitcnt vmcnt(1)
	v_cmp_lt_i32_e32 vcc, v36, v0
	v_cndmask_b32_e32 v43, 0, v43, vcc
	v_cmp_lt_i32_e32 vcc, v23, v0
	v_cndmask_b32_e32 v49, 0, v49, vcc
	v_cmp_lt_i32_e32 vcc, v35, v0
	s_waitcnt vmcnt(0)
	v_cndmask_b32_e32 v1, 0, v1, vcc
	buffer_store_dword v1, off, s[0:3], s32 offset:536 ; 4-byte Folded Spill
	buffer_load_dword v1, off, s[0:3], s32 offset:540 ; 4-byte Folded Reload
	v_cmp_lt_i32_e32 vcc, v29, v0
	s_waitcnt vmcnt(0)
	v_cndmask_b32_e32 v1, 0, v1, vcc
	buffer_store_dword v1, off, s[0:3], s32 offset:540 ; 4-byte Folded Spill
	buffer_load_dword v1, off, s[0:3], s32 offset:500 ; 4-byte Folded Reload
	;; [unrolled: 5-line block ×4, first 2 shown]
	v_cmp_lt_i32_e32 vcc, v39, v0
	s_waitcnt vmcnt(0)
	v_cndmask_b32_e32 v1, 0, v1, vcc
	v_cmp_lt_i32_e32 vcc, v38, v0
	buffer_load_dword v0, off, s[0:3], s32 offset:544 ; 4-byte Folded Reload
	s_waitcnt vmcnt(0)
	v_cndmask_b32_e32 v0, 0, v0, vcc
	buffer_store_dword v1, off, s[0:3], s32 offset:532 ; 4-byte Folded Spill
	buffer_store_dword v0, off, s[0:3], s32 offset:544 ; 4-byte Folded Spill
.LBB318_1410:                           ;   in Loop: Header=BB318_809 Depth=1
	s_or_b64 exec, exec, s[26:27]
	v_add_co_u32_e32 v12, vcc, 0x1000, v24
	v_addc_co_u32_e32 v13, vcc, 0, v25, vcc
	flat_load_dwordx2 v[26:27], v[12:13] offset:2048
	v_mov_b32_e32 v13, 0
	v_mov_b32_e32 v12, 0
	s_waitcnt vmcnt(0) lgkmcnt(0)
	v_cmp_ne_u16_sdwa s[28:29], v26, v15 src0_sel:BYTE_0 src1_sel:DWORD
	s_and_saveexec_b64 s[26:27], s[28:29]
	s_cbranch_execz .LBB318_1416
; %bb.1411:                             ;   in Loop: Header=BB318_809 Depth=1
	v_cmp_ne_u16_sdwa s[40:41], v26, s42 src0_sel:BYTE_0 src1_sel:DWORD
	v_bfrev_b32_e32 v12, 1
	s_and_saveexec_b64 s[28:29], s[40:41]
	s_cbranch_execz .LBB318_1415
; %bb.1412:                             ;   in Loop: Header=BB318_809 Depth=1
	v_and_b32_e32 v0, 0x7f, v26
	v_cmp_ne_u32_e32 vcc, s43, v0
	v_mov_b32_e32 v12, 0x7f800001
	s_and_saveexec_b64 s[40:41], vcc
	s_cbranch_execz .LBB318_1414
; %bb.1413:                             ;   in Loop: Header=BB318_809 Depth=1
	v_and_b32_e32 v12, 7, v26
	v_lshrrev_b32_e32 v14, 3, v0
	v_cmp_gt_u32_e32 vcc, 8, v0
	v_ffbh_u32_e32 v0, v12
	v_min_u32_e32 v0, 32, v0
	v_subrev_u32_e32 v12, 28, v0
	v_cndmask_b32_e32 v12, 0, v12, vcc
	v_lshlrev_b64 v[16:17], v12, v[26:27]
	v_sub_u32_e32 v0, 29, v0
	v_cndmask_b32_e32 v0, v14, v0, vcc
	v_lshlrev_b32_e32 v12, 20, v16
	v_lshlrev_b32_e32 v14, 24, v26
	v_bfrev_b32_e32 v16, 60
	v_and_b32_e32 v12, 0x700000, v12
	v_and_b32_e32 v14, 0x80000000, v14
	v_lshl_add_u32 v0, v0, 23, v16
	v_or3_b32 v12, v14, v0, v12
.LBB318_1414:                           ;   in Loop: Header=BB318_809 Depth=1
	s_or_b64 exec, exec, s[40:41]
.LBB318_1415:                           ;   in Loop: Header=BB318_809 Depth=1
	s_or_b64 exec, exec, s[28:29]
.LBB318_1416:                           ;   in Loop: Header=BB318_809 Depth=1
	s_or_b64 exec, exec, s[26:27]
	v_lshrrev_b16_e32 v14, 8, v26
	v_cmp_ne_u16_e32 vcc, 0, v14
	s_and_saveexec_b64 s[26:27], vcc
	s_cbranch_execz .LBB318_1422
; %bb.1417:                             ;   in Loop: Header=BB318_809 Depth=1
	v_cmp_ne_u16_e32 vcc, s42, v14
	v_bfrev_b32_e32 v13, 1
	s_and_saveexec_b64 s[28:29], vcc
	s_cbranch_execz .LBB318_1421
; %bb.1418:                             ;   in Loop: Header=BB318_809 Depth=1
	v_and_b32_e32 v0, 0x7f, v14
	v_cmp_ne_u32_e32 vcc, s43, v0
	v_mov_b32_e32 v13, 0x7f800001
	s_and_saveexec_b64 s[40:41], vcc
	s_cbranch_execz .LBB318_1420
; %bb.1419:                             ;   in Loop: Header=BB318_809 Depth=1
	v_and_b32_e32 v16, 7, v14
	v_lshrrev_b32_e32 v17, 3, v0
	v_cmp_gt_u32_e32 vcc, 8, v0
	v_ffbh_u32_e32 v0, v16
	v_min_u32_e32 v0, 32, v0
	v_subrev_u32_e32 v13, 28, v0
	v_lshlrev_b64 v[13:14], v13, v[14:15]
	v_sub_u32_e32 v0, 29, v0
	v_and_b32_e32 v13, 7, v13
	v_cndmask_b32_e32 v0, v17, v0, vcc
	v_cndmask_b32_e32 v13, v16, v13, vcc
	v_lshlrev_b32_e32 v14, 16, v26
	v_bfrev_b32_e32 v16, 60
	v_lshlrev_b32_e32 v13, 20, v13
	v_and_b32_e32 v14, 0x80000000, v14
	v_lshl_add_u32 v0, v0, 23, v16
	v_or3_b32 v13, v14, v0, v13
.LBB318_1420:                           ;   in Loop: Header=BB318_809 Depth=1
	s_or_b64 exec, exec, s[40:41]
.LBB318_1421:                           ;   in Loop: Header=BB318_809 Depth=1
	s_or_b64 exec, exec, s[28:29]
.LBB318_1422:                           ;   in Loop: Header=BB318_809 Depth=1
	s_or_b64 exec, exec, s[26:27]
	v_lshrrev_b32_e32 v14, 16, v26
	v_cmp_ne_u16_sdwa s[28:29], v14, v15 src0_sel:BYTE_0 src1_sel:DWORD
	v_mov_b32_e32 v18, 0
	v_mov_b32_e32 v16, 0
	s_and_saveexec_b64 s[26:27], s[28:29]
	s_cbranch_execz .LBB318_1428
; %bb.1423:                             ;   in Loop: Header=BB318_809 Depth=1
	v_cmp_ne_u16_sdwa s[40:41], v14, s42 src0_sel:BYTE_0 src1_sel:DWORD
	v_bfrev_b32_e32 v16, 1
	s_and_saveexec_b64 s[28:29], s[40:41]
	s_cbranch_execz .LBB318_1427
; %bb.1424:                             ;   in Loop: Header=BB318_809 Depth=1
	v_bfe_u32 v0, v26, 16, 7
	v_cmp_ne_u32_e32 vcc, s43, v0
	v_mov_b32_e32 v16, 0x7f800001
	s_and_saveexec_b64 s[40:41], vcc
	s_cbranch_execz .LBB318_1426
; %bb.1425:                             ;   in Loop: Header=BB318_809 Depth=1
	v_and_b32_e32 v21, 7, v14
	v_lshrrev_b32_e32 v22, 3, v0
	v_cmp_gt_u32_e32 vcc, 8, v0
	v_ffbh_u32_e32 v0, v21
	v_min_u32_e32 v0, 32, v0
	v_subrev_u32_e32 v16, 28, v0
	v_lshlrev_b64 v[16:17], v16, v[14:15]
	v_sub_u32_e32 v0, 29, v0
	v_and_b32_e32 v16, 7, v16
	v_cndmask_b32_e32 v0, v22, v0, vcc
	v_cndmask_b32_e32 v16, v21, v16, vcc
	v_lshlrev_b32_e32 v14, 24, v14
	v_bfrev_b32_e32 v17, 60
	v_lshlrev_b32_e32 v16, 20, v16
	v_and_b32_e32 v14, 0x80000000, v14
	v_lshl_add_u32 v0, v0, 23, v17
	v_or3_b32 v16, v14, v0, v16
.LBB318_1426:                           ;   in Loop: Header=BB318_809 Depth=1
	s_or_b64 exec, exec, s[40:41]
.LBB318_1427:                           ;   in Loop: Header=BB318_809 Depth=1
	s_or_b64 exec, exec, s[28:29]
.LBB318_1428:                           ;   in Loop: Header=BB318_809 Depth=1
	s_or_b64 exec, exec, s[26:27]
	v_cmp_lt_u32_e32 vcc, s11, v26
	s_and_saveexec_b64 s[26:27], vcc
	s_cbranch_execz .LBB318_1434
; %bb.1429:                             ;   in Loop: Header=BB318_809 Depth=1
	v_lshrrev_b32_e32 v14, 24, v26
	v_cmp_ne_u32_e32 vcc, s42, v14
	v_bfrev_b32_e32 v18, 1
	s_and_saveexec_b64 s[28:29], vcc
	s_cbranch_execz .LBB318_1433
; %bb.1430:                             ;   in Loop: Header=BB318_809 Depth=1
	v_bfe_u32 v0, v26, 24, 7
	v_cmp_ne_u32_e32 vcc, s43, v0
	v_mov_b32_e32 v18, 0x7f800001
	s_and_saveexec_b64 s[40:41], vcc
	s_cbranch_execz .LBB318_1432
; %bb.1431:                             ;   in Loop: Header=BB318_809 Depth=1
	v_and_b32_e32 v21, 7, v14
	v_lshrrev_b32_e32 v22, 3, v0
	v_cmp_gt_u32_e32 vcc, 8, v0
	v_ffbh_u32_e32 v0, v21
	v_min_u32_e32 v0, 32, v0
	v_subrev_u32_e32 v17, 28, v0
	v_lshlrev_b64 v[17:18], v17, v[14:15]
	v_sub_u32_e32 v0, 29, v0
	v_and_b32_e32 v17, 7, v17
	v_cndmask_b32_e32 v0, v22, v0, vcc
	v_cndmask_b32_e32 v17, v21, v17, vcc
	v_lshlrev_b32_e32 v14, 24, v14
	v_bfrev_b32_e32 v18, 60
	v_lshlrev_b32_e32 v17, 20, v17
	v_and_b32_e32 v14, 0x80000000, v14
	v_lshl_add_u32 v0, v0, 23, v18
	v_or3_b32 v18, v14, v0, v17
.LBB318_1432:                           ;   in Loop: Header=BB318_809 Depth=1
	s_or_b64 exec, exec, s[40:41]
.LBB318_1433:                           ;   in Loop: Header=BB318_809 Depth=1
	s_or_b64 exec, exec, s[28:29]
.LBB318_1434:                           ;   in Loop: Header=BB318_809 Depth=1
	s_or_b64 exec, exec, s[26:27]
	v_mov_b32_e32 v14, v27
	v_cmp_ne_u16_sdwa s[28:29], v27, v15 src0_sel:BYTE_0 src1_sel:DWORD
	v_mov_b32_e32 v22, 0
	v_mov_b32_e32 v21, 0
	s_and_saveexec_b64 s[26:27], s[28:29]
	s_cbranch_execz .LBB318_1440
; %bb.1435:                             ;   in Loop: Header=BB318_809 Depth=1
	v_cmp_ne_u16_sdwa s[40:41], v27, s42 src0_sel:BYTE_0 src1_sel:DWORD
	v_bfrev_b32_e32 v21, 1
	s_and_saveexec_b64 s[28:29], s[40:41]
	s_cbranch_execz .LBB318_1439
; %bb.1436:                             ;   in Loop: Header=BB318_809 Depth=1
	v_and_b32_e32 v0, 0x7f, v27
	v_cmp_ne_u32_e32 vcc, s43, v0
	v_mov_b32_e32 v21, 0x7f800001
	s_and_saveexec_b64 s[40:41], vcc
	s_cbranch_execz .LBB318_1438
; %bb.1437:                             ;   in Loop: Header=BB318_809 Depth=1
	v_and_b32_e32 v17, 7, v27
	v_lshrrev_b32_e32 v21, 3, v0
	v_cmp_gt_u32_e32 vcc, 8, v0
	v_ffbh_u32_e32 v0, v17
	v_min_u32_e32 v0, 32, v0
	v_subrev_u32_e32 v17, 28, v0
	v_cndmask_b32_e32 v17, 0, v17, vcc
	v_lshlrev_b64 v[30:31], v17, v[14:15]
	v_sub_u32_e32 v0, 29, v0
	v_cndmask_b32_e32 v0, v21, v0, vcc
	v_lshlrev_b32_e32 v17, 20, v30
	v_lshlrev_b32_e32 v21, 24, v14
	v_bfrev_b32_e32 v28, 60
	v_and_b32_e32 v17, 0x700000, v17
	v_and_b32_e32 v21, 0x80000000, v21
	v_lshl_add_u32 v0, v0, 23, v28
	v_or3_b32 v21, v21, v0, v17
.LBB318_1438:                           ;   in Loop: Header=BB318_809 Depth=1
	s_or_b64 exec, exec, s[40:41]
.LBB318_1439:                           ;   in Loop: Header=BB318_809 Depth=1
	s_or_b64 exec, exec, s[28:29]
.LBB318_1440:                           ;   in Loop: Header=BB318_809 Depth=1
	s_or_b64 exec, exec, s[26:27]
	v_lshrrev_b16_e32 v17, 8, v14
	v_cmp_ne_u16_e32 vcc, 0, v17
	s_and_saveexec_b64 s[26:27], vcc
	s_cbranch_execz .LBB318_1446
; %bb.1441:                             ;   in Loop: Header=BB318_809 Depth=1
	v_cmp_ne_u16_e32 vcc, s42, v17
	v_bfrev_b32_e32 v22, 1
	s_and_saveexec_b64 s[28:29], vcc
	s_cbranch_execz .LBB318_1445
; %bb.1442:                             ;   in Loop: Header=BB318_809 Depth=1
	v_and_b32_e32 v0, 0x7f, v17
	v_cmp_ne_u32_e32 vcc, s43, v0
	v_mov_b32_e32 v22, 0x7f800001
	s_and_saveexec_b64 s[40:41], vcc
	s_cbranch_execz .LBB318_1444
; %bb.1443:                             ;   in Loop: Header=BB318_809 Depth=1
	v_and_b32_e32 v22, 7, v17
	v_lshrrev_b32_e32 v28, 3, v0
	v_cmp_gt_u32_e32 vcc, 8, v0
	v_ffbh_u32_e32 v0, v22
	v_min_u32_e32 v0, 32, v0
	v_subrev_u32_e32 v30, 28, v0
	v_lshlrev_b64 v[30:31], v30, v[17:18]
	v_sub_u32_e32 v0, 29, v0
	v_and_b32_e32 v17, 7, v30
	v_cndmask_b32_e32 v0, v28, v0, vcc
	v_cndmask_b32_e32 v17, v22, v17, vcc
	v_lshlrev_b32_e32 v14, 16, v14
	v_bfrev_b32_e32 v22, 60
	v_lshlrev_b32_e32 v17, 20, v17
	v_and_b32_e32 v14, 0x80000000, v14
	v_lshl_add_u32 v0, v0, 23, v22
	v_or3_b32 v22, v14, v0, v17
.LBB318_1444:                           ;   in Loop: Header=BB318_809 Depth=1
	s_or_b64 exec, exec, s[40:41]
.LBB318_1445:                           ;   in Loop: Header=BB318_809 Depth=1
	s_or_b64 exec, exec, s[28:29]
.LBB318_1446:                           ;   in Loop: Header=BB318_809 Depth=1
	s_or_b64 exec, exec, s[26:27]
	v_lshrrev_b32_e32 v14, 16, v27
	v_cmp_ne_u16_sdwa s[28:29], v14, v15 src0_sel:BYTE_0 src1_sel:DWORD
	v_mov_b32_e32 v17, 0
	v_mov_b32_e32 v28, 0
	s_and_saveexec_b64 s[26:27], s[28:29]
	s_cbranch_execz .LBB318_1452
; %bb.1447:                             ;   in Loop: Header=BB318_809 Depth=1
	v_cmp_ne_u16_sdwa s[40:41], v14, s42 src0_sel:BYTE_0 src1_sel:DWORD
	v_bfrev_b32_e32 v28, 1
	s_and_saveexec_b64 s[28:29], s[40:41]
	s_cbranch_execz .LBB318_1451
; %bb.1448:                             ;   in Loop: Header=BB318_809 Depth=1
	v_bfe_u32 v0, v27, 16, 7
	v_cmp_ne_u32_e32 vcc, s43, v0
	v_mov_b32_e32 v28, 0x7f800001
	s_and_saveexec_b64 s[40:41], vcc
	s_cbranch_execz .LBB318_1450
; %bb.1449:                             ;   in Loop: Header=BB318_809 Depth=1
	v_and_b32_e32 v28, 7, v14
	v_lshrrev_b32_e32 v32, 3, v0
	v_cmp_gt_u32_e32 vcc, 8, v0
	v_ffbh_u32_e32 v0, v28
	v_min_u32_e32 v0, 32, v0
	v_subrev_u32_e32 v30, 28, v0
	v_lshlrev_b64 v[30:31], v30, v[14:15]
	v_sub_u32_e32 v0, 29, v0
	v_and_b32_e32 v30, 7, v30
	v_cndmask_b32_e32 v0, v32, v0, vcc
	v_cndmask_b32_e32 v28, v28, v30, vcc
	v_lshlrev_b32_e32 v14, 24, v14
	v_bfrev_b32_e32 v30, 60
	v_lshlrev_b32_e32 v28, 20, v28
	v_and_b32_e32 v14, 0x80000000, v14
	v_lshl_add_u32 v0, v0, 23, v30
	v_or3_b32 v28, v14, v0, v28
.LBB318_1450:                           ;   in Loop: Header=BB318_809 Depth=1
	s_or_b64 exec, exec, s[40:41]
.LBB318_1451:                           ;   in Loop: Header=BB318_809 Depth=1
	s_or_b64 exec, exec, s[28:29]
.LBB318_1452:                           ;   in Loop: Header=BB318_809 Depth=1
	s_or_b64 exec, exec, s[26:27]
	v_cmp_lt_u64_e32 vcc, s[10:11], v[26:27]
	s_and_saveexec_b64 s[26:27], vcc
	s_cbranch_execz .LBB318_1458
; %bb.1453:                             ;   in Loop: Header=BB318_809 Depth=1
	v_lshrrev_b32_e32 v14, 24, v27
	v_cmp_ne_u32_e32 vcc, s42, v14
	v_bfrev_b32_e32 v17, 1
	s_and_saveexec_b64 s[28:29], vcc
	s_cbranch_execz .LBB318_1457
; %bb.1454:                             ;   in Loop: Header=BB318_809 Depth=1
	v_bfe_u32 v0, v27, 24, 7
	v_cmp_ne_u32_e32 vcc, s43, v0
	v_mov_b32_e32 v17, 0x7f800001
	s_and_saveexec_b64 s[40:41], vcc
	s_cbranch_execz .LBB318_1456
; %bb.1455:                             ;   in Loop: Header=BB318_809 Depth=1
	v_and_b32_e32 v17, 7, v14
	v_lshrrev_b32_e32 v30, 3, v0
	v_cmp_gt_u32_e32 vcc, 8, v0
	v_ffbh_u32_e32 v0, v17
	v_min_u32_e32 v0, 32, v0
	v_subrev_u32_e32 v26, 28, v0
	v_lshlrev_b64 v[26:27], v26, v[14:15]
	v_sub_u32_e32 v0, 29, v0
	v_and_b32_e32 v26, 7, v26
	v_cndmask_b32_e32 v0, v30, v0, vcc
	v_cndmask_b32_e32 v17, v17, v26, vcc
	v_lshlrev_b32_e32 v14, 24, v14
	v_bfrev_b32_e32 v26, 60
	v_lshlrev_b32_e32 v17, 20, v17
	v_and_b32_e32 v14, 0x80000000, v14
	v_lshl_add_u32 v0, v0, 23, v26
	v_or3_b32 v17, v14, v0, v17
.LBB318_1456:                           ;   in Loop: Header=BB318_809 Depth=1
	s_or_b64 exec, exec, s[40:41]
.LBB318_1457:                           ;   in Loop: Header=BB318_809 Depth=1
	s_or_b64 exec, exec, s[28:29]
.LBB318_1458:                           ;   in Loop: Header=BB318_809 Depth=1
	s_or_b64 exec, exec, s[26:27]
	v_mul_f32_e32 v0, v46, v22
	v_bfe_u32 v14, v0, 16, 1
	v_add3_u32 v14, v14, v0, s44
	v_or_b32_e32 v22, 0x400000, v0
	v_cmp_u_f32_e32 vcc, v0, v0
	v_cndmask_b32_e32 v0, v14, v22, vcc
	v_lshrrev_b32_e32 v47, 16, v0
	v_mul_f32_e32 v0, v46, v21
	v_bfe_u32 v14, v0, 16, 1
	v_add3_u32 v14, v14, v0, s44
	v_or_b32_e32 v21, 0x400000, v0
	v_cmp_u_f32_e32 vcc, v0, v0
	v_cndmask_b32_e32 v0, v14, v21, vcc
	v_lshrrev_b32_e32 v59, 16, v0
	;; [unrolled: 7-line block ×8, first 2 shown]
	s_and_saveexec_b64 s[26:27], s[6:7]
	s_cbranch_execz .LBB318_1460
; %bb.1459:                             ;   in Loop: Header=BB318_809 Depth=1
	buffer_load_dword v0, off, s[0:3], s32 offset:64 ; 4-byte Folded Reload
	s_waitcnt vmcnt(0)
	v_cmp_lt_i32_e32 vcc, v36, v0
	v_cndmask_b32_e32 v12, 0, v12, vcc
	v_cmp_lt_i32_e32 vcc, v23, v0
	v_cndmask_b32_e32 v13, 0, v13, vcc
	;; [unrolled: 2-line block ×8, first 2 shown]
.LBB318_1460:                           ;   in Loop: Header=BB318_809 Depth=1
	s_or_b64 exec, exec, s[26:27]
	v_add_co_u32_e32 v16, vcc, 0x1000, v24
	v_addc_co_u32_e32 v17, vcc, 0, v25, vcc
	flat_load_dwordx2 v[26:27], v[16:17] offset:2560
	v_mov_b32_e32 v21, 0
	v_mov_b32_e32 v16, 0
	s_waitcnt vmcnt(0) lgkmcnt(0)
	v_cmp_ne_u16_sdwa s[28:29], v26, v15 src0_sel:BYTE_0 src1_sel:DWORD
	s_and_saveexec_b64 s[26:27], s[28:29]
	s_cbranch_execz .LBB318_1466
; %bb.1461:                             ;   in Loop: Header=BB318_809 Depth=1
	v_cmp_ne_u16_sdwa s[40:41], v26, s42 src0_sel:BYTE_0 src1_sel:DWORD
	v_bfrev_b32_e32 v16, 1
	s_and_saveexec_b64 s[28:29], s[40:41]
	s_cbranch_execz .LBB318_1465
; %bb.1462:                             ;   in Loop: Header=BB318_809 Depth=1
	v_and_b32_e32 v0, 0x7f, v26
	v_cmp_ne_u32_e32 vcc, s43, v0
	v_mov_b32_e32 v16, 0x7f800001
	s_and_saveexec_b64 s[40:41], vcc
	s_cbranch_execz .LBB318_1464
; %bb.1463:                             ;   in Loop: Header=BB318_809 Depth=1
	v_and_b32_e32 v14, 7, v26
	v_lshrrev_b32_e32 v16, 3, v0
	v_cmp_gt_u32_e32 vcc, 8, v0
	v_ffbh_u32_e32 v0, v14
	v_min_u32_e32 v0, 32, v0
	v_subrev_u32_e32 v14, 28, v0
	v_sub_u32_e32 v0, 29, v0
	v_cndmask_b32_e32 v14, 0, v14, vcc
	v_cndmask_b32_e32 v0, v16, v0, vcc
	v_lshlrev_b64 v[16:17], v14, v[26:27]
	v_bfrev_b32_e32 v17, 60
	v_lshlrev_b32_e32 v14, 20, v16
	v_lshlrev_b32_e32 v16, 24, v26
	v_and_b32_e32 v14, 0x700000, v14
	v_and_b32_e32 v16, 0x80000000, v16
	v_lshl_add_u32 v0, v0, 23, v17
	v_or3_b32 v16, v16, v0, v14
.LBB318_1464:                           ;   in Loop: Header=BB318_809 Depth=1
	s_or_b64 exec, exec, s[40:41]
.LBB318_1465:                           ;   in Loop: Header=BB318_809 Depth=1
	s_or_b64 exec, exec, s[28:29]
.LBB318_1466:                           ;   in Loop: Header=BB318_809 Depth=1
	s_or_b64 exec, exec, s[26:27]
	v_lshrrev_b16_e32 v14, 8, v26
	v_cmp_ne_u16_e32 vcc, 0, v14
	s_and_saveexec_b64 s[26:27], vcc
	s_cbranch_execz .LBB318_1472
; %bb.1467:                             ;   in Loop: Header=BB318_809 Depth=1
	v_cmp_ne_u16_e32 vcc, s42, v14
	v_bfrev_b32_e32 v21, 1
	s_and_saveexec_b64 s[28:29], vcc
	s_cbranch_execz .LBB318_1471
; %bb.1468:                             ;   in Loop: Header=BB318_809 Depth=1
	v_and_b32_e32 v0, 0x7f, v14
	v_cmp_ne_u32_e32 vcc, s43, v0
	v_mov_b32_e32 v21, 0x7f800001
	s_and_saveexec_b64 s[40:41], vcc
	s_cbranch_execz .LBB318_1470
; %bb.1469:                             ;   in Loop: Header=BB318_809 Depth=1
	v_and_b32_e32 v17, 7, v14
	v_lshrrev_b32_e32 v21, 3, v0
	v_cmp_gt_u32_e32 vcc, 8, v0
	v_ffbh_u32_e32 v0, v17
	v_min_u32_e32 v0, 32, v0
	v_subrev_u32_e32 v28, 28, v0
	v_lshlrev_b64 v[30:31], v28, v[14:15]
	v_sub_u32_e32 v0, 29, v0
	v_and_b32_e32 v14, 7, v30
	v_cndmask_b32_e32 v0, v21, v0, vcc
	v_cndmask_b32_e32 v14, v17, v14, vcc
	v_lshlrev_b32_e32 v17, 16, v26
	v_bfrev_b32_e32 v21, 60
	v_lshlrev_b32_e32 v14, 20, v14
	v_and_b32_e32 v17, 0x80000000, v17
	v_lshl_add_u32 v0, v0, 23, v21
	v_or3_b32 v21, v17, v0, v14
.LBB318_1470:                           ;   in Loop: Header=BB318_809 Depth=1
	s_or_b64 exec, exec, s[40:41]
.LBB318_1471:                           ;   in Loop: Header=BB318_809 Depth=1
	s_or_b64 exec, exec, s[28:29]
.LBB318_1472:                           ;   in Loop: Header=BB318_809 Depth=1
	s_or_b64 exec, exec, s[26:27]
	v_lshrrev_b32_e32 v14, 16, v26
	v_cmp_ne_u16_sdwa s[28:29], v14, v15 src0_sel:BYTE_0 src1_sel:DWORD
	v_mov_b32_e32 v30, 0
	v_mov_b32_e32 v28, 0
	s_and_saveexec_b64 s[26:27], s[28:29]
	s_cbranch_execz .LBB318_1478
; %bb.1473:                             ;   in Loop: Header=BB318_809 Depth=1
	v_cmp_ne_u16_sdwa s[40:41], v14, s42 src0_sel:BYTE_0 src1_sel:DWORD
	v_bfrev_b32_e32 v28, 1
	s_and_saveexec_b64 s[28:29], s[40:41]
	s_cbranch_execz .LBB318_1477
; %bb.1474:                             ;   in Loop: Header=BB318_809 Depth=1
	v_bfe_u32 v0, v26, 16, 7
	v_cmp_ne_u32_e32 vcc, s43, v0
	v_mov_b32_e32 v28, 0x7f800001
	s_and_saveexec_b64 s[40:41], vcc
	s_cbranch_execz .LBB318_1476
; %bb.1475:                             ;   in Loop: Header=BB318_809 Depth=1
	v_and_b32_e32 v17, 7, v14
	v_lshrrev_b32_e32 v28, 3, v0
	v_cmp_gt_u32_e32 vcc, 8, v0
	v_ffbh_u32_e32 v0, v17
	v_min_u32_e32 v0, 32, v0
	v_subrev_u32_e32 v31, 28, v0
	v_lshlrev_b64 v[31:32], v31, v[14:15]
	v_sub_u32_e32 v0, 29, v0
	v_and_b32_e32 v31, 7, v31
	v_cndmask_b32_e32 v0, v28, v0, vcc
	v_cndmask_b32_e32 v17, v17, v31, vcc
	v_lshlrev_b32_e32 v14, 24, v14
	v_bfrev_b32_e32 v28, 60
	v_lshlrev_b32_e32 v17, 20, v17
	v_and_b32_e32 v14, 0x80000000, v14
	v_lshl_add_u32 v0, v0, 23, v28
	v_or3_b32 v28, v14, v0, v17
.LBB318_1476:                           ;   in Loop: Header=BB318_809 Depth=1
	s_or_b64 exec, exec, s[40:41]
.LBB318_1477:                           ;   in Loop: Header=BB318_809 Depth=1
	s_or_b64 exec, exec, s[28:29]
.LBB318_1478:                           ;   in Loop: Header=BB318_809 Depth=1
	s_or_b64 exec, exec, s[26:27]
	v_cmp_lt_u32_e32 vcc, s11, v26
	s_and_saveexec_b64 s[26:27], vcc
	s_cbranch_execz .LBB318_1484
; %bb.1479:                             ;   in Loop: Header=BB318_809 Depth=1
	v_lshrrev_b32_e32 v14, 24, v26
	v_cmp_ne_u32_e32 vcc, s42, v14
	v_bfrev_b32_e32 v30, 1
	s_and_saveexec_b64 s[28:29], vcc
	s_cbranch_execz .LBB318_1483
; %bb.1480:                             ;   in Loop: Header=BB318_809 Depth=1
	v_bfe_u32 v0, v26, 24, 7
	v_cmp_ne_u32_e32 vcc, s43, v0
	v_mov_b32_e32 v30, 0x7f800001
	s_and_saveexec_b64 s[40:41], vcc
	s_cbranch_execz .LBB318_1482
; %bb.1481:                             ;   in Loop: Header=BB318_809 Depth=1
	v_and_b32_e32 v17, 7, v14
	v_lshrrev_b32_e32 v32, 3, v0
	v_cmp_gt_u32_e32 vcc, 8, v0
	v_ffbh_u32_e32 v0, v17
	v_min_u32_e32 v0, 32, v0
	v_subrev_u32_e32 v30, 28, v0
	v_lshlrev_b64 v[30:31], v30, v[14:15]
	v_sub_u32_e32 v0, 29, v0
	v_and_b32_e32 v30, 7, v30
	v_cndmask_b32_e32 v0, v32, v0, vcc
	v_cndmask_b32_e32 v17, v17, v30, vcc
	v_lshlrev_b32_e32 v14, 24, v14
	v_bfrev_b32_e32 v30, 60
	v_lshlrev_b32_e32 v17, 20, v17
	v_and_b32_e32 v14, 0x80000000, v14
	v_lshl_add_u32 v0, v0, 23, v30
	v_or3_b32 v30, v14, v0, v17
.LBB318_1482:                           ;   in Loop: Header=BB318_809 Depth=1
	s_or_b64 exec, exec, s[40:41]
.LBB318_1483:                           ;   in Loop: Header=BB318_809 Depth=1
	s_or_b64 exec, exec, s[28:29]
.LBB318_1484:                           ;   in Loop: Header=BB318_809 Depth=1
	s_or_b64 exec, exec, s[26:27]
	v_mov_b32_e32 v14, v27
	v_cmp_ne_u16_sdwa s[28:29], v27, v15 src0_sel:BYTE_0 src1_sel:DWORD
	v_mov_b32_e32 v32, 0
	v_mov_b32_e32 v31, 0
	s_and_saveexec_b64 s[26:27], s[28:29]
	s_cbranch_execz .LBB318_1490
; %bb.1485:                             ;   in Loop: Header=BB318_809 Depth=1
	v_cmp_ne_u16_sdwa s[40:41], v27, s42 src0_sel:BYTE_0 src1_sel:DWORD
	v_bfrev_b32_e32 v31, 1
	s_and_saveexec_b64 s[28:29], s[40:41]
	s_cbranch_execz .LBB318_1489
; %bb.1486:                             ;   in Loop: Header=BB318_809 Depth=1
	v_and_b32_e32 v0, 0x7f, v27
	v_cmp_ne_u32_e32 vcc, s43, v0
	v_mov_b32_e32 v31, 0x7f800001
	s_and_saveexec_b64 s[40:41], vcc
	s_cbranch_execz .LBB318_1488
; %bb.1487:                             ;   in Loop: Header=BB318_809 Depth=1
	v_and_b32_e32 v17, 7, v27
	v_lshrrev_b32_e32 v31, 3, v0
	v_cmp_gt_u32_e32 vcc, 8, v0
	v_ffbh_u32_e32 v0, v17
	v_min_u32_e32 v0, 32, v0
	v_subrev_u32_e32 v17, 28, v0
	v_cndmask_b32_e32 v17, 0, v17, vcc
	v_lshlrev_b64 v[33:34], v17, v[14:15]
	v_sub_u32_e32 v0, 29, v0
	v_cndmask_b32_e32 v0, v31, v0, vcc
	v_lshlrev_b32_e32 v17, 20, v33
	v_lshlrev_b32_e32 v31, 24, v14
	v_bfrev_b32_e32 v33, 60
	v_and_b32_e32 v17, 0x700000, v17
	v_and_b32_e32 v31, 0x80000000, v31
	v_lshl_add_u32 v0, v0, 23, v33
	v_or3_b32 v31, v31, v0, v17
.LBB318_1488:                           ;   in Loop: Header=BB318_809 Depth=1
	s_or_b64 exec, exec, s[40:41]
.LBB318_1489:                           ;   in Loop: Header=BB318_809 Depth=1
	s_or_b64 exec, exec, s[28:29]
.LBB318_1490:                           ;   in Loop: Header=BB318_809 Depth=1
	s_or_b64 exec, exec, s[26:27]
	v_lshrrev_b16_e32 v17, 8, v14
	v_cmp_ne_u16_e32 vcc, 0, v17
	s_mov_b64 s[26:27], exec
	s_and_b64 s[28:29], s[26:27], vcc
	v_mov_b32_e32 v1, v35
	s_mov_b64 exec, s[28:29]
	s_cbranch_execz .LBB318_1496
; %bb.1491:                             ;   in Loop: Header=BB318_809 Depth=1
	v_cmp_ne_u16_e32 vcc, s42, v17
	v_bfrev_b32_e32 v32, 1
	s_and_saveexec_b64 s[28:29], vcc
	s_cbranch_execz .LBB318_1495
; %bb.1492:                             ;   in Loop: Header=BB318_809 Depth=1
	v_and_b32_e32 v0, 0x7f, v17
	v_cmp_ne_u32_e32 vcc, s43, v0
	v_mov_b32_e32 v32, 0x7f800001
	s_and_saveexec_b64 s[40:41], vcc
	s_cbranch_execz .LBB318_1494
; %bb.1493:                             ;   in Loop: Header=BB318_809 Depth=1
	v_and_b32_e32 v34, 7, v17
	v_lshrrev_b32_e32 v35, 3, v0
	v_cmp_gt_u32_e32 vcc, 8, v0
	v_ffbh_u32_e32 v0, v34
	v_min_u32_e32 v0, 32, v0
	v_subrev_u32_e32 v32, 28, v0
	v_lshlrev_b64 v[32:33], v32, v[17:18]
	v_sub_u32_e32 v0, 29, v0
	v_and_b32_e32 v17, 7, v32
	v_cndmask_b32_e32 v0, v35, v0, vcc
	v_cndmask_b32_e32 v17, v34, v17, vcc
	v_lshlrev_b32_e32 v14, 16, v14
	v_bfrev_b32_e32 v32, 60
	v_lshlrev_b32_e32 v17, 20, v17
	v_and_b32_e32 v14, 0x80000000, v14
	v_lshl_add_u32 v0, v0, 23, v32
	v_mov_b32_e32 v35, v1
	v_or3_b32 v32, v14, v0, v17
.LBB318_1494:                           ;   in Loop: Header=BB318_809 Depth=1
	s_or_b64 exec, exec, s[40:41]
.LBB318_1495:                           ;   in Loop: Header=BB318_809 Depth=1
	s_or_b64 exec, exec, s[28:29]
.LBB318_1496:                           ;   in Loop: Header=BB318_809 Depth=1
	s_or_b64 exec, exec, s[26:27]
	v_lshrrev_b32_e32 v14, 16, v27
	v_cmp_ne_u16_sdwa s[28:29], v14, v15 src0_sel:BYTE_0 src1_sel:DWORD
	v_mov_b32_e32 v17, 0
	v_mov_b32_e32 v33, 0
	s_and_saveexec_b64 s[26:27], s[28:29]
	s_cbranch_execz .LBB318_1502
; %bb.1497:                             ;   in Loop: Header=BB318_809 Depth=1
	v_cmp_ne_u16_sdwa s[40:41], v14, s42 src0_sel:BYTE_0 src1_sel:DWORD
	v_bfrev_b32_e32 v33, 1
	s_and_saveexec_b64 s[28:29], s[40:41]
	s_cbranch_execz .LBB318_1501
; %bb.1498:                             ;   in Loop: Header=BB318_809 Depth=1
	v_bfe_u32 v0, v27, 16, 7
	v_cmp_ne_u32_e32 vcc, s43, v0
	v_mov_b32_e32 v33, 0x7f800001
	s_and_saveexec_b64 s[40:41], vcc
	s_cbranch_execz .LBB318_1500
; %bb.1499:                             ;   in Loop: Header=BB318_809 Depth=1
	v_and_b32_e32 v35, 7, v14
	v_mov_b32_e32 v50, v36
	v_lshrrev_b32_e32 v36, 3, v0
	v_cmp_gt_u32_e32 vcc, 8, v0
	v_ffbh_u32_e32 v0, v35
	v_min_u32_e32 v0, 32, v0
	v_subrev_u32_e32 v33, 28, v0
	v_lshlrev_b64 v[33:34], v33, v[14:15]
	v_sub_u32_e32 v0, 29, v0
	v_and_b32_e32 v33, 7, v33
	v_cndmask_b32_e32 v0, v36, v0, vcc
	v_cndmask_b32_e32 v33, v35, v33, vcc
	v_lshlrev_b32_e32 v14, 24, v14
	v_bfrev_b32_e32 v34, 60
	v_lshlrev_b32_e32 v33, 20, v33
	v_and_b32_e32 v14, 0x80000000, v14
	v_lshl_add_u32 v0, v0, 23, v34
	v_mov_b32_e32 v36, v50
	v_mov_b32_e32 v35, v1
	v_or3_b32 v33, v14, v0, v33
.LBB318_1500:                           ;   in Loop: Header=BB318_809 Depth=1
	s_or_b64 exec, exec, s[40:41]
.LBB318_1501:                           ;   in Loop: Header=BB318_809 Depth=1
	s_or_b64 exec, exec, s[28:29]
.LBB318_1502:                           ;   in Loop: Header=BB318_809 Depth=1
	s_or_b64 exec, exec, s[26:27]
	v_cmp_lt_u64_e32 vcc, s[10:11], v[26:27]
	s_and_saveexec_b64 s[26:27], vcc
	s_cbranch_execz .LBB318_1508
; %bb.1503:                             ;   in Loop: Header=BB318_809 Depth=1
	v_lshrrev_b32_e32 v14, 24, v27
	v_cmp_ne_u32_e32 vcc, s42, v14
	v_bfrev_b32_e32 v17, 1
	s_and_saveexec_b64 s[28:29], vcc
	s_cbranch_execz .LBB318_1507
; %bb.1504:                             ;   in Loop: Header=BB318_809 Depth=1
	v_bfe_u32 v0, v27, 24, 7
	v_cmp_ne_u32_e32 vcc, s43, v0
	v_mov_b32_e32 v17, 0x7f800001
	s_and_saveexec_b64 s[40:41], vcc
	s_cbranch_execz .LBB318_1506
; %bb.1505:                             ;   in Loop: Header=BB318_809 Depth=1
	v_and_b32_e32 v17, 7, v14
	v_lshrrev_b32_e32 v34, 3, v0
	v_cmp_gt_u32_e32 vcc, 8, v0
	v_ffbh_u32_e32 v0, v17
	v_min_u32_e32 v0, 32, v0
	v_subrev_u32_e32 v26, 28, v0
	v_lshlrev_b64 v[26:27], v26, v[14:15]
	v_sub_u32_e32 v0, 29, v0
	v_and_b32_e32 v26, 7, v26
	v_cndmask_b32_e32 v0, v34, v0, vcc
	v_cndmask_b32_e32 v17, v17, v26, vcc
	v_lshlrev_b32_e32 v14, 24, v14
	v_bfrev_b32_e32 v26, 60
	v_lshlrev_b32_e32 v17, 20, v17
	v_and_b32_e32 v14, 0x80000000, v14
	v_lshl_add_u32 v0, v0, 23, v26
	v_or3_b32 v17, v14, v0, v17
.LBB318_1506:                           ;   in Loop: Header=BB318_809 Depth=1
	s_or_b64 exec, exec, s[40:41]
.LBB318_1507:                           ;   in Loop: Header=BB318_809 Depth=1
	s_or_b64 exec, exec, s[28:29]
.LBB318_1508:                           ;   in Loop: Header=BB318_809 Depth=1
	s_or_b64 exec, exec, s[26:27]
	v_mul_f32_e32 v0, v46, v32
	v_bfe_u32 v14, v0, 16, 1
	v_add3_u32 v14, v14, v0, s44
	v_or_b32_e32 v26, 0x400000, v0
	v_cmp_u_f32_e32 vcc, v0, v0
	v_cndmask_b32_e32 v0, v14, v26, vcc
	v_lshrrev_b32_e32 v27, 16, v0
	v_mul_f32_e32 v0, v46, v31
	v_bfe_u32 v14, v0, 16, 1
	v_add3_u32 v14, v14, v0, s44
	v_or_b32_e32 v26, 0x400000, v0
	v_cmp_u_f32_e32 vcc, v0, v0
	v_cndmask_b32_e32 v0, v14, v26, vcc
	v_lshrrev_b32_e32 v26, 16, v0
	v_mul_f32_e32 v0, v46, v30
	v_bfe_u32 v14, v0, 16, 1
	v_add3_u32 v14, v14, v0, s44
	v_or_b32_e32 v30, 0x400000, v0
	v_cmp_u_f32_e32 vcc, v0, v0
	v_cndmask_b32_e32 v0, v14, v30, vcc
	v_lshrrev_b32_e32 v42, 16, v0
	v_mul_f32_e32 v0, v46, v28
	v_bfe_u32 v14, v0, 16, 1
	v_add3_u32 v14, v14, v0, s44
	v_or_b32_e32 v28, 0x400000, v0
	v_cmp_u_f32_e32 vcc, v0, v0
	v_cndmask_b32_e32 v0, v14, v28, vcc
	v_lshrrev_b32_e32 v58, 16, v0
	v_mul_f32_e32 v0, v46, v21
	v_bfe_u32 v14, v0, 16, 1
	v_add3_u32 v14, v14, v0, s44
	v_or_b32_e32 v21, 0x400000, v0
	v_cmp_u_f32_e32 vcc, v0, v0
	v_cndmask_b32_e32 v0, v14, v21, vcc
	v_lshrrev_b32_e32 v28, 16, v0
	v_mul_f32_e32 v0, v46, v16
	v_bfe_u32 v14, v0, 16, 1
	v_add3_u32 v14, v14, v0, s44
	v_or_b32_e32 v16, 0x400000, v0
	v_cmp_u_f32_e32 vcc, v0, v0
	v_cndmask_b32_e32 v0, v14, v16, vcc
	v_lshrrev_b32_e32 v21, 16, v0
	v_mul_f32_e32 v0, v46, v33
	v_bfe_u32 v14, v0, 16, 1
	v_add3_u32 v14, v14, v0, s44
	v_or_b32_e32 v16, 0x400000, v0
	v_cmp_u_f32_e32 vcc, v0, v0
	v_cndmask_b32_e32 v0, v14, v16, vcc
	v_lshrrev_b32_e32 v16, 16, v0
	v_mul_f32_e32 v0, v46, v17
	v_bfe_u32 v14, v0, 16, 1
	v_add3_u32 v14, v14, v0, s44
	v_or_b32_e32 v17, 0x400000, v0
	v_cmp_u_f32_e32 vcc, v0, v0
	v_cndmask_b32_e32 v0, v14, v17, vcc
	v_lshrrev_b32_e32 v56, 16, v0
	s_and_saveexec_b64 s[26:27], s[6:7]
	s_cbranch_execz .LBB318_1510
; %bb.1509:                             ;   in Loop: Header=BB318_809 Depth=1
	buffer_load_dword v0, off, s[0:3], s32 offset:64 ; 4-byte Folded Reload
	s_waitcnt vmcnt(0)
	v_cmp_lt_i32_e32 vcc, v36, v0
	v_cndmask_b32_e32 v21, 0, v21, vcc
	v_cmp_lt_i32_e32 vcc, v23, v0
	v_cndmask_b32_e32 v28, 0, v28, vcc
	;; [unrolled: 2-line block ×8, first 2 shown]
.LBB318_1510:                           ;   in Loop: Header=BB318_809 Depth=1
	s_or_b64 exec, exec, s[26:27]
	v_add_co_u32_e32 v24, vcc, 0x1000, v24
	v_addc_co_u32_e32 v25, vcc, 0, v25, vcc
	flat_load_dwordx2 v[24:25], v[24:25] offset:3072
	v_mov_b32_e32 v31, 0
	v_mov_b32_e32 v30, 0
	s_waitcnt vmcnt(0) lgkmcnt(0)
	v_cmp_ne_u16_sdwa s[28:29], v24, v15 src0_sel:BYTE_0 src1_sel:DWORD
	s_and_saveexec_b64 s[26:27], s[28:29]
	s_cbranch_execz .LBB318_1516
; %bb.1511:                             ;   in Loop: Header=BB318_809 Depth=1
	v_cmp_ne_u16_sdwa s[40:41], v24, s42 src0_sel:BYTE_0 src1_sel:DWORD
	v_bfrev_b32_e32 v30, 1
	s_and_saveexec_b64 s[28:29], s[40:41]
	s_cbranch_execz .LBB318_1515
; %bb.1512:                             ;   in Loop: Header=BB318_809 Depth=1
	v_and_b32_e32 v0, 0x7f, v24
	v_cmp_ne_u32_e32 vcc, s43, v0
	v_mov_b32_e32 v30, 0x7f800001
	s_and_saveexec_b64 s[40:41], vcc
	s_cbranch_execz .LBB318_1514
; %bb.1513:                             ;   in Loop: Header=BB318_809 Depth=1
	v_and_b32_e32 v14, 7, v24
	v_lshrrev_b32_e32 v17, 3, v0
	v_cmp_gt_u32_e32 vcc, 8, v0
	v_ffbh_u32_e32 v0, v14
	v_min_u32_e32 v0, 32, v0
	v_subrev_u32_e32 v14, 28, v0
	v_cndmask_b32_e32 v14, 0, v14, vcc
	v_lshlrev_b64 v[32:33], v14, v[24:25]
	v_sub_u32_e32 v0, 29, v0
	v_cndmask_b32_e32 v0, v17, v0, vcc
	v_lshlrev_b32_e32 v14, 20, v32
	v_lshlrev_b32_e32 v17, 24, v24
	v_bfrev_b32_e32 v30, 60
	v_and_b32_e32 v14, 0x700000, v14
	v_and_b32_e32 v17, 0x80000000, v17
	v_lshl_add_u32 v0, v0, 23, v30
	v_or3_b32 v30, v17, v0, v14
.LBB318_1514:                           ;   in Loop: Header=BB318_809 Depth=1
	s_or_b64 exec, exec, s[40:41]
.LBB318_1515:                           ;   in Loop: Header=BB318_809 Depth=1
	s_or_b64 exec, exec, s[28:29]
.LBB318_1516:                           ;   in Loop: Header=BB318_809 Depth=1
	s_or_b64 exec, exec, s[26:27]
	v_lshrrev_b16_e32 v14, 8, v24
	v_cmp_ne_u16_e32 vcc, 0, v14
	s_and_saveexec_b64 s[26:27], vcc
	s_cbranch_execz .LBB318_1522
; %bb.1517:                             ;   in Loop: Header=BB318_809 Depth=1
	v_cmp_ne_u16_e32 vcc, s42, v14
	v_bfrev_b32_e32 v31, 1
	s_and_saveexec_b64 s[28:29], vcc
	s_cbranch_execz .LBB318_1521
; %bb.1518:                             ;   in Loop: Header=BB318_809 Depth=1
	v_and_b32_e32 v0, 0x7f, v14
	v_cmp_ne_u32_e32 vcc, s43, v0
	v_mov_b32_e32 v31, 0x7f800001
	s_and_saveexec_b64 s[40:41], vcc
	s_cbranch_execz .LBB318_1520
; %bb.1519:                             ;   in Loop: Header=BB318_809 Depth=1
	v_and_b32_e32 v17, 7, v14
	v_lshrrev_b32_e32 v33, 3, v0
	v_cmp_gt_u32_e32 vcc, 8, v0
	v_ffbh_u32_e32 v0, v17
	v_min_u32_e32 v0, 32, v0
	v_subrev_u32_e32 v31, 28, v0
	v_lshlrev_b64 v[31:32], v31, v[14:15]
	v_sub_u32_e32 v0, 29, v0
	v_and_b32_e32 v14, 7, v31
	v_cndmask_b32_e32 v0, v33, v0, vcc
	v_cndmask_b32_e32 v14, v17, v14, vcc
	v_lshlrev_b32_e32 v17, 16, v24
	v_bfrev_b32_e32 v31, 60
	v_lshlrev_b32_e32 v14, 20, v14
	v_and_b32_e32 v17, 0x80000000, v17
	v_lshl_add_u32 v0, v0, 23, v31
	v_or3_b32 v31, v17, v0, v14
.LBB318_1520:                           ;   in Loop: Header=BB318_809 Depth=1
	s_or_b64 exec, exec, s[40:41]
.LBB318_1521:                           ;   in Loop: Header=BB318_809 Depth=1
	s_or_b64 exec, exec, s[28:29]
.LBB318_1522:                           ;   in Loop: Header=BB318_809 Depth=1
	s_or_b64 exec, exec, s[26:27]
	v_lshrrev_b32_e32 v14, 16, v24
	v_cmp_ne_u16_sdwa s[28:29], v14, v15 src0_sel:BYTE_0 src1_sel:DWORD
	v_mov_b32_e32 v50, 0
	v_mov_b32_e32 v33, 0
	s_and_saveexec_b64 s[26:27], s[28:29]
	s_cbranch_execz .LBB318_1528
; %bb.1523:                             ;   in Loop: Header=BB318_809 Depth=1
	v_cmp_ne_u16_sdwa s[40:41], v14, s42 src0_sel:BYTE_0 src1_sel:DWORD
	v_bfrev_b32_e32 v33, 1
	s_and_saveexec_b64 s[28:29], s[40:41]
	s_cbranch_execz .LBB318_1527
; %bb.1524:                             ;   in Loop: Header=BB318_809 Depth=1
	v_bfe_u32 v0, v24, 16, 7
	v_cmp_ne_u32_e32 vcc, s43, v0
	v_mov_b32_e32 v33, 0x7f800001
	s_and_saveexec_b64 s[40:41], vcc
	s_cbranch_execz .LBB318_1526
; %bb.1525:                             ;   in Loop: Header=BB318_809 Depth=1
	v_and_b32_e32 v17, 7, v14
	v_lshrrev_b32_e32 v34, 3, v0
	v_cmp_gt_u32_e32 vcc, 8, v0
	v_ffbh_u32_e32 v0, v17
	v_min_u32_e32 v0, 32, v0
	v_subrev_u32_e32 v32, 28, v0
	v_lshlrev_b64 v[32:33], v32, v[14:15]
	v_sub_u32_e32 v0, 29, v0
	v_and_b32_e32 v32, 7, v32
	v_cndmask_b32_e32 v0, v34, v0, vcc
	v_cndmask_b32_e32 v17, v17, v32, vcc
	v_lshlrev_b32_e32 v14, 24, v14
	v_bfrev_b32_e32 v32, 60
	v_lshlrev_b32_e32 v17, 20, v17
	v_and_b32_e32 v14, 0x80000000, v14
	v_lshl_add_u32 v0, v0, 23, v32
	v_or3_b32 v33, v14, v0, v17
.LBB318_1526:                           ;   in Loop: Header=BB318_809 Depth=1
	s_or_b64 exec, exec, s[40:41]
.LBB318_1527:                           ;   in Loop: Header=BB318_809 Depth=1
	s_or_b64 exec, exec, s[28:29]
.LBB318_1528:                           ;   in Loop: Header=BB318_809 Depth=1
	s_or_b64 exec, exec, s[26:27]
	v_cmp_lt_u32_e32 vcc, s11, v24
	s_and_saveexec_b64 s[26:27], vcc
	s_cbranch_execz .LBB318_1534
; %bb.1529:                             ;   in Loop: Header=BB318_809 Depth=1
	v_lshrrev_b32_e32 v14, 24, v24
	v_cmp_ne_u32_e32 vcc, s42, v14
	v_bfrev_b32_e32 v50, 1
	s_and_saveexec_b64 s[28:29], vcc
	s_cbranch_execz .LBB318_1533
; %bb.1530:                             ;   in Loop: Header=BB318_809 Depth=1
	v_bfe_u32 v0, v24, 24, 7
	v_cmp_ne_u32_e32 vcc, s43, v0
	v_mov_b32_e32 v50, 0x7f800001
	s_and_saveexec_b64 s[40:41], vcc
	s_cbranch_execz .LBB318_1532
; %bb.1531:                             ;   in Loop: Header=BB318_809 Depth=1
	v_and_b32_e32 v17, 7, v14
	v_lshrrev_b32_e32 v32, 3, v0
	v_cmp_gt_u32_e32 vcc, 8, v0
	v_ffbh_u32_e32 v0, v17
	v_min_u32_e32 v0, 32, v0
	v_subrev_u32_e32 v34, 28, v0
	v_lshlrev_b64 v[50:51], v34, v[14:15]
	v_sub_u32_e32 v0, 29, v0
	v_and_b32_e32 v34, 7, v50
	v_cndmask_b32_e32 v0, v32, v0, vcc
	v_cndmask_b32_e32 v17, v17, v34, vcc
	v_lshlrev_b32_e32 v14, 24, v14
	v_bfrev_b32_e32 v32, 60
	v_lshlrev_b32_e32 v17, 20, v17
	v_and_b32_e32 v14, 0x80000000, v14
	v_lshl_add_u32 v0, v0, 23, v32
	v_or3_b32 v50, v14, v0, v17
.LBB318_1532:                           ;   in Loop: Header=BB318_809 Depth=1
	s_or_b64 exec, exec, s[40:41]
.LBB318_1533:                           ;   in Loop: Header=BB318_809 Depth=1
	s_or_b64 exec, exec, s[28:29]
.LBB318_1534:                           ;   in Loop: Header=BB318_809 Depth=1
	s_or_b64 exec, exec, s[26:27]
	v_mov_b32_e32 v14, v25
	v_cmp_ne_u16_sdwa s[28:29], v25, v15 src0_sel:BYTE_0 src1_sel:DWORD
	v_mov_b32_e32 v32, 0
	v_mov_b32_e32 v51, 0
	s_and_saveexec_b64 s[26:27], s[28:29]
	s_cbranch_execz .LBB318_1540
; %bb.1535:                             ;   in Loop: Header=BB318_809 Depth=1
	v_cmp_ne_u16_sdwa s[40:41], v25, s42 src0_sel:BYTE_0 src1_sel:DWORD
	v_bfrev_b32_e32 v51, 1
	s_and_saveexec_b64 s[28:29], s[40:41]
	s_cbranch_execz .LBB318_1539
; %bb.1536:                             ;   in Loop: Header=BB318_809 Depth=1
	v_and_b32_e32 v0, 0x7f, v25
	v_cmp_ne_u32_e32 vcc, s43, v0
	v_mov_b32_e32 v51, 0x7f800001
	s_and_saveexec_b64 s[40:41], vcc
	s_cbranch_execz .LBB318_1538
; %bb.1537:                             ;   in Loop: Header=BB318_809 Depth=1
	v_and_b32_e32 v17, 7, v25
	v_lshrrev_b32_e32 v34, 3, v0
	v_cmp_gt_u32_e32 vcc, 8, v0
	v_ffbh_u32_e32 v0, v17
	v_min_u32_e32 v0, 32, v0
	v_subrev_u32_e32 v17, 28, v0
	v_cndmask_b32_e32 v17, 0, v17, vcc
	v_lshlrev_b64 v[51:52], v17, v[14:15]
	v_sub_u32_e32 v0, 29, v0
	v_cndmask_b32_e32 v0, v34, v0, vcc
	v_lshlrev_b32_e32 v17, 20, v51
	v_lshlrev_b32_e32 v34, 24, v14
	v_bfrev_b32_e32 v35, 60
	v_and_b32_e32 v17, 0x700000, v17
	v_and_b32_e32 v34, 0x80000000, v34
	v_lshl_add_u32 v0, v0, 23, v35
	v_mov_b32_e32 v35, v1
	v_or3_b32 v51, v34, v0, v17
.LBB318_1538:                           ;   in Loop: Header=BB318_809 Depth=1
	s_or_b64 exec, exec, s[40:41]
.LBB318_1539:                           ;   in Loop: Header=BB318_809 Depth=1
	s_or_b64 exec, exec, s[28:29]
.LBB318_1540:                           ;   in Loop: Header=BB318_809 Depth=1
	s_or_b64 exec, exec, s[26:27]
	v_lshrrev_b16_e32 v17, 8, v14
	v_cmp_ne_u16_e32 vcc, 0, v17
	s_and_saveexec_b64 s[26:27], vcc
	s_cbranch_execz .LBB318_1546
; %bb.1541:                             ;   in Loop: Header=BB318_809 Depth=1
	v_cmp_ne_u16_e32 vcc, s42, v17
	v_bfrev_b32_e32 v32, 1
	s_and_saveexec_b64 s[28:29], vcc
	s_cbranch_execz .LBB318_1545
; %bb.1542:                             ;   in Loop: Header=BB318_809 Depth=1
	v_and_b32_e32 v0, 0x7f, v17
	v_cmp_ne_u32_e32 vcc, s43, v0
	v_mov_b32_e32 v32, 0x7f800001
	s_and_saveexec_b64 s[40:41], vcc
	s_cbranch_execz .LBB318_1544
; %bb.1543:                             ;   in Loop: Header=BB318_809 Depth=1
	v_and_b32_e32 v32, 7, v17
	v_lshrrev_b32_e32 v34, 3, v0
	v_cmp_gt_u32_e32 vcc, 8, v0
	v_ffbh_u32_e32 v0, v32
	v_min_u32_e32 v0, 32, v0
	v_subrev_u32_e32 v35, 28, v0
	v_lshlrev_b64 v[52:53], v35, v[17:18]
	v_sub_u32_e32 v0, 29, v0
	v_and_b32_e32 v17, 7, v52
	v_cndmask_b32_e32 v0, v34, v0, vcc
	v_cndmask_b32_e32 v17, v32, v17, vcc
	v_lshlrev_b32_e32 v14, 16, v14
	v_bfrev_b32_e32 v32, 60
	v_lshlrev_b32_e32 v17, 20, v17
	v_and_b32_e32 v14, 0x80000000, v14
	v_lshl_add_u32 v0, v0, 23, v32
	v_mov_b32_e32 v35, v1
	v_or3_b32 v32, v14, v0, v17
.LBB318_1544:                           ;   in Loop: Header=BB318_809 Depth=1
	s_or_b64 exec, exec, s[40:41]
.LBB318_1545:                           ;   in Loop: Header=BB318_809 Depth=1
	s_or_b64 exec, exec, s[28:29]
.LBB318_1546:                           ;   in Loop: Header=BB318_809 Depth=1
	s_or_b64 exec, exec, s[26:27]
	v_lshrrev_b32_e32 v14, 16, v25
	v_cmp_ne_u16_sdwa s[28:29], v14, v15 src0_sel:BYTE_0 src1_sel:DWORD
	v_mov_b32_e32 v17, 0
	v_mov_b32_e32 v34, 0
	s_and_saveexec_b64 s[26:27], s[28:29]
	s_cbranch_execz .LBB318_1552
; %bb.1547:                             ;   in Loop: Header=BB318_809 Depth=1
	v_cmp_ne_u16_sdwa s[40:41], v14, s42 src0_sel:BYTE_0 src1_sel:DWORD
	v_bfrev_b32_e32 v34, 1
	s_and_saveexec_b64 s[28:29], s[40:41]
	s_cbranch_execz .LBB318_1551
; %bb.1548:                             ;   in Loop: Header=BB318_809 Depth=1
	v_bfe_u32 v0, v25, 16, 7
	v_cmp_ne_u32_e32 vcc, s43, v0
	v_mov_b32_e32 v34, 0x7f800001
	s_and_saveexec_b64 s[40:41], vcc
	s_cbranch_execz .LBB318_1550
; %bb.1549:                             ;   in Loop: Header=BB318_809 Depth=1
	v_and_b32_e32 v34, 7, v14
	v_lshrrev_b32_e32 v35, 3, v0
	v_cmp_gt_u32_e32 vcc, 8, v0
	v_ffbh_u32_e32 v0, v34
	v_min_u32_e32 v0, 32, v0
	v_mov_b32_e32 v54, v36
	v_subrev_u32_e32 v36, 28, v0
	v_lshlrev_b64 v[52:53], v36, v[14:15]
	v_sub_u32_e32 v0, 29, v0
	v_and_b32_e32 v36, 7, v52
	v_cndmask_b32_e32 v0, v35, v0, vcc
	v_cndmask_b32_e32 v34, v34, v36, vcc
	v_lshlrev_b32_e32 v14, 24, v14
	v_bfrev_b32_e32 v35, 60
	v_lshlrev_b32_e32 v34, 20, v34
	v_and_b32_e32 v14, 0x80000000, v14
	v_lshl_add_u32 v0, v0, 23, v35
	v_mov_b32_e32 v36, v54
	v_mov_b32_e32 v35, v1
	v_or3_b32 v34, v14, v0, v34
.LBB318_1550:                           ;   in Loop: Header=BB318_809 Depth=1
	s_or_b64 exec, exec, s[40:41]
.LBB318_1551:                           ;   in Loop: Header=BB318_809 Depth=1
	s_or_b64 exec, exec, s[28:29]
.LBB318_1552:                           ;   in Loop: Header=BB318_809 Depth=1
	s_or_b64 exec, exec, s[26:27]
	v_cmp_lt_u64_e32 vcc, s[10:11], v[24:25]
	s_and_saveexec_b64 s[26:27], vcc
	s_cbranch_execz .LBB318_1558
; %bb.1553:                             ;   in Loop: Header=BB318_809 Depth=1
	v_lshrrev_b32_e32 v14, 24, v25
	v_cmp_ne_u32_e32 vcc, s42, v14
	v_bfrev_b32_e32 v17, 1
	s_and_saveexec_b64 s[28:29], vcc
	s_cbranch_execz .LBB318_1557
; %bb.1554:                             ;   in Loop: Header=BB318_809 Depth=1
	v_bfe_u32 v0, v25, 24, 7
	v_cmp_ne_u32_e32 vcc, s43, v0
	v_mov_b32_e32 v17, 0x7f800001
	s_and_saveexec_b64 s[40:41], vcc
	s_cbranch_execz .LBB318_1556
; %bb.1555:                             ;   in Loop: Header=BB318_809 Depth=1
	v_and_b32_e32 v17, 7, v14
	v_lshrrev_b32_e32 v35, 3, v0
	v_cmp_gt_u32_e32 vcc, 8, v0
	v_ffbh_u32_e32 v0, v17
	v_min_u32_e32 v0, 32, v0
	v_subrev_u32_e32 v24, 28, v0
	v_lshlrev_b64 v[24:25], v24, v[14:15]
	v_sub_u32_e32 v0, 29, v0
	v_and_b32_e32 v24, 7, v24
	v_cndmask_b32_e32 v0, v35, v0, vcc
	v_cndmask_b32_e32 v17, v17, v24, vcc
	v_lshlrev_b32_e32 v14, 24, v14
	v_bfrev_b32_e32 v24, 60
	v_lshlrev_b32_e32 v17, 20, v17
	v_and_b32_e32 v14, 0x80000000, v14
	v_lshl_add_u32 v0, v0, 23, v24
	v_mov_b32_e32 v35, v1
	v_or3_b32 v17, v14, v0, v17
.LBB318_1556:                           ;   in Loop: Header=BB318_809 Depth=1
	s_or_b64 exec, exec, s[40:41]
.LBB318_1557:                           ;   in Loop: Header=BB318_809 Depth=1
	s_or_b64 exec, exec, s[28:29]
.LBB318_1558:                           ;   in Loop: Header=BB318_809 Depth=1
	s_or_b64 exec, exec, s[26:27]
	v_mul_f32_e32 v0, v46, v32
	v_bfe_u32 v14, v0, 16, 1
	v_add3_u32 v14, v14, v0, s44
	v_or_b32_e32 v24, 0x400000, v0
	v_cmp_u_f32_e32 vcc, v0, v0
	v_cndmask_b32_e32 v0, v14, v24, vcc
	v_lshrrev_b32_e32 v32, 16, v0
	v_mul_f32_e32 v0, v46, v51
	v_bfe_u32 v14, v0, 16, 1
	v_add3_u32 v14, v14, v0, s44
	v_or_b32_e32 v24, 0x400000, v0
	v_cmp_u_f32_e32 vcc, v0, v0
	v_cndmask_b32_e32 v0, v14, v24, vcc
	v_lshrrev_b32_e32 v60, 16, v0
	;; [unrolled: 7-line block ×8, first 2 shown]
	s_and_saveexec_b64 s[26:27], s[6:7]
	s_cbranch_execz .LBB318_1560
; %bb.1559:                             ;   in Loop: Header=BB318_809 Depth=1
	buffer_load_dword v0, off, s[0:3], s32 offset:64 ; 4-byte Folded Reload
	s_waitcnt vmcnt(0)
	v_cmp_lt_i32_e32 vcc, v36, v0
	v_cndmask_b32_e32 v53, 0, v53, vcc
	v_cmp_lt_i32_e32 vcc, v23, v0
	v_cndmask_b32_e32 v61, 0, v61, vcc
	;; [unrolled: 2-line block ×8, first 2 shown]
.LBB318_1560:                           ;   in Loop: Header=BB318_809 Depth=1
	s_or_b64 exec, exec, s[26:27]
	buffer_load_dword v0, off, s[0:3], s32 offset:648 ; 4-byte Folded Reload
	v_mov_b32_e32 v30, 0
	v_mov_b32_e32 v24, 0
	s_waitcnt vmcnt(0)
	v_add_co_u32_e32 v19, vcc, v19, v0
	v_addc_co_u32_e32 v20, vcc, 0, v20, vcc
	flat_load_dwordx2 v[19:20], v[19:20]
	s_waitcnt vmcnt(0) lgkmcnt(0)
	v_cmp_ne_u16_sdwa s[28:29], v19, v15 src0_sel:BYTE_0 src1_sel:DWORD
	s_and_saveexec_b64 s[26:27], s[28:29]
	s_cbranch_execz .LBB318_1566
; %bb.1561:                             ;   in Loop: Header=BB318_809 Depth=1
	v_cmp_ne_u16_sdwa s[40:41], v19, s42 src0_sel:BYTE_0 src1_sel:DWORD
	v_bfrev_b32_e32 v24, 1
	s_and_saveexec_b64 s[28:29], s[40:41]
	s_cbranch_execz .LBB318_1565
; %bb.1562:                             ;   in Loop: Header=BB318_809 Depth=1
	v_and_b32_e32 v0, 0x7f, v19
	v_cmp_ne_u32_e32 vcc, s43, v0
	v_mov_b32_e32 v24, 0x7f800001
	s_and_saveexec_b64 s[40:41], vcc
	s_cbranch_execz .LBB318_1564
; %bb.1563:                             ;   in Loop: Header=BB318_809 Depth=1
	v_and_b32_e32 v14, 7, v19
	v_lshrrev_b32_e32 v17, 3, v0
	v_cmp_gt_u32_e32 vcc, 8, v0
	v_ffbh_u32_e32 v0, v14
	v_min_u32_e32 v0, 32, v0
	v_subrev_u32_e32 v14, 28, v0
	v_cndmask_b32_e32 v14, 0, v14, vcc
	v_lshlrev_b64 v[24:25], v14, v[19:20]
	v_sub_u32_e32 v0, 29, v0
	v_cndmask_b32_e32 v0, v17, v0, vcc
	v_lshlrev_b32_e32 v14, 20, v24
	v_lshlrev_b32_e32 v17, 24, v19
	v_bfrev_b32_e32 v24, 60
	v_and_b32_e32 v14, 0x700000, v14
	v_and_b32_e32 v17, 0x80000000, v17
	v_lshl_add_u32 v0, v0, 23, v24
	v_or3_b32 v24, v17, v0, v14
.LBB318_1564:                           ;   in Loop: Header=BB318_809 Depth=1
	s_or_b64 exec, exec, s[40:41]
.LBB318_1565:                           ;   in Loop: Header=BB318_809 Depth=1
	s_or_b64 exec, exec, s[28:29]
.LBB318_1566:                           ;   in Loop: Header=BB318_809 Depth=1
	s_or_b64 exec, exec, s[26:27]
	v_lshrrev_b16_e32 v14, 8, v19
	v_cmp_ne_u16_e32 vcc, 0, v14
	s_and_saveexec_b64 s[26:27], vcc
	s_cbranch_execz .LBB318_1572
; %bb.1567:                             ;   in Loop: Header=BB318_809 Depth=1
	v_cmp_ne_u16_e32 vcc, s42, v14
	v_bfrev_b32_e32 v30, 1
	s_and_saveexec_b64 s[28:29], vcc
	s_cbranch_execz .LBB318_1571
; %bb.1568:                             ;   in Loop: Header=BB318_809 Depth=1
	v_and_b32_e32 v0, 0x7f, v14
	v_cmp_ne_u32_e32 vcc, s43, v0
	v_mov_b32_e32 v30, 0x7f800001
	s_and_saveexec_b64 s[40:41], vcc
	s_cbranch_execz .LBB318_1570
; %bb.1569:                             ;   in Loop: Header=BB318_809 Depth=1
	v_and_b32_e32 v17, 7, v14
	v_lshrrev_b32_e32 v25, 3, v0
	v_cmp_gt_u32_e32 vcc, 8, v0
	v_ffbh_u32_e32 v0, v17
	v_min_u32_e32 v0, 32, v0
	v_subrev_u32_e32 v30, 28, v0
	v_lshlrev_b64 v[30:31], v30, v[14:15]
	v_sub_u32_e32 v0, 29, v0
	v_and_b32_e32 v14, 7, v30
	v_cndmask_b32_e32 v0, v25, v0, vcc
	v_cndmask_b32_e32 v14, v17, v14, vcc
	v_lshlrev_b32_e32 v17, 16, v19
	v_bfrev_b32_e32 v25, 60
	v_lshlrev_b32_e32 v14, 20, v14
	v_and_b32_e32 v17, 0x80000000, v17
	v_lshl_add_u32 v0, v0, 23, v25
	v_or3_b32 v30, v17, v0, v14
.LBB318_1570:                           ;   in Loop: Header=BB318_809 Depth=1
	s_or_b64 exec, exec, s[40:41]
.LBB318_1571:                           ;   in Loop: Header=BB318_809 Depth=1
	s_or_b64 exec, exec, s[28:29]
.LBB318_1572:                           ;   in Loop: Header=BB318_809 Depth=1
	s_or_b64 exec, exec, s[26:27]
	v_lshrrev_b32_e32 v14, 16, v19
	v_cmp_ne_u16_sdwa s[28:29], v14, v15 src0_sel:BYTE_0 src1_sel:DWORD
	v_mov_b32_e32 v31, 0
	v_mov_b32_e32 v25, 0
	s_and_saveexec_b64 s[26:27], s[28:29]
	s_cbranch_execz .LBB318_1578
; %bb.1573:                             ;   in Loop: Header=BB318_809 Depth=1
	v_cmp_ne_u16_sdwa s[40:41], v14, s42 src0_sel:BYTE_0 src1_sel:DWORD
	v_bfrev_b32_e32 v25, 1
	s_and_saveexec_b64 s[28:29], s[40:41]
	s_cbranch_execz .LBB318_1577
; %bb.1574:                             ;   in Loop: Header=BB318_809 Depth=1
	v_bfe_u32 v0, v19, 16, 7
	v_cmp_ne_u32_e32 vcc, s43, v0
	v_mov_b32_e32 v25, 0x7f800001
	s_and_saveexec_b64 s[40:41], vcc
	s_cbranch_execz .LBB318_1576
; %bb.1575:                             ;   in Loop: Header=BB318_809 Depth=1
	v_and_b32_e32 v17, 7, v14
	v_lshrrev_b32_e32 v25, 3, v0
	v_cmp_gt_u32_e32 vcc, 8, v0
	v_ffbh_u32_e32 v0, v17
	v_min_u32_e32 v0, 32, v0
	v_subrev_u32_e32 v34, 28, v0
	v_lshlrev_b64 v[34:35], v34, v[14:15]
	v_sub_u32_e32 v0, 29, v0
	v_and_b32_e32 v34, 7, v34
	v_cndmask_b32_e32 v0, v25, v0, vcc
	v_cndmask_b32_e32 v17, v17, v34, vcc
	v_lshlrev_b32_e32 v14, 24, v14
	v_bfrev_b32_e32 v25, 60
	v_lshlrev_b32_e32 v17, 20, v17
	v_and_b32_e32 v14, 0x80000000, v14
	v_lshl_add_u32 v0, v0, 23, v25
	v_mov_b32_e32 v35, v1
	v_or3_b32 v25, v14, v0, v17
.LBB318_1576:                           ;   in Loop: Header=BB318_809 Depth=1
	s_or_b64 exec, exec, s[40:41]
.LBB318_1577:                           ;   in Loop: Header=BB318_809 Depth=1
	s_or_b64 exec, exec, s[28:29]
.LBB318_1578:                           ;   in Loop: Header=BB318_809 Depth=1
	s_or_b64 exec, exec, s[26:27]
	v_cmp_lt_u32_e32 vcc, s11, v19
	s_and_saveexec_b64 s[26:27], vcc
	s_cbranch_execz .LBB318_1584
; %bb.1579:                             ;   in Loop: Header=BB318_809 Depth=1
	v_lshrrev_b32_e32 v14, 24, v19
	v_cmp_ne_u32_e32 vcc, s42, v14
	v_bfrev_b32_e32 v31, 1
	s_and_saveexec_b64 s[28:29], vcc
	s_cbranch_execz .LBB318_1583
; %bb.1580:                             ;   in Loop: Header=BB318_809 Depth=1
	v_bfe_u32 v0, v19, 24, 7
	v_cmp_ne_u32_e32 vcc, s43, v0
	v_mov_b32_e32 v31, 0x7f800001
	s_and_saveexec_b64 s[40:41], vcc
	s_cbranch_execz .LBB318_1582
; %bb.1581:                             ;   in Loop: Header=BB318_809 Depth=1
	v_and_b32_e32 v17, 7, v14
	v_lshrrev_b32_e32 v31, 3, v0
	v_cmp_gt_u32_e32 vcc, 8, v0
	v_ffbh_u32_e32 v0, v17
	v_min_u32_e32 v0, 32, v0
	v_subrev_u32_e32 v34, 28, v0
	v_lshlrev_b64 v[34:35], v34, v[14:15]
	v_sub_u32_e32 v0, 29, v0
	v_and_b32_e32 v34, 7, v34
	v_cndmask_b32_e32 v0, v31, v0, vcc
	v_cndmask_b32_e32 v17, v17, v34, vcc
	v_lshlrev_b32_e32 v14, 24, v14
	v_bfrev_b32_e32 v31, 60
	v_lshlrev_b32_e32 v17, 20, v17
	v_and_b32_e32 v14, 0x80000000, v14
	v_lshl_add_u32 v0, v0, 23, v31
	v_mov_b32_e32 v35, v1
	v_or3_b32 v31, v14, v0, v17
.LBB318_1582:                           ;   in Loop: Header=BB318_809 Depth=1
	s_or_b64 exec, exec, s[40:41]
.LBB318_1583:                           ;   in Loop: Header=BB318_809 Depth=1
	s_or_b64 exec, exec, s[28:29]
.LBB318_1584:                           ;   in Loop: Header=BB318_809 Depth=1
	s_or_b64 exec, exec, s[26:27]
	v_mov_b32_e32 v14, v20
	v_cmp_ne_u16_sdwa s[28:29], v20, v15 src0_sel:BYTE_0 src1_sel:DWORD
	v_mov_b32_e32 v34, 0
	v_mov_b32_e32 v62, 0
	s_and_saveexec_b64 s[26:27], s[28:29]
	s_cbranch_execz .LBB318_1590
; %bb.1585:                             ;   in Loop: Header=BB318_809 Depth=1
	v_cmp_ne_u16_sdwa s[40:41], v20, s42 src0_sel:BYTE_0 src1_sel:DWORD
	v_bfrev_b32_e32 v62, 1
	s_and_saveexec_b64 s[28:29], s[40:41]
	s_cbranch_execz .LBB318_1589
; %bb.1586:                             ;   in Loop: Header=BB318_809 Depth=1
	v_and_b32_e32 v0, 0x7f, v20
	v_cmp_ne_u32_e32 vcc, s43, v0
	v_mov_b32_e32 v62, 0x7f800001
	s_and_saveexec_b64 s[40:41], vcc
	s_cbranch_execz .LBB318_1588
; %bb.1587:                             ;   in Loop: Header=BB318_809 Depth=1
	v_and_b32_e32 v17, 7, v20
	v_lshrrev_b32_e32 v35, 3, v0
	v_cmp_gt_u32_e32 vcc, 8, v0
	v_ffbh_u32_e32 v0, v17
	v_min_u32_e32 v0, 32, v0
	v_subrev_u32_e32 v17, 28, v0
	v_sub_u32_e32 v0, 29, v0
	v_cndmask_b32_e32 v17, 0, v17, vcc
	v_cndmask_b32_e32 v0, v35, v0, vcc
	v_mov_b32_e32 v54, v36
	v_lshlrev_b64 v[35:36], v17, v[14:15]
	v_bfrev_b32_e32 v36, 60
	v_lshlrev_b32_e32 v17, 20, v35
	v_lshlrev_b32_e32 v35, 24, v14
	v_and_b32_e32 v17, 0x700000, v17
	v_and_b32_e32 v35, 0x80000000, v35
	v_lshl_add_u32 v0, v0, 23, v36
	v_mov_b32_e32 v36, v54
	v_or3_b32 v62, v35, v0, v17
	v_mov_b32_e32 v35, v1
.LBB318_1588:                           ;   in Loop: Header=BB318_809 Depth=1
	s_or_b64 exec, exec, s[40:41]
.LBB318_1589:                           ;   in Loop: Header=BB318_809 Depth=1
	s_or_b64 exec, exec, s[28:29]
.LBB318_1590:                           ;   in Loop: Header=BB318_809 Depth=1
	s_or_b64 exec, exec, s[26:27]
	v_lshrrev_b16_e32 v17, 8, v14
	v_cmp_ne_u16_e32 vcc, 0, v17
	s_and_saveexec_b64 s[26:27], vcc
	s_cbranch_execz .LBB318_1596
; %bb.1591:                             ;   in Loop: Header=BB318_809 Depth=1
	v_cmp_ne_u16_e32 vcc, s42, v17
	v_bfrev_b32_e32 v34, 1
	s_and_saveexec_b64 s[28:29], vcc
	s_cbranch_execz .LBB318_1595
; %bb.1592:                             ;   in Loop: Header=BB318_809 Depth=1
	v_and_b32_e32 v0, 0x7f, v17
	v_cmp_ne_u32_e32 vcc, s43, v0
	v_mov_b32_e32 v34, 0x7f800001
	s_and_saveexec_b64 s[40:41], vcc
	s_cbranch_execz .LBB318_1594
; %bb.1593:                             ;   in Loop: Header=BB318_809 Depth=1
	v_mov_b32_e32 v45, v36
	v_and_b32_e32 v36, 7, v17
	v_lshrrev_b32_e32 v54, 3, v0
	v_cmp_gt_u32_e32 vcc, 8, v0
	v_ffbh_u32_e32 v0, v36
	v_min_u32_e32 v0, 32, v0
	v_subrev_u32_e32 v34, 28, v0
	v_lshlrev_b64 v[34:35], v34, v[17:18]
	v_sub_u32_e32 v0, 29, v0
	v_and_b32_e32 v17, 7, v34
	v_cndmask_b32_e32 v0, v54, v0, vcc
	v_cndmask_b32_e32 v17, v36, v17, vcc
	v_lshlrev_b32_e32 v14, 16, v14
	v_bfrev_b32_e32 v34, 60
	v_lshlrev_b32_e32 v17, 20, v17
	v_and_b32_e32 v14, 0x80000000, v14
	v_lshl_add_u32 v0, v0, 23, v34
	v_mov_b32_e32 v35, v1
	v_mov_b32_e32 v36, v45
	v_or3_b32 v34, v14, v0, v17
.LBB318_1594:                           ;   in Loop: Header=BB318_809 Depth=1
	s_or_b64 exec, exec, s[40:41]
.LBB318_1595:                           ;   in Loop: Header=BB318_809 Depth=1
	s_or_b64 exec, exec, s[28:29]
.LBB318_1596:                           ;   in Loop: Header=BB318_809 Depth=1
	s_or_b64 exec, exec, s[26:27]
	v_lshrrev_b32_e32 v14, 16, v20
	v_cmp_ne_u16_sdwa s[28:29], v14, v15 src0_sel:BYTE_0 src1_sel:DWORD
	v_mov_b32_e32 v54, 0
	v_mov_b32_e32 v0, 0
	s_and_saveexec_b64 s[26:27], s[28:29]
	s_cbranch_execz .LBB318_1602
; %bb.1597:                             ;   in Loop: Header=BB318_809 Depth=1
	v_cmp_ne_u16_sdwa s[40:41], v14, s42 src0_sel:BYTE_0 src1_sel:DWORD
	v_bfrev_b32_e32 v0, 1
	s_and_saveexec_b64 s[28:29], s[40:41]
	s_cbranch_execz .LBB318_1601
; %bb.1598:                             ;   in Loop: Header=BB318_809 Depth=1
	v_bfe_u32 v17, v20, 16, 7
	v_cmp_ne_u32_e32 vcc, s43, v17
	v_mov_b32_e32 v0, 0x7f800001
	s_and_saveexec_b64 s[40:41], vcc
	s_cbranch_execz .LBB318_1600
; %bb.1599:                             ;   in Loop: Header=BB318_809 Depth=1
	v_and_b32_e32 v0, 7, v14
	v_mov_b32_e32 v45, v44
	v_lshrrev_b32_e32 v44, 3, v17
	v_cmp_gt_u32_e32 vcc, 8, v17
	v_ffbh_u32_e32 v17, v0
	v_min_u32_e32 v17, 32, v17
	v_subrev_u32_e32 v35, 28, v17
	v_mov_b32_e32 v29, v63
	v_lshlrev_b64 v[22:23], v35, v[14:15]
	buffer_load_dword v23, off, s[0:3], s32 offset:628 ; 4-byte Folded Reload
	v_mov_b32_e32 v63, v29
	buffer_load_dword v29, off, s[0:3], s32 offset:624 ; 4-byte Folded Reload
	v_sub_u32_e32 v17, 29, v17
	v_and_b32_e32 v35, 7, v22
	v_cndmask_b32_e32 v17, v44, v17, vcc
	v_cndmask_b32_e32 v0, v0, v35, vcc
	v_lshlrev_b32_e32 v14, 24, v14
	v_bfrev_b32_e32 v35, 60
	v_lshlrev_b32_e32 v0, 20, v0
	v_and_b32_e32 v14, 0x80000000, v14
	v_lshl_add_u32 v17, v17, 23, v35
	v_mov_b32_e32 v44, v45
	v_mov_b32_e32 v35, v1
	v_or3_b32 v0, v14, v17, v0
.LBB318_1600:                           ;   in Loop: Header=BB318_809 Depth=1
	s_or_b64 exec, exec, s[40:41]
.LBB318_1601:                           ;   in Loop: Header=BB318_809 Depth=1
	s_or_b64 exec, exec, s[28:29]
.LBB318_1602:                           ;   in Loop: Header=BB318_809 Depth=1
	s_or_b64 exec, exec, s[26:27]
	v_cmp_lt_u64_e32 vcc, s[10:11], v[19:20]
	s_and_saveexec_b64 s[26:27], vcc
	s_cbranch_execz .LBB318_1608
; %bb.1603:                             ;   in Loop: Header=BB318_809 Depth=1
	v_lshrrev_b32_e32 v14, 24, v20
	v_cmp_ne_u32_e32 vcc, s42, v14
	v_bfrev_b32_e32 v54, 1
	s_and_saveexec_b64 s[28:29], vcc
	s_cbranch_execz .LBB318_1607
; %bb.1604:                             ;   in Loop: Header=BB318_809 Depth=1
	v_bfe_u32 v17, v20, 24, 7
	v_cmp_ne_u32_e32 vcc, s43, v17
	v_mov_b32_e32 v54, 0x7f800001
	s_and_saveexec_b64 s[40:41], vcc
	s_cbranch_execz .LBB318_1606
; %bb.1605:                             ;   in Loop: Header=BB318_809 Depth=1
	v_and_b32_e32 v35, 7, v14
	v_mov_b32_e32 v54, v36
	v_lshrrev_b32_e32 v36, 3, v17
	v_cmp_gt_u32_e32 vcc, 8, v17
	v_ffbh_u32_e32 v17, v35
	v_min_u32_e32 v17, 32, v17
	v_subrev_u32_e32 v19, 28, v17
	v_lshlrev_b64 v[19:20], v19, v[14:15]
	v_sub_u32_e32 v17, 29, v17
	v_and_b32_e32 v19, 7, v19
	v_cndmask_b32_e32 v17, v36, v17, vcc
	v_cndmask_b32_e32 v19, v35, v19, vcc
	v_lshlrev_b32_e32 v14, 24, v14
	v_bfrev_b32_e32 v20, 60
	v_lshlrev_b32_e32 v19, 20, v19
	v_and_b32_e32 v14, 0x80000000, v14
	v_lshl_add_u32 v17, v17, 23, v20
	v_mov_b32_e32 v36, v54
	v_mov_b32_e32 v35, v1
	v_or3_b32 v54, v14, v17, v19
.LBB318_1606:                           ;   in Loop: Header=BB318_809 Depth=1
	s_or_b64 exec, exec, s[40:41]
.LBB318_1607:                           ;   in Loop: Header=BB318_809 Depth=1
	s_or_b64 exec, exec, s[28:29]
.LBB318_1608:                           ;   in Loop: Header=BB318_809 Depth=1
	s_or_b64 exec, exec, s[26:27]
	v_mul_f32_e32 v14, v46, v34
	v_bfe_u32 v17, v14, 16, 1
	v_add3_u32 v17, v17, v14, s44
	v_or_b32_e32 v19, 0x400000, v14
	v_cmp_u_f32_e32 vcc, v14, v14
	v_cndmask_b32_e32 v14, v17, v19, vcc
	v_mul_f32_e32 v17, v46, v62
	v_bfe_u32 v19, v17, 16, 1
	v_add3_u32 v19, v19, v17, s44
	v_or_b32_e32 v20, 0x400000, v17
	v_cmp_u_f32_e32 vcc, v17, v17
	v_cndmask_b32_e32 v17, v19, v20, vcc
	;; [unrolled: 6-line block ×4, first 2 shown]
	v_lshrrev_b32_e32 v25, 16, v20
	v_mul_f32_e32 v20, v46, v30
	v_bfe_u32 v30, v20, 16, 1
	v_add3_u32 v30, v30, v20, s44
	v_or_b32_e32 v31, 0x400000, v20
	v_cmp_u_f32_e32 vcc, v20, v20
	v_cndmask_b32_e32 v20, v30, v31, vcc
	v_lshrrev_b32_e32 v30, 16, v20
	v_mul_f32_e32 v20, v46, v24
	v_bfe_u32 v24, v20, 16, 1
	v_add3_u32 v24, v24, v20, s44
	v_or_b32_e32 v31, 0x400000, v20
	v_cmp_u_f32_e32 vcc, v20, v20
	v_cndmask_b32_e32 v20, v24, v31, vcc
	v_mul_f32_e32 v0, v46, v0
	v_lshrrev_b32_e32 v31, 16, v20
	v_bfe_u32 v20, v0, 16, 1
	v_add3_u32 v20, v20, v0, s44
	v_or_b32_e32 v24, 0x400000, v0
	v_cmp_u_f32_e32 vcc, v0, v0
	v_cndmask_b32_e32 v0, v20, v24, vcc
	v_lshrrev_b32_e32 v20, 16, v0
	v_mul_f32_e32 v0, v46, v54
	v_bfe_u32 v24, v0, 16, 1
	v_add3_u32 v24, v24, v0, s44
	v_or_b32_e32 v34, 0x400000, v0
	v_cmp_u_f32_e32 vcc, v0, v0
	v_cndmask_b32_e32 v0, v24, v34, vcc
	v_mov_b32_e32 v45, v37
	v_lshrrev_b32_e32 v14, 16, v14
	v_lshrrev_b32_e32 v17, 16, v17
	;; [unrolled: 1-line block ×4, first 2 shown]
	s_and_saveexec_b64 s[26:27], s[6:7]
	s_cbranch_execz .LBB318_807
; %bb.1609:                             ;   in Loop: Header=BB318_809 Depth=1
	buffer_load_dword v0, off, s[0:3], s32 offset:64 ; 4-byte Folded Reload
	s_waitcnt vmcnt(0)
	v_cmp_lt_i32_e32 vcc, v36, v0
	v_cndmask_b32_e32 v31, 0, v31, vcc
	v_cmp_lt_i32_e32 vcc, v23, v0
	v_cndmask_b32_e32 v30, 0, v30, vcc
	;; [unrolled: 2-line block ×8, first 2 shown]
	s_branch .LBB318_807
.LBB318_1610:
	s_or_b64 exec, exec, s[22:23]
	buffer_load_dword v24, off, s[0:3], s32 offset:652 ; 4-byte Folded Reload
	buffer_load_dword v17, off, s[0:3], s32 offset:656 ; 4-byte Folded Reload
	;; [unrolled: 1-line block ×16, first 2 shown]
	v_mov_b32_e32 v2, s20
	v_mov_b32_e32 v3, s21
.LBB318_1611:
	s_or_b64 exec, exec, s[8:9]
	v_lshlrev_b64 v[0:1], 2, v[2:3]
	s_getpc_b64 s[6:7]
	s_add_u32 s6, s6, llvm.amdgcn.dynlds.offset.table@rel32@lo+4
	s_addc_u32 s7, s7, llvm.amdgcn.dynlds.offset.table@rel32@hi+12
	v_mov_b32_e32 v2, s7
	v_add_co_u32_e32 v0, vcc, s6, v0
	v_addc_co_u32_e32 v1, vcc, v2, v1, vcc
	s_waitcnt vmcnt(0)
	s_barrier
	global_load_dword v18, v[0:1], off
	ds_bpermute_b32 v0, v17, v13
	ds_bpermute_b32 v1, v17, v4
	buffer_load_dword v21, off, s[0:3], s32 offset:548 ; 4-byte Folded Reload
	buffer_load_dword v26, off, s[0:3], s32 offset:552 ; 4-byte Folded Reload
	s_waitcnt lgkmcnt(1)
	v_add_f32_e32 v0, v13, v0
	ds_bpermute_b32 v2, v23, v0
	s_waitcnt lgkmcnt(1)
	v_add_f32_e32 v1, v4, v1
	ds_bpermute_b32 v3, v23, v1
	ds_bpermute_b32 v4, v17, v12
	s_waitcnt lgkmcnt(2)
	v_add_f32_e32 v15, v0, v2
	ds_bpermute_b32 v0, v17, v10
	s_waitcnt lgkmcnt(2)
	v_add_f32_e32 v13, v1, v3
	;; [unrolled: 3-line block ×17, first 2 shown]
	ds_bpermute_b32 v7, v23, v1
	ds_bpermute_b32 v16, v17, v20
	s_waitcnt lgkmcnt(3)
	v_add_f32_e32 v8, v2, v3
	s_waitcnt lgkmcnt(2)
	v_add_f32_e32 v5, v0, v4
	ds_bpermute_b32 v0, v17, v27
	s_waitcnt lgkmcnt(2)
	v_add_f32_e32 v3, v1, v7
	s_waitcnt lgkmcnt(1)
	v_add_f32_e32 v1, v20, v16
	ds_bpermute_b32 v4, v17, v19
	ds_bpermute_b32 v2, v23, v1
	s_waitcnt lgkmcnt(2)
	v_add_f32_e32 v0, v27, v0
	ds_bpermute_b32 v16, v23, v0
	s_waitcnt lgkmcnt(2)
	v_add_f32_e32 v19, v19, v4
	;; [unrolled: 3-line block ×3, first 2 shown]
	buffer_load_dword v16, off, s[0:3], s32 offset:784 ; 4-byte Folded Reload
	s_waitcnt vmcnt(2)
	ds_bpermute_b32 v7, v17, v21
	s_waitcnt vmcnt(1)
	ds_bpermute_b32 v17, v17, v26
	s_waitcnt lgkmcnt(1)
	v_add_f32_e32 v21, v21, v7
	s_waitcnt lgkmcnt(0)
	v_add_f32_e32 v17, v26, v17
	ds_bpermute_b32 v22, v23, v21
	ds_bpermute_b32 v23, v23, v17
	v_add_f32_e32 v7, v1, v2
	v_add_f32_e32 v2, v19, v20
	s_waitcnt lgkmcnt(1)
	v_add_f32_e32 v1, v21, v22
	s_waitcnt lgkmcnt(0)
	v_add_f32_e32 v0, v17, v23
	s_waitcnt vmcnt(0)
	v_and_b32_e32 v17, 0x3c3, v16
	v_cmp_eq_u32_e32 vcc, 64, v17
	s_and_saveexec_b64 s[6:7], vcc
	s_cbranch_execz .LBB318_1613
; %bb.1612:
	v_add_u32_e32 v16, v18, v24
	ds_write2_b32 v16, v15, v13 offset1:16
	ds_write2_b32 v16, v14, v12 offset0:32 offset1:48
	ds_write2_b32 v16, v10, v11 offset0:64 offset1:80
	ds_write2_b32 v16, v9, v6 offset0:96 offset1:112
	ds_write2_b32 v16, v8, v5 offset0:128 offset1:144
	ds_write2_b32 v16, v3, v7 offset0:160 offset1:176
	ds_write2_b32 v16, v4, v2 offset0:192 offset1:208
	ds_write2_b32 v16, v1, v0 offset0:224 offset1:240
.LBB318_1613:
	s_or_b64 exec, exec, s[6:7]
	buffer_load_dword v16, off, s[0:3], s32 offset:784 ; 4-byte Folded Reload
	s_waitcnt vmcnt(0) lgkmcnt(0)
	s_barrier
	v_lshrrev_b32_e32 v16, 2, v16
	s_and_saveexec_b64 s[6:7], s[4:5]
	s_cbranch_execz .LBB318_1632
; %bb.1614:
	v_cmp_eq_u32_e32 vcc, 0, v25
	v_lshl_add_u32 v18, v16, 2, v18
	s_and_saveexec_b64 s[4:5], vcc
	s_cbranch_execnz .LBB318_1635
; %bb.1615:
	s_or_b64 exec, exec, s[4:5]
	s_and_saveexec_b64 s[4:5], vcc
	s_cbranch_execnz .LBB318_1636
.LBB318_1616:
	s_or_b64 exec, exec, s[4:5]
	s_and_saveexec_b64 s[4:5], vcc
	s_cbranch_execnz .LBB318_1637
.LBB318_1617:
	s_or_b64 exec, exec, s[4:5]
	s_and_saveexec_b64 s[4:5], vcc
	s_cbranch_execnz .LBB318_1638
.LBB318_1618:
	s_or_b64 exec, exec, s[4:5]
	s_and_saveexec_b64 s[4:5], vcc
	s_cbranch_execnz .LBB318_1639
.LBB318_1619:
	s_or_b64 exec, exec, s[4:5]
	s_and_saveexec_b64 s[4:5], vcc
	s_cbranch_execnz .LBB318_1640
.LBB318_1620:
	s_or_b64 exec, exec, s[4:5]
	s_and_saveexec_b64 s[4:5], vcc
	s_cbranch_execnz .LBB318_1641
.LBB318_1621:
	s_or_b64 exec, exec, s[4:5]
	s_and_saveexec_b64 s[4:5], vcc
	s_cbranch_execnz .LBB318_1642
.LBB318_1622:
	s_or_b64 exec, exec, s[4:5]
	s_and_saveexec_b64 s[4:5], vcc
	s_cbranch_execnz .LBB318_1643
.LBB318_1623:
	s_or_b64 exec, exec, s[4:5]
	s_and_saveexec_b64 s[4:5], vcc
	s_cbranch_execnz .LBB318_1644
.LBB318_1624:
	s_or_b64 exec, exec, s[4:5]
	s_and_saveexec_b64 s[4:5], vcc
	s_cbranch_execnz .LBB318_1645
.LBB318_1625:
	s_or_b64 exec, exec, s[4:5]
	s_and_saveexec_b64 s[4:5], vcc
	s_cbranch_execnz .LBB318_1646
.LBB318_1626:
	s_or_b64 exec, exec, s[4:5]
	s_and_saveexec_b64 s[4:5], vcc
	s_cbranch_execnz .LBB318_1647
.LBB318_1627:
	s_or_b64 exec, exec, s[4:5]
	s_and_saveexec_b64 s[4:5], vcc
	s_cbranch_execnz .LBB318_1648
.LBB318_1628:
	s_or_b64 exec, exec, s[4:5]
	s_and_saveexec_b64 s[4:5], vcc
	s_cbranch_execnz .LBB318_1649
.LBB318_1629:
	s_or_b64 exec, exec, s[4:5]
	s_and_saveexec_b64 s[4:5], vcc
	s_cbranch_execz .LBB318_1631
.LBB318_1630:
	ds_read_b32 v18, v18 offset:960
	s_waitcnt lgkmcnt(0)
	v_add_f32_e32 v0, v18, v0
.LBB318_1631:
	s_or_b64 exec, exec, s[4:5]
.LBB318_1632:
	s_or_b64 exec, exec, s[6:7]
	v_cmp_eq_u32_e32 vcc, 0, v17
	s_barrier
	s_and_saveexec_b64 s[4:5], vcc
	s_cbranch_execz .LBB318_1634
; %bb.1633:
	buffer_load_dword v18, off, s[0:3], s32 offset:880 ; 4-byte Folded Reload
	buffer_load_dword v19, off, s[0:3], s32 offset:876 ; 4-byte Folded Reload
	s_and_b32 s6, 0xffff, s19
	s_cmp_lg_u32 s6, 0
	s_cselect_b64 s[6:7], -1, 0
	s_cmp_lg_u64 s[6:7], 0
	s_addc_u32 s8, s17, 0
	s_mul_i32 s6, s16, s8
	s_mul_i32 s6, s6, s15
	s_lshl_b32 s6, s6, 8
	s_ashr_i32 s7, s6, 31
	s_lshl_b64 s[6:7], s[6:7], 1
	v_mov_b32_e32 v17, s7
	v_lshlrev_b32_e32 v16, 1, v16
	s_waitcnt vmcnt(1)
	v_add_co_u32_e32 v18, vcc, s6, v18
	s_mul_i32 s6, s18, s8
	s_ashr_i32 s7, s6, 31
	s_waitcnt vmcnt(0)
	v_addc_co_u32_e32 v17, vcc, v19, v17, vcc
	s_lshl_b64 s[6:7], s[6:7], 1
	v_add_co_u32_e32 v18, vcc, s6, v18
	s_lshl_b32 s6, s14, 8
	v_mov_b32_e32 v19, s7
	s_ashr_i32 s7, s6, 31
	v_addc_co_u32_e32 v17, vcc, v17, v19, vcc
	s_lshl_b64 s[6:7], s[6:7], 1
	v_mov_b32_e32 v19, s7
	v_add_co_u32_e32 v18, vcc, s6, v18
	v_addc_co_u32_e32 v17, vcc, v17, v19, vcc
	v_add_co_u32_e32 v16, vcc, v18, v16
	v_addc_co_u32_e32 v17, vcc, 0, v17, vcc
	v_bfe_u32 v18, v15, 16, 1
	s_movk_i32 s6, 0x7fff
	v_add3_u32 v18, v18, v15, s6
	v_or_b32_e32 v19, 0x400000, v15
	v_cmp_u_f32_e32 vcc, v15, v15
	v_cndmask_b32_e32 v15, v18, v19, vcc
	flat_store_short_d16_hi v[16:17], v15
	v_bfe_u32 v15, v13, 16, 1
	v_add3_u32 v15, v15, v13, s6
	v_or_b32_e32 v18, 0x400000, v13
	v_cmp_u_f32_e32 vcc, v13, v13
	v_cndmask_b32_e32 v13, v15, v18, vcc
	flat_store_short_d16_hi v[16:17], v13 offset:32
	v_bfe_u32 v13, v14, 16, 1
	v_add3_u32 v13, v13, v14, s6
	v_or_b32_e32 v15, 0x400000, v14
	v_cmp_u_f32_e32 vcc, v14, v14
	v_cndmask_b32_e32 v13, v13, v15, vcc
	flat_store_short_d16_hi v[16:17], v13 offset:64
	;; [unrolled: 6-line block ×15, first 2 shown]
.LBB318_1634:
	s_or_b64 exec, exec, s[4:5]
	buffer_load_dword v63, off, s[0:3], s32 ; 4-byte Folded Reload
	buffer_load_dword v62, off, s[0:3], s32 offset:4 ; 4-byte Folded Reload
	buffer_load_dword v61, off, s[0:3], s32 offset:8 ; 4-byte Folded Reload
	;; [unrolled: 1-line block ×15, first 2 shown]
	s_waitcnt vmcnt(0) lgkmcnt(0)
	s_setpc_b64 s[30:31]
.LBB318_1635:
	ds_read_b32 v19, v18
	s_waitcnt lgkmcnt(0)
	v_add_f32_e32 v15, v19, v15
	s_or_b64 exec, exec, s[4:5]
	s_and_saveexec_b64 s[4:5], vcc
	s_cbranch_execz .LBB318_1616
.LBB318_1636:
	ds_read_b32 v19, v18 offset:64
	s_waitcnt lgkmcnt(0)
	v_add_f32_e32 v13, v19, v13
	s_or_b64 exec, exec, s[4:5]
	s_and_saveexec_b64 s[4:5], vcc
	s_cbranch_execz .LBB318_1617
.LBB318_1637:
	ds_read_b32 v19, v18 offset:128
	s_waitcnt lgkmcnt(0)
	v_add_f32_e32 v14, v19, v14
	s_or_b64 exec, exec, s[4:5]
	s_and_saveexec_b64 s[4:5], vcc
	s_cbranch_execz .LBB318_1618
.LBB318_1638:
	ds_read_b32 v19, v18 offset:192
	s_waitcnt lgkmcnt(0)
	v_add_f32_e32 v12, v19, v12
	s_or_b64 exec, exec, s[4:5]
	s_and_saveexec_b64 s[4:5], vcc
	s_cbranch_execz .LBB318_1619
.LBB318_1639:
	ds_read_b32 v19, v18 offset:256
	s_waitcnt lgkmcnt(0)
	v_add_f32_e32 v10, v19, v10
	s_or_b64 exec, exec, s[4:5]
	s_and_saveexec_b64 s[4:5], vcc
	s_cbranch_execz .LBB318_1620
.LBB318_1640:
	ds_read_b32 v19, v18 offset:320
	s_waitcnt lgkmcnt(0)
	v_add_f32_e32 v11, v19, v11
	s_or_b64 exec, exec, s[4:5]
	s_and_saveexec_b64 s[4:5], vcc
	s_cbranch_execz .LBB318_1621
.LBB318_1641:
	ds_read_b32 v19, v18 offset:384
	s_waitcnt lgkmcnt(0)
	v_add_f32_e32 v9, v19, v9
	s_or_b64 exec, exec, s[4:5]
	s_and_saveexec_b64 s[4:5], vcc
	s_cbranch_execz .LBB318_1622
.LBB318_1642:
	ds_read_b32 v19, v18 offset:448
	s_waitcnt lgkmcnt(0)
	v_add_f32_e32 v6, v19, v6
	s_or_b64 exec, exec, s[4:5]
	s_and_saveexec_b64 s[4:5], vcc
	s_cbranch_execz .LBB318_1623
.LBB318_1643:
	ds_read_b32 v19, v18 offset:512
	s_waitcnt lgkmcnt(0)
	v_add_f32_e32 v8, v19, v8
	s_or_b64 exec, exec, s[4:5]
	s_and_saveexec_b64 s[4:5], vcc
	s_cbranch_execz .LBB318_1624
.LBB318_1644:
	ds_read_b32 v19, v18 offset:576
	s_waitcnt lgkmcnt(0)
	v_add_f32_e32 v5, v19, v5
	s_or_b64 exec, exec, s[4:5]
	s_and_saveexec_b64 s[4:5], vcc
	s_cbranch_execz .LBB318_1625
.LBB318_1645:
	ds_read_b32 v19, v18 offset:640
	s_waitcnt lgkmcnt(0)
	v_add_f32_e32 v3, v19, v3
	s_or_b64 exec, exec, s[4:5]
	s_and_saveexec_b64 s[4:5], vcc
	s_cbranch_execz .LBB318_1626
.LBB318_1646:
	ds_read_b32 v19, v18 offset:704
	s_waitcnt lgkmcnt(0)
	v_add_f32_e32 v7, v19, v7
	s_or_b64 exec, exec, s[4:5]
	s_and_saveexec_b64 s[4:5], vcc
	s_cbranch_execz .LBB318_1627
.LBB318_1647:
	ds_read_b32 v19, v18 offset:768
	s_waitcnt lgkmcnt(0)
	v_add_f32_e32 v4, v19, v4
	s_or_b64 exec, exec, s[4:5]
	s_and_saveexec_b64 s[4:5], vcc
	s_cbranch_execz .LBB318_1628
.LBB318_1648:
	ds_read_b32 v19, v18 offset:832
	s_waitcnt lgkmcnt(0)
	v_add_f32_e32 v2, v19, v2
	s_or_b64 exec, exec, s[4:5]
	s_and_saveexec_b64 s[4:5], vcc
	s_cbranch_execz .LBB318_1629
.LBB318_1649:
	ds_read_b32 v19, v18 offset:896
	s_waitcnt lgkmcnt(0)
	v_add_f32_e32 v1, v19, v1
	s_or_b64 exec, exec, s[4:5]
	s_and_saveexec_b64 s[4:5], vcc
	s_cbranch_execnz .LBB318_1630
	s_branch .LBB318_1631
.Lfunc_end318:
	.size	_ZN4vllm22paged_attention_kernelI14__hip_bfloat16hLi256ELi32ELi128ELNS_18Fp8KVCacheDataTypeE1ELb1ELi0EEEvPfS3_PT_PKS4_PKT0_SA_ifPKiSC_iPKfiiiSE_SE_iiiii, .Lfunc_end318-_ZN4vllm22paged_attention_kernelI14__hip_bfloat16hLi256ELi32ELi128ELNS_18Fp8KVCacheDataTypeE1ELb1ELi0EEEvPfS3_PT_PKS4_PKT0_SA_ifPKiSC_iPKfiiiSE_SE_iiiii
                                        ; -- End function
	.set .L_ZN4vllm22paged_attention_kernelI14__hip_bfloat16hLi256ELi32ELi128ELNS_18Fp8KVCacheDataTypeE1ELb1ELi0EEEvPfS3_PT_PKS4_PKT0_SA_ifPKiSC_iPKfiiiSE_SE_iiiii.num_vgpr, 64
	.set .L_ZN4vllm22paged_attention_kernelI14__hip_bfloat16hLi256ELi32ELi128ELNS_18Fp8KVCacheDataTypeE1ELb1ELi0EEEvPfS3_PT_PKS4_PKT0_SA_ifPKiSC_iPKfiiiSE_SE_iiiii.num_agpr, 0
	.set .L_ZN4vllm22paged_attention_kernelI14__hip_bfloat16hLi256ELi32ELi128ELNS_18Fp8KVCacheDataTypeE1ELb1ELi0EEEvPfS3_PT_PKS4_PKT0_SA_ifPKiSC_iPKfiiiSE_SE_iiiii.numbered_sgpr, 48
	.set .L_ZN4vllm22paged_attention_kernelI14__hip_bfloat16hLi256ELi32ELi128ELNS_18Fp8KVCacheDataTypeE1ELb1ELi0EEEvPfS3_PT_PKS4_PKT0_SA_ifPKiSC_iPKfiiiSE_SE_iiiii.num_named_barrier, 0
	.set .L_ZN4vllm22paged_attention_kernelI14__hip_bfloat16hLi256ELi32ELi128ELNS_18Fp8KVCacheDataTypeE1ELb1ELi0EEEvPfS3_PT_PKS4_PKT0_SA_ifPKiSC_iPKfiiiSE_SE_iiiii.private_seg_size, 896
	.set .L_ZN4vllm22paged_attention_kernelI14__hip_bfloat16hLi256ELi32ELi128ELNS_18Fp8KVCacheDataTypeE1ELb1ELi0EEEvPfS3_PT_PKS4_PKT0_SA_ifPKiSC_iPKfiiiSE_SE_iiiii.uses_vcc, 1
	.set .L_ZN4vllm22paged_attention_kernelI14__hip_bfloat16hLi256ELi32ELi128ELNS_18Fp8KVCacheDataTypeE1ELb1ELi0EEEvPfS3_PT_PKS4_PKT0_SA_ifPKiSC_iPKfiiiSE_SE_iiiii.uses_flat_scratch, 0
	.set .L_ZN4vllm22paged_attention_kernelI14__hip_bfloat16hLi256ELi32ELi128ELNS_18Fp8KVCacheDataTypeE1ELb1ELi0EEEvPfS3_PT_PKS4_PKT0_SA_ifPKiSC_iPKfiiiSE_SE_iiiii.has_dyn_sized_stack, 0
	.set .L_ZN4vllm22paged_attention_kernelI14__hip_bfloat16hLi256ELi32ELi128ELNS_18Fp8KVCacheDataTypeE1ELb1ELi0EEEvPfS3_PT_PKS4_PKT0_SA_ifPKiSC_iPKfiiiSE_SE_iiiii.has_recursion, 0
	.set .L_ZN4vllm22paged_attention_kernelI14__hip_bfloat16hLi256ELi32ELi128ELNS_18Fp8KVCacheDataTypeE1ELb1ELi0EEEvPfS3_PT_PKS4_PKT0_SA_ifPKiSC_iPKfiiiSE_SE_iiiii.has_indirect_call, 0
	.section	.AMDGPU.csdata,"",@progbits
; Function info:
; codeLenInByte = 82812
; TotalNumSgprs: 52
; NumVgprs: 64
; ScratchSize: 896
; MemoryBound: 0
	.section	.text._ZN4vllm25paged_attention_v1_kernelI14__hip_bfloat16hLi256ELi32ELi128ELNS_18Fp8KVCacheDataTypeE1ELb1EEEvPT_PKS3_PKT0_S9_ifPKiSB_iPKfiiiSD_SD_iiiii,"axG",@progbits,_ZN4vllm25paged_attention_v1_kernelI14__hip_bfloat16hLi256ELi32ELi128ELNS_18Fp8KVCacheDataTypeE1ELb1EEEvPT_PKS3_PKT0_S9_ifPKiSB_iPKfiiiSD_SD_iiiii,comdat
	.protected	_ZN4vllm25paged_attention_v1_kernelI14__hip_bfloat16hLi256ELi32ELi128ELNS_18Fp8KVCacheDataTypeE1ELb1EEEvPT_PKS3_PKT0_S9_ifPKiSB_iPKfiiiSD_SD_iiiii ; -- Begin function _ZN4vllm25paged_attention_v1_kernelI14__hip_bfloat16hLi256ELi32ELi128ELNS_18Fp8KVCacheDataTypeE1ELb1EEEvPT_PKS3_PKT0_S9_ifPKiSB_iPKfiiiSD_SD_iiiii
	.globl	_ZN4vllm25paged_attention_v1_kernelI14__hip_bfloat16hLi256ELi32ELi128ELNS_18Fp8KVCacheDataTypeE1ELb1EEEvPT_PKS3_PKT0_S9_ifPKiSB_iPKfiiiSD_SD_iiiii
	.p2align	8
	.type	_ZN4vllm25paged_attention_v1_kernelI14__hip_bfloat16hLi256ELi32ELi128ELNS_18Fp8KVCacheDataTypeE1ELb1EEEvPT_PKS3_PKT0_S9_ifPKiSB_iPKfiiiSD_SD_iiiii,@function
_ZN4vllm25paged_attention_v1_kernelI14__hip_bfloat16hLi256ELi32ELi128ELNS_18Fp8KVCacheDataTypeE1ELb1EEEvPT_PKS3_PKT0_S9_ifPKiSB_iPKfiiiSD_SD_iiiii: ; @_ZN4vllm25paged_attention_v1_kernelI14__hip_bfloat16hLi256ELi32ELi128ELNS_18Fp8KVCacheDataTypeE1ELb1EEEvPT_PKS3_PKT0_S9_ifPKiSB_iPKfiiiSD_SD_iiiii
; %bb.0:
	s_load_dwordx8 s[16:23], s[4:5], 0x0
	s_load_dwordx4 s[36:39], s[4:5], 0x20
	s_load_dwordx2 s[10:11], s[4:5], 0x30
	s_load_dword s33, s[4:5], 0x38
	s_load_dwordx2 s[34:35], s[4:5], 0x40
	s_load_dwordx8 s[24:31], s[4:5], 0x48
	s_waitcnt lgkmcnt(0)
	s_load_dword s27, s[4:5], 0x78
	s_load_dwordx4 s[40:43], s[4:5], 0x68
	s_add_u32 s0, s0, s9
	s_addc_u32 s1, s1, 0
	s_mov_b32 s14, s8
	s_add_u32 s8, s4, 0x80
	s_addc_u32 s9, s5, 0
	s_getpc_b64 s[4:5]
	s_add_u32 s4, s4, _ZN4vllm22paged_attention_kernelI14__hip_bfloat16hLi256ELi32ELi128ELNS_18Fp8KVCacheDataTypeE1ELb1ELi0EEEvPfS3_PT_PKS4_PKT0_SA_ifPKiSC_iPKfiiiSE_SE_iiiii@rel32@lo+4
	s_addc_u32 s5, s5, _ZN4vllm22paged_attention_kernelI14__hip_bfloat16hLi256ELi32ELi128ELNS_18Fp8KVCacheDataTypeE1ELb1ELi0EEEvPfS3_PT_PKS4_PKT0_SA_ifPKiSC_iPKfiiiSE_SE_iiiii@rel32@hi+12
	s_mov_b32 s12, s6
	s_mov_b32 s13, s7
	;; [unrolled: 1-line block ×3, first 2 shown]
	v_mov_b32_e32 v31, v0
	v_mov_b32_e32 v0, s16
	;; [unrolled: 1-line block ×25, first 2 shown]
	s_waitcnt lgkmcnt(0)
	v_mov_b32_e32 v24, s40
	v_mov_b32_e32 v25, s41
	;; [unrolled: 1-line block ×5, first 2 shown]
	s_mov_b32 s32, 0
	s_swappc_b64 s[30:31], s[4:5]
	s_endpgm
	.section	.rodata,"a",@progbits
	.p2align	6, 0x0
	.amdhsa_kernel _ZN4vllm25paged_attention_v1_kernelI14__hip_bfloat16hLi256ELi32ELi128ELNS_18Fp8KVCacheDataTypeE1ELb1EEEvPT_PKS3_PKT0_S9_ifPKiSB_iPKfiiiSD_SD_iiiii
		.amdhsa_group_segment_fixed_size 528
		.amdhsa_private_segment_fixed_size 896
		.amdhsa_kernarg_size 384
		.amdhsa_user_sgpr_count 6
		.amdhsa_user_sgpr_private_segment_buffer 1
		.amdhsa_user_sgpr_dispatch_ptr 0
		.amdhsa_user_sgpr_queue_ptr 0
		.amdhsa_user_sgpr_kernarg_segment_ptr 1
		.amdhsa_user_sgpr_dispatch_id 0
		.amdhsa_user_sgpr_flat_scratch_init 0
		.amdhsa_user_sgpr_private_segment_size 0
		.amdhsa_uses_dynamic_stack 0
		.amdhsa_system_sgpr_private_segment_wavefront_offset 1
		.amdhsa_system_sgpr_workgroup_id_x 1
		.amdhsa_system_sgpr_workgroup_id_y 1
		.amdhsa_system_sgpr_workgroup_id_z 1
		.amdhsa_system_sgpr_workgroup_info 0
		.amdhsa_system_vgpr_workitem_id 0
		.amdhsa_next_free_vgpr 64
		.amdhsa_next_free_sgpr 48
		.amdhsa_reserve_vcc 1
		.amdhsa_reserve_flat_scratch 0
		.amdhsa_float_round_mode_32 0
		.amdhsa_float_round_mode_16_64 0
		.amdhsa_float_denorm_mode_32 3
		.amdhsa_float_denorm_mode_16_64 3
		.amdhsa_dx10_clamp 1
		.amdhsa_ieee_mode 1
		.amdhsa_fp16_overflow 0
		.amdhsa_exception_fp_ieee_invalid_op 0
		.amdhsa_exception_fp_denorm_src 0
		.amdhsa_exception_fp_ieee_div_zero 0
		.amdhsa_exception_fp_ieee_overflow 0
		.amdhsa_exception_fp_ieee_underflow 0
		.amdhsa_exception_fp_ieee_inexact 0
		.amdhsa_exception_int_div_zero 0
	.end_amdhsa_kernel
	.section	.text._ZN4vllm25paged_attention_v1_kernelI14__hip_bfloat16hLi256ELi32ELi128ELNS_18Fp8KVCacheDataTypeE1ELb1EEEvPT_PKS3_PKT0_S9_ifPKiSB_iPKfiiiSD_SD_iiiii,"axG",@progbits,_ZN4vllm25paged_attention_v1_kernelI14__hip_bfloat16hLi256ELi32ELi128ELNS_18Fp8KVCacheDataTypeE1ELb1EEEvPT_PKS3_PKT0_S9_ifPKiSB_iPKfiiiSD_SD_iiiii,comdat
.Lfunc_end319:
	.size	_ZN4vllm25paged_attention_v1_kernelI14__hip_bfloat16hLi256ELi32ELi128ELNS_18Fp8KVCacheDataTypeE1ELb1EEEvPT_PKS3_PKT0_S9_ifPKiSB_iPKfiiiSD_SD_iiiii, .Lfunc_end319-_ZN4vllm25paged_attention_v1_kernelI14__hip_bfloat16hLi256ELi32ELi128ELNS_18Fp8KVCacheDataTypeE1ELb1EEEvPT_PKS3_PKT0_S9_ifPKiSB_iPKfiiiSD_SD_iiiii
                                        ; -- End function
	.set _ZN4vllm25paged_attention_v1_kernelI14__hip_bfloat16hLi256ELi32ELi128ELNS_18Fp8KVCacheDataTypeE1ELb1EEEvPT_PKS3_PKT0_S9_ifPKiSB_iPKfiiiSD_SD_iiiii.num_vgpr, max(32, .L_ZN4vllm22paged_attention_kernelI14__hip_bfloat16hLi256ELi32ELi128ELNS_18Fp8KVCacheDataTypeE1ELb1ELi0EEEvPfS3_PT_PKS4_PKT0_SA_ifPKiSC_iPKfiiiSE_SE_iiiii.num_vgpr)
	.set _ZN4vllm25paged_attention_v1_kernelI14__hip_bfloat16hLi256ELi32ELi128ELNS_18Fp8KVCacheDataTypeE1ELb1EEEvPT_PKS3_PKT0_S9_ifPKiSB_iPKfiiiSD_SD_iiiii.num_agpr, max(0, .L_ZN4vllm22paged_attention_kernelI14__hip_bfloat16hLi256ELi32ELi128ELNS_18Fp8KVCacheDataTypeE1ELb1ELi0EEEvPfS3_PT_PKS4_PKT0_SA_ifPKiSC_iPKfiiiSE_SE_iiiii.num_agpr)
	.set _ZN4vllm25paged_attention_v1_kernelI14__hip_bfloat16hLi256ELi32ELi128ELNS_18Fp8KVCacheDataTypeE1ELb1EEEvPT_PKS3_PKT0_S9_ifPKiSB_iPKfiiiSD_SD_iiiii.numbered_sgpr, max(44, .L_ZN4vllm22paged_attention_kernelI14__hip_bfloat16hLi256ELi32ELi128ELNS_18Fp8KVCacheDataTypeE1ELb1ELi0EEEvPfS3_PT_PKS4_PKT0_SA_ifPKiSC_iPKfiiiSE_SE_iiiii.numbered_sgpr)
	.set _ZN4vllm25paged_attention_v1_kernelI14__hip_bfloat16hLi256ELi32ELi128ELNS_18Fp8KVCacheDataTypeE1ELb1EEEvPT_PKS3_PKT0_S9_ifPKiSB_iPKfiiiSD_SD_iiiii.num_named_barrier, max(0, .L_ZN4vllm22paged_attention_kernelI14__hip_bfloat16hLi256ELi32ELi128ELNS_18Fp8KVCacheDataTypeE1ELb1ELi0EEEvPfS3_PT_PKS4_PKT0_SA_ifPKiSC_iPKfiiiSE_SE_iiiii.num_named_barrier)
	.set _ZN4vllm25paged_attention_v1_kernelI14__hip_bfloat16hLi256ELi32ELi128ELNS_18Fp8KVCacheDataTypeE1ELb1EEEvPT_PKS3_PKT0_S9_ifPKiSB_iPKfiiiSD_SD_iiiii.private_seg_size, 0+max(.L_ZN4vllm22paged_attention_kernelI14__hip_bfloat16hLi256ELi32ELi128ELNS_18Fp8KVCacheDataTypeE1ELb1ELi0EEEvPfS3_PT_PKS4_PKT0_SA_ifPKiSC_iPKfiiiSE_SE_iiiii.private_seg_size)
	.set _ZN4vllm25paged_attention_v1_kernelI14__hip_bfloat16hLi256ELi32ELi128ELNS_18Fp8KVCacheDataTypeE1ELb1EEEvPT_PKS3_PKT0_S9_ifPKiSB_iPKfiiiSD_SD_iiiii.uses_vcc, or(1, .L_ZN4vllm22paged_attention_kernelI14__hip_bfloat16hLi256ELi32ELi128ELNS_18Fp8KVCacheDataTypeE1ELb1ELi0EEEvPfS3_PT_PKS4_PKT0_SA_ifPKiSC_iPKfiiiSE_SE_iiiii.uses_vcc)
	.set _ZN4vllm25paged_attention_v1_kernelI14__hip_bfloat16hLi256ELi32ELi128ELNS_18Fp8KVCacheDataTypeE1ELb1EEEvPT_PKS3_PKT0_S9_ifPKiSB_iPKfiiiSD_SD_iiiii.uses_flat_scratch, or(0, .L_ZN4vllm22paged_attention_kernelI14__hip_bfloat16hLi256ELi32ELi128ELNS_18Fp8KVCacheDataTypeE1ELb1ELi0EEEvPfS3_PT_PKS4_PKT0_SA_ifPKiSC_iPKfiiiSE_SE_iiiii.uses_flat_scratch)
	.set _ZN4vllm25paged_attention_v1_kernelI14__hip_bfloat16hLi256ELi32ELi128ELNS_18Fp8KVCacheDataTypeE1ELb1EEEvPT_PKS3_PKT0_S9_ifPKiSB_iPKfiiiSD_SD_iiiii.has_dyn_sized_stack, or(0, .L_ZN4vllm22paged_attention_kernelI14__hip_bfloat16hLi256ELi32ELi128ELNS_18Fp8KVCacheDataTypeE1ELb1ELi0EEEvPfS3_PT_PKS4_PKT0_SA_ifPKiSC_iPKfiiiSE_SE_iiiii.has_dyn_sized_stack)
	.set _ZN4vllm25paged_attention_v1_kernelI14__hip_bfloat16hLi256ELi32ELi128ELNS_18Fp8KVCacheDataTypeE1ELb1EEEvPT_PKS3_PKT0_S9_ifPKiSB_iPKfiiiSD_SD_iiiii.has_recursion, or(0, .L_ZN4vllm22paged_attention_kernelI14__hip_bfloat16hLi256ELi32ELi128ELNS_18Fp8KVCacheDataTypeE1ELb1ELi0EEEvPfS3_PT_PKS4_PKT0_SA_ifPKiSC_iPKfiiiSE_SE_iiiii.has_recursion)
	.set _ZN4vllm25paged_attention_v1_kernelI14__hip_bfloat16hLi256ELi32ELi128ELNS_18Fp8KVCacheDataTypeE1ELb1EEEvPT_PKS3_PKT0_S9_ifPKiSB_iPKfiiiSD_SD_iiiii.has_indirect_call, or(0, .L_ZN4vllm22paged_attention_kernelI14__hip_bfloat16hLi256ELi32ELi128ELNS_18Fp8KVCacheDataTypeE1ELb1ELi0EEEvPfS3_PT_PKS4_PKT0_SA_ifPKiSC_iPKfiiiSE_SE_iiiii.has_indirect_call)
	.section	.AMDGPU.csdata,"",@progbits
; Kernel info:
; codeLenInByte = 260
; TotalNumSgprs: 52
; NumVgprs: 64
; ScratchSize: 896
; MemoryBound: 0
; FloatMode: 240
; IeeeMode: 1
; LDSByteSize: 528 bytes/workgroup (compile time only)
; SGPRBlocks: 6
; VGPRBlocks: 15
; NumSGPRsForWavesPerEU: 52
; NumVGPRsForWavesPerEU: 64
; Occupancy: 4
; WaveLimiterHint : 1
; COMPUTE_PGM_RSRC2:SCRATCH_EN: 1
; COMPUTE_PGM_RSRC2:USER_SGPR: 6
; COMPUTE_PGM_RSRC2:TRAP_HANDLER: 0
; COMPUTE_PGM_RSRC2:TGID_X_EN: 1
; COMPUTE_PGM_RSRC2:TGID_Y_EN: 1
; COMPUTE_PGM_RSRC2:TGID_Z_EN: 1
; COMPUTE_PGM_RSRC2:TIDIG_COMP_CNT: 0
	.section	.text._ZN4vllm25paged_attention_v1_kernelI14__hip_bfloat16hLi32ELi32ELi128ELNS_18Fp8KVCacheDataTypeE1ELb0EEEvPT_PKS3_PKT0_S9_ifPKiSB_iPKfiiiSD_SD_iiiii,"axG",@progbits,_ZN4vllm25paged_attention_v1_kernelI14__hip_bfloat16hLi32ELi32ELi128ELNS_18Fp8KVCacheDataTypeE1ELb0EEEvPT_PKS3_PKT0_S9_ifPKiSB_iPKfiiiSD_SD_iiiii,comdat
	.protected	_ZN4vllm25paged_attention_v1_kernelI14__hip_bfloat16hLi32ELi32ELi128ELNS_18Fp8KVCacheDataTypeE1ELb0EEEvPT_PKS3_PKT0_S9_ifPKiSB_iPKfiiiSD_SD_iiiii ; -- Begin function _ZN4vllm25paged_attention_v1_kernelI14__hip_bfloat16hLi32ELi32ELi128ELNS_18Fp8KVCacheDataTypeE1ELb0EEEvPT_PKS3_PKT0_S9_ifPKiSB_iPKfiiiSD_SD_iiiii
	.globl	_ZN4vllm25paged_attention_v1_kernelI14__hip_bfloat16hLi32ELi32ELi128ELNS_18Fp8KVCacheDataTypeE1ELb0EEEvPT_PKS3_PKT0_S9_ifPKiSB_iPKfiiiSD_SD_iiiii
	.p2align	8
	.type	_ZN4vllm25paged_attention_v1_kernelI14__hip_bfloat16hLi32ELi32ELi128ELNS_18Fp8KVCacheDataTypeE1ELb0EEEvPT_PKS3_PKT0_S9_ifPKiSB_iPKfiiiSD_SD_iiiii,@function
_ZN4vllm25paged_attention_v1_kernelI14__hip_bfloat16hLi32ELi32ELi128ELNS_18Fp8KVCacheDataTypeE1ELb0EEEvPT_PKS3_PKT0_S9_ifPKiSB_iPKfiiiSD_SD_iiiii: ; @_ZN4vllm25paged_attention_v1_kernelI14__hip_bfloat16hLi32ELi32ELi128ELNS_18Fp8KVCacheDataTypeE1ELb0EEEvPT_PKS3_PKT0_S9_ifPKiSB_iPKfiiiSD_SD_iiiii
; %bb.0:
	s_load_dword s9, s[4:5], 0x80
	s_load_dwordx2 s[0:1], s[4:5], 0x30
	s_load_dwordx2 s[30:31], s[4:5], 0x20
	s_mov_b32 s10, s7
	s_ashr_i32 s11, s7, 31
	s_lshl_b64 s[2:3], s[10:11], 2
	s_waitcnt lgkmcnt(0)
	s_add_u32 s0, s0, s2
	s_addc_u32 s1, s1, s3
	s_abs_i32 s2, s30
	v_cvt_f32_u32_e32 v1, s2
	s_sub_i32 s11, 0, s2
	s_abs_i32 s7, s9
	s_xor_b32 s3, s9, s30
	v_rcp_iflag_f32_e32 v1, v1
	s_ashr_i32 s3, s3, 31
	s_mov_b32 s33, 0
	v_mul_f32_e32 v1, 0x4f7ffffe, v1
	v_cvt_u32_f32_e32 v1, v1
	v_readfirstlane_b32 s12, v1
	s_mul_i32 s11, s11, s12
	s_mul_hi_u32 s11, s12, s11
	s_add_i32 s12, s12, s11
	s_mul_hi_u32 s11, s7, s12
	s_mul_i32 s12, s11, s2
	s_sub_i32 s7, s7, s12
	s_add_i32 s12, s11, 1
	s_sub_i32 s13, s7, s2
	s_cmp_ge_u32 s7, s2
	s_cselect_b32 s11, s12, s11
	s_cselect_b32 s7, s13, s7
	s_add_i32 s12, s11, 1
	s_cmp_ge_u32 s7, s2
	s_cselect_b32 s2, s12, s11
	s_xor_b32 s2, s2, s3
	s_sub_i32 s12, s2, s3
	s_abs_i32 s11, s12
	v_cvt_f32_u32_e32 v1, s11
	s_load_dwordx2 s[2:3], s[4:5], 0x40
	s_sub_i32 s7, 0, s11
	s_abs_i32 s16, s6
	v_rcp_iflag_f32_e32 v1, v1
	v_mul_f32_e32 v1, 0x4f7ffffe, v1
	v_cvt_u32_f32_e32 v1, v1
	v_readfirstlane_b32 s13, v1
	s_mul_i32 s7, s7, s13
	s_mul_hi_u32 s7, s13, s7
	s_add_i32 s13, s13, s7
	s_waitcnt lgkmcnt(0)
	s_cmp_eq_u64 s[2:3], 0
	s_mul_hi_u32 s17, s16, s13
	s_cbranch_scc1 .LBB320_2
; %bb.1:
	s_ashr_i32 s7, s6, 31
	s_lshl_b64 s[14:15], s[6:7], 2
	s_add_u32 s2, s2, s14
	s_addc_u32 s3, s3, s15
	s_load_dword s33, s[2:3], 0x0
.LBB320_2:
	s_load_dword s30, s[0:1], 0x0
	s_ashr_i32 s3, s12, 31
	s_load_dwordx4 s[12:15], s[4:5], 0x48
	s_ashr_i32 s2, s6, 31
	v_and_b32_e32 v1, 1, v0
	s_lshl_b32 s20, s6, 5
	v_cmp_gt_u32_e32 vcc, 8, v0
	v_lshlrev_b32_e32 v9, 3, v0
	s_and_saveexec_b64 s[0:1], vcc
	s_cbranch_execz .LBB320_4
; %bb.3:
	s_load_dwordx2 s[6:7], s[4:5], 0x8
	s_waitcnt lgkmcnt(0)
	s_mul_i32 s18, s12, s10
	s_ashr_i32 s19, s18, 31
	s_lshl_b64 s[18:19], s[18:19], 1
	v_lshlrev_b32_e32 v4, 2, v0
	s_add_u32 s12, s6, s18
	s_addc_u32 s15, s7, s19
	s_ashr_i32 s21, s20, 31
	s_lshl_b64 s[6:7], s[20:21], 1
	s_add_u32 s6, s12, s6
	s_addc_u32 s7, s15, s7
	global_load_dwordx2 v[2:3], v9, s[6:7]
	v_and_b32_e32 v4, 0xff8, v4
	v_lshl_add_u32 v4, v1, 5, v4
	s_waitcnt vmcnt(0)
	ds_write_b64 v4, v[2:3]
.LBB320_4:
	s_or_b64 exec, exec, s[0:1]
	s_waitcnt lgkmcnt(0)
	s_add_i32 s1, s30, 31
	s_ashr_i32 s6, s1, 31
	s_lshr_b32 s6, s6, 27
	s_add_i32 s1, s1, s6
	s_ashr_i32 s21, s1, 5
	s_xor_b32 s1, s2, s3
	s_mul_i32 s2, s17, s11
	s_sub_i32 s2, s16, s2
	s_add_i32 s3, s17, 1
	s_sub_i32 s6, s2, s11
	s_load_dwordx2 s[24:25], s[4:5], 0x28
	s_load_dword s0, s[4:5], 0x38
	s_cmp_ge_u32 s2, s11
	s_cselect_b32 s3, s3, s17
	s_cselect_b32 s2, s6, s2
	s_add_i32 s6, s3, 1
	s_cmp_ge_u32 s2, s11
	s_cselect_b32 s2, s6, s3
	v_lshrrev_b32_e32 v20, 6, v0
	s_xor_b32 s2, s2, s1
	s_waitcnt lgkmcnt(0)
	s_mul_i32 s26, s0, s10
	s_sub_i32 s12, s2, s1
	s_ashr_i32 s27, s26, 31
	v_cmp_gt_i32_e64 s[0:1], s21, v20
	v_cmp_le_i32_e32 vcc, s21, v20
	v_mbcnt_lo_u32_b32 v5, -1, 0
	s_barrier
                                        ; implicit-def: $vgpr10
                                        ; implicit-def: $vgpr11
                                        ; implicit-def: $vgpr12
	s_and_saveexec_b64 s[2:3], vcc
	s_xor_b64 s[2:3], exec, s[2:3]
; %bb.5:
	v_mbcnt_hi_u32_b32 v10, -1, v5
	v_and_b32_e32 v11, 64, v10
	v_add_u32_e32 v12, 64, v11
                                        ; implicit-def: $vgpr1
                                        ; implicit-def: $vgpr5
; %bb.6:
	s_or_saveexec_b64 s[6:7], s[2:3]
	s_load_dwordx2 s[22:23], s[4:5], 0x0
	s_load_dwordx2 s[28:29], s[4:5], 0x18
	s_load_dword s11, s[4:5], 0x88
	s_load_dwordx4 s[16:19], s[4:5], 0x58
	v_mov_b32_e32 v31, 0xff7fffff
	s_mul_i32 s12, s12, s14
	v_lshrrev_b32_e32 v13, 4, v0
	s_xor_b64 exec, exec, s[6:7]
	s_cbranch_execz .LBB320_108
; %bb.7:
	s_load_dwordx2 s[2:3], s[4:5], 0x10
	s_ashr_i32 s4, s12, 31
	v_lshlrev_b32_e32 v2, 5, v1
	v_bfe_u32 v6, v0, 1, 5
	ds_read_b128 v[21:24], v2
	ds_read_b128 v[27:30], v2 offset:16
	s_waitcnt lgkmcnt(0)
	s_add_u32 s2, s2, s12
	s_addc_u32 s3, s3, s4
	v_lshlrev_b32_e32 v2, 4, v6
	v_mov_b32_e32 v3, s3
	v_add_co_u32_e32 v2, vcc, s2, v2
	v_addc_co_u32_e32 v3, vcc, 0, v3, vcc
	v_cmp_eq_u32_e32 vcc, 0, v1
	v_lshlrev_b32_e32 v1, 2, v1
	v_add_co_u32_e64 v1, s[2:3], v2, v1
	v_addc_co_u32_e64 v2, s[2:3], 0, v3, s[2:3]
	s_sub_i32 s38, 1, s30
	s_lshl_b64 s[2:3], s[26:27], 2
	s_add_u32 s2, s24, s2
	s_addc_u32 s3, s25, s3
	v_and_b32_e32 v3, 60, v13
	v_mbcnt_hi_u32_b32 v10, -1, v5
	v_mov_b32_e32 v4, s3
	v_add_co_u32_e64 v3, s[2:3], s2, v3
	v_and_b32_e32 v11, 64, v10
	v_addc_co_u32_e64 v4, s[2:3], 0, v4, s[2:3]
	v_xor_b32_e32 v5, 1, v10
	v_add_u32_e32 v12, 64, v11
	v_cmp_lt_i32_e64 s[2:3], v5, v12
	s_load_dword s40, s[16:17], 0x0
	v_cndmask_b32_e64 v5, v10, v5, s[2:3]
	v_lshlrev_b32_e32 v32, 2, v5
	v_lshlrev_b32_e32 v5, 2, v6
	v_lshl_or_b32 v5, v20, 7, v5
	v_lshlrev_b32_e32 v14, 16, v21
	v_and_b32_e32 v15, 0xffff0000, v21
	v_lshlrev_b32_e32 v16, 16, v22
	v_and_b32_e32 v17, 0xffff0000, v22
	;; [unrolled: 2-line block ×8, first 2 shown]
	s_mov_b32 s39, s13
	v_cmp_neq_f32_e64 s[2:3], s33, 0
	v_lshl_or_b32 v33, v20, 5, v6
	v_add_u32_e32 v34, 0x50, v5
	s_mov_b64 s[14:15], 0
	s_movk_i32 s41, 0x80
	s_movk_i32 s42, 0x7f
	s_mov_b32 s43, 0xffffff
	s_movk_i32 s44, 0x7fff
	v_mov_b32_e32 v35, 0
	v_mov_b32_e32 v31, 0xff7fffff
	v_bfrev_b32_e32 v36, 60
	v_mov_b32_e32 v37, v20
	s_branch .LBB320_9
.LBB320_8:                              ;   in Loop: Header=BB320_9 Depth=1
	s_or_b64 exec, exec, s[16:17]
	v_add_u32_e32 v37, 2, v37
	v_cmp_le_i32_e64 s[4:5], s21, v37
	s_or_b64 s[14:15], s[4:5], s[14:15]
	v_add_co_u32_e64 v3, s[4:5], 8, v3
	v_add_u32_e32 v33, 64, v33
	v_add_u32_e32 v34, 0x100, v34
	v_addc_co_u32_e64 v4, s[4:5], 0, v4, s[4:5]
	s_andn2_b64 exec, exec, s[14:15]
	s_cbranch_execz .LBB320_107
.LBB320_9:                              ; =>This Inner Loop Header: Depth=1
	global_load_dword v5, v[3:4], off
	v_mov_b32_e32 v38, 0
	s_waitcnt vmcnt(0) lgkmcnt(0)
	v_mad_i64_i32 v[5:6], s[4:5], v5, s39, v[1:2]
	global_load_dword v7, v[5:6], off
	s_waitcnt vmcnt(0)
	v_cmp_ne_u16_sdwa s[4:5], v7, v35 src0_sel:BYTE_0 src1_sel:DWORD
	s_and_saveexec_b64 s[16:17], s[4:5]
	s_cbranch_execz .LBB320_15
; %bb.10:                               ;   in Loop: Header=BB320_9 Depth=1
	v_cmp_ne_u16_sdwa s[4:5], v7, s41 src0_sel:BYTE_0 src1_sel:DWORD
	v_bfrev_b32_e32 v38, 1
	s_and_saveexec_b64 s[34:35], s[4:5]
	s_cbranch_execz .LBB320_14
; %bb.11:                               ;   in Loop: Header=BB320_9 Depth=1
	v_and_b32_e32 v8, 0x7f, v7
	v_cmp_ne_u32_e64 s[4:5], s42, v8
	v_mov_b32_e32 v38, 0x7f800001
	s_and_saveexec_b64 s[36:37], s[4:5]
	s_cbranch_execz .LBB320_13
; %bb.12:                               ;   in Loop: Header=BB320_9 Depth=1
	v_and_b32_e32 v40, 7, v7
	v_ffbh_u32_e32 v38, v40
	v_min_u32_e32 v42, 32, v38
	v_subrev_u32_e32 v38, 28, v42
	v_lshlrev_b64 v[38:39], v38, v[7:8]
	v_lshrrev_b32_e32 v41, 3, v8
	v_sub_u32_e32 v39, 29, v42
	v_and_b32_e32 v38, 7, v38
	v_cmp_gt_u32_e64 s[4:5], 8, v8
	v_cndmask_b32_e64 v8, v41, v39, s[4:5]
	v_cndmask_b32_e64 v38, v40, v38, s[4:5]
	v_lshlrev_b32_e32 v39, 24, v7
	v_lshlrev_b32_e32 v38, 20, v38
	v_and_b32_e32 v39, 0x80000000, v39
	v_lshl_add_u32 v8, v8, 23, v36
	v_or3_b32 v38, v39, v8, v38
.LBB320_13:                             ;   in Loop: Header=BB320_9 Depth=1
	s_or_b64 exec, exec, s[36:37]
.LBB320_14:                             ;   in Loop: Header=BB320_9 Depth=1
	s_or_b64 exec, exec, s[34:35]
.LBB320_15:                             ;   in Loop: Header=BB320_9 Depth=1
	s_or_b64 exec, exec, s[16:17]
	v_lshrrev_b16_e32 v8, 8, v7
	v_cmp_ne_u16_e64 s[4:5], 0, v8
	v_mov_b32_e32 v40, 0
	v_mov_b32_e32 v39, 0
	s_and_saveexec_b64 s[16:17], s[4:5]
	s_cbranch_execz .LBB320_21
; %bb.16:                               ;   in Loop: Header=BB320_9 Depth=1
	v_cmp_ne_u16_e64 s[4:5], s41, v8
	v_bfrev_b32_e32 v39, 1
	s_and_saveexec_b64 s[34:35], s[4:5]
	s_cbranch_execz .LBB320_20
; %bb.17:                               ;   in Loop: Header=BB320_9 Depth=1
	v_and_b32_e32 v41, 0x7f, v8
	v_cmp_ne_u32_e64 s[4:5], s42, v41
	v_mov_b32_e32 v39, 0x7f800001
	s_and_saveexec_b64 s[36:37], s[4:5]
	s_cbranch_execz .LBB320_19
; %bb.18:                               ;   in Loop: Header=BB320_9 Depth=1
	v_and_b32_e32 v39, 7, v8
	v_ffbh_u32_e32 v42, v39
	v_min_u32_e32 v45, 32, v42
	v_subrev_u32_e32 v42, 28, v45
	v_lshlrev_b64 v[42:43], v42, v[8:9]
	v_lshrrev_b32_e32 v44, 3, v41
	v_sub_u32_e32 v8, 29, v45
	v_and_b32_e32 v42, 7, v42
	v_cmp_gt_u32_e64 s[4:5], 8, v41
	v_cndmask_b32_e64 v8, v44, v8, s[4:5]
	v_cndmask_b32_e64 v39, v39, v42, s[4:5]
	v_lshlrev_b32_e32 v41, 16, v7
	v_lshlrev_b32_e32 v39, 20, v39
	v_and_b32_e32 v41, 0x80000000, v41
	v_lshl_add_u32 v8, v8, 23, v36
	v_or3_b32 v39, v41, v8, v39
.LBB320_19:                             ;   in Loop: Header=BB320_9 Depth=1
	s_or_b64 exec, exec, s[36:37]
.LBB320_20:                             ;   in Loop: Header=BB320_9 Depth=1
	s_or_b64 exec, exec, s[34:35]
.LBB320_21:                             ;   in Loop: Header=BB320_9 Depth=1
	s_or_b64 exec, exec, s[16:17]
	v_lshrrev_b32_e32 v8, 16, v7
	v_cmp_ne_u16_sdwa s[4:5], v8, v35 src0_sel:BYTE_0 src1_sel:DWORD
	s_and_saveexec_b64 s[16:17], s[4:5]
	s_cbranch_execz .LBB320_27
; %bb.22:                               ;   in Loop: Header=BB320_9 Depth=1
	v_cmp_ne_u16_sdwa s[4:5], v8, s41 src0_sel:BYTE_0 src1_sel:DWORD
	v_bfrev_b32_e32 v40, 1
	s_and_saveexec_b64 s[34:35], s[4:5]
	s_cbranch_execz .LBB320_26
; %bb.23:                               ;   in Loop: Header=BB320_9 Depth=1
	v_bfe_u32 v41, v7, 16, 7
	v_cmp_ne_u32_e64 s[4:5], s42, v41
	v_mov_b32_e32 v40, 0x7f800001
	s_and_saveexec_b64 s[36:37], s[4:5]
	s_cbranch_execz .LBB320_25
; %bb.24:                               ;   in Loop: Header=BB320_9 Depth=1
	v_and_b32_e32 v40, 7, v8
	v_ffbh_u32_e32 v42, v40
	v_min_u32_e32 v45, 32, v42
	v_subrev_u32_e32 v42, 28, v45
	v_lshlrev_b64 v[42:43], v42, v[8:9]
	v_lshrrev_b32_e32 v44, 3, v41
	v_sub_u32_e32 v43, 29, v45
	v_and_b32_e32 v42, 7, v42
	v_cmp_gt_u32_e64 s[4:5], 8, v41
	v_cndmask_b32_e64 v41, v44, v43, s[4:5]
	v_cndmask_b32_e64 v40, v40, v42, s[4:5]
	v_lshlrev_b32_e32 v8, 24, v8
	v_lshlrev_b32_e32 v40, 20, v40
	v_and_b32_e32 v8, 0x80000000, v8
	v_lshl_add_u32 v41, v41, 23, v36
	v_or3_b32 v40, v8, v41, v40
.LBB320_25:                             ;   in Loop: Header=BB320_9 Depth=1
	s_or_b64 exec, exec, s[36:37]
.LBB320_26:                             ;   in Loop: Header=BB320_9 Depth=1
	s_or_b64 exec, exec, s[34:35]
.LBB320_27:                             ;   in Loop: Header=BB320_9 Depth=1
	s_or_b64 exec, exec, s[16:17]
	v_cmp_lt_u32_e64 s[4:5], s43, v7
	v_mov_b32_e32 v42, 0
	v_mov_b32_e32 v41, 0
	s_and_saveexec_b64 s[16:17], s[4:5]
	s_cbranch_execz .LBB320_33
; %bb.28:                               ;   in Loop: Header=BB320_9 Depth=1
	v_lshrrev_b32_e32 v8, 24, v7
	v_cmp_ne_u32_e64 s[4:5], s41, v8
	v_bfrev_b32_e32 v41, 1
	s_and_saveexec_b64 s[34:35], s[4:5]
	s_cbranch_execz .LBB320_32
; %bb.29:                               ;   in Loop: Header=BB320_9 Depth=1
	v_bfe_u32 v7, v7, 24, 7
	v_cmp_ne_u32_e64 s[4:5], s42, v7
	v_mov_b32_e32 v41, 0x7f800001
	s_and_saveexec_b64 s[36:37], s[4:5]
	s_cbranch_execz .LBB320_31
; %bb.30:                               ;   in Loop: Header=BB320_9 Depth=1
	v_and_b32_e32 v41, 7, v8
	v_ffbh_u32_e32 v43, v41
	v_min_u32_e32 v46, 32, v43
	v_subrev_u32_e32 v43, 28, v46
	v_lshlrev_b64 v[43:44], v43, v[8:9]
	v_lshrrev_b32_e32 v45, 3, v7
	v_sub_u32_e32 v44, 29, v46
	v_and_b32_e32 v43, 7, v43
	v_cmp_gt_u32_e64 s[4:5], 8, v7
	v_cndmask_b32_e64 v7, v45, v44, s[4:5]
	v_cndmask_b32_e64 v41, v41, v43, s[4:5]
	v_lshlrev_b32_e32 v8, 24, v8
	v_lshlrev_b32_e32 v41, 20, v41
	v_and_b32_e32 v8, 0x80000000, v8
	v_lshl_add_u32 v7, v7, 23, v36
	v_or3_b32 v41, v8, v7, v41
.LBB320_31:                             ;   in Loop: Header=BB320_9 Depth=1
	s_or_b64 exec, exec, s[36:37]
.LBB320_32:                             ;   in Loop: Header=BB320_9 Depth=1
	s_or_b64 exec, exec, s[34:35]
.LBB320_33:                             ;   in Loop: Header=BB320_9 Depth=1
	s_or_b64 exec, exec, s[16:17]
	global_load_dword v7, v[5:6], off offset:8
	s_waitcnt vmcnt(0)
	v_cmp_ne_u16_sdwa s[4:5], v7, v35 src0_sel:BYTE_0 src1_sel:DWORD
	s_and_saveexec_b64 s[16:17], s[4:5]
	s_cbranch_execz .LBB320_39
; %bb.34:                               ;   in Loop: Header=BB320_9 Depth=1
	v_cmp_ne_u16_sdwa s[4:5], v7, s41 src0_sel:BYTE_0 src1_sel:DWORD
	v_bfrev_b32_e32 v42, 1
	s_and_saveexec_b64 s[34:35], s[4:5]
	s_cbranch_execz .LBB320_38
; %bb.35:                               ;   in Loop: Header=BB320_9 Depth=1
	v_and_b32_e32 v8, 0x7f, v7
	v_cmp_ne_u32_e64 s[4:5], s42, v8
	v_mov_b32_e32 v42, 0x7f800001
	s_and_saveexec_b64 s[36:37], s[4:5]
	s_cbranch_execz .LBB320_37
; %bb.36:                               ;   in Loop: Header=BB320_9 Depth=1
	v_and_b32_e32 v44, 7, v7
	v_ffbh_u32_e32 v42, v44
	v_min_u32_e32 v46, 32, v42
	v_subrev_u32_e32 v42, 28, v46
	v_lshlrev_b64 v[42:43], v42, v[7:8]
	v_lshrrev_b32_e32 v45, 3, v8
	v_sub_u32_e32 v43, 29, v46
	v_and_b32_e32 v42, 7, v42
	v_cmp_gt_u32_e64 s[4:5], 8, v8
	v_cndmask_b32_e64 v8, v45, v43, s[4:5]
	v_cndmask_b32_e64 v42, v44, v42, s[4:5]
	v_lshlrev_b32_e32 v43, 24, v7
	v_lshlrev_b32_e32 v42, 20, v42
	v_and_b32_e32 v43, 0x80000000, v43
	v_lshl_add_u32 v8, v8, 23, v36
	v_or3_b32 v42, v43, v8, v42
.LBB320_37:                             ;   in Loop: Header=BB320_9 Depth=1
	s_or_b64 exec, exec, s[36:37]
.LBB320_38:                             ;   in Loop: Header=BB320_9 Depth=1
	s_or_b64 exec, exec, s[34:35]
.LBB320_39:                             ;   in Loop: Header=BB320_9 Depth=1
	s_or_b64 exec, exec, s[16:17]
	v_lshrrev_b16_e32 v8, 8, v7
	v_cmp_ne_u16_e64 s[4:5], 0, v8
	v_mov_b32_e32 v44, 0
	v_mov_b32_e32 v43, 0
	s_and_saveexec_b64 s[16:17], s[4:5]
	s_cbranch_execz .LBB320_45
; %bb.40:                               ;   in Loop: Header=BB320_9 Depth=1
	v_cmp_ne_u16_e64 s[4:5], s41, v8
	v_bfrev_b32_e32 v43, 1
	s_and_saveexec_b64 s[34:35], s[4:5]
	s_cbranch_execz .LBB320_44
; %bb.41:                               ;   in Loop: Header=BB320_9 Depth=1
	v_and_b32_e32 v45, 0x7f, v8
	v_cmp_ne_u32_e64 s[4:5], s42, v45
	v_mov_b32_e32 v43, 0x7f800001
	s_and_saveexec_b64 s[36:37], s[4:5]
	s_cbranch_execz .LBB320_43
; %bb.42:                               ;   in Loop: Header=BB320_9 Depth=1
	v_and_b32_e32 v43, 7, v8
	v_ffbh_u32_e32 v46, v43
	v_min_u32_e32 v49, 32, v46
	v_subrev_u32_e32 v46, 28, v49
	v_lshlrev_b64 v[46:47], v46, v[8:9]
	v_lshrrev_b32_e32 v48, 3, v45
	v_sub_u32_e32 v8, 29, v49
	v_and_b32_e32 v46, 7, v46
	v_cmp_gt_u32_e64 s[4:5], 8, v45
	v_cndmask_b32_e64 v8, v48, v8, s[4:5]
	v_cndmask_b32_e64 v43, v43, v46, s[4:5]
	v_lshlrev_b32_e32 v45, 16, v7
	v_lshlrev_b32_e32 v43, 20, v43
	v_and_b32_e32 v45, 0x80000000, v45
	v_lshl_add_u32 v8, v8, 23, v36
	v_or3_b32 v43, v45, v8, v43
.LBB320_43:                             ;   in Loop: Header=BB320_9 Depth=1
	s_or_b64 exec, exec, s[36:37]
.LBB320_44:                             ;   in Loop: Header=BB320_9 Depth=1
	s_or_b64 exec, exec, s[34:35]
.LBB320_45:                             ;   in Loop: Header=BB320_9 Depth=1
	s_or_b64 exec, exec, s[16:17]
	v_lshrrev_b32_e32 v8, 16, v7
	v_cmp_ne_u16_sdwa s[4:5], v8, v35 src0_sel:BYTE_0 src1_sel:DWORD
	s_and_saveexec_b64 s[16:17], s[4:5]
	s_cbranch_execz .LBB320_51
; %bb.46:                               ;   in Loop: Header=BB320_9 Depth=1
	v_cmp_ne_u16_sdwa s[4:5], v8, s41 src0_sel:BYTE_0 src1_sel:DWORD
	v_bfrev_b32_e32 v44, 1
	s_and_saveexec_b64 s[34:35], s[4:5]
	s_cbranch_execz .LBB320_50
; %bb.47:                               ;   in Loop: Header=BB320_9 Depth=1
	v_bfe_u32 v45, v7, 16, 7
	v_cmp_ne_u32_e64 s[4:5], s42, v45
	v_mov_b32_e32 v44, 0x7f800001
	s_and_saveexec_b64 s[36:37], s[4:5]
	s_cbranch_execz .LBB320_49
; %bb.48:                               ;   in Loop: Header=BB320_9 Depth=1
	v_and_b32_e32 v44, 7, v8
	v_ffbh_u32_e32 v46, v44
	v_min_u32_e32 v49, 32, v46
	v_subrev_u32_e32 v46, 28, v49
	v_lshlrev_b64 v[46:47], v46, v[8:9]
	v_lshrrev_b32_e32 v48, 3, v45
	v_sub_u32_e32 v47, 29, v49
	v_and_b32_e32 v46, 7, v46
	v_cmp_gt_u32_e64 s[4:5], 8, v45
	v_cndmask_b32_e64 v45, v48, v47, s[4:5]
	v_cndmask_b32_e64 v44, v44, v46, s[4:5]
	v_lshlrev_b32_e32 v8, 24, v8
	v_lshlrev_b32_e32 v44, 20, v44
	v_and_b32_e32 v8, 0x80000000, v8
	v_lshl_add_u32 v45, v45, 23, v36
	v_or3_b32 v44, v8, v45, v44
.LBB320_49:                             ;   in Loop: Header=BB320_9 Depth=1
	s_or_b64 exec, exec, s[36:37]
.LBB320_50:                             ;   in Loop: Header=BB320_9 Depth=1
	s_or_b64 exec, exec, s[34:35]
.LBB320_51:                             ;   in Loop: Header=BB320_9 Depth=1
	s_or_b64 exec, exec, s[16:17]
	v_cmp_lt_u32_e64 s[4:5], s43, v7
	v_mov_b32_e32 v46, 0
	v_mov_b32_e32 v45, 0
	s_and_saveexec_b64 s[16:17], s[4:5]
	s_cbranch_execz .LBB320_57
; %bb.52:                               ;   in Loop: Header=BB320_9 Depth=1
	v_lshrrev_b32_e32 v8, 24, v7
	v_cmp_ne_u32_e64 s[4:5], s41, v8
	v_bfrev_b32_e32 v45, 1
	s_and_saveexec_b64 s[34:35], s[4:5]
	s_cbranch_execz .LBB320_56
; %bb.53:                               ;   in Loop: Header=BB320_9 Depth=1
	v_bfe_u32 v7, v7, 24, 7
	v_cmp_ne_u32_e64 s[4:5], s42, v7
	v_mov_b32_e32 v45, 0x7f800001
	s_and_saveexec_b64 s[36:37], s[4:5]
	s_cbranch_execz .LBB320_55
; %bb.54:                               ;   in Loop: Header=BB320_9 Depth=1
	v_and_b32_e32 v45, 7, v8
	v_ffbh_u32_e32 v47, v45
	v_min_u32_e32 v50, 32, v47
	v_subrev_u32_e32 v47, 28, v50
	v_lshlrev_b64 v[47:48], v47, v[8:9]
	v_lshrrev_b32_e32 v49, 3, v7
	v_sub_u32_e32 v48, 29, v50
	v_and_b32_e32 v47, 7, v47
	v_cmp_gt_u32_e64 s[4:5], 8, v7
	v_cndmask_b32_e64 v7, v49, v48, s[4:5]
	v_cndmask_b32_e64 v45, v45, v47, s[4:5]
	v_lshlrev_b32_e32 v8, 24, v8
	v_lshlrev_b32_e32 v45, 20, v45
	v_and_b32_e32 v8, 0x80000000, v8
	v_lshl_add_u32 v7, v7, 23, v36
	v_or3_b32 v45, v8, v7, v45
.LBB320_55:                             ;   in Loop: Header=BB320_9 Depth=1
	s_or_b64 exec, exec, s[36:37]
.LBB320_56:                             ;   in Loop: Header=BB320_9 Depth=1
	s_or_b64 exec, exec, s[34:35]
.LBB320_57:                             ;   in Loop: Header=BB320_9 Depth=1
	s_or_b64 exec, exec, s[16:17]
	global_load_dword v7, v[5:6], off offset:512
	s_waitcnt vmcnt(0)
	v_cmp_ne_u16_sdwa s[4:5], v7, v35 src0_sel:BYTE_0 src1_sel:DWORD
	s_and_saveexec_b64 s[16:17], s[4:5]
	s_cbranch_execz .LBB320_63
; %bb.58:                               ;   in Loop: Header=BB320_9 Depth=1
	v_cmp_ne_u16_sdwa s[4:5], v7, s41 src0_sel:BYTE_0 src1_sel:DWORD
	v_bfrev_b32_e32 v46, 1
	s_and_saveexec_b64 s[34:35], s[4:5]
	s_cbranch_execz .LBB320_62
; %bb.59:                               ;   in Loop: Header=BB320_9 Depth=1
	v_and_b32_e32 v8, 0x7f, v7
	v_cmp_ne_u32_e64 s[4:5], s42, v8
	v_mov_b32_e32 v46, 0x7f800001
	s_and_saveexec_b64 s[36:37], s[4:5]
	s_cbranch_execz .LBB320_61
; %bb.60:                               ;   in Loop: Header=BB320_9 Depth=1
	v_and_b32_e32 v48, 7, v7
	v_ffbh_u32_e32 v46, v48
	v_min_u32_e32 v50, 32, v46
	v_subrev_u32_e32 v46, 28, v50
	v_lshlrev_b64 v[46:47], v46, v[7:8]
	v_lshrrev_b32_e32 v49, 3, v8
	v_sub_u32_e32 v47, 29, v50
	v_and_b32_e32 v46, 7, v46
	v_cmp_gt_u32_e64 s[4:5], 8, v8
	v_cndmask_b32_e64 v8, v49, v47, s[4:5]
	v_cndmask_b32_e64 v46, v48, v46, s[4:5]
	v_lshlrev_b32_e32 v47, 24, v7
	v_lshlrev_b32_e32 v46, 20, v46
	v_and_b32_e32 v47, 0x80000000, v47
	v_lshl_add_u32 v8, v8, 23, v36
	v_or3_b32 v46, v47, v8, v46
.LBB320_61:                             ;   in Loop: Header=BB320_9 Depth=1
	s_or_b64 exec, exec, s[36:37]
.LBB320_62:                             ;   in Loop: Header=BB320_9 Depth=1
	s_or_b64 exec, exec, s[34:35]
.LBB320_63:                             ;   in Loop: Header=BB320_9 Depth=1
	s_or_b64 exec, exec, s[16:17]
	v_lshrrev_b16_e32 v8, 8, v7
	v_cmp_ne_u16_e64 s[4:5], 0, v8
	v_mov_b32_e32 v48, 0
	v_mov_b32_e32 v47, 0
	s_and_saveexec_b64 s[16:17], s[4:5]
	s_cbranch_execz .LBB320_69
; %bb.64:                               ;   in Loop: Header=BB320_9 Depth=1
	v_cmp_ne_u16_e64 s[4:5], s41, v8
	v_bfrev_b32_e32 v47, 1
	s_and_saveexec_b64 s[34:35], s[4:5]
	s_cbranch_execz .LBB320_68
; %bb.65:                               ;   in Loop: Header=BB320_9 Depth=1
	v_and_b32_e32 v49, 0x7f, v8
	v_cmp_ne_u32_e64 s[4:5], s42, v49
	v_mov_b32_e32 v47, 0x7f800001
	s_and_saveexec_b64 s[36:37], s[4:5]
	s_cbranch_execz .LBB320_67
; %bb.66:                               ;   in Loop: Header=BB320_9 Depth=1
	v_and_b32_e32 v47, 7, v8
	v_ffbh_u32_e32 v50, v47
	v_min_u32_e32 v53, 32, v50
	v_subrev_u32_e32 v50, 28, v53
	v_lshlrev_b64 v[50:51], v50, v[8:9]
	v_lshrrev_b32_e32 v52, 3, v49
	v_sub_u32_e32 v8, 29, v53
	v_and_b32_e32 v50, 7, v50
	v_cmp_gt_u32_e64 s[4:5], 8, v49
	v_cndmask_b32_e64 v8, v52, v8, s[4:5]
	v_cndmask_b32_e64 v47, v47, v50, s[4:5]
	v_lshlrev_b32_e32 v49, 16, v7
	v_lshlrev_b32_e32 v47, 20, v47
	v_and_b32_e32 v49, 0x80000000, v49
	v_lshl_add_u32 v8, v8, 23, v36
	v_or3_b32 v47, v49, v8, v47
.LBB320_67:                             ;   in Loop: Header=BB320_9 Depth=1
	s_or_b64 exec, exec, s[36:37]
.LBB320_68:                             ;   in Loop: Header=BB320_9 Depth=1
	s_or_b64 exec, exec, s[34:35]
.LBB320_69:                             ;   in Loop: Header=BB320_9 Depth=1
	s_or_b64 exec, exec, s[16:17]
	v_lshrrev_b32_e32 v8, 16, v7
	v_cmp_ne_u16_sdwa s[4:5], v8, v35 src0_sel:BYTE_0 src1_sel:DWORD
	s_and_saveexec_b64 s[16:17], s[4:5]
	s_cbranch_execz .LBB320_75
; %bb.70:                               ;   in Loop: Header=BB320_9 Depth=1
	v_cmp_ne_u16_sdwa s[4:5], v8, s41 src0_sel:BYTE_0 src1_sel:DWORD
	v_bfrev_b32_e32 v48, 1
	s_and_saveexec_b64 s[34:35], s[4:5]
	s_cbranch_execz .LBB320_74
; %bb.71:                               ;   in Loop: Header=BB320_9 Depth=1
	v_bfe_u32 v49, v7, 16, 7
	v_cmp_ne_u32_e64 s[4:5], s42, v49
	v_mov_b32_e32 v48, 0x7f800001
	s_and_saveexec_b64 s[36:37], s[4:5]
	s_cbranch_execz .LBB320_73
; %bb.72:                               ;   in Loop: Header=BB320_9 Depth=1
	v_and_b32_e32 v48, 7, v8
	v_ffbh_u32_e32 v50, v48
	v_min_u32_e32 v53, 32, v50
	v_subrev_u32_e32 v50, 28, v53
	v_lshlrev_b64 v[50:51], v50, v[8:9]
	v_lshrrev_b32_e32 v52, 3, v49
	v_sub_u32_e32 v51, 29, v53
	v_and_b32_e32 v50, 7, v50
	v_cmp_gt_u32_e64 s[4:5], 8, v49
	v_cndmask_b32_e64 v49, v52, v51, s[4:5]
	v_cndmask_b32_e64 v48, v48, v50, s[4:5]
	v_lshlrev_b32_e32 v8, 24, v8
	v_lshlrev_b32_e32 v48, 20, v48
	v_and_b32_e32 v8, 0x80000000, v8
	v_lshl_add_u32 v49, v49, 23, v36
	v_or3_b32 v48, v8, v49, v48
.LBB320_73:                             ;   in Loop: Header=BB320_9 Depth=1
	s_or_b64 exec, exec, s[36:37]
.LBB320_74:                             ;   in Loop: Header=BB320_9 Depth=1
	s_or_b64 exec, exec, s[34:35]
.LBB320_75:                             ;   in Loop: Header=BB320_9 Depth=1
	s_or_b64 exec, exec, s[16:17]
	v_cmp_lt_u32_e64 s[4:5], s43, v7
	v_mov_b32_e32 v50, 0
	v_mov_b32_e32 v49, 0
	s_and_saveexec_b64 s[16:17], s[4:5]
	s_cbranch_execz .LBB320_81
; %bb.76:                               ;   in Loop: Header=BB320_9 Depth=1
	v_lshrrev_b32_e32 v8, 24, v7
	v_cmp_ne_u32_e64 s[4:5], s41, v8
	v_bfrev_b32_e32 v49, 1
	s_and_saveexec_b64 s[34:35], s[4:5]
	s_cbranch_execz .LBB320_80
; %bb.77:                               ;   in Loop: Header=BB320_9 Depth=1
	v_bfe_u32 v7, v7, 24, 7
	v_cmp_ne_u32_e64 s[4:5], s42, v7
	v_mov_b32_e32 v49, 0x7f800001
	s_and_saveexec_b64 s[36:37], s[4:5]
	s_cbranch_execz .LBB320_79
; %bb.78:                               ;   in Loop: Header=BB320_9 Depth=1
	v_and_b32_e32 v49, 7, v8
	v_ffbh_u32_e32 v51, v49
	v_min_u32_e32 v54, 32, v51
	v_subrev_u32_e32 v51, 28, v54
	v_lshlrev_b64 v[51:52], v51, v[8:9]
	v_lshrrev_b32_e32 v53, 3, v7
	v_sub_u32_e32 v52, 29, v54
	v_and_b32_e32 v51, 7, v51
	v_cmp_gt_u32_e64 s[4:5], 8, v7
	v_cndmask_b32_e64 v7, v53, v52, s[4:5]
	v_cndmask_b32_e64 v49, v49, v51, s[4:5]
	v_lshlrev_b32_e32 v8, 24, v8
	v_lshlrev_b32_e32 v49, 20, v49
	v_and_b32_e32 v8, 0x80000000, v8
	v_lshl_add_u32 v7, v7, 23, v36
	v_or3_b32 v49, v8, v7, v49
.LBB320_79:                             ;   in Loop: Header=BB320_9 Depth=1
	s_or_b64 exec, exec, s[36:37]
.LBB320_80:                             ;   in Loop: Header=BB320_9 Depth=1
	s_or_b64 exec, exec, s[34:35]
.LBB320_81:                             ;   in Loop: Header=BB320_9 Depth=1
	s_or_b64 exec, exec, s[16:17]
	global_load_dword v5, v[5:6], off offset:520
	s_waitcnt vmcnt(0)
	v_cmp_ne_u16_sdwa s[4:5], v5, v35 src0_sel:BYTE_0 src1_sel:DWORD
	s_and_saveexec_b64 s[16:17], s[4:5]
	s_cbranch_execz .LBB320_87
; %bb.82:                               ;   in Loop: Header=BB320_9 Depth=1
	v_cmp_ne_u16_sdwa s[4:5], v5, s41 src0_sel:BYTE_0 src1_sel:DWORD
	v_bfrev_b32_e32 v50, 1
	s_and_saveexec_b64 s[34:35], s[4:5]
	s_cbranch_execz .LBB320_86
; %bb.83:                               ;   in Loop: Header=BB320_9 Depth=1
	v_and_b32_e32 v6, 0x7f, v5
	v_cmp_ne_u32_e64 s[4:5], s42, v6
	v_mov_b32_e32 v50, 0x7f800001
	s_and_saveexec_b64 s[36:37], s[4:5]
	s_cbranch_execz .LBB320_85
; %bb.84:                               ;   in Loop: Header=BB320_9 Depth=1
	v_and_b32_e32 v50, 7, v5
	v_ffbh_u32_e32 v7, v50
	v_min_u32_e32 v52, 32, v7
	v_subrev_u32_e32 v7, 28, v52
	v_lshlrev_b64 v[7:8], v7, v[5:6]
	v_lshrrev_b32_e32 v51, 3, v6
	v_sub_u32_e32 v8, 29, v52
	v_and_b32_e32 v7, 7, v7
	v_cmp_gt_u32_e64 s[4:5], 8, v6
	v_cndmask_b32_e64 v6, v51, v8, s[4:5]
	v_cndmask_b32_e64 v7, v50, v7, s[4:5]
	v_lshlrev_b32_e32 v8, 24, v5
	v_lshlrev_b32_e32 v7, 20, v7
	v_and_b32_e32 v8, 0x80000000, v8
	v_lshl_add_u32 v6, v6, 23, v36
	v_or3_b32 v50, v8, v6, v7
.LBB320_85:                             ;   in Loop: Header=BB320_9 Depth=1
	s_or_b64 exec, exec, s[36:37]
.LBB320_86:                             ;   in Loop: Header=BB320_9 Depth=1
	s_or_b64 exec, exec, s[34:35]
.LBB320_87:                             ;   in Loop: Header=BB320_9 Depth=1
	s_or_b64 exec, exec, s[16:17]
	v_lshrrev_b16_e32 v6, 8, v5
	v_cmp_ne_u16_e64 s[4:5], 0, v6
	v_mov_b32_e32 v7, 0
	v_mov_b32_e32 v8, 0
	s_and_saveexec_b64 s[16:17], s[4:5]
	s_cbranch_execz .LBB320_93
; %bb.88:                               ;   in Loop: Header=BB320_9 Depth=1
	v_cmp_ne_u16_e64 s[4:5], s41, v6
	v_bfrev_b32_e32 v8, 1
	s_and_saveexec_b64 s[34:35], s[4:5]
	s_cbranch_execz .LBB320_92
; %bb.89:                               ;   in Loop: Header=BB320_9 Depth=1
	v_and_b32_e32 v51, 0x7f, v6
	v_cmp_ne_u32_e64 s[4:5], s42, v51
	v_mov_b32_e32 v8, 0x7f800001
	s_and_saveexec_b64 s[36:37], s[4:5]
	s_cbranch_execz .LBB320_91
; %bb.90:                               ;   in Loop: Header=BB320_9 Depth=1
	v_and_b32_e32 v8, 7, v6
	v_ffbh_u32_e32 v52, v8
	v_min_u32_e32 v55, 32, v52
	v_subrev_u32_e32 v52, 28, v55
	v_lshlrev_b64 v[52:53], v52, v[6:7]
	v_lshrrev_b32_e32 v54, 3, v51
	v_sub_u32_e32 v6, 29, v55
	v_and_b32_e32 v52, 7, v52
	v_cmp_gt_u32_e64 s[4:5], 8, v51
	v_cndmask_b32_e64 v6, v54, v6, s[4:5]
	v_cndmask_b32_e64 v8, v8, v52, s[4:5]
	v_lshlrev_b32_e32 v51, 16, v5
	v_lshlrev_b32_e32 v8, 20, v8
	v_and_b32_e32 v51, 0x80000000, v51
	v_lshl_add_u32 v6, v6, 23, v36
	v_or3_b32 v8, v51, v6, v8
.LBB320_91:                             ;   in Loop: Header=BB320_9 Depth=1
	s_or_b64 exec, exec, s[36:37]
.LBB320_92:                             ;   in Loop: Header=BB320_9 Depth=1
	s_or_b64 exec, exec, s[34:35]
.LBB320_93:                             ;   in Loop: Header=BB320_9 Depth=1
	s_or_b64 exec, exec, s[16:17]
	v_lshrrev_b32_e32 v6, 16, v5
	v_cmp_ne_u16_sdwa s[4:5], v6, v35 src0_sel:BYTE_0 src1_sel:DWORD
	s_and_saveexec_b64 s[16:17], s[4:5]
	s_cbranch_execz .LBB320_99
; %bb.94:                               ;   in Loop: Header=BB320_9 Depth=1
	v_cmp_ne_u16_sdwa s[4:5], v6, s41 src0_sel:BYTE_0 src1_sel:DWORD
	v_bfrev_b32_e32 v7, 1
	s_and_saveexec_b64 s[34:35], s[4:5]
	s_cbranch_execz .LBB320_98
; %bb.95:                               ;   in Loop: Header=BB320_9 Depth=1
	v_bfe_u32 v51, v5, 16, 7
	v_cmp_ne_u32_e64 s[4:5], s42, v51
	v_mov_b32_e32 v7, 0x7f800001
	s_and_saveexec_b64 s[36:37], s[4:5]
	s_cbranch_execz .LBB320_97
; %bb.96:                               ;   in Loop: Header=BB320_9 Depth=1
	v_and_b32_e32 v7, 7, v6
	v_ffbh_u32_e32 v52, v7
	v_min_u32_e32 v55, 32, v52
	v_subrev_u32_e32 v52, 28, v55
	v_lshlrev_b64 v[52:53], v52, v[6:7]
	v_lshrrev_b32_e32 v54, 3, v51
	v_sub_u32_e32 v53, 29, v55
	v_and_b32_e32 v52, 7, v52
	v_cmp_gt_u32_e64 s[4:5], 8, v51
	v_cndmask_b32_e64 v51, v54, v53, s[4:5]
	v_cndmask_b32_e64 v7, v7, v52, s[4:5]
	v_lshlrev_b32_e32 v6, 24, v6
	v_lshlrev_b32_e32 v7, 20, v7
	v_and_b32_e32 v6, 0x80000000, v6
	v_lshl_add_u32 v51, v51, 23, v36
	v_or3_b32 v7, v6, v51, v7
.LBB320_97:                             ;   in Loop: Header=BB320_9 Depth=1
	s_or_b64 exec, exec, s[36:37]
.LBB320_98:                             ;   in Loop: Header=BB320_9 Depth=1
	s_or_b64 exec, exec, s[34:35]
.LBB320_99:                             ;   in Loop: Header=BB320_9 Depth=1
	s_or_b64 exec, exec, s[16:17]
	v_cmp_lt_u32_e64 s[4:5], s43, v5
	v_mov_b32_e32 v51, 0
	s_and_saveexec_b64 s[16:17], s[4:5]
	s_cbranch_execz .LBB320_105
; %bb.100:                              ;   in Loop: Header=BB320_9 Depth=1
	v_lshrrev_b32_e32 v6, 24, v5
	v_cmp_ne_u32_e64 s[4:5], s41, v6
	v_bfrev_b32_e32 v51, 1
	s_and_saveexec_b64 s[34:35], s[4:5]
	s_cbranch_execz .LBB320_104
; %bb.101:                              ;   in Loop: Header=BB320_9 Depth=1
	v_bfe_u32 v5, v5, 24, 7
	v_cmp_ne_u32_e64 s[4:5], s42, v5
	v_mov_b32_e32 v51, 0x7f800001
	s_and_saveexec_b64 s[36:37], s[4:5]
	s_cbranch_execz .LBB320_103
; %bb.102:                              ;   in Loop: Header=BB320_9 Depth=1
	v_and_b32_e32 v53, 7, v6
	v_ffbh_u32_e32 v51, v53
	v_min_u32_e32 v55, 32, v51
	v_subrev_u32_e32 v51, 28, v55
	v_lshlrev_b64 v[51:52], v51, v[6:7]
	v_lshrrev_b32_e32 v54, 3, v5
	v_sub_u32_e32 v52, 29, v55
	v_and_b32_e32 v51, 7, v51
	v_cmp_gt_u32_e64 s[4:5], 8, v5
	v_cndmask_b32_e64 v5, v54, v52, s[4:5]
	v_cndmask_b32_e64 v51, v53, v51, s[4:5]
	v_lshlrev_b32_e32 v6, 24, v6
	v_lshlrev_b32_e32 v51, 20, v51
	v_and_b32_e32 v6, 0x80000000, v6
	v_lshl_add_u32 v5, v5, 23, v36
	v_or3_b32 v51, v6, v5, v51
.LBB320_103:                            ;   in Loop: Header=BB320_9 Depth=1
	s_or_b64 exec, exec, s[36:37]
.LBB320_104:                            ;   in Loop: Header=BB320_9 Depth=1
	s_or_b64 exec, exec, s[34:35]
.LBB320_105:                            ;   in Loop: Header=BB320_9 Depth=1
	s_or_b64 exec, exec, s[16:17]
	s_waitcnt lgkmcnt(0)
	v_mul_f32_e32 v5, s40, v8
	v_bfe_u32 v6, v5, 16, 1
	v_add3_u32 v6, v6, v5, s44
	v_or_b32_e32 v8, 0x400000, v5
	v_cmp_u_f32_e64 s[4:5], v5, v5
	v_cndmask_b32_e64 v5, v6, v8, s[4:5]
	v_mul_f32_e32 v6, s40, v50
	v_bfe_u32 v8, v6, 16, 1
	v_add3_u32 v8, v8, v6, s44
	v_or_b32_e32 v50, 0x400000, v6
	v_cmp_u_f32_e64 s[4:5], v6, v6
	v_cndmask_b32_e64 v6, v8, v50, s[4:5]
	;; [unrolled: 6-line block ×3, first 2 shown]
	v_mul_f32_e32 v48, s40, v49
	v_bfe_u32 v49, v48, 16, 1
	v_add3_u32 v49, v49, v48, s44
	v_or_b32_e32 v50, 0x400000, v48
	v_cmp_u_f32_e64 s[4:5], v48, v48
	v_mul_f32_e32 v47, s40, v47
	v_cndmask_b32_e64 v48, v49, v50, s[4:5]
	v_bfe_u32 v49, v47, 16, 1
	v_add3_u32 v49, v49, v47, s44
	v_or_b32_e32 v50, 0x400000, v47
	v_cmp_u_f32_e64 s[4:5], v47, v47
	v_mul_f32_e32 v46, s40, v46
	v_cndmask_b32_e64 v47, v49, v50, s[4:5]
	;; [unrolled: 6-line block ×10, first 2 shown]
	v_bfe_u32 v49, v38, 16, 1
	v_add3_u32 v49, v49, v38, s44
	v_or_b32_e32 v50, 0x400000, v38
	v_cmp_u_f32_e64 s[4:5], v38, v38
	v_cndmask_b32_e64 v38, v49, v50, s[4:5]
	v_and_b32_e32 v42, 0xffff0000, v42
	v_and_b32_e32 v38, 0xffff0000, v38
	v_and_b32_e32 v43, 0xffff0000, v43
	v_mul_f32_e32 v42, v18, v42
	v_mul_f32_e32 v7, s40, v7
	v_and_b32_e32 v39, 0xffff0000, v39
	v_fmac_f32_e32 v42, v14, v38
	v_mul_f32_e32 v38, v19, v43
	v_bfe_u32 v49, v7, 16, 1
	v_fmac_f32_e32 v38, v15, v39
	v_and_b32_e32 v39, 0xffff0000, v44
	v_add3_u32 v49, v49, v7, s44
	v_or_b32_e32 v50, 0x400000, v7
	v_cmp_u_f32_e64 s[4:5], v7, v7
	v_and_b32_e32 v40, 0xffff0000, v40
	v_and_b32_e32 v43, 0xffff0000, v45
	v_mul_f32_e32 v39, v21, v39
	v_cndmask_b32_e64 v7, v49, v50, s[4:5]
	v_mul_f32_e32 v49, s40, v51
	v_and_b32_e32 v41, 0xffff0000, v41
	v_fmac_f32_e32 v39, v16, v40
	v_mul_f32_e32 v40, v22, v43
	v_bfe_u32 v50, v49, 16, 1
	v_fmac_f32_e32 v40, v17, v41
	v_and_b32_e32 v41, 0xffff0000, v46
	v_and_b32_e32 v43, 0xffff0000, v47
	v_add3_u32 v50, v50, v49, s44
	v_or_b32_e32 v51, 0x400000, v49
	v_cmp_u_f32_e64 s[4:5], v49, v49
	v_fmac_f32_e32 v42, v23, v41
	v_fmac_f32_e32 v38, v24, v43
	v_and_b32_e32 v8, 0xffff0000, v8
	v_and_b32_e32 v6, 0xffff0000, v6
	;; [unrolled: 1-line block ×3, first 2 shown]
	v_cndmask_b32_e64 v49, v50, v51, s[4:5]
	v_and_b32_e32 v41, 0xffff0000, v48
	v_fmac_f32_e32 v39, v25, v8
	v_fmac_f32_e32 v42, v27, v6
	v_fmac_f32_e32 v38, v28, v5
	v_and_b32_e32 v5, 0xffff0000, v7
	v_fmac_f32_e32 v40, v26, v41
	v_and_b32_e32 v6, 0xffff0000, v49
	v_fmac_f32_e32 v39, v29, v5
	v_add_f32_e32 v5, v42, v38
	v_fmac_f32_e32 v40, v30, v6
	v_add_f32_e32 v5, v5, v39
	v_add_f32_e32 v5, v5, v40
	ds_bpermute_b32 v6, v32, v5
	s_and_saveexec_b64 s[16:17], vcc
	s_cbranch_execz .LBB320_8
; %bb.106:                              ;   in Loop: Header=BB320_9 Depth=1
	v_add_u32_e32 v7, s38, v33
	v_cvt_f32_i32_e32 v7, v7
	s_waitcnt lgkmcnt(0)
	v_add_f32_e32 v5, v5, v6
	v_cmp_gt_i32_e64 s[4:5], s30, v33
	v_max_f32_e32 v6, v31, v31
	v_mul_f32_e32 v7, s33, v7
	v_cndmask_b32_e64 v7, 0, v7, s[2:3]
	v_fmac_f32_e32 v7, s31, v5
	v_cndmask_b32_e64 v5, 0, v7, s[4:5]
	ds_write_b32 v34, v5
	v_max_f32_e32 v5, v6, v7
	v_cndmask_b32_e64 v31, v31, v5, s[4:5]
	s_branch .LBB320_8
.LBB320_107:
	s_or_b64 exec, exec, s[14:15]
.LBB320_108:
	s_or_b64 exec, exec, s[6:7]
	v_xor_b32_e32 v1, 32, v10
	v_cmp_lt_i32_e32 vcc, v1, v12
	v_cndmask_b32_e32 v1, v10, v1, vcc
	v_lshlrev_b32_e32 v1, 2, v1
	ds_bpermute_b32 v2, v1, v31
	v_xor_b32_e32 v4, 16, v10
	v_max_f32_e32 v3, v31, v31
	v_cmp_lt_i32_e32 vcc, v4, v12
	v_xor_b32_e32 v5, 8, v10
	s_waitcnt lgkmcnt(0)
	v_max_f32_e32 v2, v2, v2
	v_max_f32_e32 v3, v3, v2
	v_cndmask_b32_e32 v2, v10, v4, vcc
	v_lshlrev_b32_e32 v2, 2, v2
	ds_bpermute_b32 v4, v2, v3
	v_cmp_lt_i32_e32 vcc, v5, v12
	v_xor_b32_e32 v6, 4, v10
	v_xor_b32_e32 v7, 2, v10
	v_and_b32_e32 v21, 63, v0
	s_waitcnt lgkmcnt(0)
	v_max_f32_e32 v4, v4, v4
	v_max_f32_e32 v4, v3, v4
	v_cndmask_b32_e32 v3, v10, v5, vcc
	v_lshlrev_b32_e32 v3, 2, v3
	ds_bpermute_b32 v5, v3, v4
	v_cmp_lt_i32_e32 vcc, v6, v12
	s_waitcnt lgkmcnt(0)
	v_max_f32_e32 v5, v5, v5
	v_max_f32_e32 v5, v4, v5
	v_cndmask_b32_e32 v4, v10, v6, vcc
	v_lshlrev_b32_e32 v4, 2, v4
	ds_bpermute_b32 v6, v4, v5
	v_cmp_lt_i32_e32 vcc, v7, v12
	s_waitcnt lgkmcnt(0)
	v_max_f32_e32 v6, v6, v6
	v_max_f32_e32 v6, v5, v6
	v_cndmask_b32_e32 v5, v10, v7, vcc
	v_lshlrev_b32_e32 v22, 2, v5
	ds_bpermute_b32 v7, v22, v6
	v_cmp_eq_u32_e32 vcc, 0, v21
	v_lshlrev_b32_e32 v5, 2, v20
	s_and_saveexec_b64 s[2:3], vcc
	s_cbranch_execz .LBB320_110
; %bb.109:
	s_waitcnt lgkmcnt(0)
	v_max_f32_e32 v7, v7, v7
	v_max_f32_e32 v6, v6, v6
	;; [unrolled: 1-line block ×3, first 2 shown]
	ds_write_b32 v5, v6 offset:64
.LBB320_110:
	s_or_b64 exec, exec, s[2:3]
	v_cmp_gt_u32_e64 s[2:3], 2, v21
	s_waitcnt lgkmcnt(0)
	v_mov_b32_e32 v7, 0xff7fffff
	v_lshlrev_b32_e32 v6, 2, v21
	s_barrier
	s_and_saveexec_b64 s[4:5], s[2:3]
; %bb.111:
	ds_read_b32 v7, v6 offset:64
; %bb.112:
	s_or_b64 exec, exec, s[4:5]
	v_xor_b32_e32 v8, 1, v10
	v_cmp_lt_i32_e64 s[4:5], v8, v12
	v_cndmask_b32_e64 v8, v10, v8, s[4:5]
	v_lshlrev_b32_e32 v23, 2, v8
	s_waitcnt lgkmcnt(0)
	ds_bpermute_b32 v8, v23, v7
	v_max_f32_e32 v7, v7, v7
	s_lshl_b32 s4, s21, 5
	s_min_i32 s31, s4, s30
	v_cmp_gt_i32_e64 s[4:5], s31, v0
	s_waitcnt lgkmcnt(0)
	v_max_f32_e32 v8, v8, v8
	v_max_f32_e32 v7, v7, v8
	v_lshlrev_b32_e32 v8, 2, v11
	ds_bpermute_b32 v8, v8, v7
	v_mov_b32_e32 v7, 0
	s_and_saveexec_b64 s[14:15], s[4:5]
	s_cbranch_execz .LBB320_116
; %bb.113:
	v_mov_b32_e32 v7, 0x50
	v_lshl_add_u32 v11, v0, 2, v7
	v_mov_b32_e32 v7, 0
	s_mov_b64 s[16:17], 0
	v_mov_b32_e32 v12, v0
.LBB320_114:                            ; =>This Inner Loop Header: Depth=1
	ds_read_b32 v14, v11
	v_add_u32_e32 v12, 0x80, v12
	v_cmp_le_i32_e64 s[6:7], s31, v12
	s_or_b64 s[16:17], s[6:7], s[16:17]
	s_waitcnt lgkmcnt(0)
	v_sub_f32_e32 v14, v14, v8
	v_mul_f32_e32 v14, 0x3fb8aa3b, v14
	v_exp_f32_e32 v14, v14
	ds_write_b32 v11, v14
	v_add_f32_e32 v7, v7, v14
	v_add_u32_e32 v11, 0x200, v11
	s_andn2_b64 exec, exec, s[16:17]
	s_cbranch_execnz .LBB320_114
; %bb.115:
	s_or_b64 exec, exec, s[16:17]
.LBB320_116:
	s_or_b64 exec, exec, s[14:15]
	ds_bpermute_b32 v1, v1, v7
	s_waitcnt lgkmcnt(0)
	v_add_f32_e32 v1, v7, v1
	ds_bpermute_b32 v2, v2, v1
	s_waitcnt lgkmcnt(0)
	v_add_f32_e32 v1, v1, v2
	;; [unrolled: 3-line block ×6, first 2 shown]
	s_and_saveexec_b64 s[6:7], vcc
; %bb.117:
	ds_write_b32 v5, v1 offset:72
; %bb.118:
	s_or_b64 exec, exec, s[6:7]
	s_waitcnt lgkmcnt(0)
	s_barrier
	s_and_saveexec_b64 s[6:7], s[2:3]
; %bb.119:
	ds_read_b32 v1, v6 offset:72
; %bb.120:
	s_or_b64 exec, exec, s[6:7]
	s_waitcnt lgkmcnt(0)
	ds_bpermute_b32 v2, v23, v1
	v_lshlrev_b32_e32 v3, 2, v10
	s_waitcnt lgkmcnt(0)
	v_add_f32_e32 v1, v1, v2
	v_and_b32_e32 v2, 0xffffff00, v3
	ds_bpermute_b32 v1, v2, v1
	s_and_saveexec_b64 s[2:3], s[4:5]
	s_cbranch_execz .LBB320_123
; %bb.121:
	s_waitcnt lgkmcnt(0)
	v_add_f32_e32 v2, 0x358637bd, v1
	v_div_scale_f32 v1, s[4:5], v2, v2, 1.0
	v_div_scale_f32 v3, vcc, 1.0, v2, 1.0
	s_mov_b64 s[4:5], 0
	v_rcp_f32_e32 v4, v1
	v_fma_f32 v5, -v1, v4, 1.0
	v_fmac_f32_e32 v4, v5, v4
	v_mul_f32_e32 v5, v3, v4
	v_fma_f32 v6, -v1, v5, v3
	v_fmac_f32_e32 v5, v6, v4
	v_fma_f32 v1, -v1, v5, v3
	v_div_fmas_f32 v3, v1, v4, v5
	v_mov_b32_e32 v1, 0x50
	v_lshl_add_u32 v1, v0, 2, v1
	v_div_fixup_f32 v2, v3, v2, 1.0
	v_mov_b32_e32 v3, v0
.LBB320_122:                            ; =>This Inner Loop Header: Depth=1
	ds_read_b32 v4, v1
	v_add_u32_e32 v3, 0x80, v3
	v_cmp_le_i32_e32 vcc, s31, v3
	s_or_b64 s[4:5], vcc, s[4:5]
	s_waitcnt lgkmcnt(0)
	v_mul_f32_e32 v4, v2, v4
	ds_write_b32 v1, v4
	v_add_u32_e32 v1, 0x200, v1
	s_andn2_b64 exec, exec, s[4:5]
	s_cbranch_execnz .LBB320_122
.LBB320_123:
	s_or_b64 exec, exec, s[2:3]
	v_mov_b32_e32 v25, 0
	v_and_b32_e32 v24, 3, v0
	v_mov_b32_e32 v27, 0
	s_waitcnt lgkmcnt(0)
	s_barrier
	s_and_saveexec_b64 s[2:3], s[0:1]
	s_cbranch_execz .LBB320_227
; %bb.124:
	s_ashr_i32 s0, s12, 31
	s_add_u32 s1, s28, s12
	v_and_b32_e32 v2, 0x1f8, v9
	v_and_b32_e32 v1, 24, v9
	s_addc_u32 s0, s29, s0
	v_add_co_u32_e32 v11, vcc, s1, v2
	v_lshlrev_b32_e32 v2, 5, v20
	s_load_dword s18, s[18:19], 0x0
	s_add_i32 s19, s21, -1
	v_mov_b32_e32 v3, s0
	v_or3_b32 v26, v2, v1, 7
	v_lshlrev_b32_e32 v1, 5, v24
	s_lshl_b64 s[0:1], s[26:27], 2
	v_lshl_or_b32 v1, v20, 7, v1
	s_add_u32 s0, s24, s0
	v_addc_co_u32_e32 v12, vcc, 0, v3, vcc
	v_add_u32_e32 v28, 0x50, v1
	v_and_b32_e32 v1, 60, v13
	s_addc_u32 s1, s25, s1
	s_mov_b32 s4, -1
	v_mov_b32_e32 v2, s1
	v_add_co_u32_e32 v13, vcc, s0, v1
	s_mov_b32 s31, s13
	s_mov_b32 s5, 0xffffff
	v_mov_b32_e32 v10, 0
	v_addc_co_u32_e32 v14, vcc, 0, v2, vcc
	s_mov_b64 s[6:7], 0
	s_movk_i32 s24, 0x80
	s_movk_i32 s25, 0x7f
	;; [unrolled: 1-line block ×3, first 2 shown]
	v_bfrev_b32_e32 v29, 60
	v_mov_b32_e32 v27, 0
	v_mov_b32_e32 v25, 0
	s_branch .LBB320_126
.LBB320_125:                            ;   in Loop: Header=BB320_126 Depth=1
	s_or_b64 exec, exec, s[0:1]
	v_bfe_u32 v36, v5, 16, 1
	v_add3_u32 v36, v36, v5, s26
	v_or_b32_e32 v37, 0x400000, v5
	v_cmp_u_f32_e32 vcc, v5, v5
	v_cndmask_b32_e32 v5, v36, v37, vcc
	v_bfe_u32 v36, v6, 16, 1
	v_add3_u32 v36, v36, v6, s26
	v_or_b32_e32 v37, 0x400000, v6
	v_cmp_u_f32_e32 vcc, v6, v6
	v_cndmask_b32_e32 v6, v36, v37, vcc
	;; [unrolled: 5-line block ×7, first 2 shown]
	v_bfe_u32 v36, v4, 16, 1
	v_and_b32_e32 v5, 0xffff0000, v5
	v_lshlrev_b32_e32 v35, 16, v35
	v_add3_u32 v36, v36, v4, s26
	v_or_b32_e32 v37, 0x400000, v4
	v_cmp_u_f32_e32 vcc, v4, v4
	v_mul_f32_e32 v35, v5, v35
	v_cndmask_b32_e32 v4, v36, v37, vcc
	v_bfe_u32 v36, v35, 16, 1
	v_and_b32_e32 v6, 0xffff0000, v6
	v_lshlrev_b32_e32 v34, 16, v34
	v_add3_u32 v36, v36, v35, s26
	v_or_b32_e32 v37, 0x400000, v35
	v_cmp_u_f32_e32 vcc, v35, v35
	v_mul_f32_e32 v34, v6, v34
	v_cndmask_b32_e32 v35, v36, v37, vcc
	;; [unrolled: 8-line block ×8, first 2 shown]
	v_bfe_u32 v36, v31, 16, 1
	v_and_b32_e32 v34, 0xffff0000, v34
	v_and_b32_e32 v35, 0xffff0000, v35
	;; [unrolled: 1-line block ×4, first 2 shown]
	v_add3_u32 v36, v36, v31, s26
	v_or_b32_e32 v37, 0x400000, v31
	v_cmp_u_f32_e32 vcc, v31, v31
	v_add_f32_e32 v34, v35, v34
	v_add_f32_e32 v30, v33, v30
	v_and_b32_e32 v18, 0xffff0000, v18
	v_and_b32_e32 v19, 0xffff0000, v19
	v_cndmask_b32_e32 v31, v36, v37, vcc
	v_add_f32_e32 v30, v30, v34
	v_add_f32_e32 v18, v19, v18
	;; [unrolled: 1-line block ×3, first 2 shown]
	v_and_b32_e32 v19, 0xffff0000, v31
	v_and_b32_e32 v30, 0xffff0000, v32
	v_add_f32_e32 v19, v30, v19
	v_add_f32_e32 v18, v19, v18
	;; [unrolled: 1-line block ×3, first 2 shown]
	v_lshlrev_b32_e32 v18, 16, v46
	v_mul_f32_e32 v5, v5, v18
	v_bfe_u32 v18, v5, 16, 1
	v_add3_u32 v18, v18, v5, s26
	v_or_b32_e32 v19, 0x400000, v5
	v_cmp_u_f32_e32 vcc, v5, v5
	v_cndmask_b32_e32 v5, v18, v19, vcc
	v_lshlrev_b32_e32 v18, 16, v44
	v_mul_f32_e32 v6, v6, v18
	v_bfe_u32 v18, v6, 16, 1
	v_add3_u32 v18, v18, v6, s26
	v_or_b32_e32 v19, 0x400000, v6
	v_cmp_u_f32_e32 vcc, v6, v6
	v_cndmask_b32_e32 v6, v18, v19, vcc
	v_lshlrev_b32_e32 v18, 16, v45
	v_mul_f32_e32 v7, v7, v18
	v_lshlrev_b32_e32 v16, 16, v16
	v_bfe_u32 v18, v7, 16, 1
	v_mul_f32_e32 v8, v8, v16
	v_lshlrev_b32_e32 v15, 16, v15
	v_add3_u32 v18, v18, v7, s26
	v_or_b32_e32 v19, 0x400000, v7
	v_cmp_u_f32_e32 vcc, v7, v7
	v_bfe_u32 v16, v8, 16, 1
	v_mul_f32_e32 v1, v1, v15
	v_lshlrev_b32_e32 v9, 16, v9
	v_cndmask_b32_e32 v7, v18, v19, vcc
	v_add3_u32 v16, v16, v8, s26
	v_or_b32_e32 v18, 0x400000, v8
	v_cmp_u_f32_e32 vcc, v8, v8
	v_bfe_u32 v15, v1, 16, 1
	v_mul_f32_e32 v2, v2, v9
	v_cndmask_b32_e32 v8, v16, v18, vcc
	v_add3_u32 v15, v15, v1, s26
	v_or_b32_e32 v16, 0x400000, v1
	v_cmp_u_f32_e32 vcc, v1, v1
	v_bfe_u32 v9, v2, 16, 1
	v_cndmask_b32_e32 v1, v15, v16, vcc
	v_add3_u32 v9, v9, v2, s26
	v_or_b32_e32 v15, 0x400000, v2
	v_cmp_u_f32_e32 vcc, v2, v2
	v_cndmask_b32_e32 v2, v9, v15, vcc
	v_lshlrev_b32_e32 v9, 16, v17
	v_mul_f32_e32 v3, v3, v9
	v_bfe_u32 v9, v3, 16, 1
	v_add3_u32 v9, v9, v3, s26
	v_or_b32_e32 v15, 0x400000, v3
	v_cmp_u_f32_e32 vcc, v3, v3
	v_cndmask_b32_e32 v3, v9, v15, vcc
	v_lshlrev_b32_e32 v9, 16, v43
	v_mul_f32_e32 v4, v4, v9
	v_bfe_u32 v9, v4, 16, 1
	v_and_b32_e32 v6, 0xffff0000, v6
	v_and_b32_e32 v5, 0xffff0000, v5
	v_add3_u32 v9, v9, v4, s26
	v_or_b32_e32 v15, 0x400000, v4
	v_cmp_u_f32_e32 vcc, v4, v4
	v_add_f32_e32 v5, v5, v6
	v_and_b32_e32 v6, 0xffff0000, v8
	v_and_b32_e32 v7, 0xffff0000, v7
	v_cndmask_b32_e32 v4, v9, v15, vcc
	v_add_f32_e32 v6, v7, v6
	v_and_b32_e32 v2, 0xffff0000, v2
	v_and_b32_e32 v1, 0xffff0000, v1
	v_add_f32_e32 v5, v6, v5
	v_add_f32_e32 v1, v1, v2
	v_and_b32_e32 v2, 0xffff0000, v4
	v_and_b32_e32 v3, 0xffff0000, v3
	v_add_u32_e32 v20, 2, v20
	v_add_f32_e32 v1, v1, v5
	v_add_f32_e32 v2, v3, v2
	v_cmp_le_i32_e32 vcc, s21, v20
	v_add_f32_e32 v1, v2, v1
	s_or_b64 s[6:7], vcc, s[6:7]
	v_add_co_u32_e32 v13, vcc, 8, v13
	v_add_f32_e32 v25, v25, v1
	v_add_u32_e32 v26, 64, v26
	v_add_u32_e32 v28, 0x100, v28
	v_addc_co_u32_e32 v14, vcc, 0, v14, vcc
	s_andn2_b64 exec, exec, s[6:7]
	s_cbranch_execz .LBB320_226
.LBB320_126:                            ; =>This Inner Loop Header: Depth=1
	global_load_dword v1, v[13:14], off
	v_mov_b32_e32 v31, 0
	s_waitcnt vmcnt(0)
	v_mad_i64_i32 v[15:16], s[0:1], v1, s31, v[11:12]
	global_load_dwordx2 v[17:18], v[15:16], off
	ds_read2_b64 v[5:8], v28 offset1:1
	ds_read2_b64 v[1:4], v28 offset0:2 offset1:3
	s_waitcnt vmcnt(0)
	v_cmp_ne_u16_sdwa s[12:13], v17, v10 src0_sel:BYTE_0 src1_sel:DWORD
	s_and_saveexec_b64 s[0:1], s[12:13]
	s_cbranch_execz .LBB320_132
; %bb.127:                              ;   in Loop: Header=BB320_126 Depth=1
	v_cmp_ne_u16_sdwa s[14:15], v17, s24 src0_sel:BYTE_0 src1_sel:DWORD
	v_bfrev_b32_e32 v31, 1
	s_and_saveexec_b64 s[12:13], s[14:15]
	s_cbranch_execz .LBB320_131
; %bb.128:                              ;   in Loop: Header=BB320_126 Depth=1
	v_and_b32_e32 v9, 0x7f, v17
	v_cmp_ne_u32_e32 vcc, s25, v9
	v_mov_b32_e32 v31, 0x7f800001
	s_and_saveexec_b64 s[14:15], vcc
	s_cbranch_execz .LBB320_130
; %bb.129:                              ;   in Loop: Header=BB320_126 Depth=1
	v_and_b32_e32 v19, 7, v17
	v_ffbh_u32_e32 v19, v19
	v_min_u32_e32 v19, 32, v19
	v_lshrrev_b32_e32 v30, 3, v9
	v_subrev_u32_e32 v31, 28, v19
	v_sub_u32_e32 v19, 29, v19
	v_cmp_gt_u32_e32 vcc, 8, v9
	v_cndmask_b32_e32 v9, v30, v19, vcc
	v_cndmask_b32_e32 v19, 0, v31, vcc
	v_lshlrev_b64 v[30:31], v19, v[17:18]
	v_lshl_add_u32 v9, v9, 23, v29
	v_lshlrev_b32_e32 v19, 20, v30
	v_lshlrev_b32_e32 v30, 24, v17
	v_and_b32_e32 v19, 0x700000, v19
	v_and_b32_e32 v30, 0x80000000, v30
	v_or3_b32 v31, v30, v9, v19
.LBB320_130:                            ;   in Loop: Header=BB320_126 Depth=1
	s_or_b64 exec, exec, s[14:15]
.LBB320_131:                            ;   in Loop: Header=BB320_126 Depth=1
	s_or_b64 exec, exec, s[12:13]
.LBB320_132:                            ;   in Loop: Header=BB320_126 Depth=1
	s_or_b64 exec, exec, s[0:1]
	v_lshrrev_b16_e32 v9, 8, v17
	v_cmp_ne_u16_e32 vcc, 0, v9
	v_mov_b32_e32 v33, 0
	v_mov_b32_e32 v32, 0
	s_and_saveexec_b64 s[0:1], vcc
	s_cbranch_execz .LBB320_138
; %bb.133:                              ;   in Loop: Header=BB320_126 Depth=1
	v_cmp_ne_u16_e32 vcc, s24, v9
	v_bfrev_b32_e32 v32, 1
	s_and_saveexec_b64 s[12:13], vcc
	s_cbranch_execz .LBB320_137
; %bb.134:                              ;   in Loop: Header=BB320_126 Depth=1
	v_and_b32_e32 v19, 0x7f, v9
	v_cmp_ne_u32_e32 vcc, s25, v19
	v_mov_b32_e32 v32, 0x7f800001
	s_and_saveexec_b64 s[14:15], vcc
	s_cbranch_execz .LBB320_136
; %bb.135:                              ;   in Loop: Header=BB320_126 Depth=1
	v_and_b32_e32 v30, 7, v9
	v_ffbh_u32_e32 v34, v30
	v_min_u32_e32 v36, 32, v34
	v_subrev_u32_e32 v34, 28, v36
	v_lshlrev_b64 v[34:35], v34, v[9:10]
	v_lshrrev_b32_e32 v32, 3, v19
	v_sub_u32_e32 v9, 29, v36
	v_and_b32_e32 v34, 7, v34
	v_cmp_gt_u32_e32 vcc, 8, v19
	v_cndmask_b32_e32 v9, v32, v9, vcc
	v_cndmask_b32_e32 v19, v30, v34, vcc
	v_lshlrev_b32_e32 v30, 16, v17
	v_lshlrev_b32_e32 v19, 20, v19
	v_and_b32_e32 v30, 0x80000000, v30
	v_lshl_add_u32 v9, v9, 23, v29
	v_or3_b32 v32, v30, v9, v19
.LBB320_136:                            ;   in Loop: Header=BB320_126 Depth=1
	s_or_b64 exec, exec, s[14:15]
.LBB320_137:                            ;   in Loop: Header=BB320_126 Depth=1
	s_or_b64 exec, exec, s[12:13]
.LBB320_138:                            ;   in Loop: Header=BB320_126 Depth=1
	s_or_b64 exec, exec, s[0:1]
	v_lshrrev_b32_e32 v9, 16, v17
	v_cmp_ne_u16_sdwa s[12:13], v9, v10 src0_sel:BYTE_0 src1_sel:DWORD
	s_and_saveexec_b64 s[0:1], s[12:13]
	s_cbranch_execz .LBB320_144
; %bb.139:                              ;   in Loop: Header=BB320_126 Depth=1
	v_cmp_ne_u16_sdwa s[14:15], v9, s24 src0_sel:BYTE_0 src1_sel:DWORD
	v_bfrev_b32_e32 v33, 1
	s_and_saveexec_b64 s[12:13], s[14:15]
	s_cbranch_execz .LBB320_143
; %bb.140:                              ;   in Loop: Header=BB320_126 Depth=1
	v_bfe_u32 v19, v17, 16, 7
	v_cmp_ne_u32_e32 vcc, s25, v19
	v_mov_b32_e32 v33, 0x7f800001
	s_and_saveexec_b64 s[14:15], vcc
	s_cbranch_execz .LBB320_142
; %bb.141:                              ;   in Loop: Header=BB320_126 Depth=1
	v_and_b32_e32 v30, 7, v9
	v_ffbh_u32_e32 v33, v30
	v_min_u32_e32 v36, 32, v33
	v_subrev_u32_e32 v33, 28, v36
	v_lshlrev_b64 v[33:34], v33, v[9:10]
	v_lshrrev_b32_e32 v35, 3, v19
	v_sub_u32_e32 v34, 29, v36
	v_and_b32_e32 v33, 7, v33
	v_cmp_gt_u32_e32 vcc, 8, v19
	v_cndmask_b32_e32 v19, v35, v34, vcc
	v_cndmask_b32_e32 v30, v30, v33, vcc
	v_lshlrev_b32_e32 v9, 24, v9
	v_lshlrev_b32_e32 v30, 20, v30
	v_and_b32_e32 v9, 0x80000000, v9
	v_lshl_add_u32 v19, v19, 23, v29
	v_or3_b32 v33, v9, v19, v30
.LBB320_142:                            ;   in Loop: Header=BB320_126 Depth=1
	s_or_b64 exec, exec, s[14:15]
.LBB320_143:                            ;   in Loop: Header=BB320_126 Depth=1
	s_or_b64 exec, exec, s[12:13]
.LBB320_144:                            ;   in Loop: Header=BB320_126 Depth=1
	s_or_b64 exec, exec, s[0:1]
	v_cmp_lt_u32_e32 vcc, s5, v17
	v_mov_b32_e32 v34, 0
	v_mov_b32_e32 v30, 0
	s_and_saveexec_b64 s[0:1], vcc
	s_cbranch_execz .LBB320_150
; %bb.145:                              ;   in Loop: Header=BB320_126 Depth=1
	v_lshrrev_b32_e32 v9, 24, v17
	v_cmp_ne_u32_e32 vcc, s24, v9
	v_bfrev_b32_e32 v30, 1
	s_and_saveexec_b64 s[12:13], vcc
	s_cbranch_execz .LBB320_149
; %bb.146:                              ;   in Loop: Header=BB320_126 Depth=1
	v_bfe_u32 v19, v17, 24, 7
	v_cmp_ne_u32_e32 vcc, s25, v19
	v_mov_b32_e32 v30, 0x7f800001
	s_and_saveexec_b64 s[14:15], vcc
	s_cbranch_execz .LBB320_148
; %bb.147:                              ;   in Loop: Header=BB320_126 Depth=1
	v_and_b32_e32 v30, 7, v9
	v_ffbh_u32_e32 v35, v30
	v_min_u32_e32 v38, 32, v35
	v_subrev_u32_e32 v35, 28, v38
	v_lshlrev_b64 v[35:36], v35, v[9:10]
	v_lshrrev_b32_e32 v37, 3, v19
	v_sub_u32_e32 v36, 29, v38
	v_and_b32_e32 v35, 7, v35
	v_cmp_gt_u32_e32 vcc, 8, v19
	v_cndmask_b32_e32 v19, v37, v36, vcc
	v_cndmask_b32_e32 v30, v30, v35, vcc
	v_lshlrev_b32_e32 v9, 24, v9
	v_lshlrev_b32_e32 v30, 20, v30
	v_and_b32_e32 v9, 0x80000000, v9
	v_lshl_add_u32 v19, v19, 23, v29
	v_or3_b32 v30, v9, v19, v30
.LBB320_148:                            ;   in Loop: Header=BB320_126 Depth=1
	s_or_b64 exec, exec, s[14:15]
.LBB320_149:                            ;   in Loop: Header=BB320_126 Depth=1
	s_or_b64 exec, exec, s[12:13]
.LBB320_150:                            ;   in Loop: Header=BB320_126 Depth=1
	s_or_b64 exec, exec, s[0:1]
	v_mov_b32_e32 v9, v18
	v_cmp_ne_u16_sdwa s[12:13], v18, v10 src0_sel:BYTE_0 src1_sel:DWORD
	s_and_saveexec_b64 s[0:1], s[12:13]
	s_cbranch_execz .LBB320_156
; %bb.151:                              ;   in Loop: Header=BB320_126 Depth=1
	v_cmp_ne_u16_sdwa s[14:15], v18, s24 src0_sel:BYTE_0 src1_sel:DWORD
	v_bfrev_b32_e32 v34, 1
	s_and_saveexec_b64 s[12:13], s[14:15]
	s_cbranch_execz .LBB320_155
; %bb.152:                              ;   in Loop: Header=BB320_126 Depth=1
	v_and_b32_e32 v19, 0x7f, v18
	v_cmp_ne_u32_e32 vcc, s25, v19
	v_mov_b32_e32 v34, 0x7f800001
	s_and_saveexec_b64 s[14:15], vcc
	s_cbranch_execz .LBB320_154
; %bb.153:                              ;   in Loop: Header=BB320_126 Depth=1
	v_and_b32_e32 v34, 7, v18
	v_ffbh_u32_e32 v34, v34
	v_min_u32_e32 v34, 32, v34
	v_lshrrev_b32_e32 v35, 3, v19
	v_subrev_u32_e32 v36, 28, v34
	v_sub_u32_e32 v34, 29, v34
	v_cmp_gt_u32_e32 vcc, 8, v19
	v_cndmask_b32_e32 v19, v35, v34, vcc
	v_cndmask_b32_e32 v34, 0, v36, vcc
	v_lshlrev_b64 v[34:35], v34, v[9:10]
	v_lshlrev_b32_e32 v35, 24, v9
	v_lshlrev_b32_e32 v34, 20, v34
	v_and_b32_e32 v34, 0x700000, v34
	v_and_b32_e32 v35, 0x80000000, v35
	v_lshl_add_u32 v19, v19, 23, v29
	v_or3_b32 v34, v35, v19, v34
.LBB320_154:                            ;   in Loop: Header=BB320_126 Depth=1
	s_or_b64 exec, exec, s[14:15]
.LBB320_155:                            ;   in Loop: Header=BB320_126 Depth=1
	s_or_b64 exec, exec, s[12:13]
.LBB320_156:                            ;   in Loop: Header=BB320_126 Depth=1
	s_or_b64 exec, exec, s[0:1]
	v_lshrrev_b16_e32 v19, 8, v9
	v_cmp_ne_u16_e32 vcc, 0, v19
	v_mov_b32_e32 v37, 0
	v_mov_b32_e32 v35, 0
	s_and_saveexec_b64 s[0:1], vcc
	s_cbranch_execz .LBB320_162
; %bb.157:                              ;   in Loop: Header=BB320_126 Depth=1
	v_cmp_ne_u16_e32 vcc, s24, v19
	v_bfrev_b32_e32 v35, 1
	s_and_saveexec_b64 s[12:13], vcc
	s_cbranch_execz .LBB320_161
; %bb.158:                              ;   in Loop: Header=BB320_126 Depth=1
	v_and_b32_e32 v36, 0x7f, v19
	v_cmp_ne_u32_e32 vcc, s25, v36
	v_mov_b32_e32 v35, 0x7f800001
	s_and_saveexec_b64 s[14:15], vcc
	s_cbranch_execz .LBB320_160
; %bb.159:                              ;   in Loop: Header=BB320_126 Depth=1
	v_and_b32_e32 v35, 7, v19
	v_ffbh_u32_e32 v38, v35
	v_min_u32_e32 v41, 32, v38
	v_subrev_u32_e32 v38, 28, v41
	v_lshlrev_b64 v[38:39], v38, v[19:20]
	v_lshrrev_b32_e32 v40, 3, v36
	v_sub_u32_e32 v19, 29, v41
	v_and_b32_e32 v38, 7, v38
	v_cmp_gt_u32_e32 vcc, 8, v36
	v_cndmask_b32_e32 v19, v40, v19, vcc
	v_cndmask_b32_e32 v35, v35, v38, vcc
	v_lshlrev_b32_e32 v9, 16, v9
	v_lshlrev_b32_e32 v35, 20, v35
	v_and_b32_e32 v9, 0x80000000, v9
	v_lshl_add_u32 v19, v19, 23, v29
	v_or3_b32 v35, v9, v19, v35
.LBB320_160:                            ;   in Loop: Header=BB320_126 Depth=1
	s_or_b64 exec, exec, s[14:15]
.LBB320_161:                            ;   in Loop: Header=BB320_126 Depth=1
	s_or_b64 exec, exec, s[12:13]
.LBB320_162:                            ;   in Loop: Header=BB320_126 Depth=1
	s_or_b64 exec, exec, s[0:1]
	v_lshrrev_b32_e32 v9, 16, v18
	v_cmp_ne_u16_sdwa s[12:13], v9, v10 src0_sel:BYTE_0 src1_sel:DWORD
	s_and_saveexec_b64 s[0:1], s[12:13]
	s_cbranch_execz .LBB320_168
; %bb.163:                              ;   in Loop: Header=BB320_126 Depth=1
	v_cmp_ne_u16_sdwa s[14:15], v9, s24 src0_sel:BYTE_0 src1_sel:DWORD
	v_bfrev_b32_e32 v37, 1
	s_and_saveexec_b64 s[12:13], s[14:15]
	s_cbranch_execz .LBB320_167
; %bb.164:                              ;   in Loop: Header=BB320_126 Depth=1
	v_bfe_u32 v19, v18, 16, 7
	v_cmp_ne_u32_e32 vcc, s25, v19
	v_mov_b32_e32 v37, 0x7f800001
	s_and_saveexec_b64 s[14:15], vcc
	s_cbranch_execz .LBB320_166
; %bb.165:                              ;   in Loop: Header=BB320_126 Depth=1
	v_and_b32_e32 v38, 7, v9
	v_ffbh_u32_e32 v36, v38
	v_min_u32_e32 v40, 32, v36
	v_subrev_u32_e32 v36, 28, v40
	v_lshlrev_b64 v[36:37], v36, v[9:10]
	v_lshrrev_b32_e32 v39, 3, v19
	v_sub_u32_e32 v37, 29, v40
	v_and_b32_e32 v36, 7, v36
	v_cmp_gt_u32_e32 vcc, 8, v19
	v_cndmask_b32_e32 v19, v39, v37, vcc
	v_cndmask_b32_e32 v36, v38, v36, vcc
	v_lshlrev_b32_e32 v9, 24, v9
	v_lshlrev_b32_e32 v36, 20, v36
	v_and_b32_e32 v9, 0x80000000, v9
	v_lshl_add_u32 v19, v19, 23, v29
	v_or3_b32 v37, v9, v19, v36
.LBB320_166:                            ;   in Loop: Header=BB320_126 Depth=1
	s_or_b64 exec, exec, s[14:15]
.LBB320_167:                            ;   in Loop: Header=BB320_126 Depth=1
	s_or_b64 exec, exec, s[12:13]
.LBB320_168:                            ;   in Loop: Header=BB320_126 Depth=1
	s_or_b64 exec, exec, s[0:1]
	v_cmp_lt_u64_e32 vcc, s[4:5], v[17:18]
	v_mov_b32_e32 v17, 0
	s_and_saveexec_b64 s[0:1], vcc
	s_cbranch_execz .LBB320_174
; %bb.169:                              ;   in Loop: Header=BB320_126 Depth=1
	v_lshrrev_b32_e32 v9, 24, v18
	v_cmp_ne_u32_e32 vcc, s24, v9
	v_bfrev_b32_e32 v17, 1
	s_and_saveexec_b64 s[12:13], vcc
	s_cbranch_execz .LBB320_173
; %bb.170:                              ;   in Loop: Header=BB320_126 Depth=1
	v_bfe_u32 v18, v18, 24, 7
	v_cmp_ne_u32_e32 vcc, s25, v18
	v_mov_b32_e32 v17, 0x7f800001
	s_and_saveexec_b64 s[14:15], vcc
	s_cbranch_execz .LBB320_172
; %bb.171:                              ;   in Loop: Header=BB320_126 Depth=1
	v_and_b32_e32 v17, 7, v9
	v_ffbh_u32_e32 v36, v17
	v_min_u32_e32 v36, 32, v36
	v_subrev_u32_e32 v38, 28, v36
	v_lshlrev_b64 v[38:39], v38, v[9:10]
	v_lshrrev_b32_e32 v19, 3, v18
	v_sub_u32_e32 v36, 29, v36
	v_and_b32_e32 v38, 7, v38
	v_cmp_gt_u32_e32 vcc, 8, v18
	v_cndmask_b32_e32 v18, v19, v36, vcc
	v_cndmask_b32_e32 v17, v17, v38, vcc
	v_lshlrev_b32_e32 v9, 24, v9
	v_lshlrev_b32_e32 v17, 20, v17
	v_and_b32_e32 v9, 0x80000000, v9
	v_lshl_add_u32 v18, v18, 23, v29
	v_or3_b32 v17, v9, v18, v17
.LBB320_172:                            ;   in Loop: Header=BB320_126 Depth=1
	s_or_b64 exec, exec, s[14:15]
.LBB320_173:                            ;   in Loop: Header=BB320_126 Depth=1
	s_or_b64 exec, exec, s[12:13]
.LBB320_174:                            ;   in Loop: Header=BB320_126 Depth=1
	s_or_b64 exec, exec, s[0:1]
	s_waitcnt lgkmcnt(0)
	v_mul_f32_e32 v9, s18, v35
	v_bfe_u32 v18, v9, 16, 1
	v_add3_u32 v18, v18, v9, s26
	v_or_b32_e32 v19, 0x400000, v9
	v_cmp_u_f32_e64 s[0:1], v9, v9
	v_cndmask_b32_e64 v9, v18, v19, s[0:1]
	v_lshrrev_b32_e32 v18, 16, v9
	v_mul_f32_e32 v9, s18, v34
	v_bfe_u32 v19, v9, 16, 1
	v_add3_u32 v19, v19, v9, s26
	v_or_b32_e32 v34, 0x400000, v9
	v_cmp_u_f32_e64 s[0:1], v9, v9
	v_cndmask_b32_e64 v9, v19, v34, s[0:1]
	v_lshrrev_b32_e32 v19, 16, v9
	;; [unrolled: 7-line block ×7, first 2 shown]
	v_mul_f32_e32 v9, s18, v17
	v_bfe_u32 v17, v9, 16, 1
	v_add3_u32 v17, v17, v9, s26
	v_or_b32_e32 v31, 0x400000, v9
	v_cmp_u_f32_e64 s[0:1], v9, v9
	v_cndmask_b32_e64 v9, v17, v31, s[0:1]
	v_add_u32_e32 v36, -7, v26
	v_cmp_eq_u32_e32 vcc, s19, v20
	v_lshrrev_b32_e32 v31, 16, v9
	v_add_u32_e32 v42, -6, v26
	v_add_u32_e32 v41, -5, v26
	;; [unrolled: 1-line block ×6, first 2 shown]
	s_and_saveexec_b64 s[12:13], vcc
	s_cbranch_execz .LBB320_176
; %bb.175:                              ;   in Loop: Header=BB320_126 Depth=1
	v_cmp_gt_i32_e64 s[0:1], s30, v36
	v_cndmask_b32_e64 v35, 0, v35, s[0:1]
	v_cmp_gt_i32_e64 s[0:1], s30, v42
	v_cndmask_b32_e64 v34, 0, v34, s[0:1]
	v_cmp_gt_i32_e64 s[0:1], s30, v41
	v_cndmask_b32_e64 v33, 0, v33, s[0:1]
	v_cmp_gt_i32_e64 s[0:1], s30, v40
	v_cndmask_b32_e64 v30, 0, v30, s[0:1]
	v_cmp_gt_i32_e64 s[0:1], s30, v39
	v_cndmask_b32_e64 v19, 0, v19, s[0:1]
	v_cmp_gt_i32_e64 s[0:1], s30, v38
	v_cndmask_b32_e64 v18, 0, v18, s[0:1]
	v_cmp_gt_i32_e64 s[0:1], s30, v37
	v_cndmask_b32_e64 v32, 0, v32, s[0:1]
	v_cmp_gt_i32_e64 s[0:1], s30, v26
	v_cndmask_b32_e64 v31, 0, v31, s[0:1]
.LBB320_176:                            ;   in Loop: Header=BB320_126 Depth=1
	s_or_b64 exec, exec, s[12:13]
	global_load_dwordx2 v[15:16], v[15:16], off offset:512
	v_mov_b32_e32 v44, 0
	v_mov_b32_e32 v43, 0
	s_waitcnt vmcnt(0)
	v_cmp_ne_u16_sdwa s[0:1], v15, v10 src0_sel:BYTE_0 src1_sel:DWORD
	s_and_saveexec_b64 s[12:13], s[0:1]
	s_cbranch_execz .LBB320_182
; %bb.177:                              ;   in Loop: Header=BB320_126 Depth=1
	v_cmp_ne_u16_sdwa s[0:1], v15, s24 src0_sel:BYTE_0 src1_sel:DWORD
	v_bfrev_b32_e32 v43, 1
	s_and_saveexec_b64 s[14:15], s[0:1]
	s_cbranch_execz .LBB320_181
; %bb.178:                              ;   in Loop: Header=BB320_126 Depth=1
	v_and_b32_e32 v9, 0x7f, v15
	v_cmp_ne_u32_e64 s[0:1], s25, v9
	v_mov_b32_e32 v43, 0x7f800001
	s_and_saveexec_b64 s[16:17], s[0:1]
	s_cbranch_execz .LBB320_180
; %bb.179:                              ;   in Loop: Header=BB320_126 Depth=1
	v_and_b32_e32 v17, 7, v15
	v_ffbh_u32_e32 v17, v17
	v_min_u32_e32 v17, 32, v17
	v_lshrrev_b32_e32 v43, 3, v9
	v_subrev_u32_e32 v45, 28, v17
	v_sub_u32_e32 v17, 29, v17
	v_cmp_gt_u32_e64 s[0:1], 8, v9
	v_cndmask_b32_e64 v9, v43, v17, s[0:1]
	v_cndmask_b32_e64 v17, 0, v45, s[0:1]
	v_lshlrev_b64 v[45:46], v17, v[15:16]
	v_lshlrev_b32_e32 v43, 24, v15
	v_lshlrev_b32_e32 v17, 20, v45
	v_and_b32_e32 v17, 0x700000, v17
	v_and_b32_e32 v43, 0x80000000, v43
	v_lshl_add_u32 v9, v9, 23, v29
	v_or3_b32 v43, v43, v9, v17
.LBB320_180:                            ;   in Loop: Header=BB320_126 Depth=1
	s_or_b64 exec, exec, s[16:17]
.LBB320_181:                            ;   in Loop: Header=BB320_126 Depth=1
	s_or_b64 exec, exec, s[14:15]
.LBB320_182:                            ;   in Loop: Header=BB320_126 Depth=1
	s_or_b64 exec, exec, s[12:13]
	v_lshrrev_b16_e32 v9, 8, v15
	v_cmp_ne_u16_e64 s[0:1], 0, v9
	s_and_saveexec_b64 s[12:13], s[0:1]
	s_cbranch_execz .LBB320_188
; %bb.183:                              ;   in Loop: Header=BB320_126 Depth=1
	v_cmp_ne_u16_e64 s[0:1], s24, v9
	v_bfrev_b32_e32 v44, 1
	s_and_saveexec_b64 s[14:15], s[0:1]
	s_cbranch_execz .LBB320_187
; %bb.184:                              ;   in Loop: Header=BB320_126 Depth=1
	v_and_b32_e32 v17, 0x7f, v9
	v_cmp_ne_u32_e64 s[0:1], s25, v17
	v_mov_b32_e32 v44, 0x7f800001
	s_and_saveexec_b64 s[16:17], s[0:1]
	s_cbranch_execz .LBB320_186
; %bb.185:                              ;   in Loop: Header=BB320_126 Depth=1
	v_and_b32_e32 v46, 7, v9
	v_ffbh_u32_e32 v44, v46
	v_min_u32_e32 v48, 32, v44
	v_subrev_u32_e32 v44, 28, v48
	v_lshlrev_b64 v[44:45], v44, v[9:10]
	v_lshrrev_b32_e32 v47, 3, v17
	v_sub_u32_e32 v9, 29, v48
	v_and_b32_e32 v44, 7, v44
	v_cmp_gt_u32_e64 s[0:1], 8, v17
	v_cndmask_b32_e64 v9, v47, v9, s[0:1]
	v_cndmask_b32_e64 v17, v46, v44, s[0:1]
	v_lshlrev_b32_e32 v44, 16, v15
	v_lshlrev_b32_e32 v17, 20, v17
	v_and_b32_e32 v44, 0x80000000, v44
	v_lshl_add_u32 v9, v9, 23, v29
	v_or3_b32 v44, v44, v9, v17
.LBB320_186:                            ;   in Loop: Header=BB320_126 Depth=1
	s_or_b64 exec, exec, s[16:17]
.LBB320_187:                            ;   in Loop: Header=BB320_126 Depth=1
	s_or_b64 exec, exec, s[14:15]
.LBB320_188:                            ;   in Loop: Header=BB320_126 Depth=1
	s_or_b64 exec, exec, s[12:13]
	v_lshrrev_b32_e32 v9, 16, v15
	v_cmp_ne_u16_sdwa s[0:1], v9, v10 src0_sel:BYTE_0 src1_sel:DWORD
	v_mov_b32_e32 v46, 0
	v_mov_b32_e32 v45, 0
	s_and_saveexec_b64 s[12:13], s[0:1]
	s_cbranch_execz .LBB320_194
; %bb.189:                              ;   in Loop: Header=BB320_126 Depth=1
	v_cmp_ne_u16_sdwa s[0:1], v9, s24 src0_sel:BYTE_0 src1_sel:DWORD
	v_bfrev_b32_e32 v45, 1
	s_and_saveexec_b64 s[14:15], s[0:1]
	s_cbranch_execz .LBB320_193
; %bb.190:                              ;   in Loop: Header=BB320_126 Depth=1
	v_bfe_u32 v17, v15, 16, 7
	v_cmp_ne_u32_e64 s[0:1], s25, v17
	v_mov_b32_e32 v45, 0x7f800001
	s_and_saveexec_b64 s[16:17], s[0:1]
	s_cbranch_execz .LBB320_192
; %bb.191:                              ;   in Loop: Header=BB320_126 Depth=1
	v_and_b32_e32 v45, 7, v9
	v_ffbh_u32_e32 v47, v45
	v_min_u32_e32 v50, 32, v47
	v_subrev_u32_e32 v47, 28, v50
	v_lshlrev_b64 v[47:48], v47, v[9:10]
	v_lshrrev_b32_e32 v49, 3, v17
	v_sub_u32_e32 v48, 29, v50
	v_and_b32_e32 v47, 7, v47
	v_cmp_gt_u32_e64 s[0:1], 8, v17
	v_cndmask_b32_e64 v17, v49, v48, s[0:1]
	v_cndmask_b32_e64 v45, v45, v47, s[0:1]
	v_lshlrev_b32_e32 v9, 24, v9
	v_lshlrev_b32_e32 v45, 20, v45
	v_and_b32_e32 v9, 0x80000000, v9
	v_lshl_add_u32 v17, v17, 23, v29
	v_or3_b32 v45, v9, v17, v45
.LBB320_192:                            ;   in Loop: Header=BB320_126 Depth=1
	s_or_b64 exec, exec, s[16:17]
.LBB320_193:                            ;   in Loop: Header=BB320_126 Depth=1
	s_or_b64 exec, exec, s[14:15]
.LBB320_194:                            ;   in Loop: Header=BB320_126 Depth=1
	s_or_b64 exec, exec, s[12:13]
	v_cmp_lt_u32_e64 s[0:1], s5, v15
	s_and_saveexec_b64 s[12:13], s[0:1]
	s_cbranch_execz .LBB320_200
; %bb.195:                              ;   in Loop: Header=BB320_126 Depth=1
	v_lshrrev_b32_e32 v9, 24, v15
	v_cmp_ne_u32_e64 s[0:1], s24, v9
	v_bfrev_b32_e32 v46, 1
	s_and_saveexec_b64 s[14:15], s[0:1]
	s_cbranch_execz .LBB320_199
; %bb.196:                              ;   in Loop: Header=BB320_126 Depth=1
	v_bfe_u32 v17, v15, 24, 7
	v_cmp_ne_u32_e64 s[0:1], s25, v17
	v_mov_b32_e32 v46, 0x7f800001
	s_and_saveexec_b64 s[16:17], s[0:1]
	s_cbranch_execz .LBB320_198
; %bb.197:                              ;   in Loop: Header=BB320_126 Depth=1
	v_and_b32_e32 v48, 7, v9
	v_ffbh_u32_e32 v46, v48
	v_min_u32_e32 v50, 32, v46
	v_subrev_u32_e32 v46, 28, v50
	v_lshlrev_b64 v[46:47], v46, v[9:10]
	v_lshrrev_b32_e32 v49, 3, v17
	v_sub_u32_e32 v47, 29, v50
	v_and_b32_e32 v46, 7, v46
	v_cmp_gt_u32_e64 s[0:1], 8, v17
	v_cndmask_b32_e64 v17, v49, v47, s[0:1]
	v_cndmask_b32_e64 v46, v48, v46, s[0:1]
	v_lshlrev_b32_e32 v9, 24, v9
	v_lshlrev_b32_e32 v46, 20, v46
	v_and_b32_e32 v9, 0x80000000, v9
	v_lshl_add_u32 v17, v17, 23, v29
	v_or3_b32 v46, v9, v17, v46
.LBB320_198:                            ;   in Loop: Header=BB320_126 Depth=1
	s_or_b64 exec, exec, s[16:17]
.LBB320_199:                            ;   in Loop: Header=BB320_126 Depth=1
	s_or_b64 exec, exec, s[14:15]
.LBB320_200:                            ;   in Loop: Header=BB320_126 Depth=1
	s_or_b64 exec, exec, s[12:13]
	v_mov_b32_e32 v9, v16
	v_cmp_ne_u16_sdwa s[0:1], v16, v10 src0_sel:BYTE_0 src1_sel:DWORD
	v_mov_b32_e32 v48, 0
	v_mov_b32_e32 v47, 0
	s_and_saveexec_b64 s[12:13], s[0:1]
	s_cbranch_execz .LBB320_206
; %bb.201:                              ;   in Loop: Header=BB320_126 Depth=1
	v_cmp_ne_u16_sdwa s[0:1], v16, s24 src0_sel:BYTE_0 src1_sel:DWORD
	v_bfrev_b32_e32 v47, 1
	s_and_saveexec_b64 s[14:15], s[0:1]
	s_cbranch_execz .LBB320_205
; %bb.202:                              ;   in Loop: Header=BB320_126 Depth=1
	v_and_b32_e32 v17, 0x7f, v16
	v_cmp_ne_u32_e64 s[0:1], s25, v17
	v_mov_b32_e32 v47, 0x7f800001
	s_and_saveexec_b64 s[16:17], s[0:1]
	s_cbranch_execz .LBB320_204
; %bb.203:                              ;   in Loop: Header=BB320_126 Depth=1
	v_and_b32_e32 v47, 7, v16
	v_ffbh_u32_e32 v47, v47
	v_min_u32_e32 v47, 32, v47
	v_lshrrev_b32_e32 v49, 3, v17
	v_subrev_u32_e32 v50, 28, v47
	v_sub_u32_e32 v47, 29, v47
	v_cmp_gt_u32_e64 s[0:1], 8, v17
	v_cndmask_b32_e64 v17, v49, v47, s[0:1]
	v_cndmask_b32_e64 v47, 0, v50, s[0:1]
	v_lshlrev_b64 v[49:50], v47, v[9:10]
	v_lshl_add_u32 v17, v17, 23, v29
	v_lshlrev_b32_e32 v47, 20, v49
	v_lshlrev_b32_e32 v49, 24, v9
	v_and_b32_e32 v47, 0x700000, v47
	v_and_b32_e32 v49, 0x80000000, v49
	v_or3_b32 v47, v49, v17, v47
.LBB320_204:                            ;   in Loop: Header=BB320_126 Depth=1
	s_or_b64 exec, exec, s[16:17]
.LBB320_205:                            ;   in Loop: Header=BB320_126 Depth=1
	s_or_b64 exec, exec, s[14:15]
.LBB320_206:                            ;   in Loop: Header=BB320_126 Depth=1
	s_or_b64 exec, exec, s[12:13]
	v_lshrrev_b16_e32 v17, 8, v9
	v_cmp_ne_u16_e64 s[0:1], 0, v17
	s_and_saveexec_b64 s[12:13], s[0:1]
	s_cbranch_execz .LBB320_212
; %bb.207:                              ;   in Loop: Header=BB320_126 Depth=1
	v_cmp_ne_u16_e64 s[0:1], s24, v17
	v_bfrev_b32_e32 v48, 1
	s_and_saveexec_b64 s[14:15], s[0:1]
	s_cbranch_execz .LBB320_211
; %bb.208:                              ;   in Loop: Header=BB320_126 Depth=1
	v_and_b32_e32 v49, 0x7f, v17
	v_cmp_ne_u32_e64 s[0:1], s25, v49
	v_mov_b32_e32 v48, 0x7f800001
	s_and_saveexec_b64 s[16:17], s[0:1]
	s_cbranch_execz .LBB320_210
; %bb.209:                              ;   in Loop: Header=BB320_126 Depth=1
	v_and_b32_e32 v48, 7, v17
	v_ffbh_u32_e32 v50, v48
	v_min_u32_e32 v53, 32, v50
	v_subrev_u32_e32 v50, 28, v53
	v_lshlrev_b64 v[50:51], v50, v[17:18]
	v_lshrrev_b32_e32 v52, 3, v49
	v_sub_u32_e32 v17, 29, v53
	v_and_b32_e32 v50, 7, v50
	v_cmp_gt_u32_e64 s[0:1], 8, v49
	v_cndmask_b32_e64 v17, v52, v17, s[0:1]
	v_cndmask_b32_e64 v48, v48, v50, s[0:1]
	v_lshlrev_b32_e32 v9, 16, v9
	v_lshlrev_b32_e32 v48, 20, v48
	v_and_b32_e32 v9, 0x80000000, v9
	v_lshl_add_u32 v17, v17, 23, v29
	v_or3_b32 v48, v9, v17, v48
.LBB320_210:                            ;   in Loop: Header=BB320_126 Depth=1
	s_or_b64 exec, exec, s[16:17]
.LBB320_211:                            ;   in Loop: Header=BB320_126 Depth=1
	s_or_b64 exec, exec, s[14:15]
.LBB320_212:                            ;   in Loop: Header=BB320_126 Depth=1
	s_or_b64 exec, exec, s[12:13]
	v_lshrrev_b32_e32 v9, 16, v16
	v_cmp_ne_u16_sdwa s[0:1], v9, v10 src0_sel:BYTE_0 src1_sel:DWORD
	v_mov_b32_e32 v49, 0
	v_mov_b32_e32 v17, 0
	s_and_saveexec_b64 s[12:13], s[0:1]
	s_cbranch_execz .LBB320_218
; %bb.213:                              ;   in Loop: Header=BB320_126 Depth=1
	v_cmp_ne_u16_sdwa s[0:1], v9, s24 src0_sel:BYTE_0 src1_sel:DWORD
	v_bfrev_b32_e32 v17, 1
	s_and_saveexec_b64 s[14:15], s[0:1]
	s_cbranch_execz .LBB320_217
; %bb.214:                              ;   in Loop: Header=BB320_126 Depth=1
	v_bfe_u32 v50, v16, 16, 7
	v_cmp_ne_u32_e64 s[0:1], s25, v50
	v_mov_b32_e32 v17, 0x7f800001
	s_and_saveexec_b64 s[16:17], s[0:1]
	s_cbranch_execz .LBB320_216
; %bb.215:                              ;   in Loop: Header=BB320_126 Depth=1
	v_and_b32_e32 v17, 7, v9
	v_ffbh_u32_e32 v51, v17
	v_min_u32_e32 v54, 32, v51
	v_subrev_u32_e32 v51, 28, v54
	v_lshlrev_b64 v[51:52], v51, v[9:10]
	v_lshrrev_b32_e32 v53, 3, v50
	v_sub_u32_e32 v52, 29, v54
	v_and_b32_e32 v51, 7, v51
	v_cmp_gt_u32_e64 s[0:1], 8, v50
	v_cndmask_b32_e64 v50, v53, v52, s[0:1]
	v_cndmask_b32_e64 v17, v17, v51, s[0:1]
	v_lshlrev_b32_e32 v9, 24, v9
	v_lshlrev_b32_e32 v17, 20, v17
	v_and_b32_e32 v9, 0x80000000, v9
	v_lshl_add_u32 v50, v50, 23, v29
	v_or3_b32 v17, v9, v50, v17
.LBB320_216:                            ;   in Loop: Header=BB320_126 Depth=1
	s_or_b64 exec, exec, s[16:17]
.LBB320_217:                            ;   in Loop: Header=BB320_126 Depth=1
	s_or_b64 exec, exec, s[14:15]
.LBB320_218:                            ;   in Loop: Header=BB320_126 Depth=1
	s_or_b64 exec, exec, s[12:13]
	v_cmp_lt_u64_e64 s[0:1], s[4:5], v[15:16]
	s_and_saveexec_b64 s[12:13], s[0:1]
	s_cbranch_execz .LBB320_224
; %bb.219:                              ;   in Loop: Header=BB320_126 Depth=1
	v_lshrrev_b32_e32 v9, 24, v16
	v_cmp_ne_u32_e64 s[0:1], s24, v9
	v_bfrev_b32_e32 v49, 1
	s_and_saveexec_b64 s[14:15], s[0:1]
	s_cbranch_execz .LBB320_223
; %bb.220:                              ;   in Loop: Header=BB320_126 Depth=1
	v_bfe_u32 v15, v16, 24, 7
	v_cmp_ne_u32_e64 s[0:1], s25, v15
	v_mov_b32_e32 v49, 0x7f800001
	s_and_saveexec_b64 s[16:17], s[0:1]
	s_cbranch_execz .LBB320_222
; %bb.221:                              ;   in Loop: Header=BB320_126 Depth=1
	v_and_b32_e32 v16, 7, v9
	v_ffbh_u32_e32 v49, v16
	v_min_u32_e32 v52, 32, v49
	v_subrev_u32_e32 v49, 28, v52
	v_lshlrev_b64 v[49:50], v49, v[9:10]
	v_lshrrev_b32_e32 v51, 3, v15
	v_sub_u32_e32 v50, 29, v52
	v_and_b32_e32 v49, 7, v49
	v_cmp_gt_u32_e64 s[0:1], 8, v15
	v_cndmask_b32_e64 v15, v51, v50, s[0:1]
	v_cndmask_b32_e64 v16, v16, v49, s[0:1]
	v_lshlrev_b32_e32 v9, 24, v9
	v_lshlrev_b32_e32 v16, 20, v16
	v_and_b32_e32 v9, 0x80000000, v9
	v_lshl_add_u32 v15, v15, 23, v29
	v_or3_b32 v49, v9, v15, v16
.LBB320_222:                            ;   in Loop: Header=BB320_126 Depth=1
	s_or_b64 exec, exec, s[16:17]
.LBB320_223:                            ;   in Loop: Header=BB320_126 Depth=1
	s_or_b64 exec, exec, s[14:15]
.LBB320_224:                            ;   in Loop: Header=BB320_126 Depth=1
	s_or_b64 exec, exec, s[12:13]
	v_mul_f32_e32 v9, s18, v48
	v_bfe_u32 v15, v9, 16, 1
	v_add3_u32 v15, v15, v9, s26
	v_or_b32_e32 v16, 0x400000, v9
	v_cmp_u_f32_e64 s[0:1], v9, v9
	v_cndmask_b32_e64 v9, v15, v16, s[0:1]
	v_mul_f32_e32 v15, s18, v47
	v_bfe_u32 v16, v15, 16, 1
	v_add3_u32 v16, v16, v15, s26
	v_or_b32_e32 v47, 0x400000, v15
	v_cmp_u_f32_e64 s[0:1], v15, v15
	v_cndmask_b32_e64 v15, v16, v47, s[0:1]
	v_mul_f32_e32 v16, s18, v46
	v_bfe_u32 v46, v16, 16, 1
	v_add3_u32 v46, v46, v16, s26
	v_or_b32_e32 v47, 0x400000, v16
	v_cmp_u_f32_e64 s[0:1], v16, v16
	v_mul_f32_e32 v45, s18, v45
	v_cndmask_b32_e64 v16, v46, v47, s[0:1]
	v_bfe_u32 v46, v45, 16, 1
	v_add3_u32 v46, v46, v45, s26
	v_or_b32_e32 v47, 0x400000, v45
	v_cmp_u_f32_e64 s[0:1], v45, v45
	v_mul_f32_e32 v44, s18, v44
	v_cndmask_b32_e64 v45, v46, v47, s[0:1]
	;; [unrolled: 6-line block ×3, first 2 shown]
	v_bfe_u32 v46, v43, 16, 1
	v_add3_u32 v46, v46, v43, s26
	v_or_b32_e32 v47, 0x400000, v43
	v_cmp_u_f32_e64 s[0:1], v43, v43
	v_cndmask_b32_e64 v43, v46, v47, s[0:1]
	v_mul_f32_e32 v17, s18, v17
	v_lshrrev_b32_e32 v46, 16, v43
	v_bfe_u32 v43, v17, 16, 1
	v_add3_u32 v43, v43, v17, s26
	v_or_b32_e32 v47, 0x400000, v17
	v_cmp_u_f32_e64 s[0:1], v17, v17
	v_cndmask_b32_e64 v17, v43, v47, s[0:1]
	v_mul_f32_e32 v43, s18, v49
	v_bfe_u32 v47, v43, 16, 1
	v_add3_u32 v47, v47, v43, s26
	v_or_b32_e32 v48, 0x400000, v43
	v_cmp_u_f32_e64 s[0:1], v43, v43
	v_cndmask_b32_e64 v43, v47, v48, s[0:1]
	v_lshrrev_b32_e32 v9, 16, v9
	v_lshrrev_b32_e32 v15, 16, v15
	;; [unrolled: 1-line block ×7, first 2 shown]
	s_and_saveexec_b64 s[0:1], vcc
	s_cbranch_execz .LBB320_125
; %bb.225:                              ;   in Loop: Header=BB320_126 Depth=1
	v_cmp_gt_i32_e32 vcc, s30, v36
	v_cndmask_b32_e32 v46, 0, v46, vcc
	v_cmp_gt_i32_e32 vcc, s30, v42
	v_cndmask_b32_e32 v44, 0, v44, vcc
	;; [unrolled: 2-line block ×8, first 2 shown]
	s_branch .LBB320_125
.LBB320_226:
	s_or_b64 exec, exec, s[6:7]
.LBB320_227:
	s_or_b64 exec, exec, s[2:3]
	ds_bpermute_b32 v1, v22, v27
	ds_bpermute_b32 v2, v22, v25
	v_and_b32_e32 v3, 0x3c3, v0
	v_cmp_eq_u32_e32 vcc, 64, v3
	s_waitcnt lgkmcnt(0)
	v_add_f32_e32 v1, v27, v1
	v_add_f32_e32 v4, v25, v2
	ds_bpermute_b32 v2, v23, v1
	ds_bpermute_b32 v5, v23, v4
	s_waitcnt lgkmcnt(0)
	s_barrier
	v_add_f32_e32 v2, v1, v2
	v_add_f32_e32 v1, v4, v5
	s_and_saveexec_b64 s[0:1], vcc
; %bb.228:
	v_add_u32_e32 v4, 0x50, v21
	ds_write2_b32 v4, v2, v1 offset1:16
; %bb.229:
	s_or_b64 exec, exec, s[0:1]
	v_cmp_gt_u32_e32 vcc, 64, v0
	v_lshrrev_b32_e32 v0, 2, v0
	s_waitcnt lgkmcnt(0)
	s_barrier
	s_and_saveexec_b64 s[0:1], vcc
	s_cbranch_execz .LBB320_235
; %bb.230:
	v_mov_b32_e32 v4, 0x50
	v_cmp_eq_u32_e32 vcc, 0, v24
	v_lshl_add_u32 v4, v0, 2, v4
	s_and_saveexec_b64 s[2:3], vcc
	s_cbranch_execz .LBB320_232
; %bb.231:
	ds_read_b32 v5, v4
	s_waitcnt lgkmcnt(0)
	v_add_f32_e32 v2, v2, v5
.LBB320_232:
	s_or_b64 exec, exec, s[2:3]
	s_and_saveexec_b64 s[2:3], vcc
	s_cbranch_execz .LBB320_234
; %bb.233:
	ds_read_b32 v4, v4 offset:64
	s_waitcnt lgkmcnt(0)
	v_add_f32_e32 v1, v1, v4
.LBB320_234:
	s_or_b64 exec, exec, s[2:3]
.LBB320_235:
	s_or_b64 exec, exec, s[0:1]
	v_cmp_eq_u32_e32 vcc, 0, v3
	s_barrier
	s_and_saveexec_b64 s[0:1], vcc
	s_cbranch_execz .LBB320_237
; %bb.236:
	s_mul_i32 s0, s10, s11
	s_mul_i32 s0, s0, s9
	s_lshl_b32 s0, s0, 5
	s_ashr_i32 s1, s0, 31
	s_lshl_b64 s[0:1], s[0:1], 1
	s_add_u32 s2, s22, s0
	s_mul_i32 s0, s11, s20
	s_addc_u32 s3, s23, s1
	s_ashr_i32 s1, s0, 31
	s_lshl_b64 s[0:1], s[0:1], 1
	s_add_u32 s2, s2, s0
	s_addc_u32 s3, s3, s1
	s_lshl_b32 s0, s8, 5
	s_ashr_i32 s1, s0, 31
	s_lshl_b64 s[0:1], s[0:1], 1
	s_add_u32 s0, s2, s0
	v_bfe_u32 v3, v2, 16, 1
	s_movk_i32 s2, 0x7fff
	v_add3_u32 v3, v3, v2, s2
	v_or_b32_e32 v4, 0x400000, v2
	v_cmp_u_f32_e32 vcc, v2, v2
	s_addc_u32 s1, s3, s1
	v_cndmask_b32_e32 v2, v3, v4, vcc
	v_lshlrev_b32_e32 v0, 1, v0
	global_store_short_d16_hi v0, v2, s[0:1]
	v_bfe_u32 v2, v1, 16, 1
	v_add3_u32 v2, v2, v1, s2
	v_or_b32_e32 v3, 0x400000, v1
	v_cmp_u_f32_e32 vcc, v1, v1
	v_cndmask_b32_e32 v1, v2, v3, vcc
	global_store_short_d16_hi v0, v1, s[0:1] offset:32
.LBB320_237:
	s_endpgm
	.section	.rodata,"a",@progbits
	.p2align	6, 0x0
	.amdhsa_kernel _ZN4vllm25paged_attention_v1_kernelI14__hip_bfloat16hLi32ELi32ELi128ELNS_18Fp8KVCacheDataTypeE1ELb0EEEvPT_PKS3_PKT0_S9_ifPKiSB_iPKfiiiSD_SD_iiiii
		.amdhsa_group_segment_fixed_size 80
		.amdhsa_private_segment_fixed_size 0
		.amdhsa_kernarg_size 384
		.amdhsa_user_sgpr_count 6
		.amdhsa_user_sgpr_private_segment_buffer 1
		.amdhsa_user_sgpr_dispatch_ptr 0
		.amdhsa_user_sgpr_queue_ptr 0
		.amdhsa_user_sgpr_kernarg_segment_ptr 1
		.amdhsa_user_sgpr_dispatch_id 0
		.amdhsa_user_sgpr_flat_scratch_init 0
		.amdhsa_user_sgpr_private_segment_size 0
		.amdhsa_uses_dynamic_stack 0
		.amdhsa_system_sgpr_private_segment_wavefront_offset 0
		.amdhsa_system_sgpr_workgroup_id_x 1
		.amdhsa_system_sgpr_workgroup_id_y 1
		.amdhsa_system_sgpr_workgroup_id_z 1
		.amdhsa_system_sgpr_workgroup_info 0
		.amdhsa_system_vgpr_workitem_id 0
		.amdhsa_next_free_vgpr 56
		.amdhsa_next_free_sgpr 45
		.amdhsa_reserve_vcc 1
		.amdhsa_reserve_flat_scratch 0
		.amdhsa_float_round_mode_32 0
		.amdhsa_float_round_mode_16_64 0
		.amdhsa_float_denorm_mode_32 3
		.amdhsa_float_denorm_mode_16_64 3
		.amdhsa_dx10_clamp 1
		.amdhsa_ieee_mode 1
		.amdhsa_fp16_overflow 0
		.amdhsa_exception_fp_ieee_invalid_op 0
		.amdhsa_exception_fp_denorm_src 0
		.amdhsa_exception_fp_ieee_div_zero 0
		.amdhsa_exception_fp_ieee_overflow 0
		.amdhsa_exception_fp_ieee_underflow 0
		.amdhsa_exception_fp_ieee_inexact 0
		.amdhsa_exception_int_div_zero 0
	.end_amdhsa_kernel
	.section	.text._ZN4vllm25paged_attention_v1_kernelI14__hip_bfloat16hLi32ELi32ELi128ELNS_18Fp8KVCacheDataTypeE1ELb0EEEvPT_PKS3_PKT0_S9_ifPKiSB_iPKfiiiSD_SD_iiiii,"axG",@progbits,_ZN4vllm25paged_attention_v1_kernelI14__hip_bfloat16hLi32ELi32ELi128ELNS_18Fp8KVCacheDataTypeE1ELb0EEEvPT_PKS3_PKT0_S9_ifPKiSB_iPKfiiiSD_SD_iiiii,comdat
.Lfunc_end320:
	.size	_ZN4vllm25paged_attention_v1_kernelI14__hip_bfloat16hLi32ELi32ELi128ELNS_18Fp8KVCacheDataTypeE1ELb0EEEvPT_PKS3_PKT0_S9_ifPKiSB_iPKfiiiSD_SD_iiiii, .Lfunc_end320-_ZN4vllm25paged_attention_v1_kernelI14__hip_bfloat16hLi32ELi32ELi128ELNS_18Fp8KVCacheDataTypeE1ELb0EEEvPT_PKS3_PKT0_S9_ifPKiSB_iPKfiiiSD_SD_iiiii
                                        ; -- End function
	.set _ZN4vllm25paged_attention_v1_kernelI14__hip_bfloat16hLi32ELi32ELi128ELNS_18Fp8KVCacheDataTypeE1ELb0EEEvPT_PKS3_PKT0_S9_ifPKiSB_iPKfiiiSD_SD_iiiii.num_vgpr, 56
	.set _ZN4vllm25paged_attention_v1_kernelI14__hip_bfloat16hLi32ELi32ELi128ELNS_18Fp8KVCacheDataTypeE1ELb0EEEvPT_PKS3_PKT0_S9_ifPKiSB_iPKfiiiSD_SD_iiiii.num_agpr, 0
	.set _ZN4vllm25paged_attention_v1_kernelI14__hip_bfloat16hLi32ELi32ELi128ELNS_18Fp8KVCacheDataTypeE1ELb0EEEvPT_PKS3_PKT0_S9_ifPKiSB_iPKfiiiSD_SD_iiiii.numbered_sgpr, 45
	.set _ZN4vllm25paged_attention_v1_kernelI14__hip_bfloat16hLi32ELi32ELi128ELNS_18Fp8KVCacheDataTypeE1ELb0EEEvPT_PKS3_PKT0_S9_ifPKiSB_iPKfiiiSD_SD_iiiii.num_named_barrier, 0
	.set _ZN4vllm25paged_attention_v1_kernelI14__hip_bfloat16hLi32ELi32ELi128ELNS_18Fp8KVCacheDataTypeE1ELb0EEEvPT_PKS3_PKT0_S9_ifPKiSB_iPKfiiiSD_SD_iiiii.private_seg_size, 0
	.set _ZN4vllm25paged_attention_v1_kernelI14__hip_bfloat16hLi32ELi32ELi128ELNS_18Fp8KVCacheDataTypeE1ELb0EEEvPT_PKS3_PKT0_S9_ifPKiSB_iPKfiiiSD_SD_iiiii.uses_vcc, 1
	.set _ZN4vllm25paged_attention_v1_kernelI14__hip_bfloat16hLi32ELi32ELi128ELNS_18Fp8KVCacheDataTypeE1ELb0EEEvPT_PKS3_PKT0_S9_ifPKiSB_iPKfiiiSD_SD_iiiii.uses_flat_scratch, 0
	.set _ZN4vllm25paged_attention_v1_kernelI14__hip_bfloat16hLi32ELi32ELi128ELNS_18Fp8KVCacheDataTypeE1ELb0EEEvPT_PKS3_PKT0_S9_ifPKiSB_iPKfiiiSD_SD_iiiii.has_dyn_sized_stack, 0
	.set _ZN4vllm25paged_attention_v1_kernelI14__hip_bfloat16hLi32ELi32ELi128ELNS_18Fp8KVCacheDataTypeE1ELb0EEEvPT_PKS3_PKT0_S9_ifPKiSB_iPKfiiiSD_SD_iiiii.has_recursion, 0
	.set _ZN4vllm25paged_attention_v1_kernelI14__hip_bfloat16hLi32ELi32ELi128ELNS_18Fp8KVCacheDataTypeE1ELb0EEEvPT_PKS3_PKT0_S9_ifPKiSB_iPKfiiiSD_SD_iiiii.has_indirect_call, 0
	.section	.AMDGPU.csdata,"",@progbits
; Kernel info:
; codeLenInByte = 11372
; TotalNumSgprs: 49
; NumVgprs: 56
; ScratchSize: 0
; MemoryBound: 0
; FloatMode: 240
; IeeeMode: 1
; LDSByteSize: 80 bytes/workgroup (compile time only)
; SGPRBlocks: 6
; VGPRBlocks: 13
; NumSGPRsForWavesPerEU: 49
; NumVGPRsForWavesPerEU: 56
; Occupancy: 4
; WaveLimiterHint : 1
; COMPUTE_PGM_RSRC2:SCRATCH_EN: 0
; COMPUTE_PGM_RSRC2:USER_SGPR: 6
; COMPUTE_PGM_RSRC2:TRAP_HANDLER: 0
; COMPUTE_PGM_RSRC2:TGID_X_EN: 1
; COMPUTE_PGM_RSRC2:TGID_Y_EN: 1
; COMPUTE_PGM_RSRC2:TGID_Z_EN: 1
; COMPUTE_PGM_RSRC2:TIDIG_COMP_CNT: 0
	.section	.text._ZN4vllm25paged_attention_v1_kernelI14__hip_bfloat16hLi64ELi32ELi128ELNS_18Fp8KVCacheDataTypeE1ELb0EEEvPT_PKS3_PKT0_S9_ifPKiSB_iPKfiiiSD_SD_iiiii,"axG",@progbits,_ZN4vllm25paged_attention_v1_kernelI14__hip_bfloat16hLi64ELi32ELi128ELNS_18Fp8KVCacheDataTypeE1ELb0EEEvPT_PKS3_PKT0_S9_ifPKiSB_iPKfiiiSD_SD_iiiii,comdat
	.protected	_ZN4vllm25paged_attention_v1_kernelI14__hip_bfloat16hLi64ELi32ELi128ELNS_18Fp8KVCacheDataTypeE1ELb0EEEvPT_PKS3_PKT0_S9_ifPKiSB_iPKfiiiSD_SD_iiiii ; -- Begin function _ZN4vllm25paged_attention_v1_kernelI14__hip_bfloat16hLi64ELi32ELi128ELNS_18Fp8KVCacheDataTypeE1ELb0EEEvPT_PKS3_PKT0_S9_ifPKiSB_iPKfiiiSD_SD_iiiii
	.globl	_ZN4vllm25paged_attention_v1_kernelI14__hip_bfloat16hLi64ELi32ELi128ELNS_18Fp8KVCacheDataTypeE1ELb0EEEvPT_PKS3_PKT0_S9_ifPKiSB_iPKfiiiSD_SD_iiiii
	.p2align	8
	.type	_ZN4vllm25paged_attention_v1_kernelI14__hip_bfloat16hLi64ELi32ELi128ELNS_18Fp8KVCacheDataTypeE1ELb0EEEvPT_PKS3_PKT0_S9_ifPKiSB_iPKfiiiSD_SD_iiiii,@function
_ZN4vllm25paged_attention_v1_kernelI14__hip_bfloat16hLi64ELi32ELi128ELNS_18Fp8KVCacheDataTypeE1ELb0EEEvPT_PKS3_PKT0_S9_ifPKiSB_iPKfiiiSD_SD_iiiii: ; @_ZN4vllm25paged_attention_v1_kernelI14__hip_bfloat16hLi64ELi32ELi128ELNS_18Fp8KVCacheDataTypeE1ELb0EEEvPT_PKS3_PKT0_S9_ifPKiSB_iPKfiiiSD_SD_iiiii
; %bb.0:
	s_mov_b64 s[50:51], s[2:3]
	s_mov_b64 s[48:49], s[0:1]
	s_add_u32 s48, s48, s9
	s_load_dword s9, s[4:5], 0x80
	s_load_dwordx2 s[0:1], s[4:5], 0x30
	s_load_dwordx2 s[30:31], s[4:5], 0x20
	s_addc_u32 s49, s49, 0
	s_mov_b32 s10, s7
	s_ashr_i32 s11, s7, 31
	s_lshl_b64 s[2:3], s[10:11], 2
	s_waitcnt lgkmcnt(0)
	s_add_u32 s0, s0, s2
	s_addc_u32 s1, s1, s3
	s_abs_i32 s2, s30
	v_cvt_f32_u32_e32 v1, s2
	s_sub_i32 s11, 0, s2
	s_abs_i32 s7, s9
	s_xor_b32 s3, s9, s30
	v_rcp_iflag_f32_e32 v1, v1
	s_ashr_i32 s3, s3, 31
	s_mov_b32 s33, 0
	v_mul_f32_e32 v1, 0x4f7ffffe, v1
	v_cvt_u32_f32_e32 v1, v1
	v_readfirstlane_b32 s12, v1
	s_mul_i32 s11, s11, s12
	s_mul_hi_u32 s11, s12, s11
	s_add_i32 s12, s12, s11
	s_mul_hi_u32 s11, s7, s12
	s_mul_i32 s12, s11, s2
	s_sub_i32 s7, s7, s12
	s_add_i32 s12, s11, 1
	s_sub_i32 s13, s7, s2
	s_cmp_ge_u32 s7, s2
	s_cselect_b32 s11, s12, s11
	s_cselect_b32 s7, s13, s7
	s_add_i32 s12, s11, 1
	s_cmp_ge_u32 s7, s2
	s_cselect_b32 s2, s12, s11
	s_xor_b32 s2, s2, s3
	s_sub_i32 s12, s2, s3
	s_abs_i32 s11, s12
	v_cvt_f32_u32_e32 v1, s11
	s_load_dwordx2 s[2:3], s[4:5], 0x40
	s_sub_i32 s7, 0, s11
	s_abs_i32 s16, s6
	v_rcp_iflag_f32_e32 v1, v1
	v_mul_f32_e32 v1, 0x4f7ffffe, v1
	v_cvt_u32_f32_e32 v1, v1
	v_readfirstlane_b32 s13, v1
	s_mul_i32 s7, s7, s13
	s_mul_hi_u32 s7, s13, s7
	s_add_i32 s13, s13, s7
	s_waitcnt lgkmcnt(0)
	s_cmp_eq_u64 s[2:3], 0
	s_mul_hi_u32 s17, s16, s13
	s_cbranch_scc1 .LBB321_2
; %bb.1:
	s_ashr_i32 s7, s6, 31
	s_lshl_b64 s[14:15], s[6:7], 2
	s_add_u32 s2, s2, s14
	s_addc_u32 s3, s3, s15
	s_load_dword s33, s[2:3], 0x0
.LBB321_2:
	s_load_dword s30, s[0:1], 0x0
	s_ashr_i32 s3, s12, 31
	s_load_dwordx4 s[12:15], s[4:5], 0x48
	s_ashr_i32 s2, s6, 31
	v_and_b32_e32 v11, 1, v0
	s_lshl_b32 s20, s6, 6
	v_cmp_gt_u32_e32 vcc, 16, v0
	v_lshlrev_b32_e32 v14, 3, v0
	s_and_saveexec_b64 s[0:1], vcc
	s_cbranch_execz .LBB321_4
; %bb.3:
	s_load_dwordx2 s[6:7], s[4:5], 0x8
	s_waitcnt lgkmcnt(0)
	s_mul_i32 s18, s12, s10
	s_ashr_i32 s19, s18, 31
	s_lshl_b64 s[18:19], s[18:19], 1
	v_lshlrev_b32_e32 v3, 2, v0
	s_add_u32 s12, s6, s18
	s_addc_u32 s15, s7, s19
	s_ashr_i32 s21, s20, 31
	s_lshl_b64 s[6:7], s[20:21], 1
	s_add_u32 s6, s12, s6
	s_addc_u32 s7, s15, s7
	global_load_dwordx2 v[1:2], v14, s[6:7]
	v_and_b32_e32 v3, 0xff8, v3
	v_lshl_add_u32 v3, v11, 6, v3
	s_waitcnt vmcnt(0)
	ds_write_b64 v3, v[1:2]
.LBB321_4:
	s_or_b64 exec, exec, s[0:1]
	s_waitcnt lgkmcnt(0)
	s_add_i32 s1, s30, 31
	s_ashr_i32 s6, s1, 31
	s_lshr_b32 s6, s6, 27
	s_add_i32 s1, s1, s6
	s_ashr_i32 s21, s1, 5
	s_xor_b32 s1, s2, s3
	s_mul_i32 s2, s17, s11
	s_sub_i32 s2, s16, s2
	s_add_i32 s3, s17, 1
	s_sub_i32 s6, s2, s11
	s_load_dwordx2 s[24:25], s[4:5], 0x28
	s_load_dword s0, s[4:5], 0x38
	s_cmp_ge_u32 s2, s11
	s_cselect_b32 s3, s3, s17
	s_cselect_b32 s2, s6, s2
	s_add_i32 s6, s3, 1
	s_cmp_ge_u32 s2, s11
	s_cselect_b32 s2, s6, s3
	v_lshrrev_b32_e32 v20, 6, v0
	s_xor_b32 s2, s2, s1
	s_waitcnt lgkmcnt(0)
	s_mul_i32 s26, s0, s10
	s_sub_i32 s12, s2, s1
	s_ashr_i32 s27, s26, 31
	v_cmp_gt_i32_e64 s[0:1], s21, v20
	v_cmp_le_i32_e32 vcc, s21, v20
	v_mbcnt_lo_u32_b32 v5, -1, 0
	buffer_store_dword v0, off, s[48:51], 0 offset:72 ; 4-byte Folded Spill
	s_waitcnt vmcnt(0)
	s_barrier
                                        ; implicit-def: $vgpr15
                                        ; implicit-def: $vgpr8
                                        ; implicit-def: $vgpr9
	s_and_saveexec_b64 s[2:3], vcc
	s_xor_b64 s[2:3], exec, s[2:3]
; %bb.5:
	v_mbcnt_hi_u32_b32 v15, -1, v5
	v_and_b32_e32 v8, 64, v15
	v_add_u32_e32 v9, 64, v8
                                        ; implicit-def: $vgpr11
                                        ; implicit-def: $vgpr5
; %bb.6:
	s_or_saveexec_b64 s[6:7], s[2:3]
	s_load_dwordx2 s[22:23], s[4:5], 0x0
	s_load_dwordx2 s[28:29], s[4:5], 0x18
	s_load_dword s11, s[4:5], 0x88
	s_load_dwordx4 s[16:19], s[4:5], 0x58
	buffer_load_dword v0, off, s[48:51], 0 offset:72 ; 4-byte Folded Reload
	v_mov_b32_e32 v47, 0xff7fffff
	s_mul_i32 s12, s12, s14
	s_waitcnt vmcnt(0)
	v_lshrrev_b32_e32 v16, 4, v0
	s_xor_b64 exec, exec, s[6:7]
	s_cbranch_execz .LBB321_204
; %bb.7:
	buffer_store_dword v14, off, s[48:51], 0 offset:76 ; 4-byte Folded Spill
	v_lshlrev_b32_e32 v10, 6, v11
	ds_read_b128 v[1:4], v10
	ds_read_b128 v[6:9], v10 offset:16
	s_load_dwordx2 s[2:3], s[4:5], 0x10
	s_ashr_i32 s4, s12, 31
	v_mbcnt_hi_u32_b32 v5, -1, v5
	s_waitcnt lgkmcnt(0)
	v_lshlrev_b32_e32 v0, 16, v1
	buffer_store_dword v0, off, s[48:51], 0 ; 4-byte Folded Spill
	v_and_b32_e32 v0, 0xffff0000, v1
	buffer_store_dword v0, off, s[48:51], 0 offset:8 ; 4-byte Folded Spill
	v_lshlrev_b32_e32 v0, 16, v2
	buffer_store_dword v0, off, s[48:51], 0 offset:12 ; 4-byte Folded Spill
	v_and_b32_e32 v0, 0xffff0000, v2
	buffer_store_dword v0, off, s[48:51], 0 offset:16 ; 4-byte Folded Spill
	v_lshlrev_b32_e32 v0, 16, v3
	buffer_store_dword v0, off, s[48:51], 0 offset:20 ; 4-byte Folded Spill
	;; [unrolled: 4-line block ×5, first 2 shown]
	v_and_b32_e32 v0, 0xffff0000, v7
	ds_read_b128 v[1:4], v10 offset:32
	buffer_store_dword v0, off, s[48:51], 0 offset:48 ; 4-byte Folded Spill
	v_lshlrev_b32_e32 v0, 16, v8
	buffer_store_dword v0, off, s[48:51], 0 offset:52 ; 4-byte Folded Spill
	v_and_b32_e32 v0, 0xffff0000, v8
	buffer_store_dword v0, off, s[48:51], 0 offset:56 ; 4-byte Folded Spill
	v_lshlrev_b32_e32 v0, 16, v9
	buffer_store_dword v0, off, s[48:51], 0 offset:60 ; 4-byte Folded Spill
	v_and_b32_e32 v0, 0xffff0000, v9
	buffer_store_dword v0, off, s[48:51], 0 offset:64 ; 4-byte Folded Spill
	ds_read_b128 v[6:9], v10 offset:48
	s_waitcnt lgkmcnt(1)
	v_lshlrev_b32_e32 v0, 16, v1
	buffer_store_dword v0, off, s[48:51], 0 offset:68 ; 4-byte Folded Spill
	buffer_load_dword v0, off, s[48:51], 0 offset:72 ; 4-byte Folded Reload
	s_add_u32 s2, s2, s12
	s_waitcnt lgkmcnt(0)
	v_lshlrev_b32_e32 v39, 16, v6
	v_and_b32_e32 v40, 0xffff0000, v6
	v_and_b32_e32 v32, 0xffff0000, v1
	s_addc_u32 s3, s3, s4
	v_lshlrev_b32_e32 v33, 16, v2
	v_and_b32_e32 v34, 0xffff0000, v2
	v_mov_b32_e32 v2, s3
	s_sub_i32 s38, 1, s30
	v_lshlrev_b32_e32 v35, 16, v3
	v_and_b32_e32 v36, 0xffff0000, v3
	v_lshlrev_b32_e32 v37, 16, v4
	v_and_b32_e32 v38, 0xffff0000, v4
	;; [unrolled: 2-line block ×3, first 2 shown]
	v_and_b32_e32 v7, 64, v5
	buffer_store_dword v7, off, s[48:51], 0 offset:88 ; 4-byte Folded Spill
	v_add_u32_e32 v7, 64, v7
	s_load_dword s40, s[16:17], 0x0
	v_lshlrev_b32_e32 v43, 16, v8
	v_and_b32_e32 v44, 0xffff0000, v8
	v_lshlrev_b32_e32 v45, 16, v9
	v_and_b32_e32 v46, 0xffff0000, v9
	s_mov_b32 s39, s13
	s_mov_b64 s[14:15], 0
	s_movk_i32 s41, 0x80
	s_movk_i32 s42, 0x7f
	s_mov_b32 s43, 0xffffff
	s_movk_i32 s44, 0x7fff
	v_mov_b32_e32 v51, 0
	v_mov_b32_e32 v47, 0xff7fffff
	v_bfrev_b32_e32 v52, 60
	v_mov_b32_e32 v53, v20
	buffer_store_dword v16, off, s[48:51], 0 offset:80 ; 4-byte Folded Spill
	buffer_store_dword v7, off, s[48:51], 0 offset:92 ; 4-byte Folded Spill
	;; [unrolled: 1-line block ×3, first 2 shown]
	s_waitcnt vmcnt(4)
	v_bfe_u32 v6, v0, 1, 5
	v_lshlrev_b32_e32 v1, 4, v6
	v_add_co_u32_e32 v1, vcc, s2, v1
	v_lshlrev_b32_e32 v0, 2, v11
	v_addc_co_u32_e32 v2, vcc, 0, v2, vcc
	v_add_co_u32_e64 v1, s[2:3], v1, v0
	v_addc_co_u32_e64 v2, s[2:3], 0, v2, s[2:3]
	s_lshl_b64 s[2:3], s[26:27], 2
	s_add_u32 s2, s24, s2
	s_addc_u32 s3, s25, s3
	v_and_b32_e32 v0, 60, v16
	v_mov_b32_e32 v4, s3
	v_add_co_u32_e64 v3, s[2:3], s2, v0
	v_addc_co_u32_e64 v4, s[2:3], 0, v4, s[2:3]
	v_xor_b32_e32 v0, 1, v5
	v_cmp_lt_i32_e64 s[2:3], v0, v7
	v_cndmask_b32_e64 v0, v5, v0, s[2:3]
	v_lshlrev_b32_e32 v48, 2, v0
	v_lshlrev_b32_e32 v0, 2, v6
	v_lshl_or_b32 v0, v20, 7, v0
	v_cmp_eq_u32_e32 vcc, 0, v11
	v_cmp_neq_f32_e64 s[2:3], s33, 0
	v_lshl_or_b32 v49, v20, 5, v6
	v_add_u32_e32 v50, 0x90, v0
	s_branch .LBB321_9
.LBB321_8:                              ;   in Loop: Header=BB321_9 Depth=1
	s_or_b64 exec, exec, s[16:17]
	v_add_u32_e32 v53, 2, v53
	v_cmp_le_i32_e64 s[4:5], s21, v53
	s_or_b64 s[14:15], s[4:5], s[14:15]
	v_add_co_u32_e64 v3, s[4:5], 8, v3
	v_add_u32_e32 v49, 64, v49
	v_add_u32_e32 v50, 0x100, v50
	v_addc_co_u32_e64 v4, s[4:5], 0, v4, s[4:5]
	s_andn2_b64 exec, exec, s[14:15]
	s_cbranch_execz .LBB321_203
.LBB321_9:                              ; =>This Inner Loop Header: Depth=1
	global_load_dword v0, v[3:4], off
	v_mov_b32_e32 v54, 0
	s_waitcnt vmcnt(0) lgkmcnt(0)
	v_mad_i64_i32 v[5:6], s[4:5], v0, s39, v[1:2]
	global_load_dword v7, v[5:6], off
	s_waitcnt vmcnt(0)
	v_cmp_ne_u16_sdwa s[4:5], v7, v51 src0_sel:BYTE_0 src1_sel:DWORD
	s_and_saveexec_b64 s[16:17], s[4:5]
	s_cbranch_execz .LBB321_15
; %bb.10:                               ;   in Loop: Header=BB321_9 Depth=1
	v_cmp_ne_u16_sdwa s[4:5], v7, s41 src0_sel:BYTE_0 src1_sel:DWORD
	v_bfrev_b32_e32 v54, 1
	s_and_saveexec_b64 s[34:35], s[4:5]
	s_cbranch_execz .LBB321_14
; %bb.11:                               ;   in Loop: Header=BB321_9 Depth=1
	v_and_b32_e32 v0, 0x7f, v7
	v_cmp_ne_u32_e64 s[4:5], s42, v0
	v_mov_b32_e32 v54, 0x7f800001
	s_and_saveexec_b64 s[36:37], s[4:5]
	s_cbranch_execz .LBB321_13
; %bb.12:                               ;   in Loop: Header=BB321_9 Depth=1
	v_and_b32_e32 v10, 7, v7
	v_ffbh_u32_e32 v8, v10
	v_min_u32_e32 v12, 32, v8
	v_subrev_u32_e32 v8, 28, v12
	v_lshlrev_b64 v[8:9], v8, v[7:8]
	v_lshrrev_b32_e32 v11, 3, v0
	v_sub_u32_e32 v9, 29, v12
	v_and_b32_e32 v8, 7, v8
	v_cmp_gt_u32_e64 s[4:5], 8, v0
	v_cndmask_b32_e64 v0, v11, v9, s[4:5]
	v_cndmask_b32_e64 v8, v10, v8, s[4:5]
	v_lshlrev_b32_e32 v9, 24, v7
	v_lshlrev_b32_e32 v8, 20, v8
	v_and_b32_e32 v9, 0x80000000, v9
	v_lshl_add_u32 v0, v0, 23, v52
	v_or3_b32 v54, v9, v0, v8
.LBB321_13:                             ;   in Loop: Header=BB321_9 Depth=1
	s_or_b64 exec, exec, s[36:37]
.LBB321_14:                             ;   in Loop: Header=BB321_9 Depth=1
	s_or_b64 exec, exec, s[34:35]
.LBB321_15:                             ;   in Loop: Header=BB321_9 Depth=1
	s_or_b64 exec, exec, s[16:17]
	v_lshrrev_b16_e32 v8, 8, v7
	v_cmp_ne_u16_e64 s[4:5], 0, v8
	v_mov_b32_e32 v56, 0
	v_mov_b32_e32 v55, 0
	s_and_saveexec_b64 s[16:17], s[4:5]
	s_cbranch_execz .LBB321_21
; %bb.16:                               ;   in Loop: Header=BB321_9 Depth=1
	v_cmp_ne_u16_e64 s[4:5], s41, v8
	v_bfrev_b32_e32 v55, 1
	s_and_saveexec_b64 s[34:35], s[4:5]
	s_cbranch_execz .LBB321_20
; %bb.17:                               ;   in Loop: Header=BB321_9 Depth=1
	v_and_b32_e32 v0, 0x7f, v8
	v_cmp_ne_u32_e64 s[4:5], s42, v0
	v_mov_b32_e32 v55, 0x7f800001
	s_and_saveexec_b64 s[36:37], s[4:5]
	s_cbranch_execz .LBB321_19
; %bb.18:                               ;   in Loop: Header=BB321_9 Depth=1
	v_and_b32_e32 v10, 7, v8
	v_ffbh_u32_e32 v9, v10
	v_min_u32_e32 v12, 32, v9
	v_subrev_u32_e32 v9, 28, v12
	v_lshlrev_b64 v[8:9], v9, v[8:9]
	v_lshrrev_b32_e32 v11, 3, v0
	v_sub_u32_e32 v9, 29, v12
	v_and_b32_e32 v8, 7, v8
	v_cmp_gt_u32_e64 s[4:5], 8, v0
	v_cndmask_b32_e64 v0, v11, v9, s[4:5]
	v_cndmask_b32_e64 v8, v10, v8, s[4:5]
	v_lshlrev_b32_e32 v9, 16, v7
	v_lshlrev_b32_e32 v8, 20, v8
	v_and_b32_e32 v9, 0x80000000, v9
	v_lshl_add_u32 v0, v0, 23, v52
	v_or3_b32 v55, v9, v0, v8
.LBB321_19:                             ;   in Loop: Header=BB321_9 Depth=1
	s_or_b64 exec, exec, s[36:37]
.LBB321_20:                             ;   in Loop: Header=BB321_9 Depth=1
	s_or_b64 exec, exec, s[34:35]
.LBB321_21:                             ;   in Loop: Header=BB321_9 Depth=1
	s_or_b64 exec, exec, s[16:17]
	v_lshrrev_b32_e32 v8, 16, v7
	v_cmp_ne_u16_sdwa s[4:5], v8, v51 src0_sel:BYTE_0 src1_sel:DWORD
	s_and_saveexec_b64 s[16:17], s[4:5]
	s_cbranch_execz .LBB321_27
; %bb.22:                               ;   in Loop: Header=BB321_9 Depth=1
	v_cmp_ne_u16_sdwa s[4:5], v8, s41 src0_sel:BYTE_0 src1_sel:DWORD
	v_bfrev_b32_e32 v56, 1
	s_and_saveexec_b64 s[34:35], s[4:5]
	s_cbranch_execz .LBB321_26
; %bb.23:                               ;   in Loop: Header=BB321_9 Depth=1
	v_bfe_u32 v0, v7, 16, 7
	v_cmp_ne_u32_e64 s[4:5], s42, v0
	v_mov_b32_e32 v56, 0x7f800001
	s_and_saveexec_b64 s[36:37], s[4:5]
	s_cbranch_execz .LBB321_25
; %bb.24:                               ;   in Loop: Header=BB321_9 Depth=1
	v_and_b32_e32 v11, 7, v8
	v_ffbh_u32_e32 v9, v11
	v_min_u32_e32 v13, 32, v9
	v_subrev_u32_e32 v9, 28, v13
	v_lshlrev_b64 v[9:10], v9, v[8:9]
	v_lshrrev_b32_e32 v12, 3, v0
	v_sub_u32_e32 v10, 29, v13
	v_and_b32_e32 v9, 7, v9
	v_cmp_gt_u32_e64 s[4:5], 8, v0
	v_cndmask_b32_e64 v0, v12, v10, s[4:5]
	v_cndmask_b32_e64 v9, v11, v9, s[4:5]
	v_lshlrev_b32_e32 v8, 24, v8
	v_lshlrev_b32_e32 v9, 20, v9
	v_and_b32_e32 v8, 0x80000000, v8
	v_lshl_add_u32 v0, v0, 23, v52
	v_or3_b32 v56, v8, v0, v9
.LBB321_25:                             ;   in Loop: Header=BB321_9 Depth=1
	s_or_b64 exec, exec, s[36:37]
.LBB321_26:                             ;   in Loop: Header=BB321_9 Depth=1
	s_or_b64 exec, exec, s[34:35]
.LBB321_27:                             ;   in Loop: Header=BB321_9 Depth=1
	s_or_b64 exec, exec, s[16:17]
	v_cmp_lt_u32_e64 s[4:5], s43, v7
	v_mov_b32_e32 v58, 0
	v_mov_b32_e32 v57, 0
	s_and_saveexec_b64 s[16:17], s[4:5]
	s_cbranch_execz .LBB321_33
; %bb.28:                               ;   in Loop: Header=BB321_9 Depth=1
	v_lshrrev_b32_e32 v8, 24, v7
	v_cmp_ne_u32_e64 s[4:5], s41, v8
	v_bfrev_b32_e32 v57, 1
	s_and_saveexec_b64 s[34:35], s[4:5]
	s_cbranch_execz .LBB321_32
; %bb.29:                               ;   in Loop: Header=BB321_9 Depth=1
	v_bfe_u32 v0, v7, 24, 7
	v_cmp_ne_u32_e64 s[4:5], s42, v0
	v_mov_b32_e32 v57, 0x7f800001
	s_and_saveexec_b64 s[36:37], s[4:5]
	s_cbranch_execz .LBB321_31
; %bb.30:                               ;   in Loop: Header=BB321_9 Depth=1
	v_and_b32_e32 v7, 7, v8
	v_ffbh_u32_e32 v9, v7
	v_min_u32_e32 v12, 32, v9
	v_subrev_u32_e32 v9, 28, v12
	v_lshlrev_b64 v[9:10], v9, v[8:9]
	v_lshrrev_b32_e32 v11, 3, v0
	v_sub_u32_e32 v10, 29, v12
	v_and_b32_e32 v9, 7, v9
	v_cmp_gt_u32_e64 s[4:5], 8, v0
	v_cndmask_b32_e64 v0, v11, v10, s[4:5]
	v_cndmask_b32_e64 v7, v7, v9, s[4:5]
	v_lshlrev_b32_e32 v8, 24, v8
	v_lshlrev_b32_e32 v7, 20, v7
	v_and_b32_e32 v8, 0x80000000, v8
	v_lshl_add_u32 v0, v0, 23, v52
	v_or3_b32 v57, v8, v0, v7
.LBB321_31:                             ;   in Loop: Header=BB321_9 Depth=1
	s_or_b64 exec, exec, s[36:37]
.LBB321_32:                             ;   in Loop: Header=BB321_9 Depth=1
	s_or_b64 exec, exec, s[34:35]
.LBB321_33:                             ;   in Loop: Header=BB321_9 Depth=1
	s_or_b64 exec, exec, s[16:17]
	global_load_dword v7, v[5:6], off offset:8
	s_waitcnt vmcnt(0)
	v_cmp_ne_u16_sdwa s[4:5], v7, v51 src0_sel:BYTE_0 src1_sel:DWORD
	s_and_saveexec_b64 s[16:17], s[4:5]
	s_cbranch_execz .LBB321_39
; %bb.34:                               ;   in Loop: Header=BB321_9 Depth=1
	v_cmp_ne_u16_sdwa s[4:5], v7, s41 src0_sel:BYTE_0 src1_sel:DWORD
	v_bfrev_b32_e32 v58, 1
	s_and_saveexec_b64 s[34:35], s[4:5]
	s_cbranch_execz .LBB321_38
; %bb.35:                               ;   in Loop: Header=BB321_9 Depth=1
	v_and_b32_e32 v0, 0x7f, v7
	v_cmp_ne_u32_e64 s[4:5], s42, v0
	v_mov_b32_e32 v58, 0x7f800001
	s_and_saveexec_b64 s[36:37], s[4:5]
	s_cbranch_execz .LBB321_37
; %bb.36:                               ;   in Loop: Header=BB321_9 Depth=1
	v_and_b32_e32 v10, 7, v7
	v_ffbh_u32_e32 v8, v10
	v_min_u32_e32 v12, 32, v8
	v_subrev_u32_e32 v8, 28, v12
	v_lshlrev_b64 v[8:9], v8, v[7:8]
	v_lshrrev_b32_e32 v11, 3, v0
	v_sub_u32_e32 v9, 29, v12
	v_and_b32_e32 v8, 7, v8
	v_cmp_gt_u32_e64 s[4:5], 8, v0
	v_cndmask_b32_e64 v0, v11, v9, s[4:5]
	v_cndmask_b32_e64 v8, v10, v8, s[4:5]
	v_lshlrev_b32_e32 v9, 24, v7
	v_lshlrev_b32_e32 v8, 20, v8
	v_and_b32_e32 v9, 0x80000000, v9
	v_lshl_add_u32 v0, v0, 23, v52
	v_or3_b32 v58, v9, v0, v8
.LBB321_37:                             ;   in Loop: Header=BB321_9 Depth=1
	s_or_b64 exec, exec, s[36:37]
.LBB321_38:                             ;   in Loop: Header=BB321_9 Depth=1
	s_or_b64 exec, exec, s[34:35]
.LBB321_39:                             ;   in Loop: Header=BB321_9 Depth=1
	s_or_b64 exec, exec, s[16:17]
	v_lshrrev_b16_e32 v8, 8, v7
	v_cmp_ne_u16_e64 s[4:5], 0, v8
	v_mov_b32_e32 v60, 0
	v_mov_b32_e32 v59, 0
	s_and_saveexec_b64 s[16:17], s[4:5]
	s_cbranch_execz .LBB321_45
; %bb.40:                               ;   in Loop: Header=BB321_9 Depth=1
	v_cmp_ne_u16_e64 s[4:5], s41, v8
	v_bfrev_b32_e32 v59, 1
	s_and_saveexec_b64 s[34:35], s[4:5]
	s_cbranch_execz .LBB321_44
; %bb.41:                               ;   in Loop: Header=BB321_9 Depth=1
	v_and_b32_e32 v0, 0x7f, v8
	v_cmp_ne_u32_e64 s[4:5], s42, v0
	v_mov_b32_e32 v59, 0x7f800001
	s_and_saveexec_b64 s[36:37], s[4:5]
	s_cbranch_execz .LBB321_43
; %bb.42:                               ;   in Loop: Header=BB321_9 Depth=1
	v_and_b32_e32 v10, 7, v8
	v_lshrrev_b32_e32 v11, 3, v0
	v_cmp_gt_u32_e64 s[4:5], 8, v0
	v_ffbh_u32_e32 v0, v10
	v_min_u32_e32 v0, 32, v0
	v_subrev_u32_e32 v9, 28, v0
	v_lshlrev_b64 v[8:9], v9, v[8:9]
	v_sub_u32_e32 v0, 29, v0
	v_and_b32_e32 v8, 7, v8
	v_cndmask_b32_e64 v0, v11, v0, s[4:5]
	v_cndmask_b32_e64 v8, v10, v8, s[4:5]
	v_lshlrev_b32_e32 v9, 16, v7
	v_lshlrev_b32_e32 v8, 20, v8
	v_and_b32_e32 v9, 0x80000000, v9
	v_lshl_add_u32 v0, v0, 23, v52
	v_or3_b32 v59, v9, v0, v8
.LBB321_43:                             ;   in Loop: Header=BB321_9 Depth=1
	s_or_b64 exec, exec, s[36:37]
.LBB321_44:                             ;   in Loop: Header=BB321_9 Depth=1
	s_or_b64 exec, exec, s[34:35]
.LBB321_45:                             ;   in Loop: Header=BB321_9 Depth=1
	s_or_b64 exec, exec, s[16:17]
	v_lshrrev_b32_e32 v8, 16, v7
	v_cmp_ne_u16_sdwa s[4:5], v8, v51 src0_sel:BYTE_0 src1_sel:DWORD
	s_and_saveexec_b64 s[16:17], s[4:5]
	s_cbranch_execz .LBB321_51
; %bb.46:                               ;   in Loop: Header=BB321_9 Depth=1
	v_cmp_ne_u16_sdwa s[4:5], v8, s41 src0_sel:BYTE_0 src1_sel:DWORD
	v_bfrev_b32_e32 v60, 1
	s_and_saveexec_b64 s[34:35], s[4:5]
	s_cbranch_execz .LBB321_50
; %bb.47:                               ;   in Loop: Header=BB321_9 Depth=1
	v_bfe_u32 v0, v7, 16, 7
	v_cmp_ne_u32_e64 s[4:5], s42, v0
	v_mov_b32_e32 v60, 0x7f800001
	s_and_saveexec_b64 s[36:37], s[4:5]
	s_cbranch_execz .LBB321_49
; %bb.48:                               ;   in Loop: Header=BB321_9 Depth=1
	v_and_b32_e32 v11, 7, v8
	v_lshrrev_b32_e32 v12, 3, v0
	v_cmp_gt_u32_e64 s[4:5], 8, v0
	v_ffbh_u32_e32 v0, v11
	v_min_u32_e32 v0, 32, v0
	v_subrev_u32_e32 v9, 28, v0
	v_lshlrev_b64 v[9:10], v9, v[8:9]
	v_sub_u32_e32 v0, 29, v0
	v_and_b32_e32 v9, 7, v9
	v_cndmask_b32_e64 v0, v12, v0, s[4:5]
	v_cndmask_b32_e64 v9, v11, v9, s[4:5]
	v_lshlrev_b32_e32 v8, 24, v8
	v_lshlrev_b32_e32 v9, 20, v9
	v_and_b32_e32 v8, 0x80000000, v8
	v_lshl_add_u32 v0, v0, 23, v52
	v_or3_b32 v60, v8, v0, v9
.LBB321_49:                             ;   in Loop: Header=BB321_9 Depth=1
	s_or_b64 exec, exec, s[36:37]
.LBB321_50:                             ;   in Loop: Header=BB321_9 Depth=1
	s_or_b64 exec, exec, s[34:35]
.LBB321_51:                             ;   in Loop: Header=BB321_9 Depth=1
	s_or_b64 exec, exec, s[16:17]
	v_cmp_lt_u32_e64 s[4:5], s43, v7
	v_mov_b32_e32 v62, 0
	v_mov_b32_e32 v61, 0
	s_and_saveexec_b64 s[16:17], s[4:5]
	s_cbranch_execz .LBB321_57
; %bb.52:                               ;   in Loop: Header=BB321_9 Depth=1
	v_lshrrev_b32_e32 v8, 24, v7
	v_cmp_ne_u32_e64 s[4:5], s41, v8
	v_bfrev_b32_e32 v61, 1
	s_and_saveexec_b64 s[34:35], s[4:5]
	s_cbranch_execz .LBB321_56
; %bb.53:                               ;   in Loop: Header=BB321_9 Depth=1
	v_bfe_u32 v0, v7, 24, 7
	v_cmp_ne_u32_e64 s[4:5], s42, v0
	v_mov_b32_e32 v61, 0x7f800001
	s_and_saveexec_b64 s[36:37], s[4:5]
	s_cbranch_execz .LBB321_55
; %bb.54:                               ;   in Loop: Header=BB321_9 Depth=1
	v_and_b32_e32 v7, 7, v8
	v_lshrrev_b32_e32 v11, 3, v0
	v_cmp_gt_u32_e64 s[4:5], 8, v0
	v_ffbh_u32_e32 v0, v7
	v_min_u32_e32 v0, 32, v0
	v_subrev_u32_e32 v9, 28, v0
	v_lshlrev_b64 v[9:10], v9, v[8:9]
	v_sub_u32_e32 v0, 29, v0
	v_and_b32_e32 v9, 7, v9
	v_cndmask_b32_e64 v0, v11, v0, s[4:5]
	v_cndmask_b32_e64 v7, v7, v9, s[4:5]
	v_lshlrev_b32_e32 v8, 24, v8
	v_lshlrev_b32_e32 v7, 20, v7
	v_and_b32_e32 v8, 0x80000000, v8
	v_lshl_add_u32 v0, v0, 23, v52
	v_or3_b32 v61, v8, v0, v7
.LBB321_55:                             ;   in Loop: Header=BB321_9 Depth=1
	s_or_b64 exec, exec, s[36:37]
.LBB321_56:                             ;   in Loop: Header=BB321_9 Depth=1
	s_or_b64 exec, exec, s[34:35]
.LBB321_57:                             ;   in Loop: Header=BB321_9 Depth=1
	s_or_b64 exec, exec, s[16:17]
	global_load_dword v7, v[5:6], off offset:512
	s_waitcnt vmcnt(0)
	v_cmp_ne_u16_sdwa s[4:5], v7, v51 src0_sel:BYTE_0 src1_sel:DWORD
	s_and_saveexec_b64 s[16:17], s[4:5]
	s_cbranch_execz .LBB321_63
; %bb.58:                               ;   in Loop: Header=BB321_9 Depth=1
	v_cmp_ne_u16_sdwa s[4:5], v7, s41 src0_sel:BYTE_0 src1_sel:DWORD
	v_bfrev_b32_e32 v62, 1
	s_and_saveexec_b64 s[34:35], s[4:5]
	s_cbranch_execz .LBB321_62
; %bb.59:                               ;   in Loop: Header=BB321_9 Depth=1
	v_and_b32_e32 v0, 0x7f, v7
	v_cmp_ne_u32_e64 s[4:5], s42, v0
	v_mov_b32_e32 v62, 0x7f800001
	s_and_saveexec_b64 s[36:37], s[4:5]
	s_cbranch_execz .LBB321_61
; %bb.60:                               ;   in Loop: Header=BB321_9 Depth=1
	v_and_b32_e32 v10, 7, v7
	v_lshrrev_b32_e32 v11, 3, v0
	v_cmp_gt_u32_e64 s[4:5], 8, v0
	v_ffbh_u32_e32 v0, v10
	v_min_u32_e32 v0, 32, v0
	v_subrev_u32_e32 v8, 28, v0
	v_lshlrev_b64 v[8:9], v8, v[7:8]
	v_sub_u32_e32 v0, 29, v0
	v_and_b32_e32 v8, 7, v8
	v_cndmask_b32_e64 v0, v11, v0, s[4:5]
	v_cndmask_b32_e64 v8, v10, v8, s[4:5]
	v_lshlrev_b32_e32 v9, 24, v7
	v_lshlrev_b32_e32 v8, 20, v8
	v_and_b32_e32 v9, 0x80000000, v9
	v_lshl_add_u32 v0, v0, 23, v52
	v_or3_b32 v62, v9, v0, v8
.LBB321_61:                             ;   in Loop: Header=BB321_9 Depth=1
	s_or_b64 exec, exec, s[36:37]
.LBB321_62:                             ;   in Loop: Header=BB321_9 Depth=1
	s_or_b64 exec, exec, s[34:35]
.LBB321_63:                             ;   in Loop: Header=BB321_9 Depth=1
	s_or_b64 exec, exec, s[16:17]
	v_lshrrev_b16_e32 v8, 8, v7
	v_cmp_ne_u16_e64 s[4:5], 0, v8
	v_mov_b32_e32 v13, 0
	v_mov_b32_e32 v63, 0
	s_and_saveexec_b64 s[16:17], s[4:5]
	s_cbranch_execz .LBB321_69
; %bb.64:                               ;   in Loop: Header=BB321_9 Depth=1
	v_cmp_ne_u16_e64 s[4:5], s41, v8
	v_bfrev_b32_e32 v63, 1
	s_and_saveexec_b64 s[34:35], s[4:5]
	s_cbranch_execz .LBB321_68
; %bb.65:                               ;   in Loop: Header=BB321_9 Depth=1
	v_and_b32_e32 v0, 0x7f, v8
	v_cmp_ne_u32_e64 s[4:5], s42, v0
	v_mov_b32_e32 v63, 0x7f800001
	s_and_saveexec_b64 s[36:37], s[4:5]
	s_cbranch_execz .LBB321_67
; %bb.66:                               ;   in Loop: Header=BB321_9 Depth=1
	v_and_b32_e32 v10, 7, v8
	v_lshrrev_b32_e32 v11, 3, v0
	v_cmp_gt_u32_e64 s[4:5], 8, v0
	v_ffbh_u32_e32 v0, v10
	v_min_u32_e32 v0, 32, v0
	v_subrev_u32_e32 v9, 28, v0
	v_lshlrev_b64 v[8:9], v9, v[8:9]
	v_sub_u32_e32 v0, 29, v0
	v_and_b32_e32 v8, 7, v8
	v_cndmask_b32_e64 v0, v11, v0, s[4:5]
	v_cndmask_b32_e64 v8, v10, v8, s[4:5]
	v_lshlrev_b32_e32 v9, 16, v7
	v_lshlrev_b32_e32 v8, 20, v8
	v_and_b32_e32 v9, 0x80000000, v9
	v_lshl_add_u32 v0, v0, 23, v52
	v_or3_b32 v63, v9, v0, v8
.LBB321_67:                             ;   in Loop: Header=BB321_9 Depth=1
	s_or_b64 exec, exec, s[36:37]
.LBB321_68:                             ;   in Loop: Header=BB321_9 Depth=1
	s_or_b64 exec, exec, s[34:35]
.LBB321_69:                             ;   in Loop: Header=BB321_9 Depth=1
	s_or_b64 exec, exec, s[16:17]
	v_lshrrev_b32_e32 v8, 16, v7
	v_cmp_ne_u16_sdwa s[4:5], v8, v51 src0_sel:BYTE_0 src1_sel:DWORD
	s_and_saveexec_b64 s[16:17], s[4:5]
	s_cbranch_execz .LBB321_75
; %bb.70:                               ;   in Loop: Header=BB321_9 Depth=1
	v_cmp_ne_u16_sdwa s[4:5], v8, s41 src0_sel:BYTE_0 src1_sel:DWORD
	v_bfrev_b32_e32 v13, 1
	s_and_saveexec_b64 s[34:35], s[4:5]
	s_cbranch_execz .LBB321_74
; %bb.71:                               ;   in Loop: Header=BB321_9 Depth=1
	v_bfe_u32 v0, v7, 16, 7
	v_cmp_ne_u32_e64 s[4:5], s42, v0
	v_mov_b32_e32 v13, 0x7f800001
	s_and_saveexec_b64 s[36:37], s[4:5]
	s_cbranch_execz .LBB321_73
; %bb.72:                               ;   in Loop: Header=BB321_9 Depth=1
	v_and_b32_e32 v11, 7, v8
	v_lshrrev_b32_e32 v12, 3, v0
	v_cmp_gt_u32_e64 s[4:5], 8, v0
	v_ffbh_u32_e32 v0, v11
	v_min_u32_e32 v0, 32, v0
	v_subrev_u32_e32 v9, 28, v0
	v_lshlrev_b64 v[9:10], v9, v[8:9]
	v_sub_u32_e32 v0, 29, v0
	v_and_b32_e32 v9, 7, v9
	v_cndmask_b32_e64 v0, v12, v0, s[4:5]
	v_cndmask_b32_e64 v9, v11, v9, s[4:5]
	v_lshlrev_b32_e32 v8, 24, v8
	v_lshlrev_b32_e32 v9, 20, v9
	v_and_b32_e32 v8, 0x80000000, v8
	v_lshl_add_u32 v0, v0, 23, v52
	v_or3_b32 v13, v8, v0, v9
.LBB321_73:                             ;   in Loop: Header=BB321_9 Depth=1
	s_or_b64 exec, exec, s[36:37]
.LBB321_74:                             ;   in Loop: Header=BB321_9 Depth=1
	s_or_b64 exec, exec, s[34:35]
.LBB321_75:                             ;   in Loop: Header=BB321_9 Depth=1
	s_or_b64 exec, exec, s[16:17]
	v_cmp_lt_u32_e64 s[4:5], s43, v7
	v_mov_b32_e32 v11, 0
	v_mov_b32_e32 v9, 0
	s_and_saveexec_b64 s[16:17], s[4:5]
	s_cbranch_execz .LBB321_81
; %bb.76:                               ;   in Loop: Header=BB321_9 Depth=1
	v_lshrrev_b32_e32 v8, 24, v7
	v_cmp_ne_u32_e64 s[4:5], s41, v8
	v_bfrev_b32_e32 v9, 1
	s_and_saveexec_b64 s[34:35], s[4:5]
	s_cbranch_execz .LBB321_80
; %bb.77:                               ;   in Loop: Header=BB321_9 Depth=1
	v_bfe_u32 v0, v7, 24, 7
	v_cmp_ne_u32_e64 s[4:5], s42, v0
	v_mov_b32_e32 v9, 0x7f800001
	s_and_saveexec_b64 s[36:37], s[4:5]
	s_cbranch_execz .LBB321_79
; %bb.78:                               ;   in Loop: Header=BB321_9 Depth=1
	v_and_b32_e32 v7, 7, v8
	v_lshrrev_b32_e32 v12, 3, v0
	v_cmp_gt_u32_e64 s[4:5], 8, v0
	v_ffbh_u32_e32 v0, v7
	v_min_u32_e32 v0, 32, v0
	v_subrev_u32_e32 v9, 28, v0
	v_lshlrev_b64 v[9:10], v9, v[8:9]
	v_sub_u32_e32 v0, 29, v0
	v_and_b32_e32 v9, 7, v9
	v_cndmask_b32_e64 v0, v12, v0, s[4:5]
	v_cndmask_b32_e64 v7, v7, v9, s[4:5]
	v_lshlrev_b32_e32 v8, 24, v8
	v_lshlrev_b32_e32 v7, 20, v7
	v_and_b32_e32 v8, 0x80000000, v8
	v_lshl_add_u32 v0, v0, 23, v52
	v_or3_b32 v9, v8, v0, v7
.LBB321_79:                             ;   in Loop: Header=BB321_9 Depth=1
	s_or_b64 exec, exec, s[36:37]
.LBB321_80:                             ;   in Loop: Header=BB321_9 Depth=1
	s_or_b64 exec, exec, s[34:35]
.LBB321_81:                             ;   in Loop: Header=BB321_9 Depth=1
	s_or_b64 exec, exec, s[16:17]
	global_load_dword v7, v[5:6], off offset:520
	s_waitcnt vmcnt(0)
	v_cmp_ne_u16_sdwa s[4:5], v7, v51 src0_sel:BYTE_0 src1_sel:DWORD
	s_and_saveexec_b64 s[16:17], s[4:5]
	s_cbranch_execz .LBB321_87
; %bb.82:                               ;   in Loop: Header=BB321_9 Depth=1
	v_cmp_ne_u16_sdwa s[4:5], v7, s41 src0_sel:BYTE_0 src1_sel:DWORD
	v_bfrev_b32_e32 v11, 1
	s_and_saveexec_b64 s[34:35], s[4:5]
	s_cbranch_execz .LBB321_86
; %bb.83:                               ;   in Loop: Header=BB321_9 Depth=1
	v_and_b32_e32 v0, 0x7f, v7
	v_cmp_ne_u32_e64 s[4:5], s42, v0
	v_mov_b32_e32 v11, 0x7f800001
	s_and_saveexec_b64 s[36:37], s[4:5]
	s_cbranch_execz .LBB321_85
; %bb.84:                               ;   in Loop: Header=BB321_9 Depth=1
	v_and_b32_e32 v8, 7, v7
	v_lshrrev_b32_e32 v12, 3, v0
	v_cmp_gt_u32_e64 s[4:5], 8, v0
	v_ffbh_u32_e32 v0, v8
	v_min_u32_e32 v0, 32, v0
	v_subrev_u32_e32 v10, 28, v0
	v_lshlrev_b64 v[10:11], v10, v[7:8]
	v_sub_u32_e32 v0, 29, v0
	v_and_b32_e32 v10, 7, v10
	v_cndmask_b32_e64 v0, v12, v0, s[4:5]
	v_cndmask_b32_e64 v8, v8, v10, s[4:5]
	v_lshlrev_b32_e32 v10, 24, v7
	v_lshlrev_b32_e32 v8, 20, v8
	v_and_b32_e32 v10, 0x80000000, v10
	v_lshl_add_u32 v0, v0, 23, v52
	v_or3_b32 v11, v10, v0, v8
.LBB321_85:                             ;   in Loop: Header=BB321_9 Depth=1
	s_or_b64 exec, exec, s[36:37]
.LBB321_86:                             ;   in Loop: Header=BB321_9 Depth=1
	s_or_b64 exec, exec, s[34:35]
.LBB321_87:                             ;   in Loop: Header=BB321_9 Depth=1
	s_or_b64 exec, exec, s[16:17]
	v_lshrrev_b16_e32 v8, 8, v7
	v_cmp_ne_u16_e64 s[4:5], 0, v8
	v_mov_b32_e32 v0, 0
	v_mov_b32_e32 v12, 0
	s_and_saveexec_b64 s[16:17], s[4:5]
	s_cbranch_execz .LBB321_93
; %bb.88:                               ;   in Loop: Header=BB321_9 Depth=1
	v_cmp_ne_u16_e64 s[4:5], s41, v8
	v_bfrev_b32_e32 v12, 1
	s_and_saveexec_b64 s[34:35], s[4:5]
	s_cbranch_execz .LBB321_92
; %bb.89:                               ;   in Loop: Header=BB321_9 Depth=1
	v_and_b32_e32 v10, 0x7f, v8
	v_cmp_ne_u32_e64 s[4:5], s42, v10
	v_mov_b32_e32 v12, 0x7f800001
	s_and_saveexec_b64 s[36:37], s[4:5]
	s_cbranch_execz .LBB321_91
; %bb.90:                               ;   in Loop: Header=BB321_9 Depth=1
	v_and_b32_e32 v12, 7, v8
	v_lshrrev_b32_e32 v16, 3, v10
	v_cmp_gt_u32_e64 s[4:5], 8, v10
	v_ffbh_u32_e32 v10, v12
	v_min_u32_e32 v10, 32, v10
	v_subrev_u32_e32 v14, 28, v10
	v_lshlrev_b64 v[14:15], v14, v[8:9]
	v_sub_u32_e32 v8, 29, v10
	v_and_b32_e32 v10, 7, v14
	v_cndmask_b32_e64 v8, v16, v8, s[4:5]
	v_cndmask_b32_e64 v10, v12, v10, s[4:5]
	v_lshlrev_b32_e32 v12, 16, v7
	v_lshlrev_b32_e32 v10, 20, v10
	v_and_b32_e32 v12, 0x80000000, v12
	v_lshl_add_u32 v8, v8, 23, v52
	v_or3_b32 v12, v12, v8, v10
.LBB321_91:                             ;   in Loop: Header=BB321_9 Depth=1
	s_or_b64 exec, exec, s[36:37]
.LBB321_92:                             ;   in Loop: Header=BB321_9 Depth=1
	s_or_b64 exec, exec, s[34:35]
.LBB321_93:                             ;   in Loop: Header=BB321_9 Depth=1
	s_or_b64 exec, exec, s[16:17]
	v_lshrrev_b32_e32 v8, 16, v7
	v_cmp_ne_u16_sdwa s[4:5], v8, v51 src0_sel:BYTE_0 src1_sel:DWORD
	s_and_saveexec_b64 s[16:17], s[4:5]
	s_cbranch_execz .LBB321_99
; %bb.94:                               ;   in Loop: Header=BB321_9 Depth=1
	v_cmp_ne_u16_sdwa s[4:5], v8, s41 src0_sel:BYTE_0 src1_sel:DWORD
	v_bfrev_b32_e32 v0, 1
	s_and_saveexec_b64 s[34:35], s[4:5]
	s_cbranch_execz .LBB321_98
; %bb.95:                               ;   in Loop: Header=BB321_9 Depth=1
	v_bfe_u32 v10, v7, 16, 7
	v_cmp_ne_u32_e64 s[4:5], s42, v10
	v_mov_b32_e32 v0, 0x7f800001
	s_and_saveexec_b64 s[36:37], s[4:5]
	s_cbranch_execz .LBB321_97
; %bb.96:                               ;   in Loop: Header=BB321_9 Depth=1
	v_and_b32_e32 v0, 7, v8
	v_lshrrev_b32_e32 v16, 3, v10
	v_cmp_gt_u32_e64 s[4:5], 8, v10
	v_ffbh_u32_e32 v10, v0
	v_min_u32_e32 v10, 32, v10
	v_subrev_u32_e32 v14, 28, v10
	v_lshlrev_b64 v[14:15], v14, v[8:9]
	v_sub_u32_e32 v10, 29, v10
	v_and_b32_e32 v14, 7, v14
	v_cndmask_b32_e64 v10, v16, v10, s[4:5]
	v_cndmask_b32_e64 v0, v0, v14, s[4:5]
	v_lshlrev_b32_e32 v8, 24, v8
	v_lshlrev_b32_e32 v0, 20, v0
	v_and_b32_e32 v8, 0x80000000, v8
	v_lshl_add_u32 v10, v10, 23, v52
	v_or3_b32 v0, v8, v10, v0
.LBB321_97:                             ;   in Loop: Header=BB321_9 Depth=1
	s_or_b64 exec, exec, s[36:37]
.LBB321_98:                             ;   in Loop: Header=BB321_9 Depth=1
	s_or_b64 exec, exec, s[34:35]
.LBB321_99:                             ;   in Loop: Header=BB321_9 Depth=1
	s_or_b64 exec, exec, s[16:17]
	v_cmp_lt_u32_e64 s[4:5], s43, v7
	v_mov_b32_e32 v14, 0
	v_mov_b32_e32 v10, 0
	s_and_saveexec_b64 s[16:17], s[4:5]
	s_cbranch_execz .LBB321_105
; %bb.100:                              ;   in Loop: Header=BB321_9 Depth=1
	v_lshrrev_b32_e32 v8, 24, v7
	v_cmp_ne_u32_e64 s[4:5], s41, v8
	v_bfrev_b32_e32 v10, 1
	s_and_saveexec_b64 s[34:35], s[4:5]
	s_cbranch_execz .LBB321_104
; %bb.101:                              ;   in Loop: Header=BB321_9 Depth=1
	v_bfe_u32 v7, v7, 24, 7
	v_cmp_ne_u32_e64 s[4:5], s42, v7
	v_mov_b32_e32 v10, 0x7f800001
	s_and_saveexec_b64 s[36:37], s[4:5]
	s_cbranch_execz .LBB321_103
; %bb.102:                              ;   in Loop: Header=BB321_9 Depth=1
	v_and_b32_e32 v10, 7, v8
	v_lshrrev_b32_e32 v17, 3, v7
	v_cmp_gt_u32_e64 s[4:5], 8, v7
	v_ffbh_u32_e32 v7, v10
	v_min_u32_e32 v7, 32, v7
	v_subrev_u32_e32 v15, 28, v7
	v_lshlrev_b64 v[15:16], v15, v[8:9]
	v_sub_u32_e32 v7, 29, v7
	v_and_b32_e32 v15, 7, v15
	v_cndmask_b32_e64 v7, v17, v7, s[4:5]
	v_cndmask_b32_e64 v10, v10, v15, s[4:5]
	v_lshlrev_b32_e32 v8, 24, v8
	v_lshlrev_b32_e32 v10, 20, v10
	v_and_b32_e32 v8, 0x80000000, v8
	v_lshl_add_u32 v7, v7, 23, v52
	v_or3_b32 v10, v8, v7, v10
.LBB321_103:                            ;   in Loop: Header=BB321_9 Depth=1
	s_or_b64 exec, exec, s[36:37]
.LBB321_104:                            ;   in Loop: Header=BB321_9 Depth=1
	s_or_b64 exec, exec, s[34:35]
.LBB321_105:                            ;   in Loop: Header=BB321_9 Depth=1
	s_or_b64 exec, exec, s[16:17]
	global_load_dword v7, v[5:6], off offset:1024
	s_waitcnt vmcnt(0)
	v_cmp_ne_u16_sdwa s[4:5], v7, v51 src0_sel:BYTE_0 src1_sel:DWORD
	s_and_saveexec_b64 s[16:17], s[4:5]
	s_cbranch_execz .LBB321_111
; %bb.106:                              ;   in Loop: Header=BB321_9 Depth=1
	v_cmp_ne_u16_sdwa s[4:5], v7, s41 src0_sel:BYTE_0 src1_sel:DWORD
	v_bfrev_b32_e32 v14, 1
	s_and_saveexec_b64 s[34:35], s[4:5]
	s_cbranch_execz .LBB321_110
; %bb.107:                              ;   in Loop: Header=BB321_9 Depth=1
	v_and_b32_e32 v8, 0x7f, v7
	v_cmp_ne_u32_e64 s[4:5], s42, v8
	v_mov_b32_e32 v14, 0x7f800001
	s_and_saveexec_b64 s[36:37], s[4:5]
	s_cbranch_execz .LBB321_109
; %bb.108:                              ;   in Loop: Header=BB321_9 Depth=1
	v_and_b32_e32 v16, 7, v7
	v_lshrrev_b32_e32 v17, 3, v8
	v_cmp_gt_u32_e64 s[4:5], 8, v8
	v_ffbh_u32_e32 v8, v16
	v_min_u32_e32 v8, 32, v8
	v_subrev_u32_e32 v14, 28, v8
	v_lshlrev_b64 v[14:15], v14, v[7:8]
	v_sub_u32_e32 v8, 29, v8
	v_and_b32_e32 v14, 7, v14
	v_cndmask_b32_e64 v8, v17, v8, s[4:5]
	v_cndmask_b32_e64 v14, v16, v14, s[4:5]
	v_lshlrev_b32_e32 v15, 24, v7
	v_lshlrev_b32_e32 v14, 20, v14
	v_and_b32_e32 v15, 0x80000000, v15
	v_lshl_add_u32 v8, v8, 23, v52
	v_or3_b32 v14, v15, v8, v14
.LBB321_109:                            ;   in Loop: Header=BB321_9 Depth=1
	s_or_b64 exec, exec, s[36:37]
.LBB321_110:                            ;   in Loop: Header=BB321_9 Depth=1
	s_or_b64 exec, exec, s[34:35]
.LBB321_111:                            ;   in Loop: Header=BB321_9 Depth=1
	s_or_b64 exec, exec, s[16:17]
	v_lshrrev_b16_e32 v8, 8, v7
	v_cmp_ne_u16_e64 s[4:5], 0, v8
	v_mov_b32_e32 v16, 0
	v_mov_b32_e32 v15, 0
	s_and_saveexec_b64 s[16:17], s[4:5]
	s_cbranch_execz .LBB321_117
; %bb.112:                              ;   in Loop: Header=BB321_9 Depth=1
	v_cmp_ne_u16_e64 s[4:5], s41, v8
	v_bfrev_b32_e32 v15, 1
	s_and_saveexec_b64 s[34:35], s[4:5]
	s_cbranch_execz .LBB321_116
; %bb.113:                              ;   in Loop: Header=BB321_9 Depth=1
	v_and_b32_e32 v17, 0x7f, v8
	v_cmp_ne_u32_e64 s[4:5], s42, v17
	v_mov_b32_e32 v15, 0x7f800001
	s_and_saveexec_b64 s[36:37], s[4:5]
	s_cbranch_execz .LBB321_115
; %bb.114:                              ;   in Loop: Header=BB321_9 Depth=1
	v_and_b32_e32 v15, 7, v8
	v_lshrrev_b32_e32 v19, 3, v17
	v_cmp_gt_u32_e64 s[4:5], 8, v17
	v_ffbh_u32_e32 v17, v15
	v_min_u32_e32 v21, 32, v17
	v_subrev_u32_e32 v17, 28, v21
	v_lshlrev_b64 v[17:18], v17, v[8:9]
	v_sub_u32_e32 v8, 29, v21
	v_and_b32_e32 v17, 7, v17
	v_cndmask_b32_e64 v8, v19, v8, s[4:5]
	v_cndmask_b32_e64 v15, v15, v17, s[4:5]
	v_lshlrev_b32_e32 v17, 16, v7
	v_lshlrev_b32_e32 v15, 20, v15
	v_and_b32_e32 v17, 0x80000000, v17
	v_lshl_add_u32 v8, v8, 23, v52
	v_or3_b32 v15, v17, v8, v15
.LBB321_115:                            ;   in Loop: Header=BB321_9 Depth=1
	s_or_b64 exec, exec, s[36:37]
.LBB321_116:                            ;   in Loop: Header=BB321_9 Depth=1
	s_or_b64 exec, exec, s[34:35]
.LBB321_117:                            ;   in Loop: Header=BB321_9 Depth=1
	s_or_b64 exec, exec, s[16:17]
	v_lshrrev_b32_e32 v8, 16, v7
	v_cmp_ne_u16_sdwa s[4:5], v8, v51 src0_sel:BYTE_0 src1_sel:DWORD
	s_and_saveexec_b64 s[16:17], s[4:5]
	s_cbranch_execz .LBB321_123
; %bb.118:                              ;   in Loop: Header=BB321_9 Depth=1
	v_cmp_ne_u16_sdwa s[4:5], v8, s41 src0_sel:BYTE_0 src1_sel:DWORD
	v_bfrev_b32_e32 v16, 1
	s_and_saveexec_b64 s[34:35], s[4:5]
	s_cbranch_execz .LBB321_122
; %bb.119:                              ;   in Loop: Header=BB321_9 Depth=1
	v_bfe_u32 v17, v7, 16, 7
	v_cmp_ne_u32_e64 s[4:5], s42, v17
	v_mov_b32_e32 v16, 0x7f800001
	s_and_saveexec_b64 s[36:37], s[4:5]
	s_cbranch_execz .LBB321_121
; %bb.120:                              ;   in Loop: Header=BB321_9 Depth=1
	v_and_b32_e32 v18, 7, v8
	v_ffbh_u32_e32 v16, v18
	v_min_u32_e32 v21, 32, v16
	v_subrev_u32_e32 v16, 28, v21
	v_lshrrev_b32_e32 v19, 3, v17
	v_cmp_gt_u32_e64 s[4:5], 8, v17
	v_lshlrev_b64 v[16:17], v16, v[8:9]
	v_sub_u32_e32 v17, 29, v21
	v_and_b32_e32 v16, 7, v16
	v_cndmask_b32_e64 v17, v19, v17, s[4:5]
	v_cndmask_b32_e64 v16, v18, v16, s[4:5]
	v_lshlrev_b32_e32 v8, 24, v8
	v_lshlrev_b32_e32 v16, 20, v16
	v_and_b32_e32 v8, 0x80000000, v8
	v_lshl_add_u32 v17, v17, 23, v52
	v_or3_b32 v16, v8, v17, v16
.LBB321_121:                            ;   in Loop: Header=BB321_9 Depth=1
	s_or_b64 exec, exec, s[36:37]
.LBB321_122:                            ;   in Loop: Header=BB321_9 Depth=1
	s_or_b64 exec, exec, s[34:35]
.LBB321_123:                            ;   in Loop: Header=BB321_9 Depth=1
	s_or_b64 exec, exec, s[16:17]
	v_cmp_lt_u32_e64 s[4:5], s43, v7
	v_mov_b32_e32 v18, 0
	v_mov_b32_e32 v17, 0
	s_and_saveexec_b64 s[16:17], s[4:5]
	s_cbranch_execz .LBB321_129
; %bb.124:                              ;   in Loop: Header=BB321_9 Depth=1
	v_lshrrev_b32_e32 v8, 24, v7
	v_cmp_ne_u32_e64 s[4:5], s41, v8
	v_bfrev_b32_e32 v17, 1
	s_and_saveexec_b64 s[34:35], s[4:5]
	s_cbranch_execz .LBB321_128
; %bb.125:                              ;   in Loop: Header=BB321_9 Depth=1
	v_bfe_u32 v7, v7, 24, 7
	v_cmp_ne_u32_e64 s[4:5], s42, v7
	v_mov_b32_e32 v17, 0x7f800001
	s_and_saveexec_b64 s[36:37], s[4:5]
	s_cbranch_execz .LBB321_127
; %bb.126:                              ;   in Loop: Header=BB321_9 Depth=1
	v_and_b32_e32 v17, 7, v8
	v_lshrrev_b32_e32 v19, 3, v7
	v_cmp_gt_u32_e64 s[4:5], 8, v7
	v_ffbh_u32_e32 v7, v17
	v_min_u32_e32 v7, 32, v7
	v_subrev_u32_e32 v21, 28, v7
	v_lshlrev_b64 v[21:22], v21, v[8:9]
	v_sub_u32_e32 v7, 29, v7
	v_and_b32_e32 v21, 7, v21
	v_cndmask_b32_e64 v7, v19, v7, s[4:5]
	v_cndmask_b32_e64 v17, v17, v21, s[4:5]
	v_lshlrev_b32_e32 v8, 24, v8
	v_lshlrev_b32_e32 v17, 20, v17
	v_and_b32_e32 v8, 0x80000000, v8
	v_lshl_add_u32 v7, v7, 23, v52
	v_or3_b32 v17, v8, v7, v17
.LBB321_127:                            ;   in Loop: Header=BB321_9 Depth=1
	s_or_b64 exec, exec, s[36:37]
.LBB321_128:                            ;   in Loop: Header=BB321_9 Depth=1
	s_or_b64 exec, exec, s[34:35]
.LBB321_129:                            ;   in Loop: Header=BB321_9 Depth=1
	s_or_b64 exec, exec, s[16:17]
	global_load_dword v7, v[5:6], off offset:1032
	s_waitcnt vmcnt(0)
	v_cmp_ne_u16_sdwa s[4:5], v7, v51 src0_sel:BYTE_0 src1_sel:DWORD
	s_and_saveexec_b64 s[16:17], s[4:5]
	s_cbranch_execz .LBB321_135
; %bb.130:                              ;   in Loop: Header=BB321_9 Depth=1
	v_cmp_ne_u16_sdwa s[4:5], v7, s41 src0_sel:BYTE_0 src1_sel:DWORD
	v_bfrev_b32_e32 v18, 1
	s_and_saveexec_b64 s[34:35], s[4:5]
	s_cbranch_execz .LBB321_134
; %bb.131:                              ;   in Loop: Header=BB321_9 Depth=1
	v_and_b32_e32 v8, 0x7f, v7
	v_cmp_ne_u32_e64 s[4:5], s42, v8
	v_mov_b32_e32 v18, 0x7f800001
	s_and_saveexec_b64 s[36:37], s[4:5]
	s_cbranch_execz .LBB321_133
; %bb.132:                              ;   in Loop: Header=BB321_9 Depth=1
	v_and_b32_e32 v21, 7, v7
	v_lshrrev_b32_e32 v22, 3, v8
	v_cmp_gt_u32_e64 s[4:5], 8, v8
	v_ffbh_u32_e32 v8, v21
	v_min_u32_e32 v8, 32, v8
	v_subrev_u32_e32 v18, 28, v8
	v_lshlrev_b64 v[18:19], v18, v[7:8]
	v_sub_u32_e32 v8, 29, v8
	v_and_b32_e32 v18, 7, v18
	v_cndmask_b32_e64 v8, v22, v8, s[4:5]
	v_cndmask_b32_e64 v18, v21, v18, s[4:5]
	v_lshlrev_b32_e32 v19, 24, v7
	v_lshlrev_b32_e32 v18, 20, v18
	v_and_b32_e32 v19, 0x80000000, v19
	v_lshl_add_u32 v8, v8, 23, v52
	v_or3_b32 v18, v19, v8, v18
.LBB321_133:                            ;   in Loop: Header=BB321_9 Depth=1
	s_or_b64 exec, exec, s[36:37]
.LBB321_134:                            ;   in Loop: Header=BB321_9 Depth=1
	s_or_b64 exec, exec, s[34:35]
.LBB321_135:                            ;   in Loop: Header=BB321_9 Depth=1
	s_or_b64 exec, exec, s[16:17]
	v_lshrrev_b16_e32 v8, 8, v7
	v_cmp_ne_u16_e64 s[4:5], 0, v8
	v_mov_b32_e32 v21, 0
	v_mov_b32_e32 v19, 0
	s_and_saveexec_b64 s[16:17], s[4:5]
	s_cbranch_execz .LBB321_141
; %bb.136:                              ;   in Loop: Header=BB321_9 Depth=1
	v_cmp_ne_u16_e64 s[4:5], s41, v8
	v_bfrev_b32_e32 v19, 1
	s_and_saveexec_b64 s[34:35], s[4:5]
	s_cbranch_execz .LBB321_140
; %bb.137:                              ;   in Loop: Header=BB321_9 Depth=1
	v_and_b32_e32 v22, 0x7f, v8
	v_cmp_ne_u32_e64 s[4:5], s42, v22
	v_mov_b32_e32 v19, 0x7f800001
	s_and_saveexec_b64 s[36:37], s[4:5]
	s_cbranch_execz .LBB321_139
; %bb.138:                              ;   in Loop: Header=BB321_9 Depth=1
	v_and_b32_e32 v19, 7, v8
	v_lshrrev_b32_e32 v24, 3, v22
	v_cmp_gt_u32_e64 s[4:5], 8, v22
	v_ffbh_u32_e32 v22, v19
	v_min_u32_e32 v25, 32, v22
	v_subrev_u32_e32 v22, 28, v25
	v_lshlrev_b64 v[22:23], v22, v[8:9]
	v_sub_u32_e32 v8, 29, v25
	v_and_b32_e32 v22, 7, v22
	v_cndmask_b32_e64 v8, v24, v8, s[4:5]
	v_cndmask_b32_e64 v19, v19, v22, s[4:5]
	v_lshlrev_b32_e32 v22, 16, v7
	v_lshlrev_b32_e32 v19, 20, v19
	v_and_b32_e32 v22, 0x80000000, v22
	v_lshl_add_u32 v8, v8, 23, v52
	v_or3_b32 v19, v22, v8, v19
.LBB321_139:                            ;   in Loop: Header=BB321_9 Depth=1
	s_or_b64 exec, exec, s[36:37]
.LBB321_140:                            ;   in Loop: Header=BB321_9 Depth=1
	s_or_b64 exec, exec, s[34:35]
.LBB321_141:                            ;   in Loop: Header=BB321_9 Depth=1
	s_or_b64 exec, exec, s[16:17]
	v_lshrrev_b32_e32 v8, 16, v7
	v_cmp_ne_u16_sdwa s[4:5], v8, v51 src0_sel:BYTE_0 src1_sel:DWORD
	s_and_saveexec_b64 s[16:17], s[4:5]
	s_cbranch_execz .LBB321_147
; %bb.142:                              ;   in Loop: Header=BB321_9 Depth=1
	v_cmp_ne_u16_sdwa s[4:5], v8, s41 src0_sel:BYTE_0 src1_sel:DWORD
	v_bfrev_b32_e32 v21, 1
	s_and_saveexec_b64 s[34:35], s[4:5]
	s_cbranch_execz .LBB321_146
; %bb.143:                              ;   in Loop: Header=BB321_9 Depth=1
	v_bfe_u32 v22, v7, 16, 7
	v_cmp_ne_u32_e64 s[4:5], s42, v22
	v_mov_b32_e32 v21, 0x7f800001
	s_and_saveexec_b64 s[36:37], s[4:5]
	s_cbranch_execz .LBB321_145
; %bb.144:                              ;   in Loop: Header=BB321_9 Depth=1
	v_and_b32_e32 v23, 7, v8
	v_ffbh_u32_e32 v21, v23
	v_min_u32_e32 v25, 32, v21
	v_subrev_u32_e32 v21, 28, v25
	v_lshrrev_b32_e32 v24, 3, v22
	v_cmp_gt_u32_e64 s[4:5], 8, v22
	v_lshlrev_b64 v[21:22], v21, v[8:9]
	v_sub_u32_e32 v22, 29, v25
	v_and_b32_e32 v21, 7, v21
	v_cndmask_b32_e64 v22, v24, v22, s[4:5]
	v_cndmask_b32_e64 v21, v23, v21, s[4:5]
	v_lshlrev_b32_e32 v8, 24, v8
	v_lshlrev_b32_e32 v21, 20, v21
	v_and_b32_e32 v8, 0x80000000, v8
	v_lshl_add_u32 v22, v22, 23, v52
	v_or3_b32 v21, v8, v22, v21
.LBB321_145:                            ;   in Loop: Header=BB321_9 Depth=1
	s_or_b64 exec, exec, s[36:37]
.LBB321_146:                            ;   in Loop: Header=BB321_9 Depth=1
	s_or_b64 exec, exec, s[34:35]
.LBB321_147:                            ;   in Loop: Header=BB321_9 Depth=1
	s_or_b64 exec, exec, s[16:17]
	v_cmp_lt_u32_e64 s[4:5], s43, v7
	v_mov_b32_e32 v23, 0
	v_mov_b32_e32 v22, 0
	s_and_saveexec_b64 s[16:17], s[4:5]
	s_cbranch_execz .LBB321_153
; %bb.148:                              ;   in Loop: Header=BB321_9 Depth=1
	v_lshrrev_b32_e32 v8, 24, v7
	v_cmp_ne_u32_e64 s[4:5], s41, v8
	v_bfrev_b32_e32 v22, 1
	s_and_saveexec_b64 s[34:35], s[4:5]
	s_cbranch_execz .LBB321_152
; %bb.149:                              ;   in Loop: Header=BB321_9 Depth=1
	v_bfe_u32 v7, v7, 24, 7
	v_cmp_ne_u32_e64 s[4:5], s42, v7
	v_mov_b32_e32 v22, 0x7f800001
	s_and_saveexec_b64 s[36:37], s[4:5]
	s_cbranch_execz .LBB321_151
; %bb.150:                              ;   in Loop: Header=BB321_9 Depth=1
	v_and_b32_e32 v22, 7, v8
	v_lshrrev_b32_e32 v26, 3, v7
	v_cmp_gt_u32_e64 s[4:5], 8, v7
	v_ffbh_u32_e32 v7, v22
	v_min_u32_e32 v7, 32, v7
	v_subrev_u32_e32 v24, 28, v7
	v_lshlrev_b64 v[24:25], v24, v[8:9]
	v_sub_u32_e32 v7, 29, v7
	v_and_b32_e32 v24, 7, v24
	v_cndmask_b32_e64 v7, v26, v7, s[4:5]
	v_cndmask_b32_e64 v22, v22, v24, s[4:5]
	v_lshlrev_b32_e32 v8, 24, v8
	v_lshlrev_b32_e32 v22, 20, v22
	v_and_b32_e32 v8, 0x80000000, v8
	v_lshl_add_u32 v7, v7, 23, v52
	v_or3_b32 v22, v8, v7, v22
.LBB321_151:                            ;   in Loop: Header=BB321_9 Depth=1
	s_or_b64 exec, exec, s[36:37]
.LBB321_152:                            ;   in Loop: Header=BB321_9 Depth=1
	s_or_b64 exec, exec, s[34:35]
.LBB321_153:                            ;   in Loop: Header=BB321_9 Depth=1
	s_or_b64 exec, exec, s[16:17]
	global_load_dword v7, v[5:6], off offset:1536
	s_waitcnt vmcnt(0)
	v_cmp_ne_u16_sdwa s[4:5], v7, v51 src0_sel:BYTE_0 src1_sel:DWORD
	s_and_saveexec_b64 s[16:17], s[4:5]
	s_cbranch_execz .LBB321_159
; %bb.154:                              ;   in Loop: Header=BB321_9 Depth=1
	v_cmp_ne_u16_sdwa s[4:5], v7, s41 src0_sel:BYTE_0 src1_sel:DWORD
	v_bfrev_b32_e32 v23, 1
	s_and_saveexec_b64 s[34:35], s[4:5]
	s_cbranch_execz .LBB321_158
; %bb.155:                              ;   in Loop: Header=BB321_9 Depth=1
	v_and_b32_e32 v8, 0x7f, v7
	v_cmp_ne_u32_e64 s[4:5], s42, v8
	v_mov_b32_e32 v23, 0x7f800001
	s_and_saveexec_b64 s[36:37], s[4:5]
	s_cbranch_execz .LBB321_157
; %bb.156:                              ;   in Loop: Header=BB321_9 Depth=1
	v_and_b32_e32 v25, 7, v7
	v_lshrrev_b32_e32 v26, 3, v8
	v_cmp_gt_u32_e64 s[4:5], 8, v8
	v_ffbh_u32_e32 v8, v25
	v_min_u32_e32 v8, 32, v8
	v_subrev_u32_e32 v23, 28, v8
	v_lshlrev_b64 v[23:24], v23, v[7:8]
	v_sub_u32_e32 v8, 29, v8
	v_and_b32_e32 v23, 7, v23
	v_cndmask_b32_e64 v8, v26, v8, s[4:5]
	v_cndmask_b32_e64 v23, v25, v23, s[4:5]
	v_lshlrev_b32_e32 v24, 24, v7
	v_lshlrev_b32_e32 v23, 20, v23
	v_and_b32_e32 v24, 0x80000000, v24
	v_lshl_add_u32 v8, v8, 23, v52
	v_or3_b32 v23, v24, v8, v23
.LBB321_157:                            ;   in Loop: Header=BB321_9 Depth=1
	s_or_b64 exec, exec, s[36:37]
.LBB321_158:                            ;   in Loop: Header=BB321_9 Depth=1
	s_or_b64 exec, exec, s[34:35]
.LBB321_159:                            ;   in Loop: Header=BB321_9 Depth=1
	s_or_b64 exec, exec, s[16:17]
	v_lshrrev_b16_e32 v8, 8, v7
	v_cmp_ne_u16_e64 s[4:5], 0, v8
	v_mov_b32_e32 v25, 0
	v_mov_b32_e32 v24, 0
	s_and_saveexec_b64 s[16:17], s[4:5]
	s_cbranch_execz .LBB321_165
; %bb.160:                              ;   in Loop: Header=BB321_9 Depth=1
	v_cmp_ne_u16_e64 s[4:5], s41, v8
	v_bfrev_b32_e32 v24, 1
	s_and_saveexec_b64 s[34:35], s[4:5]
	s_cbranch_execz .LBB321_164
; %bb.161:                              ;   in Loop: Header=BB321_9 Depth=1
	v_and_b32_e32 v26, 0x7f, v8
	v_cmp_ne_u32_e64 s[4:5], s42, v26
	v_mov_b32_e32 v24, 0x7f800001
	s_and_saveexec_b64 s[36:37], s[4:5]
	s_cbranch_execz .LBB321_163
; %bb.162:                              ;   in Loop: Header=BB321_9 Depth=1
	v_and_b32_e32 v24, 7, v8
	v_lshrrev_b32_e32 v28, 3, v26
	v_cmp_gt_u32_e64 s[4:5], 8, v26
	v_ffbh_u32_e32 v26, v24
	v_min_u32_e32 v29, 32, v26
	v_subrev_u32_e32 v26, 28, v29
	v_lshlrev_b64 v[26:27], v26, v[8:9]
	v_sub_u32_e32 v8, 29, v29
	v_and_b32_e32 v26, 7, v26
	v_cndmask_b32_e64 v8, v28, v8, s[4:5]
	v_cndmask_b32_e64 v24, v24, v26, s[4:5]
	v_lshlrev_b32_e32 v26, 16, v7
	v_lshlrev_b32_e32 v24, 20, v24
	v_and_b32_e32 v26, 0x80000000, v26
	v_lshl_add_u32 v8, v8, 23, v52
	v_or3_b32 v24, v26, v8, v24
.LBB321_163:                            ;   in Loop: Header=BB321_9 Depth=1
	s_or_b64 exec, exec, s[36:37]
.LBB321_164:                            ;   in Loop: Header=BB321_9 Depth=1
	s_or_b64 exec, exec, s[34:35]
.LBB321_165:                            ;   in Loop: Header=BB321_9 Depth=1
	s_or_b64 exec, exec, s[16:17]
	v_lshrrev_b32_e32 v8, 16, v7
	v_cmp_ne_u16_sdwa s[4:5], v8, v51 src0_sel:BYTE_0 src1_sel:DWORD
	s_and_saveexec_b64 s[16:17], s[4:5]
	s_cbranch_execz .LBB321_171
; %bb.166:                              ;   in Loop: Header=BB321_9 Depth=1
	v_cmp_ne_u16_sdwa s[4:5], v8, s41 src0_sel:BYTE_0 src1_sel:DWORD
	v_bfrev_b32_e32 v25, 1
	s_and_saveexec_b64 s[34:35], s[4:5]
	s_cbranch_execz .LBB321_170
; %bb.167:                              ;   in Loop: Header=BB321_9 Depth=1
	v_bfe_u32 v26, v7, 16, 7
	v_cmp_ne_u32_e64 s[4:5], s42, v26
	v_mov_b32_e32 v25, 0x7f800001
	s_and_saveexec_b64 s[36:37], s[4:5]
	s_cbranch_execz .LBB321_169
; %bb.168:                              ;   in Loop: Header=BB321_9 Depth=1
	v_and_b32_e32 v27, 7, v8
	v_ffbh_u32_e32 v25, v27
	v_min_u32_e32 v29, 32, v25
	v_subrev_u32_e32 v25, 28, v29
	v_lshrrev_b32_e32 v28, 3, v26
	v_cmp_gt_u32_e64 s[4:5], 8, v26
	v_lshlrev_b64 v[25:26], v25, v[8:9]
	v_sub_u32_e32 v26, 29, v29
	v_and_b32_e32 v25, 7, v25
	v_cndmask_b32_e64 v26, v28, v26, s[4:5]
	v_cndmask_b32_e64 v25, v27, v25, s[4:5]
	v_lshlrev_b32_e32 v8, 24, v8
	v_lshlrev_b32_e32 v25, 20, v25
	v_and_b32_e32 v8, 0x80000000, v8
	v_lshl_add_u32 v26, v26, 23, v52
	v_or3_b32 v25, v8, v26, v25
.LBB321_169:                            ;   in Loop: Header=BB321_9 Depth=1
	s_or_b64 exec, exec, s[36:37]
.LBB321_170:                            ;   in Loop: Header=BB321_9 Depth=1
	s_or_b64 exec, exec, s[34:35]
.LBB321_171:                            ;   in Loop: Header=BB321_9 Depth=1
	s_or_b64 exec, exec, s[16:17]
	v_cmp_lt_u32_e64 s[4:5], s43, v7
	v_mov_b32_e32 v27, 0
	v_mov_b32_e32 v26, 0
	s_and_saveexec_b64 s[16:17], s[4:5]
	s_cbranch_execz .LBB321_177
; %bb.172:                              ;   in Loop: Header=BB321_9 Depth=1
	v_lshrrev_b32_e32 v8, 24, v7
	v_cmp_ne_u32_e64 s[4:5], s41, v8
	v_bfrev_b32_e32 v26, 1
	s_and_saveexec_b64 s[34:35], s[4:5]
	s_cbranch_execz .LBB321_176
; %bb.173:                              ;   in Loop: Header=BB321_9 Depth=1
	v_bfe_u32 v7, v7, 24, 7
	v_cmp_ne_u32_e64 s[4:5], s42, v7
	v_mov_b32_e32 v26, 0x7f800001
	s_and_saveexec_b64 s[36:37], s[4:5]
	s_cbranch_execz .LBB321_175
; %bb.174:                              ;   in Loop: Header=BB321_9 Depth=1
	v_and_b32_e32 v26, 7, v8
	v_lshrrev_b32_e32 v30, 3, v7
	v_cmp_gt_u32_e64 s[4:5], 8, v7
	v_ffbh_u32_e32 v7, v26
	v_min_u32_e32 v7, 32, v7
	v_subrev_u32_e32 v28, 28, v7
	v_lshlrev_b64 v[28:29], v28, v[8:9]
	v_sub_u32_e32 v7, 29, v7
	v_and_b32_e32 v28, 7, v28
	v_cndmask_b32_e64 v7, v30, v7, s[4:5]
	v_cndmask_b32_e64 v26, v26, v28, s[4:5]
	v_lshlrev_b32_e32 v8, 24, v8
	v_lshlrev_b32_e32 v26, 20, v26
	v_and_b32_e32 v8, 0x80000000, v8
	v_lshl_add_u32 v7, v7, 23, v52
	v_or3_b32 v26, v8, v7, v26
.LBB321_175:                            ;   in Loop: Header=BB321_9 Depth=1
	s_or_b64 exec, exec, s[36:37]
.LBB321_176:                            ;   in Loop: Header=BB321_9 Depth=1
	s_or_b64 exec, exec, s[34:35]
.LBB321_177:                            ;   in Loop: Header=BB321_9 Depth=1
	s_or_b64 exec, exec, s[16:17]
	global_load_dword v5, v[5:6], off offset:1544
	s_waitcnt vmcnt(0)
	v_cmp_ne_u16_sdwa s[4:5], v5, v51 src0_sel:BYTE_0 src1_sel:DWORD
	s_and_saveexec_b64 s[16:17], s[4:5]
	s_cbranch_execz .LBB321_183
; %bb.178:                              ;   in Loop: Header=BB321_9 Depth=1
	v_cmp_ne_u16_sdwa s[4:5], v5, s41 src0_sel:BYTE_0 src1_sel:DWORD
	v_bfrev_b32_e32 v27, 1
	s_and_saveexec_b64 s[34:35], s[4:5]
	s_cbranch_execz .LBB321_182
; %bb.179:                              ;   in Loop: Header=BB321_9 Depth=1
	v_and_b32_e32 v6, 0x7f, v5
	v_cmp_ne_u32_e64 s[4:5], s42, v6
	v_mov_b32_e32 v27, 0x7f800001
	s_and_saveexec_b64 s[36:37], s[4:5]
	s_cbranch_execz .LBB321_181
; %bb.180:                              ;   in Loop: Header=BB321_9 Depth=1
	v_and_b32_e32 v8, 7, v5
	v_lshrrev_b32_e32 v27, 3, v6
	v_cmp_gt_u32_e64 s[4:5], 8, v6
	v_ffbh_u32_e32 v6, v8
	v_min_u32_e32 v28, 32, v6
	v_subrev_u32_e32 v6, 28, v28
	v_lshlrev_b64 v[6:7], v6, v[5:6]
	v_sub_u32_e32 v7, 29, v28
	v_and_b32_e32 v6, 7, v6
	v_cndmask_b32_e64 v7, v27, v7, s[4:5]
	v_cndmask_b32_e64 v6, v8, v6, s[4:5]
	v_lshlrev_b32_e32 v8, 24, v5
	v_lshlrev_b32_e32 v6, 20, v6
	v_and_b32_e32 v8, 0x80000000, v8
	v_lshl_add_u32 v7, v7, 23, v52
	v_or3_b32 v27, v8, v7, v6
.LBB321_181:                            ;   in Loop: Header=BB321_9 Depth=1
	s_or_b64 exec, exec, s[36:37]
.LBB321_182:                            ;   in Loop: Header=BB321_9 Depth=1
	s_or_b64 exec, exec, s[34:35]
.LBB321_183:                            ;   in Loop: Header=BB321_9 Depth=1
	s_or_b64 exec, exec, s[16:17]
	v_lshrrev_b16_e32 v6, 8, v5
	v_cmp_ne_u16_e64 s[4:5], 0, v6
	v_mov_b32_e32 v7, 0
	v_mov_b32_e32 v8, 0
	s_and_saveexec_b64 s[16:17], s[4:5]
	s_cbranch_execz .LBB321_189
; %bb.184:                              ;   in Loop: Header=BB321_9 Depth=1
	v_cmp_ne_u16_e64 s[4:5], s41, v6
	v_bfrev_b32_e32 v8, 1
	s_and_saveexec_b64 s[34:35], s[4:5]
	s_cbranch_execz .LBB321_188
; %bb.185:                              ;   in Loop: Header=BB321_9 Depth=1
	v_and_b32_e32 v28, 0x7f, v6
	v_cmp_ne_u32_e64 s[4:5], s42, v28
	v_mov_b32_e32 v8, 0x7f800001
	s_and_saveexec_b64 s[36:37], s[4:5]
	s_cbranch_execz .LBB321_187
; %bb.186:                              ;   in Loop: Header=BB321_9 Depth=1
	v_and_b32_e32 v8, 7, v6
	v_lshrrev_b32_e32 v30, 3, v28
	v_cmp_gt_u32_e64 s[4:5], 8, v28
	v_ffbh_u32_e32 v28, v8
	v_min_u32_e32 v31, 32, v28
	v_subrev_u32_e32 v28, 28, v31
	v_lshlrev_b64 v[28:29], v28, v[6:7]
	v_sub_u32_e32 v6, 29, v31
	v_and_b32_e32 v28, 7, v28
	v_cndmask_b32_e64 v6, v30, v6, s[4:5]
	v_cndmask_b32_e64 v8, v8, v28, s[4:5]
	v_lshlrev_b32_e32 v28, 16, v5
	v_lshlrev_b32_e32 v8, 20, v8
	v_and_b32_e32 v28, 0x80000000, v28
	v_lshl_add_u32 v6, v6, 23, v52
	v_or3_b32 v8, v28, v6, v8
.LBB321_187:                            ;   in Loop: Header=BB321_9 Depth=1
	s_or_b64 exec, exec, s[36:37]
.LBB321_188:                            ;   in Loop: Header=BB321_9 Depth=1
	s_or_b64 exec, exec, s[34:35]
.LBB321_189:                            ;   in Loop: Header=BB321_9 Depth=1
	s_or_b64 exec, exec, s[16:17]
	v_lshrrev_b32_e32 v6, 16, v5
	v_cmp_ne_u16_sdwa s[4:5], v6, v51 src0_sel:BYTE_0 src1_sel:DWORD
	s_and_saveexec_b64 s[16:17], s[4:5]
	s_cbranch_execz .LBB321_195
; %bb.190:                              ;   in Loop: Header=BB321_9 Depth=1
	v_cmp_ne_u16_sdwa s[4:5], v6, s41 src0_sel:BYTE_0 src1_sel:DWORD
	v_bfrev_b32_e32 v7, 1
	s_and_saveexec_b64 s[34:35], s[4:5]
	s_cbranch_execz .LBB321_194
; %bb.191:                              ;   in Loop: Header=BB321_9 Depth=1
	v_bfe_u32 v28, v5, 16, 7
	v_cmp_ne_u32_e64 s[4:5], s42, v28
	v_mov_b32_e32 v7, 0x7f800001
	s_and_saveexec_b64 s[36:37], s[4:5]
	s_cbranch_execz .LBB321_193
; %bb.192:                              ;   in Loop: Header=BB321_9 Depth=1
	v_and_b32_e32 v7, 7, v6
	v_lshrrev_b32_e32 v30, 3, v28
	v_cmp_gt_u32_e64 s[4:5], 8, v28
	v_ffbh_u32_e32 v28, v7
	v_min_u32_e32 v31, 32, v28
	v_subrev_u32_e32 v28, 28, v31
	v_lshlrev_b64 v[28:29], v28, v[6:7]
	v_sub_u32_e32 v29, 29, v31
	v_and_b32_e32 v28, 7, v28
	v_cndmask_b32_e64 v29, v30, v29, s[4:5]
	v_cndmask_b32_e64 v7, v7, v28, s[4:5]
	v_lshlrev_b32_e32 v6, 24, v6
	v_lshlrev_b32_e32 v7, 20, v7
	v_and_b32_e32 v6, 0x80000000, v6
	v_lshl_add_u32 v28, v29, 23, v52
	v_or3_b32 v7, v6, v28, v7
.LBB321_193:                            ;   in Loop: Header=BB321_9 Depth=1
	s_or_b64 exec, exec, s[36:37]
.LBB321_194:                            ;   in Loop: Header=BB321_9 Depth=1
	s_or_b64 exec, exec, s[34:35]
.LBB321_195:                            ;   in Loop: Header=BB321_9 Depth=1
	s_or_b64 exec, exec, s[16:17]
	v_cmp_lt_u32_e64 s[4:5], s43, v5
	v_mov_b32_e32 v28, 0
	s_and_saveexec_b64 s[16:17], s[4:5]
	s_cbranch_execz .LBB321_201
; %bb.196:                              ;   in Loop: Header=BB321_9 Depth=1
	v_lshrrev_b32_e32 v6, 24, v5
	v_cmp_ne_u32_e64 s[4:5], s41, v6
	v_bfrev_b32_e32 v28, 1
	s_and_saveexec_b64 s[34:35], s[4:5]
	s_cbranch_execz .LBB321_200
; %bb.197:                              ;   in Loop: Header=BB321_9 Depth=1
	v_bfe_u32 v5, v5, 24, 7
	v_cmp_ne_u32_e64 s[4:5], s42, v5
	v_mov_b32_e32 v28, 0x7f800001
	s_and_saveexec_b64 s[36:37], s[4:5]
	s_cbranch_execz .LBB321_199
; %bb.198:                              ;   in Loop: Header=BB321_9 Depth=1
	v_and_b32_e32 v30, 7, v6
	v_lshrrev_b32_e32 v31, 3, v5
	v_cmp_gt_u32_e64 s[4:5], 8, v5
	v_ffbh_u32_e32 v5, v30
	v_min_u32_e32 v5, 32, v5
	v_subrev_u32_e32 v28, 28, v5
	v_lshlrev_b64 v[28:29], v28, v[6:7]
	v_sub_u32_e32 v5, 29, v5
	v_and_b32_e32 v28, 7, v28
	v_cndmask_b32_e64 v5, v31, v5, s[4:5]
	v_cndmask_b32_e64 v28, v30, v28, s[4:5]
	v_lshlrev_b32_e32 v6, 24, v6
	v_lshlrev_b32_e32 v28, 20, v28
	v_and_b32_e32 v6, 0x80000000, v6
	v_lshl_add_u32 v5, v5, 23, v52
	v_or3_b32 v28, v6, v5, v28
.LBB321_199:                            ;   in Loop: Header=BB321_9 Depth=1
	s_or_b64 exec, exec, s[36:37]
.LBB321_200:                            ;   in Loop: Header=BB321_9 Depth=1
	s_or_b64 exec, exec, s[34:35]
.LBB321_201:                            ;   in Loop: Header=BB321_9 Depth=1
	s_or_b64 exec, exec, s[16:17]
	s_waitcnt lgkmcnt(0)
	v_mul_f32_e32 v5, s40, v8
	v_bfe_u32 v6, v5, 16, 1
	v_add3_u32 v6, v6, v5, s44
	v_or_b32_e32 v8, 0x400000, v5
	v_cmp_u_f32_e64 s[4:5], v5, v5
	v_cndmask_b32_e64 v5, v6, v8, s[4:5]
	v_mul_f32_e32 v6, s40, v27
	v_bfe_u32 v8, v6, 16, 1
	v_add3_u32 v8, v8, v6, s44
	v_or_b32_e32 v27, 0x400000, v6
	v_cmp_u_f32_e64 s[4:5], v6, v6
	v_cndmask_b32_e64 v6, v8, v27, s[4:5]
	;; [unrolled: 6-line block ×3, first 2 shown]
	v_mul_f32_e32 v25, s40, v26
	v_bfe_u32 v26, v25, 16, 1
	v_add3_u32 v26, v26, v25, s44
	v_or_b32_e32 v27, 0x400000, v25
	v_cmp_u_f32_e64 s[4:5], v25, v25
	v_mul_f32_e32 v24, s40, v24
	v_cndmask_b32_e64 v25, v26, v27, s[4:5]
	v_bfe_u32 v26, v24, 16, 1
	v_add3_u32 v26, v26, v24, s44
	v_or_b32_e32 v27, 0x400000, v24
	v_cmp_u_f32_e64 s[4:5], v24, v24
	v_mul_f32_e32 v23, s40, v23
	v_cndmask_b32_e64 v24, v26, v27, s[4:5]
	;; [unrolled: 6-line block ×16, first 2 shown]
	v_bfe_u32 v26, v9, 16, 1
	v_add3_u32 v26, v26, v9, s44
	v_or_b32_e32 v27, 0x400000, v9
	v_cmp_u_f32_e64 s[4:5], v9, v9
	v_cndmask_b32_e64 v9, v26, v27, s[4:5]
	v_mul_f32_e32 v26, s40, v63
	v_bfe_u32 v27, v26, 16, 1
	v_add3_u32 v27, v27, v26, s44
	v_or_b32_e32 v29, 0x400000, v26
	v_cmp_u_f32_e64 s[4:5], v26, v26
	v_cndmask_b32_e64 v26, v27, v29, s[4:5]
	v_mul_f32_e32 v27, s40, v62
	;; [unrolled: 6-line block ×5, first 2 shown]
	v_bfe_u32 v59, v31, 16, 1
	v_add3_u32 v59, v59, v31, s44
	v_or_b32_e32 v60, 0x400000, v31
	v_cmp_u_f32_e64 s[4:5], v31, v31
	v_mul_f32_e32 v58, s40, v58
	v_cndmask_b32_e64 v31, v59, v60, s[4:5]
	v_bfe_u32 v59, v58, 16, 1
	v_add3_u32 v59, v59, v58, s44
	v_or_b32_e32 v60, 0x400000, v58
	v_cmp_u_f32_e64 s[4:5], v58, v58
	v_mul_f32_e32 v56, s40, v56
	v_cndmask_b32_e64 v58, v59, v60, s[4:5]
	;; [unrolled: 6-line block ×7, first 2 shown]
	v_bfe_u32 v59, v28, 16, 1
	v_add3_u32 v59, v59, v28, s44
	v_or_b32_e32 v60, 0x400000, v28
	v_cmp_u_f32_e64 s[4:5], v28, v28
	v_cndmask_b32_e64 v28, v59, v60, s[4:5]
	buffer_load_dword v59, off, s[48:51], 0 offset:20 ; 4-byte Folded Reload
	v_and_b32_e32 v58, 0xffff0000, v58
	v_and_b32_e32 v54, 0xffff0000, v54
	;; [unrolled: 1-line block ×11, first 2 shown]
	s_waitcnt vmcnt(0)
	v_mul_f32_e32 v58, v59, v58
	buffer_load_dword v59, off, s[48:51], 0 ; 4-byte Folded Reload
	s_waitcnt vmcnt(0)
	v_fmac_f32_e32 v58, v59, v54
	v_and_b32_e32 v54, 0xffff0000, v55
	buffer_load_dword v55, off, s[48:51], 0 offset:24 ; 4-byte Folded Reload
	s_waitcnt vmcnt(0)
	v_mul_f32_e32 v31, v55, v31
	buffer_load_dword v55, off, s[48:51], 0 offset:8 ; 4-byte Folded Reload
	s_waitcnt vmcnt(0)
	v_fmac_f32_e32 v31, v55, v54
	buffer_load_dword v55, off, s[48:51], 0 offset:28 ; 4-byte Folded Reload
	v_and_b32_e32 v54, 0xffff0000, v56
	s_waitcnt vmcnt(0)
	v_mul_f32_e32 v29, v55, v29
	buffer_load_dword v55, off, s[48:51], 0 offset:12 ; 4-byte Folded Reload
	s_waitcnt vmcnt(0)
	v_fmac_f32_e32 v29, v55, v54
	buffer_load_dword v55, off, s[48:51], 0 offset:32 ; 4-byte Folded Reload
	v_and_b32_e32 v54, 0xffff0000, v57
	s_waitcnt vmcnt(0)
	v_mul_f32_e32 v30, v55, v30
	buffer_load_dword v55, off, s[48:51], 0 offset:16 ; 4-byte Folded Reload
	s_waitcnt vmcnt(0)
	v_fmac_f32_e32 v30, v55, v54
	buffer_load_dword v54, off, s[48:51], 0 offset:36 ; 4-byte Folded Reload
	s_waitcnt vmcnt(0)
	v_fmac_f32_e32 v58, v54, v27
	;; [unrolled: 3-line block ×5, first 2 shown]
	v_and_b32_e32 v9, 0xffff0000, v11
	v_and_b32_e32 v11, 0xffff0000, v12
	buffer_load_dword v12, off, s[48:51], 0 offset:52 ; 4-byte Folded Reload
	s_waitcnt vmcnt(0)
	v_fmac_f32_e32 v58, v12, v9
	buffer_load_dword v9, off, s[48:51], 0 offset:56 ; 4-byte Folded Reload
	s_waitcnt vmcnt(0)
	v_fmac_f32_e32 v31, v9, v11
	v_and_b32_e32 v9, 0xffff0000, v10
	buffer_load_dword v10, off, s[48:51], 0 offset:60 ; 4-byte Folded Reload
	s_waitcnt vmcnt(0)
	v_fmac_f32_e32 v29, v10, v0
	buffer_load_dword v0, off, s[48:51], 0 offset:64 ; 4-byte Folded Reload
	buffer_load_dword v10, off, s[48:51], 0 offset:68 ; 4-byte Folded Reload
	s_waitcnt vmcnt(1)
	v_fmac_f32_e32 v30, v0, v9
	v_and_b32_e32 v0, 0xffff0000, v14
	v_and_b32_e32 v9, 0xffff0000, v15
	s_waitcnt vmcnt(0)
	v_fmac_f32_e32 v58, v10, v0
	v_and_b32_e32 v0, 0xffff0000, v16
	v_fmac_f32_e32 v31, v32, v9
	v_and_b32_e32 v9, 0xffff0000, v17
	;; [unrolled: 2-line block ×9, first 2 shown]
	v_fmac_f32_e32 v31, v40, v9
	v_fmac_f32_e32 v29, v41, v0
	v_and_b32_e32 v0, 0xffff0000, v6
	v_and_b32_e32 v8, 0xffff0000, v25
	v_fmac_f32_e32 v58, v43, v0
	v_fmac_f32_e32 v31, v44, v5
	v_and_b32_e32 v0, 0xffff0000, v7
	v_fmac_f32_e32 v30, v42, v8
	v_and_b32_e32 v5, 0xffff0000, v28
	v_fmac_f32_e32 v29, v45, v0
	v_add_f32_e32 v0, v58, v31
	v_fmac_f32_e32 v30, v46, v5
	v_add_f32_e32 v0, v0, v29
	v_add_f32_e32 v0, v0, v30
	ds_bpermute_b32 v5, v48, v0
	s_and_saveexec_b64 s[16:17], vcc
	s_cbranch_execz .LBB321_8
; %bb.202:                              ;   in Loop: Header=BB321_9 Depth=1
	v_add_u32_e32 v6, s38, v49
	v_cvt_f32_i32_e32 v6, v6
	s_waitcnt lgkmcnt(0)
	v_add_f32_e32 v0, v0, v5
	v_cmp_gt_i32_e64 s[4:5], s30, v49
	v_max_f32_e32 v5, v47, v47
	v_mul_f32_e32 v6, s33, v6
	v_cndmask_b32_e64 v6, 0, v6, s[2:3]
	v_fmac_f32_e32 v6, s31, v0
	v_cndmask_b32_e64 v0, 0, v6, s[4:5]
	ds_write_b32 v50, v0
	v_max_f32_e32 v0, v5, v6
	v_cndmask_b32_e64 v47, v47, v0, s[4:5]
	s_branch .LBB321_8
.LBB321_203:
	s_or_b64 exec, exec, s[14:15]
	buffer_load_dword v14, off, s[48:51], 0 offset:76 ; 4-byte Folded Reload
	buffer_load_dword v16, off, s[48:51], 0 offset:80 ; 4-byte Folded Reload
	;; [unrolled: 1-line block ×5, first 2 shown]
.LBB321_204:
	s_or_b64 exec, exec, s[6:7]
	s_waitcnt vmcnt(2)
	v_xor_b32_e32 v0, 32, v15
	s_waitcnt vmcnt(0)
	v_cmp_lt_i32_e32 vcc, v0, v9
	v_cndmask_b32_e32 v0, v15, v0, vcc
	v_lshlrev_b32_e32 v0, 2, v0
	ds_bpermute_b32 v1, v0, v47
	v_xor_b32_e32 v3, 16, v15
	v_max_f32_e32 v2, v47, v47
	v_cmp_lt_i32_e32 vcc, v3, v9
	v_xor_b32_e32 v4, 8, v15
	s_waitcnt lgkmcnt(0)
	v_max_f32_e32 v1, v1, v1
	v_max_f32_e32 v2, v2, v1
	v_cndmask_b32_e32 v1, v15, v3, vcc
	v_lshlrev_b32_e32 v1, 2, v1
	ds_bpermute_b32 v3, v1, v2
	v_cmp_lt_i32_e32 vcc, v4, v9
	v_xor_b32_e32 v5, 4, v15
	v_xor_b32_e32 v6, 2, v15
	s_waitcnt lgkmcnt(0)
	v_max_f32_e32 v3, v3, v3
	v_max_f32_e32 v3, v2, v3
	v_cndmask_b32_e32 v2, v15, v4, vcc
	v_lshlrev_b32_e32 v2, 2, v2
	ds_bpermute_b32 v4, v2, v3
	v_cmp_lt_i32_e32 vcc, v5, v9
	s_waitcnt lgkmcnt(0)
	v_max_f32_e32 v4, v4, v4
	v_max_f32_e32 v4, v3, v4
	v_cndmask_b32_e32 v3, v15, v5, vcc
	v_lshlrev_b32_e32 v3, 2, v3
	ds_bpermute_b32 v5, v3, v4
	v_cmp_lt_i32_e32 vcc, v6, v9
	s_waitcnt lgkmcnt(0)
	v_max_f32_e32 v5, v5, v5
	v_max_f32_e32 v5, v4, v5
	v_cndmask_b32_e32 v4, v15, v6, vcc
	v_lshlrev_b32_e32 v12, 2, v4
	buffer_load_dword v4, off, s[48:51], 0 offset:72 ; 4-byte Folded Reload
	ds_bpermute_b32 v6, v12, v5
	s_waitcnt vmcnt(0)
	v_and_b32_e32 v11, 63, v4
	v_cmp_eq_u32_e32 vcc, 0, v11
	v_lshlrev_b32_e32 v4, 2, v20
	s_and_saveexec_b64 s[2:3], vcc
	s_cbranch_execz .LBB321_206
; %bb.205:
	s_waitcnt lgkmcnt(0)
	v_max_f32_e32 v6, v6, v6
	v_max_f32_e32 v5, v5, v5
	v_max_f32_e32 v5, v5, v6
	ds_write_b32 v4, v5 offset:128
.LBB321_206:
	s_or_b64 exec, exec, s[2:3]
	v_cmp_gt_u32_e64 s[2:3], 2, v11
	s_waitcnt lgkmcnt(0)
	v_mov_b32_e32 v6, 0xff7fffff
	v_lshlrev_b32_e32 v5, 2, v11
	s_barrier
	s_and_saveexec_b64 s[4:5], s[2:3]
; %bb.207:
	ds_read_b32 v6, v5 offset:128
; %bb.208:
	s_or_b64 exec, exec, s[4:5]
	v_xor_b32_e32 v7, 1, v15
	v_cmp_lt_i32_e64 s[4:5], v7, v9
	v_cndmask_b32_e64 v7, v15, v7, s[4:5]
	v_lshlrev_b32_e32 v13, 2, v7
	s_waitcnt lgkmcnt(0)
	ds_bpermute_b32 v7, v13, v6
	v_max_f32_e32 v6, v6, v6
	s_lshl_b32 s4, s21, 5
	s_min_i32 s31, s4, s30
	s_waitcnt lgkmcnt(0)
	v_max_f32_e32 v7, v7, v7
	v_max_f32_e32 v6, v6, v7
	v_lshlrev_b32_e32 v7, 2, v8
	ds_bpermute_b32 v7, v7, v6
	buffer_load_dword v6, off, s[48:51], 0 offset:72 ; 4-byte Folded Reload
	s_waitcnt vmcnt(0)
	v_cmp_gt_i32_e64 s[4:5], s31, v6
	v_mov_b32_e32 v6, 0
	s_and_saveexec_b64 s[14:15], s[4:5]
	s_cbranch_execz .LBB321_212
; %bb.209:
	buffer_load_dword v9, off, s[48:51], 0 offset:72 ; 4-byte Folded Reload
	v_mov_b32_e32 v6, 0x90
	s_mov_b64 s[16:17], 0
	s_waitcnt vmcnt(0)
	v_lshl_add_u32 v8, v9, 2, v6
	v_mov_b32_e32 v6, 0
.LBB321_210:                            ; =>This Inner Loop Header: Depth=1
	ds_read_b32 v10, v8
	v_add_u32_e32 v9, 0x80, v9
	v_cmp_le_i32_e64 s[6:7], s31, v9
	s_or_b64 s[16:17], s[6:7], s[16:17]
	s_waitcnt lgkmcnt(0)
	v_sub_f32_e32 v10, v10, v7
	v_mul_f32_e32 v10, 0x3fb8aa3b, v10
	v_exp_f32_e32 v10, v10
	ds_write_b32 v8, v10
	v_add_f32_e32 v6, v6, v10
	v_add_u32_e32 v8, 0x200, v8
	s_andn2_b64 exec, exec, s[16:17]
	s_cbranch_execnz .LBB321_210
; %bb.211:
	s_or_b64 exec, exec, s[16:17]
.LBB321_212:
	s_or_b64 exec, exec, s[14:15]
	ds_bpermute_b32 v0, v0, v6
	s_waitcnt lgkmcnt(0)
	v_add_f32_e32 v0, v6, v0
	ds_bpermute_b32 v1, v1, v0
	s_waitcnt lgkmcnt(0)
	v_add_f32_e32 v0, v0, v1
	;; [unrolled: 3-line block ×6, first 2 shown]
	s_and_saveexec_b64 s[6:7], vcc
; %bb.213:
	ds_write_b32 v4, v0 offset:136
; %bb.214:
	s_or_b64 exec, exec, s[6:7]
	s_waitcnt lgkmcnt(0)
	s_barrier
	s_and_saveexec_b64 s[6:7], s[2:3]
; %bb.215:
	ds_read_b32 v0, v5 offset:136
; %bb.216:
	s_or_b64 exec, exec, s[6:7]
	s_waitcnt lgkmcnt(0)
	ds_bpermute_b32 v1, v13, v0
	v_lshlrev_b32_e32 v2, 2, v15
	s_waitcnt lgkmcnt(0)
	v_add_f32_e32 v0, v0, v1
	v_and_b32_e32 v1, 0xffffff00, v2
	ds_bpermute_b32 v0, v1, v0
	s_and_saveexec_b64 s[2:3], s[4:5]
	s_cbranch_execz .LBB321_219
; %bb.217:
	s_waitcnt lgkmcnt(0)
	v_add_f32_e32 v1, 0x358637bd, v0
	v_div_scale_f32 v0, s[4:5], v1, v1, 1.0
	v_div_scale_f32 v2, vcc, 1.0, v1, 1.0
	s_mov_b64 s[4:5], 0
	v_rcp_f32_e32 v3, v0
	v_fma_f32 v4, -v0, v3, 1.0
	v_fmac_f32_e32 v3, v4, v3
	v_mul_f32_e32 v4, v2, v3
	v_fma_f32 v5, -v0, v4, v2
	v_fmac_f32_e32 v4, v5, v3
	v_fma_f32 v0, -v0, v4, v2
	v_div_fmas_f32 v2, v0, v3, v4
	buffer_load_dword v3, off, s[48:51], 0 offset:72 ; 4-byte Folded Reload
	v_mov_b32_e32 v0, 0x90
	v_div_fixup_f32 v1, v2, v1, 1.0
	s_waitcnt vmcnt(0)
	v_lshl_add_u32 v0, v3, 2, v0
	v_mov_b32_e32 v2, v3
.LBB321_218:                            ; =>This Inner Loop Header: Depth=1
	ds_read_b32 v3, v0
	v_add_u32_e32 v2, 0x80, v2
	v_cmp_le_i32_e32 vcc, s31, v2
	s_or_b64 s[4:5], vcc, s[4:5]
	s_waitcnt lgkmcnt(0)
	v_mul_f32_e32 v3, v1, v3
	ds_write_b32 v0, v3
	v_add_u32_e32 v0, 0x200, v0
	s_andn2_b64 exec, exec, s[4:5]
	s_cbranch_execnz .LBB321_218
.LBB321_219:
	s_or_b64 exec, exec, s[2:3]
	s_waitcnt lgkmcnt(0)
	s_barrier
	buffer_load_dword v0, off, s[48:51], 0 offset:72 ; 4-byte Folded Reload
	v_mov_b32_e32 v27, 0
	v_mov_b32_e32 v28, 0
	;; [unrolled: 1-line block ×4, first 2 shown]
	s_waitcnt vmcnt(0)
	v_and_b32_e32 v15, 3, v0
	s_and_saveexec_b64 s[2:3], s[0:1]
	s_cbranch_execz .LBB321_423
; %bb.220:
	s_ashr_i32 s0, s12, 31
	s_add_u32 s1, s28, s12
	s_addc_u32 s0, s29, s0
	v_and_b32_e32 v1, 0x1f8, v14
	v_mov_b32_e32 v2, s0
	v_add_co_u32_e32 v1, vcc, s1, v1
	buffer_store_dword v13, off, s[48:51], 0 offset:16 ; 4-byte Folded Spill
	buffer_store_dword v12, off, s[48:51], 0 offset:12 ; 4-byte Folded Spill
	;; [unrolled: 1-line block ×3, first 2 shown]
	v_addc_co_u32_e32 v2, vcc, 0, v2, vcc
	s_load_dword s18, s[18:19], 0x0
	buffer_store_dword v1, off, s[48:51], 0 ; 4-byte Folded Spill
	s_nop 0
	buffer_store_dword v2, off, s[48:51], 0 offset:4 ; 4-byte Folded Spill
	v_and_b32_e32 v0, 24, v14
	v_lshlrev_b32_e32 v1, 5, v20
	s_add_i32 s19, s21, -1
	v_or3_b32 v29, v1, v0, 7
	v_lshlrev_b32_e32 v0, 5, v15
	s_lshl_b64 s[0:1], s[26:27], 2
	v_lshl_or_b32 v0, v20, 7, v0
	s_add_u32 s0, s24, s0
	v_add_u32_e32 v30, 0x90, v0
	v_and_b32_e32 v0, 60, v16
	s_addc_u32 s1, s25, s1
	s_mov_b32 s4, -1
	v_mov_b32_e32 v1, s1
	v_add_co_u32_e32 v13, vcc, s0, v0
	s_mov_b32 s31, s13
	s_mov_b32 s5, 0xffffff
	v_mov_b32_e32 v10, 0
	v_addc_co_u32_e32 v14, vcc, 0, v1, vcc
	s_mov_b64 s[6:7], 0
	s_movk_i32 s24, 0x80
	s_movk_i32 s25, 0x7f
	;; [unrolled: 1-line block ×3, first 2 shown]
	v_mov_b32_e32 v25, 0
	v_mov_b32_e32 v26, 0
	;; [unrolled: 1-line block ×4, first 2 shown]
	buffer_store_dword v15, off, s[48:51], 0 offset:20 ; 4-byte Folded Spill
	s_branch .LBB321_222
.LBB321_221:                            ;   in Loop: Header=BB321_222 Depth=1
	s_or_b64 exec, exec, s[0:1]
	v_bfe_u32 v11, v5, 16, 1
	v_add3_u32 v11, v11, v5, s26
	v_or_b32_e32 v12, 0x400000, v5
	v_cmp_u_f32_e32 vcc, v5, v5
	v_cndmask_b32_e32 v5, v11, v12, vcc
	v_bfe_u32 v11, v6, 16, 1
	v_add3_u32 v11, v11, v6, s26
	v_or_b32_e32 v12, 0x400000, v6
	v_cmp_u_f32_e32 vcc, v6, v6
	v_cndmask_b32_e32 v6, v11, v12, vcc
	;; [unrolled: 5-line block ×4, first 2 shown]
	v_bfe_u32 v11, v1, 16, 1
	v_add3_u32 v11, v11, v1, s26
	v_or_b32_e32 v12, 0x400000, v1
	v_cmp_u_f32_e32 vcc, v1, v1
	v_bfe_u32 v1, v2, 16, 1
	v_cndmask_b32_e32 v11, v11, v12, vcc
	v_add3_u32 v1, v1, v2, s26
	v_or_b32_e32 v12, 0x400000, v2
	v_cmp_u_f32_e32 vcc, v2, v2
	v_cndmask_b32_e32 v12, v1, v12, vcc
	v_bfe_u32 v1, v3, 16, 1
	v_add3_u32 v1, v1, v3, s26
	v_or_b32_e32 v2, 0x400000, v3
	v_cmp_u_f32_e32 vcc, v3, v3
	v_cndmask_b32_e32 v21, v1, v2, vcc
	v_bfe_u32 v1, v4, 16, 1
	v_add3_u32 v1, v1, v4, s26
	v_or_b32_e32 v2, 0x400000, v4
	v_cmp_u_f32_e32 vcc, v4, v4
	v_cndmask_b32_e32 v22, v1, v2, vcc
	v_and_b32_e32 v1, 0xffff0000, v6
	v_lshlrev_b32_e32 v2, 16, v58
	v_mul_f32_e32 v2, v1, v2
	v_bfe_u32 v3, v2, 16, 1
	v_add3_u32 v3, v3, v2, s26
	v_or_b32_e32 v4, 0x400000, v2
	v_cmp_u_f32_e32 vcc, v2, v2
	v_cndmask_b32_e32 v23, v3, v4, vcc
	v_and_b32_e32 v4, 0xffff0000, v5
	v_lshlrev_b32_e32 v2, 16, v59
	v_mul_f32_e32 v2, v4, v2
	;; [unrolled: 8-line block ×4, first 2 shown]
	v_bfe_u32 v6, v3, 16, 1
	v_add3_u32 v6, v6, v3, s26
	v_or_b32_e32 v7, 0x400000, v3
	v_cmp_u_f32_e32 vcc, v3, v3
	v_and_b32_e32 v3, 0xffff0000, v12
	v_lshlrev_b32_e32 v0, 16, v0
	v_mul_f32_e32 v0, v3, v0
	v_cndmask_b32_e32 v31, v6, v7, vcc
	v_bfe_u32 v6, v0, 16, 1
	v_add3_u32 v6, v6, v0, s26
	v_or_b32_e32 v7, 0x400000, v0
	v_cmp_u_f32_e32 vcc, v0, v0
	v_cndmask_b32_e32 v12, v6, v7, vcc
	v_and_b32_e32 v6, 0xffff0000, v11
	v_lshlrev_b32_e32 v0, 16, v18
	v_mul_f32_e32 v0, v6, v0
	v_bfe_u32 v7, v0, 16, 1
	v_add3_u32 v7, v7, v0, s26
	v_or_b32_e32 v11, 0x400000, v0
	v_cmp_u_f32_e32 vcc, v0, v0
	v_cndmask_b32_e32 v11, v7, v11, vcc
	v_and_b32_e32 v0, 0xffff0000, v22
	v_lshlrev_b32_e32 v7, 16, v57
	v_mul_f32_e32 v7, v0, v7
	v_bfe_u32 v18, v7, 16, 1
	v_add3_u32 v18, v18, v7, s26
	v_or_b32_e32 v22, 0x400000, v7
	v_cmp_u_f32_e32 vcc, v7, v7
	v_and_b32_e32 v7, 0xffff0000, v21
	v_lshlrev_b32_e32 v19, 16, v19
	v_mul_f32_e32 v19, v7, v19
	v_bfe_u32 v21, v19, 16, 1
	v_cndmask_b32_e32 v18, v18, v22, vcc
	v_add3_u32 v21, v21, v19, s26
	v_or_b32_e32 v22, 0x400000, v19
	v_cmp_u_f32_e32 vcc, v19, v19
	v_cndmask_b32_e32 v19, v21, v22, vcc
	v_and_b32_e32 v21, 0xffff0000, v24
	v_and_b32_e32 v22, 0xffff0000, v23
	v_add_f32_e32 v21, v21, v22
	v_and_b32_e32 v22, 0xffff0000, v31
	v_and_b32_e32 v8, 0xffff0000, v8
	v_add_f32_e32 v8, v22, v8
	;; [unrolled: 3-line block ×3, first 2 shown]
	v_add_f32_e32 v11, v11, v12
	v_add_f32_e32 v8, v11, v8
	v_and_b32_e32 v11, 0xffff0000, v19
	v_and_b32_e32 v12, 0xffff0000, v18
	v_add_f32_e32 v11, v11, v12
	v_add_f32_e32 v8, v11, v8
	;; [unrolled: 1-line block ×3, first 2 shown]
	v_lshlrev_b32_e32 v8, 16, v53
	v_mul_f32_e32 v8, v1, v8
	v_bfe_u32 v11, v8, 16, 1
	v_add3_u32 v11, v11, v8, s26
	v_or_b32_e32 v12, 0x400000, v8
	v_cmp_u_f32_e32 vcc, v8, v8
	v_cndmask_b32_e32 v8, v11, v12, vcc
	v_lshlrev_b32_e32 v11, 16, v54
	v_mul_f32_e32 v11, v4, v11
	v_bfe_u32 v12, v11, 16, 1
	v_add3_u32 v12, v12, v11, s26
	v_or_b32_e32 v18, 0x400000, v11
	v_cmp_u_f32_e32 vcc, v11, v11
	v_cndmask_b32_e32 v11, v12, v18, vcc
	;; [unrolled: 7-line block ×7, first 2 shown]
	v_lshlrev_b32_e32 v23, 16, v49
	v_and_b32_e32 v11, 0xffff0000, v11
	v_and_b32_e32 v8, 0xffff0000, v8
	v_mul_f32_e32 v23, v7, v23
	v_add_f32_e32 v8, v11, v8
	v_and_b32_e32 v11, 0xffff0000, v18
	v_and_b32_e32 v12, 0xffff0000, v12
	v_bfe_u32 v24, v23, 16, 1
	v_add_f32_e32 v11, v11, v12
	v_add3_u32 v24, v24, v23, s26
	v_or_b32_e32 v31, 0x400000, v23
	v_cmp_u_f32_e32 vcc, v23, v23
	v_add_f32_e32 v8, v11, v8
	v_and_b32_e32 v11, 0xffff0000, v21
	v_and_b32_e32 v12, 0xffff0000, v19
	v_cndmask_b32_e32 v23, v24, v31, vcc
	v_add_f32_e32 v11, v11, v12
	v_add_f32_e32 v8, v11, v8
	v_and_b32_e32 v11, 0xffff0000, v23
	v_and_b32_e32 v12, 0xffff0000, v22
	v_add_f32_e32 v11, v11, v12
	v_add_f32_e32 v8, v11, v8
	;; [unrolled: 1-line block ×3, first 2 shown]
	v_lshlrev_b32_e32 v8, 16, v38
	v_mul_f32_e32 v8, v1, v8
	v_bfe_u32 v11, v8, 16, 1
	v_add3_u32 v11, v11, v8, s26
	v_or_b32_e32 v12, 0x400000, v8
	v_cmp_u_f32_e32 vcc, v8, v8
	v_cndmask_b32_e32 v8, v11, v12, vcc
	v_lshlrev_b32_e32 v11, 16, v39
	v_mul_f32_e32 v11, v4, v11
	v_bfe_u32 v12, v11, 16, 1
	v_add3_u32 v12, v12, v11, s26
	v_or_b32_e32 v18, 0x400000, v11
	v_cmp_u_f32_e32 vcc, v11, v11
	v_cndmask_b32_e32 v11, v12, v18, vcc
	;; [unrolled: 7-line block ×7, first 2 shown]
	v_lshlrev_b32_e32 v23, 16, v34
	v_and_b32_e32 v11, 0xffff0000, v11
	v_and_b32_e32 v8, 0xffff0000, v8
	v_mul_f32_e32 v23, v7, v23
	v_add_f32_e32 v8, v11, v8
	v_and_b32_e32 v11, 0xffff0000, v18
	v_and_b32_e32 v12, 0xffff0000, v12
	v_bfe_u32 v24, v23, 16, 1
	v_add_f32_e32 v11, v11, v12
	v_add3_u32 v24, v24, v23, s26
	v_or_b32_e32 v31, 0x400000, v23
	v_cmp_u_f32_e32 vcc, v23, v23
	v_add_f32_e32 v8, v11, v8
	v_and_b32_e32 v11, 0xffff0000, v21
	v_and_b32_e32 v12, 0xffff0000, v19
	v_cndmask_b32_e32 v23, v24, v31, vcc
	v_add_f32_e32 v11, v11, v12
	v_add_f32_e32 v8, v11, v8
	v_and_b32_e32 v11, 0xffff0000, v23
	v_and_b32_e32 v12, 0xffff0000, v22
	v_add_f32_e32 v11, v11, v12
	v_add_f32_e32 v8, v11, v8
	;; [unrolled: 1-line block ×3, first 2 shown]
	v_lshlrev_b32_e32 v8, 16, v63
	v_mul_f32_e32 v4, v4, v8
	v_bfe_u32 v8, v4, 16, 1
	v_add3_u32 v8, v8, v4, s26
	v_or_b32_e32 v11, 0x400000, v4
	v_cmp_u_f32_e32 vcc, v4, v4
	v_cndmask_b32_e32 v4, v8, v11, vcc
	v_lshlrev_b32_e32 v8, 16, v61
	v_mul_f32_e32 v1, v1, v8
	v_bfe_u32 v8, v1, 16, 1
	v_add3_u32 v8, v8, v1, s26
	v_or_b32_e32 v11, 0x400000, v1
	v_cmp_u_f32_e32 vcc, v1, v1
	v_cndmask_b32_e32 v1, v8, v11, vcc
	;; [unrolled: 7-line block ×7, first 2 shown]
	v_lshlrev_b32_e32 v8, 16, v60
	v_and_b32_e32 v1, 0xffff0000, v1
	v_and_b32_e32 v4, 0xffff0000, v4
	v_mul_f32_e32 v0, v0, v8
	v_add_f32_e32 v1, v4, v1
	v_and_b32_e32 v2, 0xffff0000, v2
	v_and_b32_e32 v4, 0xffff0000, v5
	v_bfe_u32 v8, v0, 16, 1
	v_add_f32_e32 v2, v4, v2
	v_add3_u32 v8, v8, v0, s26
	v_or_b32_e32 v9, 0x400000, v0
	v_cmp_u_f32_e32 vcc, v0, v0
	v_add_f32_e32 v1, v2, v1
	v_and_b32_e32 v2, 0xffff0000, v3
	v_and_b32_e32 v3, 0xffff0000, v6
	v_cndmask_b32_e32 v0, v8, v9, vcc
	v_add_f32_e32 v2, v3, v2
	v_add_f32_e32 v1, v2, v1
	v_and_b32_e32 v0, 0xffff0000, v0
	v_and_b32_e32 v2, 0xffff0000, v7
	v_add_u32_e32 v20, 2, v20
	v_add_f32_e32 v0, v2, v0
	v_cmp_le_i32_e32 vcc, s21, v20
	v_add_f32_e32 v0, v0, v1
	s_or_b64 s[6:7], vcc, s[6:7]
	v_add_co_u32_e32 v13, vcc, 8, v13
	v_add_f32_e32 v25, v25, v0
	v_add_u32_e32 v29, 64, v29
	v_add_u32_e32 v30, 0x100, v30
	v_addc_co_u32_e32 v14, vcc, 0, v14, vcc
	s_andn2_b64 exec, exec, s[6:7]
	s_cbranch_execz .LBB321_422
.LBB321_222:                            ; =>This Inner Loop Header: Depth=1
	global_load_dword v0, v[13:14], off
	buffer_load_dword v1, off, s[48:51], 0  ; 4-byte Folded Reload
	buffer_load_dword v2, off, s[48:51], 0 offset:4 ; 4-byte Folded Reload
	s_waitcnt vmcnt(0)
	v_mad_i64_i32 v[15:16], s[0:1], v0, s31, v[1:2]
	v_mov_b32_e32 v0, 0
	global_load_dwordx2 v[17:18], v[15:16], off
	ds_read2_b64 v[5:8], v30 offset1:1
	ds_read2_b64 v[1:4], v30 offset0:2 offset1:3
	s_waitcnt vmcnt(0)
	v_cmp_ne_u16_sdwa s[12:13], v17, v10 src0_sel:BYTE_0 src1_sel:DWORD
	s_and_saveexec_b64 s[0:1], s[12:13]
	s_cbranch_execz .LBB321_228
; %bb.223:                              ;   in Loop: Header=BB321_222 Depth=1
	v_cmp_ne_u16_sdwa s[14:15], v17, s24 src0_sel:BYTE_0 src1_sel:DWORD
	v_bfrev_b32_e32 v0, 1
	s_and_saveexec_b64 s[12:13], s[14:15]
	s_cbranch_execz .LBB321_227
; %bb.224:                              ;   in Loop: Header=BB321_222 Depth=1
	v_and_b32_e32 v9, 0x7f, v17
	v_cmp_ne_u32_e32 vcc, s25, v9
	v_mov_b32_e32 v0, 0x7f800001
	s_and_saveexec_b64 s[14:15], vcc
	s_cbranch_execz .LBB321_226
; %bb.225:                              ;   in Loop: Header=BB321_222 Depth=1
	v_and_b32_e32 v0, 7, v17
	v_ffbh_u32_e32 v0, v0
	v_min_u32_e32 v0, 32, v0
	v_subrev_u32_e32 v12, 28, v0
	v_cmp_gt_u32_e32 vcc, 8, v9
	v_lshrrev_b32_e32 v11, 3, v9
	v_cndmask_b32_e32 v9, 0, v12, vcc
	v_lshlrev_b64 v[21:22], v9, v[17:18]
	v_sub_u32_e32 v0, 29, v0
	v_cndmask_b32_e32 v0, v11, v0, vcc
	v_lshlrev_b32_e32 v9, 20, v21
	v_lshlrev_b32_e32 v11, 24, v17
	v_bfrev_b32_e32 v12, 60
	v_and_b32_e32 v9, 0x700000, v9
	v_and_b32_e32 v11, 0x80000000, v11
	v_lshl_add_u32 v0, v0, 23, v12
	v_or3_b32 v0, v11, v0, v9
.LBB321_226:                            ;   in Loop: Header=BB321_222 Depth=1
	s_or_b64 exec, exec, s[14:15]
.LBB321_227:                            ;   in Loop: Header=BB321_222 Depth=1
	s_or_b64 exec, exec, s[12:13]
.LBB321_228:                            ;   in Loop: Header=BB321_222 Depth=1
	s_or_b64 exec, exec, s[0:1]
	v_lshrrev_b16_e32 v9, 8, v17
	v_cmp_ne_u16_e32 vcc, 0, v9
	v_mov_b32_e32 v36, 0
	v_mov_b32_e32 v34, 0
	s_and_saveexec_b64 s[0:1], vcc
	s_cbranch_execz .LBB321_234
; %bb.229:                              ;   in Loop: Header=BB321_222 Depth=1
	v_cmp_ne_u16_e32 vcc, s24, v9
	v_bfrev_b32_e32 v34, 1
	s_and_saveexec_b64 s[12:13], vcc
	s_cbranch_execz .LBB321_233
; %bb.230:                              ;   in Loop: Header=BB321_222 Depth=1
	v_and_b32_e32 v19, 0x7f, v9
	v_cmp_ne_u32_e32 vcc, s25, v19
	v_mov_b32_e32 v34, 0x7f800001
	s_and_saveexec_b64 s[14:15], vcc
	s_cbranch_execz .LBB321_232
; %bb.231:                              ;   in Loop: Header=BB321_222 Depth=1
	v_and_b32_e32 v11, 7, v9
	v_ffbh_u32_e32 v21, v11
	v_min_u32_e32 v23, 32, v21
	v_subrev_u32_e32 v21, 28, v23
	v_lshlrev_b64 v[21:22], v21, v[9:10]
	v_lshrrev_b32_e32 v12, 3, v19
	v_sub_u32_e32 v9, 29, v23
	v_and_b32_e32 v21, 7, v21
	v_cmp_gt_u32_e32 vcc, 8, v19
	v_cndmask_b32_e32 v9, v12, v9, vcc
	v_cndmask_b32_e32 v11, v11, v21, vcc
	v_lshlrev_b32_e32 v12, 16, v17
	v_bfrev_b32_e32 v19, 60
	v_lshlrev_b32_e32 v11, 20, v11
	v_and_b32_e32 v12, 0x80000000, v12
	v_lshl_add_u32 v9, v9, 23, v19
	v_or3_b32 v34, v12, v9, v11
.LBB321_232:                            ;   in Loop: Header=BB321_222 Depth=1
	s_or_b64 exec, exec, s[14:15]
.LBB321_233:                            ;   in Loop: Header=BB321_222 Depth=1
	s_or_b64 exec, exec, s[12:13]
.LBB321_234:                            ;   in Loop: Header=BB321_222 Depth=1
	s_or_b64 exec, exec, s[0:1]
	v_lshrrev_b32_e32 v9, 16, v17
	v_cmp_ne_u16_sdwa s[12:13], v9, v10 src0_sel:BYTE_0 src1_sel:DWORD
	s_and_saveexec_b64 s[0:1], s[12:13]
	s_cbranch_execz .LBB321_240
; %bb.235:                              ;   in Loop: Header=BB321_222 Depth=1
	v_cmp_ne_u16_sdwa s[14:15], v9, s24 src0_sel:BYTE_0 src1_sel:DWORD
	v_bfrev_b32_e32 v36, 1
	s_and_saveexec_b64 s[12:13], s[14:15]
	s_cbranch_execz .LBB321_239
; %bb.236:                              ;   in Loop: Header=BB321_222 Depth=1
	v_bfe_u32 v19, v17, 16, 7
	v_cmp_ne_u32_e32 vcc, s25, v19
	v_mov_b32_e32 v36, 0x7f800001
	s_and_saveexec_b64 s[14:15], vcc
	s_cbranch_execz .LBB321_238
; %bb.237:                              ;   in Loop: Header=BB321_222 Depth=1
	v_and_b32_e32 v11, 7, v9
	v_ffbh_u32_e32 v21, v11
	v_min_u32_e32 v23, 32, v21
	v_subrev_u32_e32 v21, 28, v23
	v_lshlrev_b64 v[21:22], v21, v[9:10]
	v_lshrrev_b32_e32 v12, 3, v19
	v_sub_u32_e32 v22, 29, v23
	v_and_b32_e32 v21, 7, v21
	v_cmp_gt_u32_e32 vcc, 8, v19
	v_cndmask_b32_e32 v12, v12, v22, vcc
	v_cndmask_b32_e32 v11, v11, v21, vcc
	v_lshlrev_b32_e32 v9, 24, v9
	v_bfrev_b32_e32 v19, 60
	v_lshlrev_b32_e32 v11, 20, v11
	v_and_b32_e32 v9, 0x80000000, v9
	v_lshl_add_u32 v12, v12, 23, v19
	v_or3_b32 v36, v9, v12, v11
.LBB321_238:                            ;   in Loop: Header=BB321_222 Depth=1
	s_or_b64 exec, exec, s[14:15]
.LBB321_239:                            ;   in Loop: Header=BB321_222 Depth=1
	s_or_b64 exec, exec, s[12:13]
.LBB321_240:                            ;   in Loop: Header=BB321_222 Depth=1
	s_or_b64 exec, exec, s[0:1]
	v_cmp_lt_u32_e32 vcc, s5, v17
	v_mov_b32_e32 v33, 0
	v_mov_b32_e32 v35, 0
	s_and_saveexec_b64 s[0:1], vcc
	s_cbranch_execz .LBB321_246
; %bb.241:                              ;   in Loop: Header=BB321_222 Depth=1
	v_lshrrev_b32_e32 v9, 24, v17
	v_cmp_ne_u32_e32 vcc, s24, v9
	v_bfrev_b32_e32 v35, 1
	s_and_saveexec_b64 s[12:13], vcc
	s_cbranch_execz .LBB321_245
; %bb.242:                              ;   in Loop: Header=BB321_222 Depth=1
	v_bfe_u32 v19, v17, 24, 7
	v_cmp_ne_u32_e32 vcc, s25, v19
	v_mov_b32_e32 v35, 0x7f800001
	s_and_saveexec_b64 s[14:15], vcc
	s_cbranch_execz .LBB321_244
; %bb.243:                              ;   in Loop: Header=BB321_222 Depth=1
	v_and_b32_e32 v11, 7, v9
	v_ffbh_u32_e32 v21, v11
	v_min_u32_e32 v23, 32, v21
	v_subrev_u32_e32 v21, 28, v23
	v_lshlrev_b64 v[21:22], v21, v[9:10]
	v_lshrrev_b32_e32 v12, 3, v19
	v_sub_u32_e32 v22, 29, v23
	v_and_b32_e32 v21, 7, v21
	v_cmp_gt_u32_e32 vcc, 8, v19
	v_cndmask_b32_e32 v12, v12, v22, vcc
	v_cndmask_b32_e32 v11, v11, v21, vcc
	v_lshlrev_b32_e32 v9, 24, v9
	v_bfrev_b32_e32 v19, 60
	v_lshlrev_b32_e32 v11, 20, v11
	v_and_b32_e32 v9, 0x80000000, v9
	v_lshl_add_u32 v12, v12, 23, v19
	v_or3_b32 v35, v9, v12, v11
.LBB321_244:                            ;   in Loop: Header=BB321_222 Depth=1
	s_or_b64 exec, exec, s[14:15]
.LBB321_245:                            ;   in Loop: Header=BB321_222 Depth=1
	s_or_b64 exec, exec, s[12:13]
.LBB321_246:                            ;   in Loop: Header=BB321_222 Depth=1
	s_or_b64 exec, exec, s[0:1]
	v_mov_b32_e32 v9, v18
	v_cmp_ne_u16_sdwa s[12:13], v18, v10 src0_sel:BYTE_0 src1_sel:DWORD
	s_and_saveexec_b64 s[0:1], s[12:13]
	s_cbranch_execz .LBB321_252
; %bb.247:                              ;   in Loop: Header=BB321_222 Depth=1
	v_cmp_ne_u16_sdwa s[14:15], v18, s24 src0_sel:BYTE_0 src1_sel:DWORD
	v_bfrev_b32_e32 v33, 1
	s_and_saveexec_b64 s[12:13], s[14:15]
	s_cbranch_execz .LBB321_251
; %bb.248:                              ;   in Loop: Header=BB321_222 Depth=1
	v_and_b32_e32 v19, 0x7f, v18
	v_cmp_ne_u32_e32 vcc, s25, v19
	v_mov_b32_e32 v33, 0x7f800001
	s_and_saveexec_b64 s[14:15], vcc
	s_cbranch_execz .LBB321_250
; %bb.249:                              ;   in Loop: Header=BB321_222 Depth=1
	v_and_b32_e32 v11, 7, v18
	v_ffbh_u32_e32 v11, v11
	v_min_u32_e32 v11, 32, v11
	v_lshrrev_b32_e32 v12, 3, v19
	v_subrev_u32_e32 v21, 28, v11
	v_sub_u32_e32 v11, 29, v11
	v_cmp_gt_u32_e32 vcc, 8, v19
	v_cndmask_b32_e32 v11, v12, v11, vcc
	v_cndmask_b32_e32 v12, 0, v21, vcc
	v_lshlrev_b64 v[21:22], v12, v[9:10]
	v_lshlrev_b32_e32 v19, 24, v9
	v_lshlrev_b32_e32 v12, 20, v21
	v_bfrev_b32_e32 v21, 60
	v_and_b32_e32 v12, 0x700000, v12
	v_and_b32_e32 v19, 0x80000000, v19
	v_lshl_add_u32 v11, v11, 23, v21
	v_or3_b32 v33, v19, v11, v12
.LBB321_250:                            ;   in Loop: Header=BB321_222 Depth=1
	s_or_b64 exec, exec, s[14:15]
.LBB321_251:                            ;   in Loop: Header=BB321_222 Depth=1
	s_or_b64 exec, exec, s[12:13]
.LBB321_252:                            ;   in Loop: Header=BB321_222 Depth=1
	s_or_b64 exec, exec, s[0:1]
	v_lshrrev_b16_e32 v19, 8, v9
	v_cmp_ne_u16_e32 vcc, 0, v19
	v_mov_b32_e32 v21, 0
	v_mov_b32_e32 v24, 0
	s_and_saveexec_b64 s[0:1], vcc
	s_cbranch_execz .LBB321_258
; %bb.253:                              ;   in Loop: Header=BB321_222 Depth=1
	v_cmp_ne_u16_e32 vcc, s24, v19
	v_bfrev_b32_e32 v24, 1
	s_and_saveexec_b64 s[12:13], vcc
	s_cbranch_execz .LBB321_257
; %bb.254:                              ;   in Loop: Header=BB321_222 Depth=1
	v_and_b32_e32 v22, 0x7f, v19
	v_cmp_ne_u32_e32 vcc, s25, v22
	v_mov_b32_e32 v24, 0x7f800001
	s_and_saveexec_b64 s[14:15], vcc
	s_cbranch_execz .LBB321_256
; %bb.255:                              ;   in Loop: Header=BB321_222 Depth=1
	v_and_b32_e32 v11, 7, v19
	v_ffbh_u32_e32 v23, v11
	v_min_u32_e32 v32, 32, v23
	v_subrev_u32_e32 v23, 28, v32
	v_lshlrev_b64 v[23:24], v23, v[19:20]
	v_lshrrev_b32_e32 v12, 3, v22
	v_sub_u32_e32 v19, 29, v32
	v_and_b32_e32 v23, 7, v23
	v_cmp_gt_u32_e32 vcc, 8, v22
	v_cndmask_b32_e32 v12, v12, v19, vcc
	v_cndmask_b32_e32 v11, v11, v23, vcc
	v_lshlrev_b32_e32 v9, 16, v9
	v_bfrev_b32_e32 v19, 60
	v_lshlrev_b32_e32 v11, 20, v11
	v_and_b32_e32 v9, 0x80000000, v9
	v_lshl_add_u32 v12, v12, 23, v19
	v_or3_b32 v24, v9, v12, v11
.LBB321_256:                            ;   in Loop: Header=BB321_222 Depth=1
	s_or_b64 exec, exec, s[14:15]
.LBB321_257:                            ;   in Loop: Header=BB321_222 Depth=1
	s_or_b64 exec, exec, s[12:13]
.LBB321_258:                            ;   in Loop: Header=BB321_222 Depth=1
	s_or_b64 exec, exec, s[0:1]
	v_lshrrev_b32_e32 v9, 16, v18
	v_cmp_ne_u16_sdwa s[12:13], v9, v10 src0_sel:BYTE_0 src1_sel:DWORD
	s_and_saveexec_b64 s[0:1], s[12:13]
	s_cbranch_execz .LBB321_264
; %bb.259:                              ;   in Loop: Header=BB321_222 Depth=1
	v_cmp_ne_u16_sdwa s[14:15], v9, s24 src0_sel:BYTE_0 src1_sel:DWORD
	v_bfrev_b32_e32 v21, 1
	s_and_saveexec_b64 s[12:13], s[14:15]
	s_cbranch_execz .LBB321_263
; %bb.260:                              ;   in Loop: Header=BB321_222 Depth=1
	v_bfe_u32 v19, v18, 16, 7
	v_cmp_ne_u32_e32 vcc, s25, v19
	v_mov_b32_e32 v21, 0x7f800001
	s_and_saveexec_b64 s[14:15], vcc
	s_cbranch_execz .LBB321_262
; %bb.261:                              ;   in Loop: Header=BB321_222 Depth=1
	v_and_b32_e32 v11, 7, v9
	v_ffbh_u32_e32 v21, v11
	v_min_u32_e32 v23, 32, v21
	v_subrev_u32_e32 v21, 28, v23
	v_lshlrev_b64 v[21:22], v21, v[9:10]
	v_lshrrev_b32_e32 v12, 3, v19
	v_sub_u32_e32 v22, 29, v23
	v_and_b32_e32 v21, 7, v21
	v_cmp_gt_u32_e32 vcc, 8, v19
	v_cndmask_b32_e32 v12, v12, v22, vcc
	v_cndmask_b32_e32 v11, v11, v21, vcc
	v_lshlrev_b32_e32 v9, 24, v9
	v_bfrev_b32_e32 v19, 60
	v_lshlrev_b32_e32 v11, 20, v11
	v_and_b32_e32 v9, 0x80000000, v9
	v_lshl_add_u32 v12, v12, 23, v19
	v_or3_b32 v21, v9, v12, v11
.LBB321_262:                            ;   in Loop: Header=BB321_222 Depth=1
	s_or_b64 exec, exec, s[14:15]
.LBB321_263:                            ;   in Loop: Header=BB321_222 Depth=1
	s_or_b64 exec, exec, s[12:13]
.LBB321_264:                            ;   in Loop: Header=BB321_222 Depth=1
	s_or_b64 exec, exec, s[0:1]
	v_cmp_lt_u64_e32 vcc, s[4:5], v[17:18]
	v_mov_b32_e32 v17, 0
	s_and_saveexec_b64 s[0:1], vcc
	s_cbranch_execz .LBB321_270
; %bb.265:                              ;   in Loop: Header=BB321_222 Depth=1
	v_lshrrev_b32_e32 v9, 24, v18
	v_cmp_ne_u32_e32 vcc, s24, v9
	v_bfrev_b32_e32 v17, 1
	s_and_saveexec_b64 s[12:13], vcc
	s_cbranch_execz .LBB321_269
; %bb.266:                              ;   in Loop: Header=BB321_222 Depth=1
	v_bfe_u32 v18, v18, 24, 7
	v_cmp_ne_u32_e32 vcc, s25, v18
	v_mov_b32_e32 v17, 0x7f800001
	s_and_saveexec_b64 s[14:15], vcc
	s_cbranch_execz .LBB321_268
; %bb.267:                              ;   in Loop: Header=BB321_222 Depth=1
	v_and_b32_e32 v11, 7, v9
	v_ffbh_u32_e32 v17, v11
	v_min_u32_e32 v17, 32, v17
	v_subrev_u32_e32 v19, 28, v17
	v_lshlrev_b64 v[22:23], v19, v[9:10]
	v_lshrrev_b32_e32 v12, 3, v18
	v_sub_u32_e32 v17, 29, v17
	v_and_b32_e32 v19, 7, v22
	v_cmp_gt_u32_e32 vcc, 8, v18
	v_cndmask_b32_e32 v12, v12, v17, vcc
	v_cndmask_b32_e32 v11, v11, v19, vcc
	v_lshlrev_b32_e32 v9, 24, v9
	v_bfrev_b32_e32 v17, 60
	v_lshlrev_b32_e32 v11, 20, v11
	v_and_b32_e32 v9, 0x80000000, v9
	v_lshl_add_u32 v12, v12, 23, v17
	v_or3_b32 v17, v9, v12, v11
.LBB321_268:                            ;   in Loop: Header=BB321_222 Depth=1
	s_or_b64 exec, exec, s[14:15]
.LBB321_269:                            ;   in Loop: Header=BB321_222 Depth=1
	s_or_b64 exec, exec, s[12:13]
.LBB321_270:                            ;   in Loop: Header=BB321_222 Depth=1
	s_or_b64 exec, exec, s[0:1]
	s_waitcnt lgkmcnt(0)
	v_mul_f32_e32 v9, s18, v24
	v_bfe_u32 v11, v9, 16, 1
	v_add3_u32 v11, v11, v9, s26
	v_or_b32_e32 v12, 0x400000, v9
	v_cmp_u_f32_e64 s[0:1], v9, v9
	v_cndmask_b32_e64 v9, v11, v12, s[0:1]
	v_lshrrev_b32_e32 v32, 16, v9
	v_mul_f32_e32 v9, s18, v33
	v_bfe_u32 v11, v9, 16, 1
	v_add3_u32 v11, v11, v9, s26
	v_or_b32_e32 v12, 0x400000, v9
	v_cmp_u_f32_e64 s[0:1], v9, v9
	v_cndmask_b32_e64 v9, v11, v12, s[0:1]
	v_lshrrev_b32_e32 v33, 16, v9
	;; [unrolled: 7-line block ×4, first 2 shown]
	v_mul_f32_e32 v9, s18, v34
	v_bfe_u32 v11, v9, 16, 1
	v_add3_u32 v11, v11, v9, s26
	v_or_b32_e32 v12, 0x400000, v9
	v_cmp_u_f32_e64 s[0:1], v9, v9
	v_cndmask_b32_e64 v9, v11, v12, s[0:1]
	v_mul_f32_e32 v0, s18, v0
	v_lshrrev_b32_e32 v38, 16, v9
	v_bfe_u32 v9, v0, 16, 1
	v_add3_u32 v9, v9, v0, s26
	v_or_b32_e32 v11, 0x400000, v0
	v_cmp_u_f32_e64 s[0:1], v0, v0
	v_cndmask_b32_e64 v0, v9, v11, s[0:1]
	v_lshrrev_b32_e32 v39, 16, v0
	v_mul_f32_e32 v0, s18, v21
	v_bfe_u32 v9, v0, 16, 1
	v_add3_u32 v9, v9, v0, s26
	v_or_b32_e32 v11, 0x400000, v0
	v_cmp_u_f32_e64 s[0:1], v0, v0
	v_cndmask_b32_e64 v0, v9, v11, s[0:1]
	v_lshrrev_b32_e32 v34, 16, v0
	v_mul_f32_e32 v0, s18, v17
	v_bfe_u32 v9, v0, 16, 1
	v_add3_u32 v9, v9, v0, s26
	v_or_b32_e32 v11, 0x400000, v0
	v_cmp_u_f32_e64 s[0:1], v0, v0
	v_cndmask_b32_e64 v0, v9, v11, s[0:1]
	v_add_u32_e32 v40, -7, v29
	v_cmp_eq_u32_e32 vcc, s19, v20
	v_lshrrev_b32_e32 v37, 16, v0
	v_add_u32_e32 v46, -6, v29
	v_add_u32_e32 v45, -5, v29
	;; [unrolled: 1-line block ×6, first 2 shown]
	s_and_saveexec_b64 s[12:13], vcc
	s_cbranch_execz .LBB321_272
; %bb.271:                              ;   in Loop: Header=BB321_222 Depth=1
	v_cmp_gt_i32_e64 s[0:1], s30, v40
	v_cndmask_b32_e64 v39, 0, v39, s[0:1]
	v_cmp_gt_i32_e64 s[0:1], s30, v46
	v_cndmask_b32_e64 v38, 0, v38, s[0:1]
	v_cmp_gt_i32_e64 s[0:1], s30, v45
	v_cndmask_b32_e64 v36, 0, v36, s[0:1]
	v_cmp_gt_i32_e64 s[0:1], s30, v44
	v_cndmask_b32_e64 v35, 0, v35, s[0:1]
	v_cmp_gt_i32_e64 s[0:1], s30, v43
	v_cndmask_b32_e64 v33, 0, v33, s[0:1]
	v_cmp_gt_i32_e64 s[0:1], s30, v42
	v_cndmask_b32_e64 v32, 0, v32, s[0:1]
	v_cmp_gt_i32_e64 s[0:1], s30, v41
	v_cndmask_b32_e64 v34, 0, v34, s[0:1]
	v_cmp_gt_i32_e64 s[0:1], s30, v29
	v_cndmask_b32_e64 v37, 0, v37, s[0:1]
.LBB321_272:                            ;   in Loop: Header=BB321_222 Depth=1
	s_or_b64 exec, exec, s[12:13]
	global_load_dwordx2 v[17:18], v[15:16], off offset:512
	v_mov_b32_e32 v49, 0
	v_mov_b32_e32 v0, 0
	s_waitcnt vmcnt(0)
	v_cmp_ne_u16_sdwa s[0:1], v17, v10 src0_sel:BYTE_0 src1_sel:DWORD
	s_and_saveexec_b64 s[12:13], s[0:1]
	s_cbranch_execz .LBB321_278
; %bb.273:                              ;   in Loop: Header=BB321_222 Depth=1
	v_cmp_ne_u16_sdwa s[0:1], v17, s24 src0_sel:BYTE_0 src1_sel:DWORD
	v_bfrev_b32_e32 v0, 1
	s_and_saveexec_b64 s[14:15], s[0:1]
	s_cbranch_execz .LBB321_277
; %bb.274:                              ;   in Loop: Header=BB321_222 Depth=1
	v_and_b32_e32 v9, 0x7f, v17
	v_cmp_ne_u32_e64 s[0:1], s25, v9
	v_mov_b32_e32 v0, 0x7f800001
	s_and_saveexec_b64 s[16:17], s[0:1]
	s_cbranch_execz .LBB321_276
; %bb.275:                              ;   in Loop: Header=BB321_222 Depth=1
	v_and_b32_e32 v0, 7, v17
	v_ffbh_u32_e32 v0, v0
	v_min_u32_e32 v0, 32, v0
	v_subrev_u32_e32 v12, 28, v0
	v_cmp_gt_u32_e64 s[0:1], 8, v9
	v_lshrrev_b32_e32 v11, 3, v9
	v_cndmask_b32_e64 v9, 0, v12, s[0:1]
	v_lshlrev_b64 v[21:22], v9, v[17:18]
	v_sub_u32_e32 v0, 29, v0
	v_cndmask_b32_e64 v0, v11, v0, s[0:1]
	v_lshlrev_b32_e32 v9, 20, v21
	v_lshlrev_b32_e32 v11, 24, v17
	v_bfrev_b32_e32 v12, 60
	v_and_b32_e32 v9, 0x700000, v9
	v_and_b32_e32 v11, 0x80000000, v11
	v_lshl_add_u32 v0, v0, 23, v12
	v_or3_b32 v0, v11, v0, v9
.LBB321_276:                            ;   in Loop: Header=BB321_222 Depth=1
	s_or_b64 exec, exec, s[16:17]
.LBB321_277:                            ;   in Loop: Header=BB321_222 Depth=1
	s_or_b64 exec, exec, s[14:15]
.LBB321_278:                            ;   in Loop: Header=BB321_222 Depth=1
	s_or_b64 exec, exec, s[12:13]
	v_lshrrev_b16_e32 v9, 8, v17
	v_cmp_ne_u16_e64 s[0:1], 0, v9
	s_and_saveexec_b64 s[12:13], s[0:1]
	s_cbranch_execz .LBB321_284
; %bb.279:                              ;   in Loop: Header=BB321_222 Depth=1
	v_cmp_ne_u16_e64 s[0:1], s24, v9
	v_bfrev_b32_e32 v49, 1
	s_and_saveexec_b64 s[14:15], s[0:1]
	s_cbranch_execz .LBB321_283
; %bb.280:                              ;   in Loop: Header=BB321_222 Depth=1
	v_and_b32_e32 v19, 0x7f, v9
	v_cmp_ne_u32_e64 s[0:1], s25, v19
	v_mov_b32_e32 v49, 0x7f800001
	s_and_saveexec_b64 s[16:17], s[0:1]
	s_cbranch_execz .LBB321_282
; %bb.281:                              ;   in Loop: Header=BB321_222 Depth=1
	v_and_b32_e32 v11, 7, v9
	v_ffbh_u32_e32 v21, v11
	v_min_u32_e32 v23, 32, v21
	v_subrev_u32_e32 v21, 28, v23
	v_lshlrev_b64 v[21:22], v21, v[9:10]
	v_lshrrev_b32_e32 v12, 3, v19
	v_sub_u32_e32 v9, 29, v23
	v_and_b32_e32 v21, 7, v21
	v_cmp_gt_u32_e64 s[0:1], 8, v19
	v_cndmask_b32_e64 v9, v12, v9, s[0:1]
	v_cndmask_b32_e64 v11, v11, v21, s[0:1]
	v_lshlrev_b32_e32 v12, 16, v17
	v_bfrev_b32_e32 v19, 60
	v_lshlrev_b32_e32 v11, 20, v11
	v_and_b32_e32 v12, 0x80000000, v12
	v_lshl_add_u32 v9, v9, 23, v19
	v_or3_b32 v49, v12, v9, v11
.LBB321_282:                            ;   in Loop: Header=BB321_222 Depth=1
	s_or_b64 exec, exec, s[16:17]
.LBB321_283:                            ;   in Loop: Header=BB321_222 Depth=1
	s_or_b64 exec, exec, s[14:15]
.LBB321_284:                            ;   in Loop: Header=BB321_222 Depth=1
	s_or_b64 exec, exec, s[12:13]
	v_lshrrev_b32_e32 v9, 16, v17
	v_cmp_ne_u16_sdwa s[0:1], v9, v10 src0_sel:BYTE_0 src1_sel:DWORD
	v_mov_b32_e32 v50, 0
	v_mov_b32_e32 v51, 0
	s_and_saveexec_b64 s[12:13], s[0:1]
	s_cbranch_execz .LBB321_290
; %bb.285:                              ;   in Loop: Header=BB321_222 Depth=1
	v_cmp_ne_u16_sdwa s[0:1], v9, s24 src0_sel:BYTE_0 src1_sel:DWORD
	v_bfrev_b32_e32 v51, 1
	s_and_saveexec_b64 s[14:15], s[0:1]
	s_cbranch_execz .LBB321_289
; %bb.286:                              ;   in Loop: Header=BB321_222 Depth=1
	v_bfe_u32 v19, v17, 16, 7
	v_cmp_ne_u32_e64 s[0:1], s25, v19
	v_mov_b32_e32 v51, 0x7f800001
	s_and_saveexec_b64 s[16:17], s[0:1]
	s_cbranch_execz .LBB321_288
; %bb.287:                              ;   in Loop: Header=BB321_222 Depth=1
	v_and_b32_e32 v11, 7, v9
	v_ffbh_u32_e32 v21, v11
	v_min_u32_e32 v23, 32, v21
	v_subrev_u32_e32 v21, 28, v23
	v_lshlrev_b64 v[21:22], v21, v[9:10]
	v_lshrrev_b32_e32 v12, 3, v19
	v_sub_u32_e32 v22, 29, v23
	v_and_b32_e32 v21, 7, v21
	v_cmp_gt_u32_e64 s[0:1], 8, v19
	v_cndmask_b32_e64 v12, v12, v22, s[0:1]
	v_cndmask_b32_e64 v11, v11, v21, s[0:1]
	v_lshlrev_b32_e32 v9, 24, v9
	v_bfrev_b32_e32 v19, 60
	v_lshlrev_b32_e32 v11, 20, v11
	v_and_b32_e32 v9, 0x80000000, v9
	v_lshl_add_u32 v12, v12, 23, v19
	v_or3_b32 v51, v9, v12, v11
.LBB321_288:                            ;   in Loop: Header=BB321_222 Depth=1
	s_or_b64 exec, exec, s[16:17]
.LBB321_289:                            ;   in Loop: Header=BB321_222 Depth=1
	s_or_b64 exec, exec, s[14:15]
.LBB321_290:                            ;   in Loop: Header=BB321_222 Depth=1
	s_or_b64 exec, exec, s[12:13]
	v_cmp_lt_u32_e64 s[0:1], s5, v17
	s_and_saveexec_b64 s[12:13], s[0:1]
	s_cbranch_execz .LBB321_296
; %bb.291:                              ;   in Loop: Header=BB321_222 Depth=1
	v_lshrrev_b32_e32 v9, 24, v17
	v_cmp_ne_u32_e64 s[0:1], s24, v9
	v_bfrev_b32_e32 v50, 1
	s_and_saveexec_b64 s[14:15], s[0:1]
	s_cbranch_execz .LBB321_295
; %bb.292:                              ;   in Loop: Header=BB321_222 Depth=1
	v_bfe_u32 v19, v17, 24, 7
	v_cmp_ne_u32_e64 s[0:1], s25, v19
	v_mov_b32_e32 v50, 0x7f800001
	s_and_saveexec_b64 s[16:17], s[0:1]
	s_cbranch_execz .LBB321_294
; %bb.293:                              ;   in Loop: Header=BB321_222 Depth=1
	v_and_b32_e32 v11, 7, v9
	v_ffbh_u32_e32 v21, v11
	v_min_u32_e32 v23, 32, v21
	v_subrev_u32_e32 v21, 28, v23
	v_lshlrev_b64 v[21:22], v21, v[9:10]
	v_lshrrev_b32_e32 v12, 3, v19
	v_sub_u32_e32 v22, 29, v23
	v_and_b32_e32 v21, 7, v21
	v_cmp_gt_u32_e64 s[0:1], 8, v19
	v_cndmask_b32_e64 v12, v12, v22, s[0:1]
	v_cndmask_b32_e64 v11, v11, v21, s[0:1]
	v_lshlrev_b32_e32 v9, 24, v9
	v_bfrev_b32_e32 v19, 60
	v_lshlrev_b32_e32 v11, 20, v11
	v_and_b32_e32 v9, 0x80000000, v9
	v_lshl_add_u32 v12, v12, 23, v19
	v_or3_b32 v50, v9, v12, v11
.LBB321_294:                            ;   in Loop: Header=BB321_222 Depth=1
	s_or_b64 exec, exec, s[16:17]
.LBB321_295:                            ;   in Loop: Header=BB321_222 Depth=1
	s_or_b64 exec, exec, s[14:15]
.LBB321_296:                            ;   in Loop: Header=BB321_222 Depth=1
	s_or_b64 exec, exec, s[12:13]
	v_mov_b32_e32 v9, v18
	v_cmp_ne_u16_sdwa s[0:1], v18, v10 src0_sel:BYTE_0 src1_sel:DWORD
	v_mov_b32_e32 v24, 0
	v_mov_b32_e32 v21, 0
	s_and_saveexec_b64 s[12:13], s[0:1]
	s_cbranch_execz .LBB321_302
; %bb.297:                              ;   in Loop: Header=BB321_222 Depth=1
	v_cmp_ne_u16_sdwa s[0:1], v18, s24 src0_sel:BYTE_0 src1_sel:DWORD
	v_bfrev_b32_e32 v21, 1
	s_and_saveexec_b64 s[14:15], s[0:1]
	s_cbranch_execz .LBB321_301
; %bb.298:                              ;   in Loop: Header=BB321_222 Depth=1
	v_and_b32_e32 v19, 0x7f, v18
	v_cmp_ne_u32_e64 s[0:1], s25, v19
	v_mov_b32_e32 v21, 0x7f800001
	s_and_saveexec_b64 s[16:17], s[0:1]
	s_cbranch_execz .LBB321_300
; %bb.299:                              ;   in Loop: Header=BB321_222 Depth=1
	v_and_b32_e32 v11, 7, v18
	v_ffbh_u32_e32 v11, v11
	v_min_u32_e32 v11, 32, v11
	v_lshrrev_b32_e32 v12, 3, v19
	v_subrev_u32_e32 v21, 28, v11
	v_sub_u32_e32 v11, 29, v11
	v_cmp_gt_u32_e64 s[0:1], 8, v19
	v_cndmask_b32_e64 v11, v12, v11, s[0:1]
	v_cndmask_b32_e64 v12, 0, v21, s[0:1]
	v_lshlrev_b64 v[21:22], v12, v[9:10]
	v_lshlrev_b32_e32 v19, 24, v9
	v_lshlrev_b32_e32 v12, 20, v21
	v_bfrev_b32_e32 v21, 60
	v_and_b32_e32 v12, 0x700000, v12
	v_and_b32_e32 v19, 0x80000000, v19
	v_lshl_add_u32 v11, v11, 23, v21
	v_or3_b32 v21, v19, v11, v12
.LBB321_300:                            ;   in Loop: Header=BB321_222 Depth=1
	s_or_b64 exec, exec, s[16:17]
.LBB321_301:                            ;   in Loop: Header=BB321_222 Depth=1
	s_or_b64 exec, exec, s[14:15]
.LBB321_302:                            ;   in Loop: Header=BB321_222 Depth=1
	s_or_b64 exec, exec, s[12:13]
	v_lshrrev_b16_e32 v19, 8, v9
	v_cmp_ne_u16_e64 s[0:1], 0, v19
	s_and_saveexec_b64 s[12:13], s[0:1]
	s_cbranch_execz .LBB321_308
; %bb.303:                              ;   in Loop: Header=BB321_222 Depth=1
	v_cmp_ne_u16_e64 s[0:1], s24, v19
	v_bfrev_b32_e32 v24, 1
	s_and_saveexec_b64 s[14:15], s[0:1]
	s_cbranch_execz .LBB321_307
; %bb.304:                              ;   in Loop: Header=BB321_222 Depth=1
	v_and_b32_e32 v22, 0x7f, v19
	v_cmp_ne_u32_e64 s[0:1], s25, v22
	v_mov_b32_e32 v24, 0x7f800001
	s_and_saveexec_b64 s[16:17], s[0:1]
	s_cbranch_execz .LBB321_306
; %bb.305:                              ;   in Loop: Header=BB321_222 Depth=1
	v_and_b32_e32 v11, 7, v19
	v_ffbh_u32_e32 v23, v11
	v_min_u32_e32 v47, 32, v23
	v_subrev_u32_e32 v23, 28, v47
	v_lshlrev_b64 v[23:24], v23, v[19:20]
	v_lshrrev_b32_e32 v12, 3, v22
	v_sub_u32_e32 v19, 29, v47
	v_and_b32_e32 v23, 7, v23
	v_cmp_gt_u32_e64 s[0:1], 8, v22
	v_cndmask_b32_e64 v12, v12, v19, s[0:1]
	v_cndmask_b32_e64 v11, v11, v23, s[0:1]
	v_lshlrev_b32_e32 v9, 16, v9
	v_bfrev_b32_e32 v19, 60
	v_lshlrev_b32_e32 v11, 20, v11
	v_and_b32_e32 v9, 0x80000000, v9
	v_lshl_add_u32 v12, v12, 23, v19
	v_or3_b32 v24, v9, v12, v11
.LBB321_306:                            ;   in Loop: Header=BB321_222 Depth=1
	s_or_b64 exec, exec, s[16:17]
.LBB321_307:                            ;   in Loop: Header=BB321_222 Depth=1
	s_or_b64 exec, exec, s[14:15]
.LBB321_308:                            ;   in Loop: Header=BB321_222 Depth=1
	s_or_b64 exec, exec, s[12:13]
	v_lshrrev_b32_e32 v9, 16, v18
	v_cmp_ne_u16_sdwa s[0:1], v9, v10 src0_sel:BYTE_0 src1_sel:DWORD
	v_mov_b32_e32 v19, 0
	v_mov_b32_e32 v22, 0
	s_and_saveexec_b64 s[12:13], s[0:1]
	s_cbranch_execz .LBB321_314
; %bb.309:                              ;   in Loop: Header=BB321_222 Depth=1
	v_cmp_ne_u16_sdwa s[0:1], v9, s24 src0_sel:BYTE_0 src1_sel:DWORD
	v_bfrev_b32_e32 v22, 1
	s_and_saveexec_b64 s[14:15], s[0:1]
	s_cbranch_execz .LBB321_313
; %bb.310:                              ;   in Loop: Header=BB321_222 Depth=1
	v_bfe_u32 v47, v18, 16, 7
	v_cmp_ne_u32_e64 s[0:1], s25, v47
	v_mov_b32_e32 v22, 0x7f800001
	s_and_saveexec_b64 s[16:17], s[0:1]
	s_cbranch_execz .LBB321_312
; %bb.311:                              ;   in Loop: Header=BB321_222 Depth=1
	v_and_b32_e32 v11, 7, v9
	v_ffbh_u32_e32 v22, v11
	v_min_u32_e32 v48, 32, v22
	v_subrev_u32_e32 v22, 28, v48
	v_lshlrev_b64 v[22:23], v22, v[9:10]
	v_lshrrev_b32_e32 v12, 3, v47
	v_sub_u32_e32 v23, 29, v48
	v_and_b32_e32 v22, 7, v22
	v_cmp_gt_u32_e64 s[0:1], 8, v47
	v_cndmask_b32_e64 v12, v12, v23, s[0:1]
	v_cndmask_b32_e64 v11, v11, v22, s[0:1]
	v_lshlrev_b32_e32 v9, 24, v9
	v_bfrev_b32_e32 v22, 60
	v_lshlrev_b32_e32 v11, 20, v11
	v_and_b32_e32 v9, 0x80000000, v9
	v_lshl_add_u32 v12, v12, 23, v22
	v_or3_b32 v22, v9, v12, v11
.LBB321_312:                            ;   in Loop: Header=BB321_222 Depth=1
	s_or_b64 exec, exec, s[16:17]
.LBB321_313:                            ;   in Loop: Header=BB321_222 Depth=1
	s_or_b64 exec, exec, s[14:15]
.LBB321_314:                            ;   in Loop: Header=BB321_222 Depth=1
	s_or_b64 exec, exec, s[12:13]
	v_cmp_lt_u64_e64 s[0:1], s[4:5], v[17:18]
	s_and_saveexec_b64 s[12:13], s[0:1]
	s_cbranch_execz .LBB321_320
; %bb.315:                              ;   in Loop: Header=BB321_222 Depth=1
	v_lshrrev_b32_e32 v9, 24, v18
	v_cmp_ne_u32_e64 s[0:1], s24, v9
	v_bfrev_b32_e32 v19, 1
	s_and_saveexec_b64 s[14:15], s[0:1]
	s_cbranch_execz .LBB321_319
; %bb.316:                              ;   in Loop: Header=BB321_222 Depth=1
	v_bfe_u32 v17, v18, 24, 7
	v_cmp_ne_u32_e64 s[0:1], s25, v17
	v_mov_b32_e32 v19, 0x7f800001
	s_and_saveexec_b64 s[16:17], s[0:1]
	s_cbranch_execz .LBB321_318
; %bb.317:                              ;   in Loop: Header=BB321_222 Depth=1
	v_and_b32_e32 v11, 7, v9
	v_ffbh_u32_e32 v18, v11
	v_min_u32_e32 v23, 32, v18
	v_subrev_u32_e32 v18, 28, v23
	v_lshlrev_b64 v[18:19], v18, v[9:10]
	v_lshrrev_b32_e32 v12, 3, v17
	v_sub_u32_e32 v19, 29, v23
	v_and_b32_e32 v18, 7, v18
	v_cmp_gt_u32_e64 s[0:1], 8, v17
	v_cndmask_b32_e64 v12, v12, v19, s[0:1]
	v_cndmask_b32_e64 v11, v11, v18, s[0:1]
	v_lshlrev_b32_e32 v9, 24, v9
	v_bfrev_b32_e32 v17, 60
	v_lshlrev_b32_e32 v11, 20, v11
	v_and_b32_e32 v9, 0x80000000, v9
	v_lshl_add_u32 v12, v12, 23, v17
	v_or3_b32 v19, v9, v12, v11
.LBB321_318:                            ;   in Loop: Header=BB321_222 Depth=1
	s_or_b64 exec, exec, s[16:17]
.LBB321_319:                            ;   in Loop: Header=BB321_222 Depth=1
	s_or_b64 exec, exec, s[14:15]
.LBB321_320:                            ;   in Loop: Header=BB321_222 Depth=1
	s_or_b64 exec, exec, s[12:13]
	v_mul_f32_e32 v9, s18, v24
	v_bfe_u32 v11, v9, 16, 1
	v_add3_u32 v11, v11, v9, s26
	v_or_b32_e32 v12, 0x400000, v9
	v_cmp_u_f32_e64 s[0:1], v9, v9
	v_cndmask_b32_e64 v9, v11, v12, s[0:1]
	v_lshrrev_b32_e32 v47, 16, v9
	v_mul_f32_e32 v9, s18, v21
	v_bfe_u32 v11, v9, 16, 1
	v_add3_u32 v11, v11, v9, s26
	v_or_b32_e32 v12, 0x400000, v9
	v_cmp_u_f32_e64 s[0:1], v9, v9
	v_cndmask_b32_e64 v9, v11, v12, s[0:1]
	v_lshrrev_b32_e32 v48, 16, v9
	;; [unrolled: 7-line block ×4, first 2 shown]
	v_mul_f32_e32 v9, s18, v49
	v_bfe_u32 v11, v9, 16, 1
	v_add3_u32 v11, v11, v9, s26
	v_or_b32_e32 v12, 0x400000, v9
	v_cmp_u_f32_e64 s[0:1], v9, v9
	v_cndmask_b32_e64 v9, v11, v12, s[0:1]
	v_mul_f32_e32 v0, s18, v0
	v_lshrrev_b32_e32 v53, 16, v9
	v_bfe_u32 v9, v0, 16, 1
	v_add3_u32 v9, v9, v0, s26
	v_or_b32_e32 v11, 0x400000, v0
	v_cmp_u_f32_e64 s[0:1], v0, v0
	v_cndmask_b32_e64 v0, v9, v11, s[0:1]
	v_lshrrev_b32_e32 v54, 16, v0
	v_mul_f32_e32 v0, s18, v22
	v_bfe_u32 v9, v0, 16, 1
	v_add3_u32 v9, v9, v0, s26
	v_or_b32_e32 v11, 0x400000, v0
	v_cmp_u_f32_e64 s[0:1], v0, v0
	v_cndmask_b32_e64 v0, v9, v11, s[0:1]
	v_lshrrev_b32_e32 v49, 16, v0
	v_mul_f32_e32 v0, s18, v19
	v_bfe_u32 v9, v0, 16, 1
	v_add3_u32 v9, v9, v0, s26
	v_or_b32_e32 v11, 0x400000, v0
	v_cmp_u_f32_e64 s[0:1], v0, v0
	v_cndmask_b32_e64 v0, v9, v11, s[0:1]
	v_lshrrev_b32_e32 v52, 16, v0
	s_and_saveexec_b64 s[12:13], vcc
	s_cbranch_execz .LBB321_322
; %bb.321:                              ;   in Loop: Header=BB321_222 Depth=1
	v_cmp_gt_i32_e64 s[0:1], s30, v40
	v_cndmask_b32_e64 v54, 0, v54, s[0:1]
	v_cmp_gt_i32_e64 s[0:1], s30, v46
	v_cndmask_b32_e64 v53, 0, v53, s[0:1]
	;; [unrolled: 2-line block ×8, first 2 shown]
.LBB321_322:                            ;   in Loop: Header=BB321_222 Depth=1
	s_or_b64 exec, exec, s[12:13]
	global_load_dwordx2 v[17:18], v[15:16], off offset:1024
	v_mov_b32_e32 v58, 0
	v_mov_b32_e32 v57, 0
	s_waitcnt vmcnt(0)
	v_cmp_ne_u16_sdwa s[0:1], v17, v10 src0_sel:BYTE_0 src1_sel:DWORD
	s_and_saveexec_b64 s[12:13], s[0:1]
	s_cbranch_execz .LBB321_328
; %bb.323:                              ;   in Loop: Header=BB321_222 Depth=1
	v_cmp_ne_u16_sdwa s[0:1], v17, s24 src0_sel:BYTE_0 src1_sel:DWORD
	v_bfrev_b32_e32 v57, 1
	s_and_saveexec_b64 s[14:15], s[0:1]
	s_cbranch_execz .LBB321_327
; %bb.324:                              ;   in Loop: Header=BB321_222 Depth=1
	v_and_b32_e32 v0, 0x7f, v17
	v_cmp_ne_u32_e64 s[0:1], s25, v0
	v_mov_b32_e32 v57, 0x7f800001
	s_and_saveexec_b64 s[16:17], s[0:1]
	s_cbranch_execz .LBB321_326
; %bb.325:                              ;   in Loop: Header=BB321_222 Depth=1
	v_and_b32_e32 v9, 7, v17
	v_ffbh_u32_e32 v9, v9
	v_min_u32_e32 v9, 32, v9
	v_lshrrev_b32_e32 v11, 3, v0
	v_subrev_u32_e32 v12, 28, v9
	v_sub_u32_e32 v9, 29, v9
	v_cmp_gt_u32_e64 s[0:1], 8, v0
	v_cndmask_b32_e64 v0, v11, v9, s[0:1]
	v_cndmask_b32_e64 v9, 0, v12, s[0:1]
	v_lshlrev_b64 v[21:22], v9, v[17:18]
	v_lshlrev_b32_e32 v11, 24, v17
	v_lshlrev_b32_e32 v9, 20, v21
	v_bfrev_b32_e32 v12, 60
	v_and_b32_e32 v9, 0x700000, v9
	v_and_b32_e32 v11, 0x80000000, v11
	v_lshl_add_u32 v0, v0, 23, v12
	v_or3_b32 v57, v11, v0, v9
.LBB321_326:                            ;   in Loop: Header=BB321_222 Depth=1
	s_or_b64 exec, exec, s[16:17]
.LBB321_327:                            ;   in Loop: Header=BB321_222 Depth=1
	s_or_b64 exec, exec, s[14:15]
.LBB321_328:                            ;   in Loop: Header=BB321_222 Depth=1
	s_or_b64 exec, exec, s[12:13]
	v_lshrrev_b16_e32 v9, 8, v17
	v_cmp_ne_u16_e64 s[0:1], 0, v9
	s_and_saveexec_b64 s[12:13], s[0:1]
	s_cbranch_execz .LBB321_334
; %bb.329:                              ;   in Loop: Header=BB321_222 Depth=1
	v_cmp_ne_u16_e64 s[0:1], s24, v9
	v_bfrev_b32_e32 v58, 1
	s_and_saveexec_b64 s[14:15], s[0:1]
	s_cbranch_execz .LBB321_333
; %bb.330:                              ;   in Loop: Header=BB321_222 Depth=1
	v_and_b32_e32 v0, 0x7f, v9
	v_cmp_ne_u32_e64 s[0:1], s25, v0
	v_mov_b32_e32 v58, 0x7f800001
	s_and_saveexec_b64 s[16:17], s[0:1]
	s_cbranch_execz .LBB321_332
; %bb.331:                              ;   in Loop: Header=BB321_222 Depth=1
	v_and_b32_e32 v11, 7, v9
	v_ffbh_u32_e32 v19, v11
	v_min_u32_e32 v19, 32, v19
	v_subrev_u32_e32 v21, 28, v19
	v_lshlrev_b64 v[21:22], v21, v[9:10]
	v_lshrrev_b32_e32 v12, 3, v0
	v_sub_u32_e32 v9, 29, v19
	v_and_b32_e32 v19, 7, v21
	v_cmp_gt_u32_e64 s[0:1], 8, v0
	v_cndmask_b32_e64 v0, v12, v9, s[0:1]
	v_cndmask_b32_e64 v9, v11, v19, s[0:1]
	v_lshlrev_b32_e32 v11, 16, v17
	v_bfrev_b32_e32 v12, 60
	v_lshlrev_b32_e32 v9, 20, v9
	v_and_b32_e32 v11, 0x80000000, v11
	v_lshl_add_u32 v0, v0, 23, v12
	v_or3_b32 v58, v11, v0, v9
.LBB321_332:                            ;   in Loop: Header=BB321_222 Depth=1
	s_or_b64 exec, exec, s[16:17]
.LBB321_333:                            ;   in Loop: Header=BB321_222 Depth=1
	s_or_b64 exec, exec, s[14:15]
.LBB321_334:                            ;   in Loop: Header=BB321_222 Depth=1
	s_or_b64 exec, exec, s[12:13]
	v_lshrrev_b32_e32 v9, 16, v17
	v_cmp_ne_u16_sdwa s[0:1], v9, v10 src0_sel:BYTE_0 src1_sel:DWORD
	v_mov_b32_e32 v55, 0
	v_mov_b32_e32 v56, 0
	s_and_saveexec_b64 s[12:13], s[0:1]
	s_cbranch_execz .LBB321_340
; %bb.335:                              ;   in Loop: Header=BB321_222 Depth=1
	v_cmp_ne_u16_sdwa s[0:1], v9, s24 src0_sel:BYTE_0 src1_sel:DWORD
	v_bfrev_b32_e32 v56, 1
	s_and_saveexec_b64 s[14:15], s[0:1]
	s_cbranch_execz .LBB321_339
; %bb.336:                              ;   in Loop: Header=BB321_222 Depth=1
	v_bfe_u32 v0, v17, 16, 7
	v_cmp_ne_u32_e64 s[0:1], s25, v0
	v_mov_b32_e32 v56, 0x7f800001
	s_and_saveexec_b64 s[16:17], s[0:1]
	s_cbranch_execz .LBB321_338
; %bb.337:                              ;   in Loop: Header=BB321_222 Depth=1
	v_and_b32_e32 v11, 7, v9
	v_ffbh_u32_e32 v19, v11
	v_min_u32_e32 v19, 32, v19
	v_subrev_u32_e32 v21, 28, v19
	v_lshlrev_b64 v[21:22], v21, v[9:10]
	v_lshrrev_b32_e32 v12, 3, v0
	v_sub_u32_e32 v19, 29, v19
	v_and_b32_e32 v21, 7, v21
	v_cmp_gt_u32_e64 s[0:1], 8, v0
	v_cndmask_b32_e64 v0, v12, v19, s[0:1]
	v_cndmask_b32_e64 v11, v11, v21, s[0:1]
	v_lshlrev_b32_e32 v9, 24, v9
	v_bfrev_b32_e32 v12, 60
	v_lshlrev_b32_e32 v11, 20, v11
	v_and_b32_e32 v9, 0x80000000, v9
	v_lshl_add_u32 v0, v0, 23, v12
	v_or3_b32 v56, v9, v0, v11
.LBB321_338:                            ;   in Loop: Header=BB321_222 Depth=1
	s_or_b64 exec, exec, s[16:17]
.LBB321_339:                            ;   in Loop: Header=BB321_222 Depth=1
	s_or_b64 exec, exec, s[14:15]
.LBB321_340:                            ;   in Loop: Header=BB321_222 Depth=1
	s_or_b64 exec, exec, s[12:13]
	v_cmp_lt_u32_e64 s[0:1], s5, v17
	s_and_saveexec_b64 s[12:13], s[0:1]
	s_cbranch_execz .LBB321_346
; %bb.341:                              ;   in Loop: Header=BB321_222 Depth=1
	v_lshrrev_b32_e32 v9, 24, v17
	v_cmp_ne_u32_e64 s[0:1], s24, v9
	v_bfrev_b32_e32 v55, 1
	s_and_saveexec_b64 s[14:15], s[0:1]
	s_cbranch_execz .LBB321_345
; %bb.342:                              ;   in Loop: Header=BB321_222 Depth=1
	v_bfe_u32 v0, v17, 24, 7
	v_cmp_ne_u32_e64 s[0:1], s25, v0
	v_mov_b32_e32 v55, 0x7f800001
	s_and_saveexec_b64 s[16:17], s[0:1]
	s_cbranch_execz .LBB321_344
; %bb.343:                              ;   in Loop: Header=BB321_222 Depth=1
	v_and_b32_e32 v11, 7, v9
	v_ffbh_u32_e32 v19, v11
	v_min_u32_e32 v19, 32, v19
	v_subrev_u32_e32 v21, 28, v19
	v_lshlrev_b64 v[21:22], v21, v[9:10]
	v_lshrrev_b32_e32 v12, 3, v0
	v_sub_u32_e32 v19, 29, v19
	v_and_b32_e32 v21, 7, v21
	v_cmp_gt_u32_e64 s[0:1], 8, v0
	v_cndmask_b32_e64 v0, v12, v19, s[0:1]
	v_cndmask_b32_e64 v11, v11, v21, s[0:1]
	v_lshlrev_b32_e32 v9, 24, v9
	v_bfrev_b32_e32 v12, 60
	v_lshlrev_b32_e32 v11, 20, v11
	v_and_b32_e32 v9, 0x80000000, v9
	v_lshl_add_u32 v0, v0, 23, v12
	v_or3_b32 v55, v9, v0, v11
.LBB321_344:                            ;   in Loop: Header=BB321_222 Depth=1
	s_or_b64 exec, exec, s[16:17]
.LBB321_345:                            ;   in Loop: Header=BB321_222 Depth=1
	s_or_b64 exec, exec, s[14:15]
.LBB321_346:                            ;   in Loop: Header=BB321_222 Depth=1
	s_or_b64 exec, exec, s[12:13]
	v_mov_b32_e32 v9, v18
	v_cmp_ne_u16_sdwa s[0:1], v18, v10 src0_sel:BYTE_0 src1_sel:DWORD
	v_mov_b32_e32 v0, 0
	v_mov_b32_e32 v59, 0
	s_and_saveexec_b64 s[12:13], s[0:1]
	s_cbranch_execz .LBB321_352
; %bb.347:                              ;   in Loop: Header=BB321_222 Depth=1
	v_cmp_ne_u16_sdwa s[0:1], v18, s24 src0_sel:BYTE_0 src1_sel:DWORD
	v_bfrev_b32_e32 v59, 1
	s_and_saveexec_b64 s[14:15], s[0:1]
	s_cbranch_execz .LBB321_351
; %bb.348:                              ;   in Loop: Header=BB321_222 Depth=1
	v_and_b32_e32 v19, 0x7f, v18
	v_cmp_ne_u32_e64 s[0:1], s25, v19
	v_mov_b32_e32 v59, 0x7f800001
	s_and_saveexec_b64 s[16:17], s[0:1]
	s_cbranch_execz .LBB321_350
; %bb.349:                              ;   in Loop: Header=BB321_222 Depth=1
	v_and_b32_e32 v11, 7, v18
	v_ffbh_u32_e32 v11, v11
	v_min_u32_e32 v11, 32, v11
	v_lshrrev_b32_e32 v12, 3, v19
	v_subrev_u32_e32 v21, 28, v11
	v_sub_u32_e32 v11, 29, v11
	v_cmp_gt_u32_e64 s[0:1], 8, v19
	v_cndmask_b32_e64 v11, v12, v11, s[0:1]
	v_cndmask_b32_e64 v12, 0, v21, s[0:1]
	v_lshlrev_b64 v[21:22], v12, v[9:10]
	v_lshlrev_b32_e32 v19, 24, v9
	v_lshlrev_b32_e32 v12, 20, v21
	v_bfrev_b32_e32 v21, 60
	v_and_b32_e32 v12, 0x700000, v12
	v_and_b32_e32 v19, 0x80000000, v19
	v_lshl_add_u32 v11, v11, 23, v21
	v_or3_b32 v59, v19, v11, v12
.LBB321_350:                            ;   in Loop: Header=BB321_222 Depth=1
	s_or_b64 exec, exec, s[16:17]
.LBB321_351:                            ;   in Loop: Header=BB321_222 Depth=1
	s_or_b64 exec, exec, s[14:15]
.LBB321_352:                            ;   in Loop: Header=BB321_222 Depth=1
	s_or_b64 exec, exec, s[12:13]
	v_lshrrev_b16_e32 v19, 8, v9
	v_cmp_ne_u16_e64 s[0:1], 0, v19
	s_and_saveexec_b64 s[12:13], s[0:1]
	s_cbranch_execz .LBB321_358
; %bb.353:                              ;   in Loop: Header=BB321_222 Depth=1
	v_cmp_ne_u16_e64 s[0:1], s24, v19
	v_bfrev_b32_e32 v0, 1
	s_and_saveexec_b64 s[14:15], s[0:1]
	s_cbranch_execz .LBB321_357
; %bb.354:                              ;   in Loop: Header=BB321_222 Depth=1
	v_and_b32_e32 v21, 0x7f, v19
	v_cmp_ne_u32_e64 s[0:1], s25, v21
	v_mov_b32_e32 v0, 0x7f800001
	s_and_saveexec_b64 s[16:17], s[0:1]
	s_cbranch_execz .LBB321_356
; %bb.355:                              ;   in Loop: Header=BB321_222 Depth=1
	v_and_b32_e32 v0, 7, v19
	v_ffbh_u32_e32 v12, v0
	v_min_u32_e32 v12, 32, v12
	v_lshrrev_b32_e32 v11, 3, v21
	v_cmp_gt_u32_e64 s[0:1], 8, v21
	v_subrev_u32_e32 v21, 28, v12
	v_lshlrev_b64 v[21:22], v21, v[19:20]
	v_sub_u32_e32 v12, 29, v12
	v_and_b32_e32 v19, 7, v21
	v_cndmask_b32_e64 v11, v11, v12, s[0:1]
	v_cndmask_b32_e64 v0, v0, v19, s[0:1]
	v_lshlrev_b32_e32 v9, 16, v9
	v_bfrev_b32_e32 v12, 60
	v_lshlrev_b32_e32 v0, 20, v0
	v_and_b32_e32 v9, 0x80000000, v9
	v_lshl_add_u32 v11, v11, 23, v12
	v_or3_b32 v0, v9, v11, v0
.LBB321_356:                            ;   in Loop: Header=BB321_222 Depth=1
	s_or_b64 exec, exec, s[16:17]
.LBB321_357:                            ;   in Loop: Header=BB321_222 Depth=1
	s_or_b64 exec, exec, s[14:15]
.LBB321_358:                            ;   in Loop: Header=BB321_222 Depth=1
	s_or_b64 exec, exec, s[12:13]
	v_lshrrev_b32_e32 v9, 16, v18
	v_cmp_ne_u16_sdwa s[0:1], v9, v10 src0_sel:BYTE_0 src1_sel:DWORD
	v_mov_b32_e32 v21, 0
	v_mov_b32_e32 v19, 0
	s_and_saveexec_b64 s[12:13], s[0:1]
	s_cbranch_execz .LBB321_364
; %bb.359:                              ;   in Loop: Header=BB321_222 Depth=1
	v_cmp_ne_u16_sdwa s[0:1], v9, s24 src0_sel:BYTE_0 src1_sel:DWORD
	v_bfrev_b32_e32 v19, 1
	s_and_saveexec_b64 s[14:15], s[0:1]
	s_cbranch_execz .LBB321_363
; %bb.360:                              ;   in Loop: Header=BB321_222 Depth=1
	v_bfe_u32 v22, v18, 16, 7
	v_cmp_ne_u32_e64 s[0:1], s25, v22
	v_mov_b32_e32 v19, 0x7f800001
	s_and_saveexec_b64 s[16:17], s[0:1]
	s_cbranch_execz .LBB321_362
; %bb.361:                              ;   in Loop: Header=BB321_222 Depth=1
	v_and_b32_e32 v11, 7, v9
	v_ffbh_u32_e32 v19, v11
	v_min_u32_e32 v19, 32, v19
	v_lshrrev_b32_e32 v12, 3, v22
	v_cmp_gt_u32_e64 s[0:1], 8, v22
	v_subrev_u32_e32 v22, 28, v19
	v_lshlrev_b64 v[22:23], v22, v[9:10]
	v_sub_u32_e32 v19, 29, v19
	v_and_b32_e32 v22, 7, v22
	v_cndmask_b32_e64 v12, v12, v19, s[0:1]
	v_cndmask_b32_e64 v11, v11, v22, s[0:1]
	v_lshlrev_b32_e32 v9, 24, v9
	v_bfrev_b32_e32 v19, 60
	v_lshlrev_b32_e32 v11, 20, v11
	v_and_b32_e32 v9, 0x80000000, v9
	v_lshl_add_u32 v12, v12, 23, v19
	v_or3_b32 v19, v9, v12, v11
.LBB321_362:                            ;   in Loop: Header=BB321_222 Depth=1
	s_or_b64 exec, exec, s[16:17]
.LBB321_363:                            ;   in Loop: Header=BB321_222 Depth=1
	s_or_b64 exec, exec, s[14:15]
.LBB321_364:                            ;   in Loop: Header=BB321_222 Depth=1
	s_or_b64 exec, exec, s[12:13]
	v_cmp_lt_u64_e64 s[0:1], s[4:5], v[17:18]
	s_and_saveexec_b64 s[12:13], s[0:1]
	s_cbranch_execz .LBB321_370
; %bb.365:                              ;   in Loop: Header=BB321_222 Depth=1
	v_lshrrev_b32_e32 v9, 24, v18
	v_cmp_ne_u32_e64 s[0:1], s24, v9
	v_bfrev_b32_e32 v21, 1
	s_and_saveexec_b64 s[14:15], s[0:1]
	s_cbranch_execz .LBB321_369
; %bb.366:                              ;   in Loop: Header=BB321_222 Depth=1
	v_bfe_u32 v17, v18, 24, 7
	v_cmp_ne_u32_e64 s[0:1], s25, v17
	v_mov_b32_e32 v21, 0x7f800001
	s_and_saveexec_b64 s[16:17], s[0:1]
	s_cbranch_execz .LBB321_368
; %bb.367:                              ;   in Loop: Header=BB321_222 Depth=1
	v_and_b32_e32 v11, 7, v9
	v_lshrrev_b32_e32 v12, 3, v17
	v_cmp_gt_u32_e64 s[0:1], 8, v17
	v_ffbh_u32_e32 v17, v11
	v_min_u32_e32 v21, 32, v17
	v_subrev_u32_e32 v17, 28, v21
	v_lshlrev_b64 v[17:18], v17, v[9:10]
	v_sub_u32_e32 v18, 29, v21
	v_and_b32_e32 v17, 7, v17
	v_cndmask_b32_e64 v12, v12, v18, s[0:1]
	v_cndmask_b32_e64 v11, v11, v17, s[0:1]
	v_lshlrev_b32_e32 v9, 24, v9
	v_bfrev_b32_e32 v17, 60
	v_lshlrev_b32_e32 v11, 20, v11
	v_and_b32_e32 v9, 0x80000000, v9
	v_lshl_add_u32 v12, v12, 23, v17
	v_or3_b32 v21, v9, v12, v11
.LBB321_368:                            ;   in Loop: Header=BB321_222 Depth=1
	s_or_b64 exec, exec, s[16:17]
.LBB321_369:                            ;   in Loop: Header=BB321_222 Depth=1
	s_or_b64 exec, exec, s[14:15]
.LBB321_370:                            ;   in Loop: Header=BB321_222 Depth=1
	s_or_b64 exec, exec, s[12:13]
	v_mul_f32_e32 v0, s18, v0
	v_bfe_u32 v9, v0, 16, 1
	v_add3_u32 v9, v9, v0, s26
	v_or_b32_e32 v11, 0x400000, v0
	v_cmp_u_f32_e64 s[0:1], v0, v0
	v_cndmask_b32_e64 v0, v9, v11, s[0:1]
	v_mul_f32_e32 v9, s18, v59
	v_bfe_u32 v11, v9, 16, 1
	v_add3_u32 v11, v11, v9, s26
	v_or_b32_e32 v12, 0x400000, v9
	v_cmp_u_f32_e64 s[0:1], v9, v9
	v_cndmask_b32_e64 v9, v11, v12, s[0:1]
	v_lshrrev_b32_e32 v18, 16, v9
	v_mul_f32_e32 v9, s18, v55
	v_bfe_u32 v11, v9, 16, 1
	v_add3_u32 v11, v11, v9, s26
	v_or_b32_e32 v12, 0x400000, v9
	v_cmp_u_f32_e64 s[0:1], v9, v9
	v_cndmask_b32_e64 v9, v11, v12, s[0:1]
	v_lshrrev_b32_e32 v55, 16, v9
	;; [unrolled: 7-line block ×7, first 2 shown]
	v_lshrrev_b32_e32 v57, 16, v9
	s_and_saveexec_b64 s[12:13], vcc
	s_cbranch_execz .LBB321_372
; %bb.371:                              ;   in Loop: Header=BB321_222 Depth=1
	v_cmp_gt_i32_e64 s[0:1], s30, v40
	v_cndmask_b32_e64 v59, 0, v59, s[0:1]
	v_cmp_gt_i32_e64 s[0:1], s30, v46
	v_cndmask_b32_e64 v58, 0, v58, s[0:1]
	;; [unrolled: 2-line block ×8, first 2 shown]
.LBB321_372:                            ;   in Loop: Header=BB321_222 Depth=1
	s_or_b64 exec, exec, s[12:13]
	global_load_dwordx2 v[15:16], v[15:16], off offset:1536
	v_mov_b32_e32 v61, 0
	v_mov_b32_e32 v60, 0
	s_waitcnt vmcnt(0)
	v_cmp_ne_u16_sdwa s[0:1], v15, v10 src0_sel:BYTE_0 src1_sel:DWORD
	s_and_saveexec_b64 s[12:13], s[0:1]
	s_cbranch_execz .LBB321_378
; %bb.373:                              ;   in Loop: Header=BB321_222 Depth=1
	v_cmp_ne_u16_sdwa s[0:1], v15, s24 src0_sel:BYTE_0 src1_sel:DWORD
	v_bfrev_b32_e32 v60, 1
	s_and_saveexec_b64 s[14:15], s[0:1]
	s_cbranch_execz .LBB321_377
; %bb.374:                              ;   in Loop: Header=BB321_222 Depth=1
	v_and_b32_e32 v9, 0x7f, v15
	v_cmp_ne_u32_e64 s[0:1], s25, v9
	v_mov_b32_e32 v60, 0x7f800001
	s_and_saveexec_b64 s[16:17], s[0:1]
	s_cbranch_execz .LBB321_376
; %bb.375:                              ;   in Loop: Header=BB321_222 Depth=1
	v_and_b32_e32 v11, 7, v15
	v_lshrrev_b32_e32 v12, 3, v9
	v_cmp_gt_u32_e64 s[0:1], 8, v9
	v_ffbh_u32_e32 v9, v11
	v_min_u32_e32 v9, 32, v9
	v_subrev_u32_e32 v11, 28, v9
	v_cndmask_b32_e64 v11, 0, v11, s[0:1]
	v_lshlrev_b64 v[21:22], v11, v[15:16]
	v_sub_u32_e32 v9, 29, v9
	v_cndmask_b32_e64 v9, v12, v9, s[0:1]
	v_lshlrev_b32_e32 v11, 20, v21
	v_lshlrev_b32_e32 v12, 24, v15
	v_bfrev_b32_e32 v17, 60
	v_and_b32_e32 v11, 0x700000, v11
	v_and_b32_e32 v12, 0x80000000, v12
	v_lshl_add_u32 v9, v9, 23, v17
	v_or3_b32 v60, v12, v9, v11
.LBB321_376:                            ;   in Loop: Header=BB321_222 Depth=1
	s_or_b64 exec, exec, s[16:17]
.LBB321_377:                            ;   in Loop: Header=BB321_222 Depth=1
	s_or_b64 exec, exec, s[14:15]
.LBB321_378:                            ;   in Loop: Header=BB321_222 Depth=1
	s_or_b64 exec, exec, s[12:13]
	v_lshrrev_b16_e32 v9, 8, v15
	v_cmp_ne_u16_e64 s[0:1], 0, v9
	s_and_saveexec_b64 s[12:13], s[0:1]
	s_cbranch_execz .LBB321_384
; %bb.379:                              ;   in Loop: Header=BB321_222 Depth=1
	v_cmp_ne_u16_e64 s[0:1], s24, v9
	v_bfrev_b32_e32 v61, 1
	s_and_saveexec_b64 s[14:15], s[0:1]
	s_cbranch_execz .LBB321_383
; %bb.380:                              ;   in Loop: Header=BB321_222 Depth=1
	v_and_b32_e32 v17, 0x7f, v9
	v_cmp_ne_u32_e64 s[0:1], s25, v17
	v_mov_b32_e32 v61, 0x7f800001
	s_and_saveexec_b64 s[16:17], s[0:1]
	s_cbranch_execz .LBB321_382
; %bb.381:                              ;   in Loop: Header=BB321_222 Depth=1
	v_and_b32_e32 v11, 7, v9
	v_lshrrev_b32_e32 v12, 3, v17
	v_cmp_gt_u32_e64 s[0:1], 8, v17
	v_ffbh_u32_e32 v17, v11
	v_min_u32_e32 v17, 32, v17
	v_subrev_u32_e32 v21, 28, v17
	v_lshlrev_b64 v[21:22], v21, v[9:10]
	v_sub_u32_e32 v9, 29, v17
	v_and_b32_e32 v17, 7, v21
	v_cndmask_b32_e64 v9, v12, v9, s[0:1]
	v_cndmask_b32_e64 v11, v11, v17, s[0:1]
	v_lshlrev_b32_e32 v12, 16, v15
	v_bfrev_b32_e32 v17, 60
	v_lshlrev_b32_e32 v11, 20, v11
	v_and_b32_e32 v12, 0x80000000, v12
	v_lshl_add_u32 v9, v9, 23, v17
	v_or3_b32 v61, v12, v9, v11
.LBB321_382:                            ;   in Loop: Header=BB321_222 Depth=1
	s_or_b64 exec, exec, s[16:17]
.LBB321_383:                            ;   in Loop: Header=BB321_222 Depth=1
	s_or_b64 exec, exec, s[14:15]
.LBB321_384:                            ;   in Loop: Header=BB321_222 Depth=1
	s_or_b64 exec, exec, s[12:13]
	v_lshrrev_b32_e32 v9, 16, v15
	v_cmp_ne_u16_sdwa s[0:1], v9, v10 src0_sel:BYTE_0 src1_sel:DWORD
	v_mov_b32_e32 v63, 0
	v_mov_b32_e32 v62, 0
	s_and_saveexec_b64 s[12:13], s[0:1]
	s_cbranch_execz .LBB321_390
; %bb.385:                              ;   in Loop: Header=BB321_222 Depth=1
	v_cmp_ne_u16_sdwa s[0:1], v9, s24 src0_sel:BYTE_0 src1_sel:DWORD
	v_bfrev_b32_e32 v62, 1
	s_and_saveexec_b64 s[14:15], s[0:1]
	s_cbranch_execz .LBB321_389
; %bb.386:                              ;   in Loop: Header=BB321_222 Depth=1
	v_bfe_u32 v17, v15, 16, 7
	v_cmp_ne_u32_e64 s[0:1], s25, v17
	v_mov_b32_e32 v62, 0x7f800001
	s_and_saveexec_b64 s[16:17], s[0:1]
	s_cbranch_execz .LBB321_388
; %bb.387:                              ;   in Loop: Header=BB321_222 Depth=1
	v_and_b32_e32 v11, 7, v9
	v_lshrrev_b32_e32 v12, 3, v17
	v_cmp_gt_u32_e64 s[0:1], 8, v17
	v_ffbh_u32_e32 v17, v11
	v_min_u32_e32 v17, 32, v17
	v_subrev_u32_e32 v21, 28, v17
	v_lshlrev_b64 v[21:22], v21, v[9:10]
	v_sub_u32_e32 v17, 29, v17
	v_and_b32_e32 v21, 7, v21
	v_cndmask_b32_e64 v12, v12, v17, s[0:1]
	v_cndmask_b32_e64 v11, v11, v21, s[0:1]
	v_lshlrev_b32_e32 v9, 24, v9
	v_bfrev_b32_e32 v17, 60
	v_lshlrev_b32_e32 v11, 20, v11
	v_and_b32_e32 v9, 0x80000000, v9
	v_lshl_add_u32 v12, v12, 23, v17
	v_or3_b32 v62, v9, v12, v11
.LBB321_388:                            ;   in Loop: Header=BB321_222 Depth=1
	s_or_b64 exec, exec, s[16:17]
.LBB321_389:                            ;   in Loop: Header=BB321_222 Depth=1
	s_or_b64 exec, exec, s[14:15]
.LBB321_390:                            ;   in Loop: Header=BB321_222 Depth=1
	s_or_b64 exec, exec, s[12:13]
	v_cmp_lt_u32_e64 s[0:1], s5, v15
	s_and_saveexec_b64 s[12:13], s[0:1]
	s_cbranch_execz .LBB321_396
; %bb.391:                              ;   in Loop: Header=BB321_222 Depth=1
	v_lshrrev_b32_e32 v9, 24, v15
	v_cmp_ne_u32_e64 s[0:1], s24, v9
	v_bfrev_b32_e32 v63, 1
	s_and_saveexec_b64 s[14:15], s[0:1]
	s_cbranch_execz .LBB321_395
; %bb.392:                              ;   in Loop: Header=BB321_222 Depth=1
	v_bfe_u32 v17, v15, 24, 7
	v_cmp_ne_u32_e64 s[0:1], s25, v17
	v_mov_b32_e32 v63, 0x7f800001
	s_and_saveexec_b64 s[16:17], s[0:1]
	s_cbranch_execz .LBB321_394
; %bb.393:                              ;   in Loop: Header=BB321_222 Depth=1
	v_and_b32_e32 v11, 7, v9
	v_lshrrev_b32_e32 v12, 3, v17
	v_cmp_gt_u32_e64 s[0:1], 8, v17
	v_ffbh_u32_e32 v17, v11
	v_min_u32_e32 v17, 32, v17
	v_subrev_u32_e32 v21, 28, v17
	v_lshlrev_b64 v[21:22], v21, v[9:10]
	v_sub_u32_e32 v17, 29, v17
	v_and_b32_e32 v21, 7, v21
	v_cndmask_b32_e64 v12, v12, v17, s[0:1]
	v_cndmask_b32_e64 v11, v11, v21, s[0:1]
	v_lshlrev_b32_e32 v9, 24, v9
	v_bfrev_b32_e32 v17, 60
	v_lshlrev_b32_e32 v11, 20, v11
	v_and_b32_e32 v9, 0x80000000, v9
	v_lshl_add_u32 v12, v12, 23, v17
	v_or3_b32 v63, v9, v12, v11
.LBB321_394:                            ;   in Loop: Header=BB321_222 Depth=1
	s_or_b64 exec, exec, s[16:17]
.LBB321_395:                            ;   in Loop: Header=BB321_222 Depth=1
	s_or_b64 exec, exec, s[14:15]
.LBB321_396:                            ;   in Loop: Header=BB321_222 Depth=1
	s_or_b64 exec, exec, s[12:13]
	v_mov_b32_e32 v9, v16
	v_cmp_ne_u16_sdwa s[0:1], v16, v10 src0_sel:BYTE_0 src1_sel:DWORD
	v_mov_b32_e32 v21, 0
	v_mov_b32_e32 v24, 0
	s_and_saveexec_b64 s[12:13], s[0:1]
	s_cbranch_execz .LBB321_402
; %bb.397:                              ;   in Loop: Header=BB321_222 Depth=1
	v_cmp_ne_u16_sdwa s[0:1], v16, s24 src0_sel:BYTE_0 src1_sel:DWORD
	v_bfrev_b32_e32 v24, 1
	s_and_saveexec_b64 s[14:15], s[0:1]
	s_cbranch_execz .LBB321_401
; %bb.398:                              ;   in Loop: Header=BB321_222 Depth=1
	v_and_b32_e32 v17, 0x7f, v16
	v_cmp_ne_u32_e64 s[0:1], s25, v17
	v_mov_b32_e32 v24, 0x7f800001
	s_and_saveexec_b64 s[16:17], s[0:1]
	s_cbranch_execz .LBB321_400
; %bb.399:                              ;   in Loop: Header=BB321_222 Depth=1
	v_and_b32_e32 v11, 7, v16
	v_ffbh_u32_e32 v11, v11
	v_min_u32_e32 v11, 32, v11
	v_lshrrev_b32_e32 v12, 3, v17
	v_cmp_gt_u32_e64 s[0:1], 8, v17
	v_subrev_u32_e32 v17, 28, v11
	v_sub_u32_e32 v11, 29, v11
	v_cndmask_b32_e64 v11, v12, v11, s[0:1]
	v_cndmask_b32_e64 v12, 0, v17, s[0:1]
	v_lshlrev_b64 v[22:23], v12, v[9:10]
	v_lshlrev_b32_e32 v17, 24, v9
	v_lshlrev_b32_e32 v12, 20, v22
	v_bfrev_b32_e32 v22, 60
	v_and_b32_e32 v12, 0x700000, v12
	v_and_b32_e32 v17, 0x80000000, v17
	v_lshl_add_u32 v11, v11, 23, v22
	v_or3_b32 v24, v17, v11, v12
.LBB321_400:                            ;   in Loop: Header=BB321_222 Depth=1
	s_or_b64 exec, exec, s[16:17]
.LBB321_401:                            ;   in Loop: Header=BB321_222 Depth=1
	s_or_b64 exec, exec, s[14:15]
.LBB321_402:                            ;   in Loop: Header=BB321_222 Depth=1
	s_or_b64 exec, exec, s[12:13]
	v_lshrrev_b16_e32 v17, 8, v9
	v_cmp_ne_u16_e64 s[0:1], 0, v17
	s_and_saveexec_b64 s[12:13], s[0:1]
	s_cbranch_execz .LBB321_408
; %bb.403:                              ;   in Loop: Header=BB321_222 Depth=1
	v_cmp_ne_u16_e64 s[0:1], s24, v17
	v_bfrev_b32_e32 v21, 1
	s_and_saveexec_b64 s[14:15], s[0:1]
	s_cbranch_execz .LBB321_407
; %bb.404:                              ;   in Loop: Header=BB321_222 Depth=1
	v_and_b32_e32 v22, 0x7f, v17
	v_cmp_ne_u32_e64 s[0:1], s25, v22
	v_mov_b32_e32 v21, 0x7f800001
	s_and_saveexec_b64 s[16:17], s[0:1]
	s_cbranch_execz .LBB321_406
; %bb.405:                              ;   in Loop: Header=BB321_222 Depth=1
	v_and_b32_e32 v11, 7, v17
	v_ffbh_u32_e32 v21, v11
	v_min_u32_e32 v23, 32, v21
	v_subrev_u32_e32 v21, 28, v23
	v_lshrrev_b32_e32 v12, 3, v22
	v_cmp_gt_u32_e64 s[0:1], 8, v22
	v_lshlrev_b64 v[21:22], v21, v[17:18]
	v_sub_u32_e32 v17, 29, v23
	v_and_b32_e32 v21, 7, v21
	v_cndmask_b32_e64 v12, v12, v17, s[0:1]
	v_cndmask_b32_e64 v11, v11, v21, s[0:1]
	v_lshlrev_b32_e32 v9, 16, v9
	v_bfrev_b32_e32 v17, 60
	v_lshlrev_b32_e32 v11, 20, v11
	v_and_b32_e32 v9, 0x80000000, v9
	v_lshl_add_u32 v12, v12, 23, v17
	v_or3_b32 v21, v9, v12, v11
.LBB321_406:                            ;   in Loop: Header=BB321_222 Depth=1
	s_or_b64 exec, exec, s[16:17]
.LBB321_407:                            ;   in Loop: Header=BB321_222 Depth=1
	s_or_b64 exec, exec, s[14:15]
.LBB321_408:                            ;   in Loop: Header=BB321_222 Depth=1
	s_or_b64 exec, exec, s[12:13]
	v_lshrrev_b32_e32 v9, 16, v16
	v_cmp_ne_u16_sdwa s[0:1], v9, v10 src0_sel:BYTE_0 src1_sel:DWORD
	v_mov_b32_e32 v22, 0
	v_mov_b32_e32 v17, 0
	s_and_saveexec_b64 s[12:13], s[0:1]
	s_cbranch_execz .LBB321_414
; %bb.409:                              ;   in Loop: Header=BB321_222 Depth=1
	v_cmp_ne_u16_sdwa s[0:1], v9, s24 src0_sel:BYTE_0 src1_sel:DWORD
	v_bfrev_b32_e32 v17, 1
	s_and_saveexec_b64 s[14:15], s[0:1]
	s_cbranch_execz .LBB321_413
; %bb.410:                              ;   in Loop: Header=BB321_222 Depth=1
	v_bfe_u32 v23, v16, 16, 7
	v_cmp_ne_u32_e64 s[0:1], s25, v23
	v_mov_b32_e32 v17, 0x7f800001
	s_and_saveexec_b64 s[16:17], s[0:1]
	s_cbranch_execz .LBB321_412
; %bb.411:                              ;   in Loop: Header=BB321_222 Depth=1
	v_and_b32_e32 v17, 7, v9
	v_ffbh_u32_e32 v11, v17
	v_lshrrev_b32_e32 v31, 3, v23
	v_cmp_gt_u32_e64 s[0:1], 8, v23
	v_min_u32_e32 v23, 32, v11
	v_subrev_u32_e32 v11, 28, v23
	v_lshlrev_b64 v[11:12], v11, v[9:10]
	v_sub_u32_e32 v12, 29, v23
	v_and_b32_e32 v11, 7, v11
	v_cndmask_b32_e64 v12, v31, v12, s[0:1]
	v_cndmask_b32_e64 v11, v17, v11, s[0:1]
	v_lshlrev_b32_e32 v9, 24, v9
	v_bfrev_b32_e32 v17, 60
	v_lshlrev_b32_e32 v11, 20, v11
	v_and_b32_e32 v9, 0x80000000, v9
	v_lshl_add_u32 v12, v12, 23, v17
	v_or3_b32 v17, v9, v12, v11
.LBB321_412:                            ;   in Loop: Header=BB321_222 Depth=1
	s_or_b64 exec, exec, s[16:17]
.LBB321_413:                            ;   in Loop: Header=BB321_222 Depth=1
	s_or_b64 exec, exec, s[14:15]
.LBB321_414:                            ;   in Loop: Header=BB321_222 Depth=1
	s_or_b64 exec, exec, s[12:13]
	v_cmp_lt_u64_e64 s[0:1], s[4:5], v[15:16]
	s_and_saveexec_b64 s[12:13], s[0:1]
	s_cbranch_execz .LBB321_420
; %bb.415:                              ;   in Loop: Header=BB321_222 Depth=1
	v_lshrrev_b32_e32 v9, 24, v16
	v_cmp_ne_u32_e64 s[0:1], s24, v9
	v_bfrev_b32_e32 v22, 1
	s_and_saveexec_b64 s[14:15], s[0:1]
	s_cbranch_execz .LBB321_419
; %bb.416:                              ;   in Loop: Header=BB321_222 Depth=1
	v_bfe_u32 v15, v16, 24, 7
	v_cmp_ne_u32_e64 s[0:1], s25, v15
	v_mov_b32_e32 v22, 0x7f800001
	s_and_saveexec_b64 s[16:17], s[0:1]
	s_cbranch_execz .LBB321_418
; %bb.417:                              ;   in Loop: Header=BB321_222 Depth=1
	v_and_b32_e32 v16, 7, v9
	v_ffbh_u32_e32 v11, v16
	v_lshrrev_b32_e32 v22, 3, v15
	v_cmp_gt_u32_e64 s[0:1], 8, v15
	v_min_u32_e32 v15, 32, v11
	v_subrev_u32_e32 v11, 28, v15
	v_lshlrev_b64 v[11:12], v11, v[9:10]
	v_sub_u32_e32 v12, 29, v15
	v_and_b32_e32 v11, 7, v11
	v_cndmask_b32_e64 v12, v22, v12, s[0:1]
	v_cndmask_b32_e64 v11, v16, v11, s[0:1]
	v_lshlrev_b32_e32 v9, 24, v9
	v_bfrev_b32_e32 v15, 60
	v_lshlrev_b32_e32 v11, 20, v11
	v_and_b32_e32 v9, 0x80000000, v9
	v_lshl_add_u32 v12, v12, 23, v15
	v_or3_b32 v22, v9, v12, v11
.LBB321_418:                            ;   in Loop: Header=BB321_222 Depth=1
	s_or_b64 exec, exec, s[16:17]
.LBB321_419:                            ;   in Loop: Header=BB321_222 Depth=1
	s_or_b64 exec, exec, s[14:15]
.LBB321_420:                            ;   in Loop: Header=BB321_222 Depth=1
	s_or_b64 exec, exec, s[12:13]
	v_mul_f32_e32 v9, s18, v21
	v_bfe_u32 v11, v9, 16, 1
	v_add3_u32 v11, v11, v9, s26
	v_or_b32_e32 v12, 0x400000, v9
	v_cmp_u_f32_e64 s[0:1], v9, v9
	v_cndmask_b32_e64 v9, v11, v12, s[0:1]
	v_mul_f32_e32 v11, s18, v24
	v_bfe_u32 v12, v11, 16, 1
	v_add3_u32 v12, v12, v11, s26
	v_or_b32_e32 v15, 0x400000, v11
	v_cmp_u_f32_e64 s[0:1], v11, v11
	v_cndmask_b32_e64 v11, v12, v15, s[0:1]
	v_lshrrev_b32_e32 v15, 16, v11
	v_mul_f32_e32 v11, s18, v63
	v_bfe_u32 v12, v11, 16, 1
	v_add3_u32 v12, v12, v11, s26
	v_or_b32_e32 v16, 0x400000, v11
	v_cmp_u_f32_e64 s[0:1], v11, v11
	v_cndmask_b32_e64 v11, v12, v16, s[0:1]
	v_lshrrev_b32_e32 v16, 16, v11
	;; [unrolled: 7-line block ×7, first 2 shown]
	v_lshrrev_b32_e32 v60, 16, v11
	s_and_saveexec_b64 s[0:1], vcc
	s_cbranch_execz .LBB321_221
; %bb.421:                              ;   in Loop: Header=BB321_222 Depth=1
	v_cmp_gt_i32_e32 vcc, s30, v40
	v_cndmask_b32_e32 v63, 0, v63, vcc
	v_cmp_gt_i32_e32 vcc, s30, v46
	v_cndmask_b32_e32 v61, 0, v61, vcc
	;; [unrolled: 2-line block ×8, first 2 shown]
	s_branch .LBB321_221
.LBB321_422:
	s_or_b64 exec, exec, s[6:7]
	buffer_load_dword v11, off, s[48:51], 0 offset:8 ; 4-byte Folded Reload
	buffer_load_dword v12, off, s[48:51], 0 offset:12 ; 4-byte Folded Reload
	;; [unrolled: 1-line block ×4, first 2 shown]
.LBB321_423:
	s_or_b64 exec, exec, s[2:3]
	s_waitcnt vmcnt(2)
	ds_bpermute_b32 v1, v12, v28
	ds_bpermute_b32 v2, v12, v26
	s_waitcnt vmcnt(0) lgkmcnt(0)
	s_barrier
	v_add_f32_e32 v1, v28, v1
	v_add_f32_e32 v6, v26, v2
	ds_bpermute_b32 v5, v13, v1
	ds_bpermute_b32 v7, v13, v6
	;; [unrolled: 1-line block ×4, first 2 shown]
	s_waitcnt lgkmcnt(3)
	v_add_f32_e32 v2, v1, v5
	s_waitcnt lgkmcnt(2)
	v_add_f32_e32 v1, v6, v7
	buffer_load_dword v6, off, s[48:51], 0 offset:72 ; 4-byte Folded Reload
	s_waitcnt lgkmcnt(1)
	v_add_f32_e32 v0, v27, v0
	s_waitcnt lgkmcnt(0)
	v_add_f32_e32 v8, v25, v3
	ds_bpermute_b32 v4, v13, v0
	ds_bpermute_b32 v9, v13, v8
	s_waitcnt lgkmcnt(1)
	v_add_f32_e32 v3, v0, v4
	s_waitcnt lgkmcnt(0)
	v_add_f32_e32 v0, v8, v9
	s_waitcnt vmcnt(0)
	v_and_b32_e32 v5, 0x3c3, v6
	v_cmp_eq_u32_e32 vcc, 64, v5
	s_and_saveexec_b64 s[0:1], vcc
	s_cbranch_execz .LBB321_425
; %bb.424:
	v_add_u32_e32 v4, 0x90, v11
	ds_write2_b32 v4, v3, v2 offset1:16
	ds_write2_b32 v4, v1, v0 offset0:32 offset1:48
.LBB321_425:
	s_or_b64 exec, exec, s[0:1]
	v_cmp_gt_u32_e32 vcc, 64, v6
	v_lshrrev_b32_e32 v4, 2, v6
	s_waitcnt lgkmcnt(0)
	s_barrier
	s_and_saveexec_b64 s[0:1], vcc
	s_cbranch_execz .LBB321_432
; %bb.426:
	v_mov_b32_e32 v6, 0x90
	v_cmp_eq_u32_e32 vcc, 0, v15
	v_lshl_add_u32 v6, v4, 2, v6
	s_and_saveexec_b64 s[2:3], vcc
	s_cbranch_execnz .LBB321_435
; %bb.427:
	s_or_b64 exec, exec, s[2:3]
	s_and_saveexec_b64 s[2:3], vcc
	s_cbranch_execnz .LBB321_436
.LBB321_428:
	s_or_b64 exec, exec, s[2:3]
	s_and_saveexec_b64 s[2:3], vcc
	s_cbranch_execnz .LBB321_437
.LBB321_429:
	s_or_b64 exec, exec, s[2:3]
	s_and_saveexec_b64 s[2:3], vcc
	s_cbranch_execz .LBB321_431
.LBB321_430:
	ds_read_b32 v6, v6 offset:192
	s_waitcnt lgkmcnt(0)
	v_add_f32_e32 v0, v0, v6
.LBB321_431:
	s_or_b64 exec, exec, s[2:3]
.LBB321_432:
	s_or_b64 exec, exec, s[0:1]
	v_cmp_eq_u32_e32 vcc, 0, v5
	s_barrier
	s_and_saveexec_b64 s[0:1], vcc
	s_cbranch_execz .LBB321_434
; %bb.433:
	s_mul_i32 s0, s10, s11
	s_mul_i32 s0, s0, s9
	s_lshl_b32 s0, s0, 6
	s_ashr_i32 s1, s0, 31
	s_lshl_b64 s[0:1], s[0:1], 1
	s_add_u32 s2, s22, s0
	s_mul_i32 s0, s11, s20
	s_addc_u32 s3, s23, s1
	s_ashr_i32 s1, s0, 31
	s_lshl_b64 s[0:1], s[0:1], 1
	s_add_u32 s2, s2, s0
	s_addc_u32 s3, s3, s1
	s_lshl_b32 s0, s8, 6
	s_ashr_i32 s1, s0, 31
	s_lshl_b64 s[0:1], s[0:1], 1
	s_add_u32 s0, s2, s0
	v_bfe_u32 v5, v3, 16, 1
	s_movk_i32 s2, 0x7fff
	v_add3_u32 v5, v5, v3, s2
	v_or_b32_e32 v6, 0x400000, v3
	v_cmp_u_f32_e32 vcc, v3, v3
	s_addc_u32 s1, s3, s1
	v_lshlrev_b32_e32 v4, 1, v4
	v_cndmask_b32_e32 v3, v5, v6, vcc
	global_store_short_d16_hi v4, v3, s[0:1]
	v_bfe_u32 v3, v2, 16, 1
	v_add3_u32 v3, v3, v2, s2
	v_or_b32_e32 v5, 0x400000, v2
	v_cmp_u_f32_e32 vcc, v2, v2
	v_cndmask_b32_e32 v2, v3, v5, vcc
	global_store_short_d16_hi v4, v2, s[0:1] offset:32
	v_bfe_u32 v2, v1, 16, 1
	v_add3_u32 v2, v2, v1, s2
	v_or_b32_e32 v3, 0x400000, v1
	v_cmp_u_f32_e32 vcc, v1, v1
	v_cndmask_b32_e32 v1, v2, v3, vcc
	global_store_short_d16_hi v4, v1, s[0:1] offset:64
	;; [unrolled: 6-line block ×3, first 2 shown]
.LBB321_434:
	s_endpgm
.LBB321_435:
	ds_read_b32 v7, v6
	s_waitcnt lgkmcnt(0)
	v_add_f32_e32 v3, v3, v7
	s_or_b64 exec, exec, s[2:3]
	s_and_saveexec_b64 s[2:3], vcc
	s_cbranch_execz .LBB321_428
.LBB321_436:
	ds_read_b32 v7, v6 offset:64
	s_waitcnt lgkmcnt(0)
	v_add_f32_e32 v2, v2, v7
	s_or_b64 exec, exec, s[2:3]
	s_and_saveexec_b64 s[2:3], vcc
	s_cbranch_execz .LBB321_429
.LBB321_437:
	ds_read_b32 v7, v6 offset:128
	s_waitcnt lgkmcnt(0)
	v_add_f32_e32 v1, v1, v7
	s_or_b64 exec, exec, s[2:3]
	s_and_saveexec_b64 s[2:3], vcc
	s_cbranch_execnz .LBB321_430
	s_branch .LBB321_431
	.section	.rodata,"a",@progbits
	.p2align	6, 0x0
	.amdhsa_kernel _ZN4vllm25paged_attention_v1_kernelI14__hip_bfloat16hLi64ELi32ELi128ELNS_18Fp8KVCacheDataTypeE1ELb0EEEvPT_PKS3_PKT0_S9_ifPKiSB_iPKfiiiSD_SD_iiiii
		.amdhsa_group_segment_fixed_size 144
		.amdhsa_private_segment_fixed_size 100
		.amdhsa_kernarg_size 384
		.amdhsa_user_sgpr_count 6
		.amdhsa_user_sgpr_private_segment_buffer 1
		.amdhsa_user_sgpr_dispatch_ptr 0
		.amdhsa_user_sgpr_queue_ptr 0
		.amdhsa_user_sgpr_kernarg_segment_ptr 1
		.amdhsa_user_sgpr_dispatch_id 0
		.amdhsa_user_sgpr_flat_scratch_init 0
		.amdhsa_user_sgpr_private_segment_size 0
		.amdhsa_uses_dynamic_stack 0
		.amdhsa_system_sgpr_private_segment_wavefront_offset 1
		.amdhsa_system_sgpr_workgroup_id_x 1
		.amdhsa_system_sgpr_workgroup_id_y 1
		.amdhsa_system_sgpr_workgroup_id_z 1
		.amdhsa_system_sgpr_workgroup_info 0
		.amdhsa_system_vgpr_workitem_id 0
		.amdhsa_next_free_vgpr 64
		.amdhsa_next_free_sgpr 52
		.amdhsa_reserve_vcc 1
		.amdhsa_reserve_flat_scratch 0
		.amdhsa_float_round_mode_32 0
		.amdhsa_float_round_mode_16_64 0
		.amdhsa_float_denorm_mode_32 3
		.amdhsa_float_denorm_mode_16_64 3
		.amdhsa_dx10_clamp 1
		.amdhsa_ieee_mode 1
		.amdhsa_fp16_overflow 0
		.amdhsa_exception_fp_ieee_invalid_op 0
		.amdhsa_exception_fp_denorm_src 0
		.amdhsa_exception_fp_ieee_div_zero 0
		.amdhsa_exception_fp_ieee_overflow 0
		.amdhsa_exception_fp_ieee_underflow 0
		.amdhsa_exception_fp_ieee_inexact 0
		.amdhsa_exception_int_div_zero 0
	.end_amdhsa_kernel
	.section	.text._ZN4vllm25paged_attention_v1_kernelI14__hip_bfloat16hLi64ELi32ELi128ELNS_18Fp8KVCacheDataTypeE1ELb0EEEvPT_PKS3_PKT0_S9_ifPKiSB_iPKfiiiSD_SD_iiiii,"axG",@progbits,_ZN4vllm25paged_attention_v1_kernelI14__hip_bfloat16hLi64ELi32ELi128ELNS_18Fp8KVCacheDataTypeE1ELb0EEEvPT_PKS3_PKT0_S9_ifPKiSB_iPKfiiiSD_SD_iiiii,comdat
.Lfunc_end321:
	.size	_ZN4vllm25paged_attention_v1_kernelI14__hip_bfloat16hLi64ELi32ELi128ELNS_18Fp8KVCacheDataTypeE1ELb0EEEvPT_PKS3_PKT0_S9_ifPKiSB_iPKfiiiSD_SD_iiiii, .Lfunc_end321-_ZN4vllm25paged_attention_v1_kernelI14__hip_bfloat16hLi64ELi32ELi128ELNS_18Fp8KVCacheDataTypeE1ELb0EEEvPT_PKS3_PKT0_S9_ifPKiSB_iPKfiiiSD_SD_iiiii
                                        ; -- End function
	.set _ZN4vllm25paged_attention_v1_kernelI14__hip_bfloat16hLi64ELi32ELi128ELNS_18Fp8KVCacheDataTypeE1ELb0EEEvPT_PKS3_PKT0_S9_ifPKiSB_iPKfiiiSD_SD_iiiii.num_vgpr, 64
	.set _ZN4vllm25paged_attention_v1_kernelI14__hip_bfloat16hLi64ELi32ELi128ELNS_18Fp8KVCacheDataTypeE1ELb0EEEvPT_PKS3_PKT0_S9_ifPKiSB_iPKfiiiSD_SD_iiiii.num_agpr, 0
	.set _ZN4vllm25paged_attention_v1_kernelI14__hip_bfloat16hLi64ELi32ELi128ELNS_18Fp8KVCacheDataTypeE1ELb0EEEvPT_PKS3_PKT0_S9_ifPKiSB_iPKfiiiSD_SD_iiiii.numbered_sgpr, 52
	.set _ZN4vllm25paged_attention_v1_kernelI14__hip_bfloat16hLi64ELi32ELi128ELNS_18Fp8KVCacheDataTypeE1ELb0EEEvPT_PKS3_PKT0_S9_ifPKiSB_iPKfiiiSD_SD_iiiii.num_named_barrier, 0
	.set _ZN4vllm25paged_attention_v1_kernelI14__hip_bfloat16hLi64ELi32ELi128ELNS_18Fp8KVCacheDataTypeE1ELb0EEEvPT_PKS3_PKT0_S9_ifPKiSB_iPKfiiiSD_SD_iiiii.private_seg_size, 100
	.set _ZN4vllm25paged_attention_v1_kernelI14__hip_bfloat16hLi64ELi32ELi128ELNS_18Fp8KVCacheDataTypeE1ELb0EEEvPT_PKS3_PKT0_S9_ifPKiSB_iPKfiiiSD_SD_iiiii.uses_vcc, 1
	.set _ZN4vllm25paged_attention_v1_kernelI14__hip_bfloat16hLi64ELi32ELi128ELNS_18Fp8KVCacheDataTypeE1ELb0EEEvPT_PKS3_PKT0_S9_ifPKiSB_iPKfiiiSD_SD_iiiii.uses_flat_scratch, 0
	.set _ZN4vllm25paged_attention_v1_kernelI14__hip_bfloat16hLi64ELi32ELi128ELNS_18Fp8KVCacheDataTypeE1ELb0EEEvPT_PKS3_PKT0_S9_ifPKiSB_iPKfiiiSD_SD_iiiii.has_dyn_sized_stack, 0
	.set _ZN4vllm25paged_attention_v1_kernelI14__hip_bfloat16hLi64ELi32ELi128ELNS_18Fp8KVCacheDataTypeE1ELb0EEEvPT_PKS3_PKT0_S9_ifPKiSB_iPKfiiiSD_SD_iiiii.has_recursion, 0
	.set _ZN4vllm25paged_attention_v1_kernelI14__hip_bfloat16hLi64ELi32ELi128ELNS_18Fp8KVCacheDataTypeE1ELb0EEEvPT_PKS3_PKT0_S9_ifPKiSB_iPKfiiiSD_SD_iiiii.has_indirect_call, 0
	.section	.AMDGPU.csdata,"",@progbits
; Kernel info:
; codeLenInByte = 21140
; TotalNumSgprs: 56
; NumVgprs: 64
; ScratchSize: 100
; MemoryBound: 0
; FloatMode: 240
; IeeeMode: 1
; LDSByteSize: 144 bytes/workgroup (compile time only)
; SGPRBlocks: 6
; VGPRBlocks: 15
; NumSGPRsForWavesPerEU: 56
; NumVGPRsForWavesPerEU: 64
; Occupancy: 4
; WaveLimiterHint : 1
; COMPUTE_PGM_RSRC2:SCRATCH_EN: 1
; COMPUTE_PGM_RSRC2:USER_SGPR: 6
; COMPUTE_PGM_RSRC2:TRAP_HANDLER: 0
; COMPUTE_PGM_RSRC2:TGID_X_EN: 1
; COMPUTE_PGM_RSRC2:TGID_Y_EN: 1
; COMPUTE_PGM_RSRC2:TGID_Z_EN: 1
; COMPUTE_PGM_RSRC2:TIDIG_COMP_CNT: 0
	.section	.text._ZN4vllm25paged_attention_v1_kernelI14__hip_bfloat16hLi80ELi32ELi128ELNS_18Fp8KVCacheDataTypeE1ELb0EEEvPT_PKS3_PKT0_S9_ifPKiSB_iPKfiiiSD_SD_iiiii,"axG",@progbits,_ZN4vllm25paged_attention_v1_kernelI14__hip_bfloat16hLi80ELi32ELi128ELNS_18Fp8KVCacheDataTypeE1ELb0EEEvPT_PKS3_PKT0_S9_ifPKiSB_iPKfiiiSD_SD_iiiii,comdat
	.protected	_ZN4vllm25paged_attention_v1_kernelI14__hip_bfloat16hLi80ELi32ELi128ELNS_18Fp8KVCacheDataTypeE1ELb0EEEvPT_PKS3_PKT0_S9_ifPKiSB_iPKfiiiSD_SD_iiiii ; -- Begin function _ZN4vllm25paged_attention_v1_kernelI14__hip_bfloat16hLi80ELi32ELi128ELNS_18Fp8KVCacheDataTypeE1ELb0EEEvPT_PKS3_PKT0_S9_ifPKiSB_iPKfiiiSD_SD_iiiii
	.globl	_ZN4vllm25paged_attention_v1_kernelI14__hip_bfloat16hLi80ELi32ELi128ELNS_18Fp8KVCacheDataTypeE1ELb0EEEvPT_PKS3_PKT0_S9_ifPKiSB_iPKfiiiSD_SD_iiiii
	.p2align	8
	.type	_ZN4vllm25paged_attention_v1_kernelI14__hip_bfloat16hLi80ELi32ELi128ELNS_18Fp8KVCacheDataTypeE1ELb0EEEvPT_PKS3_PKT0_S9_ifPKiSB_iPKfiiiSD_SD_iiiii,@function
_ZN4vllm25paged_attention_v1_kernelI14__hip_bfloat16hLi80ELi32ELi128ELNS_18Fp8KVCacheDataTypeE1ELb0EEEvPT_PKS3_PKT0_S9_ifPKiSB_iPKfiiiSD_SD_iiiii: ; @_ZN4vllm25paged_attention_v1_kernelI14__hip_bfloat16hLi80ELi32ELi128ELNS_18Fp8KVCacheDataTypeE1ELb0EEEvPT_PKS3_PKT0_S9_ifPKiSB_iPKfiiiSD_SD_iiiii
; %bb.0:
	s_mov_b64 s[50:51], s[2:3]
	s_mov_b64 s[48:49], s[0:1]
	s_add_u32 s48, s48, s9
	s_load_dword s9, s[4:5], 0x80
	s_load_dwordx2 s[0:1], s[4:5], 0x30
	s_load_dwordx2 s[30:31], s[4:5], 0x20
	s_addc_u32 s49, s49, 0
	s_mov_b32 s10, s7
	s_ashr_i32 s11, s7, 31
	s_lshl_b64 s[2:3], s[10:11], 2
	s_waitcnt lgkmcnt(0)
	s_add_u32 s0, s0, s2
	s_addc_u32 s1, s1, s3
	s_abs_i32 s2, s30
	v_cvt_f32_u32_e32 v1, s2
	s_sub_i32 s11, 0, s2
	s_abs_i32 s7, s9
	s_xor_b32 s3, s9, s30
	v_rcp_iflag_f32_e32 v1, v1
	s_ashr_i32 s3, s3, 31
	s_mov_b32 s33, 0
	v_mul_f32_e32 v1, 0x4f7ffffe, v1
	v_cvt_u32_f32_e32 v1, v1
	v_readfirstlane_b32 s12, v1
	s_mul_i32 s11, s11, s12
	s_mul_hi_u32 s11, s12, s11
	s_add_i32 s12, s12, s11
	s_mul_hi_u32 s11, s7, s12
	s_mul_i32 s12, s11, s2
	s_sub_i32 s7, s7, s12
	s_add_i32 s12, s11, 1
	s_sub_i32 s13, s7, s2
	s_cmp_ge_u32 s7, s2
	s_cselect_b32 s11, s12, s11
	s_cselect_b32 s7, s13, s7
	s_add_i32 s12, s11, 1
	s_cmp_ge_u32 s7, s2
	s_cselect_b32 s2, s12, s11
	s_xor_b32 s2, s2, s3
	s_sub_i32 s12, s2, s3
	s_abs_i32 s11, s12
	v_cvt_f32_u32_e32 v1, s11
	s_load_dwordx2 s[2:3], s[4:5], 0x40
	s_sub_i32 s7, 0, s11
	s_abs_i32 s16, s6
	v_rcp_iflag_f32_e32 v1, v1
	v_mul_f32_e32 v1, 0x4f7ffffe, v1
	v_cvt_u32_f32_e32 v1, v1
	v_readfirstlane_b32 s13, v1
	s_mul_i32 s7, s7, s13
	s_mul_hi_u32 s7, s13, s7
	s_add_i32 s13, s13, s7
	s_waitcnt lgkmcnt(0)
	s_cmp_eq_u64 s[2:3], 0
	s_mul_hi_u32 s17, s16, s13
	s_cbranch_scc1 .LBB322_2
; %bb.1:
	s_ashr_i32 s7, s6, 31
	s_lshl_b64 s[14:15], s[6:7], 2
	s_add_u32 s2, s2, s14
	s_addc_u32 s3, s3, s15
	s_load_dword s33, s[2:3], 0x0
.LBB322_2:
	s_load_dword s30, s[0:1], 0x0
	s_ashr_i32 s3, s12, 31
	s_load_dwordx4 s[12:15], s[4:5], 0x48
	s_ashr_i32 s2, s6, 31
	v_and_b32_e32 v11, 1, v0
	s_movk_i32 s7, 0x50
	s_mul_i32 s20, s6, 0x50
	v_cmp_gt_u32_e32 vcc, 20, v0
	v_lshlrev_b32_e32 v15, 3, v0
	s_and_saveexec_b64 s[0:1], vcc
	s_cbranch_execz .LBB322_4
; %bb.3:
	s_load_dwordx2 s[18:19], s[4:5], 0x8
	s_waitcnt lgkmcnt(0)
	s_mul_i32 s22, s12, s10
	s_ashr_i32 s23, s22, 31
	s_lshl_b64 s[22:23], s[22:23], 1
	v_lshlrev_b32_e32 v3, 2, v0
	s_add_u32 s6, s18, s22
	s_addc_u32 s12, s19, s23
	s_ashr_i32 s21, s20, 31
	s_lshl_b64 s[18:19], s[20:21], 1
	s_add_u32 s18, s6, s18
	s_addc_u32 s19, s12, s19
	global_load_dwordx2 v[1:2], v15, s[18:19]
	v_and_b32_e32 v3, 0xff8, v3
	v_mad_u32_u24 v3, v11, s7, v3
	s_waitcnt vmcnt(0)
	ds_write_b64 v3, v[1:2]
.LBB322_4:
	s_or_b64 exec, exec, s[0:1]
	s_waitcnt lgkmcnt(0)
	s_add_i32 s1, s30, 31
	s_ashr_i32 s6, s1, 31
	s_lshr_b32 s6, s6, 27
	s_add_i32 s1, s1, s6
	s_ashr_i32 s21, s1, 5
	s_xor_b32 s1, s2, s3
	s_mul_i32 s2, s17, s11
	s_sub_i32 s2, s16, s2
	s_add_i32 s3, s17, 1
	s_sub_i32 s6, s2, s11
	s_load_dwordx2 s[24:25], s[4:5], 0x28
	s_load_dword s0, s[4:5], 0x38
	s_cmp_ge_u32 s2, s11
	s_cselect_b32 s3, s3, s17
	s_cselect_b32 s2, s6, s2
	s_add_i32 s6, s3, 1
	s_cmp_ge_u32 s2, s11
	s_cselect_b32 s2, s6, s3
	v_lshrrev_b32_e32 v20, 6, v0
	s_xor_b32 s2, s2, s1
	s_waitcnt lgkmcnt(0)
	s_mul_i32 s26, s0, s10
	s_sub_i32 s12, s2, s1
	s_ashr_i32 s27, s26, 31
	v_cmp_gt_i32_e64 s[0:1], s21, v20
	v_cmp_le_i32_e32 vcc, s21, v20
	v_mbcnt_lo_u32_b32 v5, -1, 0
	buffer_store_dword v0, off, s[48:51], 0 offset:132 ; 4-byte Folded Spill
	s_waitcnt vmcnt(0)
	s_barrier
                                        ; implicit-def: $vgpr14
                                        ; implicit-def: $vgpr8
                                        ; implicit-def: $vgpr9
	s_and_saveexec_b64 s[2:3], vcc
	s_xor_b64 s[2:3], exec, s[2:3]
; %bb.5:
	v_mbcnt_hi_u32_b32 v14, -1, v5
	v_and_b32_e32 v8, 64, v14
	v_add_u32_e32 v9, 64, v8
                                        ; implicit-def: $vgpr11
                                        ; implicit-def: $vgpr5
; %bb.6:
	s_or_saveexec_b64 s[6:7], s[2:3]
	s_load_dwordx2 s[22:23], s[4:5], 0x0
	s_load_dwordx2 s[28:29], s[4:5], 0x18
	s_load_dword s11, s[4:5], 0x88
	s_load_dwordx4 s[16:19], s[4:5], 0x58
	buffer_load_dword v0, off, s[48:51], 0 offset:132 ; 4-byte Folded Reload
	v_mov_b32_e32 v55, 0xff7fffff
	s_mul_i32 s12, s12, s14
	s_waitcnt vmcnt(0)
	v_lshrrev_b32_e32 v16, 4, v0
	s_xor_b64 exec, exec, s[6:7]
	s_cbranch_execz .LBB322_252
; %bb.7:
	buffer_store_dword v15, off, s[48:51], 0 offset:140 ; 4-byte Folded Spill
	v_mul_u32_u24_e32 v10, 0x50, v11
	ds_read_b128 v[1:4], v10
	ds_read_b128 v[6:9], v10 offset:16
	s_load_dwordx2 s[2:3], s[4:5], 0x10
	s_ashr_i32 s4, s12, 31
	v_mbcnt_hi_u32_b32 v5, -1, v5
	s_waitcnt lgkmcnt(0)
	v_and_b32_e32 v0, 0xffff0000, v1
	buffer_store_dword v0, off, s[48:51], 0 ; 4-byte Folded Spill
	v_lshlrev_b32_e32 v0, 16, v2
	buffer_store_dword v0, off, s[48:51], 0 offset:4 ; 4-byte Folded Spill
	v_and_b32_e32 v0, 0xffff0000, v2
	buffer_store_dword v0, off, s[48:51], 0 offset:8 ; 4-byte Folded Spill
	v_lshlrev_b32_e32 v0, 16, v3
	buffer_store_dword v0, off, s[48:51], 0 offset:16 ; 4-byte Folded Spill
	v_and_b32_e32 v0, 0xffff0000, v3
	buffer_store_dword v0, off, s[48:51], 0 offset:20 ; 4-byte Folded Spill
	;; [unrolled: 4-line block ×4, first 2 shown]
	v_lshlrev_b32_e32 v0, 16, v7
	v_lshlrev_b32_e32 v47, 16, v1
	buffer_store_dword v0, off, s[48:51], 0 offset:40 ; 4-byte Folded Spill
	v_and_b32_e32 v0, 0xffff0000, v7
	ds_read_b128 v[1:4], v10 offset:32
	buffer_store_dword v0, off, s[48:51], 0 offset:44 ; 4-byte Folded Spill
	v_lshlrev_b32_e32 v0, 16, v8
	buffer_store_dword v0, off, s[48:51], 0 offset:48 ; 4-byte Folded Spill
	v_and_b32_e32 v0, 0xffff0000, v8
	buffer_store_dword v0, off, s[48:51], 0 offset:52 ; 4-byte Folded Spill
	v_lshlrev_b32_e32 v0, 16, v9
	buffer_store_dword v0, off, s[48:51], 0 offset:56 ; 4-byte Folded Spill
	v_and_b32_e32 v0, 0xffff0000, v9
	buffer_store_dword v0, off, s[48:51], 0 offset:60 ; 4-byte Folded Spill
	ds_read_b128 v[6:9], v10 offset:48
	s_waitcnt lgkmcnt(1)
	v_lshlrev_b32_e32 v0, 16, v1
	buffer_store_dword v0, off, s[48:51], 0 offset:64 ; 4-byte Folded Spill
	v_and_b32_e32 v0, 0xffff0000, v1
	buffer_store_dword v0, off, s[48:51], 0 offset:68 ; 4-byte Folded Spill
	v_lshlrev_b32_e32 v0, 16, v2
	buffer_store_dword v0, off, s[48:51], 0 offset:72 ; 4-byte Folded Spill
	v_and_b32_e32 v0, 0xffff0000, v2
	buffer_store_dword v0, off, s[48:51], 0 offset:76 ; 4-byte Folded Spill
	;; [unrolled: 4-line block ×4, first 2 shown]
	s_waitcnt lgkmcnt(0)
	v_lshlrev_b32_e32 v0, 16, v6
	buffer_store_dword v0, off, s[48:51], 0 offset:96 ; 4-byte Folded Spill
	v_and_b32_e32 v0, 0xffff0000, v6
	buffer_store_dword v0, off, s[48:51], 0 offset:100 ; 4-byte Folded Spill
	v_lshlrev_b32_e32 v0, 16, v7
	buffer_store_dword v0, off, s[48:51], 0 offset:104 ; 4-byte Folded Spill
	v_and_b32_e32 v0, 0xffff0000, v7
	ds_read_b128 v[1:4], v10 offset:64
	buffer_store_dword v0, off, s[48:51], 0 offset:108 ; 4-byte Folded Spill
	v_lshlrev_b32_e32 v0, 16, v8
	buffer_store_dword v0, off, s[48:51], 0 offset:112 ; 4-byte Folded Spill
	v_and_b32_e32 v0, 0xffff0000, v8
	buffer_store_dword v0, off, s[48:51], 0 offset:116 ; 4-byte Folded Spill
	v_lshlrev_b32_e32 v0, 16, v9
	buffer_store_dword v0, off, s[48:51], 0 offset:120 ; 4-byte Folded Spill
	v_and_b32_e32 v0, 0xffff0000, v9
	buffer_store_dword v0, off, s[48:51], 0 offset:124 ; 4-byte Folded Spill
	s_waitcnt lgkmcnt(0)
	v_lshlrev_b32_e32 v0, 16, v1
	buffer_store_dword v0, off, s[48:51], 0 offset:128 ; 4-byte Folded Spill
	buffer_load_dword v0, off, s[48:51], 0 offset:132 ; 4-byte Folded Reload
	s_add_u32 s2, s2, s12
	v_and_b32_e32 v48, 0xffff0000, v1
	s_addc_u32 s3, s3, s4
	v_lshlrev_b32_e32 v49, 16, v2
	v_and_b32_e32 v50, 0xffff0000, v2
	v_mov_b32_e32 v2, s3
	s_sub_i32 s38, 1, s30
	v_lshlrev_b32_e32 v51, 16, v3
	v_and_b32_e32 v52, 0xffff0000, v3
	v_lshlrev_b32_e32 v53, 16, v4
	v_and_b32_e32 v54, 0xffff0000, v4
	v_and_b32_e32 v7, 64, v5
	buffer_store_dword v7, off, s[48:51], 0 offset:152 ; 4-byte Folded Spill
	v_add_u32_e32 v7, 64, v7
	s_load_dword s40, s[16:17], 0x0
	s_mov_b32 s39, s13
	s_mov_b64 s[14:15], 0
	s_movk_i32 s41, 0x80
	s_movk_i32 s42, 0x7f
	s_mov_b32 s43, 0xffffff
	s_movk_i32 s44, 0x7fff
	v_mov_b32_e32 v59, 0
	v_mov_b32_e32 v55, 0xff7fffff
	v_bfrev_b32_e32 v60, 60
	v_mov_b32_e32 v61, v20
	buffer_store_dword v16, off, s[48:51], 0 offset:144 ; 4-byte Folded Spill
	buffer_store_dword v7, off, s[48:51], 0 offset:156 ; 4-byte Folded Spill
	;; [unrolled: 1-line block ×4, first 2 shown]
	s_waitcnt vmcnt(5)
	v_bfe_u32 v6, v0, 1, 5
	v_lshlrev_b32_e32 v1, 4, v6
	v_add_co_u32_e32 v1, vcc, s2, v1
	v_lshlrev_b32_e32 v0, 2, v11
	v_addc_co_u32_e32 v2, vcc, 0, v2, vcc
	v_add_co_u32_e64 v1, s[2:3], v1, v0
	v_addc_co_u32_e64 v2, s[2:3], 0, v2, s[2:3]
	s_lshl_b64 s[2:3], s[26:27], 2
	s_add_u32 s2, s24, s2
	s_addc_u32 s3, s25, s3
	v_and_b32_e32 v0, 60, v16
	v_mov_b32_e32 v4, s3
	v_add_co_u32_e64 v3, s[2:3], s2, v0
	v_addc_co_u32_e64 v4, s[2:3], 0, v4, s[2:3]
	v_xor_b32_e32 v0, 1, v5
	v_cmp_lt_i32_e64 s[2:3], v0, v7
	v_cndmask_b32_e64 v0, v5, v0, s[2:3]
	v_lshlrev_b32_e32 v56, 2, v0
	v_lshlrev_b32_e32 v0, 2, v6
	v_lshl_or_b32 v0, v20, 7, v0
	v_cmp_eq_u32_e32 vcc, 0, v11
	v_cmp_neq_f32_e64 s[2:3], s33, 0
	v_lshl_or_b32 v57, v20, 5, v6
	v_add_u32_e32 v58, 0xb0, v0
	s_branch .LBB322_9
.LBB322_8:                              ;   in Loop: Header=BB322_9 Depth=1
	s_or_b64 exec, exec, s[16:17]
	v_add_u32_e32 v61, 2, v61
	v_cmp_le_i32_e64 s[4:5], s21, v61
	s_or_b64 s[14:15], s[4:5], s[14:15]
	v_add_co_u32_e64 v3, s[4:5], 8, v3
	v_add_u32_e32 v57, 64, v57
	v_add_u32_e32 v58, 0x100, v58
	v_addc_co_u32_e64 v4, s[4:5], 0, v4, s[4:5]
	s_andn2_b64 exec, exec, s[14:15]
	s_cbranch_execz .LBB322_251
.LBB322_9:                              ; =>This Inner Loop Header: Depth=1
	global_load_dword v0, v[3:4], off
	v_mov_b32_e32 v62, 0
	s_waitcnt vmcnt(0) lgkmcnt(0)
	v_mad_i64_i32 v[5:6], s[4:5], v0, s39, v[1:2]
	global_load_dword v7, v[5:6], off
	s_waitcnt vmcnt(0)
	v_cmp_ne_u16_sdwa s[4:5], v7, v59 src0_sel:BYTE_0 src1_sel:DWORD
	s_and_saveexec_b64 s[16:17], s[4:5]
	s_cbranch_execz .LBB322_15
; %bb.10:                               ;   in Loop: Header=BB322_9 Depth=1
	v_cmp_ne_u16_sdwa s[4:5], v7, s41 src0_sel:BYTE_0 src1_sel:DWORD
	v_bfrev_b32_e32 v62, 1
	s_and_saveexec_b64 s[34:35], s[4:5]
	s_cbranch_execz .LBB322_14
; %bb.11:                               ;   in Loop: Header=BB322_9 Depth=1
	v_and_b32_e32 v0, 0x7f, v7
	v_cmp_ne_u32_e64 s[4:5], s42, v0
	v_mov_b32_e32 v62, 0x7f800001
	s_and_saveexec_b64 s[36:37], s[4:5]
	s_cbranch_execz .LBB322_13
; %bb.12:                               ;   in Loop: Header=BB322_9 Depth=1
	v_and_b32_e32 v10, 7, v7
	v_lshrrev_b32_e32 v11, 3, v0
	v_cmp_gt_u32_e64 s[4:5], 8, v0
	v_ffbh_u32_e32 v0, v10
	v_min_u32_e32 v0, 32, v0
	v_subrev_u32_e32 v8, 28, v0
	v_lshlrev_b64 v[8:9], v8, v[7:8]
	v_sub_u32_e32 v0, 29, v0
	v_and_b32_e32 v8, 7, v8
	v_cndmask_b32_e64 v0, v11, v0, s[4:5]
	v_cndmask_b32_e64 v8, v10, v8, s[4:5]
	v_lshlrev_b32_e32 v9, 24, v7
	v_lshlrev_b32_e32 v8, 20, v8
	v_and_b32_e32 v9, 0x80000000, v9
	v_lshl_add_u32 v0, v0, 23, v60
	v_or3_b32 v62, v9, v0, v8
.LBB322_13:                             ;   in Loop: Header=BB322_9 Depth=1
	s_or_b64 exec, exec, s[36:37]
.LBB322_14:                             ;   in Loop: Header=BB322_9 Depth=1
	s_or_b64 exec, exec, s[34:35]
.LBB322_15:                             ;   in Loop: Header=BB322_9 Depth=1
	s_or_b64 exec, exec, s[16:17]
	v_lshrrev_b16_e32 v8, 8, v7
	v_cmp_ne_u16_e64 s[4:5], 0, v8
	v_mov_b32_e32 v13, 0
	v_mov_b32_e32 v63, 0
	s_and_saveexec_b64 s[16:17], s[4:5]
	s_cbranch_execz .LBB322_21
; %bb.16:                               ;   in Loop: Header=BB322_9 Depth=1
	v_cmp_ne_u16_e64 s[4:5], s41, v8
	v_bfrev_b32_e32 v63, 1
	s_and_saveexec_b64 s[34:35], s[4:5]
	s_cbranch_execz .LBB322_20
; %bb.17:                               ;   in Loop: Header=BB322_9 Depth=1
	v_and_b32_e32 v0, 0x7f, v8
	v_cmp_ne_u32_e64 s[4:5], s42, v0
	v_mov_b32_e32 v63, 0x7f800001
	s_and_saveexec_b64 s[36:37], s[4:5]
	s_cbranch_execz .LBB322_19
; %bb.18:                               ;   in Loop: Header=BB322_9 Depth=1
	v_and_b32_e32 v10, 7, v8
	v_lshrrev_b32_e32 v11, 3, v0
	v_cmp_gt_u32_e64 s[4:5], 8, v0
	v_ffbh_u32_e32 v0, v10
	v_min_u32_e32 v0, 32, v0
	v_subrev_u32_e32 v9, 28, v0
	v_lshlrev_b64 v[8:9], v9, v[8:9]
	v_sub_u32_e32 v0, 29, v0
	v_and_b32_e32 v8, 7, v8
	v_cndmask_b32_e64 v0, v11, v0, s[4:5]
	v_cndmask_b32_e64 v8, v10, v8, s[4:5]
	v_lshlrev_b32_e32 v9, 16, v7
	v_lshlrev_b32_e32 v8, 20, v8
	v_and_b32_e32 v9, 0x80000000, v9
	v_lshl_add_u32 v0, v0, 23, v60
	v_or3_b32 v63, v9, v0, v8
.LBB322_19:                             ;   in Loop: Header=BB322_9 Depth=1
	s_or_b64 exec, exec, s[36:37]
.LBB322_20:                             ;   in Loop: Header=BB322_9 Depth=1
	s_or_b64 exec, exec, s[34:35]
.LBB322_21:                             ;   in Loop: Header=BB322_9 Depth=1
	s_or_b64 exec, exec, s[16:17]
	v_lshrrev_b32_e32 v8, 16, v7
	v_cmp_ne_u16_sdwa s[4:5], v8, v59 src0_sel:BYTE_0 src1_sel:DWORD
	s_and_saveexec_b64 s[16:17], s[4:5]
	s_cbranch_execz .LBB322_27
; %bb.22:                               ;   in Loop: Header=BB322_9 Depth=1
	v_cmp_ne_u16_sdwa s[4:5], v8, s41 src0_sel:BYTE_0 src1_sel:DWORD
	v_bfrev_b32_e32 v13, 1
	s_and_saveexec_b64 s[34:35], s[4:5]
	s_cbranch_execz .LBB322_26
; %bb.23:                               ;   in Loop: Header=BB322_9 Depth=1
	v_bfe_u32 v0, v7, 16, 7
	v_cmp_ne_u32_e64 s[4:5], s42, v0
	v_mov_b32_e32 v13, 0x7f800001
	s_and_saveexec_b64 s[36:37], s[4:5]
	s_cbranch_execz .LBB322_25
; %bb.24:                               ;   in Loop: Header=BB322_9 Depth=1
	v_and_b32_e32 v11, 7, v8
	v_lshrrev_b32_e32 v12, 3, v0
	v_cmp_gt_u32_e64 s[4:5], 8, v0
	v_ffbh_u32_e32 v0, v11
	v_min_u32_e32 v0, 32, v0
	v_subrev_u32_e32 v9, 28, v0
	v_lshlrev_b64 v[9:10], v9, v[8:9]
	v_sub_u32_e32 v0, 29, v0
	v_and_b32_e32 v9, 7, v9
	v_cndmask_b32_e64 v0, v12, v0, s[4:5]
	v_cndmask_b32_e64 v9, v11, v9, s[4:5]
	v_lshlrev_b32_e32 v8, 24, v8
	v_lshlrev_b32_e32 v9, 20, v9
	v_and_b32_e32 v8, 0x80000000, v8
	v_lshl_add_u32 v0, v0, 23, v60
	v_or3_b32 v13, v8, v0, v9
.LBB322_25:                             ;   in Loop: Header=BB322_9 Depth=1
	s_or_b64 exec, exec, s[36:37]
.LBB322_26:                             ;   in Loop: Header=BB322_9 Depth=1
	s_or_b64 exec, exec, s[34:35]
.LBB322_27:                             ;   in Loop: Header=BB322_9 Depth=1
	s_or_b64 exec, exec, s[16:17]
	v_cmp_lt_u32_e64 s[4:5], s43, v7
	v_mov_b32_e32 v11, 0
	v_mov_b32_e32 v9, 0
	s_and_saveexec_b64 s[16:17], s[4:5]
	s_cbranch_execz .LBB322_33
; %bb.28:                               ;   in Loop: Header=BB322_9 Depth=1
	v_lshrrev_b32_e32 v8, 24, v7
	v_cmp_ne_u32_e64 s[4:5], s41, v8
	v_bfrev_b32_e32 v9, 1
	s_and_saveexec_b64 s[34:35], s[4:5]
	s_cbranch_execz .LBB322_32
; %bb.29:                               ;   in Loop: Header=BB322_9 Depth=1
	v_bfe_u32 v0, v7, 24, 7
	v_cmp_ne_u32_e64 s[4:5], s42, v0
	v_mov_b32_e32 v9, 0x7f800001
	s_and_saveexec_b64 s[36:37], s[4:5]
	s_cbranch_execz .LBB322_31
; %bb.30:                               ;   in Loop: Header=BB322_9 Depth=1
	v_and_b32_e32 v7, 7, v8
	v_lshrrev_b32_e32 v12, 3, v0
	v_cmp_gt_u32_e64 s[4:5], 8, v0
	v_ffbh_u32_e32 v0, v7
	v_min_u32_e32 v0, 32, v0
	v_subrev_u32_e32 v9, 28, v0
	v_lshlrev_b64 v[9:10], v9, v[8:9]
	v_sub_u32_e32 v0, 29, v0
	v_and_b32_e32 v9, 7, v9
	v_cndmask_b32_e64 v0, v12, v0, s[4:5]
	v_cndmask_b32_e64 v7, v7, v9, s[4:5]
	v_lshlrev_b32_e32 v8, 24, v8
	v_lshlrev_b32_e32 v7, 20, v7
	v_and_b32_e32 v8, 0x80000000, v8
	v_lshl_add_u32 v0, v0, 23, v60
	v_or3_b32 v9, v8, v0, v7
.LBB322_31:                             ;   in Loop: Header=BB322_9 Depth=1
	s_or_b64 exec, exec, s[36:37]
.LBB322_32:                             ;   in Loop: Header=BB322_9 Depth=1
	s_or_b64 exec, exec, s[34:35]
.LBB322_33:                             ;   in Loop: Header=BB322_9 Depth=1
	s_or_b64 exec, exec, s[16:17]
	global_load_dword v7, v[5:6], off offset:8
	s_waitcnt vmcnt(0)
	v_cmp_ne_u16_sdwa s[4:5], v7, v59 src0_sel:BYTE_0 src1_sel:DWORD
	s_and_saveexec_b64 s[16:17], s[4:5]
	s_cbranch_execz .LBB322_39
; %bb.34:                               ;   in Loop: Header=BB322_9 Depth=1
	v_cmp_ne_u16_sdwa s[4:5], v7, s41 src0_sel:BYTE_0 src1_sel:DWORD
	v_bfrev_b32_e32 v11, 1
	s_and_saveexec_b64 s[34:35], s[4:5]
	s_cbranch_execz .LBB322_38
; %bb.35:                               ;   in Loop: Header=BB322_9 Depth=1
	v_and_b32_e32 v0, 0x7f, v7
	v_cmp_ne_u32_e64 s[4:5], s42, v0
	v_mov_b32_e32 v11, 0x7f800001
	s_and_saveexec_b64 s[36:37], s[4:5]
	s_cbranch_execz .LBB322_37
; %bb.36:                               ;   in Loop: Header=BB322_9 Depth=1
	v_and_b32_e32 v8, 7, v7
	v_lshrrev_b32_e32 v12, 3, v0
	v_cmp_gt_u32_e64 s[4:5], 8, v0
	v_ffbh_u32_e32 v0, v8
	v_min_u32_e32 v0, 32, v0
	v_subrev_u32_e32 v10, 28, v0
	v_lshlrev_b64 v[10:11], v10, v[7:8]
	v_sub_u32_e32 v0, 29, v0
	v_and_b32_e32 v10, 7, v10
	v_cndmask_b32_e64 v0, v12, v0, s[4:5]
	v_cndmask_b32_e64 v8, v8, v10, s[4:5]
	v_lshlrev_b32_e32 v10, 24, v7
	v_lshlrev_b32_e32 v8, 20, v8
	v_and_b32_e32 v10, 0x80000000, v10
	v_lshl_add_u32 v0, v0, 23, v60
	v_or3_b32 v11, v10, v0, v8
.LBB322_37:                             ;   in Loop: Header=BB322_9 Depth=1
	s_or_b64 exec, exec, s[36:37]
.LBB322_38:                             ;   in Loop: Header=BB322_9 Depth=1
	s_or_b64 exec, exec, s[34:35]
.LBB322_39:                             ;   in Loop: Header=BB322_9 Depth=1
	s_or_b64 exec, exec, s[16:17]
	v_lshrrev_b16_e32 v8, 8, v7
	v_cmp_ne_u16_e64 s[4:5], 0, v8
	v_mov_b32_e32 v0, 0
	v_mov_b32_e32 v12, 0
	s_and_saveexec_b64 s[16:17], s[4:5]
	s_cbranch_execz .LBB322_45
; %bb.40:                               ;   in Loop: Header=BB322_9 Depth=1
	v_cmp_ne_u16_e64 s[4:5], s41, v8
	v_bfrev_b32_e32 v12, 1
	s_and_saveexec_b64 s[34:35], s[4:5]
	s_cbranch_execz .LBB322_44
; %bb.41:                               ;   in Loop: Header=BB322_9 Depth=1
	v_and_b32_e32 v10, 0x7f, v8
	v_cmp_ne_u32_e64 s[4:5], s42, v10
	v_mov_b32_e32 v12, 0x7f800001
	s_and_saveexec_b64 s[36:37], s[4:5]
	s_cbranch_execz .LBB322_43
; %bb.42:                               ;   in Loop: Header=BB322_9 Depth=1
	v_and_b32_e32 v12, 7, v8
	v_lshrrev_b32_e32 v16, 3, v10
	v_cmp_gt_u32_e64 s[4:5], 8, v10
	v_ffbh_u32_e32 v10, v12
	v_min_u32_e32 v10, 32, v10
	v_subrev_u32_e32 v14, 28, v10
	v_lshlrev_b64 v[14:15], v14, v[8:9]
	v_sub_u32_e32 v8, 29, v10
	v_and_b32_e32 v10, 7, v14
	v_cndmask_b32_e64 v8, v16, v8, s[4:5]
	v_cndmask_b32_e64 v10, v12, v10, s[4:5]
	v_lshlrev_b32_e32 v12, 16, v7
	v_lshlrev_b32_e32 v10, 20, v10
	v_and_b32_e32 v12, 0x80000000, v12
	v_lshl_add_u32 v8, v8, 23, v60
	v_or3_b32 v12, v12, v8, v10
.LBB322_43:                             ;   in Loop: Header=BB322_9 Depth=1
	s_or_b64 exec, exec, s[36:37]
.LBB322_44:                             ;   in Loop: Header=BB322_9 Depth=1
	s_or_b64 exec, exec, s[34:35]
.LBB322_45:                             ;   in Loop: Header=BB322_9 Depth=1
	s_or_b64 exec, exec, s[16:17]
	v_lshrrev_b32_e32 v8, 16, v7
	v_cmp_ne_u16_sdwa s[4:5], v8, v59 src0_sel:BYTE_0 src1_sel:DWORD
	s_and_saveexec_b64 s[16:17], s[4:5]
	s_cbranch_execz .LBB322_51
; %bb.46:                               ;   in Loop: Header=BB322_9 Depth=1
	v_cmp_ne_u16_sdwa s[4:5], v8, s41 src0_sel:BYTE_0 src1_sel:DWORD
	v_bfrev_b32_e32 v0, 1
	s_and_saveexec_b64 s[34:35], s[4:5]
	s_cbranch_execz .LBB322_50
; %bb.47:                               ;   in Loop: Header=BB322_9 Depth=1
	v_bfe_u32 v10, v7, 16, 7
	v_cmp_ne_u32_e64 s[4:5], s42, v10
	v_mov_b32_e32 v0, 0x7f800001
	s_and_saveexec_b64 s[36:37], s[4:5]
	s_cbranch_execz .LBB322_49
; %bb.48:                               ;   in Loop: Header=BB322_9 Depth=1
	v_and_b32_e32 v0, 7, v8
	v_lshrrev_b32_e32 v16, 3, v10
	v_cmp_gt_u32_e64 s[4:5], 8, v10
	v_ffbh_u32_e32 v10, v0
	v_min_u32_e32 v10, 32, v10
	v_subrev_u32_e32 v14, 28, v10
	v_lshlrev_b64 v[14:15], v14, v[8:9]
	v_sub_u32_e32 v10, 29, v10
	v_and_b32_e32 v14, 7, v14
	v_cndmask_b32_e64 v10, v16, v10, s[4:5]
	v_cndmask_b32_e64 v0, v0, v14, s[4:5]
	v_lshlrev_b32_e32 v8, 24, v8
	v_lshlrev_b32_e32 v0, 20, v0
	v_and_b32_e32 v8, 0x80000000, v8
	v_lshl_add_u32 v10, v10, 23, v60
	v_or3_b32 v0, v8, v10, v0
.LBB322_49:                             ;   in Loop: Header=BB322_9 Depth=1
	s_or_b64 exec, exec, s[36:37]
.LBB322_50:                             ;   in Loop: Header=BB322_9 Depth=1
	s_or_b64 exec, exec, s[34:35]
.LBB322_51:                             ;   in Loop: Header=BB322_9 Depth=1
	s_or_b64 exec, exec, s[16:17]
	v_cmp_lt_u32_e64 s[4:5], s43, v7
	v_mov_b32_e32 v14, 0
	v_mov_b32_e32 v10, 0
	s_and_saveexec_b64 s[16:17], s[4:5]
	s_cbranch_execz .LBB322_57
; %bb.52:                               ;   in Loop: Header=BB322_9 Depth=1
	v_lshrrev_b32_e32 v8, 24, v7
	v_cmp_ne_u32_e64 s[4:5], s41, v8
	v_bfrev_b32_e32 v10, 1
	s_and_saveexec_b64 s[34:35], s[4:5]
	s_cbranch_execz .LBB322_56
; %bb.53:                               ;   in Loop: Header=BB322_9 Depth=1
	v_bfe_u32 v7, v7, 24, 7
	v_cmp_ne_u32_e64 s[4:5], s42, v7
	v_mov_b32_e32 v10, 0x7f800001
	s_and_saveexec_b64 s[36:37], s[4:5]
	s_cbranch_execz .LBB322_55
; %bb.54:                               ;   in Loop: Header=BB322_9 Depth=1
	v_and_b32_e32 v10, 7, v8
	v_lshrrev_b32_e32 v17, 3, v7
	v_cmp_gt_u32_e64 s[4:5], 8, v7
	v_ffbh_u32_e32 v7, v10
	v_min_u32_e32 v7, 32, v7
	v_subrev_u32_e32 v15, 28, v7
	v_lshlrev_b64 v[15:16], v15, v[8:9]
	v_sub_u32_e32 v7, 29, v7
	v_and_b32_e32 v15, 7, v15
	v_cndmask_b32_e64 v7, v17, v7, s[4:5]
	v_cndmask_b32_e64 v10, v10, v15, s[4:5]
	v_lshlrev_b32_e32 v8, 24, v8
	v_lshlrev_b32_e32 v10, 20, v10
	v_and_b32_e32 v8, 0x80000000, v8
	v_lshl_add_u32 v7, v7, 23, v60
	v_or3_b32 v10, v8, v7, v10
.LBB322_55:                             ;   in Loop: Header=BB322_9 Depth=1
	s_or_b64 exec, exec, s[36:37]
.LBB322_56:                             ;   in Loop: Header=BB322_9 Depth=1
	s_or_b64 exec, exec, s[34:35]
.LBB322_57:                             ;   in Loop: Header=BB322_9 Depth=1
	s_or_b64 exec, exec, s[16:17]
	global_load_dword v7, v[5:6], off offset:512
	s_waitcnt vmcnt(0)
	v_cmp_ne_u16_sdwa s[4:5], v7, v59 src0_sel:BYTE_0 src1_sel:DWORD
	s_and_saveexec_b64 s[16:17], s[4:5]
	s_cbranch_execz .LBB322_63
; %bb.58:                               ;   in Loop: Header=BB322_9 Depth=1
	v_cmp_ne_u16_sdwa s[4:5], v7, s41 src0_sel:BYTE_0 src1_sel:DWORD
	v_bfrev_b32_e32 v14, 1
	s_and_saveexec_b64 s[34:35], s[4:5]
	s_cbranch_execz .LBB322_62
; %bb.59:                               ;   in Loop: Header=BB322_9 Depth=1
	v_and_b32_e32 v8, 0x7f, v7
	v_cmp_ne_u32_e64 s[4:5], s42, v8
	v_mov_b32_e32 v14, 0x7f800001
	s_and_saveexec_b64 s[36:37], s[4:5]
	s_cbranch_execz .LBB322_61
; %bb.60:                               ;   in Loop: Header=BB322_9 Depth=1
	v_and_b32_e32 v16, 7, v7
	v_lshrrev_b32_e32 v17, 3, v8
	v_cmp_gt_u32_e64 s[4:5], 8, v8
	v_ffbh_u32_e32 v8, v16
	v_min_u32_e32 v8, 32, v8
	v_subrev_u32_e32 v14, 28, v8
	v_lshlrev_b64 v[14:15], v14, v[7:8]
	v_sub_u32_e32 v8, 29, v8
	v_and_b32_e32 v14, 7, v14
	v_cndmask_b32_e64 v8, v17, v8, s[4:5]
	v_cndmask_b32_e64 v14, v16, v14, s[4:5]
	v_lshlrev_b32_e32 v15, 24, v7
	v_lshlrev_b32_e32 v14, 20, v14
	v_and_b32_e32 v15, 0x80000000, v15
	v_lshl_add_u32 v8, v8, 23, v60
	v_or3_b32 v14, v15, v8, v14
.LBB322_61:                             ;   in Loop: Header=BB322_9 Depth=1
	s_or_b64 exec, exec, s[36:37]
.LBB322_62:                             ;   in Loop: Header=BB322_9 Depth=1
	s_or_b64 exec, exec, s[34:35]
.LBB322_63:                             ;   in Loop: Header=BB322_9 Depth=1
	s_or_b64 exec, exec, s[16:17]
	v_lshrrev_b16_e32 v8, 8, v7
	v_cmp_ne_u16_e64 s[4:5], 0, v8
	v_mov_b32_e32 v16, 0
	v_mov_b32_e32 v15, 0
	s_and_saveexec_b64 s[16:17], s[4:5]
	s_cbranch_execz .LBB322_69
; %bb.64:                               ;   in Loop: Header=BB322_9 Depth=1
	v_cmp_ne_u16_e64 s[4:5], s41, v8
	v_bfrev_b32_e32 v15, 1
	s_and_saveexec_b64 s[34:35], s[4:5]
	s_cbranch_execz .LBB322_68
; %bb.65:                               ;   in Loop: Header=BB322_9 Depth=1
	v_and_b32_e32 v17, 0x7f, v8
	v_cmp_ne_u32_e64 s[4:5], s42, v17
	v_mov_b32_e32 v15, 0x7f800001
	s_and_saveexec_b64 s[36:37], s[4:5]
	s_cbranch_execz .LBB322_67
; %bb.66:                               ;   in Loop: Header=BB322_9 Depth=1
	v_and_b32_e32 v15, 7, v8
	v_lshrrev_b32_e32 v19, 3, v17
	v_cmp_gt_u32_e64 s[4:5], 8, v17
	v_ffbh_u32_e32 v17, v15
	v_min_u32_e32 v21, 32, v17
	v_subrev_u32_e32 v17, 28, v21
	v_lshlrev_b64 v[17:18], v17, v[8:9]
	v_sub_u32_e32 v8, 29, v21
	v_and_b32_e32 v17, 7, v17
	v_cndmask_b32_e64 v8, v19, v8, s[4:5]
	v_cndmask_b32_e64 v15, v15, v17, s[4:5]
	v_lshlrev_b32_e32 v17, 16, v7
	v_lshlrev_b32_e32 v15, 20, v15
	v_and_b32_e32 v17, 0x80000000, v17
	v_lshl_add_u32 v8, v8, 23, v60
	v_or3_b32 v15, v17, v8, v15
.LBB322_67:                             ;   in Loop: Header=BB322_9 Depth=1
	s_or_b64 exec, exec, s[36:37]
.LBB322_68:                             ;   in Loop: Header=BB322_9 Depth=1
	s_or_b64 exec, exec, s[34:35]
.LBB322_69:                             ;   in Loop: Header=BB322_9 Depth=1
	s_or_b64 exec, exec, s[16:17]
	v_lshrrev_b32_e32 v8, 16, v7
	v_cmp_ne_u16_sdwa s[4:5], v8, v59 src0_sel:BYTE_0 src1_sel:DWORD
	s_and_saveexec_b64 s[16:17], s[4:5]
	s_cbranch_execz .LBB322_75
; %bb.70:                               ;   in Loop: Header=BB322_9 Depth=1
	v_cmp_ne_u16_sdwa s[4:5], v8, s41 src0_sel:BYTE_0 src1_sel:DWORD
	v_bfrev_b32_e32 v16, 1
	s_and_saveexec_b64 s[34:35], s[4:5]
	s_cbranch_execz .LBB322_74
; %bb.71:                               ;   in Loop: Header=BB322_9 Depth=1
	v_bfe_u32 v17, v7, 16, 7
	v_cmp_ne_u32_e64 s[4:5], s42, v17
	v_mov_b32_e32 v16, 0x7f800001
	s_and_saveexec_b64 s[36:37], s[4:5]
	s_cbranch_execz .LBB322_73
; %bb.72:                               ;   in Loop: Header=BB322_9 Depth=1
	v_and_b32_e32 v18, 7, v8
	v_ffbh_u32_e32 v16, v18
	v_min_u32_e32 v21, 32, v16
	v_subrev_u32_e32 v16, 28, v21
	v_lshrrev_b32_e32 v19, 3, v17
	v_cmp_gt_u32_e64 s[4:5], 8, v17
	v_lshlrev_b64 v[16:17], v16, v[8:9]
	v_sub_u32_e32 v17, 29, v21
	v_and_b32_e32 v16, 7, v16
	v_cndmask_b32_e64 v17, v19, v17, s[4:5]
	v_cndmask_b32_e64 v16, v18, v16, s[4:5]
	v_lshlrev_b32_e32 v8, 24, v8
	v_lshlrev_b32_e32 v16, 20, v16
	v_and_b32_e32 v8, 0x80000000, v8
	v_lshl_add_u32 v17, v17, 23, v60
	v_or3_b32 v16, v8, v17, v16
.LBB322_73:                             ;   in Loop: Header=BB322_9 Depth=1
	s_or_b64 exec, exec, s[36:37]
.LBB322_74:                             ;   in Loop: Header=BB322_9 Depth=1
	s_or_b64 exec, exec, s[34:35]
.LBB322_75:                             ;   in Loop: Header=BB322_9 Depth=1
	s_or_b64 exec, exec, s[16:17]
	v_cmp_lt_u32_e64 s[4:5], s43, v7
	v_mov_b32_e32 v18, 0
	v_mov_b32_e32 v17, 0
	s_and_saveexec_b64 s[16:17], s[4:5]
	s_cbranch_execz .LBB322_81
; %bb.76:                               ;   in Loop: Header=BB322_9 Depth=1
	v_lshrrev_b32_e32 v8, 24, v7
	v_cmp_ne_u32_e64 s[4:5], s41, v8
	v_bfrev_b32_e32 v17, 1
	s_and_saveexec_b64 s[34:35], s[4:5]
	s_cbranch_execz .LBB322_80
; %bb.77:                               ;   in Loop: Header=BB322_9 Depth=1
	v_bfe_u32 v7, v7, 24, 7
	v_cmp_ne_u32_e64 s[4:5], s42, v7
	v_mov_b32_e32 v17, 0x7f800001
	s_and_saveexec_b64 s[36:37], s[4:5]
	s_cbranch_execz .LBB322_79
; %bb.78:                               ;   in Loop: Header=BB322_9 Depth=1
	v_and_b32_e32 v17, 7, v8
	v_lshrrev_b32_e32 v19, 3, v7
	v_cmp_gt_u32_e64 s[4:5], 8, v7
	v_ffbh_u32_e32 v7, v17
	v_min_u32_e32 v7, 32, v7
	v_subrev_u32_e32 v21, 28, v7
	v_lshlrev_b64 v[21:22], v21, v[8:9]
	v_sub_u32_e32 v7, 29, v7
	v_and_b32_e32 v21, 7, v21
	v_cndmask_b32_e64 v7, v19, v7, s[4:5]
	v_cndmask_b32_e64 v17, v17, v21, s[4:5]
	v_lshlrev_b32_e32 v8, 24, v8
	v_lshlrev_b32_e32 v17, 20, v17
	v_and_b32_e32 v8, 0x80000000, v8
	v_lshl_add_u32 v7, v7, 23, v60
	v_or3_b32 v17, v8, v7, v17
.LBB322_79:                             ;   in Loop: Header=BB322_9 Depth=1
	s_or_b64 exec, exec, s[36:37]
.LBB322_80:                             ;   in Loop: Header=BB322_9 Depth=1
	s_or_b64 exec, exec, s[34:35]
.LBB322_81:                             ;   in Loop: Header=BB322_9 Depth=1
	s_or_b64 exec, exec, s[16:17]
	global_load_dword v7, v[5:6], off offset:520
	s_waitcnt vmcnt(0)
	v_cmp_ne_u16_sdwa s[4:5], v7, v59 src0_sel:BYTE_0 src1_sel:DWORD
	s_and_saveexec_b64 s[16:17], s[4:5]
	s_cbranch_execz .LBB322_87
; %bb.82:                               ;   in Loop: Header=BB322_9 Depth=1
	v_cmp_ne_u16_sdwa s[4:5], v7, s41 src0_sel:BYTE_0 src1_sel:DWORD
	v_bfrev_b32_e32 v18, 1
	s_and_saveexec_b64 s[34:35], s[4:5]
	s_cbranch_execz .LBB322_86
; %bb.83:                               ;   in Loop: Header=BB322_9 Depth=1
	v_and_b32_e32 v8, 0x7f, v7
	v_cmp_ne_u32_e64 s[4:5], s42, v8
	v_mov_b32_e32 v18, 0x7f800001
	s_and_saveexec_b64 s[36:37], s[4:5]
	s_cbranch_execz .LBB322_85
; %bb.84:                               ;   in Loop: Header=BB322_9 Depth=1
	v_and_b32_e32 v21, 7, v7
	v_lshrrev_b32_e32 v22, 3, v8
	v_cmp_gt_u32_e64 s[4:5], 8, v8
	v_ffbh_u32_e32 v8, v21
	v_min_u32_e32 v8, 32, v8
	v_subrev_u32_e32 v18, 28, v8
	v_lshlrev_b64 v[18:19], v18, v[7:8]
	v_sub_u32_e32 v8, 29, v8
	v_and_b32_e32 v18, 7, v18
	v_cndmask_b32_e64 v8, v22, v8, s[4:5]
	v_cndmask_b32_e64 v18, v21, v18, s[4:5]
	v_lshlrev_b32_e32 v19, 24, v7
	v_lshlrev_b32_e32 v18, 20, v18
	v_and_b32_e32 v19, 0x80000000, v19
	v_lshl_add_u32 v8, v8, 23, v60
	v_or3_b32 v18, v19, v8, v18
.LBB322_85:                             ;   in Loop: Header=BB322_9 Depth=1
	s_or_b64 exec, exec, s[36:37]
.LBB322_86:                             ;   in Loop: Header=BB322_9 Depth=1
	s_or_b64 exec, exec, s[34:35]
.LBB322_87:                             ;   in Loop: Header=BB322_9 Depth=1
	s_or_b64 exec, exec, s[16:17]
	v_lshrrev_b16_e32 v8, 8, v7
	v_cmp_ne_u16_e64 s[4:5], 0, v8
	v_mov_b32_e32 v21, 0
	v_mov_b32_e32 v19, 0
	s_and_saveexec_b64 s[16:17], s[4:5]
	s_cbranch_execz .LBB322_93
; %bb.88:                               ;   in Loop: Header=BB322_9 Depth=1
	v_cmp_ne_u16_e64 s[4:5], s41, v8
	v_bfrev_b32_e32 v19, 1
	s_and_saveexec_b64 s[34:35], s[4:5]
	s_cbranch_execz .LBB322_92
; %bb.89:                               ;   in Loop: Header=BB322_9 Depth=1
	v_and_b32_e32 v22, 0x7f, v8
	v_cmp_ne_u32_e64 s[4:5], s42, v22
	v_mov_b32_e32 v19, 0x7f800001
	s_and_saveexec_b64 s[36:37], s[4:5]
	s_cbranch_execz .LBB322_91
; %bb.90:                               ;   in Loop: Header=BB322_9 Depth=1
	v_and_b32_e32 v19, 7, v8
	v_lshrrev_b32_e32 v24, 3, v22
	v_cmp_gt_u32_e64 s[4:5], 8, v22
	v_ffbh_u32_e32 v22, v19
	v_min_u32_e32 v25, 32, v22
	v_subrev_u32_e32 v22, 28, v25
	v_lshlrev_b64 v[22:23], v22, v[8:9]
	v_sub_u32_e32 v8, 29, v25
	v_and_b32_e32 v22, 7, v22
	v_cndmask_b32_e64 v8, v24, v8, s[4:5]
	v_cndmask_b32_e64 v19, v19, v22, s[4:5]
	v_lshlrev_b32_e32 v22, 16, v7
	v_lshlrev_b32_e32 v19, 20, v19
	v_and_b32_e32 v22, 0x80000000, v22
	v_lshl_add_u32 v8, v8, 23, v60
	v_or3_b32 v19, v22, v8, v19
.LBB322_91:                             ;   in Loop: Header=BB322_9 Depth=1
	s_or_b64 exec, exec, s[36:37]
.LBB322_92:                             ;   in Loop: Header=BB322_9 Depth=1
	s_or_b64 exec, exec, s[34:35]
.LBB322_93:                             ;   in Loop: Header=BB322_9 Depth=1
	s_or_b64 exec, exec, s[16:17]
	v_lshrrev_b32_e32 v8, 16, v7
	v_cmp_ne_u16_sdwa s[4:5], v8, v59 src0_sel:BYTE_0 src1_sel:DWORD
	s_and_saveexec_b64 s[16:17], s[4:5]
	s_cbranch_execz .LBB322_99
; %bb.94:                               ;   in Loop: Header=BB322_9 Depth=1
	v_cmp_ne_u16_sdwa s[4:5], v8, s41 src0_sel:BYTE_0 src1_sel:DWORD
	v_bfrev_b32_e32 v21, 1
	s_and_saveexec_b64 s[34:35], s[4:5]
	s_cbranch_execz .LBB322_98
; %bb.95:                               ;   in Loop: Header=BB322_9 Depth=1
	v_bfe_u32 v22, v7, 16, 7
	v_cmp_ne_u32_e64 s[4:5], s42, v22
	v_mov_b32_e32 v21, 0x7f800001
	s_and_saveexec_b64 s[36:37], s[4:5]
	s_cbranch_execz .LBB322_97
; %bb.96:                               ;   in Loop: Header=BB322_9 Depth=1
	v_and_b32_e32 v23, 7, v8
	v_ffbh_u32_e32 v21, v23
	v_min_u32_e32 v25, 32, v21
	v_subrev_u32_e32 v21, 28, v25
	v_lshrrev_b32_e32 v24, 3, v22
	v_cmp_gt_u32_e64 s[4:5], 8, v22
	v_lshlrev_b64 v[21:22], v21, v[8:9]
	v_sub_u32_e32 v22, 29, v25
	v_and_b32_e32 v21, 7, v21
	v_cndmask_b32_e64 v22, v24, v22, s[4:5]
	v_cndmask_b32_e64 v21, v23, v21, s[4:5]
	v_lshlrev_b32_e32 v8, 24, v8
	v_lshlrev_b32_e32 v21, 20, v21
	v_and_b32_e32 v8, 0x80000000, v8
	v_lshl_add_u32 v22, v22, 23, v60
	v_or3_b32 v21, v8, v22, v21
.LBB322_97:                             ;   in Loop: Header=BB322_9 Depth=1
	s_or_b64 exec, exec, s[36:37]
.LBB322_98:                             ;   in Loop: Header=BB322_9 Depth=1
	s_or_b64 exec, exec, s[34:35]
.LBB322_99:                             ;   in Loop: Header=BB322_9 Depth=1
	s_or_b64 exec, exec, s[16:17]
	v_cmp_lt_u32_e64 s[4:5], s43, v7
	v_mov_b32_e32 v23, 0
	v_mov_b32_e32 v22, 0
	s_and_saveexec_b64 s[16:17], s[4:5]
	s_cbranch_execz .LBB322_105
; %bb.100:                              ;   in Loop: Header=BB322_9 Depth=1
	v_lshrrev_b32_e32 v8, 24, v7
	v_cmp_ne_u32_e64 s[4:5], s41, v8
	v_bfrev_b32_e32 v22, 1
	s_and_saveexec_b64 s[34:35], s[4:5]
	s_cbranch_execz .LBB322_104
; %bb.101:                              ;   in Loop: Header=BB322_9 Depth=1
	v_bfe_u32 v7, v7, 24, 7
	v_cmp_ne_u32_e64 s[4:5], s42, v7
	v_mov_b32_e32 v22, 0x7f800001
	s_and_saveexec_b64 s[36:37], s[4:5]
	s_cbranch_execz .LBB322_103
; %bb.102:                              ;   in Loop: Header=BB322_9 Depth=1
	v_and_b32_e32 v22, 7, v8
	v_lshrrev_b32_e32 v26, 3, v7
	v_cmp_gt_u32_e64 s[4:5], 8, v7
	v_ffbh_u32_e32 v7, v22
	v_min_u32_e32 v7, 32, v7
	v_subrev_u32_e32 v24, 28, v7
	v_lshlrev_b64 v[24:25], v24, v[8:9]
	v_sub_u32_e32 v7, 29, v7
	v_and_b32_e32 v24, 7, v24
	v_cndmask_b32_e64 v7, v26, v7, s[4:5]
	v_cndmask_b32_e64 v22, v22, v24, s[4:5]
	v_lshlrev_b32_e32 v8, 24, v8
	v_lshlrev_b32_e32 v22, 20, v22
	v_and_b32_e32 v8, 0x80000000, v8
	v_lshl_add_u32 v7, v7, 23, v60
	v_or3_b32 v22, v8, v7, v22
.LBB322_103:                            ;   in Loop: Header=BB322_9 Depth=1
	s_or_b64 exec, exec, s[36:37]
.LBB322_104:                            ;   in Loop: Header=BB322_9 Depth=1
	s_or_b64 exec, exec, s[34:35]
.LBB322_105:                            ;   in Loop: Header=BB322_9 Depth=1
	s_or_b64 exec, exec, s[16:17]
	global_load_dword v7, v[5:6], off offset:1024
	s_waitcnt vmcnt(0)
	v_cmp_ne_u16_sdwa s[4:5], v7, v59 src0_sel:BYTE_0 src1_sel:DWORD
	s_and_saveexec_b64 s[16:17], s[4:5]
	s_cbranch_execz .LBB322_111
; %bb.106:                              ;   in Loop: Header=BB322_9 Depth=1
	v_cmp_ne_u16_sdwa s[4:5], v7, s41 src0_sel:BYTE_0 src1_sel:DWORD
	v_bfrev_b32_e32 v23, 1
	s_and_saveexec_b64 s[34:35], s[4:5]
	s_cbranch_execz .LBB322_110
; %bb.107:                              ;   in Loop: Header=BB322_9 Depth=1
	v_and_b32_e32 v8, 0x7f, v7
	v_cmp_ne_u32_e64 s[4:5], s42, v8
	v_mov_b32_e32 v23, 0x7f800001
	s_and_saveexec_b64 s[36:37], s[4:5]
	s_cbranch_execz .LBB322_109
; %bb.108:                              ;   in Loop: Header=BB322_9 Depth=1
	v_and_b32_e32 v25, 7, v7
	v_lshrrev_b32_e32 v26, 3, v8
	v_cmp_gt_u32_e64 s[4:5], 8, v8
	v_ffbh_u32_e32 v8, v25
	v_min_u32_e32 v8, 32, v8
	v_subrev_u32_e32 v23, 28, v8
	v_lshlrev_b64 v[23:24], v23, v[7:8]
	v_sub_u32_e32 v8, 29, v8
	v_and_b32_e32 v23, 7, v23
	v_cndmask_b32_e64 v8, v26, v8, s[4:5]
	v_cndmask_b32_e64 v23, v25, v23, s[4:5]
	v_lshlrev_b32_e32 v24, 24, v7
	v_lshlrev_b32_e32 v23, 20, v23
	v_and_b32_e32 v24, 0x80000000, v24
	v_lshl_add_u32 v8, v8, 23, v60
	v_or3_b32 v23, v24, v8, v23
.LBB322_109:                            ;   in Loop: Header=BB322_9 Depth=1
	s_or_b64 exec, exec, s[36:37]
.LBB322_110:                            ;   in Loop: Header=BB322_9 Depth=1
	s_or_b64 exec, exec, s[34:35]
.LBB322_111:                            ;   in Loop: Header=BB322_9 Depth=1
	s_or_b64 exec, exec, s[16:17]
	v_lshrrev_b16_e32 v8, 8, v7
	v_cmp_ne_u16_e64 s[4:5], 0, v8
	v_mov_b32_e32 v25, 0
	v_mov_b32_e32 v24, 0
	s_and_saveexec_b64 s[16:17], s[4:5]
	s_cbranch_execz .LBB322_117
; %bb.112:                              ;   in Loop: Header=BB322_9 Depth=1
	v_cmp_ne_u16_e64 s[4:5], s41, v8
	v_bfrev_b32_e32 v24, 1
	s_and_saveexec_b64 s[34:35], s[4:5]
	s_cbranch_execz .LBB322_116
; %bb.113:                              ;   in Loop: Header=BB322_9 Depth=1
	v_and_b32_e32 v26, 0x7f, v8
	v_cmp_ne_u32_e64 s[4:5], s42, v26
	v_mov_b32_e32 v24, 0x7f800001
	s_and_saveexec_b64 s[36:37], s[4:5]
	s_cbranch_execz .LBB322_115
; %bb.114:                              ;   in Loop: Header=BB322_9 Depth=1
	v_and_b32_e32 v24, 7, v8
	v_lshrrev_b32_e32 v28, 3, v26
	v_cmp_gt_u32_e64 s[4:5], 8, v26
	v_ffbh_u32_e32 v26, v24
	v_min_u32_e32 v29, 32, v26
	v_subrev_u32_e32 v26, 28, v29
	v_lshlrev_b64 v[26:27], v26, v[8:9]
	v_sub_u32_e32 v8, 29, v29
	v_and_b32_e32 v26, 7, v26
	v_cndmask_b32_e64 v8, v28, v8, s[4:5]
	v_cndmask_b32_e64 v24, v24, v26, s[4:5]
	v_lshlrev_b32_e32 v26, 16, v7
	v_lshlrev_b32_e32 v24, 20, v24
	v_and_b32_e32 v26, 0x80000000, v26
	v_lshl_add_u32 v8, v8, 23, v60
	v_or3_b32 v24, v26, v8, v24
.LBB322_115:                            ;   in Loop: Header=BB322_9 Depth=1
	s_or_b64 exec, exec, s[36:37]
.LBB322_116:                            ;   in Loop: Header=BB322_9 Depth=1
	s_or_b64 exec, exec, s[34:35]
.LBB322_117:                            ;   in Loop: Header=BB322_9 Depth=1
	s_or_b64 exec, exec, s[16:17]
	v_lshrrev_b32_e32 v8, 16, v7
	v_cmp_ne_u16_sdwa s[4:5], v8, v59 src0_sel:BYTE_0 src1_sel:DWORD
	s_and_saveexec_b64 s[16:17], s[4:5]
	s_cbranch_execz .LBB322_123
; %bb.118:                              ;   in Loop: Header=BB322_9 Depth=1
	v_cmp_ne_u16_sdwa s[4:5], v8, s41 src0_sel:BYTE_0 src1_sel:DWORD
	v_bfrev_b32_e32 v25, 1
	s_and_saveexec_b64 s[34:35], s[4:5]
	s_cbranch_execz .LBB322_122
; %bb.119:                              ;   in Loop: Header=BB322_9 Depth=1
	v_bfe_u32 v26, v7, 16, 7
	v_cmp_ne_u32_e64 s[4:5], s42, v26
	v_mov_b32_e32 v25, 0x7f800001
	s_and_saveexec_b64 s[36:37], s[4:5]
	s_cbranch_execz .LBB322_121
; %bb.120:                              ;   in Loop: Header=BB322_9 Depth=1
	v_and_b32_e32 v27, 7, v8
	v_ffbh_u32_e32 v25, v27
	v_min_u32_e32 v29, 32, v25
	v_subrev_u32_e32 v25, 28, v29
	v_lshrrev_b32_e32 v28, 3, v26
	v_cmp_gt_u32_e64 s[4:5], 8, v26
	v_lshlrev_b64 v[25:26], v25, v[8:9]
	v_sub_u32_e32 v26, 29, v29
	v_and_b32_e32 v25, 7, v25
	v_cndmask_b32_e64 v26, v28, v26, s[4:5]
	v_cndmask_b32_e64 v25, v27, v25, s[4:5]
	v_lshlrev_b32_e32 v8, 24, v8
	v_lshlrev_b32_e32 v25, 20, v25
	v_and_b32_e32 v8, 0x80000000, v8
	v_lshl_add_u32 v26, v26, 23, v60
	v_or3_b32 v25, v8, v26, v25
.LBB322_121:                            ;   in Loop: Header=BB322_9 Depth=1
	s_or_b64 exec, exec, s[36:37]
.LBB322_122:                            ;   in Loop: Header=BB322_9 Depth=1
	s_or_b64 exec, exec, s[34:35]
.LBB322_123:                            ;   in Loop: Header=BB322_9 Depth=1
	s_or_b64 exec, exec, s[16:17]
	v_cmp_lt_u32_e64 s[4:5], s43, v7
	v_mov_b32_e32 v27, 0
	v_mov_b32_e32 v26, 0
	s_and_saveexec_b64 s[16:17], s[4:5]
	s_cbranch_execz .LBB322_129
; %bb.124:                              ;   in Loop: Header=BB322_9 Depth=1
	v_lshrrev_b32_e32 v8, 24, v7
	v_cmp_ne_u32_e64 s[4:5], s41, v8
	v_bfrev_b32_e32 v26, 1
	s_and_saveexec_b64 s[34:35], s[4:5]
	s_cbranch_execz .LBB322_128
; %bb.125:                              ;   in Loop: Header=BB322_9 Depth=1
	v_bfe_u32 v7, v7, 24, 7
	v_cmp_ne_u32_e64 s[4:5], s42, v7
	v_mov_b32_e32 v26, 0x7f800001
	s_and_saveexec_b64 s[36:37], s[4:5]
	s_cbranch_execz .LBB322_127
; %bb.126:                              ;   in Loop: Header=BB322_9 Depth=1
	v_and_b32_e32 v26, 7, v8
	v_lshrrev_b32_e32 v30, 3, v7
	v_cmp_gt_u32_e64 s[4:5], 8, v7
	v_ffbh_u32_e32 v7, v26
	v_min_u32_e32 v7, 32, v7
	v_subrev_u32_e32 v28, 28, v7
	v_lshlrev_b64 v[28:29], v28, v[8:9]
	v_sub_u32_e32 v7, 29, v7
	v_and_b32_e32 v28, 7, v28
	v_cndmask_b32_e64 v7, v30, v7, s[4:5]
	v_cndmask_b32_e64 v26, v26, v28, s[4:5]
	v_lshlrev_b32_e32 v8, 24, v8
	v_lshlrev_b32_e32 v26, 20, v26
	v_and_b32_e32 v8, 0x80000000, v8
	v_lshl_add_u32 v7, v7, 23, v60
	v_or3_b32 v26, v8, v7, v26
.LBB322_127:                            ;   in Loop: Header=BB322_9 Depth=1
	s_or_b64 exec, exec, s[36:37]
.LBB322_128:                            ;   in Loop: Header=BB322_9 Depth=1
	s_or_b64 exec, exec, s[34:35]
.LBB322_129:                            ;   in Loop: Header=BB322_9 Depth=1
	s_or_b64 exec, exec, s[16:17]
	global_load_dword v7, v[5:6], off offset:1032
	s_waitcnt vmcnt(0)
	v_cmp_ne_u16_sdwa s[4:5], v7, v59 src0_sel:BYTE_0 src1_sel:DWORD
	s_and_saveexec_b64 s[16:17], s[4:5]
	s_cbranch_execz .LBB322_135
; %bb.130:                              ;   in Loop: Header=BB322_9 Depth=1
	v_cmp_ne_u16_sdwa s[4:5], v7, s41 src0_sel:BYTE_0 src1_sel:DWORD
	v_bfrev_b32_e32 v27, 1
	s_and_saveexec_b64 s[34:35], s[4:5]
	s_cbranch_execz .LBB322_134
; %bb.131:                              ;   in Loop: Header=BB322_9 Depth=1
	v_and_b32_e32 v8, 0x7f, v7
	v_cmp_ne_u32_e64 s[4:5], s42, v8
	v_mov_b32_e32 v27, 0x7f800001
	s_and_saveexec_b64 s[36:37], s[4:5]
	s_cbranch_execz .LBB322_133
; %bb.132:                              ;   in Loop: Header=BB322_9 Depth=1
	v_and_b32_e32 v29, 7, v7
	v_lshrrev_b32_e32 v30, 3, v8
	v_cmp_gt_u32_e64 s[4:5], 8, v8
	v_ffbh_u32_e32 v8, v29
	v_min_u32_e32 v8, 32, v8
	v_subrev_u32_e32 v27, 28, v8
	v_lshlrev_b64 v[27:28], v27, v[7:8]
	v_sub_u32_e32 v8, 29, v8
	v_and_b32_e32 v27, 7, v27
	v_cndmask_b32_e64 v8, v30, v8, s[4:5]
	v_cndmask_b32_e64 v27, v29, v27, s[4:5]
	v_lshlrev_b32_e32 v28, 24, v7
	v_lshlrev_b32_e32 v27, 20, v27
	v_and_b32_e32 v28, 0x80000000, v28
	v_lshl_add_u32 v8, v8, 23, v60
	v_or3_b32 v27, v28, v8, v27
.LBB322_133:                            ;   in Loop: Header=BB322_9 Depth=1
	s_or_b64 exec, exec, s[36:37]
.LBB322_134:                            ;   in Loop: Header=BB322_9 Depth=1
	s_or_b64 exec, exec, s[34:35]
.LBB322_135:                            ;   in Loop: Header=BB322_9 Depth=1
	s_or_b64 exec, exec, s[16:17]
	v_lshrrev_b16_e32 v8, 8, v7
	v_cmp_ne_u16_e64 s[4:5], 0, v8
	v_mov_b32_e32 v29, 0
	v_mov_b32_e32 v28, 0
	s_and_saveexec_b64 s[16:17], s[4:5]
	s_cbranch_execz .LBB322_141
; %bb.136:                              ;   in Loop: Header=BB322_9 Depth=1
	v_cmp_ne_u16_e64 s[4:5], s41, v8
	v_bfrev_b32_e32 v28, 1
	s_and_saveexec_b64 s[34:35], s[4:5]
	s_cbranch_execz .LBB322_140
; %bb.137:                              ;   in Loop: Header=BB322_9 Depth=1
	v_and_b32_e32 v30, 0x7f, v8
	v_cmp_ne_u32_e64 s[4:5], s42, v30
	v_mov_b32_e32 v28, 0x7f800001
	s_and_saveexec_b64 s[36:37], s[4:5]
	s_cbranch_execz .LBB322_139
; %bb.138:                              ;   in Loop: Header=BB322_9 Depth=1
	v_and_b32_e32 v28, 7, v8
	v_lshrrev_b32_e32 v32, 3, v30
	v_cmp_gt_u32_e64 s[4:5], 8, v30
	v_ffbh_u32_e32 v30, v28
	v_min_u32_e32 v33, 32, v30
	v_subrev_u32_e32 v30, 28, v33
	v_lshlrev_b64 v[30:31], v30, v[8:9]
	v_sub_u32_e32 v8, 29, v33
	v_and_b32_e32 v30, 7, v30
	v_cndmask_b32_e64 v8, v32, v8, s[4:5]
	v_cndmask_b32_e64 v28, v28, v30, s[4:5]
	v_lshlrev_b32_e32 v30, 16, v7
	v_lshlrev_b32_e32 v28, 20, v28
	v_and_b32_e32 v30, 0x80000000, v30
	v_lshl_add_u32 v8, v8, 23, v60
	v_or3_b32 v28, v30, v8, v28
.LBB322_139:                            ;   in Loop: Header=BB322_9 Depth=1
	s_or_b64 exec, exec, s[36:37]
.LBB322_140:                            ;   in Loop: Header=BB322_9 Depth=1
	s_or_b64 exec, exec, s[34:35]
.LBB322_141:                            ;   in Loop: Header=BB322_9 Depth=1
	s_or_b64 exec, exec, s[16:17]
	v_lshrrev_b32_e32 v8, 16, v7
	v_cmp_ne_u16_sdwa s[4:5], v8, v59 src0_sel:BYTE_0 src1_sel:DWORD
	s_and_saveexec_b64 s[16:17], s[4:5]
	s_cbranch_execz .LBB322_147
; %bb.142:                              ;   in Loop: Header=BB322_9 Depth=1
	v_cmp_ne_u16_sdwa s[4:5], v8, s41 src0_sel:BYTE_0 src1_sel:DWORD
	v_bfrev_b32_e32 v29, 1
	s_and_saveexec_b64 s[34:35], s[4:5]
	s_cbranch_execz .LBB322_146
; %bb.143:                              ;   in Loop: Header=BB322_9 Depth=1
	v_bfe_u32 v30, v7, 16, 7
	v_cmp_ne_u32_e64 s[4:5], s42, v30
	v_mov_b32_e32 v29, 0x7f800001
	s_and_saveexec_b64 s[36:37], s[4:5]
	s_cbranch_execz .LBB322_145
; %bb.144:                              ;   in Loop: Header=BB322_9 Depth=1
	v_and_b32_e32 v31, 7, v8
	v_ffbh_u32_e32 v29, v31
	v_min_u32_e32 v33, 32, v29
	v_subrev_u32_e32 v29, 28, v33
	v_lshrrev_b32_e32 v32, 3, v30
	v_cmp_gt_u32_e64 s[4:5], 8, v30
	v_lshlrev_b64 v[29:30], v29, v[8:9]
	v_sub_u32_e32 v30, 29, v33
	v_and_b32_e32 v29, 7, v29
	v_cndmask_b32_e64 v30, v32, v30, s[4:5]
	v_cndmask_b32_e64 v29, v31, v29, s[4:5]
	v_lshlrev_b32_e32 v8, 24, v8
	v_lshlrev_b32_e32 v29, 20, v29
	v_and_b32_e32 v8, 0x80000000, v8
	v_lshl_add_u32 v30, v30, 23, v60
	v_or3_b32 v29, v8, v30, v29
.LBB322_145:                            ;   in Loop: Header=BB322_9 Depth=1
	s_or_b64 exec, exec, s[36:37]
.LBB322_146:                            ;   in Loop: Header=BB322_9 Depth=1
	s_or_b64 exec, exec, s[34:35]
.LBB322_147:                            ;   in Loop: Header=BB322_9 Depth=1
	s_or_b64 exec, exec, s[16:17]
	v_cmp_lt_u32_e64 s[4:5], s43, v7
	v_mov_b32_e32 v31, 0
	v_mov_b32_e32 v30, 0
	s_and_saveexec_b64 s[16:17], s[4:5]
	s_cbranch_execz .LBB322_153
; %bb.148:                              ;   in Loop: Header=BB322_9 Depth=1
	v_lshrrev_b32_e32 v8, 24, v7
	v_cmp_ne_u32_e64 s[4:5], s41, v8
	v_bfrev_b32_e32 v30, 1
	s_and_saveexec_b64 s[34:35], s[4:5]
	s_cbranch_execz .LBB322_152
; %bb.149:                              ;   in Loop: Header=BB322_9 Depth=1
	v_bfe_u32 v7, v7, 24, 7
	v_cmp_ne_u32_e64 s[4:5], s42, v7
	v_mov_b32_e32 v30, 0x7f800001
	s_and_saveexec_b64 s[36:37], s[4:5]
	s_cbranch_execz .LBB322_151
; %bb.150:                              ;   in Loop: Header=BB322_9 Depth=1
	v_and_b32_e32 v30, 7, v8
	v_lshrrev_b32_e32 v34, 3, v7
	v_cmp_gt_u32_e64 s[4:5], 8, v7
	v_ffbh_u32_e32 v7, v30
	v_min_u32_e32 v7, 32, v7
	v_subrev_u32_e32 v32, 28, v7
	v_lshlrev_b64 v[32:33], v32, v[8:9]
	v_sub_u32_e32 v7, 29, v7
	v_and_b32_e32 v32, 7, v32
	v_cndmask_b32_e64 v7, v34, v7, s[4:5]
	v_cndmask_b32_e64 v30, v30, v32, s[4:5]
	v_lshlrev_b32_e32 v8, 24, v8
	v_lshlrev_b32_e32 v30, 20, v30
	v_and_b32_e32 v8, 0x80000000, v8
	v_lshl_add_u32 v7, v7, 23, v60
	v_or3_b32 v30, v8, v7, v30
.LBB322_151:                            ;   in Loop: Header=BB322_9 Depth=1
	s_or_b64 exec, exec, s[36:37]
.LBB322_152:                            ;   in Loop: Header=BB322_9 Depth=1
	s_or_b64 exec, exec, s[34:35]
.LBB322_153:                            ;   in Loop: Header=BB322_9 Depth=1
	s_or_b64 exec, exec, s[16:17]
	global_load_dword v7, v[5:6], off offset:1536
	s_waitcnt vmcnt(0)
	v_cmp_ne_u16_sdwa s[4:5], v7, v59 src0_sel:BYTE_0 src1_sel:DWORD
	s_and_saveexec_b64 s[16:17], s[4:5]
	s_cbranch_execz .LBB322_159
; %bb.154:                              ;   in Loop: Header=BB322_9 Depth=1
	v_cmp_ne_u16_sdwa s[4:5], v7, s41 src0_sel:BYTE_0 src1_sel:DWORD
	v_bfrev_b32_e32 v31, 1
	s_and_saveexec_b64 s[34:35], s[4:5]
	s_cbranch_execz .LBB322_158
; %bb.155:                              ;   in Loop: Header=BB322_9 Depth=1
	v_and_b32_e32 v8, 0x7f, v7
	v_cmp_ne_u32_e64 s[4:5], s42, v8
	v_mov_b32_e32 v31, 0x7f800001
	s_and_saveexec_b64 s[36:37], s[4:5]
	s_cbranch_execz .LBB322_157
; %bb.156:                              ;   in Loop: Header=BB322_9 Depth=1
	v_and_b32_e32 v33, 7, v7
	v_lshrrev_b32_e32 v34, 3, v8
	v_cmp_gt_u32_e64 s[4:5], 8, v8
	v_ffbh_u32_e32 v8, v33
	v_min_u32_e32 v8, 32, v8
	v_subrev_u32_e32 v31, 28, v8
	v_lshlrev_b64 v[31:32], v31, v[7:8]
	v_sub_u32_e32 v8, 29, v8
	v_and_b32_e32 v31, 7, v31
	v_cndmask_b32_e64 v8, v34, v8, s[4:5]
	v_cndmask_b32_e64 v31, v33, v31, s[4:5]
	v_lshlrev_b32_e32 v32, 24, v7
	v_lshlrev_b32_e32 v31, 20, v31
	v_and_b32_e32 v32, 0x80000000, v32
	v_lshl_add_u32 v8, v8, 23, v60
	v_or3_b32 v31, v32, v8, v31
.LBB322_157:                            ;   in Loop: Header=BB322_9 Depth=1
	s_or_b64 exec, exec, s[36:37]
.LBB322_158:                            ;   in Loop: Header=BB322_9 Depth=1
	s_or_b64 exec, exec, s[34:35]
.LBB322_159:                            ;   in Loop: Header=BB322_9 Depth=1
	s_or_b64 exec, exec, s[16:17]
	v_lshrrev_b16_e32 v8, 8, v7
	v_cmp_ne_u16_e64 s[4:5], 0, v8
	v_mov_b32_e32 v33, 0
	v_mov_b32_e32 v32, 0
	s_and_saveexec_b64 s[16:17], s[4:5]
	s_cbranch_execz .LBB322_165
; %bb.160:                              ;   in Loop: Header=BB322_9 Depth=1
	v_cmp_ne_u16_e64 s[4:5], s41, v8
	v_bfrev_b32_e32 v32, 1
	s_and_saveexec_b64 s[34:35], s[4:5]
	s_cbranch_execz .LBB322_164
; %bb.161:                              ;   in Loop: Header=BB322_9 Depth=1
	v_and_b32_e32 v34, 0x7f, v8
	v_cmp_ne_u32_e64 s[4:5], s42, v34
	v_mov_b32_e32 v32, 0x7f800001
	s_and_saveexec_b64 s[36:37], s[4:5]
	s_cbranch_execz .LBB322_163
; %bb.162:                              ;   in Loop: Header=BB322_9 Depth=1
	v_and_b32_e32 v32, 7, v8
	v_lshrrev_b32_e32 v36, 3, v34
	v_cmp_gt_u32_e64 s[4:5], 8, v34
	v_ffbh_u32_e32 v34, v32
	v_min_u32_e32 v37, 32, v34
	v_subrev_u32_e32 v34, 28, v37
	v_lshlrev_b64 v[34:35], v34, v[8:9]
	v_sub_u32_e32 v8, 29, v37
	v_and_b32_e32 v34, 7, v34
	v_cndmask_b32_e64 v8, v36, v8, s[4:5]
	v_cndmask_b32_e64 v32, v32, v34, s[4:5]
	v_lshlrev_b32_e32 v34, 16, v7
	v_lshlrev_b32_e32 v32, 20, v32
	v_and_b32_e32 v34, 0x80000000, v34
	v_lshl_add_u32 v8, v8, 23, v60
	v_or3_b32 v32, v34, v8, v32
.LBB322_163:                            ;   in Loop: Header=BB322_9 Depth=1
	s_or_b64 exec, exec, s[36:37]
.LBB322_164:                            ;   in Loop: Header=BB322_9 Depth=1
	s_or_b64 exec, exec, s[34:35]
.LBB322_165:                            ;   in Loop: Header=BB322_9 Depth=1
	s_or_b64 exec, exec, s[16:17]
	v_lshrrev_b32_e32 v8, 16, v7
	v_cmp_ne_u16_sdwa s[4:5], v8, v59 src0_sel:BYTE_0 src1_sel:DWORD
	s_and_saveexec_b64 s[16:17], s[4:5]
	s_cbranch_execz .LBB322_171
; %bb.166:                              ;   in Loop: Header=BB322_9 Depth=1
	v_cmp_ne_u16_sdwa s[4:5], v8, s41 src0_sel:BYTE_0 src1_sel:DWORD
	v_bfrev_b32_e32 v33, 1
	s_and_saveexec_b64 s[34:35], s[4:5]
	s_cbranch_execz .LBB322_170
; %bb.167:                              ;   in Loop: Header=BB322_9 Depth=1
	v_bfe_u32 v34, v7, 16, 7
	v_cmp_ne_u32_e64 s[4:5], s42, v34
	v_mov_b32_e32 v33, 0x7f800001
	s_and_saveexec_b64 s[36:37], s[4:5]
	s_cbranch_execz .LBB322_169
; %bb.168:                              ;   in Loop: Header=BB322_9 Depth=1
	v_and_b32_e32 v35, 7, v8
	v_ffbh_u32_e32 v33, v35
	v_min_u32_e32 v37, 32, v33
	v_subrev_u32_e32 v33, 28, v37
	v_lshrrev_b32_e32 v36, 3, v34
	v_cmp_gt_u32_e64 s[4:5], 8, v34
	v_lshlrev_b64 v[33:34], v33, v[8:9]
	v_sub_u32_e32 v34, 29, v37
	v_and_b32_e32 v33, 7, v33
	v_cndmask_b32_e64 v34, v36, v34, s[4:5]
	v_cndmask_b32_e64 v33, v35, v33, s[4:5]
	v_lshlrev_b32_e32 v8, 24, v8
	v_lshlrev_b32_e32 v33, 20, v33
	v_and_b32_e32 v8, 0x80000000, v8
	v_lshl_add_u32 v34, v34, 23, v60
	v_or3_b32 v33, v8, v34, v33
.LBB322_169:                            ;   in Loop: Header=BB322_9 Depth=1
	s_or_b64 exec, exec, s[36:37]
.LBB322_170:                            ;   in Loop: Header=BB322_9 Depth=1
	s_or_b64 exec, exec, s[34:35]
.LBB322_171:                            ;   in Loop: Header=BB322_9 Depth=1
	s_or_b64 exec, exec, s[16:17]
	v_cmp_lt_u32_e64 s[4:5], s43, v7
	v_mov_b32_e32 v35, 0
	v_mov_b32_e32 v34, 0
	s_and_saveexec_b64 s[16:17], s[4:5]
	s_cbranch_execz .LBB322_177
; %bb.172:                              ;   in Loop: Header=BB322_9 Depth=1
	v_lshrrev_b32_e32 v8, 24, v7
	v_cmp_ne_u32_e64 s[4:5], s41, v8
	v_bfrev_b32_e32 v34, 1
	s_and_saveexec_b64 s[34:35], s[4:5]
	s_cbranch_execz .LBB322_176
; %bb.173:                              ;   in Loop: Header=BB322_9 Depth=1
	v_bfe_u32 v7, v7, 24, 7
	v_cmp_ne_u32_e64 s[4:5], s42, v7
	v_mov_b32_e32 v34, 0x7f800001
	s_and_saveexec_b64 s[36:37], s[4:5]
	s_cbranch_execz .LBB322_175
; %bb.174:                              ;   in Loop: Header=BB322_9 Depth=1
	v_and_b32_e32 v34, 7, v8
	v_lshrrev_b32_e32 v38, 3, v7
	v_cmp_gt_u32_e64 s[4:5], 8, v7
	v_ffbh_u32_e32 v7, v34
	v_min_u32_e32 v7, 32, v7
	v_subrev_u32_e32 v36, 28, v7
	v_lshlrev_b64 v[36:37], v36, v[8:9]
	v_sub_u32_e32 v7, 29, v7
	v_and_b32_e32 v36, 7, v36
	v_cndmask_b32_e64 v7, v38, v7, s[4:5]
	v_cndmask_b32_e64 v34, v34, v36, s[4:5]
	v_lshlrev_b32_e32 v8, 24, v8
	v_lshlrev_b32_e32 v34, 20, v34
	v_and_b32_e32 v8, 0x80000000, v8
	v_lshl_add_u32 v7, v7, 23, v60
	v_or3_b32 v34, v8, v7, v34
.LBB322_175:                            ;   in Loop: Header=BB322_9 Depth=1
	s_or_b64 exec, exec, s[36:37]
.LBB322_176:                            ;   in Loop: Header=BB322_9 Depth=1
	s_or_b64 exec, exec, s[34:35]
.LBB322_177:                            ;   in Loop: Header=BB322_9 Depth=1
	s_or_b64 exec, exec, s[16:17]
	global_load_dword v7, v[5:6], off offset:1544
	s_waitcnt vmcnt(0)
	v_cmp_ne_u16_sdwa s[4:5], v7, v59 src0_sel:BYTE_0 src1_sel:DWORD
	s_and_saveexec_b64 s[16:17], s[4:5]
	s_cbranch_execz .LBB322_183
; %bb.178:                              ;   in Loop: Header=BB322_9 Depth=1
	v_cmp_ne_u16_sdwa s[4:5], v7, s41 src0_sel:BYTE_0 src1_sel:DWORD
	v_bfrev_b32_e32 v35, 1
	s_and_saveexec_b64 s[34:35], s[4:5]
	s_cbranch_execz .LBB322_182
; %bb.179:                              ;   in Loop: Header=BB322_9 Depth=1
	v_and_b32_e32 v8, 0x7f, v7
	v_cmp_ne_u32_e64 s[4:5], s42, v8
	v_mov_b32_e32 v35, 0x7f800001
	s_and_saveexec_b64 s[36:37], s[4:5]
	s_cbranch_execz .LBB322_181
; %bb.180:                              ;   in Loop: Header=BB322_9 Depth=1
	v_and_b32_e32 v37, 7, v7
	v_lshrrev_b32_e32 v38, 3, v8
	v_cmp_gt_u32_e64 s[4:5], 8, v8
	v_ffbh_u32_e32 v8, v37
	v_min_u32_e32 v8, 32, v8
	v_subrev_u32_e32 v35, 28, v8
	v_lshlrev_b64 v[35:36], v35, v[7:8]
	v_sub_u32_e32 v8, 29, v8
	v_and_b32_e32 v35, 7, v35
	v_cndmask_b32_e64 v8, v38, v8, s[4:5]
	v_cndmask_b32_e64 v35, v37, v35, s[4:5]
	v_lshlrev_b32_e32 v36, 24, v7
	v_lshlrev_b32_e32 v35, 20, v35
	v_and_b32_e32 v36, 0x80000000, v36
	v_lshl_add_u32 v8, v8, 23, v60
	v_or3_b32 v35, v36, v8, v35
.LBB322_181:                            ;   in Loop: Header=BB322_9 Depth=1
	s_or_b64 exec, exec, s[36:37]
.LBB322_182:                            ;   in Loop: Header=BB322_9 Depth=1
	s_or_b64 exec, exec, s[34:35]
.LBB322_183:                            ;   in Loop: Header=BB322_9 Depth=1
	s_or_b64 exec, exec, s[16:17]
	v_lshrrev_b16_e32 v8, 8, v7
	v_cmp_ne_u16_e64 s[4:5], 0, v8
	v_mov_b32_e32 v37, 0
	v_mov_b32_e32 v36, 0
	s_and_saveexec_b64 s[16:17], s[4:5]
	s_cbranch_execz .LBB322_189
; %bb.184:                              ;   in Loop: Header=BB322_9 Depth=1
	v_cmp_ne_u16_e64 s[4:5], s41, v8
	v_bfrev_b32_e32 v36, 1
	s_and_saveexec_b64 s[34:35], s[4:5]
	s_cbranch_execz .LBB322_188
; %bb.185:                              ;   in Loop: Header=BB322_9 Depth=1
	v_and_b32_e32 v38, 0x7f, v8
	v_cmp_ne_u32_e64 s[4:5], s42, v38
	v_mov_b32_e32 v36, 0x7f800001
	s_and_saveexec_b64 s[36:37], s[4:5]
	s_cbranch_execz .LBB322_187
; %bb.186:                              ;   in Loop: Header=BB322_9 Depth=1
	v_and_b32_e32 v36, 7, v8
	v_lshrrev_b32_e32 v40, 3, v38
	v_cmp_gt_u32_e64 s[4:5], 8, v38
	v_ffbh_u32_e32 v38, v36
	v_min_u32_e32 v41, 32, v38
	v_subrev_u32_e32 v38, 28, v41
	v_lshlrev_b64 v[38:39], v38, v[8:9]
	v_sub_u32_e32 v8, 29, v41
	v_and_b32_e32 v38, 7, v38
	v_cndmask_b32_e64 v8, v40, v8, s[4:5]
	v_cndmask_b32_e64 v36, v36, v38, s[4:5]
	v_lshlrev_b32_e32 v38, 16, v7
	v_lshlrev_b32_e32 v36, 20, v36
	v_and_b32_e32 v38, 0x80000000, v38
	v_lshl_add_u32 v8, v8, 23, v60
	v_or3_b32 v36, v38, v8, v36
.LBB322_187:                            ;   in Loop: Header=BB322_9 Depth=1
	s_or_b64 exec, exec, s[36:37]
.LBB322_188:                            ;   in Loop: Header=BB322_9 Depth=1
	s_or_b64 exec, exec, s[34:35]
.LBB322_189:                            ;   in Loop: Header=BB322_9 Depth=1
	s_or_b64 exec, exec, s[16:17]
	v_lshrrev_b32_e32 v8, 16, v7
	v_cmp_ne_u16_sdwa s[4:5], v8, v59 src0_sel:BYTE_0 src1_sel:DWORD
	s_and_saveexec_b64 s[16:17], s[4:5]
	s_cbranch_execz .LBB322_195
; %bb.190:                              ;   in Loop: Header=BB322_9 Depth=1
	v_cmp_ne_u16_sdwa s[4:5], v8, s41 src0_sel:BYTE_0 src1_sel:DWORD
	v_bfrev_b32_e32 v37, 1
	s_and_saveexec_b64 s[34:35], s[4:5]
	s_cbranch_execz .LBB322_194
; %bb.191:                              ;   in Loop: Header=BB322_9 Depth=1
	v_bfe_u32 v38, v7, 16, 7
	v_cmp_ne_u32_e64 s[4:5], s42, v38
	v_mov_b32_e32 v37, 0x7f800001
	s_and_saveexec_b64 s[36:37], s[4:5]
	s_cbranch_execz .LBB322_193
; %bb.192:                              ;   in Loop: Header=BB322_9 Depth=1
	v_and_b32_e32 v39, 7, v8
	v_ffbh_u32_e32 v37, v39
	v_min_u32_e32 v41, 32, v37
	v_subrev_u32_e32 v37, 28, v41
	v_lshrrev_b32_e32 v40, 3, v38
	v_cmp_gt_u32_e64 s[4:5], 8, v38
	v_lshlrev_b64 v[37:38], v37, v[8:9]
	v_sub_u32_e32 v38, 29, v41
	v_and_b32_e32 v37, 7, v37
	v_cndmask_b32_e64 v38, v40, v38, s[4:5]
	v_cndmask_b32_e64 v37, v39, v37, s[4:5]
	v_lshlrev_b32_e32 v8, 24, v8
	v_lshlrev_b32_e32 v37, 20, v37
	v_and_b32_e32 v8, 0x80000000, v8
	v_lshl_add_u32 v38, v38, 23, v60
	v_or3_b32 v37, v8, v38, v37
.LBB322_193:                            ;   in Loop: Header=BB322_9 Depth=1
	s_or_b64 exec, exec, s[36:37]
.LBB322_194:                            ;   in Loop: Header=BB322_9 Depth=1
	s_or_b64 exec, exec, s[34:35]
.LBB322_195:                            ;   in Loop: Header=BB322_9 Depth=1
	s_or_b64 exec, exec, s[16:17]
	v_cmp_lt_u32_e64 s[4:5], s43, v7
	v_mov_b32_e32 v39, 0
	v_mov_b32_e32 v38, 0
	s_and_saveexec_b64 s[16:17], s[4:5]
	s_cbranch_execz .LBB322_201
; %bb.196:                              ;   in Loop: Header=BB322_9 Depth=1
	v_lshrrev_b32_e32 v8, 24, v7
	v_cmp_ne_u32_e64 s[4:5], s41, v8
	v_bfrev_b32_e32 v38, 1
	s_and_saveexec_b64 s[34:35], s[4:5]
	s_cbranch_execz .LBB322_200
; %bb.197:                              ;   in Loop: Header=BB322_9 Depth=1
	v_bfe_u32 v7, v7, 24, 7
	v_cmp_ne_u32_e64 s[4:5], s42, v7
	v_mov_b32_e32 v38, 0x7f800001
	s_and_saveexec_b64 s[36:37], s[4:5]
	s_cbranch_execz .LBB322_199
; %bb.198:                              ;   in Loop: Header=BB322_9 Depth=1
	v_and_b32_e32 v38, 7, v8
	v_lshrrev_b32_e32 v42, 3, v7
	v_cmp_gt_u32_e64 s[4:5], 8, v7
	v_ffbh_u32_e32 v7, v38
	v_min_u32_e32 v7, 32, v7
	v_subrev_u32_e32 v40, 28, v7
	v_lshlrev_b64 v[40:41], v40, v[8:9]
	v_sub_u32_e32 v7, 29, v7
	v_and_b32_e32 v40, 7, v40
	v_cndmask_b32_e64 v7, v42, v7, s[4:5]
	v_cndmask_b32_e64 v38, v38, v40, s[4:5]
	v_lshlrev_b32_e32 v8, 24, v8
	v_lshlrev_b32_e32 v38, 20, v38
	v_and_b32_e32 v8, 0x80000000, v8
	v_lshl_add_u32 v7, v7, 23, v60
	v_or3_b32 v38, v8, v7, v38
.LBB322_199:                            ;   in Loop: Header=BB322_9 Depth=1
	s_or_b64 exec, exec, s[36:37]
.LBB322_200:                            ;   in Loop: Header=BB322_9 Depth=1
	s_or_b64 exec, exec, s[34:35]
.LBB322_201:                            ;   in Loop: Header=BB322_9 Depth=1
	s_or_b64 exec, exec, s[16:17]
	global_load_dword v7, v[5:6], off offset:2048
	s_waitcnt vmcnt(0)
	v_cmp_ne_u16_sdwa s[4:5], v7, v59 src0_sel:BYTE_0 src1_sel:DWORD
	s_and_saveexec_b64 s[16:17], s[4:5]
	s_cbranch_execz .LBB322_207
; %bb.202:                              ;   in Loop: Header=BB322_9 Depth=1
	v_cmp_ne_u16_sdwa s[4:5], v7, s41 src0_sel:BYTE_0 src1_sel:DWORD
	v_bfrev_b32_e32 v39, 1
	s_and_saveexec_b64 s[34:35], s[4:5]
	s_cbranch_execz .LBB322_206
; %bb.203:                              ;   in Loop: Header=BB322_9 Depth=1
	v_and_b32_e32 v8, 0x7f, v7
	v_cmp_ne_u32_e64 s[4:5], s42, v8
	v_mov_b32_e32 v39, 0x7f800001
	s_and_saveexec_b64 s[36:37], s[4:5]
	s_cbranch_execz .LBB322_205
; %bb.204:                              ;   in Loop: Header=BB322_9 Depth=1
	v_and_b32_e32 v41, 7, v7
	v_lshrrev_b32_e32 v42, 3, v8
	v_cmp_gt_u32_e64 s[4:5], 8, v8
	v_ffbh_u32_e32 v8, v41
	v_min_u32_e32 v8, 32, v8
	v_subrev_u32_e32 v39, 28, v8
	v_lshlrev_b64 v[39:40], v39, v[7:8]
	v_sub_u32_e32 v8, 29, v8
	v_and_b32_e32 v39, 7, v39
	v_cndmask_b32_e64 v8, v42, v8, s[4:5]
	v_cndmask_b32_e64 v39, v41, v39, s[4:5]
	v_lshlrev_b32_e32 v40, 24, v7
	v_lshlrev_b32_e32 v39, 20, v39
	v_and_b32_e32 v40, 0x80000000, v40
	v_lshl_add_u32 v8, v8, 23, v60
	v_or3_b32 v39, v40, v8, v39
.LBB322_205:                            ;   in Loop: Header=BB322_9 Depth=1
	s_or_b64 exec, exec, s[36:37]
.LBB322_206:                            ;   in Loop: Header=BB322_9 Depth=1
	s_or_b64 exec, exec, s[34:35]
.LBB322_207:                            ;   in Loop: Header=BB322_9 Depth=1
	s_or_b64 exec, exec, s[16:17]
	v_lshrrev_b16_e32 v8, 8, v7
	v_cmp_ne_u16_e64 s[4:5], 0, v8
	v_mov_b32_e32 v41, 0
	v_mov_b32_e32 v40, 0
	s_and_saveexec_b64 s[16:17], s[4:5]
	s_cbranch_execz .LBB322_213
; %bb.208:                              ;   in Loop: Header=BB322_9 Depth=1
	v_cmp_ne_u16_e64 s[4:5], s41, v8
	v_bfrev_b32_e32 v40, 1
	s_and_saveexec_b64 s[34:35], s[4:5]
	s_cbranch_execz .LBB322_212
; %bb.209:                              ;   in Loop: Header=BB322_9 Depth=1
	v_and_b32_e32 v42, 0x7f, v8
	v_cmp_ne_u32_e64 s[4:5], s42, v42
	v_mov_b32_e32 v40, 0x7f800001
	s_and_saveexec_b64 s[36:37], s[4:5]
	s_cbranch_execz .LBB322_211
; %bb.210:                              ;   in Loop: Header=BB322_9 Depth=1
	v_and_b32_e32 v40, 7, v8
	v_lshrrev_b32_e32 v44, 3, v42
	v_cmp_gt_u32_e64 s[4:5], 8, v42
	v_ffbh_u32_e32 v42, v40
	v_min_u32_e32 v45, 32, v42
	v_subrev_u32_e32 v42, 28, v45
	v_lshlrev_b64 v[42:43], v42, v[8:9]
	v_sub_u32_e32 v8, 29, v45
	v_and_b32_e32 v42, 7, v42
	v_cndmask_b32_e64 v8, v44, v8, s[4:5]
	v_cndmask_b32_e64 v40, v40, v42, s[4:5]
	v_lshlrev_b32_e32 v42, 16, v7
	v_lshlrev_b32_e32 v40, 20, v40
	v_and_b32_e32 v42, 0x80000000, v42
	v_lshl_add_u32 v8, v8, 23, v60
	v_or3_b32 v40, v42, v8, v40
.LBB322_211:                            ;   in Loop: Header=BB322_9 Depth=1
	s_or_b64 exec, exec, s[36:37]
.LBB322_212:                            ;   in Loop: Header=BB322_9 Depth=1
	s_or_b64 exec, exec, s[34:35]
.LBB322_213:                            ;   in Loop: Header=BB322_9 Depth=1
	s_or_b64 exec, exec, s[16:17]
	v_lshrrev_b32_e32 v8, 16, v7
	v_cmp_ne_u16_sdwa s[4:5], v8, v59 src0_sel:BYTE_0 src1_sel:DWORD
	s_and_saveexec_b64 s[16:17], s[4:5]
	s_cbranch_execz .LBB322_219
; %bb.214:                              ;   in Loop: Header=BB322_9 Depth=1
	v_cmp_ne_u16_sdwa s[4:5], v8, s41 src0_sel:BYTE_0 src1_sel:DWORD
	v_bfrev_b32_e32 v41, 1
	s_and_saveexec_b64 s[34:35], s[4:5]
	s_cbranch_execz .LBB322_218
; %bb.215:                              ;   in Loop: Header=BB322_9 Depth=1
	v_bfe_u32 v42, v7, 16, 7
	v_cmp_ne_u32_e64 s[4:5], s42, v42
	v_mov_b32_e32 v41, 0x7f800001
	s_and_saveexec_b64 s[36:37], s[4:5]
	s_cbranch_execz .LBB322_217
; %bb.216:                              ;   in Loop: Header=BB322_9 Depth=1
	v_and_b32_e32 v43, 7, v8
	v_ffbh_u32_e32 v41, v43
	v_min_u32_e32 v45, 32, v41
	v_subrev_u32_e32 v41, 28, v45
	v_lshrrev_b32_e32 v44, 3, v42
	v_cmp_gt_u32_e64 s[4:5], 8, v42
	v_lshlrev_b64 v[41:42], v41, v[8:9]
	v_sub_u32_e32 v42, 29, v45
	v_and_b32_e32 v41, 7, v41
	v_cndmask_b32_e64 v42, v44, v42, s[4:5]
	v_cndmask_b32_e64 v41, v43, v41, s[4:5]
	v_lshlrev_b32_e32 v8, 24, v8
	v_lshlrev_b32_e32 v41, 20, v41
	v_and_b32_e32 v8, 0x80000000, v8
	v_lshl_add_u32 v42, v42, 23, v60
	v_or3_b32 v41, v8, v42, v41
.LBB322_217:                            ;   in Loop: Header=BB322_9 Depth=1
	s_or_b64 exec, exec, s[36:37]
.LBB322_218:                            ;   in Loop: Header=BB322_9 Depth=1
	s_or_b64 exec, exec, s[34:35]
.LBB322_219:                            ;   in Loop: Header=BB322_9 Depth=1
	s_or_b64 exec, exec, s[16:17]
	v_cmp_lt_u32_e64 s[4:5], s43, v7
	v_mov_b32_e32 v44, 0
	v_mov_b32_e32 v43, 0
	s_and_saveexec_b64 s[16:17], s[4:5]
	s_cbranch_execz .LBB322_225
; %bb.220:                              ;   in Loop: Header=BB322_9 Depth=1
	v_lshrrev_b32_e32 v8, 24, v7
	v_cmp_ne_u32_e64 s[4:5], s41, v8
	v_bfrev_b32_e32 v43, 1
	s_and_saveexec_b64 s[34:35], s[4:5]
	s_cbranch_execz .LBB322_224
; %bb.221:                              ;   in Loop: Header=BB322_9 Depth=1
	v_bfe_u32 v7, v7, 24, 7
	v_cmp_ne_u32_e64 s[4:5], s42, v7
	v_mov_b32_e32 v43, 0x7f800001
	s_and_saveexec_b64 s[36:37], s[4:5]
	s_cbranch_execz .LBB322_223
; %bb.222:                              ;   in Loop: Header=BB322_9 Depth=1
	v_and_b32_e32 v45, 7, v8
	v_lshrrev_b32_e32 v46, 3, v7
	v_cmp_gt_u32_e64 s[4:5], 8, v7
	v_ffbh_u32_e32 v7, v45
	v_min_u32_e32 v7, 32, v7
	v_subrev_u32_e32 v42, 28, v7
	v_lshlrev_b64 v[42:43], v42, v[8:9]
	v_sub_u32_e32 v7, 29, v7
	v_and_b32_e32 v42, 7, v42
	v_cndmask_b32_e64 v7, v46, v7, s[4:5]
	v_cndmask_b32_e64 v42, v45, v42, s[4:5]
	v_lshlrev_b32_e32 v8, 24, v8
	v_lshlrev_b32_e32 v42, 20, v42
	v_and_b32_e32 v8, 0x80000000, v8
	v_lshl_add_u32 v7, v7, 23, v60
	v_or3_b32 v43, v8, v7, v42
.LBB322_223:                            ;   in Loop: Header=BB322_9 Depth=1
	s_or_b64 exec, exec, s[36:37]
.LBB322_224:                            ;   in Loop: Header=BB322_9 Depth=1
	s_or_b64 exec, exec, s[34:35]
.LBB322_225:                            ;   in Loop: Header=BB322_9 Depth=1
	s_or_b64 exec, exec, s[16:17]
	global_load_dword v5, v[5:6], off offset:2056
	s_waitcnt vmcnt(0)
	v_cmp_ne_u16_sdwa s[4:5], v5, v59 src0_sel:BYTE_0 src1_sel:DWORD
	s_and_saveexec_b64 s[16:17], s[4:5]
	s_cbranch_execz .LBB322_231
; %bb.226:                              ;   in Loop: Header=BB322_9 Depth=1
	v_cmp_ne_u16_sdwa s[4:5], v5, s41 src0_sel:BYTE_0 src1_sel:DWORD
	v_bfrev_b32_e32 v44, 1
	s_and_saveexec_b64 s[34:35], s[4:5]
	s_cbranch_execz .LBB322_230
; %bb.227:                              ;   in Loop: Header=BB322_9 Depth=1
	v_and_b32_e32 v6, 0x7f, v5
	v_cmp_ne_u32_e64 s[4:5], s42, v6
	v_mov_b32_e32 v44, 0x7f800001
	s_and_saveexec_b64 s[36:37], s[4:5]
	s_cbranch_execz .LBB322_229
; %bb.228:                              ;   in Loop: Header=BB322_9 Depth=1
	v_and_b32_e32 v8, 7, v5
	v_lshrrev_b32_e32 v42, 3, v6
	v_cmp_gt_u32_e64 s[4:5], 8, v6
	v_ffbh_u32_e32 v6, v8
	v_min_u32_e32 v44, 32, v6
	v_subrev_u32_e32 v6, 28, v44
	v_lshlrev_b64 v[6:7], v6, v[5:6]
	v_sub_u32_e32 v7, 29, v44
	v_and_b32_e32 v6, 7, v6
	v_cndmask_b32_e64 v7, v42, v7, s[4:5]
	v_cndmask_b32_e64 v6, v8, v6, s[4:5]
	v_lshlrev_b32_e32 v8, 24, v5
	v_lshlrev_b32_e32 v6, 20, v6
	v_and_b32_e32 v8, 0x80000000, v8
	v_lshl_add_u32 v7, v7, 23, v60
	v_or3_b32 v44, v8, v7, v6
.LBB322_229:                            ;   in Loop: Header=BB322_9 Depth=1
	s_or_b64 exec, exec, s[36:37]
.LBB322_230:                            ;   in Loop: Header=BB322_9 Depth=1
	s_or_b64 exec, exec, s[34:35]
.LBB322_231:                            ;   in Loop: Header=BB322_9 Depth=1
	s_or_b64 exec, exec, s[16:17]
	v_lshrrev_b16_e32 v6, 8, v5
	v_cmp_ne_u16_e64 s[4:5], 0, v6
	v_mov_b32_e32 v7, 0
	v_mov_b32_e32 v8, 0
	s_and_saveexec_b64 s[16:17], s[4:5]
	s_cbranch_execz .LBB322_237
; %bb.232:                              ;   in Loop: Header=BB322_9 Depth=1
	v_cmp_ne_u16_e64 s[4:5], s41, v6
	v_bfrev_b32_e32 v8, 1
	s_and_saveexec_b64 s[34:35], s[4:5]
	s_cbranch_execz .LBB322_236
; %bb.233:                              ;   in Loop: Header=BB322_9 Depth=1
	v_and_b32_e32 v42, 0x7f, v6
	v_cmp_ne_u32_e64 s[4:5], s42, v42
	v_mov_b32_e32 v8, 0x7f800001
	s_and_saveexec_b64 s[36:37], s[4:5]
	s_cbranch_execz .LBB322_235
; %bb.234:                              ;   in Loop: Header=BB322_9 Depth=1
	v_and_b32_e32 v8, 7, v6
	v_lshrrev_b32_e32 v47, 3, v42
	v_cmp_gt_u32_e64 s[4:5], 8, v42
	v_ffbh_u32_e32 v42, v8
	v_min_u32_e32 v42, 32, v42
	v_subrev_u32_e32 v45, 28, v42
	v_lshlrev_b64 v[45:46], v45, v[6:7]
	v_sub_u32_e32 v6, 29, v42
	v_cndmask_b32_e64 v6, v47, v6, s[4:5]
	buffer_load_dword v47, off, s[48:51], 0 offset:136 ; 4-byte Folded Reload
	v_and_b32_e32 v42, 7, v45
	v_cndmask_b32_e64 v8, v8, v42, s[4:5]
	v_lshlrev_b32_e32 v42, 16, v5
	v_lshlrev_b32_e32 v8, 20, v8
	v_and_b32_e32 v42, 0x80000000, v42
	v_lshl_add_u32 v6, v6, 23, v60
	v_or3_b32 v8, v42, v6, v8
.LBB322_235:                            ;   in Loop: Header=BB322_9 Depth=1
	s_or_b64 exec, exec, s[36:37]
.LBB322_236:                            ;   in Loop: Header=BB322_9 Depth=1
	s_or_b64 exec, exec, s[34:35]
.LBB322_237:                            ;   in Loop: Header=BB322_9 Depth=1
	s_or_b64 exec, exec, s[16:17]
	v_lshrrev_b32_e32 v6, 16, v5
	v_cmp_ne_u16_sdwa s[4:5], v6, v59 src0_sel:BYTE_0 src1_sel:DWORD
	s_and_saveexec_b64 s[16:17], s[4:5]
	s_cbranch_execz .LBB322_243
; %bb.238:                              ;   in Loop: Header=BB322_9 Depth=1
	v_cmp_ne_u16_sdwa s[4:5], v6, s41 src0_sel:BYTE_0 src1_sel:DWORD
	v_bfrev_b32_e32 v7, 1
	s_and_saveexec_b64 s[34:35], s[4:5]
	s_cbranch_execz .LBB322_242
; %bb.239:                              ;   in Loop: Header=BB322_9 Depth=1
	v_bfe_u32 v42, v5, 16, 7
	v_cmp_ne_u32_e64 s[4:5], s42, v42
	v_mov_b32_e32 v7, 0x7f800001
	s_and_saveexec_b64 s[36:37], s[4:5]
	s_cbranch_execz .LBB322_241
; %bb.240:                              ;   in Loop: Header=BB322_9 Depth=1
	v_and_b32_e32 v7, 7, v6
	s_waitcnt vmcnt(0)
	v_lshrrev_b32_e32 v47, 3, v42
	v_cmp_gt_u32_e64 s[4:5], 8, v42
	v_ffbh_u32_e32 v42, v7
	v_min_u32_e32 v42, 32, v42
	v_subrev_u32_e32 v45, 28, v42
	v_sub_u32_e32 v42, 29, v42
	v_cndmask_b32_e64 v42, v47, v42, s[4:5]
	buffer_load_dword v47, off, s[48:51], 0 offset:136 ; 4-byte Folded Reload
	v_lshlrev_b64 v[45:46], v45, v[6:7]
	v_lshlrev_b32_e32 v6, 24, v6
	v_and_b32_e32 v45, 7, v45
	v_cndmask_b32_e64 v7, v7, v45, s[4:5]
	v_lshlrev_b32_e32 v7, 20, v7
	v_and_b32_e32 v6, 0x80000000, v6
	v_lshl_add_u32 v42, v42, 23, v60
	v_or3_b32 v7, v6, v42, v7
.LBB322_241:                            ;   in Loop: Header=BB322_9 Depth=1
	s_or_b64 exec, exec, s[36:37]
.LBB322_242:                            ;   in Loop: Header=BB322_9 Depth=1
	s_or_b64 exec, exec, s[34:35]
.LBB322_243:                            ;   in Loop: Header=BB322_9 Depth=1
	s_or_b64 exec, exec, s[16:17]
	v_cmp_lt_u32_e64 s[4:5], s43, v5
	v_mov_b32_e32 v42, 0
	s_and_saveexec_b64 s[16:17], s[4:5]
	s_cbranch_execz .LBB322_249
; %bb.244:                              ;   in Loop: Header=BB322_9 Depth=1
	v_lshrrev_b32_e32 v6, 24, v5
	v_cmp_ne_u32_e64 s[4:5], s41, v6
	v_bfrev_b32_e32 v42, 1
	s_and_saveexec_b64 s[34:35], s[4:5]
	s_cbranch_execz .LBB322_248
; %bb.245:                              ;   in Loop: Header=BB322_9 Depth=1
	v_bfe_u32 v5, v5, 24, 7
	v_cmp_ne_u32_e64 s[4:5], s42, v5
	v_mov_b32_e32 v42, 0x7f800001
	s_and_saveexec_b64 s[36:37], s[4:5]
	s_cbranch_execz .LBB322_247
; %bb.246:                              ;   in Loop: Header=BB322_9 Depth=1
	v_and_b32_e32 v42, 7, v6
	s_waitcnt vmcnt(0)
	v_lshrrev_b32_e32 v47, 3, v5
	v_cmp_gt_u32_e64 s[4:5], 8, v5
	v_ffbh_u32_e32 v5, v42
	v_min_u32_e32 v5, 32, v5
	v_subrev_u32_e32 v45, 28, v5
	v_sub_u32_e32 v5, 29, v5
	v_cndmask_b32_e64 v5, v47, v5, s[4:5]
	buffer_load_dword v47, off, s[48:51], 0 offset:136 ; 4-byte Folded Reload
	v_lshlrev_b64 v[45:46], v45, v[6:7]
	v_lshlrev_b32_e32 v6, 24, v6
	v_and_b32_e32 v45, 7, v45
	v_cndmask_b32_e64 v42, v42, v45, s[4:5]
	v_lshlrev_b32_e32 v42, 20, v42
	v_and_b32_e32 v6, 0x80000000, v6
	v_lshl_add_u32 v5, v5, 23, v60
	v_or3_b32 v42, v6, v5, v42
.LBB322_247:                            ;   in Loop: Header=BB322_9 Depth=1
	s_or_b64 exec, exec, s[36:37]
.LBB322_248:                            ;   in Loop: Header=BB322_9 Depth=1
	s_or_b64 exec, exec, s[34:35]
.LBB322_249:                            ;   in Loop: Header=BB322_9 Depth=1
	s_or_b64 exec, exec, s[16:17]
	s_waitcnt lgkmcnt(0)
	v_mul_f32_e32 v5, s40, v8
	v_bfe_u32 v6, v5, 16, 1
	v_add3_u32 v6, v6, v5, s44
	v_or_b32_e32 v8, 0x400000, v5
	v_cmp_u_f32_e64 s[4:5], v5, v5
	v_cndmask_b32_e64 v5, v6, v8, s[4:5]
	v_mul_f32_e32 v6, s40, v44
	v_bfe_u32 v8, v6, 16, 1
	v_add3_u32 v8, v8, v6, s44
	v_or_b32_e32 v44, 0x400000, v6
	v_cmp_u_f32_e64 s[4:5], v6, v6
	v_cndmask_b32_e64 v6, v8, v44, s[4:5]
	;; [unrolled: 6-line block ×3, first 2 shown]
	v_mul_f32_e32 v41, s40, v43
	v_bfe_u32 v43, v41, 16, 1
	v_add3_u32 v43, v43, v41, s44
	v_or_b32_e32 v44, 0x400000, v41
	v_cmp_u_f32_e64 s[4:5], v41, v41
	v_mul_f32_e32 v40, s40, v40
	v_cndmask_b32_e64 v41, v43, v44, s[4:5]
	v_bfe_u32 v43, v40, 16, 1
	v_add3_u32 v43, v43, v40, s44
	v_or_b32_e32 v44, 0x400000, v40
	v_cmp_u_f32_e64 s[4:5], v40, v40
	v_mul_f32_e32 v39, s40, v39
	v_cndmask_b32_e64 v40, v43, v44, s[4:5]
	;; [unrolled: 6-line block ×27, first 2 shown]
	v_bfe_u32 v43, v0, 16, 1
	v_add3_u32 v43, v43, v0, s44
	v_or_b32_e32 v44, 0x400000, v0
	v_cmp_u_f32_e64 s[4:5], v0, v0
	v_mul_f32_e32 v0, s40, v10
	v_bfe_u32 v10, v0, 16, 1
	v_cndmask_b32_e64 v43, v43, v44, s[4:5]
	v_add3_u32 v10, v10, v0, s44
	v_or_b32_e32 v44, 0x400000, v0
	v_cmp_u_f32_e64 s[4:5], v0, v0
	v_mul_f32_e32 v0, s40, v12
	v_bfe_u32 v12, v0, 16, 1
	v_cndmask_b32_e64 v10, v10, v44, s[4:5]
	;; [unrolled: 6-line block ×5, first 2 shown]
	v_add3_u32 v9, v9, v0, s44
	v_or_b32_e32 v44, 0x400000, v0
	v_cmp_u_f32_e64 s[4:5], v0, v0
	v_mul_f32_e32 v0, s40, v63
	v_cndmask_b32_e64 v44, v9, v44, s[4:5]
	v_bfe_u32 v9, v0, 16, 1
	v_add3_u32 v9, v9, v0, s44
	v_or_b32_e32 v45, 0x400000, v0
	v_cmp_u_f32_e64 s[4:5], v0, v0
	v_mul_f32_e32 v0, s40, v62
	v_cndmask_b32_e64 v45, v9, v45, s[4:5]
	v_bfe_u32 v9, v0, 16, 1
	v_add3_u32 v9, v9, v0, s44
	v_or_b32_e32 v46, 0x400000, v0
	v_cmp_u_f32_e64 s[4:5], v0, v0
	v_mul_f32_e32 v0, s40, v7
	v_bfe_u32 v7, v0, 16, 1
	v_cndmask_b32_e64 v9, v9, v46, s[4:5]
	v_add3_u32 v7, v7, v0, s44
	v_or_b32_e32 v46, 0x400000, v0
	v_cmp_u_f32_e64 s[4:5], v0, v0
	v_cndmask_b32_e64 v0, v7, v46, s[4:5]
	v_mul_f32_e32 v7, s40, v42
	v_bfe_u32 v42, v7, 16, 1
	v_add3_u32 v42, v42, v7, s44
	v_or_b32_e32 v46, 0x400000, v7
	v_cmp_u_f32_e64 s[4:5], v7, v7
	v_cndmask_b32_e64 v7, v42, v46, s[4:5]
	v_and_b32_e32 v42, 0xffff0000, v9
	v_and_b32_e32 v9, 0xffff0000, v11
	buffer_load_dword v11, off, s[48:51], 0 offset:16 ; 4-byte Folded Reload
	v_and_b32_e32 v12, 0xffff0000, v12
	v_and_b32_e32 v10, 0xffff0000, v10
	;; [unrolled: 1-line block ×6, first 2 shown]
	s_waitcnt vmcnt(0)
	v_mul_f32_e32 v9, v11, v9
	v_fmac_f32_e32 v9, v47, v42
	buffer_load_dword v42, off, s[48:51], 0 offset:20 ; 4-byte Folded Reload
	v_and_b32_e32 v11, 0xffff0000, v45
	s_waitcnt vmcnt(0)
	v_mul_f32_e32 v12, v42, v12
	buffer_load_dword v42, off, s[48:51], 0 ; 4-byte Folded Reload
	s_waitcnt vmcnt(0)
	v_fmac_f32_e32 v12, v42, v11
	buffer_load_dword v42, off, s[48:51], 0 offset:24 ; 4-byte Folded Reload
	v_and_b32_e32 v11, 0xffff0000, v13
	v_and_b32_e32 v13, 0xffff0000, v43
	s_waitcnt vmcnt(0)
	v_mul_f32_e32 v13, v42, v13
	buffer_load_dword v42, off, s[48:51], 0 offset:4 ; 4-byte Folded Reload
	s_waitcnt vmcnt(0)
	v_fmac_f32_e32 v13, v42, v11
	buffer_load_dword v42, off, s[48:51], 0 offset:28 ; 4-byte Folded Reload
	v_and_b32_e32 v11, 0xffff0000, v44
	s_waitcnt vmcnt(0)
	v_mul_f32_e32 v10, v42, v10
	buffer_load_dword v42, off, s[48:51], 0 offset:8 ; 4-byte Folded Reload
	s_waitcnt vmcnt(0)
	v_fmac_f32_e32 v10, v42, v11
	v_and_b32_e32 v11, 0xffff0000, v14
	buffer_load_dword v14, off, s[48:51], 0 offset:32 ; 4-byte Folded Reload
	s_waitcnt vmcnt(0)
	v_fmac_f32_e32 v9, v14, v11
	buffer_load_dword v14, off, s[48:51], 0 offset:36 ; 4-byte Folded Reload
	v_and_b32_e32 v11, 0xffff0000, v15
	buffer_load_dword v15, off, s[48:51], 0 offset:104 ; 4-byte Folded Reload
	s_waitcnt vmcnt(1)
	v_fmac_f32_e32 v12, v14, v11
	buffer_load_dword v14, off, s[48:51], 0 offset:40 ; 4-byte Folded Reload
	v_and_b32_e32 v11, 0xffff0000, v16
	s_waitcnt vmcnt(0)
	v_fmac_f32_e32 v13, v14, v11
	buffer_load_dword v14, off, s[48:51], 0 offset:44 ; 4-byte Folded Reload
	v_and_b32_e32 v11, 0xffff0000, v17
	;; [unrolled: 4-line block ×16, first 2 shown]
	s_waitcnt vmcnt(0)
	v_fmac_f32_e32 v12, v14, v11
	v_and_b32_e32 v11, 0xffff0000, v33
	v_fmac_f32_e32 v13, v15, v11
	buffer_load_dword v11, off, s[48:51], 0 offset:108 ; 4-byte Folded Reload
	buffer_load_dword v15, off, s[48:51], 0 offset:112 ; 4-byte Folded Reload
	v_and_b32_e32 v14, 0xffff0000, v34
	s_waitcnt vmcnt(1)
	v_fmac_f32_e32 v10, v11, v14
	v_and_b32_e32 v11, 0xffff0000, v35
	s_waitcnt vmcnt(0)
	v_fmac_f32_e32 v9, v15, v11
	buffer_load_dword v11, off, s[48:51], 0 offset:116 ; 4-byte Folded Reload
	buffer_load_dword v15, off, s[48:51], 0 offset:120 ; 4-byte Folded Reload
	v_and_b32_e32 v14, 0xffff0000, v36
	s_waitcnt vmcnt(1)
	v_fmac_f32_e32 v12, v11, v14
	v_and_b32_e32 v11, 0xffff0000, v37
	s_waitcnt vmcnt(0)
	v_fmac_f32_e32 v13, v15, v11
	buffer_load_dword v11, off, s[48:51], 0 offset:124 ; 4-byte Folded Reload
	buffer_load_dword v15, off, s[48:51], 0 offset:128 ; 4-byte Folded Reload
	v_and_b32_e32 v14, 0xffff0000, v38
	v_fmac_f32_e32 v13, v49, v8
	v_fmac_f32_e32 v13, v53, v0
	s_waitcnt vmcnt(1)
	v_fmac_f32_e32 v10, v11, v14
	v_and_b32_e32 v11, 0xffff0000, v39
	v_and_b32_e32 v14, 0xffff0000, v40
	s_waitcnt vmcnt(0)
	v_fmac_f32_e32 v9, v15, v11
	v_fmac_f32_e32 v12, v48, v14
	v_and_b32_e32 v11, 0xffff0000, v41
	v_fmac_f32_e32 v9, v51, v6
	v_fmac_f32_e32 v12, v52, v5
	;; [unrolled: 1-line block ×3, first 2 shown]
	v_and_b32_e32 v5, 0xffff0000, v7
	v_add_f32_e32 v0, v9, v12
	v_fmac_f32_e32 v10, v54, v5
	v_add_f32_e32 v0, v0, v13
	v_add_f32_e32 v0, v0, v10
	ds_bpermute_b32 v5, v56, v0
	s_and_saveexec_b64 s[16:17], vcc
	s_cbranch_execz .LBB322_8
; %bb.250:                              ;   in Loop: Header=BB322_9 Depth=1
	v_add_u32_e32 v6, s38, v57
	v_cvt_f32_i32_e32 v6, v6
	s_waitcnt lgkmcnt(0)
	v_add_f32_e32 v0, v0, v5
	v_cmp_gt_i32_e64 s[4:5], s30, v57
	v_max_f32_e32 v5, v55, v55
	v_mul_f32_e32 v6, s33, v6
	v_cndmask_b32_e64 v6, 0, v6, s[2:3]
	v_fmac_f32_e32 v6, s31, v0
	v_cndmask_b32_e64 v0, 0, v6, s[4:5]
	ds_write_b32 v58, v0
	v_max_f32_e32 v0, v5, v6
	v_cndmask_b32_e64 v55, v55, v0, s[4:5]
	s_branch .LBB322_8
.LBB322_251:
	s_or_b64 exec, exec, s[14:15]
	buffer_load_dword v15, off, s[48:51], 0 offset:140 ; 4-byte Folded Reload
	buffer_load_dword v16, off, s[48:51], 0 offset:144 ; 4-byte Folded Reload
	;; [unrolled: 1-line block ×5, first 2 shown]
.LBB322_252:
	s_or_b64 exec, exec, s[6:7]
	s_waitcnt vmcnt(2)
	v_xor_b32_e32 v0, 32, v14
	s_waitcnt vmcnt(0)
	v_cmp_lt_i32_e32 vcc, v0, v9
	v_cndmask_b32_e32 v0, v14, v0, vcc
	v_lshlrev_b32_e32 v0, 2, v0
	ds_bpermute_b32 v1, v0, v55
	v_xor_b32_e32 v3, 16, v14
	v_max_f32_e32 v2, v55, v55
	v_cmp_lt_i32_e32 vcc, v3, v9
	v_xor_b32_e32 v4, 8, v14
	s_waitcnt lgkmcnt(0)
	v_max_f32_e32 v1, v1, v1
	v_max_f32_e32 v2, v2, v1
	v_cndmask_b32_e32 v1, v14, v3, vcc
	v_lshlrev_b32_e32 v1, 2, v1
	ds_bpermute_b32 v3, v1, v2
	v_cmp_lt_i32_e32 vcc, v4, v9
	v_xor_b32_e32 v5, 4, v14
	v_xor_b32_e32 v6, 2, v14
	s_waitcnt lgkmcnt(0)
	v_max_f32_e32 v3, v3, v3
	v_max_f32_e32 v3, v2, v3
	v_cndmask_b32_e32 v2, v14, v4, vcc
	v_lshlrev_b32_e32 v2, 2, v2
	ds_bpermute_b32 v4, v2, v3
	v_cmp_lt_i32_e32 vcc, v5, v9
	s_waitcnt lgkmcnt(0)
	v_max_f32_e32 v4, v4, v4
	v_max_f32_e32 v4, v3, v4
	v_cndmask_b32_e32 v3, v14, v5, vcc
	v_lshlrev_b32_e32 v3, 2, v3
	ds_bpermute_b32 v5, v3, v4
	v_cmp_lt_i32_e32 vcc, v6, v9
	s_waitcnt lgkmcnt(0)
	v_max_f32_e32 v5, v5, v5
	v_max_f32_e32 v5, v4, v5
	v_cndmask_b32_e32 v4, v14, v6, vcc
	v_lshlrev_b32_e32 v12, 2, v4
	buffer_load_dword v4, off, s[48:51], 0 offset:132 ; 4-byte Folded Reload
	ds_bpermute_b32 v6, v12, v5
	s_waitcnt vmcnt(0)
	v_and_b32_e32 v11, 63, v4
	v_cmp_eq_u32_e32 vcc, 0, v11
	v_lshlrev_b32_e32 v4, 2, v20
	s_and_saveexec_b64 s[2:3], vcc
	s_cbranch_execz .LBB322_254
; %bb.253:
	s_waitcnt lgkmcnt(0)
	v_max_f32_e32 v6, v6, v6
	v_max_f32_e32 v5, v5, v5
	;; [unrolled: 1-line block ×3, first 2 shown]
	ds_write_b32 v4, v5 offset:160
.LBB322_254:
	s_or_b64 exec, exec, s[2:3]
	v_cmp_gt_u32_e64 s[2:3], 2, v11
	s_waitcnt lgkmcnt(0)
	v_mov_b32_e32 v6, 0xff7fffff
	v_lshlrev_b32_e32 v5, 2, v11
	s_barrier
	s_and_saveexec_b64 s[4:5], s[2:3]
; %bb.255:
	ds_read_b32 v6, v5 offset:160
; %bb.256:
	s_or_b64 exec, exec, s[4:5]
	v_xor_b32_e32 v7, 1, v14
	v_cmp_lt_i32_e64 s[4:5], v7, v9
	v_cndmask_b32_e64 v7, v14, v7, s[4:5]
	v_lshlrev_b32_e32 v13, 2, v7
	s_waitcnt lgkmcnt(0)
	ds_bpermute_b32 v7, v13, v6
	v_max_f32_e32 v6, v6, v6
	s_lshl_b32 s4, s21, 5
	s_min_i32 s31, s4, s30
	s_waitcnt lgkmcnt(0)
	v_max_f32_e32 v7, v7, v7
	v_max_f32_e32 v6, v6, v7
	v_lshlrev_b32_e32 v7, 2, v8
	ds_bpermute_b32 v7, v7, v6
	buffer_load_dword v6, off, s[48:51], 0 offset:132 ; 4-byte Folded Reload
	s_waitcnt vmcnt(0)
	v_cmp_gt_i32_e64 s[4:5], s31, v6
	v_mov_b32_e32 v6, 0
	s_and_saveexec_b64 s[14:15], s[4:5]
	s_cbranch_execz .LBB322_260
; %bb.257:
	buffer_load_dword v9, off, s[48:51], 0 offset:132 ; 4-byte Folded Reload
	v_mov_b32_e32 v6, 0xb0
	s_mov_b64 s[16:17], 0
	s_waitcnt vmcnt(0)
	v_lshl_add_u32 v8, v9, 2, v6
	v_mov_b32_e32 v6, 0
.LBB322_258:                            ; =>This Inner Loop Header: Depth=1
	ds_read_b32 v10, v8
	v_add_u32_e32 v9, 0x80, v9
	v_cmp_le_i32_e64 s[6:7], s31, v9
	s_or_b64 s[16:17], s[6:7], s[16:17]
	s_waitcnt lgkmcnt(0)
	v_sub_f32_e32 v10, v10, v7
	v_mul_f32_e32 v10, 0x3fb8aa3b, v10
	v_exp_f32_e32 v10, v10
	ds_write_b32 v8, v10
	v_add_f32_e32 v6, v6, v10
	v_add_u32_e32 v8, 0x200, v8
	s_andn2_b64 exec, exec, s[16:17]
	s_cbranch_execnz .LBB322_258
; %bb.259:
	s_or_b64 exec, exec, s[16:17]
.LBB322_260:
	s_or_b64 exec, exec, s[14:15]
	ds_bpermute_b32 v0, v0, v6
	s_waitcnt lgkmcnt(0)
	v_add_f32_e32 v0, v6, v0
	ds_bpermute_b32 v1, v1, v0
	s_waitcnt lgkmcnt(0)
	v_add_f32_e32 v0, v0, v1
	;; [unrolled: 3-line block ×6, first 2 shown]
	s_and_saveexec_b64 s[6:7], vcc
; %bb.261:
	ds_write_b32 v4, v0 offset:168
; %bb.262:
	s_or_b64 exec, exec, s[6:7]
	s_waitcnt lgkmcnt(0)
	s_barrier
	s_and_saveexec_b64 s[6:7], s[2:3]
; %bb.263:
	ds_read_b32 v0, v5 offset:168
; %bb.264:
	s_or_b64 exec, exec, s[6:7]
	s_waitcnt lgkmcnt(0)
	ds_bpermute_b32 v1, v13, v0
	v_lshlrev_b32_e32 v2, 2, v14
	s_waitcnt lgkmcnt(0)
	v_add_f32_e32 v0, v0, v1
	v_and_b32_e32 v1, 0xffffff00, v2
	ds_bpermute_b32 v0, v1, v0
	s_and_saveexec_b64 s[2:3], s[4:5]
	s_cbranch_execz .LBB322_267
; %bb.265:
	s_waitcnt lgkmcnt(0)
	v_add_f32_e32 v1, 0x358637bd, v0
	v_div_scale_f32 v0, s[4:5], v1, v1, 1.0
	v_div_scale_f32 v2, vcc, 1.0, v1, 1.0
	s_mov_b64 s[4:5], 0
	v_rcp_f32_e32 v3, v0
	v_fma_f32 v4, -v0, v3, 1.0
	v_fmac_f32_e32 v3, v4, v3
	v_mul_f32_e32 v4, v2, v3
	v_fma_f32 v5, -v0, v4, v2
	v_fmac_f32_e32 v4, v5, v3
	v_fma_f32 v0, -v0, v4, v2
	v_div_fmas_f32 v2, v0, v3, v4
	buffer_load_dword v3, off, s[48:51], 0 offset:132 ; 4-byte Folded Reload
	v_mov_b32_e32 v0, 0xb0
	v_div_fixup_f32 v1, v2, v1, 1.0
	s_waitcnt vmcnt(0)
	v_lshl_add_u32 v0, v3, 2, v0
	v_mov_b32_e32 v2, v3
.LBB322_266:                            ; =>This Inner Loop Header: Depth=1
	ds_read_b32 v3, v0
	v_add_u32_e32 v2, 0x80, v2
	v_cmp_le_i32_e32 vcc, s31, v2
	s_or_b64 s[4:5], vcc, s[4:5]
	s_waitcnt lgkmcnt(0)
	v_mul_f32_e32 v3, v1, v3
	ds_write_b32 v0, v3
	v_add_u32_e32 v0, 0x200, v0
	s_andn2_b64 exec, exec, s[4:5]
	s_cbranch_execnz .LBB322_266
.LBB322_267:
	s_or_b64 exec, exec, s[2:3]
	s_waitcnt lgkmcnt(0)
	s_barrier
	buffer_load_dword v0, off, s[48:51], 0 offset:132 ; 4-byte Folded Reload
	v_mov_b32_e32 v28, 0
	v_mov_b32_e32 v29, 0
	;; [unrolled: 1-line block ×5, first 2 shown]
	s_waitcnt vmcnt(0)
	v_and_b32_e32 v14, 3, v0
	s_and_saveexec_b64 s[2:3], s[0:1]
	s_cbranch_execz .LBB322_521
; %bb.268:
	s_ashr_i32 s0, s12, 31
	s_add_u32 s1, s28, s12
	v_and_b32_e32 v1, 0x1f8, v15
	buffer_store_dword v13, off, s[48:51], 0 offset:24 ; 4-byte Folded Spill
	buffer_store_dword v12, off, s[48:51], 0 offset:20 ; 4-byte Folded Spill
	;; [unrolled: 1-line block ×3, first 2 shown]
	v_and_b32_e32 v0, 24, v15
	s_addc_u32 s0, s29, s0
	v_add_co_u32_e32 v46, vcc, s1, v1
	v_lshlrev_b32_e32 v1, 5, v20
	s_load_dword s18, s[18:19], 0x0
	s_add_i32 s19, s21, -1
	v_mov_b32_e32 v2, s0
	v_or3_b32 v30, v1, v0, 7
	v_lshlrev_b32_e32 v0, 5, v14
	s_lshl_b64 s[0:1], s[26:27], 2
	v_lshl_or_b32 v0, v20, 7, v0
	s_add_u32 s0, s24, s0
	v_addc_co_u32_e32 v47, vcc, 0, v2, vcc
	v_add_u32_e32 v31, 0xb0, v0
	v_and_b32_e32 v0, 60, v16
	s_addc_u32 s1, s25, s1
	s_mov_b32 s4, -1
	v_mov_b32_e32 v1, s1
	v_add_co_u32_e32 v13, vcc, s0, v0
	s_mov_b32 s31, s13
	s_mov_b32 s5, 0xffffff
	v_mov_b32_e32 v10, 0
	buffer_store_dword v14, off, s[48:51], 0 offset:28 ; 4-byte Folded Spill
	v_addc_co_u32_e32 v14, vcc, 0, v1, vcc
	s_mov_b64 s[6:7], 0
	s_movk_i32 s24, 0x80
	s_movk_i32 s25, 0x7f
	;; [unrolled: 1-line block ×3, first 2 shown]
	v_mov_b32_e32 v25, 0
	v_mov_b32_e32 v26, 0
	;; [unrolled: 1-line block ×5, first 2 shown]
	buffer_store_dword v46, off, s[48:51], 0 offset:8 ; 4-byte Folded Spill
	s_nop 0
	buffer_store_dword v47, off, s[48:51], 0 offset:12 ; 4-byte Folded Spill
	s_branch .LBB322_270
.LBB322_269:                            ;   in Loop: Header=BB322_270 Depth=1
	s_or_b64 exec, exec, s[0:1]
	v_bfe_u32 v33, v5, 16, 1
	v_add3_u32 v33, v33, v5, s26
	v_or_b32_e32 v34, 0x400000, v5
	v_cmp_u_f32_e32 vcc, v5, v5
	v_bfe_u32 v5, v6, 16, 1
	v_cndmask_b32_e32 v43, v33, v34, vcc
	v_add3_u32 v5, v5, v6, s26
	v_or_b32_e32 v33, 0x400000, v6
	v_cmp_u_f32_e32 vcc, v6, v6
	v_cndmask_b32_e32 v44, v5, v33, vcc
	v_bfe_u32 v5, v7, 16, 1
	v_add3_u32 v5, v5, v7, s26
	v_or_b32_e32 v6, 0x400000, v7
	v_cmp_u_f32_e32 vcc, v7, v7
	v_cndmask_b32_e32 v5, v5, v6, vcc
	v_bfe_u32 v6, v8, 16, 1
	;; [unrolled: 5-line block ×3, first 2 shown]
	v_add3_u32 v7, v7, v1, s26
	v_or_b32_e32 v8, 0x400000, v1
	v_cmp_u_f32_e32 vcc, v1, v1
	v_bfe_u32 v1, v2, 16, 1
	v_cndmask_b32_e32 v7, v7, v8, vcc
	v_add3_u32 v1, v1, v2, s26
	v_or_b32_e32 v8, 0x400000, v2
	v_cmp_u_f32_e32 vcc, v2, v2
	v_cndmask_b32_e32 v33, v1, v8, vcc
	v_bfe_u32 v1, v3, 16, 1
	v_add3_u32 v1, v1, v3, s26
	v_or_b32_e32 v2, 0x400000, v3
	v_cmp_u_f32_e32 vcc, v3, v3
	v_cndmask_b32_e32 v8, v1, v2, vcc
	v_bfe_u32 v1, v4, 16, 1
	v_add3_u32 v1, v1, v4, s26
	v_or_b32_e32 v2, 0x400000, v4
	v_cmp_u_f32_e32 vcc, v4, v4
	v_cndmask_b32_e32 v34, v1, v2, vcc
	v_and_b32_e32 v1, 0xffff0000, v44
	v_lshlrev_b32_e32 v2, 16, v11
	v_mul_f32_e32 v2, v1, v2
	v_bfe_u32 v3, v2, 16, 1
	v_add3_u32 v3, v3, v2, s26
	v_or_b32_e32 v4, 0x400000, v2
	v_cmp_u_f32_e32 vcc, v2, v2
	v_cndmask_b32_e32 v11, v3, v4, vcc
	v_and_b32_e32 v4, 0xffff0000, v43
	v_lshlrev_b32_e32 v2, 16, v23
	v_mul_f32_e32 v2, v4, v2
	;; [unrolled: 8-line block ×5, first 2 shown]
	v_bfe_u32 v19, v5, 16, 1
	v_add3_u32 v19, v19, v5, s26
	v_or_b32_e32 v33, 0x400000, v5
	v_cmp_u_f32_e32 vcc, v5, v5
	v_and_b32_e32 v7, 0xffff0000, v7
	v_lshlrev_b32_e32 v5, 16, v18
	v_mul_f32_e32 v5, v7, v5
	v_bfe_u32 v18, v5, 16, 1
	v_cndmask_b32_e32 v19, v19, v33, vcc
	v_add3_u32 v18, v18, v5, s26
	v_or_b32_e32 v33, 0x400000, v5
	v_cmp_u_f32_e32 vcc, v5, v5
	v_and_b32_e32 v5, 0xffff0000, v34
	v_lshlrev_b32_e32 v21, 16, v21
	v_mul_f32_e32 v21, v5, v21
	v_cndmask_b32_e32 v18, v18, v33, vcc
	v_bfe_u32 v33, v21, 16, 1
	v_add3_u32 v33, v33, v21, s26
	v_or_b32_e32 v34, 0x400000, v21
	v_cmp_u_f32_e32 vcc, v21, v21
	v_cndmask_b32_e32 v21, v33, v34, vcc
	v_and_b32_e32 v8, 0xffff0000, v8
	v_lshlrev_b32_e32 v33, 16, v63
	v_mul_f32_e32 v33, v8, v33
	v_and_b32_e32 v23, 0xffff0000, v23
	v_and_b32_e32 v11, 0xffff0000, v11
	v_bfe_u32 v34, v33, 16, 1
	v_add_f32_e32 v11, v23, v11
	v_and_b32_e32 v23, 0xffff0000, v24
	v_and_b32_e32 v22, 0xffff0000, v22
	v_add3_u32 v34, v34, v33, s26
	v_or_b32_e32 v43, 0x400000, v33
	v_cmp_u_f32_e32 vcc, v33, v33
	v_add_f32_e32 v22, v23, v22
	v_and_b32_e32 v18, 0xffff0000, v18
	v_and_b32_e32 v19, 0xffff0000, v19
	v_cndmask_b32_e32 v33, v34, v43, vcc
	v_add_f32_e32 v11, v22, v11
	v_add_f32_e32 v18, v18, v19
	;; [unrolled: 1-line block ×3, first 2 shown]
	v_and_b32_e32 v18, 0xffff0000, v33
	v_and_b32_e32 v19, 0xffff0000, v21
	v_add_f32_e32 v18, v18, v19
	v_add_f32_e32 v11, v18, v11
	;; [unrolled: 1-line block ×3, first 2 shown]
	v_lshlrev_b32_e32 v11, 16, v61
	v_mul_f32_e32 v11, v1, v11
	v_bfe_u32 v18, v11, 16, 1
	v_add3_u32 v18, v18, v11, s26
	v_or_b32_e32 v19, 0x400000, v11
	v_cmp_u_f32_e32 vcc, v11, v11
	v_cndmask_b32_e32 v11, v18, v19, vcc
	v_lshlrev_b32_e32 v18, 16, v62
	v_mul_f32_e32 v18, v4, v18
	v_bfe_u32 v19, v18, 16, 1
	v_add3_u32 v19, v19, v18, s26
	v_or_b32_e32 v21, 0x400000, v18
	v_cmp_u_f32_e32 vcc, v18, v18
	v_cndmask_b32_e32 v18, v19, v21, vcc
	;; [unrolled: 7-line block ×7, first 2 shown]
	v_lshlrev_b32_e32 v33, 16, v57
	v_and_b32_e32 v18, 0xffff0000, v18
	v_and_b32_e32 v11, 0xffff0000, v11
	v_mul_f32_e32 v33, v8, v33
	v_add_f32_e32 v11, v18, v11
	v_and_b32_e32 v18, 0xffff0000, v21
	v_and_b32_e32 v19, 0xffff0000, v19
	v_bfe_u32 v34, v33, 16, 1
	v_add_f32_e32 v18, v18, v19
	v_add3_u32 v34, v34, v33, s26
	v_or_b32_e32 v43, 0x400000, v33
	v_cmp_u_f32_e32 vcc, v33, v33
	v_add_f32_e32 v11, v18, v11
	v_and_b32_e32 v18, 0xffff0000, v23
	v_and_b32_e32 v19, 0xffff0000, v22
	v_cndmask_b32_e32 v33, v34, v43, vcc
	v_add_f32_e32 v18, v18, v19
	v_add_f32_e32 v11, v18, v11
	v_and_b32_e32 v18, 0xffff0000, v33
	v_and_b32_e32 v19, 0xffff0000, v24
	v_add_f32_e32 v18, v18, v19
	v_add_f32_e32 v11, v18, v11
	;; [unrolled: 1-line block ×3, first 2 shown]
	v_lshlrev_b32_e32 v11, 16, v53
	v_mul_f32_e32 v11, v1, v11
	v_bfe_u32 v18, v11, 16, 1
	v_add3_u32 v18, v18, v11, s26
	v_or_b32_e32 v19, 0x400000, v11
	v_cmp_u_f32_e32 vcc, v11, v11
	v_cndmask_b32_e32 v11, v18, v19, vcc
	v_lshlrev_b32_e32 v18, 16, v54
	v_mul_f32_e32 v18, v4, v18
	v_bfe_u32 v19, v18, 16, 1
	v_add3_u32 v19, v19, v18, s26
	v_or_b32_e32 v21, 0x400000, v18
	v_cmp_u_f32_e32 vcc, v18, v18
	v_cndmask_b32_e32 v18, v19, v21, vcc
	;; [unrolled: 7-line block ×3, first 2 shown]
	v_lshlrev_b32_e32 v21, 16, v51
	v_mul_f32_e32 v21, v6, v21
	v_bfe_u32 v22, v21, 16, 1
	v_lshlrev_b32_e32 v0, 16, v0
	v_add3_u32 v22, v22, v21, s26
	v_or_b32_e32 v23, 0x400000, v21
	v_cmp_u_f32_e32 vcc, v21, v21
	v_mul_f32_e32 v0, v3, v0
	v_cndmask_b32_e32 v21, v22, v23, vcc
	v_bfe_u32 v22, v0, 16, 1
	v_add3_u32 v22, v22, v0, s26
	v_or_b32_e32 v23, 0x400000, v0
	v_cmp_u_f32_e32 vcc, v0, v0
	v_cndmask_b32_e32 v0, v22, v23, vcc
	v_lshlrev_b32_e32 v22, 16, v48
	v_mul_f32_e32 v22, v7, v22
	v_bfe_u32 v23, v22, 16, 1
	v_add3_u32 v23, v23, v22, s26
	v_or_b32_e32 v24, 0x400000, v22
	v_cmp_u_f32_e32 vcc, v22, v22
	v_cndmask_b32_e32 v22, v23, v24, vcc
	v_lshlrev_b32_e32 v23, 16, v52
	v_mul_f32_e32 v23, v5, v23
	v_bfe_u32 v24, v23, 16, 1
	v_add3_u32 v24, v24, v23, s26
	v_or_b32_e32 v33, 0x400000, v23
	v_cmp_u_f32_e32 vcc, v23, v23
	v_cndmask_b32_e32 v23, v24, v33, vcc
	v_lshlrev_b32_e32 v24, 16, v49
	v_and_b32_e32 v18, 0xffff0000, v18
	v_and_b32_e32 v11, 0xffff0000, v11
	v_mul_f32_e32 v24, v8, v24
	v_add_f32_e32 v11, v18, v11
	v_and_b32_e32 v18, 0xffff0000, v21
	v_and_b32_e32 v19, 0xffff0000, v19
	v_bfe_u32 v33, v24, 16, 1
	v_add_f32_e32 v18, v18, v19
	v_add3_u32 v33, v33, v24, s26
	v_or_b32_e32 v34, 0x400000, v24
	v_cmp_u_f32_e32 vcc, v24, v24
	v_add_f32_e32 v11, v18, v11
	v_and_b32_e32 v18, 0xffff0000, v22
	v_and_b32_e32 v0, 0xffff0000, v0
	v_cndmask_b32_e32 v24, v33, v34, vcc
	v_add_f32_e32 v0, v18, v0
	v_add_f32_e32 v0, v0, v11
	v_and_b32_e32 v11, 0xffff0000, v24
	v_and_b32_e32 v18, 0xffff0000, v23
	v_add_f32_e32 v11, v11, v18
	v_add_f32_e32 v0, v11, v0
	;; [unrolled: 1-line block ×3, first 2 shown]
	v_lshlrev_b32_e32 v0, 16, v39
	v_mul_f32_e32 v0, v1, v0
	v_bfe_u32 v11, v0, 16, 1
	v_add3_u32 v11, v11, v0, s26
	v_or_b32_e32 v18, 0x400000, v0
	v_cmp_u_f32_e32 vcc, v0, v0
	v_cndmask_b32_e32 v0, v11, v18, vcc
	v_lshlrev_b32_e32 v11, 16, v40
	v_mul_f32_e32 v11, v4, v11
	v_bfe_u32 v18, v11, 16, 1
	v_add3_u32 v18, v18, v11, s26
	v_or_b32_e32 v19, 0x400000, v11
	v_cmp_u_f32_e32 vcc, v11, v11
	v_cndmask_b32_e32 v11, v18, v19, vcc
	;; [unrolled: 7-line block ×4, first 2 shown]
	buffer_load_dword v21, off, s[48:51], 0 ; 4-byte Folded Reload
	v_and_b32_e32 v11, 0xffff0000, v11
	v_and_b32_e32 v0, 0xffff0000, v0
	v_add_f32_e32 v0, v11, v0
	v_and_b32_e32 v11, 0xffff0000, v19
	v_and_b32_e32 v18, 0xffff0000, v18
	v_add_f32_e32 v11, v11, v18
	v_add_f32_e32 v0, v11, v0
	v_add_u32_e32 v20, 2, v20
	v_add_u32_e32 v30, 64, v30
	v_add_u32_e32 v31, 0x100, v31
	s_waitcnt vmcnt(0)
	v_lshlrev_b32_e32 v21, 16, v21
	v_mul_f32_e32 v21, v3, v21
	v_bfe_u32 v22, v21, 16, 1
	v_add3_u32 v22, v22, v21, s26
	v_or_b32_e32 v23, 0x400000, v21
	v_cmp_u_f32_e32 vcc, v21, v21
	v_cndmask_b32_e32 v21, v22, v23, vcc
	buffer_load_dword v22, off, s[48:51], 0 offset:4 ; 4-byte Folded Reload
	v_and_b32_e32 v18, 0xffff0000, v21
	s_waitcnt vmcnt(0)
	v_lshlrev_b32_e32 v22, 16, v22
	v_mul_f32_e32 v22, v7, v22
	v_bfe_u32 v23, v22, 16, 1
	v_add3_u32 v23, v23, v22, s26
	v_or_b32_e32 v24, 0x400000, v22
	v_cmp_u_f32_e32 vcc, v22, v22
	v_cndmask_b32_e32 v22, v23, v24, vcc
	v_lshlrev_b32_e32 v23, 16, v38
	v_mul_f32_e32 v23, v5, v23
	v_bfe_u32 v24, v23, 16, 1
	v_add3_u32 v24, v24, v23, s26
	v_or_b32_e32 v33, 0x400000, v23
	v_cmp_u_f32_e32 vcc, v23, v23
	v_cndmask_b32_e32 v23, v24, v33, vcc
	v_lshlrev_b32_e32 v24, 16, v35
	v_mul_f32_e32 v24, v8, v24
	v_bfe_u32 v33, v24, 16, 1
	v_add3_u32 v33, v33, v24, s26
	v_or_b32_e32 v34, 0x400000, v24
	v_cmp_u_f32_e32 vcc, v24, v24
	v_and_b32_e32 v11, 0xffff0000, v22
	v_cndmask_b32_e32 v24, v33, v34, vcc
	v_add_f32_e32 v11, v11, v18
	v_add_f32_e32 v0, v11, v0
	v_and_b32_e32 v11, 0xffff0000, v24
	v_and_b32_e32 v18, 0xffff0000, v23
	v_add_f32_e32 v11, v11, v18
	v_add_f32_e32 v0, v11, v0
	;; [unrolled: 1-line block ×3, first 2 shown]
	v_lshlrev_b32_e32 v0, 16, v42
	v_mul_f32_e32 v0, v4, v0
	v_bfe_u32 v4, v0, 16, 1
	v_add3_u32 v4, v4, v0, s26
	v_or_b32_e32 v11, 0x400000, v0
	v_cmp_u_f32_e32 vcc, v0, v0
	v_cndmask_b32_e32 v0, v4, v11, vcc
	v_lshlrev_b32_e32 v4, 16, v41
	v_mul_f32_e32 v1, v1, v4
	v_bfe_u32 v4, v1, 16, 1
	v_add3_u32 v4, v4, v1, s26
	v_or_b32_e32 v11, 0x400000, v1
	v_cmp_u_f32_e32 vcc, v1, v1
	v_cndmask_b32_e32 v1, v4, v11, vcc
	;; [unrolled: 7-line block ×7, first 2 shown]
	v_lshlrev_b32_e32 v8, 16, v17
	v_and_b32_e32 v1, 0xffff0000, v1
	v_and_b32_e32 v0, 0xffff0000, v0
	v_mul_f32_e32 v5, v5, v8
	v_add_f32_e32 v0, v0, v1
	v_and_b32_e32 v1, 0xffff0000, v2
	v_and_b32_e32 v2, 0xffff0000, v4
	v_bfe_u32 v8, v5, 16, 1
	v_add_f32_e32 v1, v2, v1
	v_add3_u32 v8, v8, v5, s26
	v_or_b32_e32 v9, 0x400000, v5
	v_cmp_u_f32_e32 vcc, v5, v5
	v_add_f32_e32 v0, v1, v0
	v_and_b32_e32 v1, 0xffff0000, v3
	v_and_b32_e32 v2, 0xffff0000, v6
	v_cndmask_b32_e32 v5, v8, v9, vcc
	v_add_f32_e32 v1, v2, v1
	v_add_f32_e32 v0, v1, v0
	v_and_b32_e32 v1, 0xffff0000, v5
	v_and_b32_e32 v2, 0xffff0000, v7
	v_add_co_u32_e32 v13, vcc, 8, v13
	v_add_f32_e32 v1, v2, v1
	v_addc_co_u32_e32 v14, vcc, 0, v14, vcc
	v_add_f32_e32 v0, v1, v0
	v_cmp_le_i32_e32 vcc, s21, v20
	v_add_f32_e32 v25, v25, v0
	s_or_b64 s[6:7], vcc, s[6:7]
	s_andn2_b64 exec, exec, s[6:7]
	s_cbranch_execz .LBB322_520
.LBB322_270:                            ; =>This Inner Loop Header: Depth=1
	global_load_dword v0, v[13:14], off
	s_waitcnt vmcnt(0)
	v_mad_i64_i32 v[15:16], s[0:1], v0, s31, v[46:47]
	v_mov_b32_e32 v0, 0
	global_load_dwordx2 v[17:18], v[15:16], off
	ds_read2_b64 v[5:8], v31 offset1:1
	ds_read2_b64 v[1:4], v31 offset0:2 offset1:3
	s_waitcnt vmcnt(0)
	v_cmp_ne_u16_sdwa s[12:13], v17, v10 src0_sel:BYTE_0 src1_sel:DWORD
	s_and_saveexec_b64 s[0:1], s[12:13]
	s_cbranch_execz .LBB322_276
; %bb.271:                              ;   in Loop: Header=BB322_270 Depth=1
	v_cmp_ne_u16_sdwa s[14:15], v17, s24 src0_sel:BYTE_0 src1_sel:DWORD
	v_bfrev_b32_e32 v0, 1
	s_and_saveexec_b64 s[12:13], s[14:15]
	s_cbranch_execz .LBB322_275
; %bb.272:                              ;   in Loop: Header=BB322_270 Depth=1
	v_and_b32_e32 v9, 0x7f, v17
	v_cmp_ne_u32_e32 vcc, s25, v9
	v_mov_b32_e32 v0, 0x7f800001
	s_and_saveexec_b64 s[14:15], vcc
	s_cbranch_execz .LBB322_274
; %bb.273:                              ;   in Loop: Header=BB322_270 Depth=1
	v_and_b32_e32 v0, 7, v17
	v_ffbh_u32_e32 v0, v0
	v_min_u32_e32 v0, 32, v0
	v_subrev_u32_e32 v12, 28, v0
	v_cmp_gt_u32_e32 vcc, 8, v9
	v_lshrrev_b32_e32 v11, 3, v9
	v_sub_u32_e32 v0, 29, v0
	v_cndmask_b32_e32 v9, 0, v12, vcc
	v_cndmask_b32_e32 v0, v11, v0, vcc
	v_lshlrev_b64 v[11:12], v9, v[17:18]
	v_bfrev_b32_e32 v12, 60
	v_lshlrev_b32_e32 v9, 20, v11
	v_lshlrev_b32_e32 v11, 24, v17
	v_and_b32_e32 v9, 0x700000, v9
	v_and_b32_e32 v11, 0x80000000, v11
	v_lshl_add_u32 v0, v0, 23, v12
	v_or3_b32 v0, v11, v0, v9
.LBB322_274:                            ;   in Loop: Header=BB322_270 Depth=1
	s_or_b64 exec, exec, s[14:15]
.LBB322_275:                            ;   in Loop: Header=BB322_270 Depth=1
	s_or_b64 exec, exec, s[12:13]
.LBB322_276:                            ;   in Loop: Header=BB322_270 Depth=1
	s_or_b64 exec, exec, s[0:1]
	v_lshrrev_b16_e32 v9, 8, v17
	v_cmp_ne_u16_e32 vcc, 0, v9
	v_mov_b32_e32 v12, 0
	v_mov_b32_e32 v11, 0
	s_and_saveexec_b64 s[0:1], vcc
	s_cbranch_execz .LBB322_282
; %bb.277:                              ;   in Loop: Header=BB322_270 Depth=1
	v_cmp_ne_u16_e32 vcc, s24, v9
	v_bfrev_b32_e32 v11, 1
	s_and_saveexec_b64 s[12:13], vcc
	s_cbranch_execz .LBB322_281
; %bb.278:                              ;   in Loop: Header=BB322_270 Depth=1
	v_and_b32_e32 v19, 0x7f, v9
	v_cmp_ne_u32_e32 vcc, s25, v19
	v_mov_b32_e32 v11, 0x7f800001
	s_and_saveexec_b64 s[14:15], vcc
	s_cbranch_execz .LBB322_280
; %bb.279:                              ;   in Loop: Header=BB322_270 Depth=1
	v_and_b32_e32 v11, 7, v9
	v_ffbh_u32_e32 v21, v11
	v_min_u32_e32 v24, 32, v21
	v_subrev_u32_e32 v21, 28, v24
	v_lshlrev_b64 v[21:22], v21, v[9:10]
	v_lshrrev_b32_e32 v23, 3, v19
	v_sub_u32_e32 v9, 29, v24
	v_and_b32_e32 v21, 7, v21
	v_cmp_gt_u32_e32 vcc, 8, v19
	v_cndmask_b32_e32 v9, v23, v9, vcc
	v_cndmask_b32_e32 v11, v11, v21, vcc
	v_lshlrev_b32_e32 v19, 16, v17
	v_bfrev_b32_e32 v21, 60
	v_lshlrev_b32_e32 v11, 20, v11
	v_and_b32_e32 v19, 0x80000000, v19
	v_lshl_add_u32 v9, v9, 23, v21
	v_or3_b32 v11, v19, v9, v11
.LBB322_280:                            ;   in Loop: Header=BB322_270 Depth=1
	s_or_b64 exec, exec, s[14:15]
.LBB322_281:                            ;   in Loop: Header=BB322_270 Depth=1
	s_or_b64 exec, exec, s[12:13]
.LBB322_282:                            ;   in Loop: Header=BB322_270 Depth=1
	s_or_b64 exec, exec, s[0:1]
	v_lshrrev_b32_e32 v9, 16, v17
	v_cmp_ne_u16_sdwa s[12:13], v9, v10 src0_sel:BYTE_0 src1_sel:DWORD
	s_and_saveexec_b64 s[0:1], s[12:13]
	s_cbranch_execz .LBB322_288
; %bb.283:                              ;   in Loop: Header=BB322_270 Depth=1
	v_cmp_ne_u16_sdwa s[14:15], v9, s24 src0_sel:BYTE_0 src1_sel:DWORD
	v_bfrev_b32_e32 v12, 1
	s_and_saveexec_b64 s[12:13], s[14:15]
	s_cbranch_execz .LBB322_287
; %bb.284:                              ;   in Loop: Header=BB322_270 Depth=1
	v_bfe_u32 v19, v17, 16, 7
	v_cmp_ne_u32_e32 vcc, s25, v19
	v_mov_b32_e32 v12, 0x7f800001
	s_and_saveexec_b64 s[14:15], vcc
	s_cbranch_execz .LBB322_286
; %bb.285:                              ;   in Loop: Header=BB322_270 Depth=1
	v_and_b32_e32 v12, 7, v9
	v_ffbh_u32_e32 v21, v12
	v_min_u32_e32 v24, 32, v21
	v_subrev_u32_e32 v21, 28, v24
	v_lshlrev_b64 v[21:22], v21, v[9:10]
	v_lshrrev_b32_e32 v23, 3, v19
	v_sub_u32_e32 v22, 29, v24
	v_and_b32_e32 v21, 7, v21
	v_cmp_gt_u32_e32 vcc, 8, v19
	v_cndmask_b32_e32 v19, v23, v22, vcc
	v_cndmask_b32_e32 v12, v12, v21, vcc
	v_lshlrev_b32_e32 v9, 24, v9
	v_bfrev_b32_e32 v21, 60
	v_lshlrev_b32_e32 v12, 20, v12
	v_and_b32_e32 v9, 0x80000000, v9
	v_lshl_add_u32 v19, v19, 23, v21
	v_or3_b32 v12, v9, v19, v12
.LBB322_286:                            ;   in Loop: Header=BB322_270 Depth=1
	s_or_b64 exec, exec, s[14:15]
.LBB322_287:                            ;   in Loop: Header=BB322_270 Depth=1
	s_or_b64 exec, exec, s[12:13]
.LBB322_288:                            ;   in Loop: Header=BB322_270 Depth=1
	s_or_b64 exec, exec, s[0:1]
	v_cmp_lt_u32_e32 vcc, s5, v17
	v_mov_b32_e32 v22, 0
	v_mov_b32_e32 v21, 0
	s_and_saveexec_b64 s[0:1], vcc
	s_cbranch_execz .LBB322_294
; %bb.289:                              ;   in Loop: Header=BB322_270 Depth=1
	v_lshrrev_b32_e32 v9, 24, v17
	v_cmp_ne_u32_e32 vcc, s24, v9
	v_bfrev_b32_e32 v21, 1
	s_and_saveexec_b64 s[12:13], vcc
	s_cbranch_execz .LBB322_293
; %bb.290:                              ;   in Loop: Header=BB322_270 Depth=1
	v_bfe_u32 v19, v17, 24, 7
	v_cmp_ne_u32_e32 vcc, s25, v19
	v_mov_b32_e32 v21, 0x7f800001
	s_and_saveexec_b64 s[14:15], vcc
	s_cbranch_execz .LBB322_292
; %bb.291:                              ;   in Loop: Header=BB322_270 Depth=1
	v_and_b32_e32 v21, 7, v9
	v_ffbh_u32_e32 v23, v21
	v_min_u32_e32 v33, 32, v23
	v_subrev_u32_e32 v23, 28, v33
	v_lshlrev_b64 v[23:24], v23, v[9:10]
	v_lshrrev_b32_e32 v32, 3, v19
	v_sub_u32_e32 v24, 29, v33
	v_and_b32_e32 v23, 7, v23
	v_cmp_gt_u32_e32 vcc, 8, v19
	v_cndmask_b32_e32 v19, v32, v24, vcc
	v_cndmask_b32_e32 v21, v21, v23, vcc
	v_lshlrev_b32_e32 v9, 24, v9
	v_bfrev_b32_e32 v23, 60
	v_lshlrev_b32_e32 v21, 20, v21
	v_and_b32_e32 v9, 0x80000000, v9
	v_lshl_add_u32 v19, v19, 23, v23
	v_or3_b32 v21, v9, v19, v21
.LBB322_292:                            ;   in Loop: Header=BB322_270 Depth=1
	s_or_b64 exec, exec, s[14:15]
.LBB322_293:                            ;   in Loop: Header=BB322_270 Depth=1
	s_or_b64 exec, exec, s[12:13]
.LBB322_294:                            ;   in Loop: Header=BB322_270 Depth=1
	s_or_b64 exec, exec, s[0:1]
	v_mov_b32_e32 v9, v18
	v_cmp_ne_u16_sdwa s[12:13], v18, v10 src0_sel:BYTE_0 src1_sel:DWORD
	s_and_saveexec_b64 s[0:1], s[12:13]
	s_cbranch_execz .LBB322_300
; %bb.295:                              ;   in Loop: Header=BB322_270 Depth=1
	v_cmp_ne_u16_sdwa s[14:15], v18, s24 src0_sel:BYTE_0 src1_sel:DWORD
	v_bfrev_b32_e32 v22, 1
	s_and_saveexec_b64 s[12:13], s[14:15]
	s_cbranch_execz .LBB322_299
; %bb.296:                              ;   in Loop: Header=BB322_270 Depth=1
	v_and_b32_e32 v19, 0x7f, v18
	v_cmp_ne_u32_e32 vcc, s25, v19
	v_mov_b32_e32 v22, 0x7f800001
	s_and_saveexec_b64 s[14:15], vcc
	s_cbranch_execz .LBB322_298
; %bb.297:                              ;   in Loop: Header=BB322_270 Depth=1
	v_and_b32_e32 v22, 7, v18
	v_ffbh_u32_e32 v22, v22
	v_min_u32_e32 v22, 32, v22
	v_lshrrev_b32_e32 v23, 3, v19
	v_subrev_u32_e32 v24, 28, v22
	v_sub_u32_e32 v22, 29, v22
	v_cmp_gt_u32_e32 vcc, 8, v19
	v_cndmask_b32_e32 v19, v23, v22, vcc
	v_cndmask_b32_e32 v22, 0, v24, vcc
	v_lshlrev_b64 v[22:23], v22, v[9:10]
	v_lshlrev_b32_e32 v23, 24, v9
	v_lshlrev_b32_e32 v22, 20, v22
	v_bfrev_b32_e32 v24, 60
	v_and_b32_e32 v22, 0x700000, v22
	v_and_b32_e32 v23, 0x80000000, v23
	v_lshl_add_u32 v19, v19, 23, v24
	v_or3_b32 v22, v23, v19, v22
.LBB322_298:                            ;   in Loop: Header=BB322_270 Depth=1
	s_or_b64 exec, exec, s[14:15]
.LBB322_299:                            ;   in Loop: Header=BB322_270 Depth=1
	s_or_b64 exec, exec, s[12:13]
.LBB322_300:                            ;   in Loop: Header=BB322_270 Depth=1
	s_or_b64 exec, exec, s[0:1]
	v_lshrrev_b16_e32 v19, 8, v9
	v_cmp_ne_u16_e32 vcc, 0, v19
	v_mov_b32_e32 v23, 0
	v_mov_b32_e32 v24, 0
	s_and_saveexec_b64 s[0:1], vcc
	s_cbranch_execz .LBB322_306
; %bb.301:                              ;   in Loop: Header=BB322_270 Depth=1
	v_cmp_ne_u16_e32 vcc, s24, v19
	v_bfrev_b32_e32 v24, 1
	s_and_saveexec_b64 s[12:13], vcc
	s_cbranch_execz .LBB322_305
; %bb.302:                              ;   in Loop: Header=BB322_270 Depth=1
	v_and_b32_e32 v32, 0x7f, v19
	v_cmp_ne_u32_e32 vcc, s25, v32
	v_mov_b32_e32 v24, 0x7f800001
	s_and_saveexec_b64 s[14:15], vcc
	s_cbranch_execz .LBB322_304
; %bb.303:                              ;   in Loop: Header=BB322_270 Depth=1
	v_and_b32_e32 v24, 7, v19
	v_ffbh_u32_e32 v33, v24
	v_min_u32_e32 v36, 32, v33
	v_subrev_u32_e32 v33, 28, v36
	v_lshlrev_b64 v[33:34], v33, v[19:20]
	v_lshrrev_b32_e32 v35, 3, v32
	v_sub_u32_e32 v19, 29, v36
	v_and_b32_e32 v33, 7, v33
	v_cmp_gt_u32_e32 vcc, 8, v32
	v_cndmask_b32_e32 v19, v35, v19, vcc
	v_cndmask_b32_e32 v24, v24, v33, vcc
	v_lshlrev_b32_e32 v9, 16, v9
	v_bfrev_b32_e32 v32, 60
	v_lshlrev_b32_e32 v24, 20, v24
	v_and_b32_e32 v9, 0x80000000, v9
	v_lshl_add_u32 v19, v19, 23, v32
	v_or3_b32 v24, v9, v19, v24
.LBB322_304:                            ;   in Loop: Header=BB322_270 Depth=1
	s_or_b64 exec, exec, s[14:15]
.LBB322_305:                            ;   in Loop: Header=BB322_270 Depth=1
	s_or_b64 exec, exec, s[12:13]
.LBB322_306:                            ;   in Loop: Header=BB322_270 Depth=1
	s_or_b64 exec, exec, s[0:1]
	v_lshrrev_b32_e32 v9, 16, v18
	v_cmp_ne_u16_sdwa s[12:13], v9, v10 src0_sel:BYTE_0 src1_sel:DWORD
	s_and_saveexec_b64 s[0:1], s[12:13]
	s_cbranch_execz .LBB322_312
; %bb.307:                              ;   in Loop: Header=BB322_270 Depth=1
	v_cmp_ne_u16_sdwa s[14:15], v9, s24 src0_sel:BYTE_0 src1_sel:DWORD
	v_bfrev_b32_e32 v23, 1
	s_and_saveexec_b64 s[12:13], s[14:15]
	s_cbranch_execz .LBB322_311
; %bb.308:                              ;   in Loop: Header=BB322_270 Depth=1
	v_bfe_u32 v19, v18, 16, 7
	v_cmp_ne_u32_e32 vcc, s25, v19
	v_mov_b32_e32 v23, 0x7f800001
	s_and_saveexec_b64 s[14:15], vcc
	s_cbranch_execz .LBB322_310
; %bb.309:                              ;   in Loop: Header=BB322_270 Depth=1
	v_and_b32_e32 v23, 7, v9
	v_ffbh_u32_e32 v32, v23
	v_min_u32_e32 v35, 32, v32
	v_subrev_u32_e32 v32, 28, v35
	v_lshlrev_b64 v[32:33], v32, v[9:10]
	v_lshrrev_b32_e32 v34, 3, v19
	v_sub_u32_e32 v33, 29, v35
	v_and_b32_e32 v32, 7, v32
	v_cmp_gt_u32_e32 vcc, 8, v19
	v_cndmask_b32_e32 v19, v34, v33, vcc
	v_cndmask_b32_e32 v23, v23, v32, vcc
	v_lshlrev_b32_e32 v9, 24, v9
	v_bfrev_b32_e32 v32, 60
	v_lshlrev_b32_e32 v23, 20, v23
	v_and_b32_e32 v9, 0x80000000, v9
	v_lshl_add_u32 v19, v19, 23, v32
	v_or3_b32 v23, v9, v19, v23
.LBB322_310:                            ;   in Loop: Header=BB322_270 Depth=1
	s_or_b64 exec, exec, s[14:15]
.LBB322_311:                            ;   in Loop: Header=BB322_270 Depth=1
	s_or_b64 exec, exec, s[12:13]
.LBB322_312:                            ;   in Loop: Header=BB322_270 Depth=1
	s_or_b64 exec, exec, s[0:1]
	v_cmp_lt_u64_e32 vcc, s[4:5], v[17:18]
	v_mov_b32_e32 v17, 0
	s_and_saveexec_b64 s[0:1], vcc
	s_cbranch_execz .LBB322_318
; %bb.313:                              ;   in Loop: Header=BB322_270 Depth=1
	v_lshrrev_b32_e32 v9, 24, v18
	v_cmp_ne_u32_e32 vcc, s24, v9
	v_bfrev_b32_e32 v17, 1
	s_and_saveexec_b64 s[12:13], vcc
	s_cbranch_execz .LBB322_317
; %bb.314:                              ;   in Loop: Header=BB322_270 Depth=1
	v_bfe_u32 v18, v18, 24, 7
	v_cmp_ne_u32_e32 vcc, s25, v18
	v_mov_b32_e32 v17, 0x7f800001
	s_and_saveexec_b64 s[14:15], vcc
	s_cbranch_execz .LBB322_316
; %bb.315:                              ;   in Loop: Header=BB322_270 Depth=1
	v_and_b32_e32 v17, 7, v9
	v_ffbh_u32_e32 v32, v17
	v_min_u32_e32 v34, 32, v32
	v_subrev_u32_e32 v32, 28, v34
	v_lshlrev_b64 v[32:33], v32, v[9:10]
	v_lshrrev_b32_e32 v19, 3, v18
	v_sub_u32_e32 v33, 29, v34
	v_and_b32_e32 v32, 7, v32
	v_cmp_gt_u32_e32 vcc, 8, v18
	v_cndmask_b32_e32 v18, v19, v33, vcc
	v_cndmask_b32_e32 v17, v17, v32, vcc
	v_lshlrev_b32_e32 v9, 24, v9
	v_bfrev_b32_e32 v19, 60
	v_lshlrev_b32_e32 v17, 20, v17
	v_and_b32_e32 v9, 0x80000000, v9
	v_lshl_add_u32 v18, v18, 23, v19
	v_or3_b32 v17, v9, v18, v17
.LBB322_316:                            ;   in Loop: Header=BB322_270 Depth=1
	s_or_b64 exec, exec, s[14:15]
.LBB322_317:                            ;   in Loop: Header=BB322_270 Depth=1
	s_or_b64 exec, exec, s[12:13]
.LBB322_318:                            ;   in Loop: Header=BB322_270 Depth=1
	s_or_b64 exec, exec, s[0:1]
	s_waitcnt lgkmcnt(0)
	v_mul_f32_e32 v9, s18, v24
	v_bfe_u32 v18, v9, 16, 1
	v_add3_u32 v18, v18, v9, s26
	v_or_b32_e32 v19, 0x400000, v9
	v_cmp_u_f32_e64 s[0:1], v9, v9
	v_cndmask_b32_e64 v9, v18, v19, s[0:1]
	v_lshrrev_b32_e32 v9, 16, v9
	buffer_store_dword v9, off, s[48:51], 0 ; 4-byte Folded Spill
	v_mul_f32_e32 v9, s18, v22
	v_bfe_u32 v18, v9, 16, 1
	v_add3_u32 v18, v18, v9, s26
	v_or_b32_e32 v19, 0x400000, v9
	v_cmp_u_f32_e64 s[0:1], v9, v9
	v_cndmask_b32_e64 v9, v18, v19, s[0:1]
	v_lshrrev_b32_e32 v9, 16, v9
	buffer_store_dword v9, off, s[48:51], 0 offset:4 ; 4-byte Folded Spill
	v_mul_f32_e32 v9, s18, v21
	v_bfe_u32 v18, v9, 16, 1
	v_add3_u32 v18, v18, v9, s26
	v_or_b32_e32 v19, 0x400000, v9
	v_cmp_u_f32_e64 s[0:1], v9, v9
	v_cndmask_b32_e64 v9, v18, v19, s[0:1]
	v_lshrrev_b32_e32 v36, 16, v9
	v_mul_f32_e32 v9, s18, v12
	v_bfe_u32 v12, v9, 16, 1
	v_add3_u32 v12, v12, v9, s26
	v_or_b32_e32 v18, 0x400000, v9
	v_cmp_u_f32_e64 s[0:1], v9, v9
	v_cndmask_b32_e64 v9, v12, v18, s[0:1]
	v_lshrrev_b32_e32 v37, 16, v9
	v_mul_f32_e32 v9, s18, v11
	v_bfe_u32 v11, v9, 16, 1
	v_add3_u32 v11, v11, v9, s26
	v_or_b32_e32 v12, 0x400000, v9
	v_cmp_u_f32_e64 s[0:1], v9, v9
	v_cndmask_b32_e64 v9, v11, v12, s[0:1]
	v_mul_f32_e32 v0, s18, v0
	v_lshrrev_b32_e32 v39, 16, v9
	v_bfe_u32 v9, v0, 16, 1
	v_add3_u32 v9, v9, v0, s26
	v_or_b32_e32 v11, 0x400000, v0
	v_cmp_u_f32_e64 s[0:1], v0, v0
	v_cndmask_b32_e64 v0, v9, v11, s[0:1]
	v_lshrrev_b32_e32 v40, 16, v0
	v_mul_f32_e32 v0, s18, v23
	v_bfe_u32 v9, v0, 16, 1
	v_add3_u32 v9, v9, v0, s26
	v_or_b32_e32 v11, 0x400000, v0
	v_cmp_u_f32_e64 s[0:1], v0, v0
	v_cndmask_b32_e64 v0, v9, v11, s[0:1]
	v_lshrrev_b32_e32 v35, 16, v0
	v_mul_f32_e32 v0, s18, v17
	v_bfe_u32 v9, v0, 16, 1
	v_add3_u32 v9, v9, v0, s26
	v_or_b32_e32 v11, 0x400000, v0
	v_cmp_u_f32_e64 s[0:1], v0, v0
	v_cndmask_b32_e64 v0, v9, v11, s[0:1]
	v_cmp_eq_u32_e32 vcc, s19, v20
	v_lshrrev_b32_e32 v38, 16, v0
	s_and_saveexec_b64 s[12:13], vcc
	s_cbranch_execz .LBB322_320
; %bb.319:                              ;   in Loop: Header=BB322_270 Depth=1
	v_add_u32_e32 v0, -7, v30
	v_cmp_gt_i32_e64 s[0:1], s30, v0
	v_add_u32_e32 v0, -6, v30
	v_cndmask_b32_e64 v40, 0, v40, s[0:1]
	v_cmp_gt_i32_e64 s[0:1], s30, v0
	v_add_u32_e32 v0, -5, v30
	v_cndmask_b32_e64 v39, 0, v39, s[0:1]
	;; [unrolled: 3-line block ×4, first 2 shown]
	v_cmp_gt_i32_e64 s[0:1], s30, v0
	buffer_load_dword v0, off, s[48:51], 0 offset:4 ; 4-byte Folded Reload
	s_waitcnt vmcnt(0)
	v_cndmask_b32_e64 v0, 0, v0, s[0:1]
	buffer_store_dword v0, off, s[48:51], 0 offset:4 ; 4-byte Folded Spill
	v_add_u32_e32 v0, -2, v30
	v_cmp_gt_i32_e64 s[0:1], s30, v0
	buffer_load_dword v0, off, s[48:51], 0  ; 4-byte Folded Reload
	s_waitcnt vmcnt(0)
	v_cndmask_b32_e64 v0, 0, v0, s[0:1]
	buffer_store_dword v0, off, s[48:51], 0 ; 4-byte Folded Spill
	v_add_u32_e32 v0, -1, v30
	v_cmp_gt_i32_e64 s[0:1], s30, v0
	v_cndmask_b32_e64 v35, 0, v35, s[0:1]
	v_cmp_gt_i32_e64 s[0:1], s30, v30
	v_cndmask_b32_e64 v38, 0, v38, s[0:1]
.LBB322_320:                            ;   in Loop: Header=BB322_270 Depth=1
	s_or_b64 exec, exec, s[12:13]
	global_load_dwordx2 v[17:18], v[15:16], off offset:512
	v_mov_b32_e32 v12, 0
	v_mov_b32_e32 v11, 0
	s_waitcnt vmcnt(0)
	v_cmp_ne_u16_sdwa s[0:1], v17, v10 src0_sel:BYTE_0 src1_sel:DWORD
	s_and_saveexec_b64 s[12:13], s[0:1]
	s_cbranch_execz .LBB322_326
; %bb.321:                              ;   in Loop: Header=BB322_270 Depth=1
	v_cmp_ne_u16_sdwa s[0:1], v17, s24 src0_sel:BYTE_0 src1_sel:DWORD
	v_bfrev_b32_e32 v11, 1
	s_and_saveexec_b64 s[14:15], s[0:1]
	s_cbranch_execz .LBB322_325
; %bb.322:                              ;   in Loop: Header=BB322_270 Depth=1
	v_and_b32_e32 v0, 0x7f, v17
	v_cmp_ne_u32_e64 s[0:1], s25, v0
	v_mov_b32_e32 v11, 0x7f800001
	s_and_saveexec_b64 s[16:17], s[0:1]
	s_cbranch_execz .LBB322_324
; %bb.323:                              ;   in Loop: Header=BB322_270 Depth=1
	v_and_b32_e32 v9, 7, v17
	v_ffbh_u32_e32 v9, v9
	v_min_u32_e32 v9, 32, v9
	v_lshrrev_b32_e32 v11, 3, v0
	v_subrev_u32_e32 v19, 28, v9
	v_sub_u32_e32 v9, 29, v9
	v_cmp_gt_u32_e64 s[0:1], 8, v0
	v_cndmask_b32_e64 v0, v11, v9, s[0:1]
	v_cndmask_b32_e64 v9, 0, v19, s[0:1]
	v_lshlrev_b64 v[21:22], v9, v[17:18]
	v_lshlrev_b32_e32 v11, 24, v17
	v_lshlrev_b32_e32 v9, 20, v21
	v_bfrev_b32_e32 v19, 60
	v_and_b32_e32 v9, 0x700000, v9
	v_and_b32_e32 v11, 0x80000000, v11
	v_lshl_add_u32 v0, v0, 23, v19
	v_or3_b32 v11, v11, v0, v9
.LBB322_324:                            ;   in Loop: Header=BB322_270 Depth=1
	s_or_b64 exec, exec, s[16:17]
.LBB322_325:                            ;   in Loop: Header=BB322_270 Depth=1
	s_or_b64 exec, exec, s[14:15]
.LBB322_326:                            ;   in Loop: Header=BB322_270 Depth=1
	s_or_b64 exec, exec, s[12:13]
	v_lshrrev_b16_e32 v9, 8, v17
	v_cmp_ne_u16_e64 s[0:1], 0, v9
	s_and_saveexec_b64 s[12:13], s[0:1]
	s_cbranch_execz .LBB322_332
; %bb.327:                              ;   in Loop: Header=BB322_270 Depth=1
	v_cmp_ne_u16_e64 s[0:1], s24, v9
	v_bfrev_b32_e32 v12, 1
	s_and_saveexec_b64 s[14:15], s[0:1]
	s_cbranch_execz .LBB322_331
; %bb.328:                              ;   in Loop: Header=BB322_270 Depth=1
	v_and_b32_e32 v0, 0x7f, v9
	v_cmp_ne_u32_e64 s[0:1], s25, v0
	v_mov_b32_e32 v12, 0x7f800001
	s_and_saveexec_b64 s[16:17], s[0:1]
	s_cbranch_execz .LBB322_330
; %bb.329:                              ;   in Loop: Header=BB322_270 Depth=1
	v_and_b32_e32 v12, 7, v9
	v_ffbh_u32_e32 v21, v12
	v_min_u32_e32 v23, 32, v21
	v_subrev_u32_e32 v21, 28, v23
	v_lshlrev_b64 v[21:22], v21, v[9:10]
	v_lshrrev_b32_e32 v19, 3, v0
	v_sub_u32_e32 v9, 29, v23
	v_and_b32_e32 v21, 7, v21
	v_cmp_gt_u32_e64 s[0:1], 8, v0
	v_cndmask_b32_e64 v0, v19, v9, s[0:1]
	v_cndmask_b32_e64 v9, v12, v21, s[0:1]
	v_lshlrev_b32_e32 v12, 16, v17
	v_bfrev_b32_e32 v19, 60
	v_lshlrev_b32_e32 v9, 20, v9
	v_and_b32_e32 v12, 0x80000000, v12
	v_lshl_add_u32 v0, v0, 23, v19
	v_or3_b32 v12, v12, v0, v9
.LBB322_330:                            ;   in Loop: Header=BB322_270 Depth=1
	s_or_b64 exec, exec, s[16:17]
.LBB322_331:                            ;   in Loop: Header=BB322_270 Depth=1
	s_or_b64 exec, exec, s[14:15]
.LBB322_332:                            ;   in Loop: Header=BB322_270 Depth=1
	s_or_b64 exec, exec, s[12:13]
	v_lshrrev_b32_e32 v9, 16, v17
	v_cmp_ne_u16_sdwa s[0:1], v9, v10 src0_sel:BYTE_0 src1_sel:DWORD
	v_mov_b32_e32 v22, 0
	v_mov_b32_e32 v21, 0
	s_and_saveexec_b64 s[12:13], s[0:1]
	s_cbranch_execz .LBB322_338
; %bb.333:                              ;   in Loop: Header=BB322_270 Depth=1
	v_cmp_ne_u16_sdwa s[0:1], v9, s24 src0_sel:BYTE_0 src1_sel:DWORD
	v_bfrev_b32_e32 v21, 1
	s_and_saveexec_b64 s[14:15], s[0:1]
	s_cbranch_execz .LBB322_337
; %bb.334:                              ;   in Loop: Header=BB322_270 Depth=1
	v_bfe_u32 v0, v17, 16, 7
	v_cmp_ne_u32_e64 s[0:1], s25, v0
	v_mov_b32_e32 v21, 0x7f800001
	s_and_saveexec_b64 s[16:17], s[0:1]
	s_cbranch_execz .LBB322_336
; %bb.335:                              ;   in Loop: Header=BB322_270 Depth=1
	v_and_b32_e32 v19, 7, v9
	v_ffbh_u32_e32 v23, v19
	v_min_u32_e32 v32, 32, v23
	v_subrev_u32_e32 v23, 28, v32
	v_lshlrev_b64 v[23:24], v23, v[9:10]
	v_lshrrev_b32_e32 v21, 3, v0
	v_sub_u32_e32 v24, 29, v32
	v_and_b32_e32 v23, 7, v23
	v_cmp_gt_u32_e64 s[0:1], 8, v0
	v_cndmask_b32_e64 v0, v21, v24, s[0:1]
	v_cndmask_b32_e64 v19, v19, v23, s[0:1]
	v_lshlrev_b32_e32 v9, 24, v9
	v_bfrev_b32_e32 v21, 60
	v_lshlrev_b32_e32 v19, 20, v19
	v_and_b32_e32 v9, 0x80000000, v9
	v_lshl_add_u32 v0, v0, 23, v21
	v_or3_b32 v21, v9, v0, v19
.LBB322_336:                            ;   in Loop: Header=BB322_270 Depth=1
	s_or_b64 exec, exec, s[16:17]
.LBB322_337:                            ;   in Loop: Header=BB322_270 Depth=1
	s_or_b64 exec, exec, s[14:15]
.LBB322_338:                            ;   in Loop: Header=BB322_270 Depth=1
	s_or_b64 exec, exec, s[12:13]
	v_cmp_lt_u32_e64 s[0:1], s5, v17
	s_and_saveexec_b64 s[12:13], s[0:1]
	s_cbranch_execz .LBB322_344
; %bb.339:                              ;   in Loop: Header=BB322_270 Depth=1
	v_lshrrev_b32_e32 v9, 24, v17
	v_cmp_ne_u32_e64 s[0:1], s24, v9
	v_bfrev_b32_e32 v22, 1
	s_and_saveexec_b64 s[14:15], s[0:1]
	s_cbranch_execz .LBB322_343
; %bb.340:                              ;   in Loop: Header=BB322_270 Depth=1
	v_bfe_u32 v0, v17, 24, 7
	v_cmp_ne_u32_e64 s[0:1], s25, v0
	v_mov_b32_e32 v22, 0x7f800001
	s_and_saveexec_b64 s[16:17], s[0:1]
	s_cbranch_execz .LBB322_342
; %bb.341:                              ;   in Loop: Header=BB322_270 Depth=1
	v_and_b32_e32 v19, 7, v9
	v_ffbh_u32_e32 v22, v19
	v_min_u32_e32 v32, 32, v22
	v_subrev_u32_e32 v22, 28, v32
	v_lshlrev_b64 v[22:23], v22, v[9:10]
	v_lshrrev_b32_e32 v24, 3, v0
	v_sub_u32_e32 v23, 29, v32
	v_and_b32_e32 v22, 7, v22
	v_cmp_gt_u32_e64 s[0:1], 8, v0
	v_cndmask_b32_e64 v0, v24, v23, s[0:1]
	v_cndmask_b32_e64 v19, v19, v22, s[0:1]
	v_lshlrev_b32_e32 v9, 24, v9
	v_bfrev_b32_e32 v22, 60
	v_lshlrev_b32_e32 v19, 20, v19
	v_and_b32_e32 v9, 0x80000000, v9
	v_lshl_add_u32 v0, v0, 23, v22
	v_or3_b32 v22, v9, v0, v19
.LBB322_342:                            ;   in Loop: Header=BB322_270 Depth=1
	s_or_b64 exec, exec, s[16:17]
.LBB322_343:                            ;   in Loop: Header=BB322_270 Depth=1
	s_or_b64 exec, exec, s[14:15]
.LBB322_344:                            ;   in Loop: Header=BB322_270 Depth=1
	s_or_b64 exec, exec, s[12:13]
	v_mov_b32_e32 v9, v18
	v_cmp_ne_u16_sdwa s[0:1], v18, v10 src0_sel:BYTE_0 src1_sel:DWORD
	v_mov_b32_e32 v0, 0
	v_mov_b32_e32 v23, 0
	s_and_saveexec_b64 s[12:13], s[0:1]
	s_cbranch_execz .LBB322_350
; %bb.345:                              ;   in Loop: Header=BB322_270 Depth=1
	v_cmp_ne_u16_sdwa s[0:1], v18, s24 src0_sel:BYTE_0 src1_sel:DWORD
	v_bfrev_b32_e32 v23, 1
	s_and_saveexec_b64 s[14:15], s[0:1]
	s_cbranch_execz .LBB322_349
; %bb.346:                              ;   in Loop: Header=BB322_270 Depth=1
	v_and_b32_e32 v19, 0x7f, v18
	v_cmp_ne_u32_e64 s[0:1], s25, v19
	v_mov_b32_e32 v23, 0x7f800001
	s_and_saveexec_b64 s[16:17], s[0:1]
	s_cbranch_execz .LBB322_348
; %bb.347:                              ;   in Loop: Header=BB322_270 Depth=1
	v_and_b32_e32 v23, 7, v18
	v_ffbh_u32_e32 v23, v23
	v_min_u32_e32 v23, 32, v23
	v_lshrrev_b32_e32 v24, 3, v19
	v_subrev_u32_e32 v32, 28, v23
	v_sub_u32_e32 v23, 29, v23
	v_cmp_gt_u32_e64 s[0:1], 8, v19
	v_cndmask_b32_e64 v19, v24, v23, s[0:1]
	v_cndmask_b32_e64 v23, 0, v32, s[0:1]
	v_lshlrev_b64 v[23:24], v23, v[9:10]
	v_lshlrev_b32_e32 v24, 24, v9
	v_lshlrev_b32_e32 v23, 20, v23
	v_bfrev_b32_e32 v32, 60
	v_and_b32_e32 v23, 0x700000, v23
	v_and_b32_e32 v24, 0x80000000, v24
	v_lshl_add_u32 v19, v19, 23, v32
	v_or3_b32 v23, v24, v19, v23
.LBB322_348:                            ;   in Loop: Header=BB322_270 Depth=1
	s_or_b64 exec, exec, s[16:17]
.LBB322_349:                            ;   in Loop: Header=BB322_270 Depth=1
	s_or_b64 exec, exec, s[14:15]
.LBB322_350:                            ;   in Loop: Header=BB322_270 Depth=1
	s_or_b64 exec, exec, s[12:13]
	v_lshrrev_b16_e32 v19, 8, v9
	v_cmp_ne_u16_e64 s[0:1], 0, v19
	s_and_saveexec_b64 s[12:13], s[0:1]
	s_cbranch_execz .LBB322_356
; %bb.351:                              ;   in Loop: Header=BB322_270 Depth=1
	v_cmp_ne_u16_e64 s[0:1], s24, v19
	v_bfrev_b32_e32 v0, 1
	s_and_saveexec_b64 s[14:15], s[0:1]
	s_cbranch_execz .LBB322_355
; %bb.352:                              ;   in Loop: Header=BB322_270 Depth=1
	v_and_b32_e32 v24, 0x7f, v19
	v_cmp_ne_u32_e64 s[0:1], s25, v24
	v_mov_b32_e32 v0, 0x7f800001
	s_and_saveexec_b64 s[16:17], s[0:1]
	s_cbranch_execz .LBB322_354
; %bb.353:                              ;   in Loop: Header=BB322_270 Depth=1
	v_and_b32_e32 v0, 7, v19
	v_ffbh_u32_e32 v41, v0
	v_min_u32_e32 v43, 32, v41
	v_subrev_u32_e32 v41, 28, v43
	v_lshlrev_b64 v[41:42], v41, v[19:20]
	v_lshrrev_b32_e32 v32, 3, v24
	v_sub_u32_e32 v19, 29, v43
	v_and_b32_e32 v41, 7, v41
	v_cmp_gt_u32_e64 s[0:1], 8, v24
	v_cndmask_b32_e64 v19, v32, v19, s[0:1]
	v_cndmask_b32_e64 v0, v0, v41, s[0:1]
	v_lshlrev_b32_e32 v9, 16, v9
	v_bfrev_b32_e32 v24, 60
	v_lshlrev_b32_e32 v0, 20, v0
	v_and_b32_e32 v9, 0x80000000, v9
	v_lshl_add_u32 v19, v19, 23, v24
	v_or3_b32 v0, v9, v19, v0
.LBB322_354:                            ;   in Loop: Header=BB322_270 Depth=1
	s_or_b64 exec, exec, s[16:17]
.LBB322_355:                            ;   in Loop: Header=BB322_270 Depth=1
	s_or_b64 exec, exec, s[14:15]
.LBB322_356:                            ;   in Loop: Header=BB322_270 Depth=1
	s_or_b64 exec, exec, s[12:13]
	v_lshrrev_b32_e32 v9, 16, v18
	v_cmp_ne_u16_sdwa s[0:1], v9, v10 src0_sel:BYTE_0 src1_sel:DWORD
	v_mov_b32_e32 v19, 0
	v_mov_b32_e32 v24, 0
	s_and_saveexec_b64 s[12:13], s[0:1]
	s_cbranch_execz .LBB322_362
; %bb.357:                              ;   in Loop: Header=BB322_270 Depth=1
	v_cmp_ne_u16_sdwa s[0:1], v9, s24 src0_sel:BYTE_0 src1_sel:DWORD
	v_bfrev_b32_e32 v24, 1
	s_and_saveexec_b64 s[14:15], s[0:1]
	s_cbranch_execz .LBB322_361
; %bb.358:                              ;   in Loop: Header=BB322_270 Depth=1
	v_bfe_u32 v32, v18, 16, 7
	v_cmp_ne_u32_e64 s[0:1], s25, v32
	v_mov_b32_e32 v24, 0x7f800001
	s_and_saveexec_b64 s[16:17], s[0:1]
	s_cbranch_execz .LBB322_360
; %bb.359:                              ;   in Loop: Header=BB322_270 Depth=1
	v_and_b32_e32 v24, 7, v9
	v_ffbh_u32_e32 v41, v24
	v_min_u32_e32 v44, 32, v41
	v_subrev_u32_e32 v41, 28, v44
	v_lshlrev_b64 v[41:42], v41, v[9:10]
	v_lshrrev_b32_e32 v43, 3, v32
	v_sub_u32_e32 v42, 29, v44
	v_and_b32_e32 v41, 7, v41
	v_cmp_gt_u32_e64 s[0:1], 8, v32
	v_cndmask_b32_e64 v32, v43, v42, s[0:1]
	v_cndmask_b32_e64 v24, v24, v41, s[0:1]
	v_lshlrev_b32_e32 v9, 24, v9
	v_bfrev_b32_e32 v33, 60
	v_lshlrev_b32_e32 v24, 20, v24
	v_and_b32_e32 v9, 0x80000000, v9
	v_lshl_add_u32 v32, v32, 23, v33
	v_or3_b32 v24, v9, v32, v24
.LBB322_360:                            ;   in Loop: Header=BB322_270 Depth=1
	s_or_b64 exec, exec, s[16:17]
.LBB322_361:                            ;   in Loop: Header=BB322_270 Depth=1
	s_or_b64 exec, exec, s[14:15]
.LBB322_362:                            ;   in Loop: Header=BB322_270 Depth=1
	s_or_b64 exec, exec, s[12:13]
	v_cmp_lt_u64_e64 s[0:1], s[4:5], v[17:18]
	s_and_saveexec_b64 s[12:13], s[0:1]
	s_cbranch_execz .LBB322_368
; %bb.363:                              ;   in Loop: Header=BB322_270 Depth=1
	v_lshrrev_b32_e32 v9, 24, v18
	v_cmp_ne_u32_e64 s[0:1], s24, v9
	v_bfrev_b32_e32 v19, 1
	s_and_saveexec_b64 s[14:15], s[0:1]
	s_cbranch_execz .LBB322_367
; %bb.364:                              ;   in Loop: Header=BB322_270 Depth=1
	v_bfe_u32 v17, v18, 24, 7
	v_cmp_ne_u32_e64 s[0:1], s25, v17
	v_mov_b32_e32 v19, 0x7f800001
	s_and_saveexec_b64 s[16:17], s[0:1]
	s_cbranch_execz .LBB322_366
; %bb.365:                              ;   in Loop: Header=BB322_270 Depth=1
	v_and_b32_e32 v32, 7, v9
	v_ffbh_u32_e32 v18, v32
	v_min_u32_e32 v42, 32, v18
	v_subrev_u32_e32 v18, 28, v42
	v_lshlrev_b64 v[18:19], v18, v[9:10]
	v_lshrrev_b32_e32 v41, 3, v17
	v_sub_u32_e32 v19, 29, v42
	v_and_b32_e32 v18, 7, v18
	v_cmp_gt_u32_e64 s[0:1], 8, v17
	v_cndmask_b32_e64 v17, v41, v19, s[0:1]
	v_cndmask_b32_e64 v18, v32, v18, s[0:1]
	v_lshlrev_b32_e32 v9, 24, v9
	v_bfrev_b32_e32 v19, 60
	v_lshlrev_b32_e32 v18, 20, v18
	v_and_b32_e32 v9, 0x80000000, v9
	v_lshl_add_u32 v17, v17, 23, v19
	v_or3_b32 v19, v9, v17, v18
.LBB322_366:                            ;   in Loop: Header=BB322_270 Depth=1
	s_or_b64 exec, exec, s[16:17]
.LBB322_367:                            ;   in Loop: Header=BB322_270 Depth=1
	s_or_b64 exec, exec, s[14:15]
.LBB322_368:                            ;   in Loop: Header=BB322_270 Depth=1
	s_or_b64 exec, exec, s[12:13]
	v_mul_f32_e32 v0, s18, v0
	v_bfe_u32 v9, v0, 16, 1
	v_add3_u32 v9, v9, v0, s26
	v_or_b32_e32 v17, 0x400000, v0
	v_cmp_u_f32_e64 s[0:1], v0, v0
	v_cndmask_b32_e64 v0, v9, v17, s[0:1]
	v_mul_f32_e32 v9, s18, v23
	v_bfe_u32 v17, v9, 16, 1
	v_add3_u32 v17, v17, v9, s26
	v_or_b32_e32 v18, 0x400000, v9
	v_cmp_u_f32_e64 s[0:1], v9, v9
	v_cndmask_b32_e64 v9, v17, v18, s[0:1]
	v_lshrrev_b32_e32 v48, 16, v9
	v_mul_f32_e32 v9, s18, v22
	v_bfe_u32 v17, v9, 16, 1
	v_add3_u32 v17, v17, v9, s26
	v_or_b32_e32 v18, 0x400000, v9
	v_cmp_u_f32_e64 s[0:1], v9, v9
	v_cndmask_b32_e64 v9, v17, v18, s[0:1]
	v_lshrrev_b32_e32 v50, 16, v9
	;; [unrolled: 7-line block ×7, first 2 shown]
	v_lshrrev_b32_e32 v52, 16, v9
	s_and_saveexec_b64 s[12:13], vcc
	s_cbranch_execz .LBB322_370
; %bb.369:                              ;   in Loop: Header=BB322_270 Depth=1
	v_add_u32_e32 v9, -7, v30
	v_cmp_gt_i32_e64 s[0:1], s30, v9
	v_add_u32_e32 v9, -6, v30
	v_cndmask_b32_e64 v54, 0, v54, s[0:1]
	v_cmp_gt_i32_e64 s[0:1], s30, v9
	v_add_u32_e32 v9, -5, v30
	v_cndmask_b32_e64 v53, 0, v53, s[0:1]
	;; [unrolled: 3-line block ×6, first 2 shown]
	v_cmp_gt_i32_e64 s[0:1], s30, v9
	v_cndmask_b32_e64 v49, 0, v49, s[0:1]
	v_cmp_gt_i32_e64 s[0:1], s30, v30
	v_cndmask_b32_e64 v52, 0, v52, s[0:1]
.LBB322_370:                            ;   in Loop: Header=BB322_270 Depth=1
	s_or_b64 exec, exec, s[12:13]
	global_load_dwordx2 v[17:18], v[15:16], off offset:1024
	v_mov_b32_e32 v12, 0
	v_mov_b32_e32 v11, 0
	s_waitcnt vmcnt(0)
	v_cmp_ne_u16_sdwa s[0:1], v17, v10 src0_sel:BYTE_0 src1_sel:DWORD
	s_and_saveexec_b64 s[12:13], s[0:1]
	s_cbranch_execz .LBB322_376
; %bb.371:                              ;   in Loop: Header=BB322_270 Depth=1
	v_cmp_ne_u16_sdwa s[0:1], v17, s24 src0_sel:BYTE_0 src1_sel:DWORD
	v_bfrev_b32_e32 v11, 1
	s_and_saveexec_b64 s[14:15], s[0:1]
	s_cbranch_execz .LBB322_375
; %bb.372:                              ;   in Loop: Header=BB322_270 Depth=1
	v_and_b32_e32 v9, 0x7f, v17
	v_cmp_ne_u32_e64 s[0:1], s25, v9
	v_mov_b32_e32 v11, 0x7f800001
	s_and_saveexec_b64 s[16:17], s[0:1]
	s_cbranch_execz .LBB322_374
; %bb.373:                              ;   in Loop: Header=BB322_270 Depth=1
	v_and_b32_e32 v11, 7, v17
	v_ffbh_u32_e32 v11, v11
	v_min_u32_e32 v11, 32, v11
	v_lshrrev_b32_e32 v19, 3, v9
	v_subrev_u32_e32 v21, 28, v11
	v_sub_u32_e32 v11, 29, v11
	v_cmp_gt_u32_e64 s[0:1], 8, v9
	v_cndmask_b32_e64 v9, v19, v11, s[0:1]
	v_cndmask_b32_e64 v11, 0, v21, s[0:1]
	v_lshlrev_b64 v[21:22], v11, v[17:18]
	v_lshlrev_b32_e32 v19, 24, v17
	v_lshlrev_b32_e32 v11, 20, v21
	v_bfrev_b32_e32 v21, 60
	v_and_b32_e32 v11, 0x700000, v11
	v_and_b32_e32 v19, 0x80000000, v19
	v_lshl_add_u32 v9, v9, 23, v21
	v_or3_b32 v11, v19, v9, v11
.LBB322_374:                            ;   in Loop: Header=BB322_270 Depth=1
	s_or_b64 exec, exec, s[16:17]
.LBB322_375:                            ;   in Loop: Header=BB322_270 Depth=1
	s_or_b64 exec, exec, s[14:15]
.LBB322_376:                            ;   in Loop: Header=BB322_270 Depth=1
	s_or_b64 exec, exec, s[12:13]
	v_lshrrev_b16_e32 v9, 8, v17
	v_cmp_ne_u16_e64 s[0:1], 0, v9
	s_and_saveexec_b64 s[12:13], s[0:1]
	s_cbranch_execz .LBB322_382
; %bb.377:                              ;   in Loop: Header=BB322_270 Depth=1
	v_cmp_ne_u16_e64 s[0:1], s24, v9
	v_bfrev_b32_e32 v12, 1
	s_and_saveexec_b64 s[14:15], s[0:1]
	s_cbranch_execz .LBB322_381
; %bb.378:                              ;   in Loop: Header=BB322_270 Depth=1
	v_and_b32_e32 v19, 0x7f, v9
	v_cmp_ne_u32_e64 s[0:1], s25, v19
	v_mov_b32_e32 v12, 0x7f800001
	s_and_saveexec_b64 s[16:17], s[0:1]
	s_cbranch_execz .LBB322_380
; %bb.379:                              ;   in Loop: Header=BB322_270 Depth=1
	v_and_b32_e32 v12, 7, v9
	v_ffbh_u32_e32 v21, v12
	v_min_u32_e32 v24, 32, v21
	v_subrev_u32_e32 v21, 28, v24
	v_lshlrev_b64 v[21:22], v21, v[9:10]
	v_lshrrev_b32_e32 v23, 3, v19
	v_sub_u32_e32 v9, 29, v24
	v_and_b32_e32 v21, 7, v21
	v_cmp_gt_u32_e64 s[0:1], 8, v19
	v_cndmask_b32_e64 v9, v23, v9, s[0:1]
	v_cndmask_b32_e64 v12, v12, v21, s[0:1]
	v_lshlrev_b32_e32 v19, 16, v17
	v_bfrev_b32_e32 v21, 60
	v_lshlrev_b32_e32 v12, 20, v12
	v_and_b32_e32 v19, 0x80000000, v19
	v_lshl_add_u32 v9, v9, 23, v21
	v_or3_b32 v12, v19, v9, v12
.LBB322_380:                            ;   in Loop: Header=BB322_270 Depth=1
	s_or_b64 exec, exec, s[16:17]
.LBB322_381:                            ;   in Loop: Header=BB322_270 Depth=1
	s_or_b64 exec, exec, s[14:15]
.LBB322_382:                            ;   in Loop: Header=BB322_270 Depth=1
	s_or_b64 exec, exec, s[12:13]
	v_lshrrev_b32_e32 v9, 16, v17
	v_cmp_ne_u16_sdwa s[0:1], v9, v10 src0_sel:BYTE_0 src1_sel:DWORD
	v_mov_b32_e32 v22, 0
	v_mov_b32_e32 v21, 0
	s_and_saveexec_b64 s[12:13], s[0:1]
	s_cbranch_execz .LBB322_388
; %bb.383:                              ;   in Loop: Header=BB322_270 Depth=1
	v_cmp_ne_u16_sdwa s[0:1], v9, s24 src0_sel:BYTE_0 src1_sel:DWORD
	v_bfrev_b32_e32 v21, 1
	s_and_saveexec_b64 s[14:15], s[0:1]
	s_cbranch_execz .LBB322_387
; %bb.384:                              ;   in Loop: Header=BB322_270 Depth=1
	v_bfe_u32 v19, v17, 16, 7
	v_cmp_ne_u32_e64 s[0:1], s25, v19
	v_mov_b32_e32 v21, 0x7f800001
	s_and_saveexec_b64 s[16:17], s[0:1]
	s_cbranch_execz .LBB322_386
; %bb.385:                              ;   in Loop: Header=BB322_270 Depth=1
	v_and_b32_e32 v21, 7, v9
	v_lshrrev_b32_e32 v32, 3, v19
	v_cmp_gt_u32_e64 s[0:1], 8, v19
	v_ffbh_u32_e32 v19, v21
	v_min_u32_e32 v19, 32, v19
	v_subrev_u32_e32 v23, 28, v19
	v_lshlrev_b64 v[23:24], v23, v[9:10]
	v_sub_u32_e32 v19, 29, v19
	v_and_b32_e32 v23, 7, v23
	v_cndmask_b32_e64 v19, v32, v19, s[0:1]
	v_cndmask_b32_e64 v21, v21, v23, s[0:1]
	v_lshlrev_b32_e32 v9, 24, v9
	v_bfrev_b32_e32 v23, 60
	v_lshlrev_b32_e32 v21, 20, v21
	v_and_b32_e32 v9, 0x80000000, v9
	v_lshl_add_u32 v19, v19, 23, v23
	v_or3_b32 v21, v9, v19, v21
.LBB322_386:                            ;   in Loop: Header=BB322_270 Depth=1
	s_or_b64 exec, exec, s[16:17]
.LBB322_387:                            ;   in Loop: Header=BB322_270 Depth=1
	s_or_b64 exec, exec, s[14:15]
.LBB322_388:                            ;   in Loop: Header=BB322_270 Depth=1
	s_or_b64 exec, exec, s[12:13]
	v_cmp_lt_u32_e64 s[0:1], s5, v17
	s_and_saveexec_b64 s[12:13], s[0:1]
	s_cbranch_execz .LBB322_394
; %bb.389:                              ;   in Loop: Header=BB322_270 Depth=1
	v_lshrrev_b32_e32 v9, 24, v17
	v_cmp_ne_u32_e64 s[0:1], s24, v9
	v_bfrev_b32_e32 v22, 1
	s_and_saveexec_b64 s[14:15], s[0:1]
	s_cbranch_execz .LBB322_393
; %bb.390:                              ;   in Loop: Header=BB322_270 Depth=1
	v_bfe_u32 v19, v17, 24, 7
	v_cmp_ne_u32_e64 s[0:1], s25, v19
	v_mov_b32_e32 v22, 0x7f800001
	s_and_saveexec_b64 s[16:17], s[0:1]
	s_cbranch_execz .LBB322_392
; %bb.391:                              ;   in Loop: Header=BB322_270 Depth=1
	v_and_b32_e32 v24, 7, v9
	v_lshrrev_b32_e32 v32, 3, v19
	v_cmp_gt_u32_e64 s[0:1], 8, v19
	v_ffbh_u32_e32 v19, v24
	v_min_u32_e32 v19, 32, v19
	v_subrev_u32_e32 v22, 28, v19
	v_lshlrev_b64 v[22:23], v22, v[9:10]
	v_sub_u32_e32 v19, 29, v19
	v_and_b32_e32 v22, 7, v22
	v_cndmask_b32_e64 v19, v32, v19, s[0:1]
	v_cndmask_b32_e64 v22, v24, v22, s[0:1]
	v_lshlrev_b32_e32 v9, 24, v9
	v_bfrev_b32_e32 v23, 60
	v_lshlrev_b32_e32 v22, 20, v22
	v_and_b32_e32 v9, 0x80000000, v9
	v_lshl_add_u32 v19, v19, 23, v23
	v_or3_b32 v22, v9, v19, v22
.LBB322_392:                            ;   in Loop: Header=BB322_270 Depth=1
	s_or_b64 exec, exec, s[16:17]
.LBB322_393:                            ;   in Loop: Header=BB322_270 Depth=1
	s_or_b64 exec, exec, s[14:15]
.LBB322_394:                            ;   in Loop: Header=BB322_270 Depth=1
	s_or_b64 exec, exec, s[12:13]
	v_mov_b32_e32 v9, v18
	v_cmp_ne_u16_sdwa s[0:1], v18, v10 src0_sel:BYTE_0 src1_sel:DWORD
	v_mov_b32_e32 v24, 0
	v_mov_b32_e32 v23, 0
	s_and_saveexec_b64 s[12:13], s[0:1]
	s_cbranch_execz .LBB322_400
; %bb.395:                              ;   in Loop: Header=BB322_270 Depth=1
	v_cmp_ne_u16_sdwa s[0:1], v18, s24 src0_sel:BYTE_0 src1_sel:DWORD
	v_bfrev_b32_e32 v23, 1
	s_and_saveexec_b64 s[14:15], s[0:1]
	s_cbranch_execz .LBB322_399
; %bb.396:                              ;   in Loop: Header=BB322_270 Depth=1
	v_and_b32_e32 v19, 0x7f, v18
	v_cmp_ne_u32_e64 s[0:1], s25, v19
	v_mov_b32_e32 v23, 0x7f800001
	s_and_saveexec_b64 s[16:17], s[0:1]
	s_cbranch_execz .LBB322_398
; %bb.397:                              ;   in Loop: Header=BB322_270 Depth=1
	v_and_b32_e32 v23, 7, v18
	v_lshrrev_b32_e32 v32, 3, v19
	v_cmp_gt_u32_e64 s[0:1], 8, v19
	v_ffbh_u32_e32 v19, v23
	v_min_u32_e32 v19, 32, v19
	v_subrev_u32_e32 v23, 28, v19
	v_cndmask_b32_e64 v23, 0, v23, s[0:1]
	v_lshlrev_b64 v[41:42], v23, v[9:10]
	v_sub_u32_e32 v19, 29, v19
	v_cndmask_b32_e64 v19, v32, v19, s[0:1]
	v_lshlrev_b32_e32 v23, 20, v41
	v_lshlrev_b32_e32 v32, 24, v9
	v_bfrev_b32_e32 v33, 60
	v_and_b32_e32 v23, 0x700000, v23
	v_and_b32_e32 v32, 0x80000000, v32
	v_lshl_add_u32 v19, v19, 23, v33
	v_or3_b32 v23, v32, v19, v23
.LBB322_398:                            ;   in Loop: Header=BB322_270 Depth=1
	s_or_b64 exec, exec, s[16:17]
.LBB322_399:                            ;   in Loop: Header=BB322_270 Depth=1
	s_or_b64 exec, exec, s[14:15]
.LBB322_400:                            ;   in Loop: Header=BB322_270 Depth=1
	s_or_b64 exec, exec, s[12:13]
	v_lshrrev_b16_e32 v19, 8, v9
	v_cmp_ne_u16_e64 s[0:1], 0, v19
	s_and_saveexec_b64 s[12:13], s[0:1]
	s_cbranch_execz .LBB322_406
; %bb.401:                              ;   in Loop: Header=BB322_270 Depth=1
	v_cmp_ne_u16_e64 s[0:1], s24, v19
	v_bfrev_b32_e32 v24, 1
	s_and_saveexec_b64 s[14:15], s[0:1]
	s_cbranch_execz .LBB322_405
; %bb.402:                              ;   in Loop: Header=BB322_270 Depth=1
	v_and_b32_e32 v32, 0x7f, v19
	v_cmp_ne_u32_e64 s[0:1], s25, v32
	v_mov_b32_e32 v24, 0x7f800001
	s_and_saveexec_b64 s[16:17], s[0:1]
	s_cbranch_execz .LBB322_404
; %bb.403:                              ;   in Loop: Header=BB322_270 Depth=1
	v_and_b32_e32 v24, 7, v19
	v_lshrrev_b32_e32 v43, 3, v32
	v_cmp_gt_u32_e64 s[0:1], 8, v32
	v_ffbh_u32_e32 v32, v24
	v_min_u32_e32 v32, 32, v32
	v_subrev_u32_e32 v41, 28, v32
	v_lshlrev_b64 v[41:42], v41, v[19:20]
	v_sub_u32_e32 v19, 29, v32
	v_and_b32_e32 v32, 7, v41
	v_cndmask_b32_e64 v19, v43, v19, s[0:1]
	v_cndmask_b32_e64 v24, v24, v32, s[0:1]
	v_lshlrev_b32_e32 v9, 16, v9
	v_bfrev_b32_e32 v32, 60
	v_lshlrev_b32_e32 v24, 20, v24
	v_and_b32_e32 v9, 0x80000000, v9
	v_lshl_add_u32 v19, v19, 23, v32
	v_or3_b32 v24, v9, v19, v24
.LBB322_404:                            ;   in Loop: Header=BB322_270 Depth=1
	s_or_b64 exec, exec, s[16:17]
.LBB322_405:                            ;   in Loop: Header=BB322_270 Depth=1
	s_or_b64 exec, exec, s[14:15]
.LBB322_406:                            ;   in Loop: Header=BB322_270 Depth=1
	s_or_b64 exec, exec, s[12:13]
	v_lshrrev_b32_e32 v9, 16, v18
	v_cmp_ne_u16_sdwa s[0:1], v9, v10 src0_sel:BYTE_0 src1_sel:DWORD
	v_mov_b32_e32 v19, 0
	v_mov_b32_e32 v32, 0
	s_and_saveexec_b64 s[12:13], s[0:1]
	s_cbranch_execz .LBB322_412
; %bb.407:                              ;   in Loop: Header=BB322_270 Depth=1
	v_cmp_ne_u16_sdwa s[0:1], v9, s24 src0_sel:BYTE_0 src1_sel:DWORD
	v_bfrev_b32_e32 v32, 1
	s_and_saveexec_b64 s[14:15], s[0:1]
	s_cbranch_execz .LBB322_411
; %bb.408:                              ;   in Loop: Header=BB322_270 Depth=1
	v_bfe_u32 v41, v18, 16, 7
	v_cmp_ne_u32_e64 s[0:1], s25, v41
	v_mov_b32_e32 v32, 0x7f800001
	s_and_saveexec_b64 s[16:17], s[0:1]
	s_cbranch_execz .LBB322_410
; %bb.409:                              ;   in Loop: Header=BB322_270 Depth=1
	v_and_b32_e32 v32, 7, v9
	v_lshrrev_b32_e32 v43, 3, v41
	v_cmp_gt_u32_e64 s[0:1], 8, v41
	v_ffbh_u32_e32 v41, v32
	v_min_u32_e32 v44, 32, v41
	v_subrev_u32_e32 v41, 28, v44
	v_lshlrev_b64 v[41:42], v41, v[9:10]
	v_sub_u32_e32 v42, 29, v44
	v_and_b32_e32 v41, 7, v41
	v_cndmask_b32_e64 v42, v43, v42, s[0:1]
	v_cndmask_b32_e64 v32, v32, v41, s[0:1]
	v_lshlrev_b32_e32 v9, 24, v9
	v_bfrev_b32_e32 v33, 60
	v_lshlrev_b32_e32 v32, 20, v32
	v_and_b32_e32 v9, 0x80000000, v9
	v_lshl_add_u32 v41, v42, 23, v33
	v_or3_b32 v32, v9, v41, v32
.LBB322_410:                            ;   in Loop: Header=BB322_270 Depth=1
	s_or_b64 exec, exec, s[16:17]
.LBB322_411:                            ;   in Loop: Header=BB322_270 Depth=1
	s_or_b64 exec, exec, s[14:15]
.LBB322_412:                            ;   in Loop: Header=BB322_270 Depth=1
	s_or_b64 exec, exec, s[12:13]
	v_cmp_lt_u64_e64 s[0:1], s[4:5], v[17:18]
	s_and_saveexec_b64 s[12:13], s[0:1]
	s_cbranch_execz .LBB322_418
; %bb.413:                              ;   in Loop: Header=BB322_270 Depth=1
	v_lshrrev_b32_e32 v9, 24, v18
	v_cmp_ne_u32_e64 s[0:1], s24, v9
	v_bfrev_b32_e32 v19, 1
	s_and_saveexec_b64 s[14:15], s[0:1]
	s_cbranch_execz .LBB322_417
; %bb.414:                              ;   in Loop: Header=BB322_270 Depth=1
	v_bfe_u32 v17, v18, 24, 7
	v_cmp_ne_u32_e64 s[0:1], s25, v17
	v_mov_b32_e32 v19, 0x7f800001
	s_and_saveexec_b64 s[16:17], s[0:1]
	s_cbranch_execz .LBB322_416
; %bb.415:                              ;   in Loop: Header=BB322_270 Depth=1
	v_and_b32_e32 v19, 7, v9
	v_lshrrev_b32_e32 v41, 3, v17
	v_cmp_gt_u32_e64 s[0:1], 8, v17
	v_ffbh_u32_e32 v17, v19
	v_min_u32_e32 v42, 32, v17
	v_subrev_u32_e32 v17, 28, v42
	v_lshlrev_b64 v[17:18], v17, v[9:10]
	v_sub_u32_e32 v18, 29, v42
	v_and_b32_e32 v17, 7, v17
	v_cndmask_b32_e64 v18, v41, v18, s[0:1]
	v_cndmask_b32_e64 v17, v19, v17, s[0:1]
	v_lshlrev_b32_e32 v9, 24, v9
	v_bfrev_b32_e32 v19, 60
	v_lshlrev_b32_e32 v17, 20, v17
	v_and_b32_e32 v9, 0x80000000, v9
	v_lshl_add_u32 v18, v18, 23, v19
	v_or3_b32 v19, v9, v18, v17
.LBB322_416:                            ;   in Loop: Header=BB322_270 Depth=1
	s_or_b64 exec, exec, s[16:17]
.LBB322_417:                            ;   in Loop: Header=BB322_270 Depth=1
	s_or_b64 exec, exec, s[14:15]
.LBB322_418:                            ;   in Loop: Header=BB322_270 Depth=1
	s_or_b64 exec, exec, s[12:13]
	v_mul_f32_e32 v9, s18, v24
	v_bfe_u32 v17, v9, 16, 1
	v_add3_u32 v17, v17, v9, s26
	v_or_b32_e32 v18, 0x400000, v9
	v_cmp_u_f32_e64 s[0:1], v9, v9
	v_cndmask_b32_e64 v9, v17, v18, s[0:1]
	v_lshrrev_b32_e32 v55, 16, v9
	v_mul_f32_e32 v9, s18, v23
	v_bfe_u32 v17, v9, 16, 1
	v_add3_u32 v17, v17, v9, s26
	v_or_b32_e32 v18, 0x400000, v9
	v_cmp_u_f32_e64 s[0:1], v9, v9
	v_cndmask_b32_e64 v9, v17, v18, s[0:1]
	v_lshrrev_b32_e32 v56, 16, v9
	;; [unrolled: 7-line block ×8, first 2 shown]
	s_and_saveexec_b64 s[12:13], vcc
	s_cbranch_execz .LBB322_420
; %bb.419:                              ;   in Loop: Header=BB322_270 Depth=1
	v_add_u32_e32 v9, -7, v30
	v_cmp_gt_i32_e64 s[0:1], s30, v9
	v_add_u32_e32 v9, -6, v30
	v_cndmask_b32_e64 v62, 0, v62, s[0:1]
	v_cmp_gt_i32_e64 s[0:1], s30, v9
	v_add_u32_e32 v9, -5, v30
	v_cndmask_b32_e64 v61, 0, v61, s[0:1]
	;; [unrolled: 3-line block ×6, first 2 shown]
	v_cmp_gt_i32_e64 s[0:1], s30, v9
	v_cndmask_b32_e64 v57, 0, v57, s[0:1]
	v_cmp_gt_i32_e64 s[0:1], s30, v30
	v_cndmask_b32_e64 v60, 0, v60, s[0:1]
.LBB322_420:                            ;   in Loop: Header=BB322_270 Depth=1
	s_or_b64 exec, exec, s[12:13]
	global_load_dwordx2 v[17:18], v[15:16], off offset:1536
	v_mov_b32_e32 v11, 0
	v_mov_b32_e32 v12, 0
	s_waitcnt vmcnt(0)
	v_cmp_ne_u16_sdwa s[0:1], v17, v10 src0_sel:BYTE_0 src1_sel:DWORD
	s_and_saveexec_b64 s[12:13], s[0:1]
	s_cbranch_execz .LBB322_426
; %bb.421:                              ;   in Loop: Header=BB322_270 Depth=1
	v_cmp_ne_u16_sdwa s[0:1], v17, s24 src0_sel:BYTE_0 src1_sel:DWORD
	v_bfrev_b32_e32 v12, 1
	s_and_saveexec_b64 s[14:15], s[0:1]
	s_cbranch_execz .LBB322_425
; %bb.422:                              ;   in Loop: Header=BB322_270 Depth=1
	v_and_b32_e32 v9, 0x7f, v17
	v_cmp_ne_u32_e64 s[0:1], s25, v9
	v_mov_b32_e32 v12, 0x7f800001
	s_and_saveexec_b64 s[16:17], s[0:1]
	s_cbranch_execz .LBB322_424
; %bb.423:                              ;   in Loop: Header=BB322_270 Depth=1
	v_and_b32_e32 v12, 7, v17
	v_lshrrev_b32_e32 v19, 3, v9
	v_cmp_gt_u32_e64 s[0:1], 8, v9
	v_ffbh_u32_e32 v9, v12
	v_min_u32_e32 v9, 32, v9
	v_subrev_u32_e32 v12, 28, v9
	v_cndmask_b32_e64 v12, 0, v12, s[0:1]
	v_lshlrev_b64 v[21:22], v12, v[17:18]
	v_sub_u32_e32 v9, 29, v9
	v_cndmask_b32_e64 v9, v19, v9, s[0:1]
	v_lshlrev_b32_e32 v12, 20, v21
	v_lshlrev_b32_e32 v19, 24, v17
	v_bfrev_b32_e32 v21, 60
	v_and_b32_e32 v12, 0x700000, v12
	v_and_b32_e32 v19, 0x80000000, v19
	v_lshl_add_u32 v9, v9, 23, v21
	v_or3_b32 v12, v19, v9, v12
.LBB322_424:                            ;   in Loop: Header=BB322_270 Depth=1
	s_or_b64 exec, exec, s[16:17]
.LBB322_425:                            ;   in Loop: Header=BB322_270 Depth=1
	s_or_b64 exec, exec, s[14:15]
.LBB322_426:                            ;   in Loop: Header=BB322_270 Depth=1
	s_or_b64 exec, exec, s[12:13]
	v_lshrrev_b16_e32 v9, 8, v17
	v_cmp_ne_u16_e64 s[0:1], 0, v9
	s_and_saveexec_b64 s[12:13], s[0:1]
	s_cbranch_execz .LBB322_432
; %bb.427:                              ;   in Loop: Header=BB322_270 Depth=1
	v_cmp_ne_u16_e64 s[0:1], s24, v9
	v_bfrev_b32_e32 v11, 1
	s_and_saveexec_b64 s[14:15], s[0:1]
	s_cbranch_execz .LBB322_431
; %bb.428:                              ;   in Loop: Header=BB322_270 Depth=1
	v_and_b32_e32 v19, 0x7f, v9
	v_cmp_ne_u32_e64 s[0:1], s25, v19
	v_mov_b32_e32 v11, 0x7f800001
	s_and_saveexec_b64 s[16:17], s[0:1]
	s_cbranch_execz .LBB322_430
; %bb.429:                              ;   in Loop: Header=BB322_270 Depth=1
	v_and_b32_e32 v11, 7, v9
	v_lshrrev_b32_e32 v23, 3, v19
	v_cmp_gt_u32_e64 s[0:1], 8, v19
	v_ffbh_u32_e32 v19, v11
	v_min_u32_e32 v19, 32, v19
	v_subrev_u32_e32 v21, 28, v19
	v_lshlrev_b64 v[21:22], v21, v[9:10]
	v_sub_u32_e32 v9, 29, v19
	v_and_b32_e32 v19, 7, v21
	v_cndmask_b32_e64 v9, v23, v9, s[0:1]
	v_cndmask_b32_e64 v11, v11, v19, s[0:1]
	v_lshlrev_b32_e32 v19, 16, v17
	v_bfrev_b32_e32 v21, 60
	v_lshlrev_b32_e32 v11, 20, v11
	v_and_b32_e32 v19, 0x80000000, v19
	v_lshl_add_u32 v9, v9, 23, v21
	v_or3_b32 v11, v19, v9, v11
.LBB322_430:                            ;   in Loop: Header=BB322_270 Depth=1
	s_or_b64 exec, exec, s[16:17]
.LBB322_431:                            ;   in Loop: Header=BB322_270 Depth=1
	s_or_b64 exec, exec, s[14:15]
.LBB322_432:                            ;   in Loop: Header=BB322_270 Depth=1
	s_or_b64 exec, exec, s[12:13]
	v_lshrrev_b32_e32 v9, 16, v17
	v_cmp_ne_u16_sdwa s[0:1], v9, v10 src0_sel:BYTE_0 src1_sel:DWORD
	v_mov_b32_e32 v22, 0
	v_mov_b32_e32 v21, 0
	s_and_saveexec_b64 s[12:13], s[0:1]
	s_cbranch_execz .LBB322_438
; %bb.433:                              ;   in Loop: Header=BB322_270 Depth=1
	v_cmp_ne_u16_sdwa s[0:1], v9, s24 src0_sel:BYTE_0 src1_sel:DWORD
	v_bfrev_b32_e32 v21, 1
	s_and_saveexec_b64 s[14:15], s[0:1]
	s_cbranch_execz .LBB322_437
; %bb.434:                              ;   in Loop: Header=BB322_270 Depth=1
	v_bfe_u32 v19, v17, 16, 7
	v_cmp_ne_u32_e64 s[0:1], s25, v19
	v_mov_b32_e32 v21, 0x7f800001
	s_and_saveexec_b64 s[16:17], s[0:1]
	s_cbranch_execz .LBB322_436
; %bb.435:                              ;   in Loop: Header=BB322_270 Depth=1
	v_and_b32_e32 v21, 7, v9
	v_lshrrev_b32_e32 v32, 3, v19
	v_cmp_gt_u32_e64 s[0:1], 8, v19
	v_ffbh_u32_e32 v19, v21
	v_min_u32_e32 v19, 32, v19
	v_subrev_u32_e32 v23, 28, v19
	v_lshlrev_b64 v[23:24], v23, v[9:10]
	v_sub_u32_e32 v19, 29, v19
	v_and_b32_e32 v23, 7, v23
	v_cndmask_b32_e64 v19, v32, v19, s[0:1]
	v_cndmask_b32_e64 v21, v21, v23, s[0:1]
	v_lshlrev_b32_e32 v9, 24, v9
	v_bfrev_b32_e32 v23, 60
	v_lshlrev_b32_e32 v21, 20, v21
	v_and_b32_e32 v9, 0x80000000, v9
	v_lshl_add_u32 v19, v19, 23, v23
	v_or3_b32 v21, v9, v19, v21
.LBB322_436:                            ;   in Loop: Header=BB322_270 Depth=1
	s_or_b64 exec, exec, s[16:17]
.LBB322_437:                            ;   in Loop: Header=BB322_270 Depth=1
	s_or_b64 exec, exec, s[14:15]
.LBB322_438:                            ;   in Loop: Header=BB322_270 Depth=1
	s_or_b64 exec, exec, s[12:13]
	v_cmp_lt_u32_e64 s[0:1], s5, v17
	s_and_saveexec_b64 s[12:13], s[0:1]
	s_cbranch_execz .LBB322_444
; %bb.439:                              ;   in Loop: Header=BB322_270 Depth=1
	v_lshrrev_b32_e32 v9, 24, v17
	v_cmp_ne_u32_e64 s[0:1], s24, v9
	v_bfrev_b32_e32 v22, 1
	s_and_saveexec_b64 s[14:15], s[0:1]
	s_cbranch_execz .LBB322_443
; %bb.440:                              ;   in Loop: Header=BB322_270 Depth=1
	v_bfe_u32 v19, v17, 24, 7
	v_cmp_ne_u32_e64 s[0:1], s25, v19
	v_mov_b32_e32 v22, 0x7f800001
	s_and_saveexec_b64 s[16:17], s[0:1]
	s_cbranch_execz .LBB322_442
; %bb.441:                              ;   in Loop: Header=BB322_270 Depth=1
	v_and_b32_e32 v24, 7, v9
	v_lshrrev_b32_e32 v32, 3, v19
	v_cmp_gt_u32_e64 s[0:1], 8, v19
	v_ffbh_u32_e32 v19, v24
	v_min_u32_e32 v19, 32, v19
	v_subrev_u32_e32 v22, 28, v19
	v_lshlrev_b64 v[22:23], v22, v[9:10]
	v_sub_u32_e32 v19, 29, v19
	v_and_b32_e32 v22, 7, v22
	v_cndmask_b32_e64 v19, v32, v19, s[0:1]
	v_cndmask_b32_e64 v22, v24, v22, s[0:1]
	v_lshlrev_b32_e32 v9, 24, v9
	v_bfrev_b32_e32 v23, 60
	v_lshlrev_b32_e32 v22, 20, v22
	v_and_b32_e32 v9, 0x80000000, v9
	v_lshl_add_u32 v19, v19, 23, v23
	v_or3_b32 v22, v9, v19, v22
.LBB322_442:                            ;   in Loop: Header=BB322_270 Depth=1
	s_or_b64 exec, exec, s[16:17]
.LBB322_443:                            ;   in Loop: Header=BB322_270 Depth=1
	s_or_b64 exec, exec, s[14:15]
.LBB322_444:                            ;   in Loop: Header=BB322_270 Depth=1
	s_or_b64 exec, exec, s[12:13]
	v_mov_b32_e32 v9, v18
	v_cmp_ne_u16_sdwa s[0:1], v18, v10 src0_sel:BYTE_0 src1_sel:DWORD
	v_mov_b32_e32 v24, 0
	v_mov_b32_e32 v23, 0
	s_and_saveexec_b64 s[12:13], s[0:1]
	s_cbranch_execz .LBB322_450
; %bb.445:                              ;   in Loop: Header=BB322_270 Depth=1
	v_cmp_ne_u16_sdwa s[0:1], v18, s24 src0_sel:BYTE_0 src1_sel:DWORD
	v_bfrev_b32_e32 v23, 1
	s_and_saveexec_b64 s[14:15], s[0:1]
	s_cbranch_execz .LBB322_449
; %bb.446:                              ;   in Loop: Header=BB322_270 Depth=1
	v_and_b32_e32 v19, 0x7f, v18
	v_cmp_ne_u32_e64 s[0:1], s25, v19
	v_mov_b32_e32 v23, 0x7f800001
	s_and_saveexec_b64 s[16:17], s[0:1]
	s_cbranch_execz .LBB322_448
; %bb.447:                              ;   in Loop: Header=BB322_270 Depth=1
	v_and_b32_e32 v23, 7, v18
	v_lshrrev_b32_e32 v32, 3, v19
	v_cmp_gt_u32_e64 s[0:1], 8, v19
	v_ffbh_u32_e32 v19, v23
	v_min_u32_e32 v19, 32, v19
	v_subrev_u32_e32 v23, 28, v19
	v_cndmask_b32_e64 v23, 0, v23, s[0:1]
	v_lshlrev_b64 v[41:42], v23, v[9:10]
	v_sub_u32_e32 v19, 29, v19
	v_cndmask_b32_e64 v19, v32, v19, s[0:1]
	v_lshlrev_b32_e32 v23, 20, v41
	v_lshlrev_b32_e32 v32, 24, v9
	v_bfrev_b32_e32 v33, 60
	v_and_b32_e32 v23, 0x700000, v23
	v_and_b32_e32 v32, 0x80000000, v32
	v_lshl_add_u32 v19, v19, 23, v33
	v_or3_b32 v23, v32, v19, v23
.LBB322_448:                            ;   in Loop: Header=BB322_270 Depth=1
	s_or_b64 exec, exec, s[16:17]
.LBB322_449:                            ;   in Loop: Header=BB322_270 Depth=1
	s_or_b64 exec, exec, s[14:15]
.LBB322_450:                            ;   in Loop: Header=BB322_270 Depth=1
	s_or_b64 exec, exec, s[12:13]
	v_lshrrev_b16_e32 v19, 8, v9
	v_cmp_ne_u16_e64 s[0:1], 0, v19
	s_and_saveexec_b64 s[12:13], s[0:1]
	s_cbranch_execz .LBB322_456
; %bb.451:                              ;   in Loop: Header=BB322_270 Depth=1
	v_cmp_ne_u16_e64 s[0:1], s24, v19
	v_bfrev_b32_e32 v24, 1
	s_and_saveexec_b64 s[14:15], s[0:1]
	s_cbranch_execz .LBB322_455
; %bb.452:                              ;   in Loop: Header=BB322_270 Depth=1
	v_and_b32_e32 v32, 0x7f, v19
	v_cmp_ne_u32_e64 s[0:1], s25, v32
	v_mov_b32_e32 v24, 0x7f800001
	s_and_saveexec_b64 s[16:17], s[0:1]
	s_cbranch_execz .LBB322_454
; %bb.453:                              ;   in Loop: Header=BB322_270 Depth=1
	v_and_b32_e32 v24, 7, v19
	v_lshrrev_b32_e32 v43, 3, v32
	v_cmp_gt_u32_e64 s[0:1], 8, v32
	v_ffbh_u32_e32 v32, v24
	v_min_u32_e32 v32, 32, v32
	v_subrev_u32_e32 v41, 28, v32
	v_lshlrev_b64 v[41:42], v41, v[19:20]
	v_sub_u32_e32 v19, 29, v32
	v_and_b32_e32 v32, 7, v41
	v_cndmask_b32_e64 v19, v43, v19, s[0:1]
	v_cndmask_b32_e64 v24, v24, v32, s[0:1]
	v_lshlrev_b32_e32 v9, 16, v9
	v_bfrev_b32_e32 v32, 60
	v_lshlrev_b32_e32 v24, 20, v24
	v_and_b32_e32 v9, 0x80000000, v9
	v_lshl_add_u32 v19, v19, 23, v32
	v_or3_b32 v24, v9, v19, v24
.LBB322_454:                            ;   in Loop: Header=BB322_270 Depth=1
	s_or_b64 exec, exec, s[16:17]
.LBB322_455:                            ;   in Loop: Header=BB322_270 Depth=1
	s_or_b64 exec, exec, s[14:15]
.LBB322_456:                            ;   in Loop: Header=BB322_270 Depth=1
	s_or_b64 exec, exec, s[12:13]
	v_lshrrev_b32_e32 v9, 16, v18
	v_cmp_ne_u16_sdwa s[0:1], v9, v10 src0_sel:BYTE_0 src1_sel:DWORD
	v_mov_b32_e32 v32, 0
	v_mov_b32_e32 v41, 0
	s_and_saveexec_b64 s[12:13], s[0:1]
	s_cbranch_execz .LBB322_462
; %bb.457:                              ;   in Loop: Header=BB322_270 Depth=1
	v_cmp_ne_u16_sdwa s[0:1], v9, s24 src0_sel:BYTE_0 src1_sel:DWORD
	v_bfrev_b32_e32 v41, 1
	s_and_saveexec_b64 s[14:15], s[0:1]
	s_cbranch_execz .LBB322_461
; %bb.458:                              ;   in Loop: Header=BB322_270 Depth=1
	v_bfe_u32 v19, v18, 16, 7
	v_cmp_ne_u32_e64 s[0:1], s25, v19
	v_mov_b32_e32 v41, 0x7f800001
	s_and_saveexec_b64 s[16:17], s[0:1]
	s_cbranch_execz .LBB322_460
; %bb.459:                              ;   in Loop: Header=BB322_270 Depth=1
	v_and_b32_e32 v43, 7, v9
	v_lshrrev_b32_e32 v44, 3, v19
	v_cmp_gt_u32_e64 s[0:1], 8, v19
	v_ffbh_u32_e32 v19, v43
	v_min_u32_e32 v19, 32, v19
	v_subrev_u32_e32 v41, 28, v19
	v_lshlrev_b64 v[41:42], v41, v[9:10]
	v_sub_u32_e32 v19, 29, v19
	v_and_b32_e32 v41, 7, v41
	v_cndmask_b32_e64 v19, v44, v19, s[0:1]
	v_cndmask_b32_e64 v41, v43, v41, s[0:1]
	v_lshlrev_b32_e32 v9, 24, v9
	v_bfrev_b32_e32 v33, 60
	v_lshlrev_b32_e32 v41, 20, v41
	v_and_b32_e32 v9, 0x80000000, v9
	v_lshl_add_u32 v19, v19, 23, v33
	v_or3_b32 v41, v9, v19, v41
.LBB322_460:                            ;   in Loop: Header=BB322_270 Depth=1
	s_or_b64 exec, exec, s[16:17]
.LBB322_461:                            ;   in Loop: Header=BB322_270 Depth=1
	s_or_b64 exec, exec, s[14:15]
.LBB322_462:                            ;   in Loop: Header=BB322_270 Depth=1
	s_or_b64 exec, exec, s[12:13]
	v_cmp_lt_u64_e64 s[0:1], s[4:5], v[17:18]
	s_and_saveexec_b64 s[12:13], s[0:1]
	s_cbranch_execz .LBB322_468
; %bb.463:                              ;   in Loop: Header=BB322_270 Depth=1
	v_lshrrev_b32_e32 v9, 24, v18
	v_cmp_ne_u32_e64 s[0:1], s24, v9
	v_bfrev_b32_e32 v32, 1
	s_and_saveexec_b64 s[14:15], s[0:1]
	s_cbranch_execz .LBB322_467
; %bb.464:                              ;   in Loop: Header=BB322_270 Depth=1
	v_bfe_u32 v17, v18, 24, 7
	v_cmp_ne_u32_e64 s[0:1], s25, v17
	v_mov_b32_e32 v32, 0x7f800001
	s_and_saveexec_b64 s[16:17], s[0:1]
	s_cbranch_execz .LBB322_466
; %bb.465:                              ;   in Loop: Header=BB322_270 Depth=1
	v_and_b32_e32 v19, 7, v9
	v_lshrrev_b32_e32 v32, 3, v17
	v_cmp_gt_u32_e64 s[0:1], 8, v17
	v_ffbh_u32_e32 v17, v19
	v_min_u32_e32 v42, 32, v17
	v_subrev_u32_e32 v17, 28, v42
	v_lshlrev_b64 v[17:18], v17, v[9:10]
	v_sub_u32_e32 v18, 29, v42
	v_and_b32_e32 v17, 7, v17
	v_cndmask_b32_e64 v18, v32, v18, s[0:1]
	v_cndmask_b32_e64 v17, v19, v17, s[0:1]
	v_lshlrev_b32_e32 v9, 24, v9
	v_bfrev_b32_e32 v19, 60
	v_lshlrev_b32_e32 v17, 20, v17
	v_and_b32_e32 v9, 0x80000000, v9
	v_lshl_add_u32 v18, v18, 23, v19
	v_or3_b32 v32, v9, v18, v17
.LBB322_466:                            ;   in Loop: Header=BB322_270 Depth=1
	s_or_b64 exec, exec, s[16:17]
.LBB322_467:                            ;   in Loop: Header=BB322_270 Depth=1
	s_or_b64 exec, exec, s[14:15]
.LBB322_468:                            ;   in Loop: Header=BB322_270 Depth=1
	s_or_b64 exec, exec, s[12:13]
	v_mul_f32_e32 v9, s18, v24
	v_bfe_u32 v17, v9, 16, 1
	v_add3_u32 v17, v17, v9, s26
	v_or_b32_e32 v18, 0x400000, v9
	v_cmp_u_f32_e64 s[0:1], v9, v9
	v_cndmask_b32_e64 v9, v17, v18, s[0:1]
	v_lshrrev_b32_e32 v19, 16, v9
	v_mul_f32_e32 v9, s18, v23
	v_bfe_u32 v17, v9, 16, 1
	v_add3_u32 v17, v17, v9, s26
	v_or_b32_e32 v18, 0x400000, v9
	v_cmp_u_f32_e64 s[0:1], v9, v9
	v_cndmask_b32_e64 v9, v17, v18, s[0:1]
	v_lshrrev_b32_e32 v18, 16, v9
	;; [unrolled: 7-line block ×8, first 2 shown]
	s_and_saveexec_b64 s[12:13], vcc
	s_cbranch_execz .LBB322_470
; %bb.469:                              ;   in Loop: Header=BB322_270 Depth=1
	v_add_u32_e32 v9, -7, v30
	v_cmp_gt_i32_e64 s[0:1], s30, v9
	v_add_u32_e32 v9, -6, v30
	v_cndmask_b32_e64 v23, 0, v23, s[0:1]
	v_cmp_gt_i32_e64 s[0:1], s30, v9
	v_add_u32_e32 v9, -5, v30
	v_cndmask_b32_e64 v11, 0, v11, s[0:1]
	;; [unrolled: 3-line block ×6, first 2 shown]
	v_cmp_gt_i32_e64 s[0:1], s30, v9
	v_cndmask_b32_e64 v63, 0, v63, s[0:1]
	v_cmp_gt_i32_e64 s[0:1], s30, v30
	v_cndmask_b32_e64 v21, 0, v21, s[0:1]
.LBB322_470:                            ;   in Loop: Header=BB322_270 Depth=1
	s_or_b64 exec, exec, s[12:13]
	global_load_dwordx2 v[15:16], v[15:16], off offset:2048
	v_mov_b32_e32 v41, 0
	v_mov_b32_e32 v42, 0
	s_waitcnt vmcnt(0)
	v_cmp_ne_u16_sdwa s[0:1], v15, v10 src0_sel:BYTE_0 src1_sel:DWORD
	s_and_saveexec_b64 s[12:13], s[0:1]
	s_cbranch_execz .LBB322_476
; %bb.471:                              ;   in Loop: Header=BB322_270 Depth=1
	v_cmp_ne_u16_sdwa s[0:1], v15, s24 src0_sel:BYTE_0 src1_sel:DWORD
	v_bfrev_b32_e32 v42, 1
	s_and_saveexec_b64 s[14:15], s[0:1]
	s_cbranch_execz .LBB322_475
; %bb.472:                              ;   in Loop: Header=BB322_270 Depth=1
	v_and_b32_e32 v9, 0x7f, v15
	v_cmp_ne_u32_e64 s[0:1], s25, v9
	v_mov_b32_e32 v42, 0x7f800001
	s_and_saveexec_b64 s[16:17], s[0:1]
	s_cbranch_execz .LBB322_474
; %bb.473:                              ;   in Loop: Header=BB322_270 Depth=1
	v_and_b32_e32 v12, 7, v15
	v_lshrrev_b32_e32 v17, 3, v9
	v_cmp_gt_u32_e64 s[0:1], 8, v9
	v_ffbh_u32_e32 v9, v12
	v_min_u32_e32 v9, 32, v9
	v_subrev_u32_e32 v12, 28, v9
	v_cndmask_b32_e64 v12, 0, v12, s[0:1]
	v_lshlrev_b64 v[42:43], v12, v[15:16]
	v_sub_u32_e32 v9, 29, v9
	v_cndmask_b32_e64 v9, v17, v9, s[0:1]
	v_lshlrev_b32_e32 v12, 20, v42
	v_lshlrev_b32_e32 v17, 24, v15
	v_bfrev_b32_e32 v32, 60
	v_and_b32_e32 v12, 0x700000, v12
	v_and_b32_e32 v17, 0x80000000, v17
	v_lshl_add_u32 v9, v9, 23, v32
	v_or3_b32 v42, v17, v9, v12
.LBB322_474:                            ;   in Loop: Header=BB322_270 Depth=1
	s_or_b64 exec, exec, s[16:17]
.LBB322_475:                            ;   in Loop: Header=BB322_270 Depth=1
	s_or_b64 exec, exec, s[14:15]
.LBB322_476:                            ;   in Loop: Header=BB322_270 Depth=1
	s_or_b64 exec, exec, s[12:13]
	v_lshrrev_b16_e32 v9, 8, v15
	v_cmp_ne_u16_e64 s[0:1], 0, v9
	s_and_saveexec_b64 s[12:13], s[0:1]
	s_cbranch_execz .LBB322_482
; %bb.477:                              ;   in Loop: Header=BB322_270 Depth=1
	v_cmp_ne_u16_e64 s[0:1], s24, v9
	v_bfrev_b32_e32 v41, 1
	s_and_saveexec_b64 s[14:15], s[0:1]
	s_cbranch_execz .LBB322_481
; %bb.478:                              ;   in Loop: Header=BB322_270 Depth=1
	v_and_b32_e32 v12, 0x7f, v9
	v_cmp_ne_u32_e64 s[0:1], s25, v12
	v_mov_b32_e32 v41, 0x7f800001
	s_and_saveexec_b64 s[16:17], s[0:1]
	s_cbranch_execz .LBB322_480
; %bb.479:                              ;   in Loop: Header=BB322_270 Depth=1
	v_and_b32_e32 v17, 7, v9
	v_lshrrev_b32_e32 v32, 3, v12
	v_cmp_gt_u32_e64 s[0:1], 8, v12
	v_ffbh_u32_e32 v12, v17
	v_min_u32_e32 v12, 32, v12
	v_subrev_u32_e32 v41, 28, v12
	v_lshlrev_b64 v[43:44], v41, v[9:10]
	v_sub_u32_e32 v9, 29, v12
	v_and_b32_e32 v12, 7, v43
	v_cndmask_b32_e64 v9, v32, v9, s[0:1]
	v_cndmask_b32_e64 v12, v17, v12, s[0:1]
	v_lshlrev_b32_e32 v17, 16, v15
	v_bfrev_b32_e32 v32, 60
	v_lshlrev_b32_e32 v12, 20, v12
	v_and_b32_e32 v17, 0x80000000, v17
	v_lshl_add_u32 v9, v9, 23, v32
	v_or3_b32 v41, v17, v9, v12
.LBB322_480:                            ;   in Loop: Header=BB322_270 Depth=1
	s_or_b64 exec, exec, s[16:17]
.LBB322_481:                            ;   in Loop: Header=BB322_270 Depth=1
	s_or_b64 exec, exec, s[14:15]
.LBB322_482:                            ;   in Loop: Header=BB322_270 Depth=1
	s_or_b64 exec, exec, s[12:13]
	v_lshrrev_b32_e32 v9, 16, v15
	v_cmp_ne_u16_sdwa s[0:1], v9, v10 src0_sel:BYTE_0 src1_sel:DWORD
	v_mov_b32_e32 v43, 0
	v_mov_b32_e32 v32, 0
	s_and_saveexec_b64 s[12:13], s[0:1]
	s_cbranch_execz .LBB322_488
; %bb.483:                              ;   in Loop: Header=BB322_270 Depth=1
	v_cmp_ne_u16_sdwa s[0:1], v9, s24 src0_sel:BYTE_0 src1_sel:DWORD
	v_bfrev_b32_e32 v32, 1
	s_and_saveexec_b64 s[14:15], s[0:1]
	s_cbranch_execz .LBB322_487
; %bb.484:                              ;   in Loop: Header=BB322_270 Depth=1
	v_bfe_u32 v12, v15, 16, 7
	v_cmp_ne_u32_e64 s[0:1], s25, v12
	v_mov_b32_e32 v32, 0x7f800001
	s_and_saveexec_b64 s[16:17], s[0:1]
	s_cbranch_execz .LBB322_486
; %bb.485:                              ;   in Loop: Header=BB322_270 Depth=1
	v_and_b32_e32 v17, 7, v9
	v_lshrrev_b32_e32 v32, 3, v12
	v_cmp_gt_u32_e64 s[0:1], 8, v12
	v_ffbh_u32_e32 v12, v17
	v_min_u32_e32 v12, 32, v12
	v_subrev_u32_e32 v44, 28, v12
	v_lshlrev_b64 v[44:45], v44, v[9:10]
	v_sub_u32_e32 v12, 29, v12
	v_and_b32_e32 v44, 7, v44
	v_cndmask_b32_e64 v12, v32, v12, s[0:1]
	v_cndmask_b32_e64 v17, v17, v44, s[0:1]
	v_lshlrev_b32_e32 v9, 24, v9
	v_bfrev_b32_e32 v32, 60
	v_lshlrev_b32_e32 v17, 20, v17
	v_and_b32_e32 v9, 0x80000000, v9
	v_lshl_add_u32 v12, v12, 23, v32
	v_or3_b32 v32, v9, v12, v17
.LBB322_486:                            ;   in Loop: Header=BB322_270 Depth=1
	s_or_b64 exec, exec, s[16:17]
.LBB322_487:                            ;   in Loop: Header=BB322_270 Depth=1
	s_or_b64 exec, exec, s[14:15]
.LBB322_488:                            ;   in Loop: Header=BB322_270 Depth=1
	s_or_b64 exec, exec, s[12:13]
	v_cmp_lt_u32_e64 s[0:1], s5, v15
	s_and_saveexec_b64 s[12:13], s[0:1]
	s_cbranch_execz .LBB322_494
; %bb.489:                              ;   in Loop: Header=BB322_270 Depth=1
	v_lshrrev_b32_e32 v9, 24, v15
	v_cmp_ne_u32_e64 s[0:1], s24, v9
	v_bfrev_b32_e32 v43, 1
	s_and_saveexec_b64 s[14:15], s[0:1]
	s_cbranch_execz .LBB322_493
; %bb.490:                              ;   in Loop: Header=BB322_270 Depth=1
	v_bfe_u32 v12, v15, 24, 7
	v_cmp_ne_u32_e64 s[0:1], s25, v12
	v_mov_b32_e32 v43, 0x7f800001
	s_and_saveexec_b64 s[16:17], s[0:1]
	s_cbranch_execz .LBB322_492
; %bb.491:                              ;   in Loop: Header=BB322_270 Depth=1
	v_and_b32_e32 v17, 7, v9
	v_lshrrev_b32_e32 v45, 3, v12
	v_cmp_gt_u32_e64 s[0:1], 8, v12
	v_ffbh_u32_e32 v12, v17
	v_min_u32_e32 v12, 32, v12
	v_subrev_u32_e32 v43, 28, v12
	v_lshlrev_b64 v[43:44], v43, v[9:10]
	v_sub_u32_e32 v12, 29, v12
	v_and_b32_e32 v43, 7, v43
	v_cndmask_b32_e64 v12, v45, v12, s[0:1]
	v_cndmask_b32_e64 v17, v17, v43, s[0:1]
	v_lshlrev_b32_e32 v9, 24, v9
	v_bfrev_b32_e32 v33, 60
	v_lshlrev_b32_e32 v17, 20, v17
	v_and_b32_e32 v9, 0x80000000, v9
	v_lshl_add_u32 v12, v12, 23, v33
	v_or3_b32 v43, v9, v12, v17
.LBB322_492:                            ;   in Loop: Header=BB322_270 Depth=1
	s_or_b64 exec, exec, s[16:17]
.LBB322_493:                            ;   in Loop: Header=BB322_270 Depth=1
	s_or_b64 exec, exec, s[14:15]
.LBB322_494:                            ;   in Loop: Header=BB322_270 Depth=1
	s_or_b64 exec, exec, s[12:13]
	v_mov_b32_e32 v9, v16
	v_cmp_ne_u16_sdwa s[0:1], v16, v10 src0_sel:BYTE_0 src1_sel:DWORD
	v_mov_b32_e32 v44, 0
	v_mov_b32_e32 v12, 0
	s_and_saveexec_b64 s[12:13], s[0:1]
	s_cbranch_execz .LBB322_500
; %bb.495:                              ;   in Loop: Header=BB322_270 Depth=1
	v_cmp_ne_u16_sdwa s[0:1], v16, s24 src0_sel:BYTE_0 src1_sel:DWORD
	v_bfrev_b32_e32 v12, 1
	s_and_saveexec_b64 s[14:15], s[0:1]
	s_cbranch_execz .LBB322_499
; %bb.496:                              ;   in Loop: Header=BB322_270 Depth=1
	v_and_b32_e32 v17, 0x7f, v16
	v_cmp_ne_u32_e64 s[0:1], s25, v17
	v_mov_b32_e32 v12, 0x7f800001
	s_and_saveexec_b64 s[16:17], s[0:1]
	s_cbranch_execz .LBB322_498
; %bb.497:                              ;   in Loop: Header=BB322_270 Depth=1
	v_and_b32_e32 v12, 7, v16
	v_ffbh_u32_e32 v12, v12
	v_min_u32_e32 v12, 32, v12
	v_lshrrev_b32_e32 v45, 3, v17
	v_cmp_gt_u32_e64 s[0:1], 8, v17
	v_subrev_u32_e32 v17, 28, v12
	v_sub_u32_e32 v12, 29, v12
	v_cndmask_b32_e64 v17, 0, v17, s[0:1]
	v_cndmask_b32_e64 v12, v45, v12, s[0:1]
	v_lshlrev_b64 v[45:46], v17, v[9:10]
	buffer_load_dword v46, off, s[48:51], 0 offset:8 ; 4-byte Folded Reload
	buffer_load_dword v47, off, s[48:51], 0 offset:12 ; 4-byte Folded Reload
	v_lshlrev_b32_e32 v17, 20, v45
	v_lshlrev_b32_e32 v45, 24, v9
	v_bfrev_b32_e32 v33, 60
	v_and_b32_e32 v17, 0x700000, v17
	v_and_b32_e32 v45, 0x80000000, v45
	v_lshl_add_u32 v12, v12, 23, v33
	v_or3_b32 v12, v45, v12, v17
.LBB322_498:                            ;   in Loop: Header=BB322_270 Depth=1
	s_or_b64 exec, exec, s[16:17]
.LBB322_499:                            ;   in Loop: Header=BB322_270 Depth=1
	s_or_b64 exec, exec, s[14:15]
.LBB322_500:                            ;   in Loop: Header=BB322_270 Depth=1
	s_or_b64 exec, exec, s[12:13]
	v_lshrrev_b16_e32 v17, 8, v9
	v_cmp_ne_u16_e64 s[0:1], 0, v17
	s_and_saveexec_b64 s[12:13], s[0:1]
	s_cbranch_execz .LBB322_506
; %bb.501:                              ;   in Loop: Header=BB322_270 Depth=1
	v_cmp_ne_u16_e64 s[0:1], s24, v17
	v_bfrev_b32_e32 v44, 1
	s_and_saveexec_b64 s[14:15], s[0:1]
	s_cbranch_execz .LBB322_505
; %bb.502:                              ;   in Loop: Header=BB322_270 Depth=1
	v_and_b32_e32 v45, 0x7f, v17
	v_cmp_ne_u32_e64 s[0:1], s25, v45
	v_mov_b32_e32 v44, 0x7f800001
	s_and_saveexec_b64 s[16:17], s[0:1]
	s_cbranch_execz .LBB322_504
; %bb.503:                              ;   in Loop: Header=BB322_270 Depth=1
	s_waitcnt vmcnt(1)
	v_and_b32_e32 v46, 7, v17
	v_ffbh_u32_e32 v44, v46
	v_min_u32_e32 v33, 32, v44
	v_subrev_u32_e32 v44, 28, v33
	s_waitcnt vmcnt(0)
	v_lshrrev_b32_e32 v47, 3, v45
	v_cmp_gt_u32_e64 s[0:1], 8, v45
	v_lshlrev_b64 v[44:45], v44, v[17:18]
	v_sub_u32_e32 v17, 29, v33
	v_and_b32_e32 v33, 7, v44
	v_cndmask_b32_e64 v17, v47, v17, s[0:1]
	v_cndmask_b32_e64 v33, v46, v33, s[0:1]
	buffer_load_dword v46, off, s[48:51], 0 offset:8 ; 4-byte Folded Reload
	buffer_load_dword v47, off, s[48:51], 0 offset:12 ; 4-byte Folded Reload
	v_lshlrev_b32_e32 v9, 16, v9
	v_bfrev_b32_e32 v34, 60
	v_lshlrev_b32_e32 v33, 20, v33
	v_and_b32_e32 v9, 0x80000000, v9
	v_lshl_add_u32 v17, v17, 23, v34
	v_or3_b32 v44, v9, v17, v33
.LBB322_504:                            ;   in Loop: Header=BB322_270 Depth=1
	s_or_b64 exec, exec, s[16:17]
.LBB322_505:                            ;   in Loop: Header=BB322_270 Depth=1
	s_or_b64 exec, exec, s[14:15]
.LBB322_506:                            ;   in Loop: Header=BB322_270 Depth=1
	s_or_b64 exec, exec, s[12:13]
	v_lshrrev_b32_e32 v9, 16, v16
	v_cmp_ne_u16_sdwa s[0:1], v9, v10 src0_sel:BYTE_0 src1_sel:DWORD
	v_mov_b32_e32 v17, 0
	v_mov_b32_e32 v45, 0
	s_and_saveexec_b64 s[12:13], s[0:1]
	s_cbranch_execz .LBB322_512
; %bb.507:                              ;   in Loop: Header=BB322_270 Depth=1
	v_cmp_ne_u16_sdwa s[0:1], v9, s24 src0_sel:BYTE_0 src1_sel:DWORD
	v_bfrev_b32_e32 v45, 1
	s_and_saveexec_b64 s[14:15], s[0:1]
	s_cbranch_execz .LBB322_511
; %bb.508:                              ;   in Loop: Header=BB322_270 Depth=1
	s_waitcnt vmcnt(1)
	v_bfe_u32 v46, v16, 16, 7
	v_cmp_ne_u32_e64 s[0:1], s25, v46
	v_mov_b32_e32 v45, 0x7f800001
	s_and_saveexec_b64 s[16:17], s[0:1]
	s_cbranch_execz .LBB322_510
; %bb.509:                              ;   in Loop: Header=BB322_270 Depth=1
	v_and_b32_e32 v33, 7, v9
	v_ffbh_u32_e32 v45, v33
	v_min_u32_e32 v34, 32, v45
	v_subrev_u32_e32 v45, 28, v34
	s_waitcnt vmcnt(0)
	v_lshrrev_b32_e32 v47, 3, v46
	v_cmp_gt_u32_e64 s[0:1], 8, v46
	v_lshlrev_b64 v[45:46], v45, v[9:10]
	v_sub_u32_e32 v34, 29, v34
	v_and_b32_e32 v45, 7, v45
	v_cndmask_b32_e64 v34, v47, v34, s[0:1]
	v_cndmask_b32_e64 v33, v33, v45, s[0:1]
	v_lshlrev_b32_e32 v9, 24, v9
	v_bfrev_b32_e32 v45, 60
	v_lshlrev_b32_e32 v33, 20, v33
	v_and_b32_e32 v9, 0x80000000, v9
	v_lshl_add_u32 v34, v34, 23, v45
	v_or3_b32 v45, v9, v34, v33
.LBB322_510:                            ;   in Loop: Header=BB322_270 Depth=1
	s_or_b64 exec, exec, s[16:17]
	buffer_load_dword v46, off, s[48:51], 0 offset:8 ; 4-byte Folded Reload
	buffer_load_dword v47, off, s[48:51], 0 offset:12 ; 4-byte Folded Reload
.LBB322_511:                            ;   in Loop: Header=BB322_270 Depth=1
	s_or_b64 exec, exec, s[14:15]
.LBB322_512:                            ;   in Loop: Header=BB322_270 Depth=1
	s_or_b64 exec, exec, s[12:13]
	v_cmp_lt_u64_e64 s[0:1], s[4:5], v[15:16]
	s_and_saveexec_b64 s[12:13], s[0:1]
	s_cbranch_execz .LBB322_518
; %bb.513:                              ;   in Loop: Header=BB322_270 Depth=1
	v_lshrrev_b32_e32 v9, 24, v16
	v_cmp_ne_u32_e64 s[0:1], s24, v9
	v_bfrev_b32_e32 v17, 1
	s_and_saveexec_b64 s[14:15], s[0:1]
	s_cbranch_execz .LBB322_517
; %bb.514:                              ;   in Loop: Header=BB322_270 Depth=1
	v_bfe_u32 v15, v16, 24, 7
	v_cmp_ne_u32_e64 s[0:1], s25, v15
	v_mov_b32_e32 v17, 0x7f800001
	s_and_saveexec_b64 s[16:17], s[0:1]
	s_cbranch_execz .LBB322_516
; %bb.515:                              ;   in Loop: Header=BB322_270 Depth=1
	v_and_b32_e32 v17, 7, v9
	v_lshrrev_b32_e32 v33, 3, v15
	v_cmp_gt_u32_e64 s[0:1], 8, v15
	v_ffbh_u32_e32 v15, v17
	v_min_u32_e32 v34, 32, v15
	v_subrev_u32_e32 v15, 28, v34
	v_lshlrev_b64 v[15:16], v15, v[9:10]
	v_sub_u32_e32 v16, 29, v34
	v_and_b32_e32 v15, 7, v15
	v_cndmask_b32_e64 v16, v33, v16, s[0:1]
	v_cndmask_b32_e64 v15, v17, v15, s[0:1]
	v_lshlrev_b32_e32 v9, 24, v9
	v_bfrev_b32_e32 v17, 60
	v_lshlrev_b32_e32 v15, 20, v15
	v_and_b32_e32 v9, 0x80000000, v9
	v_lshl_add_u32 v16, v16, 23, v17
	v_or3_b32 v17, v9, v16, v15
.LBB322_516:                            ;   in Loop: Header=BB322_270 Depth=1
	s_or_b64 exec, exec, s[16:17]
.LBB322_517:                            ;   in Loop: Header=BB322_270 Depth=1
	s_or_b64 exec, exec, s[14:15]
.LBB322_518:                            ;   in Loop: Header=BB322_270 Depth=1
	s_or_b64 exec, exec, s[12:13]
	v_mul_f32_e32 v9, s18, v44
	v_bfe_u32 v15, v9, 16, 1
	v_add3_u32 v15, v15, v9, s26
	v_or_b32_e32 v16, 0x400000, v9
	v_cmp_u_f32_e64 s[0:1], v9, v9
	v_mul_f32_e32 v12, s18, v12
	v_cndmask_b32_e64 v9, v15, v16, s[0:1]
	v_bfe_u32 v15, v12, 16, 1
	v_add3_u32 v15, v15, v12, s26
	v_or_b32_e32 v16, 0x400000, v12
	v_cmp_u_f32_e64 s[0:1], v12, v12
	v_cndmask_b32_e64 v12, v15, v16, s[0:1]
	v_mul_f32_e32 v15, s18, v43
	v_bfe_u32 v16, v15, 16, 1
	v_add3_u32 v16, v16, v15, s26
	v_or_b32_e32 v33, 0x400000, v15
	v_cmp_u_f32_e64 s[0:1], v15, v15
	v_cndmask_b32_e64 v15, v16, v33, s[0:1]
	v_mul_f32_e32 v16, s18, v32
	v_bfe_u32 v32, v16, 16, 1
	v_add3_u32 v32, v32, v16, s26
	v_or_b32_e32 v33, 0x400000, v16
	v_cmp_u_f32_e64 s[0:1], v16, v16
	v_cndmask_b32_e64 v16, v32, v33, s[0:1]
	v_lshrrev_b32_e32 v32, 16, v16
	v_mul_f32_e32 v16, s18, v41
	v_bfe_u32 v33, v16, 16, 1
	v_add3_u32 v33, v33, v16, s26
	v_or_b32_e32 v34, 0x400000, v16
	v_cmp_u_f32_e64 s[0:1], v16, v16
	v_cndmask_b32_e64 v16, v33, v34, s[0:1]
	v_lshrrev_b32_e32 v41, 16, v16
	;; [unrolled: 7-line block ×3, first 2 shown]
	v_mul_f32_e32 v16, s18, v45
	v_bfe_u32 v33, v16, 16, 1
	v_add3_u32 v33, v33, v16, s26
	v_or_b32_e32 v34, 0x400000, v16
	v_cmp_u_f32_e64 s[0:1], v16, v16
	v_mul_f32_e32 v17, s18, v17
	v_cndmask_b32_e64 v16, v33, v34, s[0:1]
	v_bfe_u32 v33, v17, 16, 1
	v_add3_u32 v33, v33, v17, s26
	v_or_b32_e32 v34, 0x400000, v17
	v_cmp_u_f32_e64 s[0:1], v17, v17
	v_cndmask_b32_e64 v17, v33, v34, s[0:1]
	v_lshrrev_b32_e32 v9, 16, v9
	v_lshrrev_b32_e32 v12, 16, v12
	;; [unrolled: 1-line block ×5, first 2 shown]
	s_and_saveexec_b64 s[0:1], vcc
	s_cbranch_execz .LBB322_269
; %bb.519:                              ;   in Loop: Header=BB322_270 Depth=1
	v_add_u32_e32 v33, -7, v30
	v_cmp_gt_i32_e32 vcc, s30, v33
	v_add_u32_e32 v33, -6, v30
	v_cndmask_b32_e32 v42, 0, v42, vcc
	v_cmp_gt_i32_e32 vcc, s30, v33
	v_add_u32_e32 v33, -5, v30
	v_cndmask_b32_e32 v41, 0, v41, vcc
	;; [unrolled: 3-line block ×6, first 2 shown]
	v_cmp_gt_i32_e32 vcc, s30, v33
	v_cndmask_b32_e32 v16, 0, v16, vcc
	v_cmp_gt_i32_e32 vcc, s30, v30
	v_cndmask_b32_e32 v17, 0, v17, vcc
	s_branch .LBB322_269
.LBB322_520:
	s_or_b64 exec, exec, s[6:7]
	buffer_load_dword v11, off, s[48:51], 0 offset:16 ; 4-byte Folded Reload
	buffer_load_dword v12, off, s[48:51], 0 offset:20 ; 4-byte Folded Reload
	;; [unrolled: 1-line block ×4, first 2 shown]
.LBB322_521:
	s_or_b64 exec, exec, s[2:3]
	s_waitcnt vmcnt(2)
	ds_bpermute_b32 v2, v12, v27
	s_waitcnt vmcnt(0) lgkmcnt(0)
	s_barrier
	ds_bpermute_b32 v0, v12, v28
	v_add_f32_e32 v2, v27, v2
	ds_bpermute_b32 v7, v13, v2
	ds_bpermute_b32 v6, v12, v25
	;; [unrolled: 1-line block ×4, first 2 shown]
	s_waitcnt lgkmcnt(4)
	v_add_f32_e32 v0, v28, v0
	s_waitcnt lgkmcnt(3)
	v_add_f32_e32 v2, v2, v7
	buffer_load_dword v7, off, s[48:51], 0 offset:132 ; 4-byte Folded Reload
	s_waitcnt lgkmcnt(2)
	v_add_f32_e32 v6, v25, v6
	s_waitcnt lgkmcnt(1)
	v_add_f32_e32 v1, v29, v1
	ds_bpermute_b32 v4, v13, v0
	s_waitcnt lgkmcnt(1)
	v_add_f32_e32 v8, v26, v3
	ds_bpermute_b32 v10, v13, v6
	ds_bpermute_b32 v5, v13, v1
	;; [unrolled: 1-line block ×3, first 2 shown]
	s_waitcnt lgkmcnt(3)
	v_add_f32_e32 v4, v0, v4
	s_waitcnt lgkmcnt(2)
	v_add_f32_e32 v0, v6, v10
	;; [unrolled: 2-line block ×4, first 2 shown]
	s_waitcnt vmcnt(0)
	v_and_b32_e32 v6, 0x3c3, v7
	v_cmp_eq_u32_e32 vcc, 64, v6
	s_and_saveexec_b64 s[0:1], vcc
	s_cbranch_execz .LBB322_523
; %bb.522:
	v_add_u32_e32 v5, 0xb0, v11
	ds_write2_b32 v5, v4, v3 offset1:16
	ds_write2_b32 v5, v2, v1 offset0:32 offset1:48
	ds_write_b32 v5, v0 offset:256
.LBB322_523:
	s_or_b64 exec, exec, s[0:1]
	v_cmp_gt_u32_e32 vcc, 64, v7
	v_lshrrev_b32_e32 v5, 2, v7
	s_waitcnt lgkmcnt(0)
	s_barrier
	s_and_saveexec_b64 s[0:1], vcc
	s_cbranch_execz .LBB322_531
; %bb.524:
	v_mov_b32_e32 v7, 0xb0
	v_cmp_eq_u32_e32 vcc, 0, v14
	v_lshl_add_u32 v7, v5, 2, v7
	s_and_saveexec_b64 s[2:3], vcc
	s_cbranch_execnz .LBB322_534
; %bb.525:
	s_or_b64 exec, exec, s[2:3]
	s_and_saveexec_b64 s[2:3], vcc
	s_cbranch_execnz .LBB322_535
.LBB322_526:
	s_or_b64 exec, exec, s[2:3]
	s_and_saveexec_b64 s[2:3], vcc
	s_cbranch_execnz .LBB322_536
.LBB322_527:
	s_or_b64 exec, exec, s[2:3]
	s_and_saveexec_b64 s[2:3], vcc
	s_cbranch_execnz .LBB322_537
.LBB322_528:
	s_or_b64 exec, exec, s[2:3]
	s_and_saveexec_b64 s[2:3], vcc
	s_cbranch_execz .LBB322_530
.LBB322_529:
	ds_read_b32 v7, v7 offset:256
	s_waitcnt lgkmcnt(0)
	v_add_f32_e32 v0, v0, v7
.LBB322_530:
	s_or_b64 exec, exec, s[2:3]
.LBB322_531:
	s_or_b64 exec, exec, s[0:1]
	v_cmp_eq_u32_e32 vcc, 0, v6
	s_barrier
	s_and_saveexec_b64 s[0:1], vcc
	s_cbranch_execz .LBB322_533
; %bb.532:
	s_mul_i32 s0, s10, s11
	s_mul_i32 s0, s0, s9
	s_mulk_i32 s0, 0x50
	s_ashr_i32 s1, s0, 31
	s_lshl_b64 s[0:1], s[0:1], 1
	s_add_u32 s2, s22, s0
	s_mul_i32 s0, s11, s20
	s_addc_u32 s3, s23, s1
	s_ashr_i32 s1, s0, 31
	s_lshl_b64 s[0:1], s[0:1], 1
	s_add_u32 s2, s2, s0
	s_mul_i32 s0, s8, 0x50
	s_addc_u32 s3, s3, s1
	s_ashr_i32 s1, s0, 31
	s_lshl_b64 s[0:1], s[0:1], 1
	s_add_u32 s0, s2, s0
	v_bfe_u32 v6, v4, 16, 1
	s_movk_i32 s2, 0x7fff
	v_add3_u32 v6, v6, v4, s2
	v_or_b32_e32 v7, 0x400000, v4
	v_cmp_u_f32_e32 vcc, v4, v4
	s_addc_u32 s1, s3, s1
	v_lshlrev_b32_e32 v5, 1, v5
	v_cndmask_b32_e32 v4, v6, v7, vcc
	global_store_short_d16_hi v5, v4, s[0:1]
	v_bfe_u32 v4, v3, 16, 1
	v_add3_u32 v4, v4, v3, s2
	v_or_b32_e32 v6, 0x400000, v3
	v_cmp_u_f32_e32 vcc, v3, v3
	v_cndmask_b32_e32 v3, v4, v6, vcc
	global_store_short_d16_hi v5, v3, s[0:1] offset:32
	v_bfe_u32 v3, v2, 16, 1
	v_add3_u32 v3, v3, v2, s2
	v_or_b32_e32 v4, 0x400000, v2
	v_cmp_u_f32_e32 vcc, v2, v2
	v_cndmask_b32_e32 v2, v3, v4, vcc
	global_store_short_d16_hi v5, v2, s[0:1] offset:64
	;; [unrolled: 6-line block ×4, first 2 shown]
.LBB322_533:
	s_endpgm
.LBB322_534:
	ds_read_b32 v8, v7
	s_waitcnt lgkmcnt(0)
	v_add_f32_e32 v4, v4, v8
	s_or_b64 exec, exec, s[2:3]
	s_and_saveexec_b64 s[2:3], vcc
	s_cbranch_execz .LBB322_526
.LBB322_535:
	ds_read_b32 v8, v7 offset:64
	s_waitcnt lgkmcnt(0)
	v_add_f32_e32 v3, v3, v8
	s_or_b64 exec, exec, s[2:3]
	s_and_saveexec_b64 s[2:3], vcc
	s_cbranch_execz .LBB322_527
.LBB322_536:
	ds_read_b32 v8, v7 offset:128
	s_waitcnt lgkmcnt(0)
	v_add_f32_e32 v2, v2, v8
	s_or_b64 exec, exec, s[2:3]
	s_and_saveexec_b64 s[2:3], vcc
	s_cbranch_execz .LBB322_528
.LBB322_537:
	ds_read_b32 v8, v7 offset:192
	s_waitcnt lgkmcnt(0)
	v_add_f32_e32 v1, v1, v8
	s_or_b64 exec, exec, s[2:3]
	s_and_saveexec_b64 s[2:3], vcc
	s_cbranch_execnz .LBB322_529
	s_branch .LBB322_530
	.section	.rodata,"a",@progbits
	.p2align	6, 0x0
	.amdhsa_kernel _ZN4vllm25paged_attention_v1_kernelI14__hip_bfloat16hLi80ELi32ELi128ELNS_18Fp8KVCacheDataTypeE1ELb0EEEvPT_PKS3_PKT0_S9_ifPKiSB_iPKfiiiSD_SD_iiiii
		.amdhsa_group_segment_fixed_size 176
		.amdhsa_private_segment_fixed_size 164
		.amdhsa_kernarg_size 384
		.amdhsa_user_sgpr_count 6
		.amdhsa_user_sgpr_private_segment_buffer 1
		.amdhsa_user_sgpr_dispatch_ptr 0
		.amdhsa_user_sgpr_queue_ptr 0
		.amdhsa_user_sgpr_kernarg_segment_ptr 1
		.amdhsa_user_sgpr_dispatch_id 0
		.amdhsa_user_sgpr_flat_scratch_init 0
		.amdhsa_user_sgpr_private_segment_size 0
		.amdhsa_uses_dynamic_stack 0
		.amdhsa_system_sgpr_private_segment_wavefront_offset 1
		.amdhsa_system_sgpr_workgroup_id_x 1
		.amdhsa_system_sgpr_workgroup_id_y 1
		.amdhsa_system_sgpr_workgroup_id_z 1
		.amdhsa_system_sgpr_workgroup_info 0
		.amdhsa_system_vgpr_workitem_id 0
		.amdhsa_next_free_vgpr 64
		.amdhsa_next_free_sgpr 52
		.amdhsa_reserve_vcc 1
		.amdhsa_reserve_flat_scratch 0
		.amdhsa_float_round_mode_32 0
		.amdhsa_float_round_mode_16_64 0
		.amdhsa_float_denorm_mode_32 3
		.amdhsa_float_denorm_mode_16_64 3
		.amdhsa_dx10_clamp 1
		.amdhsa_ieee_mode 1
		.amdhsa_fp16_overflow 0
		.amdhsa_exception_fp_ieee_invalid_op 0
		.amdhsa_exception_fp_denorm_src 0
		.amdhsa_exception_fp_ieee_div_zero 0
		.amdhsa_exception_fp_ieee_overflow 0
		.amdhsa_exception_fp_ieee_underflow 0
		.amdhsa_exception_fp_ieee_inexact 0
		.amdhsa_exception_int_div_zero 0
	.end_amdhsa_kernel
	.section	.text._ZN4vllm25paged_attention_v1_kernelI14__hip_bfloat16hLi80ELi32ELi128ELNS_18Fp8KVCacheDataTypeE1ELb0EEEvPT_PKS3_PKT0_S9_ifPKiSB_iPKfiiiSD_SD_iiiii,"axG",@progbits,_ZN4vllm25paged_attention_v1_kernelI14__hip_bfloat16hLi80ELi32ELi128ELNS_18Fp8KVCacheDataTypeE1ELb0EEEvPT_PKS3_PKT0_S9_ifPKiSB_iPKfiiiSD_SD_iiiii,comdat
.Lfunc_end322:
	.size	_ZN4vllm25paged_attention_v1_kernelI14__hip_bfloat16hLi80ELi32ELi128ELNS_18Fp8KVCacheDataTypeE1ELb0EEEvPT_PKS3_PKT0_S9_ifPKiSB_iPKfiiiSD_SD_iiiii, .Lfunc_end322-_ZN4vllm25paged_attention_v1_kernelI14__hip_bfloat16hLi80ELi32ELi128ELNS_18Fp8KVCacheDataTypeE1ELb0EEEvPT_PKS3_PKT0_S9_ifPKiSB_iPKfiiiSD_SD_iiiii
                                        ; -- End function
	.set _ZN4vllm25paged_attention_v1_kernelI14__hip_bfloat16hLi80ELi32ELi128ELNS_18Fp8KVCacheDataTypeE1ELb0EEEvPT_PKS3_PKT0_S9_ifPKiSB_iPKfiiiSD_SD_iiiii.num_vgpr, 64
	.set _ZN4vllm25paged_attention_v1_kernelI14__hip_bfloat16hLi80ELi32ELi128ELNS_18Fp8KVCacheDataTypeE1ELb0EEEvPT_PKS3_PKT0_S9_ifPKiSB_iPKfiiiSD_SD_iiiii.num_agpr, 0
	.set _ZN4vllm25paged_attention_v1_kernelI14__hip_bfloat16hLi80ELi32ELi128ELNS_18Fp8KVCacheDataTypeE1ELb0EEEvPT_PKS3_PKT0_S9_ifPKiSB_iPKfiiiSD_SD_iiiii.numbered_sgpr, 52
	.set _ZN4vllm25paged_attention_v1_kernelI14__hip_bfloat16hLi80ELi32ELi128ELNS_18Fp8KVCacheDataTypeE1ELb0EEEvPT_PKS3_PKT0_S9_ifPKiSB_iPKfiiiSD_SD_iiiii.num_named_barrier, 0
	.set _ZN4vllm25paged_attention_v1_kernelI14__hip_bfloat16hLi80ELi32ELi128ELNS_18Fp8KVCacheDataTypeE1ELb0EEEvPT_PKS3_PKT0_S9_ifPKiSB_iPKfiiiSD_SD_iiiii.private_seg_size, 164
	.set _ZN4vllm25paged_attention_v1_kernelI14__hip_bfloat16hLi80ELi32ELi128ELNS_18Fp8KVCacheDataTypeE1ELb0EEEvPT_PKS3_PKT0_S9_ifPKiSB_iPKfiiiSD_SD_iiiii.uses_vcc, 1
	.set _ZN4vllm25paged_attention_v1_kernelI14__hip_bfloat16hLi80ELi32ELi128ELNS_18Fp8KVCacheDataTypeE1ELb0EEEvPT_PKS3_PKT0_S9_ifPKiSB_iPKfiiiSD_SD_iiiii.uses_flat_scratch, 0
	.set _ZN4vllm25paged_attention_v1_kernelI14__hip_bfloat16hLi80ELi32ELi128ELNS_18Fp8KVCacheDataTypeE1ELb0EEEvPT_PKS3_PKT0_S9_ifPKiSB_iPKfiiiSD_SD_iiiii.has_dyn_sized_stack, 0
	.set _ZN4vllm25paged_attention_v1_kernelI14__hip_bfloat16hLi80ELi32ELi128ELNS_18Fp8KVCacheDataTypeE1ELb0EEEvPT_PKS3_PKT0_S9_ifPKiSB_iPKfiiiSD_SD_iiiii.has_recursion, 0
	.set _ZN4vllm25paged_attention_v1_kernelI14__hip_bfloat16hLi80ELi32ELi128ELNS_18Fp8KVCacheDataTypeE1ELb0EEEvPT_PKS3_PKT0_S9_ifPKiSB_iPKfiiiSD_SD_iiiii.has_indirect_call, 0
	.section	.AMDGPU.csdata,"",@progbits
; Kernel info:
; codeLenInByte = 26256
; TotalNumSgprs: 56
; NumVgprs: 64
; ScratchSize: 164
; MemoryBound: 0
; FloatMode: 240
; IeeeMode: 1
; LDSByteSize: 176 bytes/workgroup (compile time only)
; SGPRBlocks: 6
; VGPRBlocks: 15
; NumSGPRsForWavesPerEU: 56
; NumVGPRsForWavesPerEU: 64
; Occupancy: 4
; WaveLimiterHint : 1
; COMPUTE_PGM_RSRC2:SCRATCH_EN: 1
; COMPUTE_PGM_RSRC2:USER_SGPR: 6
; COMPUTE_PGM_RSRC2:TRAP_HANDLER: 0
; COMPUTE_PGM_RSRC2:TGID_X_EN: 1
; COMPUTE_PGM_RSRC2:TGID_Y_EN: 1
; COMPUTE_PGM_RSRC2:TGID_Z_EN: 1
; COMPUTE_PGM_RSRC2:TIDIG_COMP_CNT: 0
	.section	.text._ZN4vllm25paged_attention_v1_kernelI14__hip_bfloat16hLi96ELi32ELi128ELNS_18Fp8KVCacheDataTypeE1ELb0EEEvPT_PKS3_PKT0_S9_ifPKiSB_iPKfiiiSD_SD_iiiii,"axG",@progbits,_ZN4vllm25paged_attention_v1_kernelI14__hip_bfloat16hLi96ELi32ELi128ELNS_18Fp8KVCacheDataTypeE1ELb0EEEvPT_PKS3_PKT0_S9_ifPKiSB_iPKfiiiSD_SD_iiiii,comdat
	.protected	_ZN4vllm25paged_attention_v1_kernelI14__hip_bfloat16hLi96ELi32ELi128ELNS_18Fp8KVCacheDataTypeE1ELb0EEEvPT_PKS3_PKT0_S9_ifPKiSB_iPKfiiiSD_SD_iiiii ; -- Begin function _ZN4vllm25paged_attention_v1_kernelI14__hip_bfloat16hLi96ELi32ELi128ELNS_18Fp8KVCacheDataTypeE1ELb0EEEvPT_PKS3_PKT0_S9_ifPKiSB_iPKfiiiSD_SD_iiiii
	.globl	_ZN4vllm25paged_attention_v1_kernelI14__hip_bfloat16hLi96ELi32ELi128ELNS_18Fp8KVCacheDataTypeE1ELb0EEEvPT_PKS3_PKT0_S9_ifPKiSB_iPKfiiiSD_SD_iiiii
	.p2align	8
	.type	_ZN4vllm25paged_attention_v1_kernelI14__hip_bfloat16hLi96ELi32ELi128ELNS_18Fp8KVCacheDataTypeE1ELb0EEEvPT_PKS3_PKT0_S9_ifPKiSB_iPKfiiiSD_SD_iiiii,@function
_ZN4vllm25paged_attention_v1_kernelI14__hip_bfloat16hLi96ELi32ELi128ELNS_18Fp8KVCacheDataTypeE1ELb0EEEvPT_PKS3_PKT0_S9_ifPKiSB_iPKfiiiSD_SD_iiiii: ; @_ZN4vllm25paged_attention_v1_kernelI14__hip_bfloat16hLi96ELi32ELi128ELNS_18Fp8KVCacheDataTypeE1ELb0EEEvPT_PKS3_PKT0_S9_ifPKiSB_iPKfiiiSD_SD_iiiii
; %bb.0:
	s_mov_b64 s[50:51], s[2:3]
	s_mov_b64 s[48:49], s[0:1]
	s_add_u32 s48, s48, s9
	s_load_dword s9, s[4:5], 0x80
	s_load_dwordx2 s[0:1], s[4:5], 0x30
	s_load_dwordx2 s[30:31], s[4:5], 0x20
	s_addc_u32 s49, s49, 0
	s_mov_b32 s10, s7
	s_ashr_i32 s11, s7, 31
	s_lshl_b64 s[2:3], s[10:11], 2
	s_waitcnt lgkmcnt(0)
	s_add_u32 s0, s0, s2
	s_addc_u32 s1, s1, s3
	s_abs_i32 s2, s30
	v_cvt_f32_u32_e32 v1, s2
	s_sub_i32 s11, 0, s2
	s_abs_i32 s7, s9
	s_xor_b32 s3, s9, s30
	v_rcp_iflag_f32_e32 v1, v1
	s_ashr_i32 s3, s3, 31
	s_mov_b32 s33, 0
	v_mul_f32_e32 v1, 0x4f7ffffe, v1
	v_cvt_u32_f32_e32 v1, v1
	v_readfirstlane_b32 s12, v1
	s_mul_i32 s11, s11, s12
	s_mul_hi_u32 s11, s12, s11
	s_add_i32 s12, s12, s11
	s_mul_hi_u32 s11, s7, s12
	s_mul_i32 s12, s11, s2
	s_sub_i32 s7, s7, s12
	s_add_i32 s12, s11, 1
	s_sub_i32 s13, s7, s2
	s_cmp_ge_u32 s7, s2
	s_cselect_b32 s11, s12, s11
	s_cselect_b32 s7, s13, s7
	s_add_i32 s12, s11, 1
	s_cmp_ge_u32 s7, s2
	s_cselect_b32 s2, s12, s11
	s_xor_b32 s2, s2, s3
	s_sub_i32 s12, s2, s3
	s_abs_i32 s11, s12
	v_cvt_f32_u32_e32 v1, s11
	s_load_dwordx2 s[2:3], s[4:5], 0x40
	s_sub_i32 s7, 0, s11
	s_abs_i32 s16, s6
	v_rcp_iflag_f32_e32 v1, v1
	v_mul_f32_e32 v1, 0x4f7ffffe, v1
	v_cvt_u32_f32_e32 v1, v1
	v_readfirstlane_b32 s13, v1
	s_mul_i32 s7, s7, s13
	s_mul_hi_u32 s7, s13, s7
	s_add_i32 s13, s13, s7
	s_waitcnt lgkmcnt(0)
	s_cmp_eq_u64 s[2:3], 0
	s_mul_hi_u32 s17, s16, s13
	s_cbranch_scc1 .LBB323_2
; %bb.1:
	s_ashr_i32 s7, s6, 31
	s_lshl_b64 s[14:15], s[6:7], 2
	s_add_u32 s2, s2, s14
	s_addc_u32 s3, s3, s15
	s_load_dword s33, s[2:3], 0x0
.LBB323_2:
	s_load_dword s30, s[0:1], 0x0
	s_ashr_i32 s3, s12, 31
	s_load_dwordx4 s[12:15], s[4:5], 0x48
	s_ashr_i32 s2, s6, 31
	v_and_b32_e32 v11, 1, v0
	s_movk_i32 s7, 0x60
	s_mul_i32 s20, s6, 0x60
	v_lshlrev_b32_e32 v16, 3, v0
	v_cmp_gt_u32_e32 vcc, 24, v0
	s_mov_b64 s[0:1], exec
	s_and_b64 s[18:19], s[0:1], vcc
	buffer_store_dword v0, off, s[48:51], 0 offset:200 ; 4-byte Folded Spill
	s_mov_b64 exec, s[18:19]
	s_cbranch_execz .LBB323_4
; %bb.3:
	buffer_load_dword v0, off, s[48:51], 0 offset:200 ; 4-byte Folded Reload
	s_load_dwordx2 s[18:19], s[4:5], 0x8
	s_waitcnt lgkmcnt(0)
	s_mul_i32 s22, s12, s10
	s_ashr_i32 s23, s22, 31
	s_lshl_b64 s[22:23], s[22:23], 1
	s_add_u32 s6, s18, s22
	s_addc_u32 s12, s19, s23
	s_ashr_i32 s21, s20, 31
	s_lshl_b64 s[18:19], s[20:21], 1
	s_add_u32 s18, s6, s18
	s_addc_u32 s19, s12, s19
	global_load_dwordx2 v[1:2], v16, s[18:19]
	s_waitcnt vmcnt(1)
	v_lshlrev_b32_e32 v3, 2, v0
	buffer_load_dword v0, off, s[48:51], 0 offset:200 ; 4-byte Folded Reload
	v_and_b32_e32 v3, 0xff8, v3
	v_mad_u32_u24 v3, v11, s7, v3
	s_waitcnt vmcnt(1)
	ds_write_b64 v3, v[1:2]
.LBB323_4:
	s_or_b64 exec, exec, s[0:1]
	s_waitcnt lgkmcnt(0)
	s_add_i32 s1, s30, 31
	s_ashr_i32 s6, s1, 31
	s_lshr_b32 s6, s6, 27
	s_add_i32 s1, s1, s6
	s_ashr_i32 s21, s1, 5
	s_xor_b32 s1, s2, s3
	s_mul_i32 s2, s17, s11
	s_sub_i32 s2, s16, s2
	s_add_i32 s3, s17, 1
	s_sub_i32 s6, s2, s11
	s_load_dwordx2 s[24:25], s[4:5], 0x28
	s_load_dword s0, s[4:5], 0x38
	s_cmp_ge_u32 s2, s11
	s_cselect_b32 s3, s3, s17
	s_cselect_b32 s2, s6, s2
	s_add_i32 s6, s3, 1
	s_cmp_ge_u32 s2, s11
	s_cselect_b32 s2, s6, s3
	s_waitcnt vmcnt(0)
	v_lshrrev_b32_e32 v1, 6, v0
	s_xor_b32 s2, s2, s1
	s_waitcnt lgkmcnt(0)
	s_mul_i32 s26, s0, s10
	s_sub_i32 s12, s2, s1
	s_ashr_i32 s27, s26, 31
	v_cmp_gt_i32_e64 s[0:1], s21, v1
	v_cmp_le_i32_e32 vcc, s21, v1
	v_mbcnt_lo_u32_b32 v5, -1, 0
	s_barrier
	buffer_store_dword v1, off, s[48:51], 0 ; 4-byte Folded Spill
                                        ; implicit-def: $vgpr14
                                        ; implicit-def: $vgpr8
                                        ; implicit-def: $vgpr9
	s_and_saveexec_b64 s[2:3], vcc
	s_xor_b64 s[2:3], exec, s[2:3]
; %bb.5:
	v_mbcnt_hi_u32_b32 v14, -1, v5
	v_and_b32_e32 v8, 64, v14
	v_add_u32_e32 v9, 64, v8
                                        ; implicit-def: $vgpr11
                                        ; implicit-def: $vgpr5
; %bb.6:
	s_or_saveexec_b64 s[6:7], s[2:3]
	s_load_dwordx2 s[22:23], s[4:5], 0x0
	s_load_dwordx2 s[28:29], s[4:5], 0x18
	s_load_dword s11, s[4:5], 0x88
	s_load_dwordx4 s[16:19], s[4:5], 0x58
	v_mov_b32_e32 v63, 0xff7fffff
	s_mul_i32 s12, s12, s14
	v_lshrrev_b32_e32 v15, 4, v0
	s_xor_b64 exec, exec, s[6:7]
	s_cbranch_execz .LBB323_300
; %bb.7:
	buffer_store_dword v16, off, s[48:51], 0 offset:220 ; 4-byte Folded Spill
	v_mul_u32_u24_e32 v10, 0x60, v11
	ds_read_b128 v[1:4], v10
	ds_read_b128 v[6:9], v10 offset:16
	s_load_dwordx2 s[2:3], s[4:5], 0x10
	s_ashr_i32 s4, s12, 31
	v_mbcnt_hi_u32_b32 v5, -1, v5
	s_waitcnt lgkmcnt(0)
	v_and_b32_e32 v0, 0xffff0000, v1
	buffer_store_dword v0, off, s[48:51], 0 offset:4 ; 4-byte Folded Spill
	v_lshlrev_b32_e32 v0, 16, v2
	buffer_store_dword v0, off, s[48:51], 0 offset:8 ; 4-byte Folded Spill
	v_and_b32_e32 v0, 0xffff0000, v2
	buffer_store_dword v0, off, s[48:51], 0 offset:12 ; 4-byte Folded Spill
	v_lshlrev_b32_e32 v0, 16, v3
	buffer_store_dword v0, off, s[48:51], 0 offset:16 ; 4-byte Folded Spill
	;; [unrolled: 4-line block ×4, first 2 shown]
	v_and_b32_e32 v0, 0xffff0000, v6
	buffer_store_dword v0, off, s[48:51], 0 offset:36 ; 4-byte Folded Spill
	v_lshlrev_b32_e32 v0, 16, v7
	v_lshlrev_b32_e32 v62, 16, v1
	buffer_store_dword v0, off, s[48:51], 0 offset:40 ; 4-byte Folded Spill
	v_and_b32_e32 v0, 0xffff0000, v7
	ds_read_b128 v[1:4], v10 offset:32
	buffer_store_dword v0, off, s[48:51], 0 offset:44 ; 4-byte Folded Spill
	v_lshlrev_b32_e32 v0, 16, v8
	buffer_store_dword v0, off, s[48:51], 0 offset:48 ; 4-byte Folded Spill
	v_and_b32_e32 v0, 0xffff0000, v8
	buffer_store_dword v0, off, s[48:51], 0 offset:56 ; 4-byte Folded Spill
	v_lshlrev_b32_e32 v0, 16, v9
	buffer_store_dword v0, off, s[48:51], 0 offset:60 ; 4-byte Folded Spill
	v_and_b32_e32 v0, 0xffff0000, v9
	buffer_store_dword v0, off, s[48:51], 0 offset:64 ; 4-byte Folded Spill
	ds_read_b128 v[6:9], v10 offset:48
	s_waitcnt lgkmcnt(1)
	v_lshlrev_b32_e32 v0, 16, v1
	buffer_store_dword v0, off, s[48:51], 0 offset:68 ; 4-byte Folded Spill
	v_and_b32_e32 v0, 0xffff0000, v1
	buffer_store_dword v0, off, s[48:51], 0 offset:72 ; 4-byte Folded Spill
	v_lshlrev_b32_e32 v0, 16, v2
	buffer_store_dword v0, off, s[48:51], 0 offset:76 ; 4-byte Folded Spill
	v_and_b32_e32 v0, 0xffff0000, v2
	buffer_store_dword v0, off, s[48:51], 0 offset:80 ; 4-byte Folded Spill
	;; [unrolled: 4-line block ×4, first 2 shown]
	s_waitcnt lgkmcnt(0)
	v_lshlrev_b32_e32 v0, 16, v6
	buffer_store_dword v0, off, s[48:51], 0 offset:100 ; 4-byte Folded Spill
	v_and_b32_e32 v0, 0xffff0000, v6
	buffer_store_dword v0, off, s[48:51], 0 offset:104 ; 4-byte Folded Spill
	v_lshlrev_b32_e32 v0, 16, v7
	buffer_store_dword v0, off, s[48:51], 0 offset:108 ; 4-byte Folded Spill
	v_and_b32_e32 v0, 0xffff0000, v7
	ds_read_b128 v[1:4], v10 offset:64
	buffer_store_dword v0, off, s[48:51], 0 offset:112 ; 4-byte Folded Spill
	v_lshlrev_b32_e32 v0, 16, v8
	buffer_store_dword v0, off, s[48:51], 0 offset:116 ; 4-byte Folded Spill
	v_and_b32_e32 v0, 0xffff0000, v8
	buffer_store_dword v0, off, s[48:51], 0 offset:120 ; 4-byte Folded Spill
	v_lshlrev_b32_e32 v0, 16, v9
	buffer_store_dword v0, off, s[48:51], 0 offset:124 ; 4-byte Folded Spill
	v_and_b32_e32 v0, 0xffff0000, v9
	buffer_store_dword v0, off, s[48:51], 0 offset:128 ; 4-byte Folded Spill
	ds_read_b128 v[6:9], v10 offset:80
	s_waitcnt lgkmcnt(1)
	v_lshlrev_b32_e32 v0, 16, v1
	buffer_store_dword v0, off, s[48:51], 0 offset:132 ; 4-byte Folded Spill
	v_and_b32_e32 v0, 0xffff0000, v1
	buffer_store_dword v0, off, s[48:51], 0 offset:136 ; 4-byte Folded Spill
	v_lshlrev_b32_e32 v0, 16, v2
	buffer_store_dword v0, off, s[48:51], 0 offset:140 ; 4-byte Folded Spill
	v_and_b32_e32 v0, 0xffff0000, v2
	buffer_store_dword v0, off, s[48:51], 0 offset:144 ; 4-byte Folded Spill
	;; [unrolled: 4-line block ×4, first 2 shown]
	s_waitcnt lgkmcnt(0)
	v_lshlrev_b32_e32 v0, 16, v6
	buffer_store_dword v0, off, s[48:51], 0 offset:164 ; 4-byte Folded Spill
	v_and_b32_e32 v0, 0xffff0000, v6
	buffer_store_dword v0, off, s[48:51], 0 offset:168 ; 4-byte Folded Spill
	v_lshlrev_b32_e32 v0, 16, v7
	buffer_store_dword v0, off, s[48:51], 0 offset:172 ; 4-byte Folded Spill
	v_and_b32_e32 v0, 0xffff0000, v7
	buffer_store_dword v0, off, s[48:51], 0 offset:176 ; 4-byte Folded Spill
	;; [unrolled: 4-line block ×4, first 2 shown]
	buffer_load_dword v0, off, s[48:51], 0 offset:200 ; 4-byte Folded Reload
	s_add_u32 s2, s2, s12
	buffer_load_dword v20, off, s[48:51], 0 ; 4-byte Folded Reload
	s_addc_u32 s3, s3, s4
	v_mov_b32_e32 v2, s3
	s_sub_i32 s38, 1, s30
	v_and_b32_e32 v7, 64, v5
	buffer_store_dword v7, off, s[48:51], 0 offset:212 ; 4-byte Folded Spill
	v_add_u32_e32 v7, 64, v7
	s_load_dword s40, s[16:17], 0x0
	s_mov_b32 s39, s13
	s_mov_b64 s[14:15], 0
	s_movk_i32 s41, 0x80
	s_movk_i32 s42, 0x7f
	s_mov_b32 s43, 0xffffff
	s_movk_i32 s44, 0x7fff
	v_mov_b32_e32 v12, 0
	v_mov_b32_e32 v63, 0xff7fffff
	;; [unrolled: 1-line block ×3, first 2 shown]
	buffer_store_dword v15, off, s[48:51], 0 offset:204 ; 4-byte Folded Spill
	buffer_store_dword v7, off, s[48:51], 0 offset:216 ; 4-byte Folded Spill
	;; [unrolled: 1-line block ×3, first 2 shown]
	s_waitcnt vmcnt(5)
	v_bfe_u32 v6, v0, 1, 5
	v_lshlrev_b32_e32 v1, 4, v6
	v_add_co_u32_e32 v1, vcc, s2, v1
	v_lshlrev_b32_e32 v0, 2, v11
	v_addc_co_u32_e32 v2, vcc, 0, v2, vcc
	v_add_co_u32_e64 v1, s[2:3], v1, v0
	v_addc_co_u32_e64 v2, s[2:3], 0, v2, s[2:3]
	s_lshl_b64 s[2:3], s[26:27], 2
	s_add_u32 s2, s24, s2
	s_addc_u32 s3, s25, s3
	v_and_b32_e32 v0, 60, v15
	v_mov_b32_e32 v4, s3
	v_add_co_u32_e64 v3, s[2:3], s2, v0
	v_addc_co_u32_e64 v4, s[2:3], 0, v4, s[2:3]
	v_xor_b32_e32 v0, 1, v5
	v_cmp_lt_i32_e64 s[2:3], v0, v7
	v_cndmask_b32_e64 v0, v5, v0, s[2:3]
	v_lshlrev_b32_e32 v0, 2, v0
	buffer_store_dword v0, off, s[48:51], 0 offset:196 ; 4-byte Folded Spill
	v_lshlrev_b32_e32 v0, 2, v6
	s_waitcnt vmcnt(5)
	v_lshl_or_b32 v0, v20, 7, v0
	v_cmp_eq_u32_e32 vcc, 0, v11
	v_cmp_neq_f32_e64 s[2:3], s33, 0
	v_lshl_or_b32 v9, v20, 5, v6
	v_add_u32_e32 v11, 0xd0, v0
	v_bfrev_b32_e32 v0, 60
	s_branch .LBB323_9
.LBB323_8:                              ;   in Loop: Header=BB323_9 Depth=1
	s_or_b64 exec, exec, s[16:17]
	v_add_u32_e32 v20, 2, v20
	v_cmp_le_i32_e64 s[4:5], s21, v20
	s_or_b64 s[14:15], s[4:5], s[14:15]
	v_add_co_u32_e64 v3, s[4:5], 8, v3
	v_add_u32_e32 v9, 64, v9
	v_add_u32_e32 v11, 0x100, v11
	v_addc_co_u32_e64 v4, s[4:5], 0, v4, s[4:5]
	s_andn2_b64 exec, exec, s[14:15]
	s_cbranch_execz .LBB323_299
.LBB323_9:                              ; =>This Inner Loop Header: Depth=1
	global_load_dword v5, v[3:4], off
	v_mov_b32_e32 v14, 0
	s_waitcnt vmcnt(0) lgkmcnt(0)
	v_mad_i64_i32 v[5:6], s[4:5], v5, s39, v[1:2]
	global_load_dword v7, v[5:6], off
	s_waitcnt vmcnt(0)
	v_cmp_ne_u16_sdwa s[4:5], v7, v12 src0_sel:BYTE_0 src1_sel:DWORD
	s_and_saveexec_b64 s[16:17], s[4:5]
	s_cbranch_execz .LBB323_15
; %bb.10:                               ;   in Loop: Header=BB323_9 Depth=1
	v_cmp_ne_u16_sdwa s[4:5], v7, s41 src0_sel:BYTE_0 src1_sel:DWORD
	v_bfrev_b32_e32 v14, 1
	s_and_saveexec_b64 s[34:35], s[4:5]
	s_cbranch_execz .LBB323_14
; %bb.11:                               ;   in Loop: Header=BB323_9 Depth=1
	v_and_b32_e32 v8, 0x7f, v7
	v_cmp_ne_u32_e64 s[4:5], s42, v8
	v_mov_b32_e32 v14, 0x7f800001
	s_and_saveexec_b64 s[36:37], s[4:5]
	s_cbranch_execz .LBB323_13
; %bb.12:                               ;   in Loop: Header=BB323_9 Depth=1
	v_and_b32_e32 v10, 7, v7
	v_lshrrev_b32_e32 v16, 3, v8
	v_cmp_gt_u32_e64 s[4:5], 8, v8
	v_ffbh_u32_e32 v8, v10
	v_min_u32_e32 v8, 32, v8
	v_subrev_u32_e32 v14, 28, v8
	v_lshlrev_b64 v[14:15], v14, v[7:8]
	v_sub_u32_e32 v8, 29, v8
	v_and_b32_e32 v14, 7, v14
	v_cndmask_b32_e64 v8, v16, v8, s[4:5]
	v_cndmask_b32_e64 v10, v10, v14, s[4:5]
	v_lshlrev_b32_e32 v14, 24, v7
	v_lshlrev_b32_e32 v10, 20, v10
	v_and_b32_e32 v14, 0x80000000, v14
	v_lshl_add_u32 v8, v8, 23, v0
	v_or3_b32 v14, v14, v8, v10
.LBB323_13:                             ;   in Loop: Header=BB323_9 Depth=1
	s_or_b64 exec, exec, s[36:37]
.LBB323_14:                             ;   in Loop: Header=BB323_9 Depth=1
	s_or_b64 exec, exec, s[34:35]
.LBB323_15:                             ;   in Loop: Header=BB323_9 Depth=1
	s_or_b64 exec, exec, s[16:17]
	v_lshrrev_b16_e32 v8, 8, v7
	v_cmp_ne_u16_e64 s[4:5], 0, v8
	v_mov_b32_e32 v16, 0
	v_mov_b32_e32 v15, 0
	s_and_saveexec_b64 s[16:17], s[4:5]
	s_cbranch_execz .LBB323_21
; %bb.16:                               ;   in Loop: Header=BB323_9 Depth=1
	v_cmp_ne_u16_e64 s[4:5], s41, v8
	v_bfrev_b32_e32 v15, 1
	s_and_saveexec_b64 s[34:35], s[4:5]
	s_cbranch_execz .LBB323_20
; %bb.17:                               ;   in Loop: Header=BB323_9 Depth=1
	v_and_b32_e32 v10, 0x7f, v8
	v_cmp_ne_u32_e64 s[4:5], s42, v10
	v_mov_b32_e32 v15, 0x7f800001
	s_and_saveexec_b64 s[36:37], s[4:5]
	s_cbranch_execz .LBB323_19
; %bb.18:                               ;   in Loop: Header=BB323_9 Depth=1
	v_and_b32_e32 v15, 7, v8
	v_lshrrev_b32_e32 v19, 3, v10
	v_cmp_gt_u32_e64 s[4:5], 8, v10
	v_ffbh_u32_e32 v10, v15
	v_min_u32_e32 v10, 32, v10
	v_subrev_u32_e32 v17, 28, v10
	v_lshlrev_b64 v[17:18], v17, v[8:9]
	v_sub_u32_e32 v8, 29, v10
	v_and_b32_e32 v10, 7, v17
	v_cndmask_b32_e64 v8, v19, v8, s[4:5]
	v_cndmask_b32_e64 v10, v15, v10, s[4:5]
	v_lshlrev_b32_e32 v15, 16, v7
	v_lshlrev_b32_e32 v10, 20, v10
	v_and_b32_e32 v15, 0x80000000, v15
	v_lshl_add_u32 v8, v8, 23, v0
	v_or3_b32 v15, v15, v8, v10
.LBB323_19:                             ;   in Loop: Header=BB323_9 Depth=1
	s_or_b64 exec, exec, s[36:37]
.LBB323_20:                             ;   in Loop: Header=BB323_9 Depth=1
	s_or_b64 exec, exec, s[34:35]
.LBB323_21:                             ;   in Loop: Header=BB323_9 Depth=1
	s_or_b64 exec, exec, s[16:17]
	v_lshrrev_b32_e32 v8, 16, v7
	v_cmp_ne_u16_sdwa s[4:5], v8, v12 src0_sel:BYTE_0 src1_sel:DWORD
	s_and_saveexec_b64 s[16:17], s[4:5]
	s_cbranch_execz .LBB323_27
; %bb.22:                               ;   in Loop: Header=BB323_9 Depth=1
	v_cmp_ne_u16_sdwa s[4:5], v8, s41 src0_sel:BYTE_0 src1_sel:DWORD
	v_bfrev_b32_e32 v16, 1
	s_and_saveexec_b64 s[34:35], s[4:5]
	s_cbranch_execz .LBB323_26
; %bb.23:                               ;   in Loop: Header=BB323_9 Depth=1
	v_bfe_u32 v10, v7, 16, 7
	v_cmp_ne_u32_e64 s[4:5], s42, v10
	v_mov_b32_e32 v16, 0x7f800001
	s_and_saveexec_b64 s[36:37], s[4:5]
	s_cbranch_execz .LBB323_25
; %bb.24:                               ;   in Loop: Header=BB323_9 Depth=1
	v_and_b32_e32 v18, 7, v8
	v_lshrrev_b32_e32 v19, 3, v10
	v_cmp_gt_u32_e64 s[4:5], 8, v10
	v_ffbh_u32_e32 v10, v18
	v_min_u32_e32 v10, 32, v10
	v_subrev_u32_e32 v16, 28, v10
	v_lshlrev_b64 v[16:17], v16, v[8:9]
	v_sub_u32_e32 v10, 29, v10
	v_and_b32_e32 v16, 7, v16
	v_cndmask_b32_e64 v10, v19, v10, s[4:5]
	v_cndmask_b32_e64 v16, v18, v16, s[4:5]
	v_lshlrev_b32_e32 v8, 24, v8
	v_lshlrev_b32_e32 v16, 20, v16
	v_and_b32_e32 v8, 0x80000000, v8
	v_lshl_add_u32 v10, v10, 23, v0
	v_or3_b32 v16, v8, v10, v16
.LBB323_25:                             ;   in Loop: Header=BB323_9 Depth=1
	s_or_b64 exec, exec, s[36:37]
.LBB323_26:                             ;   in Loop: Header=BB323_9 Depth=1
	s_or_b64 exec, exec, s[34:35]
.LBB323_27:                             ;   in Loop: Header=BB323_9 Depth=1
	s_or_b64 exec, exec, s[16:17]
	v_cmp_lt_u32_e64 s[4:5], s43, v7
	v_mov_b32_e32 v18, 0
	v_mov_b32_e32 v17, 0
	s_and_saveexec_b64 s[16:17], s[4:5]
	s_cbranch_execz .LBB323_33
; %bb.28:                               ;   in Loop: Header=BB323_9 Depth=1
	v_lshrrev_b32_e32 v8, 24, v7
	v_cmp_ne_u32_e64 s[4:5], s41, v8
	v_bfrev_b32_e32 v17, 1
	s_and_saveexec_b64 s[34:35], s[4:5]
	s_cbranch_execz .LBB323_32
; %bb.29:                               ;   in Loop: Header=BB323_9 Depth=1
	v_bfe_u32 v7, v7, 24, 7
	v_cmp_ne_u32_e64 s[4:5], s42, v7
	v_mov_b32_e32 v17, 0x7f800001
	s_and_saveexec_b64 s[36:37], s[4:5]
	s_cbranch_execz .LBB323_31
; %bb.30:                               ;   in Loop: Header=BB323_9 Depth=1
	v_and_b32_e32 v10, 7, v8
	v_lshrrev_b32_e32 v17, 3, v7
	v_cmp_gt_u32_e64 s[4:5], 8, v7
	v_ffbh_u32_e32 v7, v10
	v_min_u32_e32 v7, 32, v7
	v_subrev_u32_e32 v19, 28, v7
	v_lshlrev_b64 v[22:23], v19, v[8:9]
	v_sub_u32_e32 v7, 29, v7
	v_and_b32_e32 v19, 7, v22
	v_cndmask_b32_e64 v7, v17, v7, s[4:5]
	v_cndmask_b32_e64 v10, v10, v19, s[4:5]
	v_lshlrev_b32_e32 v8, 24, v8
	v_lshlrev_b32_e32 v10, 20, v10
	v_and_b32_e32 v8, 0x80000000, v8
	v_lshl_add_u32 v7, v7, 23, v0
	v_or3_b32 v17, v8, v7, v10
.LBB323_31:                             ;   in Loop: Header=BB323_9 Depth=1
	s_or_b64 exec, exec, s[36:37]
.LBB323_32:                             ;   in Loop: Header=BB323_9 Depth=1
	s_or_b64 exec, exec, s[34:35]
.LBB323_33:                             ;   in Loop: Header=BB323_9 Depth=1
	s_or_b64 exec, exec, s[16:17]
	global_load_dword v7, v[5:6], off offset:8
	s_waitcnt vmcnt(0)
	v_cmp_ne_u16_sdwa s[4:5], v7, v12 src0_sel:BYTE_0 src1_sel:DWORD
	s_and_saveexec_b64 s[16:17], s[4:5]
	s_cbranch_execz .LBB323_39
; %bb.34:                               ;   in Loop: Header=BB323_9 Depth=1
	v_cmp_ne_u16_sdwa s[4:5], v7, s41 src0_sel:BYTE_0 src1_sel:DWORD
	v_bfrev_b32_e32 v18, 1
	s_and_saveexec_b64 s[34:35], s[4:5]
	s_cbranch_execz .LBB323_38
; %bb.35:                               ;   in Loop: Header=BB323_9 Depth=1
	v_and_b32_e32 v8, 0x7f, v7
	v_cmp_ne_u32_e64 s[4:5], s42, v8
	v_mov_b32_e32 v18, 0x7f800001
	s_and_saveexec_b64 s[36:37], s[4:5]
	s_cbranch_execz .LBB323_37
; %bb.36:                               ;   in Loop: Header=BB323_9 Depth=1
	v_and_b32_e32 v10, 7, v7
	v_lshrrev_b32_e32 v22, 3, v8
	v_cmp_gt_u32_e64 s[4:5], 8, v8
	v_ffbh_u32_e32 v8, v10
	v_min_u32_e32 v8, 32, v8
	v_subrev_u32_e32 v18, 28, v8
	v_lshlrev_b64 v[18:19], v18, v[7:8]
	v_sub_u32_e32 v8, 29, v8
	v_and_b32_e32 v18, 7, v18
	v_cndmask_b32_e64 v8, v22, v8, s[4:5]
	v_cndmask_b32_e64 v10, v10, v18, s[4:5]
	v_lshlrev_b32_e32 v18, 24, v7
	v_lshlrev_b32_e32 v10, 20, v10
	v_and_b32_e32 v18, 0x80000000, v18
	v_lshl_add_u32 v8, v8, 23, v0
	v_or3_b32 v18, v18, v8, v10
.LBB323_37:                             ;   in Loop: Header=BB323_9 Depth=1
	s_or_b64 exec, exec, s[36:37]
.LBB323_38:                             ;   in Loop: Header=BB323_9 Depth=1
	s_or_b64 exec, exec, s[34:35]
.LBB323_39:                             ;   in Loop: Header=BB323_9 Depth=1
	s_or_b64 exec, exec, s[16:17]
	v_lshrrev_b16_e32 v8, 8, v7
	v_cmp_ne_u16_e64 s[4:5], 0, v8
	v_mov_b32_e32 v10, 0
	v_mov_b32_e32 v19, 0
	s_and_saveexec_b64 s[16:17], s[4:5]
	s_cbranch_execz .LBB323_45
; %bb.40:                               ;   in Loop: Header=BB323_9 Depth=1
	v_cmp_ne_u16_e64 s[4:5], s41, v8
	v_bfrev_b32_e32 v19, 1
	s_and_saveexec_b64 s[34:35], s[4:5]
	s_cbranch_execz .LBB323_44
; %bb.41:                               ;   in Loop: Header=BB323_9 Depth=1
	v_and_b32_e32 v22, 0x7f, v8
	v_cmp_ne_u32_e64 s[4:5], s42, v22
	v_mov_b32_e32 v19, 0x7f800001
	s_and_saveexec_b64 s[36:37], s[4:5]
	s_cbranch_execz .LBB323_43
; %bb.42:                               ;   in Loop: Header=BB323_9 Depth=1
	v_and_b32_e32 v19, 7, v8
	v_lshrrev_b32_e32 v24, 3, v22
	v_cmp_gt_u32_e64 s[4:5], 8, v22
	v_ffbh_u32_e32 v22, v19
	v_min_u32_e32 v25, 32, v22
	v_subrev_u32_e32 v22, 28, v25
	v_lshlrev_b64 v[22:23], v22, v[8:9]
	v_sub_u32_e32 v8, 29, v25
	v_and_b32_e32 v22, 7, v22
	v_cndmask_b32_e64 v8, v24, v8, s[4:5]
	v_cndmask_b32_e64 v19, v19, v22, s[4:5]
	v_lshlrev_b32_e32 v22, 16, v7
	v_lshlrev_b32_e32 v19, 20, v19
	v_and_b32_e32 v22, 0x80000000, v22
	v_lshl_add_u32 v8, v8, 23, v0
	v_or3_b32 v19, v22, v8, v19
.LBB323_43:                             ;   in Loop: Header=BB323_9 Depth=1
	s_or_b64 exec, exec, s[36:37]
.LBB323_44:                             ;   in Loop: Header=BB323_9 Depth=1
	s_or_b64 exec, exec, s[34:35]
.LBB323_45:                             ;   in Loop: Header=BB323_9 Depth=1
	s_or_b64 exec, exec, s[16:17]
	v_lshrrev_b32_e32 v8, 16, v7
	v_cmp_ne_u16_sdwa s[4:5], v8, v12 src0_sel:BYTE_0 src1_sel:DWORD
	s_and_saveexec_b64 s[16:17], s[4:5]
	s_cbranch_execz .LBB323_51
; %bb.46:                               ;   in Loop: Header=BB323_9 Depth=1
	v_cmp_ne_u16_sdwa s[4:5], v8, s41 src0_sel:BYTE_0 src1_sel:DWORD
	v_bfrev_b32_e32 v10, 1
	s_and_saveexec_b64 s[34:35], s[4:5]
	s_cbranch_execz .LBB323_50
; %bb.47:                               ;   in Loop: Header=BB323_9 Depth=1
	v_bfe_u32 v22, v7, 16, 7
	v_cmp_ne_u32_e64 s[4:5], s42, v22
	v_mov_b32_e32 v10, 0x7f800001
	s_and_saveexec_b64 s[36:37], s[4:5]
	s_cbranch_execz .LBB323_49
; %bb.48:                               ;   in Loop: Header=BB323_9 Depth=1
	v_and_b32_e32 v10, 7, v8
	v_lshrrev_b32_e32 v24, 3, v22
	v_cmp_gt_u32_e64 s[4:5], 8, v22
	v_ffbh_u32_e32 v22, v10
	v_min_u32_e32 v25, 32, v22
	v_subrev_u32_e32 v22, 28, v25
	v_lshlrev_b64 v[22:23], v22, v[8:9]
	v_sub_u32_e32 v23, 29, v25
	v_and_b32_e32 v22, 7, v22
	v_cndmask_b32_e64 v23, v24, v23, s[4:5]
	v_cndmask_b32_e64 v10, v10, v22, s[4:5]
	v_lshlrev_b32_e32 v8, 24, v8
	v_lshlrev_b32_e32 v10, 20, v10
	v_and_b32_e32 v8, 0x80000000, v8
	v_lshl_add_u32 v22, v23, 23, v0
	v_or3_b32 v10, v8, v22, v10
.LBB323_49:                             ;   in Loop: Header=BB323_9 Depth=1
	s_or_b64 exec, exec, s[36:37]
.LBB323_50:                             ;   in Loop: Header=BB323_9 Depth=1
	s_or_b64 exec, exec, s[34:35]
.LBB323_51:                             ;   in Loop: Header=BB323_9 Depth=1
	s_or_b64 exec, exec, s[16:17]
	v_cmp_lt_u32_e64 s[4:5], s43, v7
	v_mov_b32_e32 v23, 0
	v_mov_b32_e32 v22, 0
	s_and_saveexec_b64 s[16:17], s[4:5]
	s_cbranch_execz .LBB323_57
; %bb.52:                               ;   in Loop: Header=BB323_9 Depth=1
	v_lshrrev_b32_e32 v8, 24, v7
	v_cmp_ne_u32_e64 s[4:5], s41, v8
	v_bfrev_b32_e32 v22, 1
	s_and_saveexec_b64 s[34:35], s[4:5]
	s_cbranch_execz .LBB323_56
; %bb.53:                               ;   in Loop: Header=BB323_9 Depth=1
	v_bfe_u32 v7, v7, 24, 7
	v_cmp_ne_u32_e64 s[4:5], s42, v7
	v_mov_b32_e32 v22, 0x7f800001
	s_and_saveexec_b64 s[36:37], s[4:5]
	s_cbranch_execz .LBB323_55
; %bb.54:                               ;   in Loop: Header=BB323_9 Depth=1
	v_and_b32_e32 v22, 7, v8
	v_lshrrev_b32_e32 v26, 3, v7
	v_cmp_gt_u32_e64 s[4:5], 8, v7
	v_ffbh_u32_e32 v7, v22
	v_min_u32_e32 v7, 32, v7
	v_subrev_u32_e32 v24, 28, v7
	v_lshlrev_b64 v[24:25], v24, v[8:9]
	v_sub_u32_e32 v7, 29, v7
	v_and_b32_e32 v24, 7, v24
	v_cndmask_b32_e64 v7, v26, v7, s[4:5]
	v_cndmask_b32_e64 v22, v22, v24, s[4:5]
	v_lshlrev_b32_e32 v8, 24, v8
	v_lshlrev_b32_e32 v22, 20, v22
	v_and_b32_e32 v8, 0x80000000, v8
	v_lshl_add_u32 v7, v7, 23, v0
	v_or3_b32 v22, v8, v7, v22
.LBB323_55:                             ;   in Loop: Header=BB323_9 Depth=1
	s_or_b64 exec, exec, s[36:37]
.LBB323_56:                             ;   in Loop: Header=BB323_9 Depth=1
	s_or_b64 exec, exec, s[34:35]
.LBB323_57:                             ;   in Loop: Header=BB323_9 Depth=1
	s_or_b64 exec, exec, s[16:17]
	global_load_dword v7, v[5:6], off offset:512
	s_waitcnt vmcnt(0)
	v_cmp_ne_u16_sdwa s[4:5], v7, v12 src0_sel:BYTE_0 src1_sel:DWORD
	s_and_saveexec_b64 s[16:17], s[4:5]
	s_cbranch_execz .LBB323_63
; %bb.58:                               ;   in Loop: Header=BB323_9 Depth=1
	v_cmp_ne_u16_sdwa s[4:5], v7, s41 src0_sel:BYTE_0 src1_sel:DWORD
	v_bfrev_b32_e32 v23, 1
	s_and_saveexec_b64 s[34:35], s[4:5]
	s_cbranch_execz .LBB323_62
; %bb.59:                               ;   in Loop: Header=BB323_9 Depth=1
	v_and_b32_e32 v8, 0x7f, v7
	v_cmp_ne_u32_e64 s[4:5], s42, v8
	v_mov_b32_e32 v23, 0x7f800001
	s_and_saveexec_b64 s[36:37], s[4:5]
	s_cbranch_execz .LBB323_61
; %bb.60:                               ;   in Loop: Header=BB323_9 Depth=1
	v_and_b32_e32 v25, 7, v7
	v_lshrrev_b32_e32 v26, 3, v8
	v_cmp_gt_u32_e64 s[4:5], 8, v8
	v_ffbh_u32_e32 v8, v25
	v_min_u32_e32 v8, 32, v8
	v_subrev_u32_e32 v23, 28, v8
	v_lshlrev_b64 v[23:24], v23, v[7:8]
	v_sub_u32_e32 v8, 29, v8
	v_and_b32_e32 v23, 7, v23
	v_cndmask_b32_e64 v8, v26, v8, s[4:5]
	v_cndmask_b32_e64 v23, v25, v23, s[4:5]
	v_lshlrev_b32_e32 v24, 24, v7
	v_lshlrev_b32_e32 v23, 20, v23
	v_and_b32_e32 v24, 0x80000000, v24
	v_lshl_add_u32 v8, v8, 23, v0
	v_or3_b32 v23, v24, v8, v23
.LBB323_61:                             ;   in Loop: Header=BB323_9 Depth=1
	s_or_b64 exec, exec, s[36:37]
.LBB323_62:                             ;   in Loop: Header=BB323_9 Depth=1
	s_or_b64 exec, exec, s[34:35]
.LBB323_63:                             ;   in Loop: Header=BB323_9 Depth=1
	s_or_b64 exec, exec, s[16:17]
	v_lshrrev_b16_e32 v8, 8, v7
	v_cmp_ne_u16_e64 s[4:5], 0, v8
	v_mov_b32_e32 v25, 0
	v_mov_b32_e32 v24, 0
	s_and_saveexec_b64 s[16:17], s[4:5]
	s_cbranch_execz .LBB323_69
; %bb.64:                               ;   in Loop: Header=BB323_9 Depth=1
	v_cmp_ne_u16_e64 s[4:5], s41, v8
	v_bfrev_b32_e32 v24, 1
	s_and_saveexec_b64 s[34:35], s[4:5]
	s_cbranch_execz .LBB323_68
; %bb.65:                               ;   in Loop: Header=BB323_9 Depth=1
	v_and_b32_e32 v26, 0x7f, v8
	v_cmp_ne_u32_e64 s[4:5], s42, v26
	v_mov_b32_e32 v24, 0x7f800001
	s_and_saveexec_b64 s[36:37], s[4:5]
	s_cbranch_execz .LBB323_67
; %bb.66:                               ;   in Loop: Header=BB323_9 Depth=1
	v_and_b32_e32 v24, 7, v8
	v_lshrrev_b32_e32 v28, 3, v26
	v_cmp_gt_u32_e64 s[4:5], 8, v26
	v_ffbh_u32_e32 v26, v24
	v_min_u32_e32 v29, 32, v26
	v_subrev_u32_e32 v26, 28, v29
	v_lshlrev_b64 v[26:27], v26, v[8:9]
	v_sub_u32_e32 v8, 29, v29
	v_and_b32_e32 v26, 7, v26
	v_cndmask_b32_e64 v8, v28, v8, s[4:5]
	v_cndmask_b32_e64 v24, v24, v26, s[4:5]
	v_lshlrev_b32_e32 v26, 16, v7
	v_lshlrev_b32_e32 v24, 20, v24
	v_and_b32_e32 v26, 0x80000000, v26
	v_lshl_add_u32 v8, v8, 23, v0
	v_or3_b32 v24, v26, v8, v24
.LBB323_67:                             ;   in Loop: Header=BB323_9 Depth=1
	s_or_b64 exec, exec, s[36:37]
.LBB323_68:                             ;   in Loop: Header=BB323_9 Depth=1
	s_or_b64 exec, exec, s[34:35]
.LBB323_69:                             ;   in Loop: Header=BB323_9 Depth=1
	s_or_b64 exec, exec, s[16:17]
	v_lshrrev_b32_e32 v8, 16, v7
	v_cmp_ne_u16_sdwa s[4:5], v8, v12 src0_sel:BYTE_0 src1_sel:DWORD
	s_and_saveexec_b64 s[16:17], s[4:5]
	s_cbranch_execz .LBB323_75
; %bb.70:                               ;   in Loop: Header=BB323_9 Depth=1
	v_cmp_ne_u16_sdwa s[4:5], v8, s41 src0_sel:BYTE_0 src1_sel:DWORD
	v_bfrev_b32_e32 v25, 1
	s_and_saveexec_b64 s[34:35], s[4:5]
	s_cbranch_execz .LBB323_74
; %bb.71:                               ;   in Loop: Header=BB323_9 Depth=1
	v_bfe_u32 v26, v7, 16, 7
	v_cmp_ne_u32_e64 s[4:5], s42, v26
	v_mov_b32_e32 v25, 0x7f800001
	s_and_saveexec_b64 s[36:37], s[4:5]
	s_cbranch_execz .LBB323_73
; %bb.72:                               ;   in Loop: Header=BB323_9 Depth=1
	v_and_b32_e32 v27, 7, v8
	v_ffbh_u32_e32 v25, v27
	v_min_u32_e32 v29, 32, v25
	v_subrev_u32_e32 v25, 28, v29
	v_lshrrev_b32_e32 v28, 3, v26
	v_cmp_gt_u32_e64 s[4:5], 8, v26
	v_lshlrev_b64 v[25:26], v25, v[8:9]
	v_sub_u32_e32 v26, 29, v29
	v_and_b32_e32 v25, 7, v25
	v_cndmask_b32_e64 v26, v28, v26, s[4:5]
	v_cndmask_b32_e64 v25, v27, v25, s[4:5]
	v_lshlrev_b32_e32 v8, 24, v8
	v_lshlrev_b32_e32 v25, 20, v25
	v_and_b32_e32 v8, 0x80000000, v8
	v_lshl_add_u32 v26, v26, 23, v0
	v_or3_b32 v25, v8, v26, v25
.LBB323_73:                             ;   in Loop: Header=BB323_9 Depth=1
	s_or_b64 exec, exec, s[36:37]
.LBB323_74:                             ;   in Loop: Header=BB323_9 Depth=1
	s_or_b64 exec, exec, s[34:35]
.LBB323_75:                             ;   in Loop: Header=BB323_9 Depth=1
	s_or_b64 exec, exec, s[16:17]
	v_cmp_lt_u32_e64 s[4:5], s43, v7
	v_mov_b32_e32 v27, 0
	v_mov_b32_e32 v26, 0
	s_and_saveexec_b64 s[16:17], s[4:5]
	s_cbranch_execz .LBB323_81
; %bb.76:                               ;   in Loop: Header=BB323_9 Depth=1
	v_lshrrev_b32_e32 v8, 24, v7
	v_cmp_ne_u32_e64 s[4:5], s41, v8
	v_bfrev_b32_e32 v26, 1
	s_and_saveexec_b64 s[34:35], s[4:5]
	s_cbranch_execz .LBB323_80
; %bb.77:                               ;   in Loop: Header=BB323_9 Depth=1
	v_bfe_u32 v7, v7, 24, 7
	v_cmp_ne_u32_e64 s[4:5], s42, v7
	v_mov_b32_e32 v26, 0x7f800001
	s_and_saveexec_b64 s[36:37], s[4:5]
	s_cbranch_execz .LBB323_79
; %bb.78:                               ;   in Loop: Header=BB323_9 Depth=1
	v_and_b32_e32 v26, 7, v8
	v_lshrrev_b32_e32 v30, 3, v7
	v_cmp_gt_u32_e64 s[4:5], 8, v7
	v_ffbh_u32_e32 v7, v26
	v_min_u32_e32 v7, 32, v7
	v_subrev_u32_e32 v28, 28, v7
	v_lshlrev_b64 v[28:29], v28, v[8:9]
	v_sub_u32_e32 v7, 29, v7
	v_and_b32_e32 v28, 7, v28
	v_cndmask_b32_e64 v7, v30, v7, s[4:5]
	v_cndmask_b32_e64 v26, v26, v28, s[4:5]
	v_lshlrev_b32_e32 v8, 24, v8
	v_lshlrev_b32_e32 v26, 20, v26
	v_and_b32_e32 v8, 0x80000000, v8
	v_lshl_add_u32 v7, v7, 23, v0
	v_or3_b32 v26, v8, v7, v26
.LBB323_79:                             ;   in Loop: Header=BB323_9 Depth=1
	s_or_b64 exec, exec, s[36:37]
.LBB323_80:                             ;   in Loop: Header=BB323_9 Depth=1
	s_or_b64 exec, exec, s[34:35]
.LBB323_81:                             ;   in Loop: Header=BB323_9 Depth=1
	s_or_b64 exec, exec, s[16:17]
	global_load_dword v7, v[5:6], off offset:520
	s_waitcnt vmcnt(0)
	v_cmp_ne_u16_sdwa s[4:5], v7, v12 src0_sel:BYTE_0 src1_sel:DWORD
	s_and_saveexec_b64 s[16:17], s[4:5]
	s_cbranch_execz .LBB323_87
; %bb.82:                               ;   in Loop: Header=BB323_9 Depth=1
	v_cmp_ne_u16_sdwa s[4:5], v7, s41 src0_sel:BYTE_0 src1_sel:DWORD
	v_bfrev_b32_e32 v27, 1
	s_and_saveexec_b64 s[34:35], s[4:5]
	s_cbranch_execz .LBB323_86
; %bb.83:                               ;   in Loop: Header=BB323_9 Depth=1
	v_and_b32_e32 v8, 0x7f, v7
	v_cmp_ne_u32_e64 s[4:5], s42, v8
	v_mov_b32_e32 v27, 0x7f800001
	s_and_saveexec_b64 s[36:37], s[4:5]
	s_cbranch_execz .LBB323_85
; %bb.84:                               ;   in Loop: Header=BB323_9 Depth=1
	v_and_b32_e32 v29, 7, v7
	v_lshrrev_b32_e32 v30, 3, v8
	v_cmp_gt_u32_e64 s[4:5], 8, v8
	v_ffbh_u32_e32 v8, v29
	v_min_u32_e32 v8, 32, v8
	v_subrev_u32_e32 v27, 28, v8
	v_lshlrev_b64 v[27:28], v27, v[7:8]
	v_sub_u32_e32 v8, 29, v8
	v_and_b32_e32 v27, 7, v27
	v_cndmask_b32_e64 v8, v30, v8, s[4:5]
	v_cndmask_b32_e64 v27, v29, v27, s[4:5]
	v_lshlrev_b32_e32 v28, 24, v7
	v_lshlrev_b32_e32 v27, 20, v27
	v_and_b32_e32 v28, 0x80000000, v28
	v_lshl_add_u32 v8, v8, 23, v0
	v_or3_b32 v27, v28, v8, v27
.LBB323_85:                             ;   in Loop: Header=BB323_9 Depth=1
	s_or_b64 exec, exec, s[36:37]
.LBB323_86:                             ;   in Loop: Header=BB323_9 Depth=1
	s_or_b64 exec, exec, s[34:35]
.LBB323_87:                             ;   in Loop: Header=BB323_9 Depth=1
	s_or_b64 exec, exec, s[16:17]
	v_lshrrev_b16_e32 v8, 8, v7
	v_cmp_ne_u16_e64 s[4:5], 0, v8
	v_mov_b32_e32 v29, 0
	v_mov_b32_e32 v28, 0
	s_and_saveexec_b64 s[16:17], s[4:5]
	s_cbranch_execz .LBB323_93
; %bb.88:                               ;   in Loop: Header=BB323_9 Depth=1
	v_cmp_ne_u16_e64 s[4:5], s41, v8
	v_bfrev_b32_e32 v28, 1
	s_and_saveexec_b64 s[34:35], s[4:5]
	s_cbranch_execz .LBB323_92
; %bb.89:                               ;   in Loop: Header=BB323_9 Depth=1
	v_and_b32_e32 v30, 0x7f, v8
	v_cmp_ne_u32_e64 s[4:5], s42, v30
	v_mov_b32_e32 v28, 0x7f800001
	s_and_saveexec_b64 s[36:37], s[4:5]
	s_cbranch_execz .LBB323_91
; %bb.90:                               ;   in Loop: Header=BB323_9 Depth=1
	v_and_b32_e32 v28, 7, v8
	v_lshrrev_b32_e32 v32, 3, v30
	v_cmp_gt_u32_e64 s[4:5], 8, v30
	v_ffbh_u32_e32 v30, v28
	v_min_u32_e32 v33, 32, v30
	v_subrev_u32_e32 v30, 28, v33
	v_lshlrev_b64 v[30:31], v30, v[8:9]
	v_sub_u32_e32 v8, 29, v33
	v_and_b32_e32 v30, 7, v30
	v_cndmask_b32_e64 v8, v32, v8, s[4:5]
	v_cndmask_b32_e64 v28, v28, v30, s[4:5]
	v_lshlrev_b32_e32 v30, 16, v7
	v_lshlrev_b32_e32 v28, 20, v28
	v_and_b32_e32 v30, 0x80000000, v30
	v_lshl_add_u32 v8, v8, 23, v0
	v_or3_b32 v28, v30, v8, v28
.LBB323_91:                             ;   in Loop: Header=BB323_9 Depth=1
	s_or_b64 exec, exec, s[36:37]
.LBB323_92:                             ;   in Loop: Header=BB323_9 Depth=1
	s_or_b64 exec, exec, s[34:35]
.LBB323_93:                             ;   in Loop: Header=BB323_9 Depth=1
	s_or_b64 exec, exec, s[16:17]
	v_lshrrev_b32_e32 v8, 16, v7
	v_cmp_ne_u16_sdwa s[4:5], v8, v12 src0_sel:BYTE_0 src1_sel:DWORD
	s_and_saveexec_b64 s[16:17], s[4:5]
	s_cbranch_execz .LBB323_99
; %bb.94:                               ;   in Loop: Header=BB323_9 Depth=1
	v_cmp_ne_u16_sdwa s[4:5], v8, s41 src0_sel:BYTE_0 src1_sel:DWORD
	v_bfrev_b32_e32 v29, 1
	s_and_saveexec_b64 s[34:35], s[4:5]
	s_cbranch_execz .LBB323_98
; %bb.95:                               ;   in Loop: Header=BB323_9 Depth=1
	v_bfe_u32 v30, v7, 16, 7
	v_cmp_ne_u32_e64 s[4:5], s42, v30
	v_mov_b32_e32 v29, 0x7f800001
	s_and_saveexec_b64 s[36:37], s[4:5]
	s_cbranch_execz .LBB323_97
; %bb.96:                               ;   in Loop: Header=BB323_9 Depth=1
	v_and_b32_e32 v31, 7, v8
	v_ffbh_u32_e32 v29, v31
	v_min_u32_e32 v33, 32, v29
	v_subrev_u32_e32 v29, 28, v33
	v_lshrrev_b32_e32 v32, 3, v30
	v_cmp_gt_u32_e64 s[4:5], 8, v30
	v_lshlrev_b64 v[29:30], v29, v[8:9]
	v_sub_u32_e32 v30, 29, v33
	v_and_b32_e32 v29, 7, v29
	v_cndmask_b32_e64 v30, v32, v30, s[4:5]
	v_cndmask_b32_e64 v29, v31, v29, s[4:5]
	v_lshlrev_b32_e32 v8, 24, v8
	v_lshlrev_b32_e32 v29, 20, v29
	v_and_b32_e32 v8, 0x80000000, v8
	v_lshl_add_u32 v30, v30, 23, v0
	v_or3_b32 v29, v8, v30, v29
.LBB323_97:                             ;   in Loop: Header=BB323_9 Depth=1
	s_or_b64 exec, exec, s[36:37]
.LBB323_98:                             ;   in Loop: Header=BB323_9 Depth=1
	s_or_b64 exec, exec, s[34:35]
.LBB323_99:                             ;   in Loop: Header=BB323_9 Depth=1
	s_or_b64 exec, exec, s[16:17]
	v_cmp_lt_u32_e64 s[4:5], s43, v7
	v_mov_b32_e32 v31, 0
	v_mov_b32_e32 v30, 0
	s_and_saveexec_b64 s[16:17], s[4:5]
	s_cbranch_execz .LBB323_105
; %bb.100:                              ;   in Loop: Header=BB323_9 Depth=1
	v_lshrrev_b32_e32 v8, 24, v7
	v_cmp_ne_u32_e64 s[4:5], s41, v8
	v_bfrev_b32_e32 v30, 1
	s_and_saveexec_b64 s[34:35], s[4:5]
	s_cbranch_execz .LBB323_104
; %bb.101:                              ;   in Loop: Header=BB323_9 Depth=1
	v_bfe_u32 v7, v7, 24, 7
	v_cmp_ne_u32_e64 s[4:5], s42, v7
	v_mov_b32_e32 v30, 0x7f800001
	s_and_saveexec_b64 s[36:37], s[4:5]
	s_cbranch_execz .LBB323_103
; %bb.102:                              ;   in Loop: Header=BB323_9 Depth=1
	v_and_b32_e32 v30, 7, v8
	v_lshrrev_b32_e32 v34, 3, v7
	v_cmp_gt_u32_e64 s[4:5], 8, v7
	v_ffbh_u32_e32 v7, v30
	v_min_u32_e32 v7, 32, v7
	v_subrev_u32_e32 v32, 28, v7
	v_lshlrev_b64 v[32:33], v32, v[8:9]
	v_sub_u32_e32 v7, 29, v7
	v_and_b32_e32 v32, 7, v32
	v_cndmask_b32_e64 v7, v34, v7, s[4:5]
	v_cndmask_b32_e64 v30, v30, v32, s[4:5]
	v_lshlrev_b32_e32 v8, 24, v8
	v_lshlrev_b32_e32 v30, 20, v30
	v_and_b32_e32 v8, 0x80000000, v8
	v_lshl_add_u32 v7, v7, 23, v0
	v_or3_b32 v30, v8, v7, v30
.LBB323_103:                            ;   in Loop: Header=BB323_9 Depth=1
	s_or_b64 exec, exec, s[36:37]
.LBB323_104:                            ;   in Loop: Header=BB323_9 Depth=1
	s_or_b64 exec, exec, s[34:35]
.LBB323_105:                            ;   in Loop: Header=BB323_9 Depth=1
	s_or_b64 exec, exec, s[16:17]
	global_load_dword v7, v[5:6], off offset:1024
	s_waitcnt vmcnt(0)
	v_cmp_ne_u16_sdwa s[4:5], v7, v12 src0_sel:BYTE_0 src1_sel:DWORD
	s_and_saveexec_b64 s[16:17], s[4:5]
	s_cbranch_execz .LBB323_111
; %bb.106:                              ;   in Loop: Header=BB323_9 Depth=1
	v_cmp_ne_u16_sdwa s[4:5], v7, s41 src0_sel:BYTE_0 src1_sel:DWORD
	v_bfrev_b32_e32 v31, 1
	s_and_saveexec_b64 s[34:35], s[4:5]
	s_cbranch_execz .LBB323_110
; %bb.107:                              ;   in Loop: Header=BB323_9 Depth=1
	v_and_b32_e32 v8, 0x7f, v7
	v_cmp_ne_u32_e64 s[4:5], s42, v8
	v_mov_b32_e32 v31, 0x7f800001
	s_and_saveexec_b64 s[36:37], s[4:5]
	s_cbranch_execz .LBB323_109
; %bb.108:                              ;   in Loop: Header=BB323_9 Depth=1
	v_and_b32_e32 v33, 7, v7
	v_lshrrev_b32_e32 v34, 3, v8
	v_cmp_gt_u32_e64 s[4:5], 8, v8
	v_ffbh_u32_e32 v8, v33
	v_min_u32_e32 v8, 32, v8
	v_subrev_u32_e32 v31, 28, v8
	v_lshlrev_b64 v[31:32], v31, v[7:8]
	v_sub_u32_e32 v8, 29, v8
	v_and_b32_e32 v31, 7, v31
	v_cndmask_b32_e64 v8, v34, v8, s[4:5]
	v_cndmask_b32_e64 v31, v33, v31, s[4:5]
	v_lshlrev_b32_e32 v32, 24, v7
	v_lshlrev_b32_e32 v31, 20, v31
	v_and_b32_e32 v32, 0x80000000, v32
	v_lshl_add_u32 v8, v8, 23, v0
	v_or3_b32 v31, v32, v8, v31
.LBB323_109:                            ;   in Loop: Header=BB323_9 Depth=1
	s_or_b64 exec, exec, s[36:37]
.LBB323_110:                            ;   in Loop: Header=BB323_9 Depth=1
	s_or_b64 exec, exec, s[34:35]
.LBB323_111:                            ;   in Loop: Header=BB323_9 Depth=1
	s_or_b64 exec, exec, s[16:17]
	v_lshrrev_b16_e32 v8, 8, v7
	v_cmp_ne_u16_e64 s[4:5], 0, v8
	v_mov_b32_e32 v33, 0
	v_mov_b32_e32 v32, 0
	s_and_saveexec_b64 s[16:17], s[4:5]
	s_cbranch_execz .LBB323_117
; %bb.112:                              ;   in Loop: Header=BB323_9 Depth=1
	v_cmp_ne_u16_e64 s[4:5], s41, v8
	v_bfrev_b32_e32 v32, 1
	s_and_saveexec_b64 s[34:35], s[4:5]
	s_cbranch_execz .LBB323_116
; %bb.113:                              ;   in Loop: Header=BB323_9 Depth=1
	v_and_b32_e32 v34, 0x7f, v8
	v_cmp_ne_u32_e64 s[4:5], s42, v34
	v_mov_b32_e32 v32, 0x7f800001
	s_and_saveexec_b64 s[36:37], s[4:5]
	s_cbranch_execz .LBB323_115
; %bb.114:                              ;   in Loop: Header=BB323_9 Depth=1
	v_and_b32_e32 v32, 7, v8
	v_lshrrev_b32_e32 v36, 3, v34
	v_cmp_gt_u32_e64 s[4:5], 8, v34
	v_ffbh_u32_e32 v34, v32
	v_min_u32_e32 v37, 32, v34
	v_subrev_u32_e32 v34, 28, v37
	v_lshlrev_b64 v[34:35], v34, v[8:9]
	v_sub_u32_e32 v8, 29, v37
	v_and_b32_e32 v34, 7, v34
	v_cndmask_b32_e64 v8, v36, v8, s[4:5]
	v_cndmask_b32_e64 v32, v32, v34, s[4:5]
	v_lshlrev_b32_e32 v34, 16, v7
	v_lshlrev_b32_e32 v32, 20, v32
	v_and_b32_e32 v34, 0x80000000, v34
	v_lshl_add_u32 v8, v8, 23, v0
	v_or3_b32 v32, v34, v8, v32
.LBB323_115:                            ;   in Loop: Header=BB323_9 Depth=1
	s_or_b64 exec, exec, s[36:37]
.LBB323_116:                            ;   in Loop: Header=BB323_9 Depth=1
	s_or_b64 exec, exec, s[34:35]
.LBB323_117:                            ;   in Loop: Header=BB323_9 Depth=1
	s_or_b64 exec, exec, s[16:17]
	v_lshrrev_b32_e32 v8, 16, v7
	v_cmp_ne_u16_sdwa s[4:5], v8, v12 src0_sel:BYTE_0 src1_sel:DWORD
	s_and_saveexec_b64 s[16:17], s[4:5]
	s_cbranch_execz .LBB323_123
; %bb.118:                              ;   in Loop: Header=BB323_9 Depth=1
	v_cmp_ne_u16_sdwa s[4:5], v8, s41 src0_sel:BYTE_0 src1_sel:DWORD
	v_bfrev_b32_e32 v33, 1
	s_and_saveexec_b64 s[34:35], s[4:5]
	s_cbranch_execz .LBB323_122
; %bb.119:                              ;   in Loop: Header=BB323_9 Depth=1
	v_bfe_u32 v34, v7, 16, 7
	v_cmp_ne_u32_e64 s[4:5], s42, v34
	v_mov_b32_e32 v33, 0x7f800001
	s_and_saveexec_b64 s[36:37], s[4:5]
	s_cbranch_execz .LBB323_121
; %bb.120:                              ;   in Loop: Header=BB323_9 Depth=1
	v_and_b32_e32 v35, 7, v8
	v_ffbh_u32_e32 v33, v35
	v_min_u32_e32 v37, 32, v33
	v_subrev_u32_e32 v33, 28, v37
	v_lshrrev_b32_e32 v36, 3, v34
	v_cmp_gt_u32_e64 s[4:5], 8, v34
	v_lshlrev_b64 v[33:34], v33, v[8:9]
	v_sub_u32_e32 v34, 29, v37
	v_and_b32_e32 v33, 7, v33
	v_cndmask_b32_e64 v34, v36, v34, s[4:5]
	v_cndmask_b32_e64 v33, v35, v33, s[4:5]
	v_lshlrev_b32_e32 v8, 24, v8
	v_lshlrev_b32_e32 v33, 20, v33
	v_and_b32_e32 v8, 0x80000000, v8
	v_lshl_add_u32 v34, v34, 23, v0
	v_or3_b32 v33, v8, v34, v33
.LBB323_121:                            ;   in Loop: Header=BB323_9 Depth=1
	s_or_b64 exec, exec, s[36:37]
.LBB323_122:                            ;   in Loop: Header=BB323_9 Depth=1
	s_or_b64 exec, exec, s[34:35]
.LBB323_123:                            ;   in Loop: Header=BB323_9 Depth=1
	s_or_b64 exec, exec, s[16:17]
	v_cmp_lt_u32_e64 s[4:5], s43, v7
	v_mov_b32_e32 v35, 0
	v_mov_b32_e32 v34, 0
	s_and_saveexec_b64 s[16:17], s[4:5]
	s_cbranch_execz .LBB323_129
; %bb.124:                              ;   in Loop: Header=BB323_9 Depth=1
	v_lshrrev_b32_e32 v8, 24, v7
	v_cmp_ne_u32_e64 s[4:5], s41, v8
	v_bfrev_b32_e32 v34, 1
	s_and_saveexec_b64 s[34:35], s[4:5]
	s_cbranch_execz .LBB323_128
; %bb.125:                              ;   in Loop: Header=BB323_9 Depth=1
	v_bfe_u32 v7, v7, 24, 7
	v_cmp_ne_u32_e64 s[4:5], s42, v7
	v_mov_b32_e32 v34, 0x7f800001
	s_and_saveexec_b64 s[36:37], s[4:5]
	s_cbranch_execz .LBB323_127
; %bb.126:                              ;   in Loop: Header=BB323_9 Depth=1
	v_and_b32_e32 v34, 7, v8
	v_lshrrev_b32_e32 v38, 3, v7
	v_cmp_gt_u32_e64 s[4:5], 8, v7
	v_ffbh_u32_e32 v7, v34
	v_min_u32_e32 v7, 32, v7
	v_subrev_u32_e32 v36, 28, v7
	v_lshlrev_b64 v[36:37], v36, v[8:9]
	v_sub_u32_e32 v7, 29, v7
	v_and_b32_e32 v36, 7, v36
	v_cndmask_b32_e64 v7, v38, v7, s[4:5]
	v_cndmask_b32_e64 v34, v34, v36, s[4:5]
	v_lshlrev_b32_e32 v8, 24, v8
	v_lshlrev_b32_e32 v34, 20, v34
	v_and_b32_e32 v8, 0x80000000, v8
	v_lshl_add_u32 v7, v7, 23, v0
	v_or3_b32 v34, v8, v7, v34
.LBB323_127:                            ;   in Loop: Header=BB323_9 Depth=1
	s_or_b64 exec, exec, s[36:37]
.LBB323_128:                            ;   in Loop: Header=BB323_9 Depth=1
	s_or_b64 exec, exec, s[34:35]
.LBB323_129:                            ;   in Loop: Header=BB323_9 Depth=1
	s_or_b64 exec, exec, s[16:17]
	global_load_dword v7, v[5:6], off offset:1032
	s_waitcnt vmcnt(0)
	v_cmp_ne_u16_sdwa s[4:5], v7, v12 src0_sel:BYTE_0 src1_sel:DWORD
	s_and_saveexec_b64 s[16:17], s[4:5]
	s_cbranch_execz .LBB323_135
; %bb.130:                              ;   in Loop: Header=BB323_9 Depth=1
	v_cmp_ne_u16_sdwa s[4:5], v7, s41 src0_sel:BYTE_0 src1_sel:DWORD
	v_bfrev_b32_e32 v35, 1
	s_and_saveexec_b64 s[34:35], s[4:5]
	s_cbranch_execz .LBB323_134
; %bb.131:                              ;   in Loop: Header=BB323_9 Depth=1
	v_and_b32_e32 v8, 0x7f, v7
	v_cmp_ne_u32_e64 s[4:5], s42, v8
	v_mov_b32_e32 v35, 0x7f800001
	s_and_saveexec_b64 s[36:37], s[4:5]
	s_cbranch_execz .LBB323_133
; %bb.132:                              ;   in Loop: Header=BB323_9 Depth=1
	v_and_b32_e32 v37, 7, v7
	v_lshrrev_b32_e32 v38, 3, v8
	v_cmp_gt_u32_e64 s[4:5], 8, v8
	v_ffbh_u32_e32 v8, v37
	v_min_u32_e32 v8, 32, v8
	v_subrev_u32_e32 v35, 28, v8
	v_lshlrev_b64 v[35:36], v35, v[7:8]
	v_sub_u32_e32 v8, 29, v8
	v_and_b32_e32 v35, 7, v35
	v_cndmask_b32_e64 v8, v38, v8, s[4:5]
	v_cndmask_b32_e64 v35, v37, v35, s[4:5]
	v_lshlrev_b32_e32 v36, 24, v7
	v_lshlrev_b32_e32 v35, 20, v35
	v_and_b32_e32 v36, 0x80000000, v36
	v_lshl_add_u32 v8, v8, 23, v0
	v_or3_b32 v35, v36, v8, v35
.LBB323_133:                            ;   in Loop: Header=BB323_9 Depth=1
	s_or_b64 exec, exec, s[36:37]
.LBB323_134:                            ;   in Loop: Header=BB323_9 Depth=1
	s_or_b64 exec, exec, s[34:35]
.LBB323_135:                            ;   in Loop: Header=BB323_9 Depth=1
	s_or_b64 exec, exec, s[16:17]
	v_lshrrev_b16_e32 v8, 8, v7
	v_cmp_ne_u16_e64 s[4:5], 0, v8
	v_mov_b32_e32 v37, 0
	v_mov_b32_e32 v36, 0
	s_and_saveexec_b64 s[16:17], s[4:5]
	s_cbranch_execz .LBB323_141
; %bb.136:                              ;   in Loop: Header=BB323_9 Depth=1
	v_cmp_ne_u16_e64 s[4:5], s41, v8
	v_bfrev_b32_e32 v36, 1
	s_and_saveexec_b64 s[34:35], s[4:5]
	s_cbranch_execz .LBB323_140
; %bb.137:                              ;   in Loop: Header=BB323_9 Depth=1
	v_and_b32_e32 v38, 0x7f, v8
	v_cmp_ne_u32_e64 s[4:5], s42, v38
	v_mov_b32_e32 v36, 0x7f800001
	s_and_saveexec_b64 s[36:37], s[4:5]
	s_cbranch_execz .LBB323_139
; %bb.138:                              ;   in Loop: Header=BB323_9 Depth=1
	v_and_b32_e32 v36, 7, v8
	v_lshrrev_b32_e32 v40, 3, v38
	v_cmp_gt_u32_e64 s[4:5], 8, v38
	v_ffbh_u32_e32 v38, v36
	v_min_u32_e32 v41, 32, v38
	v_subrev_u32_e32 v38, 28, v41
	v_lshlrev_b64 v[38:39], v38, v[8:9]
	v_sub_u32_e32 v8, 29, v41
	v_and_b32_e32 v38, 7, v38
	v_cndmask_b32_e64 v8, v40, v8, s[4:5]
	v_cndmask_b32_e64 v36, v36, v38, s[4:5]
	v_lshlrev_b32_e32 v38, 16, v7
	v_lshlrev_b32_e32 v36, 20, v36
	v_and_b32_e32 v38, 0x80000000, v38
	v_lshl_add_u32 v8, v8, 23, v0
	v_or3_b32 v36, v38, v8, v36
.LBB323_139:                            ;   in Loop: Header=BB323_9 Depth=1
	s_or_b64 exec, exec, s[36:37]
.LBB323_140:                            ;   in Loop: Header=BB323_9 Depth=1
	s_or_b64 exec, exec, s[34:35]
.LBB323_141:                            ;   in Loop: Header=BB323_9 Depth=1
	s_or_b64 exec, exec, s[16:17]
	v_lshrrev_b32_e32 v8, 16, v7
	v_cmp_ne_u16_sdwa s[4:5], v8, v12 src0_sel:BYTE_0 src1_sel:DWORD
	s_and_saveexec_b64 s[16:17], s[4:5]
	s_cbranch_execz .LBB323_147
; %bb.142:                              ;   in Loop: Header=BB323_9 Depth=1
	v_cmp_ne_u16_sdwa s[4:5], v8, s41 src0_sel:BYTE_0 src1_sel:DWORD
	v_bfrev_b32_e32 v37, 1
	s_and_saveexec_b64 s[34:35], s[4:5]
	s_cbranch_execz .LBB323_146
; %bb.143:                              ;   in Loop: Header=BB323_9 Depth=1
	v_bfe_u32 v38, v7, 16, 7
	v_cmp_ne_u32_e64 s[4:5], s42, v38
	v_mov_b32_e32 v37, 0x7f800001
	s_and_saveexec_b64 s[36:37], s[4:5]
	s_cbranch_execz .LBB323_145
; %bb.144:                              ;   in Loop: Header=BB323_9 Depth=1
	v_and_b32_e32 v39, 7, v8
	v_ffbh_u32_e32 v37, v39
	v_min_u32_e32 v41, 32, v37
	v_subrev_u32_e32 v37, 28, v41
	v_lshrrev_b32_e32 v40, 3, v38
	v_cmp_gt_u32_e64 s[4:5], 8, v38
	v_lshlrev_b64 v[37:38], v37, v[8:9]
	v_sub_u32_e32 v38, 29, v41
	v_and_b32_e32 v37, 7, v37
	v_cndmask_b32_e64 v38, v40, v38, s[4:5]
	v_cndmask_b32_e64 v37, v39, v37, s[4:5]
	v_lshlrev_b32_e32 v8, 24, v8
	v_lshlrev_b32_e32 v37, 20, v37
	v_and_b32_e32 v8, 0x80000000, v8
	v_lshl_add_u32 v38, v38, 23, v0
	v_or3_b32 v37, v8, v38, v37
.LBB323_145:                            ;   in Loop: Header=BB323_9 Depth=1
	s_or_b64 exec, exec, s[36:37]
.LBB323_146:                            ;   in Loop: Header=BB323_9 Depth=1
	s_or_b64 exec, exec, s[34:35]
.LBB323_147:                            ;   in Loop: Header=BB323_9 Depth=1
	s_or_b64 exec, exec, s[16:17]
	v_cmp_lt_u32_e64 s[4:5], s43, v7
	v_mov_b32_e32 v39, 0
	v_mov_b32_e32 v38, 0
	s_and_saveexec_b64 s[16:17], s[4:5]
	s_cbranch_execz .LBB323_153
; %bb.148:                              ;   in Loop: Header=BB323_9 Depth=1
	v_lshrrev_b32_e32 v8, 24, v7
	v_cmp_ne_u32_e64 s[4:5], s41, v8
	v_bfrev_b32_e32 v38, 1
	s_and_saveexec_b64 s[34:35], s[4:5]
	s_cbranch_execz .LBB323_152
; %bb.149:                              ;   in Loop: Header=BB323_9 Depth=1
	v_bfe_u32 v7, v7, 24, 7
	v_cmp_ne_u32_e64 s[4:5], s42, v7
	v_mov_b32_e32 v38, 0x7f800001
	s_and_saveexec_b64 s[36:37], s[4:5]
	s_cbranch_execz .LBB323_151
; %bb.150:                              ;   in Loop: Header=BB323_9 Depth=1
	v_and_b32_e32 v38, 7, v8
	v_lshrrev_b32_e32 v42, 3, v7
	v_cmp_gt_u32_e64 s[4:5], 8, v7
	v_ffbh_u32_e32 v7, v38
	v_min_u32_e32 v7, 32, v7
	v_subrev_u32_e32 v40, 28, v7
	v_lshlrev_b64 v[40:41], v40, v[8:9]
	v_sub_u32_e32 v7, 29, v7
	v_and_b32_e32 v40, 7, v40
	v_cndmask_b32_e64 v7, v42, v7, s[4:5]
	v_cndmask_b32_e64 v38, v38, v40, s[4:5]
	v_lshlrev_b32_e32 v8, 24, v8
	v_lshlrev_b32_e32 v38, 20, v38
	v_and_b32_e32 v8, 0x80000000, v8
	v_lshl_add_u32 v7, v7, 23, v0
	v_or3_b32 v38, v8, v7, v38
.LBB323_151:                            ;   in Loop: Header=BB323_9 Depth=1
	s_or_b64 exec, exec, s[36:37]
.LBB323_152:                            ;   in Loop: Header=BB323_9 Depth=1
	s_or_b64 exec, exec, s[34:35]
.LBB323_153:                            ;   in Loop: Header=BB323_9 Depth=1
	s_or_b64 exec, exec, s[16:17]
	global_load_dword v7, v[5:6], off offset:1536
	s_waitcnt vmcnt(0)
	v_cmp_ne_u16_sdwa s[4:5], v7, v12 src0_sel:BYTE_0 src1_sel:DWORD
	s_and_saveexec_b64 s[16:17], s[4:5]
	s_cbranch_execz .LBB323_159
; %bb.154:                              ;   in Loop: Header=BB323_9 Depth=1
	v_cmp_ne_u16_sdwa s[4:5], v7, s41 src0_sel:BYTE_0 src1_sel:DWORD
	v_bfrev_b32_e32 v39, 1
	s_and_saveexec_b64 s[34:35], s[4:5]
	s_cbranch_execz .LBB323_158
; %bb.155:                              ;   in Loop: Header=BB323_9 Depth=1
	v_and_b32_e32 v8, 0x7f, v7
	v_cmp_ne_u32_e64 s[4:5], s42, v8
	v_mov_b32_e32 v39, 0x7f800001
	s_and_saveexec_b64 s[36:37], s[4:5]
	s_cbranch_execz .LBB323_157
; %bb.156:                              ;   in Loop: Header=BB323_9 Depth=1
	v_and_b32_e32 v41, 7, v7
	v_lshrrev_b32_e32 v42, 3, v8
	v_cmp_gt_u32_e64 s[4:5], 8, v8
	v_ffbh_u32_e32 v8, v41
	v_min_u32_e32 v8, 32, v8
	v_subrev_u32_e32 v39, 28, v8
	v_lshlrev_b64 v[39:40], v39, v[7:8]
	v_sub_u32_e32 v8, 29, v8
	v_and_b32_e32 v39, 7, v39
	v_cndmask_b32_e64 v8, v42, v8, s[4:5]
	v_cndmask_b32_e64 v39, v41, v39, s[4:5]
	v_lshlrev_b32_e32 v40, 24, v7
	v_lshlrev_b32_e32 v39, 20, v39
	v_and_b32_e32 v40, 0x80000000, v40
	v_lshl_add_u32 v8, v8, 23, v0
	v_or3_b32 v39, v40, v8, v39
.LBB323_157:                            ;   in Loop: Header=BB323_9 Depth=1
	s_or_b64 exec, exec, s[36:37]
.LBB323_158:                            ;   in Loop: Header=BB323_9 Depth=1
	s_or_b64 exec, exec, s[34:35]
.LBB323_159:                            ;   in Loop: Header=BB323_9 Depth=1
	s_or_b64 exec, exec, s[16:17]
	v_lshrrev_b16_e32 v8, 8, v7
	v_cmp_ne_u16_e64 s[4:5], 0, v8
	v_mov_b32_e32 v41, 0
	v_mov_b32_e32 v40, 0
	s_and_saveexec_b64 s[16:17], s[4:5]
	s_cbranch_execz .LBB323_165
; %bb.160:                              ;   in Loop: Header=BB323_9 Depth=1
	v_cmp_ne_u16_e64 s[4:5], s41, v8
	v_bfrev_b32_e32 v40, 1
	s_and_saveexec_b64 s[34:35], s[4:5]
	s_cbranch_execz .LBB323_164
; %bb.161:                              ;   in Loop: Header=BB323_9 Depth=1
	v_and_b32_e32 v42, 0x7f, v8
	v_cmp_ne_u32_e64 s[4:5], s42, v42
	v_mov_b32_e32 v40, 0x7f800001
	s_and_saveexec_b64 s[36:37], s[4:5]
	s_cbranch_execz .LBB323_163
; %bb.162:                              ;   in Loop: Header=BB323_9 Depth=1
	v_and_b32_e32 v40, 7, v8
	v_lshrrev_b32_e32 v44, 3, v42
	v_cmp_gt_u32_e64 s[4:5], 8, v42
	v_ffbh_u32_e32 v42, v40
	v_min_u32_e32 v45, 32, v42
	v_subrev_u32_e32 v42, 28, v45
	v_lshlrev_b64 v[42:43], v42, v[8:9]
	v_sub_u32_e32 v8, 29, v45
	v_and_b32_e32 v42, 7, v42
	v_cndmask_b32_e64 v8, v44, v8, s[4:5]
	v_cndmask_b32_e64 v40, v40, v42, s[4:5]
	v_lshlrev_b32_e32 v42, 16, v7
	v_lshlrev_b32_e32 v40, 20, v40
	v_and_b32_e32 v42, 0x80000000, v42
	v_lshl_add_u32 v8, v8, 23, v0
	v_or3_b32 v40, v42, v8, v40
.LBB323_163:                            ;   in Loop: Header=BB323_9 Depth=1
	s_or_b64 exec, exec, s[36:37]
.LBB323_164:                            ;   in Loop: Header=BB323_9 Depth=1
	s_or_b64 exec, exec, s[34:35]
.LBB323_165:                            ;   in Loop: Header=BB323_9 Depth=1
	s_or_b64 exec, exec, s[16:17]
	v_lshrrev_b32_e32 v8, 16, v7
	v_cmp_ne_u16_sdwa s[4:5], v8, v12 src0_sel:BYTE_0 src1_sel:DWORD
	s_and_saveexec_b64 s[16:17], s[4:5]
	s_cbranch_execz .LBB323_171
; %bb.166:                              ;   in Loop: Header=BB323_9 Depth=1
	v_cmp_ne_u16_sdwa s[4:5], v8, s41 src0_sel:BYTE_0 src1_sel:DWORD
	v_bfrev_b32_e32 v41, 1
	s_and_saveexec_b64 s[34:35], s[4:5]
	s_cbranch_execz .LBB323_170
; %bb.167:                              ;   in Loop: Header=BB323_9 Depth=1
	v_bfe_u32 v42, v7, 16, 7
	v_cmp_ne_u32_e64 s[4:5], s42, v42
	v_mov_b32_e32 v41, 0x7f800001
	s_and_saveexec_b64 s[36:37], s[4:5]
	s_cbranch_execz .LBB323_169
; %bb.168:                              ;   in Loop: Header=BB323_9 Depth=1
	v_and_b32_e32 v43, 7, v8
	v_ffbh_u32_e32 v41, v43
	v_min_u32_e32 v45, 32, v41
	v_subrev_u32_e32 v41, 28, v45
	v_lshrrev_b32_e32 v44, 3, v42
	v_cmp_gt_u32_e64 s[4:5], 8, v42
	v_lshlrev_b64 v[41:42], v41, v[8:9]
	v_sub_u32_e32 v42, 29, v45
	v_and_b32_e32 v41, 7, v41
	v_cndmask_b32_e64 v42, v44, v42, s[4:5]
	v_cndmask_b32_e64 v41, v43, v41, s[4:5]
	v_lshlrev_b32_e32 v8, 24, v8
	v_lshlrev_b32_e32 v41, 20, v41
	v_and_b32_e32 v8, 0x80000000, v8
	v_lshl_add_u32 v42, v42, 23, v0
	v_or3_b32 v41, v8, v42, v41
.LBB323_169:                            ;   in Loop: Header=BB323_9 Depth=1
	s_or_b64 exec, exec, s[36:37]
.LBB323_170:                            ;   in Loop: Header=BB323_9 Depth=1
	s_or_b64 exec, exec, s[34:35]
.LBB323_171:                            ;   in Loop: Header=BB323_9 Depth=1
	s_or_b64 exec, exec, s[16:17]
	v_cmp_lt_u32_e64 s[4:5], s43, v7
	v_mov_b32_e32 v43, 0
	v_mov_b32_e32 v42, 0
	s_and_saveexec_b64 s[16:17], s[4:5]
	s_cbranch_execz .LBB323_177
; %bb.172:                              ;   in Loop: Header=BB323_9 Depth=1
	v_lshrrev_b32_e32 v8, 24, v7
	v_cmp_ne_u32_e64 s[4:5], s41, v8
	v_bfrev_b32_e32 v42, 1
	s_and_saveexec_b64 s[34:35], s[4:5]
	s_cbranch_execz .LBB323_176
; %bb.173:                              ;   in Loop: Header=BB323_9 Depth=1
	v_bfe_u32 v7, v7, 24, 7
	v_cmp_ne_u32_e64 s[4:5], s42, v7
	v_mov_b32_e32 v42, 0x7f800001
	s_and_saveexec_b64 s[36:37], s[4:5]
	s_cbranch_execz .LBB323_175
; %bb.174:                              ;   in Loop: Header=BB323_9 Depth=1
	v_and_b32_e32 v42, 7, v8
	v_lshrrev_b32_e32 v46, 3, v7
	v_cmp_gt_u32_e64 s[4:5], 8, v7
	v_ffbh_u32_e32 v7, v42
	v_min_u32_e32 v7, 32, v7
	v_subrev_u32_e32 v44, 28, v7
	v_lshlrev_b64 v[44:45], v44, v[8:9]
	v_sub_u32_e32 v7, 29, v7
	v_and_b32_e32 v44, 7, v44
	v_cndmask_b32_e64 v7, v46, v7, s[4:5]
	v_cndmask_b32_e64 v42, v42, v44, s[4:5]
	v_lshlrev_b32_e32 v8, 24, v8
	v_lshlrev_b32_e32 v42, 20, v42
	v_and_b32_e32 v8, 0x80000000, v8
	v_lshl_add_u32 v7, v7, 23, v0
	v_or3_b32 v42, v8, v7, v42
.LBB323_175:                            ;   in Loop: Header=BB323_9 Depth=1
	s_or_b64 exec, exec, s[36:37]
.LBB323_176:                            ;   in Loop: Header=BB323_9 Depth=1
	s_or_b64 exec, exec, s[34:35]
.LBB323_177:                            ;   in Loop: Header=BB323_9 Depth=1
	s_or_b64 exec, exec, s[16:17]
	global_load_dword v7, v[5:6], off offset:1544
	s_waitcnt vmcnt(0)
	v_cmp_ne_u16_sdwa s[4:5], v7, v12 src0_sel:BYTE_0 src1_sel:DWORD
	s_and_saveexec_b64 s[16:17], s[4:5]
	s_cbranch_execz .LBB323_183
; %bb.178:                              ;   in Loop: Header=BB323_9 Depth=1
	v_cmp_ne_u16_sdwa s[4:5], v7, s41 src0_sel:BYTE_0 src1_sel:DWORD
	v_bfrev_b32_e32 v43, 1
	s_and_saveexec_b64 s[34:35], s[4:5]
	s_cbranch_execz .LBB323_182
; %bb.179:                              ;   in Loop: Header=BB323_9 Depth=1
	v_and_b32_e32 v8, 0x7f, v7
	v_cmp_ne_u32_e64 s[4:5], s42, v8
	v_mov_b32_e32 v43, 0x7f800001
	s_and_saveexec_b64 s[36:37], s[4:5]
	s_cbranch_execz .LBB323_181
; %bb.180:                              ;   in Loop: Header=BB323_9 Depth=1
	v_and_b32_e32 v45, 7, v7
	v_lshrrev_b32_e32 v46, 3, v8
	v_cmp_gt_u32_e64 s[4:5], 8, v8
	v_ffbh_u32_e32 v8, v45
	v_min_u32_e32 v8, 32, v8
	v_subrev_u32_e32 v43, 28, v8
	v_lshlrev_b64 v[43:44], v43, v[7:8]
	v_sub_u32_e32 v8, 29, v8
	v_and_b32_e32 v43, 7, v43
	v_cndmask_b32_e64 v8, v46, v8, s[4:5]
	v_cndmask_b32_e64 v43, v45, v43, s[4:5]
	v_lshlrev_b32_e32 v44, 24, v7
	v_lshlrev_b32_e32 v43, 20, v43
	v_and_b32_e32 v44, 0x80000000, v44
	v_lshl_add_u32 v8, v8, 23, v0
	v_or3_b32 v43, v44, v8, v43
.LBB323_181:                            ;   in Loop: Header=BB323_9 Depth=1
	s_or_b64 exec, exec, s[36:37]
.LBB323_182:                            ;   in Loop: Header=BB323_9 Depth=1
	s_or_b64 exec, exec, s[34:35]
.LBB323_183:                            ;   in Loop: Header=BB323_9 Depth=1
	s_or_b64 exec, exec, s[16:17]
	v_lshrrev_b16_e32 v8, 8, v7
	v_cmp_ne_u16_e64 s[4:5], 0, v8
	v_mov_b32_e32 v45, 0
	v_mov_b32_e32 v44, 0
	s_and_saveexec_b64 s[16:17], s[4:5]
	s_cbranch_execz .LBB323_189
; %bb.184:                              ;   in Loop: Header=BB323_9 Depth=1
	v_cmp_ne_u16_e64 s[4:5], s41, v8
	v_bfrev_b32_e32 v44, 1
	s_and_saveexec_b64 s[34:35], s[4:5]
	s_cbranch_execz .LBB323_188
; %bb.185:                              ;   in Loop: Header=BB323_9 Depth=1
	v_and_b32_e32 v46, 0x7f, v8
	v_cmp_ne_u32_e64 s[4:5], s42, v46
	v_mov_b32_e32 v44, 0x7f800001
	s_and_saveexec_b64 s[36:37], s[4:5]
	s_cbranch_execz .LBB323_187
; %bb.186:                              ;   in Loop: Header=BB323_9 Depth=1
	v_and_b32_e32 v44, 7, v8
	v_lshrrev_b32_e32 v48, 3, v46
	v_cmp_gt_u32_e64 s[4:5], 8, v46
	v_ffbh_u32_e32 v46, v44
	v_min_u32_e32 v49, 32, v46
	v_subrev_u32_e32 v46, 28, v49
	v_lshlrev_b64 v[46:47], v46, v[8:9]
	v_sub_u32_e32 v8, 29, v49
	v_and_b32_e32 v46, 7, v46
	v_cndmask_b32_e64 v8, v48, v8, s[4:5]
	v_cndmask_b32_e64 v44, v44, v46, s[4:5]
	v_lshlrev_b32_e32 v46, 16, v7
	v_lshlrev_b32_e32 v44, 20, v44
	v_and_b32_e32 v46, 0x80000000, v46
	v_lshl_add_u32 v8, v8, 23, v0
	v_or3_b32 v44, v46, v8, v44
.LBB323_187:                            ;   in Loop: Header=BB323_9 Depth=1
	s_or_b64 exec, exec, s[36:37]
.LBB323_188:                            ;   in Loop: Header=BB323_9 Depth=1
	s_or_b64 exec, exec, s[34:35]
.LBB323_189:                            ;   in Loop: Header=BB323_9 Depth=1
	s_or_b64 exec, exec, s[16:17]
	v_lshrrev_b32_e32 v8, 16, v7
	v_cmp_ne_u16_sdwa s[4:5], v8, v12 src0_sel:BYTE_0 src1_sel:DWORD
	s_and_saveexec_b64 s[16:17], s[4:5]
	s_cbranch_execz .LBB323_195
; %bb.190:                              ;   in Loop: Header=BB323_9 Depth=1
	v_cmp_ne_u16_sdwa s[4:5], v8, s41 src0_sel:BYTE_0 src1_sel:DWORD
	v_bfrev_b32_e32 v45, 1
	s_and_saveexec_b64 s[34:35], s[4:5]
	s_cbranch_execz .LBB323_194
; %bb.191:                              ;   in Loop: Header=BB323_9 Depth=1
	v_bfe_u32 v46, v7, 16, 7
	v_cmp_ne_u32_e64 s[4:5], s42, v46
	v_mov_b32_e32 v45, 0x7f800001
	s_and_saveexec_b64 s[36:37], s[4:5]
	s_cbranch_execz .LBB323_193
; %bb.192:                              ;   in Loop: Header=BB323_9 Depth=1
	v_and_b32_e32 v47, 7, v8
	v_ffbh_u32_e32 v45, v47
	v_min_u32_e32 v49, 32, v45
	v_subrev_u32_e32 v45, 28, v49
	v_lshrrev_b32_e32 v48, 3, v46
	v_cmp_gt_u32_e64 s[4:5], 8, v46
	v_lshlrev_b64 v[45:46], v45, v[8:9]
	v_sub_u32_e32 v46, 29, v49
	v_and_b32_e32 v45, 7, v45
	v_cndmask_b32_e64 v46, v48, v46, s[4:5]
	v_cndmask_b32_e64 v45, v47, v45, s[4:5]
	v_lshlrev_b32_e32 v8, 24, v8
	v_lshlrev_b32_e32 v45, 20, v45
	v_and_b32_e32 v8, 0x80000000, v8
	v_lshl_add_u32 v46, v46, 23, v0
	v_or3_b32 v45, v8, v46, v45
.LBB323_193:                            ;   in Loop: Header=BB323_9 Depth=1
	s_or_b64 exec, exec, s[36:37]
.LBB323_194:                            ;   in Loop: Header=BB323_9 Depth=1
	s_or_b64 exec, exec, s[34:35]
.LBB323_195:                            ;   in Loop: Header=BB323_9 Depth=1
	s_or_b64 exec, exec, s[16:17]
	v_cmp_lt_u32_e64 s[4:5], s43, v7
	v_mov_b32_e32 v47, 0
	v_mov_b32_e32 v46, 0
	s_and_saveexec_b64 s[16:17], s[4:5]
	s_cbranch_execz .LBB323_201
; %bb.196:                              ;   in Loop: Header=BB323_9 Depth=1
	v_lshrrev_b32_e32 v8, 24, v7
	v_cmp_ne_u32_e64 s[4:5], s41, v8
	v_bfrev_b32_e32 v46, 1
	s_and_saveexec_b64 s[34:35], s[4:5]
	s_cbranch_execz .LBB323_200
; %bb.197:                              ;   in Loop: Header=BB323_9 Depth=1
	v_bfe_u32 v7, v7, 24, 7
	v_cmp_ne_u32_e64 s[4:5], s42, v7
	v_mov_b32_e32 v46, 0x7f800001
	s_and_saveexec_b64 s[36:37], s[4:5]
	s_cbranch_execz .LBB323_199
; %bb.198:                              ;   in Loop: Header=BB323_9 Depth=1
	v_and_b32_e32 v46, 7, v8
	v_lshrrev_b32_e32 v50, 3, v7
	v_cmp_gt_u32_e64 s[4:5], 8, v7
	v_ffbh_u32_e32 v7, v46
	v_min_u32_e32 v7, 32, v7
	v_subrev_u32_e32 v48, 28, v7
	v_lshlrev_b64 v[48:49], v48, v[8:9]
	v_sub_u32_e32 v7, 29, v7
	v_and_b32_e32 v48, 7, v48
	v_cndmask_b32_e64 v7, v50, v7, s[4:5]
	v_cndmask_b32_e64 v46, v46, v48, s[4:5]
	v_lshlrev_b32_e32 v8, 24, v8
	v_lshlrev_b32_e32 v46, 20, v46
	v_and_b32_e32 v8, 0x80000000, v8
	v_lshl_add_u32 v7, v7, 23, v0
	v_or3_b32 v46, v8, v7, v46
.LBB323_199:                            ;   in Loop: Header=BB323_9 Depth=1
	s_or_b64 exec, exec, s[36:37]
.LBB323_200:                            ;   in Loop: Header=BB323_9 Depth=1
	s_or_b64 exec, exec, s[34:35]
.LBB323_201:                            ;   in Loop: Header=BB323_9 Depth=1
	s_or_b64 exec, exec, s[16:17]
	global_load_dword v7, v[5:6], off offset:2048
	s_waitcnt vmcnt(0)
	v_cmp_ne_u16_sdwa s[4:5], v7, v12 src0_sel:BYTE_0 src1_sel:DWORD
	s_and_saveexec_b64 s[16:17], s[4:5]
	s_cbranch_execz .LBB323_207
; %bb.202:                              ;   in Loop: Header=BB323_9 Depth=1
	v_cmp_ne_u16_sdwa s[4:5], v7, s41 src0_sel:BYTE_0 src1_sel:DWORD
	v_bfrev_b32_e32 v47, 1
	s_and_saveexec_b64 s[34:35], s[4:5]
	s_cbranch_execz .LBB323_206
; %bb.203:                              ;   in Loop: Header=BB323_9 Depth=1
	v_and_b32_e32 v8, 0x7f, v7
	v_cmp_ne_u32_e64 s[4:5], s42, v8
	v_mov_b32_e32 v47, 0x7f800001
	s_and_saveexec_b64 s[36:37], s[4:5]
	s_cbranch_execz .LBB323_205
; %bb.204:                              ;   in Loop: Header=BB323_9 Depth=1
	v_and_b32_e32 v49, 7, v7
	v_lshrrev_b32_e32 v50, 3, v8
	v_cmp_gt_u32_e64 s[4:5], 8, v8
	v_ffbh_u32_e32 v8, v49
	v_min_u32_e32 v8, 32, v8
	v_subrev_u32_e32 v47, 28, v8
	v_lshlrev_b64 v[47:48], v47, v[7:8]
	v_sub_u32_e32 v8, 29, v8
	v_and_b32_e32 v47, 7, v47
	v_cndmask_b32_e64 v8, v50, v8, s[4:5]
	v_cndmask_b32_e64 v47, v49, v47, s[4:5]
	v_lshlrev_b32_e32 v48, 24, v7
	v_lshlrev_b32_e32 v47, 20, v47
	v_and_b32_e32 v48, 0x80000000, v48
	v_lshl_add_u32 v8, v8, 23, v0
	v_or3_b32 v47, v48, v8, v47
.LBB323_205:                            ;   in Loop: Header=BB323_9 Depth=1
	s_or_b64 exec, exec, s[36:37]
.LBB323_206:                            ;   in Loop: Header=BB323_9 Depth=1
	s_or_b64 exec, exec, s[34:35]
.LBB323_207:                            ;   in Loop: Header=BB323_9 Depth=1
	s_or_b64 exec, exec, s[16:17]
	v_lshrrev_b16_e32 v8, 8, v7
	v_cmp_ne_u16_e64 s[4:5], 0, v8
	v_mov_b32_e32 v49, 0
	v_mov_b32_e32 v48, 0
	s_and_saveexec_b64 s[16:17], s[4:5]
	s_cbranch_execz .LBB323_213
; %bb.208:                              ;   in Loop: Header=BB323_9 Depth=1
	v_cmp_ne_u16_e64 s[4:5], s41, v8
	v_bfrev_b32_e32 v48, 1
	s_and_saveexec_b64 s[34:35], s[4:5]
	s_cbranch_execz .LBB323_212
; %bb.209:                              ;   in Loop: Header=BB323_9 Depth=1
	v_and_b32_e32 v50, 0x7f, v8
	v_cmp_ne_u32_e64 s[4:5], s42, v50
	v_mov_b32_e32 v48, 0x7f800001
	s_and_saveexec_b64 s[36:37], s[4:5]
	s_cbranch_execz .LBB323_211
; %bb.210:                              ;   in Loop: Header=BB323_9 Depth=1
	v_and_b32_e32 v48, 7, v8
	v_lshrrev_b32_e32 v52, 3, v50
	v_cmp_gt_u32_e64 s[4:5], 8, v50
	v_ffbh_u32_e32 v50, v48
	v_min_u32_e32 v53, 32, v50
	v_subrev_u32_e32 v50, 28, v53
	v_lshlrev_b64 v[50:51], v50, v[8:9]
	v_sub_u32_e32 v8, 29, v53
	v_and_b32_e32 v50, 7, v50
	v_cndmask_b32_e64 v8, v52, v8, s[4:5]
	v_cndmask_b32_e64 v48, v48, v50, s[4:5]
	v_lshlrev_b32_e32 v50, 16, v7
	v_lshlrev_b32_e32 v48, 20, v48
	v_and_b32_e32 v50, 0x80000000, v50
	v_lshl_add_u32 v8, v8, 23, v0
	v_or3_b32 v48, v50, v8, v48
.LBB323_211:                            ;   in Loop: Header=BB323_9 Depth=1
	s_or_b64 exec, exec, s[36:37]
.LBB323_212:                            ;   in Loop: Header=BB323_9 Depth=1
	s_or_b64 exec, exec, s[34:35]
.LBB323_213:                            ;   in Loop: Header=BB323_9 Depth=1
	s_or_b64 exec, exec, s[16:17]
	v_lshrrev_b32_e32 v8, 16, v7
	v_cmp_ne_u16_sdwa s[4:5], v8, v12 src0_sel:BYTE_0 src1_sel:DWORD
	s_and_saveexec_b64 s[16:17], s[4:5]
	s_cbranch_execz .LBB323_219
; %bb.214:                              ;   in Loop: Header=BB323_9 Depth=1
	v_cmp_ne_u16_sdwa s[4:5], v8, s41 src0_sel:BYTE_0 src1_sel:DWORD
	v_bfrev_b32_e32 v49, 1
	s_and_saveexec_b64 s[34:35], s[4:5]
	s_cbranch_execz .LBB323_218
; %bb.215:                              ;   in Loop: Header=BB323_9 Depth=1
	v_bfe_u32 v50, v7, 16, 7
	v_cmp_ne_u32_e64 s[4:5], s42, v50
	v_mov_b32_e32 v49, 0x7f800001
	s_and_saveexec_b64 s[36:37], s[4:5]
	s_cbranch_execz .LBB323_217
; %bb.216:                              ;   in Loop: Header=BB323_9 Depth=1
	v_and_b32_e32 v51, 7, v8
	v_ffbh_u32_e32 v49, v51
	v_min_u32_e32 v53, 32, v49
	v_subrev_u32_e32 v49, 28, v53
	v_lshrrev_b32_e32 v52, 3, v50
	v_cmp_gt_u32_e64 s[4:5], 8, v50
	v_lshlrev_b64 v[49:50], v49, v[8:9]
	v_sub_u32_e32 v50, 29, v53
	v_and_b32_e32 v49, 7, v49
	v_cndmask_b32_e64 v50, v52, v50, s[4:5]
	v_cndmask_b32_e64 v49, v51, v49, s[4:5]
	v_lshlrev_b32_e32 v8, 24, v8
	v_lshlrev_b32_e32 v49, 20, v49
	v_and_b32_e32 v8, 0x80000000, v8
	v_lshl_add_u32 v50, v50, 23, v0
	v_or3_b32 v49, v8, v50, v49
.LBB323_217:                            ;   in Loop: Header=BB323_9 Depth=1
	s_or_b64 exec, exec, s[36:37]
.LBB323_218:                            ;   in Loop: Header=BB323_9 Depth=1
	s_or_b64 exec, exec, s[34:35]
.LBB323_219:                            ;   in Loop: Header=BB323_9 Depth=1
	s_or_b64 exec, exec, s[16:17]
	v_cmp_lt_u32_e64 s[4:5], s43, v7
	v_mov_b32_e32 v51, 0
	v_mov_b32_e32 v50, 0
	s_and_saveexec_b64 s[16:17], s[4:5]
	s_cbranch_execz .LBB323_225
; %bb.220:                              ;   in Loop: Header=BB323_9 Depth=1
	v_lshrrev_b32_e32 v8, 24, v7
	v_cmp_ne_u32_e64 s[4:5], s41, v8
	v_bfrev_b32_e32 v50, 1
	s_and_saveexec_b64 s[34:35], s[4:5]
	s_cbranch_execz .LBB323_224
; %bb.221:                              ;   in Loop: Header=BB323_9 Depth=1
	v_bfe_u32 v7, v7, 24, 7
	v_cmp_ne_u32_e64 s[4:5], s42, v7
	v_mov_b32_e32 v50, 0x7f800001
	s_and_saveexec_b64 s[36:37], s[4:5]
	s_cbranch_execz .LBB323_223
; %bb.222:                              ;   in Loop: Header=BB323_9 Depth=1
	v_and_b32_e32 v50, 7, v8
	v_lshrrev_b32_e32 v54, 3, v7
	v_cmp_gt_u32_e64 s[4:5], 8, v7
	v_ffbh_u32_e32 v7, v50
	v_min_u32_e32 v7, 32, v7
	v_subrev_u32_e32 v52, 28, v7
	v_lshlrev_b64 v[52:53], v52, v[8:9]
	v_sub_u32_e32 v7, 29, v7
	v_and_b32_e32 v52, 7, v52
	v_cndmask_b32_e64 v7, v54, v7, s[4:5]
	v_cndmask_b32_e64 v50, v50, v52, s[4:5]
	v_lshlrev_b32_e32 v8, 24, v8
	v_lshlrev_b32_e32 v50, 20, v50
	v_and_b32_e32 v8, 0x80000000, v8
	v_lshl_add_u32 v7, v7, 23, v0
	v_or3_b32 v50, v8, v7, v50
.LBB323_223:                            ;   in Loop: Header=BB323_9 Depth=1
	s_or_b64 exec, exec, s[36:37]
.LBB323_224:                            ;   in Loop: Header=BB323_9 Depth=1
	s_or_b64 exec, exec, s[34:35]
.LBB323_225:                            ;   in Loop: Header=BB323_9 Depth=1
	s_or_b64 exec, exec, s[16:17]
	global_load_dword v7, v[5:6], off offset:2056
	s_waitcnt vmcnt(0)
	v_cmp_ne_u16_sdwa s[4:5], v7, v12 src0_sel:BYTE_0 src1_sel:DWORD
	s_and_saveexec_b64 s[16:17], s[4:5]
	s_cbranch_execz .LBB323_231
; %bb.226:                              ;   in Loop: Header=BB323_9 Depth=1
	v_cmp_ne_u16_sdwa s[4:5], v7, s41 src0_sel:BYTE_0 src1_sel:DWORD
	v_bfrev_b32_e32 v51, 1
	s_and_saveexec_b64 s[34:35], s[4:5]
	s_cbranch_execz .LBB323_230
; %bb.227:                              ;   in Loop: Header=BB323_9 Depth=1
	v_and_b32_e32 v8, 0x7f, v7
	v_cmp_ne_u32_e64 s[4:5], s42, v8
	v_mov_b32_e32 v51, 0x7f800001
	s_and_saveexec_b64 s[36:37], s[4:5]
	s_cbranch_execz .LBB323_229
; %bb.228:                              ;   in Loop: Header=BB323_9 Depth=1
	v_and_b32_e32 v53, 7, v7
	v_lshrrev_b32_e32 v54, 3, v8
	v_cmp_gt_u32_e64 s[4:5], 8, v8
	v_ffbh_u32_e32 v8, v53
	v_min_u32_e32 v8, 32, v8
	v_subrev_u32_e32 v51, 28, v8
	v_lshlrev_b64 v[51:52], v51, v[7:8]
	v_sub_u32_e32 v8, 29, v8
	v_and_b32_e32 v51, 7, v51
	v_cndmask_b32_e64 v8, v54, v8, s[4:5]
	v_cndmask_b32_e64 v51, v53, v51, s[4:5]
	v_lshlrev_b32_e32 v52, 24, v7
	v_lshlrev_b32_e32 v51, 20, v51
	v_and_b32_e32 v52, 0x80000000, v52
	v_lshl_add_u32 v8, v8, 23, v0
	v_or3_b32 v51, v52, v8, v51
.LBB323_229:                            ;   in Loop: Header=BB323_9 Depth=1
	s_or_b64 exec, exec, s[36:37]
.LBB323_230:                            ;   in Loop: Header=BB323_9 Depth=1
	s_or_b64 exec, exec, s[34:35]
.LBB323_231:                            ;   in Loop: Header=BB323_9 Depth=1
	s_or_b64 exec, exec, s[16:17]
	v_lshrrev_b16_e32 v8, 8, v7
	v_cmp_ne_u16_e64 s[4:5], 0, v8
	v_mov_b32_e32 v53, 0
	v_mov_b32_e32 v52, 0
	s_and_saveexec_b64 s[16:17], s[4:5]
	s_cbranch_execz .LBB323_237
; %bb.232:                              ;   in Loop: Header=BB323_9 Depth=1
	v_cmp_ne_u16_e64 s[4:5], s41, v8
	v_bfrev_b32_e32 v52, 1
	s_and_saveexec_b64 s[34:35], s[4:5]
	s_cbranch_execz .LBB323_236
; %bb.233:                              ;   in Loop: Header=BB323_9 Depth=1
	v_and_b32_e32 v54, 0x7f, v8
	v_cmp_ne_u32_e64 s[4:5], s42, v54
	v_mov_b32_e32 v52, 0x7f800001
	s_and_saveexec_b64 s[36:37], s[4:5]
	s_cbranch_execz .LBB323_235
; %bb.234:                              ;   in Loop: Header=BB323_9 Depth=1
	v_and_b32_e32 v52, 7, v8
	v_lshrrev_b32_e32 v56, 3, v54
	v_cmp_gt_u32_e64 s[4:5], 8, v54
	v_ffbh_u32_e32 v54, v52
	v_min_u32_e32 v57, 32, v54
	v_subrev_u32_e32 v54, 28, v57
	v_lshlrev_b64 v[54:55], v54, v[8:9]
	v_sub_u32_e32 v8, 29, v57
	v_and_b32_e32 v54, 7, v54
	v_cndmask_b32_e64 v8, v56, v8, s[4:5]
	v_cndmask_b32_e64 v52, v52, v54, s[4:5]
	v_lshlrev_b32_e32 v54, 16, v7
	v_lshlrev_b32_e32 v52, 20, v52
	v_and_b32_e32 v54, 0x80000000, v54
	v_lshl_add_u32 v8, v8, 23, v0
	v_or3_b32 v52, v54, v8, v52
.LBB323_235:                            ;   in Loop: Header=BB323_9 Depth=1
	s_or_b64 exec, exec, s[36:37]
.LBB323_236:                            ;   in Loop: Header=BB323_9 Depth=1
	s_or_b64 exec, exec, s[34:35]
.LBB323_237:                            ;   in Loop: Header=BB323_9 Depth=1
	s_or_b64 exec, exec, s[16:17]
	v_lshrrev_b32_e32 v8, 16, v7
	v_cmp_ne_u16_sdwa s[4:5], v8, v12 src0_sel:BYTE_0 src1_sel:DWORD
	s_and_saveexec_b64 s[16:17], s[4:5]
	s_cbranch_execz .LBB323_243
; %bb.238:                              ;   in Loop: Header=BB323_9 Depth=1
	v_cmp_ne_u16_sdwa s[4:5], v8, s41 src0_sel:BYTE_0 src1_sel:DWORD
	v_bfrev_b32_e32 v53, 1
	s_and_saveexec_b64 s[34:35], s[4:5]
	s_cbranch_execz .LBB323_242
; %bb.239:                              ;   in Loop: Header=BB323_9 Depth=1
	v_bfe_u32 v54, v7, 16, 7
	v_cmp_ne_u32_e64 s[4:5], s42, v54
	v_mov_b32_e32 v53, 0x7f800001
	s_and_saveexec_b64 s[36:37], s[4:5]
	s_cbranch_execz .LBB323_241
; %bb.240:                              ;   in Loop: Header=BB323_9 Depth=1
	v_and_b32_e32 v55, 7, v8
	v_ffbh_u32_e32 v53, v55
	v_min_u32_e32 v57, 32, v53
	v_subrev_u32_e32 v53, 28, v57
	v_lshrrev_b32_e32 v56, 3, v54
	v_cmp_gt_u32_e64 s[4:5], 8, v54
	v_lshlrev_b64 v[53:54], v53, v[8:9]
	v_sub_u32_e32 v54, 29, v57
	v_and_b32_e32 v53, 7, v53
	v_cndmask_b32_e64 v54, v56, v54, s[4:5]
	v_cndmask_b32_e64 v53, v55, v53, s[4:5]
	v_lshlrev_b32_e32 v8, 24, v8
	v_lshlrev_b32_e32 v53, 20, v53
	v_and_b32_e32 v8, 0x80000000, v8
	v_lshl_add_u32 v54, v54, 23, v0
	v_or3_b32 v53, v8, v54, v53
.LBB323_241:                            ;   in Loop: Header=BB323_9 Depth=1
	s_or_b64 exec, exec, s[36:37]
.LBB323_242:                            ;   in Loop: Header=BB323_9 Depth=1
	s_or_b64 exec, exec, s[34:35]
.LBB323_243:                            ;   in Loop: Header=BB323_9 Depth=1
	s_or_b64 exec, exec, s[16:17]
	v_cmp_lt_u32_e64 s[4:5], s43, v7
	v_mov_b32_e32 v55, 0
	v_mov_b32_e32 v54, 0
	s_and_saveexec_b64 s[16:17], s[4:5]
	s_cbranch_execz .LBB323_249
; %bb.244:                              ;   in Loop: Header=BB323_9 Depth=1
	v_lshrrev_b32_e32 v8, 24, v7
	v_cmp_ne_u32_e64 s[4:5], s41, v8
	v_bfrev_b32_e32 v54, 1
	s_and_saveexec_b64 s[34:35], s[4:5]
	s_cbranch_execz .LBB323_248
; %bb.245:                              ;   in Loop: Header=BB323_9 Depth=1
	v_bfe_u32 v7, v7, 24, 7
	v_cmp_ne_u32_e64 s[4:5], s42, v7
	v_mov_b32_e32 v54, 0x7f800001
	s_and_saveexec_b64 s[36:37], s[4:5]
	s_cbranch_execz .LBB323_247
; %bb.246:                              ;   in Loop: Header=BB323_9 Depth=1
	v_and_b32_e32 v54, 7, v8
	v_lshrrev_b32_e32 v58, 3, v7
	v_cmp_gt_u32_e64 s[4:5], 8, v7
	v_ffbh_u32_e32 v7, v54
	v_min_u32_e32 v7, 32, v7
	v_subrev_u32_e32 v56, 28, v7
	v_lshlrev_b64 v[56:57], v56, v[8:9]
	v_sub_u32_e32 v7, 29, v7
	v_and_b32_e32 v56, 7, v56
	v_cndmask_b32_e64 v7, v58, v7, s[4:5]
	v_cndmask_b32_e64 v54, v54, v56, s[4:5]
	v_lshlrev_b32_e32 v8, 24, v8
	v_lshlrev_b32_e32 v54, 20, v54
	v_and_b32_e32 v8, 0x80000000, v8
	v_lshl_add_u32 v7, v7, 23, v0
	v_or3_b32 v54, v8, v7, v54
.LBB323_247:                            ;   in Loop: Header=BB323_9 Depth=1
	s_or_b64 exec, exec, s[36:37]
.LBB323_248:                            ;   in Loop: Header=BB323_9 Depth=1
	s_or_b64 exec, exec, s[34:35]
.LBB323_249:                            ;   in Loop: Header=BB323_9 Depth=1
	s_or_b64 exec, exec, s[16:17]
	global_load_dword v7, v[5:6], off offset:2560
	s_waitcnt vmcnt(0)
	v_cmp_ne_u16_sdwa s[4:5], v7, v12 src0_sel:BYTE_0 src1_sel:DWORD
	s_and_saveexec_b64 s[16:17], s[4:5]
	s_cbranch_execz .LBB323_255
; %bb.250:                              ;   in Loop: Header=BB323_9 Depth=1
	v_cmp_ne_u16_sdwa s[4:5], v7, s41 src0_sel:BYTE_0 src1_sel:DWORD
	v_bfrev_b32_e32 v55, 1
	s_and_saveexec_b64 s[34:35], s[4:5]
	s_cbranch_execz .LBB323_254
; %bb.251:                              ;   in Loop: Header=BB323_9 Depth=1
	v_and_b32_e32 v8, 0x7f, v7
	v_cmp_ne_u32_e64 s[4:5], s42, v8
	v_mov_b32_e32 v55, 0x7f800001
	s_and_saveexec_b64 s[36:37], s[4:5]
	s_cbranch_execz .LBB323_253
; %bb.252:                              ;   in Loop: Header=BB323_9 Depth=1
	v_and_b32_e32 v57, 7, v7
	v_lshrrev_b32_e32 v58, 3, v8
	v_cmp_gt_u32_e64 s[4:5], 8, v8
	v_ffbh_u32_e32 v8, v57
	v_min_u32_e32 v8, 32, v8
	v_subrev_u32_e32 v55, 28, v8
	v_lshlrev_b64 v[55:56], v55, v[7:8]
	v_sub_u32_e32 v8, 29, v8
	v_and_b32_e32 v55, 7, v55
	v_cndmask_b32_e64 v8, v58, v8, s[4:5]
	v_cndmask_b32_e64 v55, v57, v55, s[4:5]
	v_lshlrev_b32_e32 v56, 24, v7
	v_lshlrev_b32_e32 v55, 20, v55
	v_and_b32_e32 v56, 0x80000000, v56
	v_lshl_add_u32 v8, v8, 23, v0
	v_or3_b32 v55, v56, v8, v55
.LBB323_253:                            ;   in Loop: Header=BB323_9 Depth=1
	s_or_b64 exec, exec, s[36:37]
.LBB323_254:                            ;   in Loop: Header=BB323_9 Depth=1
	s_or_b64 exec, exec, s[34:35]
.LBB323_255:                            ;   in Loop: Header=BB323_9 Depth=1
	s_or_b64 exec, exec, s[16:17]
	v_lshrrev_b16_e32 v8, 8, v7
	v_cmp_ne_u16_e64 s[4:5], 0, v8
	v_mov_b32_e32 v56, 0
	v_mov_b32_e32 v57, 0
	s_and_saveexec_b64 s[16:17], s[4:5]
	s_cbranch_execz .LBB323_261
; %bb.256:                              ;   in Loop: Header=BB323_9 Depth=1
	v_cmp_ne_u16_e64 s[4:5], s41, v8
	v_bfrev_b32_e32 v57, 1
	s_and_saveexec_b64 s[34:35], s[4:5]
	s_cbranch_execz .LBB323_260
; %bb.257:                              ;   in Loop: Header=BB323_9 Depth=1
	v_and_b32_e32 v58, 0x7f, v8
	v_cmp_ne_u32_e64 s[4:5], s42, v58
	v_mov_b32_e32 v57, 0x7f800001
	s_and_saveexec_b64 s[36:37], s[4:5]
	s_cbranch_execz .LBB323_259
; %bb.258:                              ;   in Loop: Header=BB323_9 Depth=1
	v_and_b32_e32 v59, 7, v8
	v_ffbh_u32_e32 v57, v59
	v_min_u32_e32 v61, 32, v57
	v_subrev_u32_e32 v57, 28, v61
	v_lshrrev_b32_e32 v60, 3, v58
	v_cmp_gt_u32_e64 s[4:5], 8, v58
	v_lshlrev_b64 v[57:58], v57, v[8:9]
	v_sub_u32_e32 v8, 29, v61
	v_and_b32_e32 v57, 7, v57
	v_cndmask_b32_e64 v8, v60, v8, s[4:5]
	v_cndmask_b32_e64 v57, v59, v57, s[4:5]
	v_lshlrev_b32_e32 v58, 16, v7
	v_lshlrev_b32_e32 v57, 20, v57
	v_and_b32_e32 v58, 0x80000000, v58
	v_lshl_add_u32 v8, v8, 23, v0
	v_or3_b32 v57, v58, v8, v57
.LBB323_259:                            ;   in Loop: Header=BB323_9 Depth=1
	s_or_b64 exec, exec, s[36:37]
.LBB323_260:                            ;   in Loop: Header=BB323_9 Depth=1
	s_or_b64 exec, exec, s[34:35]
.LBB323_261:                            ;   in Loop: Header=BB323_9 Depth=1
	s_or_b64 exec, exec, s[16:17]
	v_lshrrev_b32_e32 v8, 16, v7
	v_cmp_ne_u16_sdwa s[4:5], v8, v12 src0_sel:BYTE_0 src1_sel:DWORD
	s_and_saveexec_b64 s[16:17], s[4:5]
	s_cbranch_execz .LBB323_267
; %bb.262:                              ;   in Loop: Header=BB323_9 Depth=1
	v_cmp_ne_u16_sdwa s[4:5], v8, s41 src0_sel:BYTE_0 src1_sel:DWORD
	v_bfrev_b32_e32 v56, 1
	s_and_saveexec_b64 s[34:35], s[4:5]
	s_cbranch_execz .LBB323_266
; %bb.263:                              ;   in Loop: Header=BB323_9 Depth=1
	v_bfe_u32 v58, v7, 16, 7
	v_cmp_ne_u32_e64 s[4:5], s42, v58
	v_mov_b32_e32 v56, 0x7f800001
	s_and_saveexec_b64 s[36:37], s[4:5]
	s_cbranch_execz .LBB323_265
; %bb.264:                              ;   in Loop: Header=BB323_9 Depth=1
	v_and_b32_e32 v56, 7, v8
	v_lshrrev_b32_e32 v60, 3, v58
	v_cmp_gt_u32_e64 s[4:5], 8, v58
	v_ffbh_u32_e32 v58, v56
	v_min_u32_e32 v61, 32, v58
	v_subrev_u32_e32 v58, 28, v61
	v_lshlrev_b64 v[58:59], v58, v[8:9]
	v_sub_u32_e32 v59, 29, v61
	v_and_b32_e32 v58, 7, v58
	v_cndmask_b32_e64 v59, v60, v59, s[4:5]
	v_cndmask_b32_e64 v56, v56, v58, s[4:5]
	v_lshlrev_b32_e32 v8, 24, v8
	v_lshlrev_b32_e32 v56, 20, v56
	v_and_b32_e32 v8, 0x80000000, v8
	v_lshl_add_u32 v58, v59, 23, v0
	v_or3_b32 v56, v8, v58, v56
.LBB323_265:                            ;   in Loop: Header=BB323_9 Depth=1
	s_or_b64 exec, exec, s[36:37]
.LBB323_266:                            ;   in Loop: Header=BB323_9 Depth=1
	s_or_b64 exec, exec, s[34:35]
.LBB323_267:                            ;   in Loop: Header=BB323_9 Depth=1
	s_or_b64 exec, exec, s[16:17]
	v_cmp_lt_u32_e64 s[4:5], s43, v7
	v_mov_b32_e32 v60, 0
	v_mov_b32_e32 v59, 0
	s_and_saveexec_b64 s[16:17], s[4:5]
	s_cbranch_execz .LBB323_273
; %bb.268:                              ;   in Loop: Header=BB323_9 Depth=1
	v_lshrrev_b32_e32 v8, 24, v7
	v_cmp_ne_u32_e64 s[4:5], s41, v8
	v_bfrev_b32_e32 v59, 1
	s_and_saveexec_b64 s[34:35], s[4:5]
	s_cbranch_execz .LBB323_272
; %bb.269:                              ;   in Loop: Header=BB323_9 Depth=1
	v_bfe_u32 v7, v7, 24, 7
	v_cmp_ne_u32_e64 s[4:5], s42, v7
	v_mov_b32_e32 v59, 0x7f800001
	s_and_saveexec_b64 s[36:37], s[4:5]
	s_cbranch_execz .LBB323_271
; %bb.270:                              ;   in Loop: Header=BB323_9 Depth=1
	v_and_b32_e32 v61, 7, v8
	v_lshrrev_b32_e32 v62, 3, v7
	v_cmp_gt_u32_e64 s[4:5], 8, v7
	v_ffbh_u32_e32 v7, v61
	v_min_u32_e32 v7, 32, v7
	v_subrev_u32_e32 v58, 28, v7
	v_lshlrev_b64 v[58:59], v58, v[8:9]
	v_sub_u32_e32 v7, 29, v7
	v_and_b32_e32 v58, 7, v58
	v_cndmask_b32_e64 v7, v62, v7, s[4:5]
	v_cndmask_b32_e64 v58, v61, v58, s[4:5]
	v_lshlrev_b32_e32 v8, 24, v8
	v_lshlrev_b32_e32 v58, 20, v58
	v_and_b32_e32 v8, 0x80000000, v8
	v_lshl_add_u32 v7, v7, 23, v0
	v_mov_b32_e32 v62, v21
	v_or3_b32 v59, v8, v7, v58
.LBB323_271:                            ;   in Loop: Header=BB323_9 Depth=1
	s_or_b64 exec, exec, s[36:37]
.LBB323_272:                            ;   in Loop: Header=BB323_9 Depth=1
	s_or_b64 exec, exec, s[34:35]
.LBB323_273:                            ;   in Loop: Header=BB323_9 Depth=1
	s_or_b64 exec, exec, s[16:17]
	global_load_dword v5, v[5:6], off offset:2568
	s_waitcnt vmcnt(0)
	v_cmp_ne_u16_sdwa s[4:5], v5, v12 src0_sel:BYTE_0 src1_sel:DWORD
	s_and_saveexec_b64 s[16:17], s[4:5]
	s_cbranch_execz .LBB323_279
; %bb.274:                              ;   in Loop: Header=BB323_9 Depth=1
	v_cmp_ne_u16_sdwa s[4:5], v5, s41 src0_sel:BYTE_0 src1_sel:DWORD
	v_bfrev_b32_e32 v60, 1
	s_and_saveexec_b64 s[34:35], s[4:5]
	s_cbranch_execz .LBB323_278
; %bb.275:                              ;   in Loop: Header=BB323_9 Depth=1
	v_and_b32_e32 v6, 0x7f, v5
	v_cmp_ne_u32_e64 s[4:5], s42, v6
	v_mov_b32_e32 v60, 0x7f800001
	s_and_saveexec_b64 s[36:37], s[4:5]
	s_cbranch_execz .LBB323_277
; %bb.276:                              ;   in Loop: Header=BB323_9 Depth=1
	v_and_b32_e32 v8, 7, v5
	v_lshrrev_b32_e32 v58, 3, v6
	v_cmp_gt_u32_e64 s[4:5], 8, v6
	v_ffbh_u32_e32 v6, v8
	v_min_u32_e32 v60, 32, v6
	v_subrev_u32_e32 v6, 28, v60
	v_lshlrev_b64 v[6:7], v6, v[5:6]
	v_sub_u32_e32 v7, 29, v60
	v_and_b32_e32 v6, 7, v6
	v_cndmask_b32_e64 v7, v58, v7, s[4:5]
	v_cndmask_b32_e64 v6, v8, v6, s[4:5]
	v_lshlrev_b32_e32 v8, 24, v5
	v_lshlrev_b32_e32 v6, 20, v6
	v_and_b32_e32 v8, 0x80000000, v8
	v_lshl_add_u32 v7, v7, 23, v0
	v_or3_b32 v60, v8, v7, v6
.LBB323_277:                            ;   in Loop: Header=BB323_9 Depth=1
	s_or_b64 exec, exec, s[36:37]
.LBB323_278:                            ;   in Loop: Header=BB323_9 Depth=1
	s_or_b64 exec, exec, s[34:35]
.LBB323_279:                            ;   in Loop: Header=BB323_9 Depth=1
	s_or_b64 exec, exec, s[16:17]
	v_lshrrev_b16_e32 v6, 8, v5
	v_cmp_ne_u16_e64 s[4:5], 0, v6
	v_mov_b32_e32 v7, 0
	v_mov_b32_e32 v8, 0
	s_and_saveexec_b64 s[16:17], s[4:5]
	s_cbranch_execz .LBB323_285
; %bb.280:                              ;   in Loop: Header=BB323_9 Depth=1
	v_cmp_ne_u16_e64 s[4:5], s41, v6
	v_bfrev_b32_e32 v8, 1
	s_and_saveexec_b64 s[34:35], s[4:5]
	s_cbranch_execz .LBB323_284
; %bb.281:                              ;   in Loop: Header=BB323_9 Depth=1
	v_and_b32_e32 v58, 0x7f, v6
	v_cmp_ne_u32_e64 s[4:5], s42, v58
	v_mov_b32_e32 v8, 0x7f800001
	s_and_saveexec_b64 s[36:37], s[4:5]
	s_cbranch_execz .LBB323_283
; %bb.282:                              ;   in Loop: Header=BB323_9 Depth=1
	v_and_b32_e32 v8, 7, v6
	v_lshrrev_b32_e32 v13, 3, v58
	v_cmp_gt_u32_e64 s[4:5], 8, v58
	v_ffbh_u32_e32 v58, v8
	v_min_u32_e32 v58, 32, v58
	v_subrev_u32_e32 v61, 28, v58
	v_lshlrev_b64 v[61:62], v61, v[6:7]
	v_sub_u32_e32 v6, 29, v58
	v_and_b32_e32 v58, 7, v61
	v_cndmask_b32_e64 v6, v13, v6, s[4:5]
	v_cndmask_b32_e64 v8, v8, v58, s[4:5]
	v_lshlrev_b32_e32 v13, 16, v5
	v_lshlrev_b32_e32 v8, 20, v8
	v_and_b32_e32 v13, 0x80000000, v13
	v_lshl_add_u32 v6, v6, 23, v0
	v_mov_b32_e32 v62, v21
	v_or3_b32 v8, v13, v6, v8
.LBB323_283:                            ;   in Loop: Header=BB323_9 Depth=1
	s_or_b64 exec, exec, s[36:37]
.LBB323_284:                            ;   in Loop: Header=BB323_9 Depth=1
	s_or_b64 exec, exec, s[34:35]
.LBB323_285:                            ;   in Loop: Header=BB323_9 Depth=1
	s_or_b64 exec, exec, s[16:17]
	v_lshrrev_b32_e32 v6, 16, v5
	v_cmp_ne_u16_sdwa s[4:5], v6, v12 src0_sel:BYTE_0 src1_sel:DWORD
	s_and_saveexec_b64 s[16:17], s[4:5]
	s_cbranch_execz .LBB323_291
; %bb.286:                              ;   in Loop: Header=BB323_9 Depth=1
	v_cmp_ne_u16_sdwa s[4:5], v6, s41 src0_sel:BYTE_0 src1_sel:DWORD
	v_bfrev_b32_e32 v7, 1
	s_and_saveexec_b64 s[34:35], s[4:5]
	s_cbranch_execz .LBB323_290
; %bb.287:                              ;   in Loop: Header=BB323_9 Depth=1
	v_bfe_u32 v58, v5, 16, 7
	v_cmp_ne_u32_e64 s[4:5], s42, v58
	v_mov_b32_e32 v7, 0x7f800001
	s_and_saveexec_b64 s[36:37], s[4:5]
	s_cbranch_execz .LBB323_289
; %bb.288:                              ;   in Loop: Header=BB323_9 Depth=1
	v_and_b32_e32 v7, 7, v6
	v_lshrrev_b32_e32 v13, 3, v58
	v_cmp_gt_u32_e64 s[4:5], 8, v58
	v_ffbh_u32_e32 v58, v7
	v_min_u32_e32 v58, 32, v58
	v_subrev_u32_e32 v61, 28, v58
	v_lshlrev_b64 v[61:62], v61, v[6:7]
	v_sub_u32_e32 v58, 29, v58
	v_and_b32_e32 v61, 7, v61
	v_cndmask_b32_e64 v13, v13, v58, s[4:5]
	v_cndmask_b32_e64 v7, v7, v61, s[4:5]
	v_lshlrev_b32_e32 v6, 24, v6
	v_lshlrev_b32_e32 v7, 20, v7
	v_and_b32_e32 v6, 0x80000000, v6
	v_lshl_add_u32 v13, v13, 23, v0
	v_mov_b32_e32 v62, v21
	v_or3_b32 v7, v6, v13, v7
.LBB323_289:                            ;   in Loop: Header=BB323_9 Depth=1
	s_or_b64 exec, exec, s[36:37]
.LBB323_290:                            ;   in Loop: Header=BB323_9 Depth=1
	s_or_b64 exec, exec, s[34:35]
.LBB323_291:                            ;   in Loop: Header=BB323_9 Depth=1
	s_or_b64 exec, exec, s[16:17]
	v_cmp_lt_u32_e64 s[4:5], s43, v5
	v_mov_b32_e32 v58, 0
	s_and_saveexec_b64 s[16:17], s[4:5]
	s_cbranch_execz .LBB323_297
; %bb.292:                              ;   in Loop: Header=BB323_9 Depth=1
	v_lshrrev_b32_e32 v6, 24, v5
	v_cmp_ne_u32_e64 s[4:5], s41, v6
	v_bfrev_b32_e32 v58, 1
	s_and_saveexec_b64 s[34:35], s[4:5]
	s_cbranch_execz .LBB323_296
; %bb.293:                              ;   in Loop: Header=BB323_9 Depth=1
	v_bfe_u32 v5, v5, 24, 7
	v_cmp_ne_u32_e64 s[4:5], s42, v5
	v_mov_b32_e32 v58, 0x7f800001
	s_and_saveexec_b64 s[36:37], s[4:5]
	s_cbranch_execz .LBB323_295
; %bb.294:                              ;   in Loop: Header=BB323_9 Depth=1
	v_and_b32_e32 v13, 7, v6
	v_lshrrev_b32_e32 v58, 3, v5
	v_cmp_gt_u32_e64 s[4:5], 8, v5
	v_ffbh_u32_e32 v5, v13
	v_min_u32_e32 v5, 32, v5
	v_subrev_u32_e32 v61, 28, v5
	v_lshlrev_b64 v[61:62], v61, v[6:7]
	v_sub_u32_e32 v5, 29, v5
	v_and_b32_e32 v61, 7, v61
	v_cndmask_b32_e64 v5, v58, v5, s[4:5]
	v_cndmask_b32_e64 v13, v13, v61, s[4:5]
	v_lshlrev_b32_e32 v6, 24, v6
	v_lshlrev_b32_e32 v13, 20, v13
	v_and_b32_e32 v6, 0x80000000, v6
	v_lshl_add_u32 v5, v5, 23, v0
	v_mov_b32_e32 v62, v21
	v_or3_b32 v58, v6, v5, v13
.LBB323_295:                            ;   in Loop: Header=BB323_9 Depth=1
	s_or_b64 exec, exec, s[36:37]
.LBB323_296:                            ;   in Loop: Header=BB323_9 Depth=1
	s_or_b64 exec, exec, s[34:35]
.LBB323_297:                            ;   in Loop: Header=BB323_9 Depth=1
	s_or_b64 exec, exec, s[16:17]
	s_waitcnt lgkmcnt(0)
	v_mul_f32_e32 v5, s40, v8
	v_bfe_u32 v6, v5, 16, 1
	v_add3_u32 v6, v6, v5, s44
	v_or_b32_e32 v8, 0x400000, v5
	v_cmp_u_f32_e64 s[4:5], v5, v5
	v_cndmask_b32_e64 v5, v6, v8, s[4:5]
	v_mul_f32_e32 v6, s40, v60
	v_bfe_u32 v8, v6, 16, 1
	v_add3_u32 v8, v8, v6, s44
	v_or_b32_e32 v13, 0x400000, v6
	v_cmp_u_f32_e64 s[4:5], v6, v6
	v_cndmask_b32_e64 v6, v8, v13, s[4:5]
	;; [unrolled: 6-line block ×3, first 2 shown]
	v_mul_f32_e32 v13, s40, v59
	v_bfe_u32 v56, v13, 16, 1
	v_add3_u32 v56, v56, v13, s44
	v_or_b32_e32 v59, 0x400000, v13
	v_cmp_u_f32_e64 s[4:5], v13, v13
	v_mul_f32_e32 v13, s40, v57
	v_bfe_u32 v57, v13, 16, 1
	v_cndmask_b32_e64 v56, v56, v59, s[4:5]
	v_add3_u32 v57, v57, v13, s44
	v_or_b32_e32 v59, 0x400000, v13
	v_cmp_u_f32_e64 s[4:5], v13, v13
	v_mul_f32_e32 v13, s40, v55
	v_bfe_u32 v55, v13, 16, 1
	v_cndmask_b32_e64 v57, v57, v59, s[4:5]
	;; [unrolled: 6-line block ×33, first 2 shown]
	v_add3_u32 v24, v24, v13, s44
	v_or_b32_e32 v59, 0x400000, v13
	v_cmp_u_f32_e64 s[4:5], v13, v13
	v_mul_f32_e32 v23, s40, v23
	v_cndmask_b32_e64 v13, v24, v59, s[4:5]
	v_bfe_u32 v24, v23, 16, 1
	v_add3_u32 v24, v24, v23, s44
	v_or_b32_e32 v59, 0x400000, v23
	v_cmp_u_f32_e64 s[4:5], v23, v23
	v_mul_f32_e32 v10, s40, v10
	v_cndmask_b32_e64 v23, v24, v59, s[4:5]
	v_bfe_u32 v24, v10, 16, 1
	v_add3_u32 v24, v24, v10, s44
	v_or_b32_e32 v59, 0x400000, v10
	v_cmp_u_f32_e64 s[4:5], v10, v10
	v_mul_f32_e32 v10, s40, v22
	v_bfe_u32 v22, v10, 16, 1
	v_cndmask_b32_e64 v24, v24, v59, s[4:5]
	v_add3_u32 v22, v22, v10, s44
	v_or_b32_e32 v59, 0x400000, v10
	v_cmp_u_f32_e64 s[4:5], v10, v10
	v_mul_f32_e32 v10, s40, v19
	v_bfe_u32 v19, v10, 16, 1
	v_cndmask_b32_e64 v22, v22, v59, s[4:5]
	;; [unrolled: 6-line block ×6, first 2 shown]
	v_add3_u32 v15, v15, v10, s44
	v_or_b32_e32 v59, 0x400000, v10
	v_cmp_u_f32_e64 s[4:5], v10, v10
	v_mul_f32_e32 v10, s40, v14
	v_bfe_u32 v14, v10, 16, 1
	v_mul_f32_e32 v7, s40, v7
	v_cndmask_b32_e64 v15, v15, v59, s[4:5]
	v_add3_u32 v14, v14, v10, s44
	v_or_b32_e32 v59, 0x400000, v10
	v_cmp_u_f32_e64 s[4:5], v10, v10
	v_bfe_u32 v10, v7, 16, 1
	v_cndmask_b32_e64 v14, v14, v59, s[4:5]
	v_add3_u32 v10, v10, v7, s44
	v_or_b32_e32 v59, 0x400000, v7
	v_cmp_u_f32_e64 s[4:5], v7, v7
	v_cndmask_b32_e64 v7, v10, v59, s[4:5]
	v_mul_f32_e32 v10, s40, v58
	v_bfe_u32 v58, v10, 16, 1
	v_add3_u32 v58, v58, v10, s44
	v_or_b32_e32 v59, 0x400000, v10
	v_cmp_u_f32_e64 s[4:5], v10, v10
	v_cndmask_b32_e64 v10, v58, v59, s[4:5]
	v_and_b32_e32 v58, 0xffff0000, v14
	v_and_b32_e32 v14, 0xffff0000, v18
	buffer_load_dword v18, off, s[48:51], 0 offset:16 ; 4-byte Folded Reload
	v_and_b32_e32 v13, 0xffff0000, v13
	v_and_b32_e32 v8, 0xffff0000, v8
	;; [unrolled: 1-line block ×4, first 2 shown]
	s_waitcnt vmcnt(0)
	v_mul_f32_e32 v14, v18, v14
	v_and_b32_e32 v18, 0xffff0000, v15
	v_and_b32_e32 v15, 0xffff0000, v19
	buffer_load_dword v19, off, s[48:51], 0 offset:20 ; 4-byte Folded Reload
	v_fmac_f32_e32 v14, v62, v58
	s_waitcnt vmcnt(0)
	v_mul_f32_e32 v15, v19, v15
	buffer_load_dword v19, off, s[48:51], 0 offset:4 ; 4-byte Folded Reload
	s_waitcnt vmcnt(0)
	v_fmac_f32_e32 v15, v19, v18
	buffer_load_dword v19, off, s[48:51], 0 offset:24 ; 4-byte Folded Reload
	v_and_b32_e32 v18, 0xffff0000, v16
	v_and_b32_e32 v16, 0xffff0000, v24
	s_waitcnt vmcnt(0)
	v_mul_f32_e32 v16, v19, v16
	buffer_load_dword v19, off, s[48:51], 0 offset:8 ; 4-byte Folded Reload
	s_waitcnt vmcnt(0)
	v_fmac_f32_e32 v16, v19, v18
	buffer_load_dword v19, off, s[48:51], 0 offset:28 ; 4-byte Folded Reload
	v_and_b32_e32 v18, 0xffff0000, v17
	v_and_b32_e32 v17, 0xffff0000, v22
	s_waitcnt vmcnt(0)
	v_mul_f32_e32 v17, v19, v17
	buffer_load_dword v19, off, s[48:51], 0 offset:12 ; 4-byte Folded Reload
	s_waitcnt vmcnt(0)
	v_fmac_f32_e32 v17, v19, v18
	buffer_load_dword v19, off, s[48:51], 0 offset:32 ; 4-byte Folded Reload
	v_and_b32_e32 v18, 0xffff0000, v23
	s_waitcnt vmcnt(0)
	v_fmac_f32_e32 v14, v19, v18
	buffer_load_dword v18, off, s[48:51], 0 offset:36 ; 4-byte Folded Reload
	s_waitcnt vmcnt(0)
	v_fmac_f32_e32 v15, v18, v13
	buffer_load_dword v18, off, s[48:51], 0 offset:40 ; 4-byte Folded Reload
	v_and_b32_e32 v13, 0xffff0000, v25
	s_waitcnt vmcnt(0)
	v_fmac_f32_e32 v16, v18, v13
	buffer_load_dword v18, off, s[48:51], 0 offset:44 ; 4-byte Folded Reload
	v_and_b32_e32 v13, 0xffff0000, v26
	;; [unrolled: 4-line block ×33, first 2 shown]
	s_waitcnt vmcnt(0)
	v_fmac_f32_e32 v16, v18, v8
	buffer_load_dword v8, off, s[48:51], 0 offset:176 ; 4-byte Folded Reload
	s_waitcnt vmcnt(0)
	v_fmac_f32_e32 v17, v8, v13
	buffer_load_dword v8, off, s[48:51], 0 offset:180 ; 4-byte Folded Reload
	;; [unrolled: 3-line block ×3, first 2 shown]
	s_waitcnt vmcnt(0)
	v_fmac_f32_e32 v15, v6, v5
	v_and_b32_e32 v5, 0xffff0000, v7
	buffer_load_dword v7, off, s[48:51], 0 offset:188 ; 4-byte Folded Reload
	v_and_b32_e32 v6, 0xffff0000, v10
	s_waitcnt vmcnt(0)
	v_fmac_f32_e32 v16, v7, v5
	buffer_load_dword v5, off, s[48:51], 0 offset:192 ; 4-byte Folded Reload
	s_waitcnt vmcnt(0)
	v_fmac_f32_e32 v17, v5, v6
	buffer_load_dword v6, off, s[48:51], 0 offset:196 ; 4-byte Folded Reload
	v_add_f32_e32 v5, v14, v15
	v_add_f32_e32 v5, v5, v16
	;; [unrolled: 1-line block ×3, first 2 shown]
	s_waitcnt vmcnt(0)
	ds_bpermute_b32 v6, v6, v5
	s_and_saveexec_b64 s[16:17], vcc
	s_cbranch_execz .LBB323_8
; %bb.298:                              ;   in Loop: Header=BB323_9 Depth=1
	v_add_u32_e32 v7, s38, v9
	v_cvt_f32_i32_e32 v7, v7
	s_waitcnt lgkmcnt(0)
	v_add_f32_e32 v5, v5, v6
	v_cmp_gt_i32_e64 s[4:5], s30, v9
	v_max_f32_e32 v6, v63, v63
	v_mul_f32_e32 v7, s33, v7
	v_cndmask_b32_e64 v7, 0, v7, s[2:3]
	v_fmac_f32_e32 v7, s31, v5
	v_cndmask_b32_e64 v5, 0, v7, s[4:5]
	ds_write_b32 v11, v5
	v_max_f32_e32 v5, v6, v7
	v_cndmask_b32_e64 v63, v63, v5, s[4:5]
	s_branch .LBB323_8
.LBB323_299:
	s_or_b64 exec, exec, s[14:15]
	buffer_load_dword v15, off, s[48:51], 0 offset:204 ; 4-byte Folded Reload
	buffer_load_dword v14, off, s[48:51], 0 offset:208 ; 4-byte Folded Reload
	;; [unrolled: 1-line block ×5, first 2 shown]
.LBB323_300:
	s_or_b64 exec, exec, s[6:7]
	s_waitcnt vmcnt(3)
	v_xor_b32_e32 v0, 32, v14
	s_waitcnt vmcnt(1)
	v_cmp_lt_i32_e32 vcc, v0, v9
	v_cndmask_b32_e32 v0, v14, v0, vcc
	v_lshlrev_b32_e32 v0, 2, v0
	ds_bpermute_b32 v1, v0, v63
	v_xor_b32_e32 v3, 16, v14
	v_max_f32_e32 v2, v63, v63
	v_cmp_lt_i32_e32 vcc, v3, v9
	v_xor_b32_e32 v4, 8, v14
	s_waitcnt lgkmcnt(0)
	v_max_f32_e32 v1, v1, v1
	v_max_f32_e32 v2, v2, v1
	v_cndmask_b32_e32 v1, v14, v3, vcc
	v_lshlrev_b32_e32 v1, 2, v1
	ds_bpermute_b32 v3, v1, v2
	v_cmp_lt_i32_e32 vcc, v4, v9
	v_xor_b32_e32 v5, 4, v14
	v_xor_b32_e32 v6, 2, v14
	s_waitcnt lgkmcnt(0)
	v_max_f32_e32 v3, v3, v3
	v_max_f32_e32 v3, v2, v3
	v_cndmask_b32_e32 v2, v14, v4, vcc
	v_lshlrev_b32_e32 v2, 2, v2
	ds_bpermute_b32 v4, v2, v3
	v_cmp_lt_i32_e32 vcc, v5, v9
	s_waitcnt lgkmcnt(0)
	v_max_f32_e32 v4, v4, v4
	v_max_f32_e32 v4, v3, v4
	v_cndmask_b32_e32 v3, v14, v5, vcc
	v_lshlrev_b32_e32 v3, 2, v3
	ds_bpermute_b32 v5, v3, v4
	v_cmp_lt_i32_e32 vcc, v6, v9
	s_waitcnt lgkmcnt(0)
	v_max_f32_e32 v5, v5, v5
	v_max_f32_e32 v5, v4, v5
	v_cndmask_b32_e32 v4, v14, v6, vcc
	v_lshlrev_b32_e32 v11, 2, v4
	buffer_load_dword v4, off, s[48:51], 0 offset:200 ; 4-byte Folded Reload
	ds_bpermute_b32 v6, v11, v5
	s_waitcnt vmcnt(0)
	v_and_b32_e32 v13, 63, v4
	buffer_load_dword v4, off, s[48:51], 0  ; 4-byte Folded Reload
	v_cmp_eq_u32_e32 vcc, 0, v13
	s_waitcnt vmcnt(0)
	v_lshlrev_b32_e32 v4, 2, v4
	s_and_saveexec_b64 s[2:3], vcc
	s_cbranch_execz .LBB323_302
; %bb.301:
	s_waitcnt lgkmcnt(0)
	v_max_f32_e32 v6, v6, v6
	v_max_f32_e32 v5, v5, v5
	v_max_f32_e32 v5, v5, v6
	ds_write_b32 v4, v5 offset:192
.LBB323_302:
	s_or_b64 exec, exec, s[2:3]
	v_cmp_gt_u32_e64 s[2:3], 2, v13
	s_waitcnt lgkmcnt(0)
	v_mov_b32_e32 v6, 0xff7fffff
	v_lshlrev_b32_e32 v5, 2, v13
	s_barrier
	s_and_saveexec_b64 s[4:5], s[2:3]
; %bb.303:
	ds_read_b32 v6, v5 offset:192
; %bb.304:
	s_or_b64 exec, exec, s[4:5]
	v_xor_b32_e32 v7, 1, v14
	v_cmp_lt_i32_e64 s[4:5], v7, v9
	v_cndmask_b32_e64 v7, v14, v7, s[4:5]
	v_lshlrev_b32_e32 v12, 2, v7
	s_waitcnt lgkmcnt(0)
	ds_bpermute_b32 v7, v12, v6
	v_max_f32_e32 v6, v6, v6
	s_lshl_b32 s4, s21, 5
	s_min_i32 s31, s4, s30
	s_waitcnt lgkmcnt(0)
	v_max_f32_e32 v7, v7, v7
	v_max_f32_e32 v6, v6, v7
	v_lshlrev_b32_e32 v7, 2, v8
	ds_bpermute_b32 v7, v7, v6
	buffer_load_dword v6, off, s[48:51], 0 offset:200 ; 4-byte Folded Reload
	s_waitcnt vmcnt(0)
	v_cmp_gt_i32_e64 s[4:5], s31, v6
	v_mov_b32_e32 v6, 0
	s_and_saveexec_b64 s[14:15], s[4:5]
	s_cbranch_execz .LBB323_308
; %bb.305:
	buffer_load_dword v9, off, s[48:51], 0 offset:200 ; 4-byte Folded Reload
	v_mov_b32_e32 v6, 0xd0
	s_mov_b64 s[16:17], 0
	s_waitcnt vmcnt(0)
	v_lshl_add_u32 v8, v9, 2, v6
	v_mov_b32_e32 v6, 0
.LBB323_306:                            ; =>This Inner Loop Header: Depth=1
	ds_read_b32 v10, v8
	v_add_u32_e32 v9, 0x80, v9
	v_cmp_le_i32_e64 s[6:7], s31, v9
	s_or_b64 s[16:17], s[6:7], s[16:17]
	s_waitcnt lgkmcnt(0)
	v_sub_f32_e32 v10, v10, v7
	v_mul_f32_e32 v10, 0x3fb8aa3b, v10
	v_exp_f32_e32 v10, v10
	ds_write_b32 v8, v10
	v_add_f32_e32 v6, v6, v10
	v_add_u32_e32 v8, 0x200, v8
	s_andn2_b64 exec, exec, s[16:17]
	s_cbranch_execnz .LBB323_306
; %bb.307:
	s_or_b64 exec, exec, s[16:17]
.LBB323_308:
	s_or_b64 exec, exec, s[14:15]
	ds_bpermute_b32 v0, v0, v6
	s_waitcnt lgkmcnt(0)
	v_add_f32_e32 v0, v6, v0
	ds_bpermute_b32 v1, v1, v0
	s_waitcnt lgkmcnt(0)
	v_add_f32_e32 v0, v0, v1
	;; [unrolled: 3-line block ×6, first 2 shown]
	s_and_saveexec_b64 s[6:7], vcc
; %bb.309:
	ds_write_b32 v4, v0 offset:200
; %bb.310:
	s_or_b64 exec, exec, s[6:7]
	s_waitcnt lgkmcnt(0)
	s_barrier
	s_and_saveexec_b64 s[6:7], s[2:3]
; %bb.311:
	ds_read_b32 v0, v5 offset:200
; %bb.312:
	s_or_b64 exec, exec, s[6:7]
	s_waitcnt lgkmcnt(0)
	ds_bpermute_b32 v1, v12, v0
	v_lshlrev_b32_e32 v2, 2, v14
	s_waitcnt lgkmcnt(0)
	v_add_f32_e32 v0, v0, v1
	v_and_b32_e32 v1, 0xffffff00, v2
	ds_bpermute_b32 v0, v1, v0
	s_and_saveexec_b64 s[2:3], s[4:5]
	s_cbranch_execz .LBB323_315
; %bb.313:
	s_waitcnt lgkmcnt(0)
	v_add_f32_e32 v1, 0x358637bd, v0
	v_div_scale_f32 v0, s[4:5], v1, v1, 1.0
	v_div_scale_f32 v2, vcc, 1.0, v1, 1.0
	s_mov_b64 s[4:5], 0
	v_rcp_f32_e32 v3, v0
	v_fma_f32 v4, -v0, v3, 1.0
	v_fmac_f32_e32 v3, v4, v3
	v_mul_f32_e32 v4, v2, v3
	v_fma_f32 v5, -v0, v4, v2
	v_fmac_f32_e32 v4, v5, v3
	v_fma_f32 v0, -v0, v4, v2
	v_div_fmas_f32 v2, v0, v3, v4
	buffer_load_dword v3, off, s[48:51], 0 offset:200 ; 4-byte Folded Reload
	v_mov_b32_e32 v0, 0xd0
	v_div_fixup_f32 v1, v2, v1, 1.0
	s_waitcnt vmcnt(0)
	v_lshl_add_u32 v0, v3, 2, v0
	v_mov_b32_e32 v2, v3
.LBB323_314:                            ; =>This Inner Loop Header: Depth=1
	ds_read_b32 v3, v0
	v_add_u32_e32 v2, 0x80, v2
	v_cmp_le_i32_e32 vcc, s31, v2
	s_or_b64 s[4:5], vcc, s[4:5]
	s_waitcnt lgkmcnt(0)
	v_mul_f32_e32 v3, v1, v3
	ds_write_b32 v0, v3
	v_add_u32_e32 v0, 0x200, v0
	s_andn2_b64 exec, exec, s[4:5]
	s_cbranch_execnz .LBB323_314
.LBB323_315:
	s_or_b64 exec, exec, s[2:3]
	s_waitcnt lgkmcnt(0)
	s_barrier
	buffer_load_dword v0, off, s[48:51], 0 offset:200 ; 4-byte Folded Reload
	v_mov_b32_e32 v29, 0
	v_mov_b32_e32 v30, 0
	;; [unrolled: 1-line block ×6, first 2 shown]
	s_waitcnt vmcnt(0)
	v_and_b32_e32 v14, 3, v0
	s_and_saveexec_b64 s[2:3], s[0:1]
	s_cbranch_execz .LBB323_619
; %bb.316:
	s_ashr_i32 s0, s12, 31
	s_add_u32 s1, s28, s12
	s_addc_u32 s0, s29, s0
	v_and_b32_e32 v1, 0x1f8, v16
	buffer_store_dword v12, off, s[48:51], 0 offset:64 ; 4-byte Folded Spill
	buffer_store_dword v11, off, s[48:51], 0 offset:60 ; 4-byte Folded Spill
	;; [unrolled: 1-line block ×3, first 2 shown]
	v_mov_b32_e32 v2, s0
	v_add_co_u32_e32 v48, vcc, s1, v1
	v_addc_co_u32_e32 v49, vcc, 0, v2, vcc
	buffer_load_dword v2, off, s[48:51], 0  ; 4-byte Folded Reload
	v_and_b32_e32 v0, 24, v16
	s_load_dword s18, s[18:19], 0x0
	s_add_i32 s19, s21, -1
	s_lshl_b64 s[0:1], s[26:27], 2
	s_add_u32 s0, s24, s0
	s_addc_u32 s1, s25, s1
	s_mov_b32 s4, -1
	s_mov_b32 s31, s13
	s_mov_b32 s5, 0xffffff
	v_mov_b32_e32 v10, 0
	buffer_store_dword v14, off, s[48:51], 0 offset:68 ; 4-byte Folded Spill
	s_mov_b64 s[6:7], 0
	s_movk_i32 s24, 0x80
	s_movk_i32 s25, 0x7f
	;; [unrolled: 1-line block ×3, first 2 shown]
	v_mov_b32_e32 v25, 0
	v_mov_b32_e32 v26, 0
	;; [unrolled: 1-line block ×6, first 2 shown]
	buffer_store_dword v48, off, s[48:51], 0 offset:48 ; 4-byte Folded Spill
	s_nop 0
	buffer_store_dword v49, off, s[48:51], 0 offset:52 ; 4-byte Folded Spill
	s_waitcnt vmcnt(3)
	v_lshlrev_b32_e32 v1, 5, v2
	v_or3_b32 v31, v1, v0, 7
	v_lshlrev_b32_e32 v0, 5, v14
	v_lshl_or_b32 v0, v2, 7, v0
	v_add_u32_e32 v32, 0xd0, v0
	v_and_b32_e32 v0, 60, v15
	v_mov_b32_e32 v1, s1
	v_add_co_u32_e32 v13, vcc, s0, v0
	v_addc_co_u32_e32 v14, vcc, 0, v1, vcc
	s_branch .LBB323_318
.LBB323_317:                            ;   in Loop: Header=BB323_318 Depth=1
	s_or_b64 exec, exec, s[0:1]
	v_bfe_u32 v0, v5, 16, 1
	v_add3_u32 v0, v0, v5, s26
	v_or_b32_e32 v21, 0x400000, v5
	v_cmp_u_f32_e32 vcc, v5, v5
	v_cndmask_b32_e32 v38, v0, v21, vcc
	v_bfe_u32 v0, v6, 16, 1
	v_add3_u32 v0, v0, v6, s26
	v_or_b32_e32 v5, 0x400000, v6
	v_cmp_u_f32_e32 vcc, v6, v6
	v_cndmask_b32_e32 v39, v0, v5, vcc
	;; [unrolled: 5-line block ×8, first 2 shown]
	v_and_b32_e32 v1, 0xffff0000, v39
	v_lshlrev_b32_e32 v2, 16, v33
	v_mul_f32_e32 v2, v1, v2
	v_bfe_u32 v3, v2, 16, 1
	v_add3_u32 v3, v3, v2, s26
	v_or_b32_e32 v4, 0x400000, v2
	v_cmp_u_f32_e32 vcc, v2, v2
	v_cndmask_b32_e32 v33, v3, v4, vcc
	v_and_b32_e32 v4, 0xffff0000, v38
	v_lshlrev_b32_e32 v2, 16, v47
	v_mul_f32_e32 v2, v4, v2
	v_bfe_u32 v3, v2, 16, 1
	v_add3_u32 v3, v3, v2, s26
	v_or_b32_e32 v38, 0x400000, v2
	v_cmp_u_f32_e32 vcc, v2, v2
	v_cndmask_b32_e32 v38, v3, v38, vcc
	;; [unrolled: 8-line block ×4, first 2 shown]
	v_and_b32_e32 v3, 0xffff0000, v8
	v_lshlrev_b32_e32 v5, 16, v19
	v_mul_f32_e32 v5, v3, v5
	v_bfe_u32 v8, v5, 16, 1
	v_add3_u32 v8, v8, v5, s26
	v_or_b32_e32 v19, 0x400000, v5
	v_cmp_u_f32_e32 vcc, v5, v5
	v_and_b32_e32 v7, 0xffff0000, v7
	v_lshlrev_b32_e32 v5, 16, v18
	v_mul_f32_e32 v5, v7, v5
	v_cndmask_b32_e32 v19, v8, v19, vcc
	v_bfe_u32 v8, v5, 16, 1
	v_add3_u32 v8, v8, v5, s26
	v_or_b32_e32 v18, 0x400000, v5
	v_cmp_u_f32_e32 vcc, v5, v5
	v_cndmask_b32_e32 v18, v8, v18, vcc
	v_and_b32_e32 v5, 0xffff0000, v21
	v_lshlrev_b32_e32 v8, 16, v45
	v_mul_f32_e32 v8, v5, v8
	v_bfe_u32 v21, v8, 16, 1
	v_add3_u32 v21, v21, v8, s26
	v_or_b32_e32 v44, 0x400000, v8
	v_cmp_u_f32_e32 vcc, v8, v8
	v_and_b32_e32 v8, 0xffff0000, v0
	v_lshlrev_b32_e32 v0, 16, v43
	v_mul_f32_e32 v0, v8, v0
	v_bfe_u32 v43, v0, 16, 1
	v_and_b32_e32 v38, 0xffff0000, v38
	v_and_b32_e32 v33, 0xffff0000, v33
	v_cndmask_b32_e32 v21, v21, v44, vcc
	v_add3_u32 v43, v43, v0, s26
	v_or_b32_e32 v44, 0x400000, v0
	v_cmp_u_f32_e32 vcc, v0, v0
	v_add_f32_e32 v33, v38, v33
	v_and_b32_e32 v38, 0xffff0000, v40
	v_and_b32_e32 v39, 0xffff0000, v39
	v_cndmask_b32_e32 v0, v43, v44, vcc
	v_add_f32_e32 v38, v38, v39
	v_and_b32_e32 v18, 0xffff0000, v18
	v_and_b32_e32 v19, 0xffff0000, v19
	v_add_f32_e32 v33, v38, v33
	v_add_f32_e32 v18, v18, v19
	v_and_b32_e32 v0, 0xffff0000, v0
	v_and_b32_e32 v19, 0xffff0000, v21
	v_add_f32_e32 v18, v18, v33
	v_add_f32_e32 v0, v0, v19
	v_add_f32_e32 v0, v0, v18
	v_add_f32_e32 v26, v26, v0
	v_lshlrev_b32_e32 v0, 16, v42
	v_mul_f32_e32 v0, v1, v0
	v_bfe_u32 v18, v0, 16, 1
	v_add3_u32 v18, v18, v0, s26
	v_or_b32_e32 v19, 0x400000, v0
	v_cmp_u_f32_e32 vcc, v0, v0
	v_cndmask_b32_e32 v0, v18, v19, vcc
	v_lshlrev_b32_e32 v18, 16, v41
	v_mul_f32_e32 v18, v4, v18
	v_bfe_u32 v19, v18, 16, 1
	v_lshlrev_b32_e32 v11, 16, v11
	v_add3_u32 v19, v19, v18, s26
	v_or_b32_e32 v21, 0x400000, v18
	v_cmp_u_f32_e32 vcc, v18, v18
	v_mul_f32_e32 v11, v2, v11
	v_cndmask_b32_e32 v18, v19, v21, vcc
	v_bfe_u32 v19, v11, 16, 1
	v_add3_u32 v19, v19, v11, s26
	v_or_b32_e32 v21, 0x400000, v11
	v_cmp_u_f32_e32 vcc, v11, v11
	v_cndmask_b32_e32 v11, v19, v21, vcc
	v_lshlrev_b32_e32 v19, 16, v23
	v_mul_f32_e32 v19, v6, v19
	v_bfe_u32 v21, v19, 16, 1
	v_lshlrev_b32_e32 v20, 16, v20
	v_add3_u32 v21, v21, v19, s26
	v_or_b32_e32 v23, 0x400000, v19
	v_cmp_u_f32_e32 vcc, v19, v19
	v_mul_f32_e32 v20, v3, v20
	v_cndmask_b32_e32 v19, v21, v23, vcc
	;; [unrolled: 14-line block ×3, first 2 shown]
	v_bfe_u32 v23, v12, 16, 1
	v_lshlrev_b32_e32 v22, 16, v22
	v_and_b32_e32 v18, 0xffff0000, v18
	v_and_b32_e32 v0, 0xffff0000, v0
	v_add3_u32 v23, v23, v12, s26
	v_or_b32_e32 v24, 0x400000, v12
	v_cmp_u_f32_e32 vcc, v12, v12
	v_mul_f32_e32 v22, v8, v22
	v_add_f32_e32 v0, v18, v0
	v_and_b32_e32 v18, 0xffff0000, v19
	v_and_b32_e32 v11, 0xffff0000, v11
	v_cndmask_b32_e32 v12, v23, v24, vcc
	v_bfe_u32 v23, v22, 16, 1
	v_add_f32_e32 v11, v18, v11
	v_add3_u32 v23, v23, v22, s26
	v_or_b32_e32 v24, 0x400000, v22
	v_cmp_u_f32_e32 vcc, v22, v22
	v_add_f32_e32 v0, v11, v0
	v_and_b32_e32 v11, 0xffff0000, v21
	v_and_b32_e32 v18, 0xffff0000, v20
	v_cndmask_b32_e32 v22, v23, v24, vcc
	v_add_f32_e32 v11, v11, v18
	v_add_f32_e32 v0, v11, v0
	v_and_b32_e32 v11, 0xffff0000, v22
	v_and_b32_e32 v12, 0xffff0000, v12
	v_add_f32_e32 v11, v11, v12
	v_add_f32_e32 v0, v11, v0
	;; [unrolled: 1-line block ×3, first 2 shown]
	v_lshlrev_b32_e32 v0, 16, v62
	v_mul_f32_e32 v0, v1, v0
	v_bfe_u32 v11, v0, 16, 1
	v_add3_u32 v11, v11, v0, s26
	v_or_b32_e32 v12, 0x400000, v0
	v_cmp_u_f32_e32 vcc, v0, v0
	v_cndmask_b32_e32 v0, v11, v12, vcc
	v_lshlrev_b32_e32 v11, 16, v63
	v_mul_f32_e32 v11, v4, v11
	v_bfe_u32 v12, v11, 16, 1
	v_add3_u32 v12, v12, v11, s26
	v_or_b32_e32 v18, 0x400000, v11
	v_cmp_u_f32_e32 vcc, v11, v11
	v_cndmask_b32_e32 v11, v12, v18, vcc
	;; [unrolled: 7-line block ×7, first 2 shown]
	v_lshlrev_b32_e32 v22, 16, v58
	v_and_b32_e32 v11, 0xffff0000, v11
	v_and_b32_e32 v0, 0xffff0000, v0
	v_mul_f32_e32 v22, v8, v22
	v_add_f32_e32 v0, v11, v0
	v_and_b32_e32 v11, 0xffff0000, v18
	v_and_b32_e32 v12, 0xffff0000, v12
	v_bfe_u32 v23, v22, 16, 1
	v_add_f32_e32 v11, v11, v12
	v_add3_u32 v23, v23, v22, s26
	v_or_b32_e32 v24, 0x400000, v22
	v_cmp_u_f32_e32 vcc, v22, v22
	v_add_f32_e32 v0, v11, v0
	v_and_b32_e32 v11, 0xffff0000, v20
	v_and_b32_e32 v12, 0xffff0000, v19
	v_cndmask_b32_e32 v22, v23, v24, vcc
	v_add_f32_e32 v11, v11, v12
	v_add_f32_e32 v0, v11, v0
	v_and_b32_e32 v11, 0xffff0000, v22
	v_and_b32_e32 v12, 0xffff0000, v21
	v_add_f32_e32 v11, v11, v12
	v_add_f32_e32 v0, v11, v0
	;; [unrolled: 1-line block ×3, first 2 shown]
	v_lshlrev_b32_e32 v0, 16, v54
	v_mul_f32_e32 v0, v1, v0
	v_bfe_u32 v11, v0, 16, 1
	v_add3_u32 v11, v11, v0, s26
	v_or_b32_e32 v12, 0x400000, v0
	v_cmp_u_f32_e32 vcc, v0, v0
	v_cndmask_b32_e32 v0, v11, v12, vcc
	v_lshlrev_b32_e32 v11, 16, v55
	v_mul_f32_e32 v11, v4, v11
	v_bfe_u32 v12, v11, 16, 1
	v_add3_u32 v12, v12, v11, s26
	v_or_b32_e32 v18, 0x400000, v11
	v_cmp_u_f32_e32 vcc, v11, v11
	v_cndmask_b32_e32 v11, v12, v18, vcc
	;; [unrolled: 7-line block ×4, first 2 shown]
	buffer_load_dword v19, off, s[48:51], 0 offset:36 ; 4-byte Folded Reload
	v_and_b32_e32 v11, 0xffff0000, v11
	v_and_b32_e32 v0, 0xffff0000, v0
	v_add_f32_e32 v0, v11, v0
	v_and_b32_e32 v11, 0xffff0000, v18
	v_and_b32_e32 v12, 0xffff0000, v12
	v_add_f32_e32 v11, v11, v12
	v_add_f32_e32 v0, v11, v0
	v_add_u32_e32 v31, 64, v31
	v_add_u32_e32 v32, 0x100, v32
	s_waitcnt vmcnt(0)
	v_lshlrev_b32_e32 v19, 16, v19
	v_mul_f32_e32 v19, v3, v19
	v_bfe_u32 v20, v19, 16, 1
	v_add3_u32 v20, v20, v19, s26
	v_or_b32_e32 v21, 0x400000, v19
	v_cmp_u_f32_e32 vcc, v19, v19
	v_cndmask_b32_e32 v19, v20, v21, vcc
	buffer_load_dword v20, off, s[48:51], 0 offset:40 ; 4-byte Folded Reload
	v_and_b32_e32 v12, 0xffff0000, v19
	s_waitcnt vmcnt(0)
	v_lshlrev_b32_e32 v20, 16, v20
	v_mul_f32_e32 v20, v7, v20
	v_bfe_u32 v21, v20, 16, 1
	v_add3_u32 v21, v21, v20, s26
	v_or_b32_e32 v22, 0x400000, v20
	v_cmp_u_f32_e32 vcc, v20, v20
	v_cndmask_b32_e32 v20, v21, v22, vcc
	v_lshlrev_b32_e32 v21, 16, v53
	v_mul_f32_e32 v21, v5, v21
	v_bfe_u32 v22, v21, 16, 1
	v_add3_u32 v22, v22, v21, s26
	v_or_b32_e32 v23, 0x400000, v21
	v_cmp_u_f32_e32 vcc, v21, v21
	v_cndmask_b32_e32 v21, v22, v23, vcc
	buffer_load_dword v22, off, s[48:51], 0 offset:44 ; 4-byte Folded Reload
	v_and_b32_e32 v11, 0xffff0000, v20
	v_add_f32_e32 v11, v11, v12
	v_add_f32_e32 v0, v11, v0
	v_and_b32_e32 v12, 0xffff0000, v21
	s_waitcnt vmcnt(0)
	v_lshlrev_b32_e32 v22, 16, v22
	v_mul_f32_e32 v22, v8, v22
	v_bfe_u32 v23, v22, 16, 1
	v_add3_u32 v23, v23, v22, s26
	v_or_b32_e32 v24, 0x400000, v22
	v_cmp_u_f32_e32 vcc, v22, v22
	v_cndmask_b32_e32 v22, v23, v24, vcc
	v_and_b32_e32 v11, 0xffff0000, v22
	v_add_f32_e32 v11, v11, v12
	v_add_f32_e32 v0, v11, v0
	;; [unrolled: 1-line block ×3, first 2 shown]
	buffer_load_dword v0, off, s[48:51], 0 offset:28 ; 4-byte Folded Reload
	s_waitcnt vmcnt(0)
	v_lshlrev_b32_e32 v0, 16, v0
	v_mul_f32_e32 v0, v1, v0
	v_bfe_u32 v11, v0, 16, 1
	v_add3_u32 v11, v11, v0, s26
	v_or_b32_e32 v12, 0x400000, v0
	v_cmp_u_f32_e32 vcc, v0, v0
	v_cndmask_b32_e32 v0, v11, v12, vcc
	buffer_load_dword v11, off, s[48:51], 0 offset:32 ; 4-byte Folded Reload
	v_and_b32_e32 v0, 0xffff0000, v0
	s_waitcnt vmcnt(0)
	v_lshlrev_b32_e32 v11, 16, v11
	v_mul_f32_e32 v11, v4, v11
	v_bfe_u32 v12, v11, 16, 1
	v_add3_u32 v12, v12, v11, s26
	v_or_b32_e32 v18, 0x400000, v11
	v_cmp_u_f32_e32 vcc, v11, v11
	v_cndmask_b32_e32 v11, v12, v18, vcc
	buffer_load_dword v12, off, s[48:51], 0 offset:16 ; 4-byte Folded Reload
	v_and_b32_e32 v11, 0xffff0000, v11
	v_add_f32_e32 v0, v11, v0
	s_waitcnt vmcnt(0)
	v_lshlrev_b32_e32 v12, 16, v12
	v_mul_f32_e32 v12, v2, v12
	v_bfe_u32 v18, v12, 16, 1
	v_add3_u32 v18, v18, v12, s26
	v_or_b32_e32 v19, 0x400000, v12
	v_cmp_u_f32_e32 vcc, v12, v12
	v_cndmask_b32_e32 v12, v18, v19, vcc
	buffer_load_dword v18, off, s[48:51], 0 offset:20 ; 4-byte Folded Reload
	v_and_b32_e32 v12, 0xffff0000, v12
	s_waitcnt vmcnt(0)
	v_lshlrev_b32_e32 v18, 16, v18
	v_mul_f32_e32 v18, v6, v18
	v_bfe_u32 v19, v18, 16, 1
	v_add3_u32 v19, v19, v18, s26
	v_or_b32_e32 v20, 0x400000, v18
	v_cmp_u_f32_e32 vcc, v18, v18
	v_cndmask_b32_e32 v18, v19, v20, vcc
	buffer_load_dword v19, off, s[48:51], 0 offset:4 ; 4-byte Folded Reload
	v_and_b32_e32 v11, 0xffff0000, v18
	v_add_f32_e32 v11, v11, v12
	v_add_f32_e32 v0, v11, v0
	s_waitcnt vmcnt(0)
	v_lshlrev_b32_e32 v19, 16, v19
	v_mul_f32_e32 v19, v3, v19
	v_bfe_u32 v20, v19, 16, 1
	v_add3_u32 v20, v20, v19, s26
	v_or_b32_e32 v21, 0x400000, v19
	v_cmp_u_f32_e32 vcc, v19, v19
	v_cndmask_b32_e32 v19, v20, v21, vcc
	buffer_load_dword v20, off, s[48:51], 0 offset:8 ; 4-byte Folded Reload
	v_and_b32_e32 v12, 0xffff0000, v19
	s_waitcnt vmcnt(0)
	v_lshlrev_b32_e32 v20, 16, v20
	v_mul_f32_e32 v20, v7, v20
	v_bfe_u32 v21, v20, 16, 1
	v_add3_u32 v21, v21, v20, s26
	v_or_b32_e32 v22, 0x400000, v20
	v_cmp_u_f32_e32 vcc, v20, v20
	v_cndmask_b32_e32 v20, v21, v22, vcc
	buffer_load_dword v21, off, s[48:51], 0 offset:24 ; 4-byte Folded Reload
	v_and_b32_e32 v11, 0xffff0000, v20
	v_add_f32_e32 v11, v11, v12
	v_add_f32_e32 v0, v11, v0
	s_waitcnt vmcnt(0)
	v_lshlrev_b32_e32 v21, 16, v21
	v_mul_f32_e32 v21, v5, v21
	v_bfe_u32 v22, v21, 16, 1
	v_add3_u32 v22, v22, v21, s26
	v_or_b32_e32 v23, 0x400000, v21
	v_cmp_u_f32_e32 vcc, v21, v21
	v_cndmask_b32_e32 v21, v22, v23, vcc
	buffer_load_dword v22, off, s[48:51], 0 offset:12 ; 4-byte Folded Reload
	v_and_b32_e32 v12, 0xffff0000, v21
	s_waitcnt vmcnt(0)
	v_lshlrev_b32_e32 v22, 16, v22
	v_mul_f32_e32 v22, v8, v22
	v_bfe_u32 v23, v22, 16, 1
	v_add3_u32 v23, v23, v22, s26
	v_or_b32_e32 v24, 0x400000, v22
	v_cmp_u_f32_e32 vcc, v22, v22
	v_cndmask_b32_e32 v22, v23, v24, vcc
	v_and_b32_e32 v11, 0xffff0000, v22
	v_add_f32_e32 v11, v11, v12
	v_add_f32_e32 v0, v11, v0
	;; [unrolled: 1-line block ×3, first 2 shown]
	v_lshlrev_b32_e32 v0, 16, v37
	v_mul_f32_e32 v0, v4, v0
	v_bfe_u32 v4, v0, 16, 1
	v_add3_u32 v4, v4, v0, s26
	v_or_b32_e32 v11, 0x400000, v0
	v_cmp_u_f32_e32 vcc, v0, v0
	v_cndmask_b32_e32 v0, v4, v11, vcc
	v_lshlrev_b32_e32 v4, 16, v36
	v_mul_f32_e32 v1, v1, v4
	v_bfe_u32 v4, v1, 16, 1
	v_add3_u32 v4, v4, v1, s26
	v_or_b32_e32 v11, 0x400000, v1
	v_cmp_u_f32_e32 vcc, v1, v1
	v_cndmask_b32_e32 v1, v4, v11, vcc
	;; [unrolled: 7-line block ×7, first 2 shown]
	v_lshlrev_b32_e32 v8, 16, v34
	v_and_b32_e32 v1, 0xffff0000, v1
	v_and_b32_e32 v0, 0xffff0000, v0
	v_mul_f32_e32 v5, v5, v8
	v_add_f32_e32 v0, v0, v1
	v_and_b32_e32 v1, 0xffff0000, v2
	v_and_b32_e32 v2, 0xffff0000, v4
	v_bfe_u32 v8, v5, 16, 1
	v_add_f32_e32 v1, v2, v1
	v_add3_u32 v8, v8, v5, s26
	v_or_b32_e32 v9, 0x400000, v5
	v_cmp_u_f32_e32 vcc, v5, v5
	v_add_f32_e32 v0, v1, v0
	v_and_b32_e32 v1, 0xffff0000, v3
	v_and_b32_e32 v2, 0xffff0000, v6
	v_cndmask_b32_e32 v5, v8, v9, vcc
	v_add_f32_e32 v1, v2, v1
	v_add_f32_e32 v0, v1, v0
	v_and_b32_e32 v1, 0xffff0000, v5
	v_and_b32_e32 v2, 0xffff0000, v7
	v_add_f32_e32 v1, v2, v1
	v_add_f32_e32 v0, v1, v0
	;; [unrolled: 1-line block ×3, first 2 shown]
	buffer_load_dword v0, off, s[48:51], 0  ; 4-byte Folded Reload
	v_add_co_u32_e32 v13, vcc, 8, v13
	v_addc_co_u32_e32 v14, vcc, 0, v14, vcc
	s_waitcnt vmcnt(0)
	v_add_u32_e32 v0, 2, v0
	v_cmp_le_i32_e32 vcc, s21, v0
	s_or_b64 s[6:7], vcc, s[6:7]
	buffer_store_dword v0, off, s[48:51], 0 ; 4-byte Folded Spill
	s_andn2_b64 exec, exec, s[6:7]
	s_cbranch_execz .LBB323_618
.LBB323_318:                            ; =>This Inner Loop Header: Depth=1
	global_load_dword v0, v[13:14], off
	v_mov_b32_e32 v11, 0
	s_waitcnt vmcnt(0)
	v_mad_i64_i32 v[15:16], s[0:1], v0, s31, v[48:49]
	global_load_dwordx2 v[17:18], v[15:16], off
	ds_read2_b64 v[5:8], v32 offset1:1
	ds_read2_b64 v[1:4], v32 offset0:2 offset1:3
	s_waitcnt vmcnt(0)
	v_cmp_ne_u16_sdwa s[12:13], v17, v10 src0_sel:BYTE_0 src1_sel:DWORD
	s_and_saveexec_b64 s[0:1], s[12:13]
	s_cbranch_execz .LBB323_324
; %bb.319:                              ;   in Loop: Header=BB323_318 Depth=1
	v_cmp_ne_u16_sdwa s[14:15], v17, s24 src0_sel:BYTE_0 src1_sel:DWORD
	v_bfrev_b32_e32 v11, 1
	s_and_saveexec_b64 s[12:13], s[14:15]
	s_cbranch_execz .LBB323_323
; %bb.320:                              ;   in Loop: Header=BB323_318 Depth=1
	v_and_b32_e32 v0, 0x7f, v17
	v_cmp_ne_u32_e32 vcc, s25, v0
	v_mov_b32_e32 v11, 0x7f800001
	s_and_saveexec_b64 s[14:15], vcc
	s_cbranch_execz .LBB323_322
; %bb.321:                              ;   in Loop: Header=BB323_318 Depth=1
	v_and_b32_e32 v9, 7, v17
	v_ffbh_u32_e32 v9, v9
	v_min_u32_e32 v9, 32, v9
	v_lshrrev_b32_e32 v11, 3, v0
	v_subrev_u32_e32 v12, 28, v9
	v_sub_u32_e32 v9, 29, v9
	v_cmp_gt_u32_e32 vcc, 8, v0
	v_cndmask_b32_e32 v0, v11, v9, vcc
	v_cndmask_b32_e32 v9, 0, v12, vcc
	v_lshlrev_b64 v[11:12], v9, v[17:18]
	v_bfrev_b32_e32 v12, 60
	v_lshlrev_b32_e32 v9, 20, v11
	v_lshlrev_b32_e32 v11, 24, v17
	v_and_b32_e32 v9, 0x700000, v9
	v_and_b32_e32 v11, 0x80000000, v11
	v_lshl_add_u32 v0, v0, 23, v12
	v_or3_b32 v11, v11, v0, v9
.LBB323_322:                            ;   in Loop: Header=BB323_318 Depth=1
	s_or_b64 exec, exec, s[14:15]
.LBB323_323:                            ;   in Loop: Header=BB323_318 Depth=1
	s_or_b64 exec, exec, s[12:13]
.LBB323_324:                            ;   in Loop: Header=BB323_318 Depth=1
	s_or_b64 exec, exec, s[0:1]
	v_lshrrev_b16_e32 v9, 8, v17
	v_cmp_ne_u16_e32 vcc, 0, v9
	v_mov_b32_e32 v12, 0
	v_mov_b32_e32 v0, 0
	s_and_saveexec_b64 s[0:1], vcc
	s_cbranch_execz .LBB323_330
; %bb.325:                              ;   in Loop: Header=BB323_318 Depth=1
	v_cmp_ne_u16_e32 vcc, s24, v9
	v_bfrev_b32_e32 v0, 1
	s_and_saveexec_b64 s[12:13], vcc
	s_cbranch_execz .LBB323_329
; %bb.326:                              ;   in Loop: Header=BB323_318 Depth=1
	v_and_b32_e32 v19, 0x7f, v9
	v_cmp_ne_u32_e32 vcc, s25, v19
	v_mov_b32_e32 v0, 0x7f800001
	s_and_saveexec_b64 s[14:15], vcc
	s_cbranch_execz .LBB323_328
; %bb.327:                              ;   in Loop: Header=BB323_318 Depth=1
	v_and_b32_e32 v0, 7, v9
	v_ffbh_u32_e32 v22, v0
	v_min_u32_e32 v24, 32, v22
	v_subrev_u32_e32 v22, 28, v24
	v_lshlrev_b64 v[22:23], v22, v[9:10]
	v_lshrrev_b32_e32 v20, 3, v19
	v_sub_u32_e32 v9, 29, v24
	v_and_b32_e32 v22, 7, v22
	v_cmp_gt_u32_e32 vcc, 8, v19
	v_cndmask_b32_e32 v9, v20, v9, vcc
	v_cndmask_b32_e32 v0, v0, v22, vcc
	v_lshlrev_b32_e32 v19, 16, v17
	v_bfrev_b32_e32 v20, 60
	v_lshlrev_b32_e32 v0, 20, v0
	v_and_b32_e32 v19, 0x80000000, v19
	v_lshl_add_u32 v9, v9, 23, v20
	v_or3_b32 v0, v19, v9, v0
.LBB323_328:                            ;   in Loop: Header=BB323_318 Depth=1
	s_or_b64 exec, exec, s[14:15]
.LBB323_329:                            ;   in Loop: Header=BB323_318 Depth=1
	s_or_b64 exec, exec, s[12:13]
.LBB323_330:                            ;   in Loop: Header=BB323_318 Depth=1
	s_or_b64 exec, exec, s[0:1]
	v_lshrrev_b32_e32 v9, 16, v17
	v_cmp_ne_u16_sdwa s[12:13], v9, v10 src0_sel:BYTE_0 src1_sel:DWORD
	s_and_saveexec_b64 s[0:1], s[12:13]
	s_cbranch_execz .LBB323_336
; %bb.331:                              ;   in Loop: Header=BB323_318 Depth=1
	v_cmp_ne_u16_sdwa s[14:15], v9, s24 src0_sel:BYTE_0 src1_sel:DWORD
	v_bfrev_b32_e32 v12, 1
	s_and_saveexec_b64 s[12:13], s[14:15]
	s_cbranch_execz .LBB323_335
; %bb.332:                              ;   in Loop: Header=BB323_318 Depth=1
	v_bfe_u32 v19, v17, 16, 7
	v_cmp_ne_u32_e32 vcc, s25, v19
	v_mov_b32_e32 v12, 0x7f800001
	s_and_saveexec_b64 s[14:15], vcc
	s_cbranch_execz .LBB323_334
; %bb.333:                              ;   in Loop: Header=BB323_318 Depth=1
	v_and_b32_e32 v12, 7, v9
	v_ffbh_u32_e32 v22, v12
	v_min_u32_e32 v24, 32, v22
	v_subrev_u32_e32 v22, 28, v24
	v_lshlrev_b64 v[22:23], v22, v[9:10]
	v_lshrrev_b32_e32 v20, 3, v19
	v_sub_u32_e32 v23, 29, v24
	v_and_b32_e32 v22, 7, v22
	v_cmp_gt_u32_e32 vcc, 8, v19
	v_cndmask_b32_e32 v19, v20, v23, vcc
	v_cndmask_b32_e32 v12, v12, v22, vcc
	v_lshlrev_b32_e32 v9, 24, v9
	v_bfrev_b32_e32 v20, 60
	v_lshlrev_b32_e32 v12, 20, v12
	v_and_b32_e32 v9, 0x80000000, v9
	v_lshl_add_u32 v19, v19, 23, v20
	v_or3_b32 v12, v9, v19, v12
.LBB323_334:                            ;   in Loop: Header=BB323_318 Depth=1
	s_or_b64 exec, exec, s[14:15]
.LBB323_335:                            ;   in Loop: Header=BB323_318 Depth=1
	s_or_b64 exec, exec, s[12:13]
.LBB323_336:                            ;   in Loop: Header=BB323_318 Depth=1
	s_or_b64 exec, exec, s[0:1]
	v_cmp_lt_u32_e32 vcc, s5, v17
	v_mov_b32_e32 v22, 0
	v_mov_b32_e32 v20, 0
	s_and_saveexec_b64 s[0:1], vcc
	s_cbranch_execz .LBB323_342
; %bb.337:                              ;   in Loop: Header=BB323_318 Depth=1
	v_lshrrev_b32_e32 v9, 24, v17
	v_cmp_ne_u32_e32 vcc, s24, v9
	v_bfrev_b32_e32 v20, 1
	s_and_saveexec_b64 s[12:13], vcc
	s_cbranch_execz .LBB323_341
; %bb.338:                              ;   in Loop: Header=BB323_318 Depth=1
	v_bfe_u32 v19, v17, 24, 7
	v_cmp_ne_u32_e32 vcc, s25, v19
	v_mov_b32_e32 v20, 0x7f800001
	s_and_saveexec_b64 s[14:15], vcc
	s_cbranch_execz .LBB323_340
; %bb.339:                              ;   in Loop: Header=BB323_318 Depth=1
	v_and_b32_e32 v20, 7, v9
	v_ffbh_u32_e32 v23, v20
	v_min_u32_e32 v34, 32, v23
	v_subrev_u32_e32 v23, 28, v34
	v_lshlrev_b64 v[23:24], v23, v[9:10]
	v_lshrrev_b32_e32 v33, 3, v19
	v_sub_u32_e32 v24, 29, v34
	v_and_b32_e32 v23, 7, v23
	v_cmp_gt_u32_e32 vcc, 8, v19
	v_cndmask_b32_e32 v19, v33, v24, vcc
	v_cndmask_b32_e32 v20, v20, v23, vcc
	v_lshlrev_b32_e32 v9, 24, v9
	v_bfrev_b32_e32 v21, 60
	v_lshlrev_b32_e32 v20, 20, v20
	v_and_b32_e32 v9, 0x80000000, v9
	v_lshl_add_u32 v19, v19, 23, v21
	v_or3_b32 v20, v9, v19, v20
.LBB323_340:                            ;   in Loop: Header=BB323_318 Depth=1
	s_or_b64 exec, exec, s[14:15]
.LBB323_341:                            ;   in Loop: Header=BB323_318 Depth=1
	s_or_b64 exec, exec, s[12:13]
.LBB323_342:                            ;   in Loop: Header=BB323_318 Depth=1
	s_or_b64 exec, exec, s[0:1]
	v_mov_b32_e32 v9, v18
	v_cmp_ne_u16_sdwa s[12:13], v18, v10 src0_sel:BYTE_0 src1_sel:DWORD
	s_and_saveexec_b64 s[0:1], s[12:13]
	s_cbranch_execz .LBB323_348
; %bb.343:                              ;   in Loop: Header=BB323_318 Depth=1
	v_cmp_ne_u16_sdwa s[14:15], v18, s24 src0_sel:BYTE_0 src1_sel:DWORD
	v_bfrev_b32_e32 v22, 1
	s_and_saveexec_b64 s[12:13], s[14:15]
	s_cbranch_execz .LBB323_347
; %bb.344:                              ;   in Loop: Header=BB323_318 Depth=1
	v_and_b32_e32 v19, 0x7f, v18
	v_cmp_ne_u32_e32 vcc, s25, v19
	v_mov_b32_e32 v22, 0x7f800001
	s_and_saveexec_b64 s[14:15], vcc
	s_cbranch_execz .LBB323_346
; %bb.345:                              ;   in Loop: Header=BB323_318 Depth=1
	v_and_b32_e32 v22, 7, v18
	v_ffbh_u32_e32 v22, v22
	v_min_u32_e32 v22, 32, v22
	v_lshrrev_b32_e32 v23, 3, v19
	v_subrev_u32_e32 v24, 28, v22
	v_sub_u32_e32 v22, 29, v22
	v_cmp_gt_u32_e32 vcc, 8, v19
	v_cndmask_b32_e32 v19, v23, v22, vcc
	v_cndmask_b32_e32 v22, 0, v24, vcc
	v_lshlrev_b64 v[22:23], v22, v[9:10]
	v_lshlrev_b32_e32 v23, 24, v9
	v_lshlrev_b32_e32 v22, 20, v22
	v_bfrev_b32_e32 v21, 60
	v_and_b32_e32 v22, 0x700000, v22
	v_and_b32_e32 v23, 0x80000000, v23
	v_lshl_add_u32 v19, v19, 23, v21
	v_or3_b32 v22, v23, v19, v22
.LBB323_346:                            ;   in Loop: Header=BB323_318 Depth=1
	s_or_b64 exec, exec, s[14:15]
.LBB323_347:                            ;   in Loop: Header=BB323_318 Depth=1
	s_or_b64 exec, exec, s[12:13]
.LBB323_348:                            ;   in Loop: Header=BB323_318 Depth=1
	s_or_b64 exec, exec, s[0:1]
	v_lshrrev_b16_e32 v19, 8, v9
	v_cmp_ne_u16_e32 vcc, 0, v19
	v_mov_b32_e32 v23, 0
	v_mov_b32_e32 v24, 0
	s_and_saveexec_b64 s[0:1], vcc
	s_cbranch_execz .LBB323_354
; %bb.349:                              ;   in Loop: Header=BB323_318 Depth=1
	v_cmp_ne_u16_e32 vcc, s24, v19
	v_bfrev_b32_e32 v24, 1
	s_and_saveexec_b64 s[12:13], vcc
	s_cbranch_execz .LBB323_353
; %bb.350:                              ;   in Loop: Header=BB323_318 Depth=1
	v_and_b32_e32 v33, 0x7f, v19
	v_cmp_ne_u32_e32 vcc, s25, v33
	v_mov_b32_e32 v24, 0x7f800001
	s_and_saveexec_b64 s[14:15], vcc
	s_cbranch_execz .LBB323_352
; %bb.351:                              ;   in Loop: Header=BB323_318 Depth=1
	v_and_b32_e32 v24, 7, v19
	v_ffbh_u32_e32 v34, v24
	v_min_u32_e32 v37, 32, v34
	v_subrev_u32_e32 v34, 28, v37
	v_lshlrev_b64 v[34:35], v34, v[19:20]
	v_lshrrev_b32_e32 v36, 3, v33
	v_sub_u32_e32 v19, 29, v37
	v_and_b32_e32 v34, 7, v34
	v_cmp_gt_u32_e32 vcc, 8, v33
	v_cndmask_b32_e32 v19, v36, v19, vcc
	v_cndmask_b32_e32 v24, v24, v34, vcc
	v_lshlrev_b32_e32 v9, 16, v9
	v_bfrev_b32_e32 v21, 60
	v_lshlrev_b32_e32 v24, 20, v24
	v_and_b32_e32 v9, 0x80000000, v9
	v_lshl_add_u32 v19, v19, 23, v21
	v_or3_b32 v24, v9, v19, v24
.LBB323_352:                            ;   in Loop: Header=BB323_318 Depth=1
	s_or_b64 exec, exec, s[14:15]
.LBB323_353:                            ;   in Loop: Header=BB323_318 Depth=1
	s_or_b64 exec, exec, s[12:13]
.LBB323_354:                            ;   in Loop: Header=BB323_318 Depth=1
	s_or_b64 exec, exec, s[0:1]
	v_lshrrev_b32_e32 v9, 16, v18
	v_cmp_ne_u16_sdwa s[12:13], v9, v10 src0_sel:BYTE_0 src1_sel:DWORD
	s_and_saveexec_b64 s[0:1], s[12:13]
	s_cbranch_execz .LBB323_360
; %bb.355:                              ;   in Loop: Header=BB323_318 Depth=1
	v_cmp_ne_u16_sdwa s[14:15], v9, s24 src0_sel:BYTE_0 src1_sel:DWORD
	v_bfrev_b32_e32 v23, 1
	s_and_saveexec_b64 s[12:13], s[14:15]
	s_cbranch_execz .LBB323_359
; %bb.356:                              ;   in Loop: Header=BB323_318 Depth=1
	v_bfe_u32 v19, v18, 16, 7
	v_cmp_ne_u32_e32 vcc, s25, v19
	v_mov_b32_e32 v23, 0x7f800001
	s_and_saveexec_b64 s[14:15], vcc
	s_cbranch_execz .LBB323_358
; %bb.357:                              ;   in Loop: Header=BB323_318 Depth=1
	v_and_b32_e32 v23, 7, v9
	v_ffbh_u32_e32 v33, v23
	v_min_u32_e32 v36, 32, v33
	v_subrev_u32_e32 v33, 28, v36
	v_lshlrev_b64 v[33:34], v33, v[9:10]
	v_lshrrev_b32_e32 v35, 3, v19
	v_sub_u32_e32 v34, 29, v36
	v_and_b32_e32 v33, 7, v33
	v_cmp_gt_u32_e32 vcc, 8, v19
	v_cndmask_b32_e32 v19, v35, v34, vcc
	v_cndmask_b32_e32 v23, v23, v33, vcc
	v_lshlrev_b32_e32 v9, 24, v9
	v_bfrev_b32_e32 v21, 60
	v_lshlrev_b32_e32 v23, 20, v23
	v_and_b32_e32 v9, 0x80000000, v9
	v_lshl_add_u32 v19, v19, 23, v21
	v_or3_b32 v23, v9, v19, v23
.LBB323_358:                            ;   in Loop: Header=BB323_318 Depth=1
	s_or_b64 exec, exec, s[14:15]
.LBB323_359:                            ;   in Loop: Header=BB323_318 Depth=1
	s_or_b64 exec, exec, s[12:13]
.LBB323_360:                            ;   in Loop: Header=BB323_318 Depth=1
	s_or_b64 exec, exec, s[0:1]
	v_cmp_lt_u64_e32 vcc, s[4:5], v[17:18]
	v_mov_b32_e32 v17, 0
	s_and_saveexec_b64 s[0:1], vcc
	s_cbranch_execz .LBB323_366
; %bb.361:                              ;   in Loop: Header=BB323_318 Depth=1
	v_lshrrev_b32_e32 v9, 24, v18
	v_cmp_ne_u32_e32 vcc, s24, v9
	v_bfrev_b32_e32 v17, 1
	s_and_saveexec_b64 s[12:13], vcc
	s_cbranch_execz .LBB323_365
; %bb.362:                              ;   in Loop: Header=BB323_318 Depth=1
	v_bfe_u32 v18, v18, 24, 7
	v_cmp_ne_u32_e32 vcc, s25, v18
	v_mov_b32_e32 v17, 0x7f800001
	s_and_saveexec_b64 s[14:15], vcc
	s_cbranch_execz .LBB323_364
; %bb.363:                              ;   in Loop: Header=BB323_318 Depth=1
	v_and_b32_e32 v17, 7, v9
	v_ffbh_u32_e32 v33, v17
	v_min_u32_e32 v35, 32, v33
	v_subrev_u32_e32 v33, 28, v35
	v_lshlrev_b64 v[33:34], v33, v[9:10]
	v_lshrrev_b32_e32 v19, 3, v18
	v_sub_u32_e32 v34, 29, v35
	v_and_b32_e32 v33, 7, v33
	v_cmp_gt_u32_e32 vcc, 8, v18
	v_cndmask_b32_e32 v18, v19, v34, vcc
	v_cndmask_b32_e32 v17, v17, v33, vcc
	v_lshlrev_b32_e32 v9, 24, v9
	v_bfrev_b32_e32 v19, 60
	v_lshlrev_b32_e32 v17, 20, v17
	v_and_b32_e32 v9, 0x80000000, v9
	v_lshl_add_u32 v18, v18, 23, v19
	v_or3_b32 v17, v9, v18, v17
.LBB323_364:                            ;   in Loop: Header=BB323_318 Depth=1
	s_or_b64 exec, exec, s[14:15]
.LBB323_365:                            ;   in Loop: Header=BB323_318 Depth=1
	s_or_b64 exec, exec, s[12:13]
.LBB323_366:                            ;   in Loop: Header=BB323_318 Depth=1
	s_or_b64 exec, exec, s[0:1]
	buffer_load_dword v9, off, s[48:51], 0  ; 4-byte Folded Reload
	s_waitcnt lgkmcnt(0)
	v_mul_f32_e32 v0, s18, v0
	v_add_u32_e32 v50, -7, v31
	s_waitcnt vmcnt(0)
	v_cmp_eq_u32_e32 vcc, s19, v9
	v_mul_f32_e32 v9, s18, v24
	v_bfe_u32 v18, v9, 16, 1
	v_add3_u32 v18, v18, v9, s26
	v_or_b32_e32 v19, 0x400000, v9
	v_cmp_u_f32_e64 s[0:1], v9, v9
	v_cndmask_b32_e64 v9, v18, v19, s[0:1]
	v_lshrrev_b32_e32 v9, 16, v9
	buffer_store_dword v9, off, s[48:51], 0 offset:4 ; 4-byte Folded Spill
	v_mul_f32_e32 v9, s18, v22
	v_bfe_u32 v18, v9, 16, 1
	v_add3_u32 v18, v18, v9, s26
	v_or_b32_e32 v19, 0x400000, v9
	v_cmp_u_f32_e64 s[0:1], v9, v9
	v_cndmask_b32_e64 v9, v18, v19, s[0:1]
	v_lshrrev_b32_e32 v9, 16, v9
	buffer_store_dword v9, off, s[48:51], 0 offset:8 ; 4-byte Folded Spill
	;; [unrolled: 8-line block ×4, first 2 shown]
	v_bfe_u32 v9, v0, 16, 1
	v_add3_u32 v9, v9, v0, s26
	v_or_b32_e32 v12, 0x400000, v0
	v_cmp_u_f32_e64 s[0:1], v0, v0
	v_cndmask_b32_e64 v0, v9, v12, s[0:1]
	v_lshrrev_b32_e32 v0, 16, v0
	buffer_store_dword v0, off, s[48:51], 0 offset:28 ; 4-byte Folded Spill
	v_mul_f32_e32 v0, s18, v11
	v_bfe_u32 v9, v0, 16, 1
	v_add3_u32 v9, v9, v0, s26
	v_or_b32_e32 v11, 0x400000, v0
	v_cmp_u_f32_e64 s[0:1], v0, v0
	v_cndmask_b32_e64 v0, v9, v11, s[0:1]
	v_lshrrev_b32_e32 v0, 16, v0
	buffer_store_dword v0, off, s[48:51], 0 offset:32 ; 4-byte Folded Spill
	v_mul_f32_e32 v0, s18, v23
	;; [unrolled: 8-line block ×3, first 2 shown]
	v_bfe_u32 v9, v0, 16, 1
	v_add3_u32 v9, v9, v0, s26
	v_or_b32_e32 v11, 0x400000, v0
	v_cmp_u_f32_e64 s[0:1], v0, v0
	v_cndmask_b32_e64 v0, v9, v11, s[0:1]
	v_lshrrev_b32_e32 v0, 16, v0
	buffer_store_dword v0, off, s[48:51], 0 offset:24 ; 4-byte Folded Spill
	s_and_saveexec_b64 s[12:13], vcc
	s_cbranch_execz .LBB323_368
; %bb.367:                              ;   in Loop: Header=BB323_318 Depth=1
	buffer_load_dword v0, off, s[48:51], 0 offset:32 ; 4-byte Folded Reload
	v_cmp_gt_i32_e64 s[0:1], s30, v50
	s_waitcnt vmcnt(0)
	v_cndmask_b32_e64 v0, 0, v0, s[0:1]
	buffer_store_dword v0, off, s[48:51], 0 offset:32 ; 4-byte Folded Spill
	v_add_u32_e32 v0, -6, v31
	v_cmp_gt_i32_e64 s[0:1], s30, v0
	buffer_load_dword v0, off, s[48:51], 0 offset:28 ; 4-byte Folded Reload
	s_waitcnt vmcnt(0)
	v_cndmask_b32_e64 v0, 0, v0, s[0:1]
	buffer_store_dword v0, off, s[48:51], 0 offset:28 ; 4-byte Folded Spill
	v_add_u32_e32 v0, -5, v31
	v_cmp_gt_i32_e64 s[0:1], s30, v0
	buffer_load_dword v0, off, s[48:51], 0 offset:20 ; 4-byte Folded Reload
	;; [unrolled: 6-line block ×6, first 2 shown]
	s_waitcnt vmcnt(0)
	v_cndmask_b32_e64 v0, 0, v0, s[0:1]
	buffer_store_dword v0, off, s[48:51], 0 offset:12 ; 4-byte Folded Spill
	buffer_load_dword v0, off, s[48:51], 0 offset:24 ; 4-byte Folded Reload
	v_cmp_gt_i32_e64 s[0:1], s30, v31
	s_waitcnt vmcnt(0)
	v_cndmask_b32_e64 v0, 0, v0, s[0:1]
	buffer_store_dword v0, off, s[48:51], 0 offset:24 ; 4-byte Folded Spill
.LBB323_368:                            ;   in Loop: Header=BB323_318 Depth=1
	s_or_b64 exec, exec, s[12:13]
	global_load_dwordx2 v[17:18], v[15:16], off offset:512
	v_mov_b32_e32 v12, 0
	v_mov_b32_e32 v11, 0
	s_waitcnt vmcnt(0)
	v_cmp_ne_u16_sdwa s[0:1], v17, v10 src0_sel:BYTE_0 src1_sel:DWORD
	s_and_saveexec_b64 s[12:13], s[0:1]
	s_cbranch_execz .LBB323_374
; %bb.369:                              ;   in Loop: Header=BB323_318 Depth=1
	v_cmp_ne_u16_sdwa s[0:1], v17, s24 src0_sel:BYTE_0 src1_sel:DWORD
	v_bfrev_b32_e32 v11, 1
	s_and_saveexec_b64 s[14:15], s[0:1]
	s_cbranch_execz .LBB323_373
; %bb.370:                              ;   in Loop: Header=BB323_318 Depth=1
	v_and_b32_e32 v0, 0x7f, v17
	v_cmp_ne_u32_e64 s[0:1], s25, v0
	v_mov_b32_e32 v11, 0x7f800001
	s_and_saveexec_b64 s[16:17], s[0:1]
	s_cbranch_execz .LBB323_372
; %bb.371:                              ;   in Loop: Header=BB323_318 Depth=1
	v_and_b32_e32 v9, 7, v17
	v_ffbh_u32_e32 v9, v9
	v_min_u32_e32 v9, 32, v9
	v_lshrrev_b32_e32 v11, 3, v0
	v_subrev_u32_e32 v19, 28, v9
	v_sub_u32_e32 v9, 29, v9
	v_cmp_gt_u32_e64 s[0:1], 8, v0
	v_cndmask_b32_e64 v0, v11, v9, s[0:1]
	v_cndmask_b32_e64 v9, 0, v19, s[0:1]
	v_lshlrev_b64 v[19:20], v9, v[17:18]
	v_lshlrev_b32_e32 v11, 24, v17
	v_lshlrev_b32_e32 v9, 20, v19
	v_bfrev_b32_e32 v19, 60
	v_and_b32_e32 v9, 0x700000, v9
	v_and_b32_e32 v11, 0x80000000, v11
	v_lshl_add_u32 v0, v0, 23, v19
	v_or3_b32 v11, v11, v0, v9
.LBB323_372:                            ;   in Loop: Header=BB323_318 Depth=1
	s_or_b64 exec, exec, s[16:17]
.LBB323_373:                            ;   in Loop: Header=BB323_318 Depth=1
	s_or_b64 exec, exec, s[14:15]
.LBB323_374:                            ;   in Loop: Header=BB323_318 Depth=1
	s_or_b64 exec, exec, s[12:13]
	v_lshrrev_b16_e32 v9, 8, v17
	v_cmp_ne_u16_e64 s[0:1], 0, v9
	s_and_saveexec_b64 s[12:13], s[0:1]
	s_cbranch_execz .LBB323_380
; %bb.375:                              ;   in Loop: Header=BB323_318 Depth=1
	v_cmp_ne_u16_e64 s[0:1], s24, v9
	v_bfrev_b32_e32 v12, 1
	s_and_saveexec_b64 s[14:15], s[0:1]
	s_cbranch_execz .LBB323_379
; %bb.376:                              ;   in Loop: Header=BB323_318 Depth=1
	v_and_b32_e32 v0, 0x7f, v9
	v_cmp_ne_u32_e64 s[0:1], s25, v0
	v_mov_b32_e32 v12, 0x7f800001
	s_and_saveexec_b64 s[16:17], s[0:1]
	s_cbranch_execz .LBB323_378
; %bb.377:                              ;   in Loop: Header=BB323_318 Depth=1
	v_and_b32_e32 v12, 7, v9
	v_ffbh_u32_e32 v19, v12
	v_min_u32_e32 v23, 32, v19
	v_subrev_u32_e32 v19, 28, v23
	v_lshlrev_b64 v[19:20], v19, v[9:10]
	v_lshrrev_b32_e32 v22, 3, v0
	v_sub_u32_e32 v9, 29, v23
	v_and_b32_e32 v19, 7, v19
	v_cmp_gt_u32_e64 s[0:1], 8, v0
	v_cndmask_b32_e64 v0, v22, v9, s[0:1]
	v_cndmask_b32_e64 v9, v12, v19, s[0:1]
	v_lshlrev_b32_e32 v12, 16, v17
	v_bfrev_b32_e32 v19, 60
	v_lshlrev_b32_e32 v9, 20, v9
	v_and_b32_e32 v12, 0x80000000, v12
	v_lshl_add_u32 v0, v0, 23, v19
	v_or3_b32 v12, v12, v0, v9
.LBB323_378:                            ;   in Loop: Header=BB323_318 Depth=1
	s_or_b64 exec, exec, s[16:17]
.LBB323_379:                            ;   in Loop: Header=BB323_318 Depth=1
	s_or_b64 exec, exec, s[14:15]
.LBB323_380:                            ;   in Loop: Header=BB323_318 Depth=1
	s_or_b64 exec, exec, s[12:13]
	v_lshrrev_b32_e32 v9, 16, v17
	v_cmp_ne_u16_sdwa s[0:1], v9, v10 src0_sel:BYTE_0 src1_sel:DWORD
	v_mov_b32_e32 v22, 0
	v_mov_b32_e32 v20, 0
	s_and_saveexec_b64 s[12:13], s[0:1]
	s_cbranch_execz .LBB323_386
; %bb.381:                              ;   in Loop: Header=BB323_318 Depth=1
	v_cmp_ne_u16_sdwa s[0:1], v9, s24 src0_sel:BYTE_0 src1_sel:DWORD
	v_bfrev_b32_e32 v20, 1
	s_and_saveexec_b64 s[14:15], s[0:1]
	s_cbranch_execz .LBB323_385
; %bb.382:                              ;   in Loop: Header=BB323_318 Depth=1
	v_bfe_u32 v0, v17, 16, 7
	v_cmp_ne_u32_e64 s[0:1], s25, v0
	v_mov_b32_e32 v20, 0x7f800001
	s_and_saveexec_b64 s[16:17], s[0:1]
	s_cbranch_execz .LBB323_384
; %bb.383:                              ;   in Loop: Header=BB323_318 Depth=1
	v_and_b32_e32 v23, 7, v9
	v_ffbh_u32_e32 v19, v23
	v_min_u32_e32 v33, 32, v19
	v_subrev_u32_e32 v19, 28, v33
	v_lshlrev_b64 v[19:20], v19, v[9:10]
	v_lshrrev_b32_e32 v24, 3, v0
	v_sub_u32_e32 v20, 29, v33
	v_and_b32_e32 v19, 7, v19
	v_cmp_gt_u32_e64 s[0:1], 8, v0
	v_cndmask_b32_e64 v0, v24, v20, s[0:1]
	v_cndmask_b32_e64 v19, v23, v19, s[0:1]
	v_lshlrev_b32_e32 v9, 24, v9
	v_bfrev_b32_e32 v20, 60
	v_lshlrev_b32_e32 v19, 20, v19
	v_and_b32_e32 v9, 0x80000000, v9
	v_lshl_add_u32 v0, v0, 23, v20
	v_or3_b32 v20, v9, v0, v19
.LBB323_384:                            ;   in Loop: Header=BB323_318 Depth=1
	s_or_b64 exec, exec, s[16:17]
.LBB323_385:                            ;   in Loop: Header=BB323_318 Depth=1
	s_or_b64 exec, exec, s[14:15]
.LBB323_386:                            ;   in Loop: Header=BB323_318 Depth=1
	s_or_b64 exec, exec, s[12:13]
	v_cmp_lt_u32_e64 s[0:1], s5, v17
	s_and_saveexec_b64 s[12:13], s[0:1]
	s_cbranch_execz .LBB323_392
; %bb.387:                              ;   in Loop: Header=BB323_318 Depth=1
	v_lshrrev_b32_e32 v9, 24, v17
	v_cmp_ne_u32_e64 s[0:1], s24, v9
	v_bfrev_b32_e32 v22, 1
	s_and_saveexec_b64 s[14:15], s[0:1]
	s_cbranch_execz .LBB323_391
; %bb.388:                              ;   in Loop: Header=BB323_318 Depth=1
	v_bfe_u32 v0, v17, 24, 7
	v_cmp_ne_u32_e64 s[0:1], s25, v0
	v_mov_b32_e32 v22, 0x7f800001
	s_and_saveexec_b64 s[16:17], s[0:1]
	s_cbranch_execz .LBB323_390
; %bb.389:                              ;   in Loop: Header=BB323_318 Depth=1
	v_and_b32_e32 v19, 7, v9
	v_ffbh_u32_e32 v22, v19
	v_min_u32_e32 v33, 32, v22
	v_subrev_u32_e32 v22, 28, v33
	v_lshlrev_b64 v[22:23], v22, v[9:10]
	v_lshrrev_b32_e32 v24, 3, v0
	v_sub_u32_e32 v23, 29, v33
	v_and_b32_e32 v22, 7, v22
	v_cmp_gt_u32_e64 s[0:1], 8, v0
	v_cndmask_b32_e64 v0, v24, v23, s[0:1]
	v_cndmask_b32_e64 v19, v19, v22, s[0:1]
	v_lshlrev_b32_e32 v9, 24, v9
	v_bfrev_b32_e32 v21, 60
	v_lshlrev_b32_e32 v19, 20, v19
	v_and_b32_e32 v9, 0x80000000, v9
	v_lshl_add_u32 v0, v0, 23, v21
	v_or3_b32 v22, v9, v0, v19
.LBB323_390:                            ;   in Loop: Header=BB323_318 Depth=1
	s_or_b64 exec, exec, s[16:17]
.LBB323_391:                            ;   in Loop: Header=BB323_318 Depth=1
	s_or_b64 exec, exec, s[14:15]
.LBB323_392:                            ;   in Loop: Header=BB323_318 Depth=1
	s_or_b64 exec, exec, s[12:13]
	v_mov_b32_e32 v9, v18
	v_cmp_ne_u16_sdwa s[0:1], v18, v10 src0_sel:BYTE_0 src1_sel:DWORD
	v_mov_b32_e32 v24, 0
	v_mov_b32_e32 v23, 0
	s_and_saveexec_b64 s[12:13], s[0:1]
	s_cbranch_execz .LBB323_398
; %bb.393:                              ;   in Loop: Header=BB323_318 Depth=1
	v_cmp_ne_u16_sdwa s[0:1], v18, s24 src0_sel:BYTE_0 src1_sel:DWORD
	v_bfrev_b32_e32 v23, 1
	s_and_saveexec_b64 s[14:15], s[0:1]
	s_cbranch_execz .LBB323_397
; %bb.394:                              ;   in Loop: Header=BB323_318 Depth=1
	v_and_b32_e32 v0, 0x7f, v18
	v_cmp_ne_u32_e64 s[0:1], s25, v0
	v_mov_b32_e32 v23, 0x7f800001
	s_and_saveexec_b64 s[16:17], s[0:1]
	s_cbranch_execz .LBB323_396
; %bb.395:                              ;   in Loop: Header=BB323_318 Depth=1
	v_and_b32_e32 v19, 7, v18
	v_ffbh_u32_e32 v19, v19
	v_min_u32_e32 v19, 32, v19
	v_lshrrev_b32_e32 v23, 3, v0
	v_subrev_u32_e32 v33, 28, v19
	v_sub_u32_e32 v19, 29, v19
	v_cmp_gt_u32_e64 s[0:1], 8, v0
	v_cndmask_b32_e64 v0, v23, v19, s[0:1]
	v_cndmask_b32_e64 v19, 0, v33, s[0:1]
	v_lshlrev_b64 v[33:34], v19, v[9:10]
	v_lshlrev_b32_e32 v23, 24, v9
	v_lshlrev_b32_e32 v19, 20, v33
	v_bfrev_b32_e32 v21, 60
	v_and_b32_e32 v19, 0x700000, v19
	v_and_b32_e32 v23, 0x80000000, v23
	v_lshl_add_u32 v0, v0, 23, v21
	v_or3_b32 v23, v23, v0, v19
.LBB323_396:                            ;   in Loop: Header=BB323_318 Depth=1
	s_or_b64 exec, exec, s[16:17]
.LBB323_397:                            ;   in Loop: Header=BB323_318 Depth=1
	s_or_b64 exec, exec, s[14:15]
.LBB323_398:                            ;   in Loop: Header=BB323_318 Depth=1
	s_or_b64 exec, exec, s[12:13]
	v_lshrrev_b16_e32 v19, 8, v9
	v_cmp_ne_u16_e64 s[0:1], 0, v19
	s_and_saveexec_b64 s[12:13], s[0:1]
	s_cbranch_execz .LBB323_404
; %bb.399:                              ;   in Loop: Header=BB323_318 Depth=1
	v_cmp_ne_u16_e64 s[0:1], s24, v19
	v_bfrev_b32_e32 v24, 1
	s_and_saveexec_b64 s[14:15], s[0:1]
	s_cbranch_execz .LBB323_403
; %bb.400:                              ;   in Loop: Header=BB323_318 Depth=1
	v_and_b32_e32 v0, 0x7f, v19
	v_cmp_ne_u32_e64 s[0:1], s25, v0
	v_mov_b32_e32 v24, 0x7f800001
	s_and_saveexec_b64 s[16:17], s[0:1]
	s_cbranch_execz .LBB323_402
; %bb.401:                              ;   in Loop: Header=BB323_318 Depth=1
	v_and_b32_e32 v24, 7, v19
	v_ffbh_u32_e32 v33, v24
	v_min_u32_e32 v36, 32, v33
	v_subrev_u32_e32 v33, 28, v36
	v_lshlrev_b64 v[33:34], v33, v[19:20]
	v_lshrrev_b32_e32 v35, 3, v0
	v_sub_u32_e32 v19, 29, v36
	v_and_b32_e32 v33, 7, v33
	v_cmp_gt_u32_e64 s[0:1], 8, v0
	v_cndmask_b32_e64 v0, v35, v19, s[0:1]
	v_cndmask_b32_e64 v19, v24, v33, s[0:1]
	v_lshlrev_b32_e32 v9, 16, v9
	v_bfrev_b32_e32 v21, 60
	v_lshlrev_b32_e32 v19, 20, v19
	v_and_b32_e32 v9, 0x80000000, v9
	v_lshl_add_u32 v0, v0, 23, v21
	v_or3_b32 v24, v9, v0, v19
.LBB323_402:                            ;   in Loop: Header=BB323_318 Depth=1
	s_or_b64 exec, exec, s[16:17]
.LBB323_403:                            ;   in Loop: Header=BB323_318 Depth=1
	s_or_b64 exec, exec, s[14:15]
.LBB323_404:                            ;   in Loop: Header=BB323_318 Depth=1
	s_or_b64 exec, exec, s[12:13]
	v_lshrrev_b32_e32 v9, 16, v18
	v_cmp_ne_u16_sdwa s[0:1], v9, v10 src0_sel:BYTE_0 src1_sel:DWORD
	v_mov_b32_e32 v0, 0
	v_mov_b32_e32 v19, 0
	s_and_saveexec_b64 s[12:13], s[0:1]
	s_cbranch_execz .LBB323_410
; %bb.405:                              ;   in Loop: Header=BB323_318 Depth=1
	v_cmp_ne_u16_sdwa s[0:1], v9, s24 src0_sel:BYTE_0 src1_sel:DWORD
	v_bfrev_b32_e32 v19, 1
	s_and_saveexec_b64 s[14:15], s[0:1]
	s_cbranch_execz .LBB323_409
; %bb.406:                              ;   in Loop: Header=BB323_318 Depth=1
	v_bfe_u32 v33, v18, 16, 7
	v_cmp_ne_u32_e64 s[0:1], s25, v33
	v_mov_b32_e32 v19, 0x7f800001
	s_and_saveexec_b64 s[16:17], s[0:1]
	s_cbranch_execz .LBB323_408
; %bb.407:                              ;   in Loop: Header=BB323_318 Depth=1
	v_and_b32_e32 v19, 7, v9
	v_ffbh_u32_e32 v34, v19
	v_min_u32_e32 v37, 32, v34
	v_subrev_u32_e32 v34, 28, v37
	v_lshlrev_b64 v[34:35], v34, v[9:10]
	v_lshrrev_b32_e32 v36, 3, v33
	v_sub_u32_e32 v35, 29, v37
	v_and_b32_e32 v34, 7, v34
	v_cmp_gt_u32_e64 s[0:1], 8, v33
	v_cndmask_b32_e64 v33, v36, v35, s[0:1]
	v_cndmask_b32_e64 v19, v19, v34, s[0:1]
	v_lshlrev_b32_e32 v9, 24, v9
	v_bfrev_b32_e32 v21, 60
	v_lshlrev_b32_e32 v19, 20, v19
	v_and_b32_e32 v9, 0x80000000, v9
	v_lshl_add_u32 v33, v33, 23, v21
	v_or3_b32 v19, v9, v33, v19
.LBB323_408:                            ;   in Loop: Header=BB323_318 Depth=1
	s_or_b64 exec, exec, s[16:17]
.LBB323_409:                            ;   in Loop: Header=BB323_318 Depth=1
	s_or_b64 exec, exec, s[14:15]
.LBB323_410:                            ;   in Loop: Header=BB323_318 Depth=1
	s_or_b64 exec, exec, s[12:13]
	v_cmp_lt_u64_e64 s[0:1], s[4:5], v[17:18]
	s_and_saveexec_b64 s[12:13], s[0:1]
	s_cbranch_execz .LBB323_416
; %bb.411:                              ;   in Loop: Header=BB323_318 Depth=1
	v_lshrrev_b32_e32 v9, 24, v18
	v_cmp_ne_u32_e64 s[0:1], s24, v9
	v_bfrev_b32_e32 v0, 1
	s_and_saveexec_b64 s[14:15], s[0:1]
	s_cbranch_execz .LBB323_415
; %bb.412:                              ;   in Loop: Header=BB323_318 Depth=1
	v_bfe_u32 v17, v18, 24, 7
	v_cmp_ne_u32_e64 s[0:1], s25, v17
	v_mov_b32_e32 v0, 0x7f800001
	s_and_saveexec_b64 s[16:17], s[0:1]
	s_cbranch_execz .LBB323_414
; %bb.413:                              ;   in Loop: Header=BB323_318 Depth=1
	v_and_b32_e32 v0, 7, v9
	v_ffbh_u32_e32 v33, v0
	v_min_u32_e32 v35, 32, v33
	v_subrev_u32_e32 v33, 28, v35
	v_lshlrev_b64 v[33:34], v33, v[9:10]
	v_lshrrev_b32_e32 v18, 3, v17
	v_sub_u32_e32 v34, 29, v35
	v_and_b32_e32 v33, 7, v33
	v_cmp_gt_u32_e64 s[0:1], 8, v17
	v_cndmask_b32_e64 v17, v18, v34, s[0:1]
	v_cndmask_b32_e64 v0, v0, v33, s[0:1]
	v_lshlrev_b32_e32 v9, 24, v9
	v_bfrev_b32_e32 v18, 60
	v_lshlrev_b32_e32 v0, 20, v0
	v_and_b32_e32 v9, 0x80000000, v9
	v_lshl_add_u32 v17, v17, 23, v18
	v_or3_b32 v0, v9, v17, v0
.LBB323_414:                            ;   in Loop: Header=BB323_318 Depth=1
	s_or_b64 exec, exec, s[16:17]
.LBB323_415:                            ;   in Loop: Header=BB323_318 Depth=1
	s_or_b64 exec, exec, s[14:15]
.LBB323_416:                            ;   in Loop: Header=BB323_318 Depth=1
	s_or_b64 exec, exec, s[12:13]
	v_mul_f32_e32 v9, s18, v24
	v_bfe_u32 v17, v9, 16, 1
	v_add3_u32 v17, v17, v9, s26
	v_or_b32_e32 v18, 0x400000, v9
	v_cmp_u_f32_e64 s[0:1], v9, v9
	v_cndmask_b32_e64 v9, v17, v18, s[0:1]
	v_lshrrev_b32_e32 v9, 16, v9
	buffer_store_dword v9, off, s[48:51], 0 offset:36 ; 4-byte Folded Spill
	v_mul_f32_e32 v9, s18, v23
	v_bfe_u32 v17, v9, 16, 1
	v_add3_u32 v17, v17, v9, s26
	v_or_b32_e32 v18, 0x400000, v9
	v_cmp_u_f32_e64 s[0:1], v9, v9
	v_cndmask_b32_e64 v9, v17, v18, s[0:1]
	v_lshrrev_b32_e32 v9, 16, v9
	buffer_store_dword v9, off, s[48:51], 0 offset:40 ; 4-byte Folded Spill
	v_mul_f32_e32 v9, s18, v22
	v_bfe_u32 v17, v9, 16, 1
	v_add3_u32 v17, v17, v9, s26
	v_or_b32_e32 v18, 0x400000, v9
	v_cmp_u_f32_e64 s[0:1], v9, v9
	v_cndmask_b32_e64 v9, v17, v18, s[0:1]
	v_lshrrev_b32_e32 v51, 16, v9
	v_mul_f32_e32 v9, s18, v20
	v_bfe_u32 v17, v9, 16, 1
	v_add3_u32 v17, v17, v9, s26
	v_or_b32_e32 v18, 0x400000, v9
	v_cmp_u_f32_e64 s[0:1], v9, v9
	v_cndmask_b32_e64 v9, v17, v18, s[0:1]
	v_lshrrev_b32_e32 v52, 16, v9
	;; [unrolled: 7-line block ×5, first 2 shown]
	v_mul_f32_e32 v0, s18, v0
	buffer_store_dword v9, off, s[48:51], 0 offset:44 ; 4-byte Folded Spill
	v_bfe_u32 v9, v0, 16, 1
	v_add3_u32 v9, v9, v0, s26
	v_or_b32_e32 v11, 0x400000, v0
	v_cmp_u_f32_e64 s[0:1], v0, v0
	v_cndmask_b32_e64 v0, v9, v11, s[0:1]
	v_lshrrev_b32_e32 v53, 16, v0
	s_and_saveexec_b64 s[12:13], vcc
	s_cbranch_execz .LBB323_418
; %bb.417:                              ;   in Loop: Header=BB323_318 Depth=1
	v_cmp_gt_i32_e64 s[0:1], s30, v50
	v_add_u32_e32 v0, -6, v31
	v_cndmask_b32_e64 v55, 0, v55, s[0:1]
	v_cmp_gt_i32_e64 s[0:1], s30, v0
	v_add_u32_e32 v0, -5, v31
	v_cndmask_b32_e64 v54, 0, v54, s[0:1]
	;; [unrolled: 3-line block ×4, first 2 shown]
	v_cmp_gt_i32_e64 s[0:1], s30, v0
	buffer_load_dword v0, off, s[48:51], 0 offset:40 ; 4-byte Folded Reload
	s_waitcnt vmcnt(0)
	v_cndmask_b32_e64 v0, 0, v0, s[0:1]
	buffer_store_dword v0, off, s[48:51], 0 offset:40 ; 4-byte Folded Spill
	v_add_u32_e32 v0, -2, v31
	v_cmp_gt_i32_e64 s[0:1], s30, v0
	buffer_load_dword v0, off, s[48:51], 0 offset:36 ; 4-byte Folded Reload
	s_waitcnt vmcnt(0)
	v_cndmask_b32_e64 v0, 0, v0, s[0:1]
	buffer_store_dword v0, off, s[48:51], 0 offset:36 ; 4-byte Folded Spill
	v_add_u32_e32 v0, -1, v31
	v_cmp_gt_i32_e64 s[0:1], s30, v0
	buffer_load_dword v0, off, s[48:51], 0 offset:44 ; 4-byte Folded Reload
	s_waitcnt vmcnt(0)
	v_cndmask_b32_e64 v0, 0, v0, s[0:1]
	v_cmp_gt_i32_e64 s[0:1], s30, v31
	v_cndmask_b32_e64 v53, 0, v53, s[0:1]
	buffer_store_dword v0, off, s[48:51], 0 offset:44 ; 4-byte Folded Spill
.LBB323_418:                            ;   in Loop: Header=BB323_318 Depth=1
	s_or_b64 exec, exec, s[12:13]
	global_load_dwordx2 v[17:18], v[15:16], off offset:1024
	v_mov_b32_e32 v12, 0
	v_mov_b32_e32 v11, 0
	s_waitcnt vmcnt(0)
	v_cmp_ne_u16_sdwa s[0:1], v17, v10 src0_sel:BYTE_0 src1_sel:DWORD
	s_and_saveexec_b64 s[12:13], s[0:1]
	s_cbranch_execz .LBB323_424
; %bb.419:                              ;   in Loop: Header=BB323_318 Depth=1
	v_cmp_ne_u16_sdwa s[0:1], v17, s24 src0_sel:BYTE_0 src1_sel:DWORD
	v_bfrev_b32_e32 v11, 1
	s_and_saveexec_b64 s[14:15], s[0:1]
	s_cbranch_execz .LBB323_423
; %bb.420:                              ;   in Loop: Header=BB323_318 Depth=1
	v_and_b32_e32 v0, 0x7f, v17
	v_cmp_ne_u32_e64 s[0:1], s25, v0
	v_mov_b32_e32 v11, 0x7f800001
	s_and_saveexec_b64 s[16:17], s[0:1]
	s_cbranch_execz .LBB323_422
; %bb.421:                              ;   in Loop: Header=BB323_318 Depth=1
	v_and_b32_e32 v9, 7, v17
	v_ffbh_u32_e32 v9, v9
	v_min_u32_e32 v9, 32, v9
	v_lshrrev_b32_e32 v11, 3, v0
	v_subrev_u32_e32 v19, 28, v9
	v_sub_u32_e32 v9, 29, v9
	v_cmp_gt_u32_e64 s[0:1], 8, v0
	v_cndmask_b32_e64 v0, v11, v9, s[0:1]
	v_cndmask_b32_e64 v9, 0, v19, s[0:1]
	v_lshlrev_b64 v[19:20], v9, v[17:18]
	v_lshlrev_b32_e32 v11, 24, v17
	v_lshlrev_b32_e32 v9, 20, v19
	v_bfrev_b32_e32 v19, 60
	v_and_b32_e32 v9, 0x700000, v9
	v_and_b32_e32 v11, 0x80000000, v11
	v_lshl_add_u32 v0, v0, 23, v19
	v_or3_b32 v11, v11, v0, v9
.LBB323_422:                            ;   in Loop: Header=BB323_318 Depth=1
	s_or_b64 exec, exec, s[16:17]
.LBB323_423:                            ;   in Loop: Header=BB323_318 Depth=1
	s_or_b64 exec, exec, s[14:15]
.LBB323_424:                            ;   in Loop: Header=BB323_318 Depth=1
	s_or_b64 exec, exec, s[12:13]
	v_lshrrev_b16_e32 v9, 8, v17
	v_cmp_ne_u16_e64 s[0:1], 0, v9
	s_and_saveexec_b64 s[12:13], s[0:1]
	s_cbranch_execz .LBB323_430
; %bb.425:                              ;   in Loop: Header=BB323_318 Depth=1
	v_cmp_ne_u16_e64 s[0:1], s24, v9
	v_bfrev_b32_e32 v12, 1
	s_and_saveexec_b64 s[14:15], s[0:1]
	s_cbranch_execz .LBB323_429
; %bb.426:                              ;   in Loop: Header=BB323_318 Depth=1
	v_and_b32_e32 v0, 0x7f, v9
	v_cmp_ne_u32_e64 s[0:1], s25, v0
	v_mov_b32_e32 v12, 0x7f800001
	s_and_saveexec_b64 s[16:17], s[0:1]
	s_cbranch_execz .LBB323_428
; %bb.427:                              ;   in Loop: Header=BB323_318 Depth=1
	v_and_b32_e32 v12, 7, v9
	v_ffbh_u32_e32 v19, v12
	v_min_u32_e32 v23, 32, v19
	v_subrev_u32_e32 v19, 28, v23
	v_lshlrev_b64 v[19:20], v19, v[9:10]
	v_lshrrev_b32_e32 v22, 3, v0
	v_sub_u32_e32 v9, 29, v23
	v_and_b32_e32 v19, 7, v19
	v_cmp_gt_u32_e64 s[0:1], 8, v0
	v_cndmask_b32_e64 v0, v22, v9, s[0:1]
	v_cndmask_b32_e64 v9, v12, v19, s[0:1]
	v_lshlrev_b32_e32 v12, 16, v17
	v_bfrev_b32_e32 v19, 60
	v_lshlrev_b32_e32 v9, 20, v9
	v_and_b32_e32 v12, 0x80000000, v12
	v_lshl_add_u32 v0, v0, 23, v19
	v_or3_b32 v12, v12, v0, v9
.LBB323_428:                            ;   in Loop: Header=BB323_318 Depth=1
	s_or_b64 exec, exec, s[16:17]
.LBB323_429:                            ;   in Loop: Header=BB323_318 Depth=1
	s_or_b64 exec, exec, s[14:15]
.LBB323_430:                            ;   in Loop: Header=BB323_318 Depth=1
	s_or_b64 exec, exec, s[12:13]
	v_lshrrev_b32_e32 v9, 16, v17
	v_cmp_ne_u16_sdwa s[0:1], v9, v10 src0_sel:BYTE_0 src1_sel:DWORD
	v_mov_b32_e32 v22, 0
	v_mov_b32_e32 v20, 0
	s_and_saveexec_b64 s[12:13], s[0:1]
	s_cbranch_execz .LBB323_436
; %bb.431:                              ;   in Loop: Header=BB323_318 Depth=1
	v_cmp_ne_u16_sdwa s[0:1], v9, s24 src0_sel:BYTE_0 src1_sel:DWORD
	v_bfrev_b32_e32 v20, 1
	s_and_saveexec_b64 s[14:15], s[0:1]
	s_cbranch_execz .LBB323_435
; %bb.432:                              ;   in Loop: Header=BB323_318 Depth=1
	v_bfe_u32 v0, v17, 16, 7
	v_cmp_ne_u32_e64 s[0:1], s25, v0
	v_mov_b32_e32 v20, 0x7f800001
	s_and_saveexec_b64 s[16:17], s[0:1]
	s_cbranch_execz .LBB323_434
; %bb.433:                              ;   in Loop: Header=BB323_318 Depth=1
	v_and_b32_e32 v23, 7, v9
	v_lshrrev_b32_e32 v24, 3, v0
	v_cmp_gt_u32_e64 s[0:1], 8, v0
	v_ffbh_u32_e32 v0, v23
	v_min_u32_e32 v0, 32, v0
	v_subrev_u32_e32 v19, 28, v0
	v_lshlrev_b64 v[19:20], v19, v[9:10]
	v_sub_u32_e32 v0, 29, v0
	v_and_b32_e32 v19, 7, v19
	v_cndmask_b32_e64 v0, v24, v0, s[0:1]
	v_cndmask_b32_e64 v19, v23, v19, s[0:1]
	v_lshlrev_b32_e32 v9, 24, v9
	v_bfrev_b32_e32 v20, 60
	v_lshlrev_b32_e32 v19, 20, v19
	v_and_b32_e32 v9, 0x80000000, v9
	v_lshl_add_u32 v0, v0, 23, v20
	v_or3_b32 v20, v9, v0, v19
.LBB323_434:                            ;   in Loop: Header=BB323_318 Depth=1
	s_or_b64 exec, exec, s[16:17]
.LBB323_435:                            ;   in Loop: Header=BB323_318 Depth=1
	s_or_b64 exec, exec, s[14:15]
.LBB323_436:                            ;   in Loop: Header=BB323_318 Depth=1
	s_or_b64 exec, exec, s[12:13]
	v_cmp_lt_u32_e64 s[0:1], s5, v17
	s_and_saveexec_b64 s[12:13], s[0:1]
	s_cbranch_execz .LBB323_442
; %bb.437:                              ;   in Loop: Header=BB323_318 Depth=1
	v_lshrrev_b32_e32 v9, 24, v17
	v_cmp_ne_u32_e64 s[0:1], s24, v9
	v_bfrev_b32_e32 v22, 1
	s_and_saveexec_b64 s[14:15], s[0:1]
	s_cbranch_execz .LBB323_441
; %bb.438:                              ;   in Loop: Header=BB323_318 Depth=1
	v_bfe_u32 v0, v17, 24, 7
	v_cmp_ne_u32_e64 s[0:1], s25, v0
	v_mov_b32_e32 v22, 0x7f800001
	s_and_saveexec_b64 s[16:17], s[0:1]
	s_cbranch_execz .LBB323_440
; %bb.439:                              ;   in Loop: Header=BB323_318 Depth=1
	v_and_b32_e32 v19, 7, v9
	v_lshrrev_b32_e32 v24, 3, v0
	v_cmp_gt_u32_e64 s[0:1], 8, v0
	v_ffbh_u32_e32 v0, v19
	v_min_u32_e32 v0, 32, v0
	v_subrev_u32_e32 v22, 28, v0
	v_lshlrev_b64 v[22:23], v22, v[9:10]
	v_sub_u32_e32 v0, 29, v0
	v_and_b32_e32 v22, 7, v22
	v_cndmask_b32_e64 v0, v24, v0, s[0:1]
	v_cndmask_b32_e64 v19, v19, v22, s[0:1]
	v_lshlrev_b32_e32 v9, 24, v9
	v_bfrev_b32_e32 v21, 60
	v_lshlrev_b32_e32 v19, 20, v19
	v_and_b32_e32 v9, 0x80000000, v9
	v_lshl_add_u32 v0, v0, 23, v21
	v_or3_b32 v22, v9, v0, v19
.LBB323_440:                            ;   in Loop: Header=BB323_318 Depth=1
	s_or_b64 exec, exec, s[16:17]
.LBB323_441:                            ;   in Loop: Header=BB323_318 Depth=1
	s_or_b64 exec, exec, s[14:15]
.LBB323_442:                            ;   in Loop: Header=BB323_318 Depth=1
	s_or_b64 exec, exec, s[12:13]
	v_mov_b32_e32 v9, v18
	v_cmp_ne_u16_sdwa s[0:1], v18, v10 src0_sel:BYTE_0 src1_sel:DWORD
	v_mov_b32_e32 v24, 0
	v_mov_b32_e32 v23, 0
	s_and_saveexec_b64 s[12:13], s[0:1]
	s_cbranch_execz .LBB323_448
; %bb.443:                              ;   in Loop: Header=BB323_318 Depth=1
	v_cmp_ne_u16_sdwa s[0:1], v18, s24 src0_sel:BYTE_0 src1_sel:DWORD
	v_bfrev_b32_e32 v23, 1
	s_and_saveexec_b64 s[14:15], s[0:1]
	s_cbranch_execz .LBB323_447
; %bb.444:                              ;   in Loop: Header=BB323_318 Depth=1
	v_and_b32_e32 v0, 0x7f, v18
	v_cmp_ne_u32_e64 s[0:1], s25, v0
	v_mov_b32_e32 v23, 0x7f800001
	s_and_saveexec_b64 s[16:17], s[0:1]
	s_cbranch_execz .LBB323_446
; %bb.445:                              ;   in Loop: Header=BB323_318 Depth=1
	v_and_b32_e32 v19, 7, v18
	v_lshrrev_b32_e32 v23, 3, v0
	v_cmp_gt_u32_e64 s[0:1], 8, v0
	v_ffbh_u32_e32 v0, v19
	v_min_u32_e32 v0, 32, v0
	v_subrev_u32_e32 v19, 28, v0
	v_cndmask_b32_e64 v19, 0, v19, s[0:1]
	v_lshlrev_b64 v[33:34], v19, v[9:10]
	v_sub_u32_e32 v0, 29, v0
	v_cndmask_b32_e64 v0, v23, v0, s[0:1]
	v_lshlrev_b32_e32 v19, 20, v33
	v_lshlrev_b32_e32 v23, 24, v9
	v_bfrev_b32_e32 v21, 60
	v_and_b32_e32 v19, 0x700000, v19
	v_and_b32_e32 v23, 0x80000000, v23
	v_lshl_add_u32 v0, v0, 23, v21
	v_or3_b32 v23, v23, v0, v19
.LBB323_446:                            ;   in Loop: Header=BB323_318 Depth=1
	s_or_b64 exec, exec, s[16:17]
.LBB323_447:                            ;   in Loop: Header=BB323_318 Depth=1
	s_or_b64 exec, exec, s[14:15]
.LBB323_448:                            ;   in Loop: Header=BB323_318 Depth=1
	s_or_b64 exec, exec, s[12:13]
	v_lshrrev_b16_e32 v19, 8, v9
	v_cmp_ne_u16_e64 s[0:1], 0, v19
	s_and_saveexec_b64 s[12:13], s[0:1]
	s_cbranch_execz .LBB323_454
; %bb.449:                              ;   in Loop: Header=BB323_318 Depth=1
	v_cmp_ne_u16_e64 s[0:1], s24, v19
	v_bfrev_b32_e32 v24, 1
	s_and_saveexec_b64 s[14:15], s[0:1]
	s_cbranch_execz .LBB323_453
; %bb.450:                              ;   in Loop: Header=BB323_318 Depth=1
	v_and_b32_e32 v0, 0x7f, v19
	v_cmp_ne_u32_e64 s[0:1], s25, v0
	v_mov_b32_e32 v24, 0x7f800001
	s_and_saveexec_b64 s[16:17], s[0:1]
	s_cbranch_execz .LBB323_452
; %bb.451:                              ;   in Loop: Header=BB323_318 Depth=1
	v_and_b32_e32 v24, 7, v19
	v_lshrrev_b32_e32 v35, 3, v0
	v_cmp_gt_u32_e64 s[0:1], 8, v0
	v_ffbh_u32_e32 v0, v24
	v_min_u32_e32 v0, 32, v0
	v_subrev_u32_e32 v33, 28, v0
	v_lshlrev_b64 v[33:34], v33, v[19:20]
	v_sub_u32_e32 v0, 29, v0
	v_and_b32_e32 v19, 7, v33
	v_cndmask_b32_e64 v0, v35, v0, s[0:1]
	v_cndmask_b32_e64 v19, v24, v19, s[0:1]
	v_lshlrev_b32_e32 v9, 16, v9
	v_bfrev_b32_e32 v21, 60
	v_lshlrev_b32_e32 v19, 20, v19
	v_and_b32_e32 v9, 0x80000000, v9
	v_lshl_add_u32 v0, v0, 23, v21
	v_or3_b32 v24, v9, v0, v19
.LBB323_452:                            ;   in Loop: Header=BB323_318 Depth=1
	s_or_b64 exec, exec, s[16:17]
.LBB323_453:                            ;   in Loop: Header=BB323_318 Depth=1
	s_or_b64 exec, exec, s[14:15]
.LBB323_454:                            ;   in Loop: Header=BB323_318 Depth=1
	s_or_b64 exec, exec, s[12:13]
	v_lshrrev_b32_e32 v9, 16, v18
	v_cmp_ne_u16_sdwa s[0:1], v9, v10 src0_sel:BYTE_0 src1_sel:DWORD
	v_mov_b32_e32 v19, 0
	v_mov_b32_e32 v0, 0
	s_and_saveexec_b64 s[12:13], s[0:1]
	s_cbranch_execz .LBB323_460
; %bb.455:                              ;   in Loop: Header=BB323_318 Depth=1
	v_cmp_ne_u16_sdwa s[0:1], v9, s24 src0_sel:BYTE_0 src1_sel:DWORD
	v_bfrev_b32_e32 v0, 1
	s_and_saveexec_b64 s[14:15], s[0:1]
	s_cbranch_execz .LBB323_459
; %bb.456:                              ;   in Loop: Header=BB323_318 Depth=1
	v_bfe_u32 v33, v18, 16, 7
	v_cmp_ne_u32_e64 s[0:1], s25, v33
	v_mov_b32_e32 v0, 0x7f800001
	s_and_saveexec_b64 s[16:17], s[0:1]
	s_cbranch_execz .LBB323_458
; %bb.457:                              ;   in Loop: Header=BB323_318 Depth=1
	v_and_b32_e32 v0, 7, v9
	v_lshrrev_b32_e32 v35, 3, v33
	v_cmp_gt_u32_e64 s[0:1], 8, v33
	v_ffbh_u32_e32 v33, v0
	v_min_u32_e32 v36, 32, v33
	v_subrev_u32_e32 v33, 28, v36
	v_lshlrev_b64 v[33:34], v33, v[9:10]
	v_sub_u32_e32 v34, 29, v36
	v_and_b32_e32 v33, 7, v33
	v_cndmask_b32_e64 v34, v35, v34, s[0:1]
	v_cndmask_b32_e64 v0, v0, v33, s[0:1]
	v_lshlrev_b32_e32 v9, 24, v9
	v_bfrev_b32_e32 v21, 60
	v_lshlrev_b32_e32 v0, 20, v0
	v_and_b32_e32 v9, 0x80000000, v9
	v_lshl_add_u32 v33, v34, 23, v21
	v_or3_b32 v0, v9, v33, v0
.LBB323_458:                            ;   in Loop: Header=BB323_318 Depth=1
	s_or_b64 exec, exec, s[16:17]
.LBB323_459:                            ;   in Loop: Header=BB323_318 Depth=1
	s_or_b64 exec, exec, s[14:15]
.LBB323_460:                            ;   in Loop: Header=BB323_318 Depth=1
	s_or_b64 exec, exec, s[12:13]
	v_cmp_lt_u64_e64 s[0:1], s[4:5], v[17:18]
	s_and_saveexec_b64 s[12:13], s[0:1]
	s_cbranch_execz .LBB323_466
; %bb.461:                              ;   in Loop: Header=BB323_318 Depth=1
	v_lshrrev_b32_e32 v9, 24, v18
	v_cmp_ne_u32_e64 s[0:1], s24, v9
	v_bfrev_b32_e32 v19, 1
	s_and_saveexec_b64 s[14:15], s[0:1]
	s_cbranch_execz .LBB323_465
; %bb.462:                              ;   in Loop: Header=BB323_318 Depth=1
	v_bfe_u32 v17, v18, 24, 7
	v_cmp_ne_u32_e64 s[0:1], s25, v17
	v_mov_b32_e32 v19, 0x7f800001
	s_and_saveexec_b64 s[16:17], s[0:1]
	s_cbranch_execz .LBB323_464
; %bb.463:                              ;   in Loop: Header=BB323_318 Depth=1
	v_and_b32_e32 v19, 7, v9
	v_lshrrev_b32_e32 v33, 3, v17
	v_cmp_gt_u32_e64 s[0:1], 8, v17
	v_ffbh_u32_e32 v17, v19
	v_min_u32_e32 v34, 32, v17
	v_subrev_u32_e32 v17, 28, v34
	v_lshlrev_b64 v[17:18], v17, v[9:10]
	v_sub_u32_e32 v18, 29, v34
	v_and_b32_e32 v17, 7, v17
	v_cndmask_b32_e64 v18, v33, v18, s[0:1]
	v_cndmask_b32_e64 v17, v19, v17, s[0:1]
	v_lshlrev_b32_e32 v9, 24, v9
	v_bfrev_b32_e32 v19, 60
	v_lshlrev_b32_e32 v17, 20, v17
	v_and_b32_e32 v9, 0x80000000, v9
	v_lshl_add_u32 v18, v18, 23, v19
	v_or3_b32 v19, v9, v18, v17
.LBB323_464:                            ;   in Loop: Header=BB323_318 Depth=1
	s_or_b64 exec, exec, s[16:17]
.LBB323_465:                            ;   in Loop: Header=BB323_318 Depth=1
	s_or_b64 exec, exec, s[14:15]
.LBB323_466:                            ;   in Loop: Header=BB323_318 Depth=1
	s_or_b64 exec, exec, s[12:13]
	v_mul_f32_e32 v9, s18, v24
	v_bfe_u32 v17, v9, 16, 1
	v_add3_u32 v17, v17, v9, s26
	v_or_b32_e32 v18, 0x400000, v9
	v_cmp_u_f32_e64 s[0:1], v9, v9
	v_cndmask_b32_e64 v9, v17, v18, s[0:1]
	v_lshrrev_b32_e32 v56, 16, v9
	v_mul_f32_e32 v9, s18, v23
	v_bfe_u32 v17, v9, 16, 1
	v_add3_u32 v17, v17, v9, s26
	v_or_b32_e32 v18, 0x400000, v9
	v_cmp_u_f32_e64 s[0:1], v9, v9
	v_cndmask_b32_e64 v9, v17, v18, s[0:1]
	v_lshrrev_b32_e32 v57, 16, v9
	v_mul_f32_e32 v9, s18, v22
	v_bfe_u32 v17, v9, 16, 1
	v_add3_u32 v17, v17, v9, s26
	v_or_b32_e32 v18, 0x400000, v9
	v_cmp_u_f32_e64 s[0:1], v9, v9
	v_cndmask_b32_e64 v9, v17, v18, s[0:1]
	v_lshrrev_b32_e32 v59, 16, v9
	v_mul_f32_e32 v9, s18, v20
	v_bfe_u32 v17, v9, 16, 1
	v_add3_u32 v17, v17, v9, s26
	v_or_b32_e32 v18, 0x400000, v9
	v_cmp_u_f32_e64 s[0:1], v9, v9
	v_cndmask_b32_e64 v9, v17, v18, s[0:1]
	v_lshrrev_b32_e32 v60, 16, v9
	v_mul_f32_e32 v9, s18, v12
	v_bfe_u32 v12, v9, 16, 1
	v_add3_u32 v12, v12, v9, s26
	v_or_b32_e32 v17, 0x400000, v9
	v_cmp_u_f32_e64 s[0:1], v9, v9
	v_cndmask_b32_e64 v9, v12, v17, s[0:1]
	v_lshrrev_b32_e32 v62, 16, v9
	v_mul_f32_e32 v9, s18, v11
	v_bfe_u32 v11, v9, 16, 1
	v_add3_u32 v11, v11, v9, s26
	v_or_b32_e32 v12, 0x400000, v9
	v_cmp_u_f32_e64 s[0:1], v9, v9
	v_cndmask_b32_e64 v9, v11, v12, s[0:1]
	v_mul_f32_e32 v0, s18, v0
	v_lshrrev_b32_e32 v63, 16, v9
	v_bfe_u32 v9, v0, 16, 1
	v_add3_u32 v9, v9, v0, s26
	v_or_b32_e32 v11, 0x400000, v0
	v_cmp_u_f32_e64 s[0:1], v0, v0
	v_cndmask_b32_e64 v0, v9, v11, s[0:1]
	v_lshrrev_b32_e32 v58, 16, v0
	v_mul_f32_e32 v0, s18, v19
	v_bfe_u32 v9, v0, 16, 1
	v_add3_u32 v9, v9, v0, s26
	v_or_b32_e32 v11, 0x400000, v0
	v_cmp_u_f32_e64 s[0:1], v0, v0
	v_cndmask_b32_e64 v0, v9, v11, s[0:1]
	v_lshrrev_b32_e32 v61, 16, v0
	s_and_saveexec_b64 s[12:13], vcc
	s_cbranch_execz .LBB323_468
; %bb.467:                              ;   in Loop: Header=BB323_318 Depth=1
	v_cmp_gt_i32_e64 s[0:1], s30, v50
	v_add_u32_e32 v0, -6, v31
	v_cndmask_b32_e64 v63, 0, v63, s[0:1]
	v_cmp_gt_i32_e64 s[0:1], s30, v0
	v_add_u32_e32 v0, -5, v31
	v_cndmask_b32_e64 v62, 0, v62, s[0:1]
	;; [unrolled: 3-line block ×6, first 2 shown]
	v_cmp_gt_i32_e64 s[0:1], s30, v0
	v_cndmask_b32_e64 v58, 0, v58, s[0:1]
	v_cmp_gt_i32_e64 s[0:1], s30, v31
	v_cndmask_b32_e64 v61, 0, v61, s[0:1]
.LBB323_468:                            ;   in Loop: Header=BB323_318 Depth=1
	s_or_b64 exec, exec, s[12:13]
	global_load_dwordx2 v[17:18], v[15:16], off offset:1536
	v_mov_b32_e32 v22, 0
	v_mov_b32_e32 v12, 0
	s_waitcnt vmcnt(0)
	v_cmp_ne_u16_sdwa s[0:1], v17, v10 src0_sel:BYTE_0 src1_sel:DWORD
	s_and_saveexec_b64 s[12:13], s[0:1]
	s_cbranch_execz .LBB323_474
; %bb.469:                              ;   in Loop: Header=BB323_318 Depth=1
	v_cmp_ne_u16_sdwa s[0:1], v17, s24 src0_sel:BYTE_0 src1_sel:DWORD
	v_bfrev_b32_e32 v12, 1
	s_and_saveexec_b64 s[14:15], s[0:1]
	s_cbranch_execz .LBB323_473
; %bb.470:                              ;   in Loop: Header=BB323_318 Depth=1
	v_and_b32_e32 v0, 0x7f, v17
	v_cmp_ne_u32_e64 s[0:1], s25, v0
	v_mov_b32_e32 v12, 0x7f800001
	s_and_saveexec_b64 s[16:17], s[0:1]
	s_cbranch_execz .LBB323_472
; %bb.471:                              ;   in Loop: Header=BB323_318 Depth=1
	v_and_b32_e32 v9, 7, v17
	v_lshrrev_b32_e32 v11, 3, v0
	v_cmp_gt_u32_e64 s[0:1], 8, v0
	v_ffbh_u32_e32 v0, v9
	v_min_u32_e32 v0, 32, v0
	v_subrev_u32_e32 v9, 28, v0
	v_sub_u32_e32 v0, 29, v0
	v_cndmask_b32_e64 v9, 0, v9, s[0:1]
	v_cndmask_b32_e64 v0, v11, v0, s[0:1]
	v_lshlrev_b64 v[11:12], v9, v[17:18]
	v_bfrev_b32_e32 v12, 60
	v_lshlrev_b32_e32 v9, 20, v11
	v_lshlrev_b32_e32 v11, 24, v17
	v_and_b32_e32 v9, 0x700000, v9
	v_and_b32_e32 v11, 0x80000000, v11
	v_lshl_add_u32 v0, v0, 23, v12
	v_or3_b32 v12, v11, v0, v9
.LBB323_472:                            ;   in Loop: Header=BB323_318 Depth=1
	s_or_b64 exec, exec, s[16:17]
.LBB323_473:                            ;   in Loop: Header=BB323_318 Depth=1
	s_or_b64 exec, exec, s[14:15]
.LBB323_474:                            ;   in Loop: Header=BB323_318 Depth=1
	s_or_b64 exec, exec, s[12:13]
	v_lshrrev_b16_e32 v9, 8, v17
	v_cmp_ne_u16_e64 s[0:1], 0, v9
	s_and_saveexec_b64 s[12:13], s[0:1]
	s_cbranch_execz .LBB323_480
; %bb.475:                              ;   in Loop: Header=BB323_318 Depth=1
	v_cmp_ne_u16_e64 s[0:1], s24, v9
	v_bfrev_b32_e32 v22, 1
	s_and_saveexec_b64 s[14:15], s[0:1]
	s_cbranch_execz .LBB323_479
; %bb.476:                              ;   in Loop: Header=BB323_318 Depth=1
	v_and_b32_e32 v0, 0x7f, v9
	v_cmp_ne_u32_e64 s[0:1], s25, v0
	v_mov_b32_e32 v22, 0x7f800001
	s_and_saveexec_b64 s[16:17], s[0:1]
	s_cbranch_execz .LBB323_478
; %bb.477:                              ;   in Loop: Header=BB323_318 Depth=1
	v_and_b32_e32 v11, 7, v9
	v_lshrrev_b32_e32 v22, 3, v0
	v_cmp_gt_u32_e64 s[0:1], 8, v0
	v_ffbh_u32_e32 v0, v11
	v_min_u32_e32 v0, 32, v0
	v_subrev_u32_e32 v19, 28, v0
	v_lshlrev_b64 v[19:20], v19, v[9:10]
	v_sub_u32_e32 v0, 29, v0
	v_and_b32_e32 v9, 7, v19
	v_cndmask_b32_e64 v0, v22, v0, s[0:1]
	v_cndmask_b32_e64 v9, v11, v9, s[0:1]
	v_lshlrev_b32_e32 v11, 16, v17
	v_bfrev_b32_e32 v19, 60
	v_lshlrev_b32_e32 v9, 20, v9
	v_and_b32_e32 v11, 0x80000000, v11
	v_lshl_add_u32 v0, v0, 23, v19
	v_or3_b32 v22, v11, v0, v9
.LBB323_478:                            ;   in Loop: Header=BB323_318 Depth=1
	s_or_b64 exec, exec, s[16:17]
.LBB323_479:                            ;   in Loop: Header=BB323_318 Depth=1
	s_or_b64 exec, exec, s[14:15]
.LBB323_480:                            ;   in Loop: Header=BB323_318 Depth=1
	s_or_b64 exec, exec, s[12:13]
	v_lshrrev_b32_e32 v9, 16, v17
	v_cmp_ne_u16_sdwa s[0:1], v9, v10 src0_sel:BYTE_0 src1_sel:DWORD
	v_mov_b32_e32 v11, 0
	v_mov_b32_e32 v23, 0
	s_and_saveexec_b64 s[12:13], s[0:1]
	s_cbranch_execz .LBB323_486
; %bb.481:                              ;   in Loop: Header=BB323_318 Depth=1
	v_cmp_ne_u16_sdwa s[0:1], v9, s24 src0_sel:BYTE_0 src1_sel:DWORD
	v_bfrev_b32_e32 v23, 1
	s_and_saveexec_b64 s[14:15], s[0:1]
	s_cbranch_execz .LBB323_485
; %bb.482:                              ;   in Loop: Header=BB323_318 Depth=1
	v_bfe_u32 v0, v17, 16, 7
	v_cmp_ne_u32_e64 s[0:1], s25, v0
	v_mov_b32_e32 v23, 0x7f800001
	s_and_saveexec_b64 s[16:17], s[0:1]
	s_cbranch_execz .LBB323_484
; %bb.483:                              ;   in Loop: Header=BB323_318 Depth=1
	v_and_b32_e32 v23, 7, v9
	v_lshrrev_b32_e32 v24, 3, v0
	v_cmp_gt_u32_e64 s[0:1], 8, v0
	v_ffbh_u32_e32 v0, v23
	v_min_u32_e32 v0, 32, v0
	v_subrev_u32_e32 v19, 28, v0
	v_lshlrev_b64 v[19:20], v19, v[9:10]
	v_sub_u32_e32 v0, 29, v0
	v_and_b32_e32 v19, 7, v19
	v_cndmask_b32_e64 v0, v24, v0, s[0:1]
	v_cndmask_b32_e64 v19, v23, v19, s[0:1]
	v_lshlrev_b32_e32 v9, 24, v9
	v_bfrev_b32_e32 v20, 60
	v_lshlrev_b32_e32 v19, 20, v19
	v_and_b32_e32 v9, 0x80000000, v9
	v_lshl_add_u32 v0, v0, 23, v20
	v_or3_b32 v23, v9, v0, v19
.LBB323_484:                            ;   in Loop: Header=BB323_318 Depth=1
	s_or_b64 exec, exec, s[16:17]
.LBB323_485:                            ;   in Loop: Header=BB323_318 Depth=1
	s_or_b64 exec, exec, s[14:15]
.LBB323_486:                            ;   in Loop: Header=BB323_318 Depth=1
	s_or_b64 exec, exec, s[12:13]
	v_cmp_lt_u32_e64 s[0:1], s5, v17
	s_and_saveexec_b64 s[12:13], s[0:1]
	s_cbranch_execz .LBB323_492
; %bb.487:                              ;   in Loop: Header=BB323_318 Depth=1
	v_lshrrev_b32_e32 v9, 24, v17
	v_cmp_ne_u32_e64 s[0:1], s24, v9
	v_bfrev_b32_e32 v11, 1
	s_and_saveexec_b64 s[14:15], s[0:1]
	s_cbranch_execz .LBB323_491
; %bb.488:                              ;   in Loop: Header=BB323_318 Depth=1
	v_bfe_u32 v0, v17, 24, 7
	v_cmp_ne_u32_e64 s[0:1], s25, v0
	v_mov_b32_e32 v11, 0x7f800001
	s_and_saveexec_b64 s[16:17], s[0:1]
	s_cbranch_execz .LBB323_490
; %bb.489:                              ;   in Loop: Header=BB323_318 Depth=1
	v_and_b32_e32 v11, 7, v9
	v_lshrrev_b32_e32 v24, 3, v0
	v_cmp_gt_u32_e64 s[0:1], 8, v0
	v_ffbh_u32_e32 v0, v11
	v_min_u32_e32 v0, 32, v0
	v_subrev_u32_e32 v19, 28, v0
	v_lshlrev_b64 v[19:20], v19, v[9:10]
	v_sub_u32_e32 v0, 29, v0
	v_and_b32_e32 v19, 7, v19
	v_cndmask_b32_e64 v0, v24, v0, s[0:1]
	v_cndmask_b32_e64 v11, v11, v19, s[0:1]
	v_lshlrev_b32_e32 v9, 24, v9
	v_bfrev_b32_e32 v19, 60
	v_lshlrev_b32_e32 v11, 20, v11
	v_and_b32_e32 v9, 0x80000000, v9
	v_lshl_add_u32 v0, v0, 23, v19
	v_or3_b32 v11, v9, v0, v11
.LBB323_490:                            ;   in Loop: Header=BB323_318 Depth=1
	s_or_b64 exec, exec, s[16:17]
.LBB323_491:                            ;   in Loop: Header=BB323_318 Depth=1
	s_or_b64 exec, exec, s[14:15]
.LBB323_492:                            ;   in Loop: Header=BB323_318 Depth=1
	s_or_b64 exec, exec, s[12:13]
	v_mov_b32_e32 v9, v18
	v_cmp_ne_u16_sdwa s[0:1], v18, v10 src0_sel:BYTE_0 src1_sel:DWORD
	v_mov_b32_e32 v20, 0
	v_mov_b32_e32 v24, 0
	s_and_saveexec_b64 s[12:13], s[0:1]
	s_cbranch_execz .LBB323_498
; %bb.493:                              ;   in Loop: Header=BB323_318 Depth=1
	v_cmp_ne_u16_sdwa s[0:1], v18, s24 src0_sel:BYTE_0 src1_sel:DWORD
	v_bfrev_b32_e32 v24, 1
	s_and_saveexec_b64 s[14:15], s[0:1]
	s_cbranch_execz .LBB323_497
; %bb.494:                              ;   in Loop: Header=BB323_318 Depth=1
	v_and_b32_e32 v0, 0x7f, v18
	v_cmp_ne_u32_e64 s[0:1], s25, v0
	v_mov_b32_e32 v24, 0x7f800001
	s_and_saveexec_b64 s[16:17], s[0:1]
	s_cbranch_execz .LBB323_496
; %bb.495:                              ;   in Loop: Header=BB323_318 Depth=1
	v_and_b32_e32 v19, 7, v18
	v_lshrrev_b32_e32 v24, 3, v0
	v_cmp_gt_u32_e64 s[0:1], 8, v0
	v_ffbh_u32_e32 v0, v19
	v_min_u32_e32 v0, 32, v0
	v_subrev_u32_e32 v19, 28, v0
	v_cndmask_b32_e64 v19, 0, v19, s[0:1]
	v_lshlrev_b64 v[33:34], v19, v[9:10]
	v_sub_u32_e32 v0, 29, v0
	v_cndmask_b32_e64 v0, v24, v0, s[0:1]
	v_lshlrev_b32_e32 v19, 20, v33
	v_lshlrev_b32_e32 v24, 24, v9
	v_bfrev_b32_e32 v21, 60
	v_and_b32_e32 v19, 0x700000, v19
	v_and_b32_e32 v24, 0x80000000, v24
	v_lshl_add_u32 v0, v0, 23, v21
	v_or3_b32 v24, v24, v0, v19
.LBB323_496:                            ;   in Loop: Header=BB323_318 Depth=1
	s_or_b64 exec, exec, s[16:17]
.LBB323_497:                            ;   in Loop: Header=BB323_318 Depth=1
	s_or_b64 exec, exec, s[14:15]
.LBB323_498:                            ;   in Loop: Header=BB323_318 Depth=1
	s_or_b64 exec, exec, s[12:13]
	v_lshrrev_b16_e32 v19, 8, v9
	v_cmp_ne_u16_e64 s[0:1], 0, v19
	s_and_saveexec_b64 s[12:13], s[0:1]
	s_cbranch_execz .LBB323_504
; %bb.499:                              ;   in Loop: Header=BB323_318 Depth=1
	v_cmp_ne_u16_e64 s[0:1], s24, v19
	v_bfrev_b32_e32 v20, 1
	s_and_saveexec_b64 s[14:15], s[0:1]
	s_cbranch_execz .LBB323_503
; %bb.500:                              ;   in Loop: Header=BB323_318 Depth=1
	v_and_b32_e32 v0, 0x7f, v19
	v_cmp_ne_u32_e64 s[0:1], s25, v0
	v_mov_b32_e32 v20, 0x7f800001
	s_and_saveexec_b64 s[16:17], s[0:1]
	s_cbranch_execz .LBB323_502
; %bb.501:                              ;   in Loop: Header=BB323_318 Depth=1
	v_and_b32_e32 v33, 7, v19
	v_lshrrev_b32_e32 v34, 3, v0
	v_cmp_gt_u32_e64 s[0:1], 8, v0
	v_ffbh_u32_e32 v0, v33
	v_min_u32_e32 v0, 32, v0
	v_subrev_u32_e32 v20, 28, v0
	v_lshlrev_b64 v[19:20], v20, v[19:20]
	v_sub_u32_e32 v0, 29, v0
	v_and_b32_e32 v19, 7, v19
	v_cndmask_b32_e64 v0, v34, v0, s[0:1]
	v_cndmask_b32_e64 v19, v33, v19, s[0:1]
	v_lshlrev_b32_e32 v9, 16, v9
	v_bfrev_b32_e32 v20, 60
	v_lshlrev_b32_e32 v19, 20, v19
	v_and_b32_e32 v9, 0x80000000, v9
	v_lshl_add_u32 v0, v0, 23, v20
	v_or3_b32 v20, v9, v0, v19
.LBB323_502:                            ;   in Loop: Header=BB323_318 Depth=1
	s_or_b64 exec, exec, s[16:17]
.LBB323_503:                            ;   in Loop: Header=BB323_318 Depth=1
	s_or_b64 exec, exec, s[14:15]
.LBB323_504:                            ;   in Loop: Header=BB323_318 Depth=1
	s_or_b64 exec, exec, s[12:13]
	v_lshrrev_b32_e32 v9, 16, v18
	v_cmp_ne_u16_sdwa s[0:1], v9, v10 src0_sel:BYTE_0 src1_sel:DWORD
	v_mov_b32_e32 v19, 0
	v_mov_b32_e32 v0, 0
	s_and_saveexec_b64 s[12:13], s[0:1]
	s_cbranch_execz .LBB323_510
; %bb.505:                              ;   in Loop: Header=BB323_318 Depth=1
	v_cmp_ne_u16_sdwa s[0:1], v9, s24 src0_sel:BYTE_0 src1_sel:DWORD
	v_bfrev_b32_e32 v0, 1
	s_and_saveexec_b64 s[14:15], s[0:1]
	s_cbranch_execz .LBB323_509
; %bb.506:                              ;   in Loop: Header=BB323_318 Depth=1
	v_bfe_u32 v33, v18, 16, 7
	v_cmp_ne_u32_e64 s[0:1], s25, v33
	v_mov_b32_e32 v0, 0x7f800001
	s_and_saveexec_b64 s[16:17], s[0:1]
	s_cbranch_execz .LBB323_508
; %bb.507:                              ;   in Loop: Header=BB323_318 Depth=1
	v_and_b32_e32 v0, 7, v9
	v_lshrrev_b32_e32 v35, 3, v33
	v_cmp_gt_u32_e64 s[0:1], 8, v33
	v_ffbh_u32_e32 v33, v0
	v_min_u32_e32 v36, 32, v33
	v_subrev_u32_e32 v33, 28, v36
	v_lshlrev_b64 v[33:34], v33, v[9:10]
	v_sub_u32_e32 v34, 29, v36
	v_and_b32_e32 v33, 7, v33
	v_cndmask_b32_e64 v34, v35, v34, s[0:1]
	v_cndmask_b32_e64 v0, v0, v33, s[0:1]
	v_lshlrev_b32_e32 v9, 24, v9
	v_bfrev_b32_e32 v21, 60
	v_lshlrev_b32_e32 v0, 20, v0
	v_and_b32_e32 v9, 0x80000000, v9
	v_lshl_add_u32 v33, v34, 23, v21
	v_or3_b32 v0, v9, v33, v0
.LBB323_508:                            ;   in Loop: Header=BB323_318 Depth=1
	s_or_b64 exec, exec, s[16:17]
.LBB323_509:                            ;   in Loop: Header=BB323_318 Depth=1
	s_or_b64 exec, exec, s[14:15]
.LBB323_510:                            ;   in Loop: Header=BB323_318 Depth=1
	s_or_b64 exec, exec, s[12:13]
	v_cmp_lt_u64_e64 s[0:1], s[4:5], v[17:18]
	s_and_saveexec_b64 s[12:13], s[0:1]
	s_cbranch_execz .LBB323_516
; %bb.511:                              ;   in Loop: Header=BB323_318 Depth=1
	v_lshrrev_b32_e32 v9, 24, v18
	v_cmp_ne_u32_e64 s[0:1], s24, v9
	v_bfrev_b32_e32 v19, 1
	s_and_saveexec_b64 s[14:15], s[0:1]
	s_cbranch_execz .LBB323_515
; %bb.512:                              ;   in Loop: Header=BB323_318 Depth=1
	v_bfe_u32 v17, v18, 24, 7
	v_cmp_ne_u32_e64 s[0:1], s25, v17
	v_mov_b32_e32 v19, 0x7f800001
	s_and_saveexec_b64 s[16:17], s[0:1]
	s_cbranch_execz .LBB323_514
; %bb.513:                              ;   in Loop: Header=BB323_318 Depth=1
	v_and_b32_e32 v19, 7, v9
	v_lshrrev_b32_e32 v33, 3, v17
	v_cmp_gt_u32_e64 s[0:1], 8, v17
	v_ffbh_u32_e32 v17, v19
	v_min_u32_e32 v34, 32, v17
	v_subrev_u32_e32 v17, 28, v34
	v_lshlrev_b64 v[17:18], v17, v[9:10]
	v_sub_u32_e32 v18, 29, v34
	v_and_b32_e32 v17, 7, v17
	v_cndmask_b32_e64 v18, v33, v18, s[0:1]
	v_cndmask_b32_e64 v17, v19, v17, s[0:1]
	v_lshlrev_b32_e32 v9, 24, v9
	v_bfrev_b32_e32 v19, 60
	v_lshlrev_b32_e32 v17, 20, v17
	v_and_b32_e32 v9, 0x80000000, v9
	v_lshl_add_u32 v18, v18, 23, v19
	v_or3_b32 v19, v9, v18, v17
.LBB323_514:                            ;   in Loop: Header=BB323_318 Depth=1
	s_or_b64 exec, exec, s[16:17]
.LBB323_515:                            ;   in Loop: Header=BB323_318 Depth=1
	s_or_b64 exec, exec, s[14:15]
.LBB323_516:                            ;   in Loop: Header=BB323_318 Depth=1
	s_or_b64 exec, exec, s[12:13]
	v_mul_f32_e32 v9, s18, v20
	v_bfe_u32 v17, v9, 16, 1
	v_add3_u32 v17, v17, v9, s26
	v_or_b32_e32 v18, 0x400000, v9
	v_cmp_u_f32_e64 s[0:1], v9, v9
	v_cndmask_b32_e64 v9, v17, v18, s[0:1]
	v_lshrrev_b32_e32 v20, 16, v9
	v_mul_f32_e32 v9, s18, v24
	v_bfe_u32 v17, v9, 16, 1
	v_add3_u32 v17, v17, v9, s26
	v_or_b32_e32 v18, 0x400000, v9
	v_cmp_u_f32_e64 s[0:1], v9, v9
	v_cndmask_b32_e64 v9, v17, v18, s[0:1]
	v_lshrrev_b32_e32 v24, 16, v9
	;; [unrolled: 7-line block ×5, first 2 shown]
	v_mul_f32_e32 v9, s18, v12
	v_bfe_u32 v12, v9, 16, 1
	v_add3_u32 v12, v12, v9, s26
	v_or_b32_e32 v17, 0x400000, v9
	v_cmp_u_f32_e64 s[0:1], v9, v9
	v_cndmask_b32_e64 v9, v12, v17, s[0:1]
	v_mul_f32_e32 v0, s18, v0
	v_lshrrev_b32_e32 v41, 16, v9
	v_bfe_u32 v9, v0, 16, 1
	v_add3_u32 v9, v9, v0, s26
	v_or_b32_e32 v12, 0x400000, v0
	v_cmp_u_f32_e64 s[0:1], v0, v0
	v_cndmask_b32_e64 v0, v9, v12, s[0:1]
	v_lshrrev_b32_e32 v22, 16, v0
	v_mul_f32_e32 v0, s18, v19
	v_bfe_u32 v9, v0, 16, 1
	v_add3_u32 v9, v9, v0, s26
	v_or_b32_e32 v12, 0x400000, v0
	v_cmp_u_f32_e64 s[0:1], v0, v0
	v_cndmask_b32_e64 v0, v9, v12, s[0:1]
	v_lshrrev_b32_e32 v12, 16, v0
	s_and_saveexec_b64 s[12:13], vcc
	s_cbranch_execz .LBB323_518
; %bb.517:                              ;   in Loop: Header=BB323_318 Depth=1
	v_cmp_gt_i32_e64 s[0:1], s30, v50
	v_add_u32_e32 v0, -6, v31
	v_cndmask_b32_e64 v41, 0, v41, s[0:1]
	v_cmp_gt_i32_e64 s[0:1], s30, v0
	v_add_u32_e32 v0, -5, v31
	v_cndmask_b32_e64 v42, 0, v42, s[0:1]
	v_cmp_gt_i32_e64 s[0:1], s30, v0
	v_add_u32_e32 v0, -4, v31
	v_cndmask_b32_e64 v23, 0, v23, s[0:1]
	v_cmp_gt_i32_e64 s[0:1], s30, v0
	v_add_u32_e32 v0, -3, v31
	v_cndmask_b32_e64 v11, 0, v11, s[0:1]
	v_cmp_gt_i32_e64 s[0:1], s30, v0
	v_add_u32_e32 v0, -2, v31
	v_cndmask_b32_e64 v24, 0, v24, s[0:1]
	v_cmp_gt_i32_e64 s[0:1], s30, v0
	v_add_u32_e32 v0, -1, v31
	v_cndmask_b32_e64 v20, 0, v20, s[0:1]
	v_cmp_gt_i32_e64 s[0:1], s30, v0
	v_cndmask_b32_e64 v22, 0, v22, s[0:1]
	v_cmp_gt_i32_e64 s[0:1], s30, v31
	v_cndmask_b32_e64 v12, 0, v12, s[0:1]
.LBB323_518:                            ;   in Loop: Header=BB323_318 Depth=1
	s_or_b64 exec, exec, s[12:13]
	global_load_dwordx2 v[17:18], v[15:16], off offset:2048
	v_mov_b32_e32 v33, 0
	v_mov_b32_e32 v34, 0
	s_waitcnt vmcnt(0)
	v_cmp_ne_u16_sdwa s[0:1], v17, v10 src0_sel:BYTE_0 src1_sel:DWORD
	s_and_saveexec_b64 s[12:13], s[0:1]
	s_cbranch_execz .LBB323_524
; %bb.519:                              ;   in Loop: Header=BB323_318 Depth=1
	v_cmp_ne_u16_sdwa s[0:1], v17, s24 src0_sel:BYTE_0 src1_sel:DWORD
	v_bfrev_b32_e32 v34, 1
	s_and_saveexec_b64 s[14:15], s[0:1]
	s_cbranch_execz .LBB323_523
; %bb.520:                              ;   in Loop: Header=BB323_318 Depth=1
	v_and_b32_e32 v0, 0x7f, v17
	v_cmp_ne_u32_e64 s[0:1], s25, v0
	v_mov_b32_e32 v34, 0x7f800001
	s_and_saveexec_b64 s[16:17], s[0:1]
	s_cbranch_execz .LBB323_522
; %bb.521:                              ;   in Loop: Header=BB323_318 Depth=1
	v_and_b32_e32 v9, 7, v17
	v_lshrrev_b32_e32 v19, 3, v0
	v_cmp_gt_u32_e64 s[0:1], 8, v0
	v_ffbh_u32_e32 v0, v9
	v_min_u32_e32 v0, 32, v0
	v_subrev_u32_e32 v9, 28, v0
	v_cndmask_b32_e64 v9, 0, v9, s[0:1]
	v_lshlrev_b64 v[34:35], v9, v[17:18]
	v_sub_u32_e32 v0, 29, v0
	v_cndmask_b32_e64 v0, v19, v0, s[0:1]
	v_lshlrev_b32_e32 v9, 20, v34
	v_lshlrev_b32_e32 v19, 24, v17
	v_bfrev_b32_e32 v21, 60
	v_and_b32_e32 v9, 0x700000, v9
	v_and_b32_e32 v19, 0x80000000, v19
	v_lshl_add_u32 v0, v0, 23, v21
	v_or3_b32 v34, v19, v0, v9
.LBB323_522:                            ;   in Loop: Header=BB323_318 Depth=1
	s_or_b64 exec, exec, s[16:17]
.LBB323_523:                            ;   in Loop: Header=BB323_318 Depth=1
	s_or_b64 exec, exec, s[14:15]
.LBB323_524:                            ;   in Loop: Header=BB323_318 Depth=1
	s_or_b64 exec, exec, s[12:13]
	v_lshrrev_b16_e32 v9, 8, v17
	v_cmp_ne_u16_e64 s[0:1], 0, v9
	s_and_saveexec_b64 s[12:13], s[0:1]
	s_cbranch_execz .LBB323_530
; %bb.525:                              ;   in Loop: Header=BB323_318 Depth=1
	v_cmp_ne_u16_e64 s[0:1], s24, v9
	v_bfrev_b32_e32 v33, 1
	s_and_saveexec_b64 s[14:15], s[0:1]
	s_cbranch_execz .LBB323_529
; %bb.526:                              ;   in Loop: Header=BB323_318 Depth=1
	v_and_b32_e32 v0, 0x7f, v9
	v_cmp_ne_u32_e64 s[0:1], s25, v0
	v_mov_b32_e32 v33, 0x7f800001
	s_and_saveexec_b64 s[16:17], s[0:1]
	s_cbranch_execz .LBB323_528
; %bb.527:                              ;   in Loop: Header=BB323_318 Depth=1
	v_and_b32_e32 v19, 7, v9
	v_lshrrev_b32_e32 v33, 3, v0
	v_cmp_gt_u32_e64 s[0:1], 8, v0
	v_ffbh_u32_e32 v0, v19
	v_min_u32_e32 v0, 32, v0
	v_subrev_u32_e32 v35, 28, v0
	v_lshlrev_b64 v[35:36], v35, v[9:10]
	v_sub_u32_e32 v0, 29, v0
	v_and_b32_e32 v9, 7, v35
	v_cndmask_b32_e64 v0, v33, v0, s[0:1]
	v_cndmask_b32_e64 v9, v19, v9, s[0:1]
	v_lshlrev_b32_e32 v19, 16, v17
	v_bfrev_b32_e32 v21, 60
	v_lshlrev_b32_e32 v9, 20, v9
	v_and_b32_e32 v19, 0x80000000, v19
	v_lshl_add_u32 v0, v0, 23, v21
	v_or3_b32 v33, v19, v0, v9
.LBB323_528:                            ;   in Loop: Header=BB323_318 Depth=1
	s_or_b64 exec, exec, s[16:17]
.LBB323_529:                            ;   in Loop: Header=BB323_318 Depth=1
	s_or_b64 exec, exec, s[14:15]
.LBB323_530:                            ;   in Loop: Header=BB323_318 Depth=1
	s_or_b64 exec, exec, s[12:13]
	v_lshrrev_b32_e32 v9, 16, v17
	v_cmp_ne_u16_sdwa s[0:1], v9, v10 src0_sel:BYTE_0 src1_sel:DWORD
	v_mov_b32_e32 v36, 0
	v_mov_b32_e32 v35, 0
	s_and_saveexec_b64 s[12:13], s[0:1]
	s_cbranch_execz .LBB323_536
; %bb.531:                              ;   in Loop: Header=BB323_318 Depth=1
	v_cmp_ne_u16_sdwa s[0:1], v9, s24 src0_sel:BYTE_0 src1_sel:DWORD
	v_bfrev_b32_e32 v35, 1
	s_and_saveexec_b64 s[14:15], s[0:1]
	s_cbranch_execz .LBB323_535
; %bb.532:                              ;   in Loop: Header=BB323_318 Depth=1
	v_bfe_u32 v0, v17, 16, 7
	v_cmp_ne_u32_e64 s[0:1], s25, v0
	v_mov_b32_e32 v35, 0x7f800001
	s_and_saveexec_b64 s[16:17], s[0:1]
	s_cbranch_execz .LBB323_534
; %bb.533:                              ;   in Loop: Header=BB323_318 Depth=1
	v_and_b32_e32 v19, 7, v9
	v_lshrrev_b32_e32 v35, 3, v0
	v_cmp_gt_u32_e64 s[0:1], 8, v0
	v_ffbh_u32_e32 v0, v19
	v_min_u32_e32 v0, 32, v0
	v_subrev_u32_e32 v37, 28, v0
	v_lshlrev_b64 v[37:38], v37, v[9:10]
	v_sub_u32_e32 v0, 29, v0
	v_and_b32_e32 v37, 7, v37
	v_cndmask_b32_e64 v0, v35, v0, s[0:1]
	v_cndmask_b32_e64 v19, v19, v37, s[0:1]
	v_lshlrev_b32_e32 v9, 24, v9
	v_bfrev_b32_e32 v21, 60
	v_lshlrev_b32_e32 v19, 20, v19
	v_and_b32_e32 v9, 0x80000000, v9
	v_lshl_add_u32 v0, v0, 23, v21
	v_or3_b32 v35, v9, v0, v19
.LBB323_534:                            ;   in Loop: Header=BB323_318 Depth=1
	s_or_b64 exec, exec, s[16:17]
.LBB323_535:                            ;   in Loop: Header=BB323_318 Depth=1
	s_or_b64 exec, exec, s[14:15]
.LBB323_536:                            ;   in Loop: Header=BB323_318 Depth=1
	s_or_b64 exec, exec, s[12:13]
	v_cmp_lt_u32_e64 s[0:1], s5, v17
	s_and_saveexec_b64 s[12:13], s[0:1]
	s_cbranch_execz .LBB323_542
; %bb.537:                              ;   in Loop: Header=BB323_318 Depth=1
	v_lshrrev_b32_e32 v9, 24, v17
	v_cmp_ne_u32_e64 s[0:1], s24, v9
	v_bfrev_b32_e32 v36, 1
	s_and_saveexec_b64 s[14:15], s[0:1]
	s_cbranch_execz .LBB323_541
; %bb.538:                              ;   in Loop: Header=BB323_318 Depth=1
	v_bfe_u32 v0, v17, 24, 7
	v_cmp_ne_u32_e64 s[0:1], s25, v0
	v_mov_b32_e32 v36, 0x7f800001
	s_and_saveexec_b64 s[16:17], s[0:1]
	s_cbranch_execz .LBB323_540
; %bb.539:                              ;   in Loop: Header=BB323_318 Depth=1
	v_and_b32_e32 v19, 7, v9
	v_lshrrev_b32_e32 v38, 3, v0
	v_cmp_gt_u32_e64 s[0:1], 8, v0
	v_ffbh_u32_e32 v0, v19
	v_min_u32_e32 v0, 32, v0
	v_subrev_u32_e32 v36, 28, v0
	v_lshlrev_b64 v[36:37], v36, v[9:10]
	v_sub_u32_e32 v0, 29, v0
	v_and_b32_e32 v36, 7, v36
	v_cndmask_b32_e64 v0, v38, v0, s[0:1]
	v_cndmask_b32_e64 v19, v19, v36, s[0:1]
	v_lshlrev_b32_e32 v9, 24, v9
	v_bfrev_b32_e32 v21, 60
	v_lshlrev_b32_e32 v19, 20, v19
	v_and_b32_e32 v9, 0x80000000, v9
	v_lshl_add_u32 v0, v0, 23, v21
	v_or3_b32 v36, v9, v0, v19
.LBB323_540:                            ;   in Loop: Header=BB323_318 Depth=1
	s_or_b64 exec, exec, s[16:17]
.LBB323_541:                            ;   in Loop: Header=BB323_318 Depth=1
	s_or_b64 exec, exec, s[14:15]
.LBB323_542:                            ;   in Loop: Header=BB323_318 Depth=1
	s_or_b64 exec, exec, s[12:13]
	v_mov_b32_e32 v9, v18
	v_cmp_ne_u16_sdwa s[0:1], v18, v10 src0_sel:BYTE_0 src1_sel:DWORD
	v_mov_b32_e32 v38, 0
	v_mov_b32_e32 v37, 0
	s_and_saveexec_b64 s[12:13], s[0:1]
	s_cbranch_execz .LBB323_548
; %bb.543:                              ;   in Loop: Header=BB323_318 Depth=1
	v_cmp_ne_u16_sdwa s[0:1], v18, s24 src0_sel:BYTE_0 src1_sel:DWORD
	v_bfrev_b32_e32 v37, 1
	s_and_saveexec_b64 s[14:15], s[0:1]
	s_cbranch_execz .LBB323_547
; %bb.544:                              ;   in Loop: Header=BB323_318 Depth=1
	v_and_b32_e32 v0, 0x7f, v18
	v_cmp_ne_u32_e64 s[0:1], s25, v0
	v_mov_b32_e32 v37, 0x7f800001
	s_and_saveexec_b64 s[16:17], s[0:1]
	s_cbranch_execz .LBB323_546
; %bb.545:                              ;   in Loop: Header=BB323_318 Depth=1
	v_and_b32_e32 v19, 7, v18
	v_lshrrev_b32_e32 v37, 3, v0
	v_cmp_gt_u32_e64 s[0:1], 8, v0
	v_ffbh_u32_e32 v0, v19
	v_min_u32_e32 v0, 32, v0
	v_subrev_u32_e32 v19, 28, v0
	v_cndmask_b32_e64 v19, 0, v19, s[0:1]
	v_lshlrev_b64 v[39:40], v19, v[9:10]
	v_sub_u32_e32 v0, 29, v0
	v_cndmask_b32_e64 v0, v37, v0, s[0:1]
	v_lshlrev_b32_e32 v19, 20, v39
	v_lshlrev_b32_e32 v37, 24, v9
	v_bfrev_b32_e32 v21, 60
	v_and_b32_e32 v19, 0x700000, v19
	v_and_b32_e32 v37, 0x80000000, v37
	v_lshl_add_u32 v0, v0, 23, v21
	v_or3_b32 v37, v37, v0, v19
.LBB323_546:                            ;   in Loop: Header=BB323_318 Depth=1
	s_or_b64 exec, exec, s[16:17]
.LBB323_547:                            ;   in Loop: Header=BB323_318 Depth=1
	s_or_b64 exec, exec, s[14:15]
.LBB323_548:                            ;   in Loop: Header=BB323_318 Depth=1
	s_or_b64 exec, exec, s[12:13]
	v_lshrrev_b16_e32 v19, 8, v9
	v_cmp_ne_u16_e64 s[0:1], 0, v19
	s_and_saveexec_b64 s[12:13], s[0:1]
	s_cbranch_execz .LBB323_554
; %bb.549:                              ;   in Loop: Header=BB323_318 Depth=1
	v_cmp_ne_u16_e64 s[0:1], s24, v19
	v_bfrev_b32_e32 v38, 1
	s_and_saveexec_b64 s[14:15], s[0:1]
	s_cbranch_execz .LBB323_553
; %bb.550:                              ;   in Loop: Header=BB323_318 Depth=1
	v_and_b32_e32 v0, 0x7f, v19
	v_cmp_ne_u32_e64 s[0:1], s25, v0
	v_mov_b32_e32 v38, 0x7f800001
	s_and_saveexec_b64 s[16:17], s[0:1]
	s_cbranch_execz .LBB323_552
; %bb.551:                              ;   in Loop: Header=BB323_318 Depth=1
	v_and_b32_e32 v40, 7, v19
	v_lshrrev_b32_e32 v43, 3, v0
	v_cmp_gt_u32_e64 s[0:1], 8, v0
	v_ffbh_u32_e32 v0, v40
	v_min_u32_e32 v0, 32, v0
	v_subrev_u32_e32 v38, 28, v0
	v_lshlrev_b64 v[38:39], v38, v[19:20]
	v_sub_u32_e32 v0, 29, v0
	v_and_b32_e32 v19, 7, v38
	v_cndmask_b32_e64 v0, v43, v0, s[0:1]
	v_cndmask_b32_e64 v19, v40, v19, s[0:1]
	v_lshlrev_b32_e32 v9, 16, v9
	v_bfrev_b32_e32 v21, 60
	v_lshlrev_b32_e32 v19, 20, v19
	v_and_b32_e32 v9, 0x80000000, v9
	v_lshl_add_u32 v0, v0, 23, v21
	v_or3_b32 v38, v9, v0, v19
.LBB323_552:                            ;   in Loop: Header=BB323_318 Depth=1
	s_or_b64 exec, exec, s[16:17]
.LBB323_553:                            ;   in Loop: Header=BB323_318 Depth=1
	s_or_b64 exec, exec, s[14:15]
.LBB323_554:                            ;   in Loop: Header=BB323_318 Depth=1
	s_or_b64 exec, exec, s[12:13]
	v_lshrrev_b32_e32 v9, 16, v18
	v_cmp_ne_u16_sdwa s[0:1], v9, v10 src0_sel:BYTE_0 src1_sel:DWORD
	v_mov_b32_e32 v39, 0
	v_mov_b32_e32 v0, 0
	s_and_saveexec_b64 s[12:13], s[0:1]
	s_cbranch_execz .LBB323_560
; %bb.555:                              ;   in Loop: Header=BB323_318 Depth=1
	v_cmp_ne_u16_sdwa s[0:1], v9, s24 src0_sel:BYTE_0 src1_sel:DWORD
	v_bfrev_b32_e32 v0, 1
	s_and_saveexec_b64 s[14:15], s[0:1]
	s_cbranch_execz .LBB323_559
; %bb.556:                              ;   in Loop: Header=BB323_318 Depth=1
	v_bfe_u32 v19, v18, 16, 7
	v_cmp_ne_u32_e64 s[0:1], s25, v19
	v_mov_b32_e32 v0, 0x7f800001
	s_and_saveexec_b64 s[16:17], s[0:1]
	s_cbranch_execz .LBB323_558
; %bb.557:                              ;   in Loop: Header=BB323_318 Depth=1
	v_and_b32_e32 v0, 7, v9
	v_lshrrev_b32_e32 v40, 3, v19
	v_cmp_gt_u32_e64 s[0:1], 8, v19
	v_ffbh_u32_e32 v19, v0
	v_min_u32_e32 v19, 32, v19
	v_subrev_u32_e32 v43, 28, v19
	v_lshlrev_b64 v[43:44], v43, v[9:10]
	v_sub_u32_e32 v19, 29, v19
	v_and_b32_e32 v43, 7, v43
	v_cndmask_b32_e64 v19, v40, v19, s[0:1]
	v_cndmask_b32_e64 v0, v0, v43, s[0:1]
	v_lshlrev_b32_e32 v9, 24, v9
	v_bfrev_b32_e32 v21, 60
	v_lshlrev_b32_e32 v0, 20, v0
	v_and_b32_e32 v9, 0x80000000, v9
	v_lshl_add_u32 v19, v19, 23, v21
	v_or3_b32 v0, v9, v19, v0
.LBB323_558:                            ;   in Loop: Header=BB323_318 Depth=1
	s_or_b64 exec, exec, s[16:17]
.LBB323_559:                            ;   in Loop: Header=BB323_318 Depth=1
	s_or_b64 exec, exec, s[14:15]
.LBB323_560:                            ;   in Loop: Header=BB323_318 Depth=1
	s_or_b64 exec, exec, s[12:13]
	v_cmp_lt_u64_e64 s[0:1], s[4:5], v[17:18]
	s_and_saveexec_b64 s[12:13], s[0:1]
	s_cbranch_execz .LBB323_566
; %bb.561:                              ;   in Loop: Header=BB323_318 Depth=1
	v_lshrrev_b32_e32 v9, 24, v18
	v_cmp_ne_u32_e64 s[0:1], s24, v9
	v_bfrev_b32_e32 v39, 1
	s_and_saveexec_b64 s[14:15], s[0:1]
	s_cbranch_execz .LBB323_565
; %bb.562:                              ;   in Loop: Header=BB323_318 Depth=1
	v_bfe_u32 v17, v18, 24, 7
	v_cmp_ne_u32_e64 s[0:1], s25, v17
	v_mov_b32_e32 v39, 0x7f800001
	s_and_saveexec_b64 s[16:17], s[0:1]
	s_cbranch_execz .LBB323_564
; %bb.563:                              ;   in Loop: Header=BB323_318 Depth=1
	v_and_b32_e32 v19, 7, v9
	v_lshrrev_b32_e32 v39, 3, v17
	v_cmp_gt_u32_e64 s[0:1], 8, v17
	v_ffbh_u32_e32 v17, v19
	v_min_u32_e32 v40, 32, v17
	v_subrev_u32_e32 v17, 28, v40
	v_lshlrev_b64 v[17:18], v17, v[9:10]
	v_sub_u32_e32 v18, 29, v40
	v_and_b32_e32 v17, 7, v17
	v_cndmask_b32_e64 v18, v39, v18, s[0:1]
	v_cndmask_b32_e64 v17, v19, v17, s[0:1]
	v_lshlrev_b32_e32 v9, 24, v9
	v_bfrev_b32_e32 v19, 60
	v_lshlrev_b32_e32 v17, 20, v17
	v_and_b32_e32 v9, 0x80000000, v9
	v_lshl_add_u32 v18, v18, 23, v19
	v_or3_b32 v39, v9, v18, v17
.LBB323_564:                            ;   in Loop: Header=BB323_318 Depth=1
	s_or_b64 exec, exec, s[16:17]
.LBB323_565:                            ;   in Loop: Header=BB323_318 Depth=1
	s_or_b64 exec, exec, s[14:15]
.LBB323_566:                            ;   in Loop: Header=BB323_318 Depth=1
	s_or_b64 exec, exec, s[12:13]
	v_mul_f32_e32 v9, s18, v38
	v_bfe_u32 v17, v9, 16, 1
	v_add3_u32 v17, v17, v9, s26
	v_or_b32_e32 v18, 0x400000, v9
	v_cmp_u_f32_e64 s[0:1], v9, v9
	v_cndmask_b32_e64 v9, v17, v18, s[0:1]
	v_lshrrev_b32_e32 v19, 16, v9
	v_mul_f32_e32 v9, s18, v37
	v_bfe_u32 v17, v9, 16, 1
	v_add3_u32 v17, v17, v9, s26
	v_or_b32_e32 v18, 0x400000, v9
	v_cmp_u_f32_e64 s[0:1], v9, v9
	v_cndmask_b32_e64 v9, v17, v18, s[0:1]
	v_lshrrev_b32_e32 v18, 16, v9
	;; [unrolled: 7-line block ×5, first 2 shown]
	v_mul_f32_e32 v9, s18, v34
	v_bfe_u32 v17, v9, 16, 1
	v_add3_u32 v17, v17, v9, s26
	v_or_b32_e32 v34, 0x400000, v9
	v_cmp_u_f32_e64 s[0:1], v9, v9
	v_cndmask_b32_e64 v9, v17, v34, s[0:1]
	v_mul_f32_e32 v0, s18, v0
	v_lshrrev_b32_e32 v47, 16, v9
	v_bfe_u32 v9, v0, 16, 1
	v_add3_u32 v9, v9, v0, s26
	v_or_b32_e32 v17, 0x400000, v0
	v_cmp_u_f32_e64 s[0:1], v0, v0
	v_cndmask_b32_e64 v0, v9, v17, s[0:1]
	v_lshrrev_b32_e32 v43, 16, v0
	v_mul_f32_e32 v0, s18, v39
	v_bfe_u32 v9, v0, 16, 1
	v_add3_u32 v9, v9, v0, s26
	v_or_b32_e32 v17, 0x400000, v0
	v_cmp_u_f32_e64 s[0:1], v0, v0
	v_cndmask_b32_e64 v0, v9, v17, s[0:1]
	v_lshrrev_b32_e32 v45, 16, v0
	s_and_saveexec_b64 s[12:13], vcc
	s_cbranch_execz .LBB323_568
; %bb.567:                              ;   in Loop: Header=BB323_318 Depth=1
	v_cmp_gt_i32_e64 s[0:1], s30, v50
	v_add_u32_e32 v0, -6, v31
	v_cndmask_b32_e64 v47, 0, v47, s[0:1]
	v_cmp_gt_i32_e64 s[0:1], s30, v0
	v_add_u32_e32 v0, -5, v31
	v_cndmask_b32_e64 v33, 0, v33, s[0:1]
	;; [unrolled: 3-line block ×6, first 2 shown]
	v_cmp_gt_i32_e64 s[0:1], s30, v0
	v_cndmask_b32_e64 v43, 0, v43, s[0:1]
	v_cmp_gt_i32_e64 s[0:1], s30, v31
	v_cndmask_b32_e64 v45, 0, v45, s[0:1]
.LBB323_568:                            ;   in Loop: Header=BB323_318 Depth=1
	s_or_b64 exec, exec, s[12:13]
	global_load_dwordx2 v[15:16], v[15:16], off offset:2560
	v_mov_b32_e32 v36, 0
	v_mov_b32_e32 v34, 0
	s_waitcnt vmcnt(0)
	v_cmp_ne_u16_sdwa s[0:1], v15, v10 src0_sel:BYTE_0 src1_sel:DWORD
	s_and_saveexec_b64 s[12:13], s[0:1]
	s_cbranch_execz .LBB323_574
; %bb.569:                              ;   in Loop: Header=BB323_318 Depth=1
	v_cmp_ne_u16_sdwa s[0:1], v15, s24 src0_sel:BYTE_0 src1_sel:DWORD
	v_bfrev_b32_e32 v34, 1
	s_and_saveexec_b64 s[14:15], s[0:1]
	s_cbranch_execz .LBB323_573
; %bb.570:                              ;   in Loop: Header=BB323_318 Depth=1
	v_and_b32_e32 v0, 0x7f, v15
	v_cmp_ne_u32_e64 s[0:1], s25, v0
	v_mov_b32_e32 v34, 0x7f800001
	s_and_saveexec_b64 s[16:17], s[0:1]
	s_cbranch_execz .LBB323_572
; %bb.571:                              ;   in Loop: Header=BB323_318 Depth=1
	v_and_b32_e32 v9, 7, v15
	v_lshrrev_b32_e32 v17, 3, v0
	v_cmp_gt_u32_e64 s[0:1], 8, v0
	v_ffbh_u32_e32 v0, v9
	v_min_u32_e32 v0, 32, v0
	v_subrev_u32_e32 v9, 28, v0
	v_cndmask_b32_e64 v9, 0, v9, s[0:1]
	v_lshlrev_b64 v[34:35], v9, v[15:16]
	v_sub_u32_e32 v0, 29, v0
	v_cndmask_b32_e64 v0, v17, v0, s[0:1]
	v_lshlrev_b32_e32 v9, 20, v34
	v_lshlrev_b32_e32 v17, 24, v15
	v_bfrev_b32_e32 v21, 60
	v_and_b32_e32 v9, 0x700000, v9
	v_and_b32_e32 v17, 0x80000000, v17
	v_lshl_add_u32 v0, v0, 23, v21
	v_or3_b32 v34, v17, v0, v9
.LBB323_572:                            ;   in Loop: Header=BB323_318 Depth=1
	s_or_b64 exec, exec, s[16:17]
.LBB323_573:                            ;   in Loop: Header=BB323_318 Depth=1
	s_or_b64 exec, exec, s[14:15]
.LBB323_574:                            ;   in Loop: Header=BB323_318 Depth=1
	s_or_b64 exec, exec, s[12:13]
	v_lshrrev_b16_e32 v9, 8, v15
	v_cmp_ne_u16_e64 s[0:1], 0, v9
	s_and_saveexec_b64 s[12:13], s[0:1]
	s_cbranch_execz .LBB323_580
; %bb.575:                              ;   in Loop: Header=BB323_318 Depth=1
	v_cmp_ne_u16_e64 s[0:1], s24, v9
	v_bfrev_b32_e32 v36, 1
	s_and_saveexec_b64 s[14:15], s[0:1]
	s_cbranch_execz .LBB323_579
; %bb.576:                              ;   in Loop: Header=BB323_318 Depth=1
	v_and_b32_e32 v0, 0x7f, v9
	v_cmp_ne_u32_e64 s[0:1], s25, v0
	v_mov_b32_e32 v36, 0x7f800001
	s_and_saveexec_b64 s[16:17], s[0:1]
	s_cbranch_execz .LBB323_578
; %bb.577:                              ;   in Loop: Header=BB323_318 Depth=1
	v_and_b32_e32 v17, 7, v9
	v_lshrrev_b32_e32 v37, 3, v0
	v_cmp_gt_u32_e64 s[0:1], 8, v0
	v_ffbh_u32_e32 v0, v17
	v_min_u32_e32 v0, 32, v0
	v_subrev_u32_e32 v35, 28, v0
	v_lshlrev_b64 v[35:36], v35, v[9:10]
	v_sub_u32_e32 v0, 29, v0
	v_and_b32_e32 v9, 7, v35
	v_cndmask_b32_e64 v0, v37, v0, s[0:1]
	v_cndmask_b32_e64 v9, v17, v9, s[0:1]
	v_lshlrev_b32_e32 v17, 16, v15
	v_bfrev_b32_e32 v21, 60
	v_lshlrev_b32_e32 v9, 20, v9
	v_and_b32_e32 v17, 0x80000000, v17
	v_lshl_add_u32 v0, v0, 23, v21
	v_or3_b32 v36, v17, v0, v9
.LBB323_578:                            ;   in Loop: Header=BB323_318 Depth=1
	s_or_b64 exec, exec, s[16:17]
.LBB323_579:                            ;   in Loop: Header=BB323_318 Depth=1
	s_or_b64 exec, exec, s[14:15]
.LBB323_580:                            ;   in Loop: Header=BB323_318 Depth=1
	s_or_b64 exec, exec, s[12:13]
	v_lshrrev_b32_e32 v9, 16, v15
	v_cmp_ne_u16_sdwa s[0:1], v9, v10 src0_sel:BYTE_0 src1_sel:DWORD
	v_mov_b32_e32 v37, 0
	v_mov_b32_e32 v35, 0
	s_and_saveexec_b64 s[12:13], s[0:1]
	s_cbranch_execz .LBB323_586
; %bb.581:                              ;   in Loop: Header=BB323_318 Depth=1
	v_cmp_ne_u16_sdwa s[0:1], v9, s24 src0_sel:BYTE_0 src1_sel:DWORD
	v_bfrev_b32_e32 v35, 1
	s_and_saveexec_b64 s[14:15], s[0:1]
	s_cbranch_execz .LBB323_585
; %bb.582:                              ;   in Loop: Header=BB323_318 Depth=1
	v_bfe_u32 v0, v15, 16, 7
	v_cmp_ne_u32_e64 s[0:1], s25, v0
	v_mov_b32_e32 v35, 0x7f800001
	s_and_saveexec_b64 s[16:17], s[0:1]
	s_cbranch_execz .LBB323_584
; %bb.583:                              ;   in Loop: Header=BB323_318 Depth=1
	v_and_b32_e32 v17, 7, v9
	v_lshrrev_b32_e32 v35, 3, v0
	v_cmp_gt_u32_e64 s[0:1], 8, v0
	v_ffbh_u32_e32 v0, v17
	v_min_u32_e32 v0, 32, v0
	v_subrev_u32_e32 v38, 28, v0
	v_lshlrev_b64 v[38:39], v38, v[9:10]
	v_sub_u32_e32 v0, 29, v0
	v_and_b32_e32 v38, 7, v38
	v_cndmask_b32_e64 v0, v35, v0, s[0:1]
	v_cndmask_b32_e64 v17, v17, v38, s[0:1]
	v_lshlrev_b32_e32 v9, 24, v9
	v_bfrev_b32_e32 v21, 60
	v_lshlrev_b32_e32 v17, 20, v17
	v_and_b32_e32 v9, 0x80000000, v9
	v_lshl_add_u32 v0, v0, 23, v21
	v_or3_b32 v35, v9, v0, v17
.LBB323_584:                            ;   in Loop: Header=BB323_318 Depth=1
	s_or_b64 exec, exec, s[16:17]
.LBB323_585:                            ;   in Loop: Header=BB323_318 Depth=1
	s_or_b64 exec, exec, s[14:15]
.LBB323_586:                            ;   in Loop: Header=BB323_318 Depth=1
	s_or_b64 exec, exec, s[12:13]
	v_cmp_lt_u32_e64 s[0:1], s5, v15
	s_and_saveexec_b64 s[12:13], s[0:1]
	s_cbranch_execz .LBB323_592
; %bb.587:                              ;   in Loop: Header=BB323_318 Depth=1
	v_lshrrev_b32_e32 v9, 24, v15
	v_cmp_ne_u32_e64 s[0:1], s24, v9
	v_bfrev_b32_e32 v37, 1
	s_and_saveexec_b64 s[14:15], s[0:1]
	s_cbranch_execz .LBB323_591
; %bb.588:                              ;   in Loop: Header=BB323_318 Depth=1
	v_bfe_u32 v0, v15, 24, 7
	v_cmp_ne_u32_e64 s[0:1], s25, v0
	v_mov_b32_e32 v37, 0x7f800001
	s_and_saveexec_b64 s[16:17], s[0:1]
	s_cbranch_execz .LBB323_590
; %bb.589:                              ;   in Loop: Header=BB323_318 Depth=1
	v_and_b32_e32 v17, 7, v9
	v_lshrrev_b32_e32 v39, 3, v0
	v_cmp_gt_u32_e64 s[0:1], 8, v0
	v_ffbh_u32_e32 v0, v17
	v_min_u32_e32 v0, 32, v0
	v_subrev_u32_e32 v37, 28, v0
	v_lshlrev_b64 v[37:38], v37, v[9:10]
	v_sub_u32_e32 v0, 29, v0
	v_and_b32_e32 v37, 7, v37
	v_cndmask_b32_e64 v0, v39, v0, s[0:1]
	v_cndmask_b32_e64 v17, v17, v37, s[0:1]
	v_lshlrev_b32_e32 v9, 24, v9
	v_bfrev_b32_e32 v21, 60
	v_lshlrev_b32_e32 v17, 20, v17
	v_and_b32_e32 v9, 0x80000000, v9
	v_lshl_add_u32 v0, v0, 23, v21
	v_or3_b32 v37, v9, v0, v17
.LBB323_590:                            ;   in Loop: Header=BB323_318 Depth=1
	s_or_b64 exec, exec, s[16:17]
.LBB323_591:                            ;   in Loop: Header=BB323_318 Depth=1
	s_or_b64 exec, exec, s[14:15]
.LBB323_592:                            ;   in Loop: Header=BB323_318 Depth=1
	s_or_b64 exec, exec, s[12:13]
	v_mov_b32_e32 v9, v16
	v_cmp_ne_u16_sdwa s[0:1], v16, v10 src0_sel:BYTE_0 src1_sel:DWORD
	v_mov_b32_e32 v39, 0
	v_mov_b32_e32 v38, 0
	s_and_saveexec_b64 s[12:13], s[0:1]
	s_cbranch_execz .LBB323_598
; %bb.593:                              ;   in Loop: Header=BB323_318 Depth=1
	v_cmp_ne_u16_sdwa s[0:1], v16, s24 src0_sel:BYTE_0 src1_sel:DWORD
	v_bfrev_b32_e32 v38, 1
	s_and_saveexec_b64 s[14:15], s[0:1]
	s_cbranch_execz .LBB323_597
; %bb.594:                              ;   in Loop: Header=BB323_318 Depth=1
	v_and_b32_e32 v0, 0x7f, v16
	v_cmp_ne_u32_e64 s[0:1], s25, v0
	v_mov_b32_e32 v38, 0x7f800001
	s_and_saveexec_b64 s[16:17], s[0:1]
	s_cbranch_execz .LBB323_596
; %bb.595:                              ;   in Loop: Header=BB323_318 Depth=1
	v_and_b32_e32 v17, 7, v16
	v_lshrrev_b32_e32 v38, 3, v0
	v_cmp_gt_u32_e64 s[0:1], 8, v0
	v_ffbh_u32_e32 v0, v17
	v_min_u32_e32 v0, 32, v0
	v_subrev_u32_e32 v17, 28, v0
	v_cndmask_b32_e64 v17, 0, v17, s[0:1]
	v_lshlrev_b64 v[48:49], v17, v[9:10]
	v_sub_u32_e32 v0, 29, v0
	v_lshlrev_b32_e32 v17, 20, v48
	buffer_load_dword v48, off, s[48:51], 0 offset:48 ; 4-byte Folded Reload
	buffer_load_dword v49, off, s[48:51], 0 offset:52 ; 4-byte Folded Reload
	v_cndmask_b32_e64 v0, v38, v0, s[0:1]
	v_lshlrev_b32_e32 v38, 24, v9
	v_bfrev_b32_e32 v21, 60
	v_and_b32_e32 v17, 0x700000, v17
	v_and_b32_e32 v38, 0x80000000, v38
	v_lshl_add_u32 v0, v0, 23, v21
	v_or3_b32 v38, v38, v0, v17
.LBB323_596:                            ;   in Loop: Header=BB323_318 Depth=1
	s_or_b64 exec, exec, s[16:17]
.LBB323_597:                            ;   in Loop: Header=BB323_318 Depth=1
	s_or_b64 exec, exec, s[14:15]
.LBB323_598:                            ;   in Loop: Header=BB323_318 Depth=1
	s_or_b64 exec, exec, s[12:13]
	v_lshrrev_b16_e32 v17, 8, v9
	v_cmp_ne_u16_e64 s[0:1], 0, v17
	s_and_saveexec_b64 s[12:13], s[0:1]
	s_cbranch_execz .LBB323_604
; %bb.599:                              ;   in Loop: Header=BB323_318 Depth=1
	v_cmp_ne_u16_e64 s[0:1], s24, v17
	v_bfrev_b32_e32 v39, 1
	s_and_saveexec_b64 s[14:15], s[0:1]
	s_cbranch_execz .LBB323_603
; %bb.600:                              ;   in Loop: Header=BB323_318 Depth=1
	v_and_b32_e32 v0, 0x7f, v17
	v_cmp_ne_u32_e64 s[0:1], s25, v0
	v_mov_b32_e32 v39, 0x7f800001
	s_and_saveexec_b64 s[16:17], s[0:1]
	s_cbranch_execz .LBB323_602
; %bb.601:                              ;   in Loop: Header=BB323_318 Depth=1
	s_waitcnt vmcnt(1)
	v_and_b32_e32 v48, 7, v17
	s_waitcnt vmcnt(0)
	v_lshrrev_b32_e32 v49, 3, v0
	v_cmp_gt_u32_e64 s[0:1], 8, v0
	v_ffbh_u32_e32 v0, v48
	v_min_u32_e32 v0, 32, v0
	v_subrev_u32_e32 v39, 28, v0
	v_lshlrev_b64 v[39:40], v39, v[17:18]
	v_sub_u32_e32 v0, 29, v0
	v_and_b32_e32 v17, 7, v39
	v_cndmask_b32_e64 v0, v49, v0, s[0:1]
	v_cndmask_b32_e64 v17, v48, v17, s[0:1]
	buffer_load_dword v48, off, s[48:51], 0 offset:48 ; 4-byte Folded Reload
	buffer_load_dword v49, off, s[48:51], 0 offset:52 ; 4-byte Folded Reload
	v_lshlrev_b32_e32 v9, 16, v9
	v_bfrev_b32_e32 v21, 60
	v_lshlrev_b32_e32 v17, 20, v17
	v_and_b32_e32 v9, 0x80000000, v9
	v_lshl_add_u32 v0, v0, 23, v21
	v_or3_b32 v39, v9, v0, v17
.LBB323_602:                            ;   in Loop: Header=BB323_318 Depth=1
	s_or_b64 exec, exec, s[16:17]
.LBB323_603:                            ;   in Loop: Header=BB323_318 Depth=1
	s_or_b64 exec, exec, s[14:15]
.LBB323_604:                            ;   in Loop: Header=BB323_318 Depth=1
	s_or_b64 exec, exec, s[12:13]
	v_lshrrev_b32_e32 v9, 16, v16
	v_cmp_ne_u16_sdwa s[0:1], v9, v10 src0_sel:BYTE_0 src1_sel:DWORD
	v_mov_b32_e32 v0, 0
	v_mov_b32_e32 v17, 0
	s_and_saveexec_b64 s[12:13], s[0:1]
	s_cbranch_execz .LBB323_610
; %bb.605:                              ;   in Loop: Header=BB323_318 Depth=1
	v_cmp_ne_u16_sdwa s[0:1], v9, s24 src0_sel:BYTE_0 src1_sel:DWORD
	v_bfrev_b32_e32 v17, 1
	s_and_saveexec_b64 s[14:15], s[0:1]
	s_cbranch_execz .LBB323_609
; %bb.606:                              ;   in Loop: Header=BB323_318 Depth=1
	v_bfe_u32 v40, v16, 16, 7
	v_cmp_ne_u32_e64 s[0:1], s25, v40
	v_mov_b32_e32 v17, 0x7f800001
	s_and_saveexec_b64 s[16:17], s[0:1]
	s_cbranch_execz .LBB323_608
; %bb.607:                              ;   in Loop: Header=BB323_318 Depth=1
	v_and_b32_e32 v17, 7, v9
	v_lshrrev_b32_e32 v21, 3, v40
	v_cmp_gt_u32_e64 s[0:1], 8, v40
	v_ffbh_u32_e32 v40, v17
	v_min_u32_e32 v40, 32, v40
	s_waitcnt vmcnt(1)
	v_subrev_u32_e32 v48, 28, v40
	s_waitcnt vmcnt(0)
	v_lshlrev_b64 v[48:49], v48, v[9:10]
	v_sub_u32_e32 v40, 29, v40
	v_and_b32_e32 v48, 7, v48
	v_cndmask_b32_e64 v17, v17, v48, s[0:1]
	buffer_load_dword v48, off, s[48:51], 0 offset:48 ; 4-byte Folded Reload
	buffer_load_dword v49, off, s[48:51], 0 offset:52 ; 4-byte Folded Reload
	v_cndmask_b32_e64 v21, v21, v40, s[0:1]
	v_lshlrev_b32_e32 v9, 24, v9
	v_bfrev_b32_e32 v40, 60
	v_lshlrev_b32_e32 v17, 20, v17
	v_and_b32_e32 v9, 0x80000000, v9
	v_lshl_add_u32 v21, v21, 23, v40
	v_or3_b32 v17, v9, v21, v17
.LBB323_608:                            ;   in Loop: Header=BB323_318 Depth=1
	s_or_b64 exec, exec, s[16:17]
.LBB323_609:                            ;   in Loop: Header=BB323_318 Depth=1
	s_or_b64 exec, exec, s[14:15]
.LBB323_610:                            ;   in Loop: Header=BB323_318 Depth=1
	s_or_b64 exec, exec, s[12:13]
	v_cmp_lt_u64_e64 s[0:1], s[4:5], v[15:16]
	s_and_saveexec_b64 s[12:13], s[0:1]
	s_cbranch_execz .LBB323_616
; %bb.611:                              ;   in Loop: Header=BB323_318 Depth=1
	v_lshrrev_b32_e32 v9, 24, v16
	v_cmp_ne_u32_e64 s[0:1], s24, v9
	v_bfrev_b32_e32 v0, 1
	s_and_saveexec_b64 s[14:15], s[0:1]
	s_cbranch_execz .LBB323_615
; %bb.612:                              ;   in Loop: Header=BB323_318 Depth=1
	v_bfe_u32 v15, v16, 24, 7
	v_cmp_ne_u32_e64 s[0:1], s25, v15
	v_mov_b32_e32 v0, 0x7f800001
	s_and_saveexec_b64 s[16:17], s[0:1]
	s_cbranch_execz .LBB323_614
; %bb.613:                              ;   in Loop: Header=BB323_318 Depth=1
	v_and_b32_e32 v0, 7, v9
	v_lshrrev_b32_e32 v21, 3, v15
	v_cmp_gt_u32_e64 s[0:1], 8, v15
	v_ffbh_u32_e32 v15, v0
	v_min_u32_e32 v40, 32, v15
	v_subrev_u32_e32 v15, 28, v40
	v_lshlrev_b64 v[15:16], v15, v[9:10]
	v_sub_u32_e32 v16, 29, v40
	v_and_b32_e32 v15, 7, v15
	v_cndmask_b32_e64 v16, v21, v16, s[0:1]
	v_cndmask_b32_e64 v0, v0, v15, s[0:1]
	v_lshlrev_b32_e32 v9, 24, v9
	v_bfrev_b32_e32 v15, 60
	v_lshlrev_b32_e32 v0, 20, v0
	v_and_b32_e32 v9, 0x80000000, v9
	v_lshl_add_u32 v15, v16, 23, v15
	v_or3_b32 v0, v9, v15, v0
.LBB323_614:                            ;   in Loop: Header=BB323_318 Depth=1
	s_or_b64 exec, exec, s[16:17]
.LBB323_615:                            ;   in Loop: Header=BB323_318 Depth=1
	s_or_b64 exec, exec, s[14:15]
.LBB323_616:                            ;   in Loop: Header=BB323_318 Depth=1
	s_or_b64 exec, exec, s[12:13]
	v_mul_f32_e32 v9, s18, v39
	v_bfe_u32 v15, v9, 16, 1
	v_add3_u32 v15, v15, v9, s26
	v_or_b32_e32 v16, 0x400000, v9
	v_cmp_u_f32_e64 s[0:1], v9, v9
	v_cndmask_b32_e64 v9, v15, v16, s[0:1]
	v_mul_f32_e32 v15, s18, v38
	v_bfe_u32 v16, v15, 16, 1
	v_add3_u32 v16, v16, v15, s26
	v_or_b32_e32 v21, 0x400000, v15
	v_cmp_u_f32_e64 s[0:1], v15, v15
	v_cndmask_b32_e64 v15, v16, v21, s[0:1]
	;; [unrolled: 6-line block ×4, first 2 shown]
	v_lshrrev_b32_e32 v35, 16, v21
	v_mul_f32_e32 v21, s18, v36
	v_bfe_u32 v36, v21, 16, 1
	v_add3_u32 v36, v36, v21, s26
	v_or_b32_e32 v37, 0x400000, v21
	v_cmp_u_f32_e64 s[0:1], v21, v21
	v_cndmask_b32_e64 v21, v36, v37, s[0:1]
	v_lshrrev_b32_e32 v36, 16, v21
	v_mul_f32_e32 v21, s18, v34
	v_bfe_u32 v34, v21, 16, 1
	v_add3_u32 v34, v34, v21, s26
	v_or_b32_e32 v37, 0x400000, v21
	v_cmp_u_f32_e64 s[0:1], v21, v21
	v_cndmask_b32_e64 v21, v34, v37, s[0:1]
	v_mul_f32_e32 v17, s18, v17
	v_lshrrev_b32_e32 v37, 16, v21
	v_bfe_u32 v21, v17, 16, 1
	v_add3_u32 v21, v21, v17, s26
	v_or_b32_e32 v34, 0x400000, v17
	v_cmp_u_f32_e64 s[0:1], v17, v17
	v_mul_f32_e32 v0, s18, v0
	v_cndmask_b32_e64 v17, v21, v34, s[0:1]
	v_bfe_u32 v21, v0, 16, 1
	v_add3_u32 v21, v21, v0, s26
	v_or_b32_e32 v34, 0x400000, v0
	v_cmp_u_f32_e64 s[0:1], v0, v0
	v_cndmask_b32_e64 v0, v21, v34, s[0:1]
	v_lshrrev_b32_e32 v9, 16, v9
	v_lshrrev_b32_e32 v15, 16, v15
	;; [unrolled: 1-line block ×5, first 2 shown]
	s_and_saveexec_b64 s[0:1], vcc
	s_cbranch_execz .LBB323_317
; %bb.617:                              ;   in Loop: Header=BB323_318 Depth=1
	v_cmp_gt_i32_e32 vcc, s30, v50
	v_add_u32_e32 v0, -6, v31
	v_cndmask_b32_e32 v37, 0, v37, vcc
	v_cmp_gt_i32_e32 vcc, s30, v0
	v_add_u32_e32 v0, -5, v31
	v_cndmask_b32_e32 v36, 0, v36, vcc
	;; [unrolled: 3-line block ×6, first 2 shown]
	v_cmp_gt_i32_e32 vcc, s30, v0
	v_cndmask_b32_e32 v17, 0, v17, vcc
	v_cmp_gt_i32_e32 vcc, s30, v31
	v_cndmask_b32_e32 v34, 0, v34, vcc
	s_branch .LBB323_317
.LBB323_618:
	s_or_b64 exec, exec, s[6:7]
	buffer_load_dword v13, off, s[48:51], 0 offset:56 ; 4-byte Folded Reload
	buffer_load_dword v11, off, s[48:51], 0 offset:60 ; 4-byte Folded Reload
	;; [unrolled: 1-line block ×4, first 2 shown]
.LBB323_619:
	s_or_b64 exec, exec, s[2:3]
	s_waitcnt vmcnt(2)
	ds_bpermute_b32 v1, v11, v30
	ds_bpermute_b32 v5, v11, v26
	s_waitcnt vmcnt(0) lgkmcnt(0)
	s_barrier
	v_add_f32_e32 v1, v30, v1
	ds_bpermute_b32 v6, v12, v1
	v_add_f32_e32 v10, v26, v5
	ds_bpermute_b32 v0, v11, v29
	ds_bpermute_b32 v2, v11, v28
	ds_bpermute_b32 v4, v11, v27
	s_waitcnt lgkmcnt(3)
	v_add_f32_e32 v5, v1, v6
	buffer_load_dword v6, off, s[48:51], 0 offset:200 ; 4-byte Folded Reload
	s_waitcnt lgkmcnt(2)
	v_add_f32_e32 v0, v29, v0
	ds_bpermute_b32 v3, v12, v0
	s_waitcnt lgkmcnt(2)
	v_add_f32_e32 v2, v28, v2
	ds_bpermute_b32 v7, v12, v2
	;; [unrolled: 3-line block ×4, first 2 shown]
	ds_bpermute_b32 v11, v12, v10
	s_waitcnt lgkmcnt(3)
	v_add_f32_e32 v4, v2, v7
	s_waitcnt lgkmcnt(2)
	v_add_f32_e32 v2, v8, v9
	;; [unrolled: 2-line block ×3, first 2 shown]
	ds_bpermute_b32 v12, v12, v0
	s_waitcnt lgkmcnt(1)
	v_add_f32_e32 v1, v10, v11
	s_waitcnt lgkmcnt(0)
	v_add_f32_e32 v0, v0, v12
	s_waitcnt vmcnt(0)
	v_and_b32_e32 v7, 0x3c3, v6
	v_cmp_eq_u32_e32 vcc, 64, v7
	s_and_saveexec_b64 s[0:1], vcc
	s_cbranch_execz .LBB323_621
; %bb.620:
	v_add_u32_e32 v6, 0xd0, v13
	ds_write2_b32 v6, v3, v5 offset1:16
	ds_write2_b32 v6, v4, v2 offset0:32 offset1:48
	ds_write2_b32 v6, v1, v0 offset0:64 offset1:80
.LBB323_621:
	s_or_b64 exec, exec, s[0:1]
	buffer_load_dword v6, off, s[48:51], 0 offset:200 ; 4-byte Folded Reload
	s_waitcnt vmcnt(0) lgkmcnt(0)
	s_barrier
	v_cmp_gt_u32_e32 vcc, 64, v6
	v_lshrrev_b32_e32 v6, 2, v6
	s_and_saveexec_b64 s[0:1], vcc
	s_cbranch_execz .LBB323_630
; %bb.622:
	v_mov_b32_e32 v8, 0xd0
	v_cmp_eq_u32_e32 vcc, 0, v14
	v_lshl_add_u32 v8, v6, 2, v8
	s_and_saveexec_b64 s[2:3], vcc
	s_cbranch_execnz .LBB323_633
; %bb.623:
	s_or_b64 exec, exec, s[2:3]
	s_and_saveexec_b64 s[2:3], vcc
	s_cbranch_execnz .LBB323_634
.LBB323_624:
	s_or_b64 exec, exec, s[2:3]
	s_and_saveexec_b64 s[2:3], vcc
	s_cbranch_execnz .LBB323_635
.LBB323_625:
	s_or_b64 exec, exec, s[2:3]
	s_and_saveexec_b64 s[2:3], vcc
	s_cbranch_execnz .LBB323_636
.LBB323_626:
	s_or_b64 exec, exec, s[2:3]
	s_and_saveexec_b64 s[2:3], vcc
	s_cbranch_execnz .LBB323_637
.LBB323_627:
	s_or_b64 exec, exec, s[2:3]
	s_and_saveexec_b64 s[2:3], vcc
	s_cbranch_execz .LBB323_629
.LBB323_628:
	ds_read_b32 v8, v8 offset:320
	s_waitcnt lgkmcnt(0)
	v_add_f32_e32 v0, v0, v8
.LBB323_629:
	s_or_b64 exec, exec, s[2:3]
.LBB323_630:
	s_or_b64 exec, exec, s[0:1]
	v_cmp_eq_u32_e32 vcc, 0, v7
	s_barrier
	s_and_saveexec_b64 s[0:1], vcc
	s_cbranch_execz .LBB323_632
; %bb.631:
	s_mul_i32 s0, s10, s11
	s_mul_i32 s0, s0, s9
	s_mulk_i32 s0, 0x60
	s_ashr_i32 s1, s0, 31
	s_lshl_b64 s[0:1], s[0:1], 1
	s_add_u32 s2, s22, s0
	s_mul_i32 s0, s11, s20
	s_addc_u32 s3, s23, s1
	s_ashr_i32 s1, s0, 31
	s_lshl_b64 s[0:1], s[0:1], 1
	s_add_u32 s2, s2, s0
	s_mul_i32 s0, s8, 0x60
	s_addc_u32 s3, s3, s1
	s_ashr_i32 s1, s0, 31
	s_lshl_b64 s[0:1], s[0:1], 1
	s_add_u32 s0, s2, s0
	v_bfe_u32 v7, v3, 16, 1
	s_movk_i32 s2, 0x7fff
	v_add3_u32 v7, v7, v3, s2
	v_or_b32_e32 v8, 0x400000, v3
	v_cmp_u_f32_e32 vcc, v3, v3
	s_addc_u32 s1, s3, s1
	v_lshlrev_b32_e32 v6, 1, v6
	v_cndmask_b32_e32 v3, v7, v8, vcc
	global_store_short_d16_hi v6, v3, s[0:1]
	v_bfe_u32 v3, v5, 16, 1
	v_add3_u32 v3, v3, v5, s2
	v_or_b32_e32 v7, 0x400000, v5
	v_cmp_u_f32_e32 vcc, v5, v5
	v_cndmask_b32_e32 v3, v3, v7, vcc
	global_store_short_d16_hi v6, v3, s[0:1] offset:32
	v_bfe_u32 v3, v4, 16, 1
	v_add3_u32 v3, v3, v4, s2
	v_or_b32_e32 v5, 0x400000, v4
	v_cmp_u_f32_e32 vcc, v4, v4
	v_cndmask_b32_e32 v3, v3, v5, vcc
	global_store_short_d16_hi v6, v3, s[0:1] offset:64
	;; [unrolled: 6-line block ×5, first 2 shown]
.LBB323_632:
	s_endpgm
.LBB323_633:
	ds_read_b32 v9, v8
	s_waitcnt lgkmcnt(0)
	v_add_f32_e32 v3, v3, v9
	s_or_b64 exec, exec, s[2:3]
	s_and_saveexec_b64 s[2:3], vcc
	s_cbranch_execz .LBB323_624
.LBB323_634:
	ds_read_b32 v9, v8 offset:64
	s_waitcnt lgkmcnt(0)
	v_add_f32_e32 v5, v5, v9
	s_or_b64 exec, exec, s[2:3]
	s_and_saveexec_b64 s[2:3], vcc
	s_cbranch_execz .LBB323_625
.LBB323_635:
	ds_read_b32 v9, v8 offset:128
	s_waitcnt lgkmcnt(0)
	v_add_f32_e32 v4, v4, v9
	s_or_b64 exec, exec, s[2:3]
	s_and_saveexec_b64 s[2:3], vcc
	s_cbranch_execz .LBB323_626
.LBB323_636:
	ds_read_b32 v9, v8 offset:192
	s_waitcnt lgkmcnt(0)
	v_add_f32_e32 v2, v2, v9
	s_or_b64 exec, exec, s[2:3]
	s_and_saveexec_b64 s[2:3], vcc
	s_cbranch_execz .LBB323_627
.LBB323_637:
	ds_read_b32 v9, v8 offset:256
	s_waitcnt lgkmcnt(0)
	v_add_f32_e32 v1, v1, v9
	s_or_b64 exec, exec, s[2:3]
	s_and_saveexec_b64 s[2:3], vcc
	s_cbranch_execnz .LBB323_628
	s_branch .LBB323_629
	.section	.rodata,"a",@progbits
	.p2align	6, 0x0
	.amdhsa_kernel _ZN4vllm25paged_attention_v1_kernelI14__hip_bfloat16hLi96ELi32ELi128ELNS_18Fp8KVCacheDataTypeE1ELb0EEEvPT_PKS3_PKT0_S9_ifPKiSB_iPKfiiiSD_SD_iiiii
		.amdhsa_group_segment_fixed_size 208
		.amdhsa_private_segment_fixed_size 228
		.amdhsa_kernarg_size 384
		.amdhsa_user_sgpr_count 6
		.amdhsa_user_sgpr_private_segment_buffer 1
		.amdhsa_user_sgpr_dispatch_ptr 0
		.amdhsa_user_sgpr_queue_ptr 0
		.amdhsa_user_sgpr_kernarg_segment_ptr 1
		.amdhsa_user_sgpr_dispatch_id 0
		.amdhsa_user_sgpr_flat_scratch_init 0
		.amdhsa_user_sgpr_private_segment_size 0
		.amdhsa_uses_dynamic_stack 0
		.amdhsa_system_sgpr_private_segment_wavefront_offset 1
		.amdhsa_system_sgpr_workgroup_id_x 1
		.amdhsa_system_sgpr_workgroup_id_y 1
		.amdhsa_system_sgpr_workgroup_id_z 1
		.amdhsa_system_sgpr_workgroup_info 0
		.amdhsa_system_vgpr_workitem_id 0
		.amdhsa_next_free_vgpr 64
		.amdhsa_next_free_sgpr 52
		.amdhsa_reserve_vcc 1
		.amdhsa_reserve_flat_scratch 0
		.amdhsa_float_round_mode_32 0
		.amdhsa_float_round_mode_16_64 0
		.amdhsa_float_denorm_mode_32 3
		.amdhsa_float_denorm_mode_16_64 3
		.amdhsa_dx10_clamp 1
		.amdhsa_ieee_mode 1
		.amdhsa_fp16_overflow 0
		.amdhsa_exception_fp_ieee_invalid_op 0
		.amdhsa_exception_fp_denorm_src 0
		.amdhsa_exception_fp_ieee_div_zero 0
		.amdhsa_exception_fp_ieee_overflow 0
		.amdhsa_exception_fp_ieee_underflow 0
		.amdhsa_exception_fp_ieee_inexact 0
		.amdhsa_exception_int_div_zero 0
	.end_amdhsa_kernel
	.section	.text._ZN4vllm25paged_attention_v1_kernelI14__hip_bfloat16hLi96ELi32ELi128ELNS_18Fp8KVCacheDataTypeE1ELb0EEEvPT_PKS3_PKT0_S9_ifPKiSB_iPKfiiiSD_SD_iiiii,"axG",@progbits,_ZN4vllm25paged_attention_v1_kernelI14__hip_bfloat16hLi96ELi32ELi128ELNS_18Fp8KVCacheDataTypeE1ELb0EEEvPT_PKS3_PKT0_S9_ifPKiSB_iPKfiiiSD_SD_iiiii,comdat
.Lfunc_end323:
	.size	_ZN4vllm25paged_attention_v1_kernelI14__hip_bfloat16hLi96ELi32ELi128ELNS_18Fp8KVCacheDataTypeE1ELb0EEEvPT_PKS3_PKT0_S9_ifPKiSB_iPKfiiiSD_SD_iiiii, .Lfunc_end323-_ZN4vllm25paged_attention_v1_kernelI14__hip_bfloat16hLi96ELi32ELi128ELNS_18Fp8KVCacheDataTypeE1ELb0EEEvPT_PKS3_PKT0_S9_ifPKiSB_iPKfiiiSD_SD_iiiii
                                        ; -- End function
	.set _ZN4vllm25paged_attention_v1_kernelI14__hip_bfloat16hLi96ELi32ELi128ELNS_18Fp8KVCacheDataTypeE1ELb0EEEvPT_PKS3_PKT0_S9_ifPKiSB_iPKfiiiSD_SD_iiiii.num_vgpr, 64
	.set _ZN4vllm25paged_attention_v1_kernelI14__hip_bfloat16hLi96ELi32ELi128ELNS_18Fp8KVCacheDataTypeE1ELb0EEEvPT_PKS3_PKT0_S9_ifPKiSB_iPKfiiiSD_SD_iiiii.num_agpr, 0
	.set _ZN4vllm25paged_attention_v1_kernelI14__hip_bfloat16hLi96ELi32ELi128ELNS_18Fp8KVCacheDataTypeE1ELb0EEEvPT_PKS3_PKT0_S9_ifPKiSB_iPKfiiiSD_SD_iiiii.numbered_sgpr, 52
	.set _ZN4vllm25paged_attention_v1_kernelI14__hip_bfloat16hLi96ELi32ELi128ELNS_18Fp8KVCacheDataTypeE1ELb0EEEvPT_PKS3_PKT0_S9_ifPKiSB_iPKfiiiSD_SD_iiiii.num_named_barrier, 0
	.set _ZN4vllm25paged_attention_v1_kernelI14__hip_bfloat16hLi96ELi32ELi128ELNS_18Fp8KVCacheDataTypeE1ELb0EEEvPT_PKS3_PKT0_S9_ifPKiSB_iPKfiiiSD_SD_iiiii.private_seg_size, 228
	.set _ZN4vllm25paged_attention_v1_kernelI14__hip_bfloat16hLi96ELi32ELi128ELNS_18Fp8KVCacheDataTypeE1ELb0EEEvPT_PKS3_PKT0_S9_ifPKiSB_iPKfiiiSD_SD_iiiii.uses_vcc, 1
	.set _ZN4vllm25paged_attention_v1_kernelI14__hip_bfloat16hLi96ELi32ELi128ELNS_18Fp8KVCacheDataTypeE1ELb0EEEvPT_PKS3_PKT0_S9_ifPKiSB_iPKfiiiSD_SD_iiiii.uses_flat_scratch, 0
	.set _ZN4vllm25paged_attention_v1_kernelI14__hip_bfloat16hLi96ELi32ELi128ELNS_18Fp8KVCacheDataTypeE1ELb0EEEvPT_PKS3_PKT0_S9_ifPKiSB_iPKfiiiSD_SD_iiiii.has_dyn_sized_stack, 0
	.set _ZN4vllm25paged_attention_v1_kernelI14__hip_bfloat16hLi96ELi32ELi128ELNS_18Fp8KVCacheDataTypeE1ELb0EEEvPT_PKS3_PKT0_S9_ifPKiSB_iPKfiiiSD_SD_iiiii.has_recursion, 0
	.set _ZN4vllm25paged_attention_v1_kernelI14__hip_bfloat16hLi96ELi32ELi128ELNS_18Fp8KVCacheDataTypeE1ELb0EEEvPT_PKS3_PKT0_S9_ifPKiSB_iPKfiiiSD_SD_iiiii.has_indirect_call, 0
	.section	.AMDGPU.csdata,"",@progbits
; Kernel info:
; codeLenInByte = 31532
; TotalNumSgprs: 56
; NumVgprs: 64
; ScratchSize: 228
; MemoryBound: 0
; FloatMode: 240
; IeeeMode: 1
; LDSByteSize: 208 bytes/workgroup (compile time only)
; SGPRBlocks: 6
; VGPRBlocks: 15
; NumSGPRsForWavesPerEU: 56
; NumVGPRsForWavesPerEU: 64
; Occupancy: 4
; WaveLimiterHint : 1
; COMPUTE_PGM_RSRC2:SCRATCH_EN: 1
; COMPUTE_PGM_RSRC2:USER_SGPR: 6
; COMPUTE_PGM_RSRC2:TRAP_HANDLER: 0
; COMPUTE_PGM_RSRC2:TGID_X_EN: 1
; COMPUTE_PGM_RSRC2:TGID_Y_EN: 1
; COMPUTE_PGM_RSRC2:TGID_Z_EN: 1
; COMPUTE_PGM_RSRC2:TIDIG_COMP_CNT: 0
	.section	.text._ZN4vllm25paged_attention_v1_kernelI14__hip_bfloat16hLi112ELi32ELi128ELNS_18Fp8KVCacheDataTypeE1ELb0EEEvPT_PKS3_PKT0_S9_ifPKiSB_iPKfiiiSD_SD_iiiii,"axG",@progbits,_ZN4vllm25paged_attention_v1_kernelI14__hip_bfloat16hLi112ELi32ELi128ELNS_18Fp8KVCacheDataTypeE1ELb0EEEvPT_PKS3_PKT0_S9_ifPKiSB_iPKfiiiSD_SD_iiiii,comdat
	.protected	_ZN4vllm25paged_attention_v1_kernelI14__hip_bfloat16hLi112ELi32ELi128ELNS_18Fp8KVCacheDataTypeE1ELb0EEEvPT_PKS3_PKT0_S9_ifPKiSB_iPKfiiiSD_SD_iiiii ; -- Begin function _ZN4vllm25paged_attention_v1_kernelI14__hip_bfloat16hLi112ELi32ELi128ELNS_18Fp8KVCacheDataTypeE1ELb0EEEvPT_PKS3_PKT0_S9_ifPKiSB_iPKfiiiSD_SD_iiiii
	.globl	_ZN4vllm25paged_attention_v1_kernelI14__hip_bfloat16hLi112ELi32ELi128ELNS_18Fp8KVCacheDataTypeE1ELb0EEEvPT_PKS3_PKT0_S9_ifPKiSB_iPKfiiiSD_SD_iiiii
	.p2align	8
	.type	_ZN4vllm25paged_attention_v1_kernelI14__hip_bfloat16hLi112ELi32ELi128ELNS_18Fp8KVCacheDataTypeE1ELb0EEEvPT_PKS3_PKT0_S9_ifPKiSB_iPKfiiiSD_SD_iiiii,@function
_ZN4vllm25paged_attention_v1_kernelI14__hip_bfloat16hLi112ELi32ELi128ELNS_18Fp8KVCacheDataTypeE1ELb0EEEvPT_PKS3_PKT0_S9_ifPKiSB_iPKfiiiSD_SD_iiiii: ; @_ZN4vllm25paged_attention_v1_kernelI14__hip_bfloat16hLi112ELi32ELi128ELNS_18Fp8KVCacheDataTypeE1ELb0EEEvPT_PKS3_PKT0_S9_ifPKiSB_iPKfiiiSD_SD_iiiii
; %bb.0:
	s_mov_b64 s[50:51], s[2:3]
	s_mov_b64 s[48:49], s[0:1]
	s_add_u32 s48, s48, s9
	s_load_dword s9, s[4:5], 0x80
	s_load_dwordx2 s[0:1], s[4:5], 0x30
	s_load_dwordx2 s[30:31], s[4:5], 0x20
	s_addc_u32 s49, s49, 0
	s_mov_b32 s10, s7
	s_ashr_i32 s11, s7, 31
	s_lshl_b64 s[2:3], s[10:11], 2
	s_waitcnt lgkmcnt(0)
	s_add_u32 s0, s0, s2
	s_addc_u32 s1, s1, s3
	s_abs_i32 s2, s30
	v_cvt_f32_u32_e32 v1, s2
	s_sub_i32 s11, 0, s2
	s_abs_i32 s7, s9
	s_xor_b32 s3, s9, s30
	v_rcp_iflag_f32_e32 v1, v1
	s_ashr_i32 s3, s3, 31
	s_mov_b32 s33, 0
	v_mul_f32_e32 v1, 0x4f7ffffe, v1
	v_cvt_u32_f32_e32 v1, v1
	v_readfirstlane_b32 s12, v1
	s_mul_i32 s11, s11, s12
	s_mul_hi_u32 s11, s12, s11
	s_add_i32 s12, s12, s11
	s_mul_hi_u32 s11, s7, s12
	s_mul_i32 s12, s11, s2
	s_sub_i32 s7, s7, s12
	s_add_i32 s12, s11, 1
	s_sub_i32 s13, s7, s2
	s_cmp_ge_u32 s7, s2
	s_cselect_b32 s11, s12, s11
	s_cselect_b32 s7, s13, s7
	s_add_i32 s12, s11, 1
	s_cmp_ge_u32 s7, s2
	s_cselect_b32 s2, s12, s11
	s_xor_b32 s2, s2, s3
	s_sub_i32 s12, s2, s3
	s_abs_i32 s11, s12
	v_cvt_f32_u32_e32 v1, s11
	s_load_dwordx2 s[2:3], s[4:5], 0x40
	s_sub_i32 s7, 0, s11
	s_abs_i32 s16, s6
	v_rcp_iflag_f32_e32 v1, v1
	v_mul_f32_e32 v1, 0x4f7ffffe, v1
	v_cvt_u32_f32_e32 v1, v1
	v_readfirstlane_b32 s13, v1
	s_mul_i32 s7, s7, s13
	s_mul_hi_u32 s7, s13, s7
	s_add_i32 s13, s13, s7
	s_waitcnt lgkmcnt(0)
	s_cmp_eq_u64 s[2:3], 0
	s_mul_hi_u32 s17, s16, s13
	s_cbranch_scc1 .LBB324_2
; %bb.1:
	s_ashr_i32 s7, s6, 31
	s_lshl_b64 s[14:15], s[6:7], 2
	s_add_u32 s2, s2, s14
	s_addc_u32 s3, s3, s15
	s_load_dword s33, s[2:3], 0x0
.LBB324_2:
	s_load_dword s30, s[0:1], 0x0
	s_ashr_i32 s3, s12, 31
	s_load_dwordx4 s[12:15], s[4:5], 0x48
	s_ashr_i32 s2, s6, 31
	v_and_b32_e32 v11, 1, v0
	s_movk_i32 s7, 0x70
	s_mul_i32 s20, s6, 0x70
	v_lshlrev_b32_e32 v15, 3, v0
	v_cmp_gt_u32_e32 vcc, 28, v0
	s_mov_b64 s[0:1], exec
	s_and_b64 s[18:19], s[0:1], vcc
	buffer_store_dword v0, off, s[48:51], 0 offset:260 ; 4-byte Folded Spill
	s_mov_b64 exec, s[18:19]
	s_cbranch_execz .LBB324_4
; %bb.3:
	buffer_load_dword v0, off, s[48:51], 0 offset:260 ; 4-byte Folded Reload
	s_load_dwordx2 s[18:19], s[4:5], 0x8
	s_waitcnt lgkmcnt(0)
	s_mul_i32 s22, s12, s10
	s_ashr_i32 s23, s22, 31
	s_lshl_b64 s[22:23], s[22:23], 1
	s_add_u32 s6, s18, s22
	s_addc_u32 s12, s19, s23
	s_ashr_i32 s21, s20, 31
	s_lshl_b64 s[18:19], s[20:21], 1
	s_add_u32 s18, s6, s18
	s_addc_u32 s19, s12, s19
	global_load_dwordx2 v[1:2], v15, s[18:19]
	s_waitcnt vmcnt(1)
	v_lshlrev_b32_e32 v3, 2, v0
	buffer_load_dword v0, off, s[48:51], 0 offset:260 ; 4-byte Folded Reload
	v_and_b32_e32 v3, 0xff8, v3
	v_mad_u32_u24 v3, v11, s7, v3
	s_waitcnt vmcnt(1)
	ds_write_b64 v3, v[1:2]
.LBB324_4:
	s_or_b64 exec, exec, s[0:1]
	s_waitcnt lgkmcnt(0)
	s_add_i32 s1, s30, 31
	s_ashr_i32 s6, s1, 31
	s_lshr_b32 s6, s6, 27
	s_add_i32 s1, s1, s6
	s_ashr_i32 s21, s1, 5
	s_xor_b32 s1, s2, s3
	s_mul_i32 s2, s17, s11
	s_sub_i32 s2, s16, s2
	s_add_i32 s3, s17, 1
	s_sub_i32 s6, s2, s11
	s_load_dwordx2 s[24:25], s[4:5], 0x28
	s_load_dword s0, s[4:5], 0x38
	s_cmp_ge_u32 s2, s11
	s_cselect_b32 s3, s3, s17
	s_cselect_b32 s2, s6, s2
	s_add_i32 s6, s3, 1
	s_cmp_ge_u32 s2, s11
	s_cselect_b32 s2, s6, s3
	s_waitcnt vmcnt(0)
	v_lshrrev_b32_e32 v1, 6, v0
	s_xor_b32 s2, s2, s1
	s_waitcnt lgkmcnt(0)
	s_mul_i32 s26, s0, s10
	s_sub_i32 s12, s2, s1
	s_barrier
	s_ashr_i32 s27, s26, 31
	v_cmp_gt_i32_e64 s[0:1], s21, v1
	buffer_store_dword v1, off, s[48:51], 0 ; 4-byte Folded Spill
	v_cmp_le_i32_e32 vcc, s21, v1
	v_mbcnt_lo_u32_b32 v1, -1, 0
                                        ; implicit-def: $vgpr14
                                        ; implicit-def: $vgpr8
                                        ; implicit-def: $vgpr9
	s_and_saveexec_b64 s[2:3], vcc
	s_xor_b64 s[2:3], exec, s[2:3]
; %bb.5:
	v_mbcnt_hi_u32_b32 v14, -1, v1
	v_and_b32_e32 v8, 64, v14
	v_add_u32_e32 v9, 64, v8
                                        ; implicit-def: $vgpr11
                                        ; implicit-def: $vgpr1
; %bb.6:
	s_or_saveexec_b64 s[6:7], s[2:3]
	s_load_dwordx2 s[22:23], s[4:5], 0x0
	s_load_dwordx2 s[28:29], s[4:5], 0x18
	s_load_dword s11, s[4:5], 0x88
	s_load_dwordx4 s[16:19], s[4:5], 0x58
	v_mov_b32_e32 v2, 0xff7fffff
	s_mul_i32 s12, s12, s14
	v_lshrrev_b32_e32 v16, 4, v0
	s_xor_b64 exec, exec, s[6:7]
	s_cbranch_execz .LBB324_348
; %bb.7:
	buffer_store_dword v15, off, s[48:51], 0 offset:264 ; 4-byte Folded Spill
	v_mul_u32_u24_e32 v10, 0x70, v11
	ds_read_b128 v[2:5], v10
	ds_read_b128 v[6:9], v10 offset:16
	s_load_dwordx2 s[2:3], s[4:5], 0x10
	s_ashr_i32 s4, s12, 31
	v_mbcnt_hi_u32_b32 v1, -1, v1
	s_waitcnt lgkmcnt(0)
	v_lshlrev_b32_e32 v12, 16, v2
	v_and_b32_e32 v2, 0xffff0000, v2
	buffer_store_dword v2, off, s[48:51], 0 offset:24 ; 4-byte Folded Spill
	v_lshlrev_b32_e32 v2, 16, v3
	buffer_store_dword v2, off, s[48:51], 0 offset:28 ; 4-byte Folded Spill
	v_and_b32_e32 v2, 0xffff0000, v3
	buffer_store_dword v2, off, s[48:51], 0 offset:32 ; 4-byte Folded Spill
	v_lshlrev_b32_e32 v2, 16, v4
	buffer_store_dword v2, off, s[48:51], 0 offset:36 ; 4-byte Folded Spill
	;; [unrolled: 4-line block ×6, first 2 shown]
	ds_read_b128 v[2:5], v10 offset:32
	v_and_b32_e32 v6, 0xffff0000, v8
	buffer_store_dword v6, off, s[48:51], 0 offset:72 ; 4-byte Folded Spill
	v_lshlrev_b32_e32 v6, 16, v9
	buffer_store_dword v6, off, s[48:51], 0 offset:76 ; 4-byte Folded Spill
	v_and_b32_e32 v6, 0xffff0000, v9
	buffer_store_dword v12, off, s[48:51], 0 offset:20 ; 4-byte Folded Spill
	buffer_store_dword v6, off, s[48:51], 0 offset:80 ; 4-byte Folded Spill
	ds_read_b128 v[6:9], v10 offset:48
	s_waitcnt lgkmcnt(1)
	v_lshlrev_b32_e32 v12, 16, v2
	v_and_b32_e32 v2, 0xffff0000, v2
	buffer_store_dword v2, off, s[48:51], 0 offset:92 ; 4-byte Folded Spill
	v_lshlrev_b32_e32 v2, 16, v3
	buffer_store_dword v2, off, s[48:51], 0 offset:96 ; 4-byte Folded Spill
	v_and_b32_e32 v2, 0xffff0000, v3
	buffer_store_dword v2, off, s[48:51], 0 offset:100 ; 4-byte Folded Spill
	v_lshlrev_b32_e32 v2, 16, v4
	buffer_store_dword v2, off, s[48:51], 0 offset:104 ; 4-byte Folded Spill
	;; [unrolled: 4-line block ×3, first 2 shown]
	v_and_b32_e32 v2, 0xffff0000, v5
	buffer_store_dword v2, off, s[48:51], 0 offset:116 ; 4-byte Folded Spill
	s_waitcnt lgkmcnt(0)
	v_lshlrev_b32_e32 v2, 16, v6
	buffer_store_dword v2, off, s[48:51], 0 offset:120 ; 4-byte Folded Spill
	v_and_b32_e32 v2, 0xffff0000, v6
	buffer_store_dword v2, off, s[48:51], 0 offset:124 ; 4-byte Folded Spill
	v_lshlrev_b32_e32 v2, 16, v7
	buffer_store_dword v2, off, s[48:51], 0 offset:128 ; 4-byte Folded Spill
	v_and_b32_e32 v2, 0xffff0000, v7
	buffer_store_dword v2, off, s[48:51], 0 offset:132 ; 4-byte Folded Spill
	v_lshlrev_b32_e32 v2, 16, v8
	buffer_store_dword v2, off, s[48:51], 0 offset:136 ; 4-byte Folded Spill
	ds_read_b128 v[2:5], v10 offset:64
	v_and_b32_e32 v6, 0xffff0000, v8
	buffer_store_dword v6, off, s[48:51], 0 offset:140 ; 4-byte Folded Spill
	v_lshlrev_b32_e32 v6, 16, v9
	buffer_store_dword v6, off, s[48:51], 0 offset:144 ; 4-byte Folded Spill
	v_and_b32_e32 v6, 0xffff0000, v9
	buffer_store_dword v12, off, s[48:51], 0 offset:88 ; 4-byte Folded Spill
	buffer_store_dword v6, off, s[48:51], 0 offset:148 ; 4-byte Folded Spill
	ds_read_b128 v[6:9], v10 offset:80
	s_waitcnt lgkmcnt(1)
	v_lshlrev_b32_e32 v12, 16, v2
	v_and_b32_e32 v2, 0xffff0000, v2
	buffer_store_dword v2, off, s[48:51], 0 offset:156 ; 4-byte Folded Spill
	v_lshlrev_b32_e32 v2, 16, v3
	buffer_store_dword v2, off, s[48:51], 0 offset:160 ; 4-byte Folded Spill
	v_and_b32_e32 v2, 0xffff0000, v3
	buffer_store_dword v2, off, s[48:51], 0 offset:164 ; 4-byte Folded Spill
	v_lshlrev_b32_e32 v2, 16, v4
	buffer_store_dword v2, off, s[48:51], 0 offset:168 ; 4-byte Folded Spill
	;; [unrolled: 4-line block ×3, first 2 shown]
	v_and_b32_e32 v2, 0xffff0000, v5
	buffer_store_dword v2, off, s[48:51], 0 offset:180 ; 4-byte Folded Spill
	s_waitcnt lgkmcnt(0)
	v_lshlrev_b32_e32 v2, 16, v6
	buffer_store_dword v2, off, s[48:51], 0 offset:184 ; 4-byte Folded Spill
	v_and_b32_e32 v2, 0xffff0000, v6
	buffer_store_dword v2, off, s[48:51], 0 offset:188 ; 4-byte Folded Spill
	v_lshlrev_b32_e32 v2, 16, v7
	buffer_store_dword v2, off, s[48:51], 0 offset:192 ; 4-byte Folded Spill
	v_and_b32_e32 v2, 0xffff0000, v7
	buffer_store_dword v2, off, s[48:51], 0 offset:196 ; 4-byte Folded Spill
	ds_read_b128 v[2:5], v10 offset:96
	v_lshlrev_b32_e32 v6, 16, v8
	buffer_store_dword v6, off, s[48:51], 0 offset:200 ; 4-byte Folded Spill
	v_and_b32_e32 v6, 0xffff0000, v8
	buffer_store_dword v6, off, s[48:51], 0 offset:204 ; 4-byte Folded Spill
	v_lshlrev_b32_e32 v6, 16, v9
	buffer_store_dword v6, off, s[48:51], 0 offset:208 ; 4-byte Folded Spill
	v_and_b32_e32 v6, 0xffff0000, v9
	buffer_store_dword v6, off, s[48:51], 0 offset:212 ; 4-byte Folded Spill
	s_waitcnt lgkmcnt(0)
	v_lshlrev_b32_e32 v6, 16, v2
	v_and_b32_e32 v2, 0xffff0000, v2
	buffer_store_dword v2, off, s[48:51], 0 offset:220 ; 4-byte Folded Spill
	v_lshlrev_b32_e32 v2, 16, v3
	buffer_store_dword v2, off, s[48:51], 0 offset:224 ; 4-byte Folded Spill
	v_and_b32_e32 v2, 0xffff0000, v3
	buffer_store_dword v2, off, s[48:51], 0 offset:228 ; 4-byte Folded Spill
	v_lshlrev_b32_e32 v2, 16, v4
	buffer_store_dword v2, off, s[48:51], 0 offset:232 ; 4-byte Folded Spill
	v_and_b32_e32 v2, 0xffff0000, v4
	buffer_store_dword v2, off, s[48:51], 0 offset:236 ; 4-byte Folded Spill
	v_lshlrev_b32_e32 v2, 16, v5
	buffer_store_dword v2, off, s[48:51], 0 offset:240 ; 4-byte Folded Spill
	v_and_b32_e32 v2, 0xffff0000, v5
	buffer_store_dword v2, off, s[48:51], 0 offset:244 ; 4-byte Folded Spill
	s_add_u32 s2, s2, s12
	v_bfe_u32 v2, v0, 1, 5
	s_addc_u32 s3, s3, s4
	v_lshlrev_b32_e32 v3, 4, v2
	v_mov_b32_e32 v4, s3
	v_add_co_u32_e32 v3, vcc, s2, v3
	v_lshlrev_b32_e32 v0, 2, v11
	v_addc_co_u32_e32 v4, vcc, 0, v4, vcc
	v_add_co_u32_e64 v3, s[2:3], v3, v0
	v_addc_co_u32_e64 v4, s[2:3], 0, v4, s[2:3]
	buffer_store_dword v12, off, s[48:51], 0 offset:152 ; 4-byte Folded Spill
	buffer_store_dword v6, off, s[48:51], 0 offset:216 ; 4-byte Folded Spill
	;; [unrolled: 1-line block ×3, first 2 shown]
	s_nop 0
	buffer_store_dword v4, off, s[48:51], 0 offset:252 ; 4-byte Folded Spill
	buffer_load_dword v20, off, s[48:51], 0 ; 4-byte Folded Reload
	s_sub_i32 s38, 1, s30
	s_lshl_b64 s[2:3], s[26:27], 2
	s_add_u32 s2, s24, s2
	s_addc_u32 s3, s25, s3
	v_and_b32_e32 v0, 60, v16
	v_mov_b32_e32 v4, s3
	v_add_co_u32_e64 v3, s[2:3], s2, v0
	v_and_b32_e32 v5, 64, v1
	v_addc_co_u32_e64 v4, s[2:3], 0, v4, s[2:3]
	v_xor_b32_e32 v0, 1, v1
	buffer_store_dword v5, off, s[48:51], 0 offset:276 ; 4-byte Folded Spill
	v_add_u32_e32 v5, 64, v5
	v_cmp_lt_i32_e64 s[2:3], v0, v5
	v_cndmask_b32_e64 v0, v1, v0, s[2:3]
	s_load_dword s40, s[16:17], 0x0
	v_lshlrev_b32_e32 v0, 2, v0
	buffer_store_dword v0, off, s[48:51], 0 offset:256 ; 4-byte Folded Spill
	v_lshlrev_b32_e32 v0, 2, v2
	v_cmp_eq_u32_e32 vcc, 0, v11
	s_mov_b32 s39, s13
	v_cmp_neq_f32_e64 s[2:3], s33, 0
	s_mov_b64 s[14:15], 0
	s_movk_i32 s41, 0x80
	s_movk_i32 s42, 0x7f
	s_mov_b32 s43, 0xffffff
	s_movk_i32 s44, 0x7fff
	v_mov_b32_e32 v19, 0
	buffer_store_dword v16, off, s[48:51], 0 offset:268 ; 4-byte Folded Spill
	buffer_store_dword v5, off, s[48:51], 0 offset:280 ; 4-byte Folded Spill
	;; [unrolled: 1-line block ×3, first 2 shown]
	s_waitcnt vmcnt(5)
	v_lshl_or_b32 v0, v20, 7, v0
	v_lshl_or_b32 v17, v20, 5, v2
	v_add_u32_e32 v18, 0xf0, v0
	v_mov_b32_e32 v0, 0xff7fffff
	buffer_store_dword v0, off, s[48:51], 0 offset:16 ; 4-byte Folded Spill
	s_branch .LBB324_9
.LBB324_8:                              ;   in Loop: Header=BB324_9 Depth=1
	s_or_b64 exec, exec, s[16:17]
	v_add_u32_e32 v20, 2, v20
	v_cmp_le_i32_e64 s[4:5], s21, v20
	s_or_b64 s[14:15], s[4:5], s[14:15]
	v_add_co_u32_e64 v3, s[4:5], 8, v3
	v_add_u32_e32 v17, 64, v17
	v_add_u32_e32 v18, 0x100, v18
	v_addc_co_u32_e64 v4, s[4:5], 0, v4, s[4:5]
	s_andn2_b64 exec, exec, s[14:15]
	s_cbranch_execz .LBB324_347
.LBB324_9:                              ; =>This Inner Loop Header: Depth=1
	global_load_dword v0, v[3:4], off
	s_waitcnt lgkmcnt(0)
	buffer_load_dword v1, off, s[48:51], 0 offset:248 ; 4-byte Folded Reload
	buffer_load_dword v2, off, s[48:51], 0 offset:252 ; 4-byte Folded Reload
	s_waitcnt vmcnt(0)
	v_mad_i64_i32 v[5:6], s[4:5], v0, s39, v[1:2]
	v_mov_b32_e32 v0, 0
	buffer_store_dword v0, off, s[48:51], 0 offset:4 ; 4-byte Folded Spill
	global_load_dword v7, v[5:6], off
	s_waitcnt vmcnt(0)
	v_cmp_ne_u16_sdwa s[4:5], v7, v19 src0_sel:BYTE_0 src1_sel:DWORD
	s_and_saveexec_b64 s[16:17], s[4:5]
	s_cbranch_execz .LBB324_15
; %bb.10:                               ;   in Loop: Header=BB324_9 Depth=1
	v_cmp_ne_u16_sdwa s[4:5], v7, s41 src0_sel:BYTE_0 src1_sel:DWORD
	v_bfrev_b32_e32 v0, 1
	buffer_store_dword v0, off, s[48:51], 0 offset:4 ; 4-byte Folded Spill
	s_and_saveexec_b64 s[34:35], s[4:5]
	s_cbranch_execz .LBB324_14
; %bb.11:                               ;   in Loop: Header=BB324_9 Depth=1
	v_and_b32_e32 v0, 0x7f, v7
	v_cmp_ne_u32_e64 s[4:5], s42, v0
	v_mov_b32_e32 v1, 0x7f800001
	buffer_store_dword v1, off, s[48:51], 0 offset:4 ; 4-byte Folded Spill
	s_and_saveexec_b64 s[36:37], s[4:5]
	s_cbranch_execz .LBB324_13
; %bb.12:                               ;   in Loop: Header=BB324_9 Depth=1
	v_and_b32_e32 v2, 7, v7
	v_lshrrev_b32_e32 v8, 3, v0
	v_cmp_gt_u32_e64 s[4:5], 8, v0
	v_ffbh_u32_e32 v0, v2
	v_min_u32_e32 v9, 32, v0
	v_subrev_u32_e32 v0, 28, v9
	v_lshlrev_b64 v[0:1], v0, v[7:8]
	v_sub_u32_e32 v1, 29, v9
	v_and_b32_e32 v0, 7, v0
	v_cndmask_b32_e64 v1, v8, v1, s[4:5]
	v_cndmask_b32_e64 v0, v2, v0, s[4:5]
	v_lshlrev_b32_e32 v2, 24, v7
	v_bfrev_b32_e32 v8, 60
	v_lshlrev_b32_e32 v0, 20, v0
	v_and_b32_e32 v2, 0x80000000, v2
	v_lshl_add_u32 v1, v1, 23, v8
	v_or3_b32 v0, v2, v1, v0
	buffer_store_dword v0, off, s[48:51], 0 offset:4 ; 4-byte Folded Spill
.LBB324_13:                             ;   in Loop: Header=BB324_9 Depth=1
	s_or_b64 exec, exec, s[36:37]
.LBB324_14:                             ;   in Loop: Header=BB324_9 Depth=1
	s_or_b64 exec, exec, s[34:35]
.LBB324_15:                             ;   in Loop: Header=BB324_9 Depth=1
	s_or_b64 exec, exec, s[16:17]
	v_lshrrev_b16_e32 v8, 8, v7
	v_cmp_ne_u16_e64 s[4:5], 0, v8
	v_mov_b32_e32 v22, 0
	v_mov_b32_e32 v27, 0
	s_and_saveexec_b64 s[16:17], s[4:5]
	s_cbranch_execz .LBB324_21
; %bb.16:                               ;   in Loop: Header=BB324_9 Depth=1
	v_cmp_ne_u16_e64 s[4:5], s41, v8
	v_bfrev_b32_e32 v27, 1
	s_and_saveexec_b64 s[34:35], s[4:5]
	s_cbranch_execz .LBB324_20
; %bb.17:                               ;   in Loop: Header=BB324_9 Depth=1
	v_and_b32_e32 v0, 0x7f, v8
	v_cmp_ne_u32_e64 s[4:5], s42, v0
	v_mov_b32_e32 v27, 0x7f800001
	s_and_saveexec_b64 s[36:37], s[4:5]
	s_cbranch_execz .LBB324_19
; %bb.18:                               ;   in Loop: Header=BB324_9 Depth=1
	v_and_b32_e32 v2, 7, v8
	v_lshrrev_b32_e32 v9, 3, v0
	v_cmp_gt_u32_e64 s[4:5], 8, v0
	v_ffbh_u32_e32 v0, v2
	v_min_u32_e32 v10, 32, v0
	v_subrev_u32_e32 v0, 28, v10
	v_lshlrev_b64 v[0:1], v0, v[8:9]
	v_sub_u32_e32 v1, 29, v10
	v_and_b32_e32 v0, 7, v0
	v_cndmask_b32_e64 v1, v9, v1, s[4:5]
	v_cndmask_b32_e64 v0, v2, v0, s[4:5]
	v_lshlrev_b32_e32 v2, 16, v7
	v_bfrev_b32_e32 v8, 60
	v_lshlrev_b32_e32 v0, 20, v0
	v_and_b32_e32 v2, 0x80000000, v2
	v_lshl_add_u32 v1, v1, 23, v8
	v_or3_b32 v27, v2, v1, v0
.LBB324_19:                             ;   in Loop: Header=BB324_9 Depth=1
	s_or_b64 exec, exec, s[36:37]
.LBB324_20:                             ;   in Loop: Header=BB324_9 Depth=1
	s_or_b64 exec, exec, s[34:35]
.LBB324_21:                             ;   in Loop: Header=BB324_9 Depth=1
	s_or_b64 exec, exec, s[16:17]
	v_lshrrev_b32_e32 v8, 16, v7
	v_cmp_ne_u16_sdwa s[4:5], v8, v19 src0_sel:BYTE_0 src1_sel:DWORD
	s_and_saveexec_b64 s[16:17], s[4:5]
	s_cbranch_execz .LBB324_27
; %bb.22:                               ;   in Loop: Header=BB324_9 Depth=1
	v_cmp_ne_u16_sdwa s[4:5], v8, s41 src0_sel:BYTE_0 src1_sel:DWORD
	v_bfrev_b32_e32 v22, 1
	s_and_saveexec_b64 s[34:35], s[4:5]
	s_cbranch_execz .LBB324_26
; %bb.23:                               ;   in Loop: Header=BB324_9 Depth=1
	v_bfe_u32 v0, v7, 16, 7
	v_cmp_ne_u32_e64 s[4:5], s42, v0
	v_mov_b32_e32 v22, 0x7f800001
	s_and_saveexec_b64 s[36:37], s[4:5]
	s_cbranch_execz .LBB324_25
; %bb.24:                               ;   in Loop: Header=BB324_9 Depth=1
	v_and_b32_e32 v2, 7, v8
	v_lshrrev_b32_e32 v9, 3, v0
	v_cmp_gt_u32_e64 s[4:5], 8, v0
	v_ffbh_u32_e32 v0, v2
	v_min_u32_e32 v10, 32, v0
	v_subrev_u32_e32 v0, 28, v10
	v_lshlrev_b64 v[0:1], v0, v[8:9]
	v_sub_u32_e32 v1, 29, v10
	v_and_b32_e32 v0, 7, v0
	v_cndmask_b32_e64 v1, v9, v1, s[4:5]
	v_cndmask_b32_e64 v0, v2, v0, s[4:5]
	v_lshlrev_b32_e32 v2, 24, v8
	v_bfrev_b32_e32 v8, 60
	v_lshlrev_b32_e32 v0, 20, v0
	v_and_b32_e32 v2, 0x80000000, v2
	v_lshl_add_u32 v1, v1, 23, v8
	v_or3_b32 v22, v2, v1, v0
.LBB324_25:                             ;   in Loop: Header=BB324_9 Depth=1
	s_or_b64 exec, exec, s[36:37]
.LBB324_26:                             ;   in Loop: Header=BB324_9 Depth=1
	s_or_b64 exec, exec, s[34:35]
.LBB324_27:                             ;   in Loop: Header=BB324_9 Depth=1
	s_or_b64 exec, exec, s[16:17]
	v_mov_b32_e32 v0, 0
	v_cmp_lt_u32_e64 s[4:5], s43, v7
	buffer_store_dword v0, off, s[48:51], 0 offset:8 ; 4-byte Folded Spill
	v_mov_b32_e32 v0, 0
	buffer_store_dword v0, off, s[48:51], 0 offset:12 ; 4-byte Folded Spill
	s_and_saveexec_b64 s[16:17], s[4:5]
	s_cbranch_execz .LBB324_33
; %bb.28:                               ;   in Loop: Header=BB324_9 Depth=1
	v_lshrrev_b32_e32 v8, 24, v7
	v_cmp_ne_u32_e64 s[4:5], s41, v8
	v_bfrev_b32_e32 v0, 1
	buffer_store_dword v0, off, s[48:51], 0 offset:12 ; 4-byte Folded Spill
	s_and_saveexec_b64 s[34:35], s[4:5]
	s_cbranch_execz .LBB324_32
; %bb.29:                               ;   in Loop: Header=BB324_9 Depth=1
	v_bfe_u32 v0, v7, 24, 7
	v_cmp_ne_u32_e64 s[4:5], s42, v0
	v_mov_b32_e32 v1, 0x7f800001
	s_and_saveexec_b64 s[36:37], s[4:5]
	s_cbranch_execz .LBB324_31
; %bb.30:                               ;   in Loop: Header=BB324_9 Depth=1
	v_and_b32_e32 v2, 7, v8
	v_lshrrev_b32_e32 v7, 3, v0
	v_cmp_gt_u32_e64 s[4:5], 8, v0
	v_ffbh_u32_e32 v0, v2
	v_min_u32_e32 v9, 32, v0
	v_subrev_u32_e32 v0, 28, v9
	v_lshlrev_b64 v[0:1], v0, v[8:9]
	v_sub_u32_e32 v1, 29, v9
	v_and_b32_e32 v0, 7, v0
	v_cndmask_b32_e64 v1, v7, v1, s[4:5]
	v_cndmask_b32_e64 v0, v2, v0, s[4:5]
	v_lshlrev_b32_e32 v2, 24, v8
	v_bfrev_b32_e32 v7, 60
	v_lshlrev_b32_e32 v0, 20, v0
	v_and_b32_e32 v2, 0x80000000, v2
	v_lshl_add_u32 v1, v1, 23, v7
	v_or3_b32 v1, v2, v1, v0
.LBB324_31:                             ;   in Loop: Header=BB324_9 Depth=1
	s_or_b64 exec, exec, s[36:37]
	buffer_store_dword v1, off, s[48:51], 0 offset:12 ; 4-byte Folded Spill
.LBB324_32:                             ;   in Loop: Header=BB324_9 Depth=1
	s_or_b64 exec, exec, s[34:35]
.LBB324_33:                             ;   in Loop: Header=BB324_9 Depth=1
	s_or_b64 exec, exec, s[16:17]
	global_load_dword v7, v[5:6], off offset:8
	s_waitcnt vmcnt(0)
	v_cmp_ne_u16_sdwa s[4:5], v7, v19 src0_sel:BYTE_0 src1_sel:DWORD
	s_and_saveexec_b64 s[16:17], s[4:5]
	s_cbranch_execz .LBB324_39
; %bb.34:                               ;   in Loop: Header=BB324_9 Depth=1
	v_cmp_ne_u16_sdwa s[4:5], v7, s41 src0_sel:BYTE_0 src1_sel:DWORD
	v_bfrev_b32_e32 v0, 1
	buffer_store_dword v0, off, s[48:51], 0 offset:8 ; 4-byte Folded Spill
	s_and_saveexec_b64 s[34:35], s[4:5]
	s_cbranch_execz .LBB324_38
; %bb.35:                               ;   in Loop: Header=BB324_9 Depth=1
	v_and_b32_e32 v0, 0x7f, v7
	v_cmp_ne_u32_e64 s[4:5], s42, v0
	v_mov_b32_e32 v1, 0x7f800001
	buffer_store_dword v1, off, s[48:51], 0 offset:8 ; 4-byte Folded Spill
	s_and_saveexec_b64 s[36:37], s[4:5]
	s_cbranch_execz .LBB324_37
; %bb.36:                               ;   in Loop: Header=BB324_9 Depth=1
	v_and_b32_e32 v2, 7, v7
	v_lshrrev_b32_e32 v8, 3, v0
	v_cmp_gt_u32_e64 s[4:5], 8, v0
	v_ffbh_u32_e32 v0, v2
	v_min_u32_e32 v9, 32, v0
	v_subrev_u32_e32 v0, 28, v9
	v_lshlrev_b64 v[0:1], v0, v[7:8]
	v_sub_u32_e32 v1, 29, v9
	v_and_b32_e32 v0, 7, v0
	v_cndmask_b32_e64 v1, v8, v1, s[4:5]
	v_cndmask_b32_e64 v0, v2, v0, s[4:5]
	v_lshlrev_b32_e32 v2, 24, v7
	v_bfrev_b32_e32 v8, 60
	v_lshlrev_b32_e32 v0, 20, v0
	v_and_b32_e32 v2, 0x80000000, v2
	v_lshl_add_u32 v1, v1, 23, v8
	v_or3_b32 v0, v2, v1, v0
	buffer_store_dword v0, off, s[48:51], 0 offset:8 ; 4-byte Folded Spill
.LBB324_37:                             ;   in Loop: Header=BB324_9 Depth=1
	s_or_b64 exec, exec, s[36:37]
.LBB324_38:                             ;   in Loop: Header=BB324_9 Depth=1
	s_or_b64 exec, exec, s[34:35]
.LBB324_39:                             ;   in Loop: Header=BB324_9 Depth=1
	s_or_b64 exec, exec, s[16:17]
	v_lshrrev_b16_e32 v8, 8, v7
	v_cmp_ne_u16_e64 s[4:5], 0, v8
	v_mov_b32_e32 v29, 0
	v_mov_b32_e32 v28, 0
	s_and_saveexec_b64 s[16:17], s[4:5]
	s_cbranch_execz .LBB324_45
; %bb.40:                               ;   in Loop: Header=BB324_9 Depth=1
	v_cmp_ne_u16_e64 s[4:5], s41, v8
	v_bfrev_b32_e32 v28, 1
	s_and_saveexec_b64 s[34:35], s[4:5]
	s_cbranch_execz .LBB324_44
; %bb.41:                               ;   in Loop: Header=BB324_9 Depth=1
	v_and_b32_e32 v0, 0x7f, v8
	v_cmp_ne_u32_e64 s[4:5], s42, v0
	v_mov_b32_e32 v28, 0x7f800001
	s_and_saveexec_b64 s[36:37], s[4:5]
	s_cbranch_execz .LBB324_43
; %bb.42:                               ;   in Loop: Header=BB324_9 Depth=1
	v_and_b32_e32 v2, 7, v8
	v_lshrrev_b32_e32 v9, 3, v0
	v_cmp_gt_u32_e64 s[4:5], 8, v0
	v_ffbh_u32_e32 v0, v2
	v_min_u32_e32 v10, 32, v0
	v_subrev_u32_e32 v0, 28, v10
	v_lshlrev_b64 v[0:1], v0, v[8:9]
	v_sub_u32_e32 v1, 29, v10
	v_and_b32_e32 v0, 7, v0
	v_cndmask_b32_e64 v1, v9, v1, s[4:5]
	v_cndmask_b32_e64 v0, v2, v0, s[4:5]
	v_lshlrev_b32_e32 v2, 16, v7
	v_bfrev_b32_e32 v8, 60
	v_lshlrev_b32_e32 v0, 20, v0
	v_and_b32_e32 v2, 0x80000000, v2
	v_lshl_add_u32 v1, v1, 23, v8
	v_or3_b32 v28, v2, v1, v0
.LBB324_43:                             ;   in Loop: Header=BB324_9 Depth=1
	s_or_b64 exec, exec, s[36:37]
.LBB324_44:                             ;   in Loop: Header=BB324_9 Depth=1
	s_or_b64 exec, exec, s[34:35]
.LBB324_45:                             ;   in Loop: Header=BB324_9 Depth=1
	s_or_b64 exec, exec, s[16:17]
	v_lshrrev_b32_e32 v8, 16, v7
	v_cmp_ne_u16_sdwa s[4:5], v8, v19 src0_sel:BYTE_0 src1_sel:DWORD
	s_and_saveexec_b64 s[16:17], s[4:5]
	s_cbranch_execz .LBB324_51
; %bb.46:                               ;   in Loop: Header=BB324_9 Depth=1
	v_cmp_ne_u16_sdwa s[4:5], v8, s41 src0_sel:BYTE_0 src1_sel:DWORD
	v_bfrev_b32_e32 v29, 1
	s_and_saveexec_b64 s[34:35], s[4:5]
	s_cbranch_execz .LBB324_50
; %bb.47:                               ;   in Loop: Header=BB324_9 Depth=1
	v_bfe_u32 v0, v7, 16, 7
	v_cmp_ne_u32_e64 s[4:5], s42, v0
	v_mov_b32_e32 v29, 0x7f800001
	s_and_saveexec_b64 s[36:37], s[4:5]
	s_cbranch_execz .LBB324_49
; %bb.48:                               ;   in Loop: Header=BB324_9 Depth=1
	v_and_b32_e32 v2, 7, v8
	v_lshrrev_b32_e32 v9, 3, v0
	v_cmp_gt_u32_e64 s[4:5], 8, v0
	v_ffbh_u32_e32 v0, v2
	v_min_u32_e32 v10, 32, v0
	v_subrev_u32_e32 v0, 28, v10
	v_lshlrev_b64 v[0:1], v0, v[8:9]
	v_sub_u32_e32 v1, 29, v10
	v_and_b32_e32 v0, 7, v0
	v_cndmask_b32_e64 v1, v9, v1, s[4:5]
	v_cndmask_b32_e64 v0, v2, v0, s[4:5]
	v_lshlrev_b32_e32 v2, 24, v8
	v_bfrev_b32_e32 v8, 60
	v_lshlrev_b32_e32 v0, 20, v0
	v_and_b32_e32 v2, 0x80000000, v2
	v_lshl_add_u32 v1, v1, 23, v8
	v_or3_b32 v29, v2, v1, v0
.LBB324_49:                             ;   in Loop: Header=BB324_9 Depth=1
	s_or_b64 exec, exec, s[36:37]
.LBB324_50:                             ;   in Loop: Header=BB324_9 Depth=1
	s_or_b64 exec, exec, s[34:35]
.LBB324_51:                             ;   in Loop: Header=BB324_9 Depth=1
	s_or_b64 exec, exec, s[16:17]
	v_cmp_lt_u32_e64 s[4:5], s43, v7
	v_mov_b32_e32 v31, 0
	v_mov_b32_e32 v30, 0
	s_and_saveexec_b64 s[16:17], s[4:5]
	s_cbranch_execz .LBB324_57
; %bb.52:                               ;   in Loop: Header=BB324_9 Depth=1
	v_lshrrev_b32_e32 v8, 24, v7
	v_cmp_ne_u32_e64 s[4:5], s41, v8
	v_bfrev_b32_e32 v30, 1
	s_and_saveexec_b64 s[34:35], s[4:5]
	s_cbranch_execz .LBB324_56
; %bb.53:                               ;   in Loop: Header=BB324_9 Depth=1
	v_bfe_u32 v0, v7, 24, 7
	v_cmp_ne_u32_e64 s[4:5], s42, v0
	v_mov_b32_e32 v30, 0x7f800001
	s_and_saveexec_b64 s[36:37], s[4:5]
	s_cbranch_execz .LBB324_55
; %bb.54:                               ;   in Loop: Header=BB324_9 Depth=1
	v_and_b32_e32 v2, 7, v8
	v_lshrrev_b32_e32 v7, 3, v0
	v_cmp_gt_u32_e64 s[4:5], 8, v0
	v_ffbh_u32_e32 v0, v2
	v_min_u32_e32 v9, 32, v0
	v_subrev_u32_e32 v0, 28, v9
	v_lshlrev_b64 v[0:1], v0, v[8:9]
	v_sub_u32_e32 v1, 29, v9
	v_and_b32_e32 v0, 7, v0
	v_cndmask_b32_e64 v1, v7, v1, s[4:5]
	v_cndmask_b32_e64 v0, v2, v0, s[4:5]
	v_lshlrev_b32_e32 v2, 24, v8
	v_bfrev_b32_e32 v7, 60
	v_lshlrev_b32_e32 v0, 20, v0
	v_and_b32_e32 v2, 0x80000000, v2
	v_lshl_add_u32 v1, v1, 23, v7
	v_or3_b32 v30, v2, v1, v0
.LBB324_55:                             ;   in Loop: Header=BB324_9 Depth=1
	s_or_b64 exec, exec, s[36:37]
.LBB324_56:                             ;   in Loop: Header=BB324_9 Depth=1
	s_or_b64 exec, exec, s[34:35]
.LBB324_57:                             ;   in Loop: Header=BB324_9 Depth=1
	s_or_b64 exec, exec, s[16:17]
	global_load_dword v7, v[5:6], off offset:512
	s_waitcnt vmcnt(0)
	v_cmp_ne_u16_sdwa s[4:5], v7, v19 src0_sel:BYTE_0 src1_sel:DWORD
	s_and_saveexec_b64 s[16:17], s[4:5]
	s_cbranch_execz .LBB324_63
; %bb.58:                               ;   in Loop: Header=BB324_9 Depth=1
	v_cmp_ne_u16_sdwa s[4:5], v7, s41 src0_sel:BYTE_0 src1_sel:DWORD
	v_bfrev_b32_e32 v31, 1
	s_and_saveexec_b64 s[34:35], s[4:5]
	s_cbranch_execz .LBB324_62
; %bb.59:                               ;   in Loop: Header=BB324_9 Depth=1
	v_and_b32_e32 v0, 0x7f, v7
	v_cmp_ne_u32_e64 s[4:5], s42, v0
	v_mov_b32_e32 v31, 0x7f800001
	s_and_saveexec_b64 s[36:37], s[4:5]
	s_cbranch_execz .LBB324_61
; %bb.60:                               ;   in Loop: Header=BB324_9 Depth=1
	v_and_b32_e32 v2, 7, v7
	v_lshrrev_b32_e32 v8, 3, v0
	v_cmp_gt_u32_e64 s[4:5], 8, v0
	v_ffbh_u32_e32 v0, v2
	v_min_u32_e32 v9, 32, v0
	v_subrev_u32_e32 v0, 28, v9
	v_lshlrev_b64 v[0:1], v0, v[7:8]
	v_sub_u32_e32 v1, 29, v9
	v_and_b32_e32 v0, 7, v0
	v_cndmask_b32_e64 v1, v8, v1, s[4:5]
	v_cndmask_b32_e64 v0, v2, v0, s[4:5]
	v_lshlrev_b32_e32 v2, 24, v7
	v_bfrev_b32_e32 v8, 60
	v_lshlrev_b32_e32 v0, 20, v0
	v_and_b32_e32 v2, 0x80000000, v2
	v_lshl_add_u32 v1, v1, 23, v8
	v_or3_b32 v31, v2, v1, v0
.LBB324_61:                             ;   in Loop: Header=BB324_9 Depth=1
	s_or_b64 exec, exec, s[36:37]
.LBB324_62:                             ;   in Loop: Header=BB324_9 Depth=1
	s_or_b64 exec, exec, s[34:35]
.LBB324_63:                             ;   in Loop: Header=BB324_9 Depth=1
	s_or_b64 exec, exec, s[16:17]
	v_lshrrev_b16_e32 v8, 8, v7
	v_cmp_ne_u16_e64 s[4:5], 0, v8
	v_mov_b32_e32 v33, 0
	v_mov_b32_e32 v32, 0
	s_and_saveexec_b64 s[16:17], s[4:5]
	s_cbranch_execz .LBB324_69
; %bb.64:                               ;   in Loop: Header=BB324_9 Depth=1
	v_cmp_ne_u16_e64 s[4:5], s41, v8
	v_bfrev_b32_e32 v32, 1
	s_and_saveexec_b64 s[34:35], s[4:5]
	s_cbranch_execz .LBB324_68
; %bb.65:                               ;   in Loop: Header=BB324_9 Depth=1
	v_and_b32_e32 v0, 0x7f, v8
	v_cmp_ne_u32_e64 s[4:5], s42, v0
	v_mov_b32_e32 v32, 0x7f800001
	s_and_saveexec_b64 s[36:37], s[4:5]
	s_cbranch_execz .LBB324_67
; %bb.66:                               ;   in Loop: Header=BB324_9 Depth=1
	v_and_b32_e32 v2, 7, v8
	v_lshrrev_b32_e32 v9, 3, v0
	v_cmp_gt_u32_e64 s[4:5], 8, v0
	v_ffbh_u32_e32 v0, v2
	v_min_u32_e32 v10, 32, v0
	v_subrev_u32_e32 v0, 28, v10
	v_lshlrev_b64 v[0:1], v0, v[8:9]
	v_sub_u32_e32 v1, 29, v10
	v_and_b32_e32 v0, 7, v0
	v_cndmask_b32_e64 v1, v9, v1, s[4:5]
	v_cndmask_b32_e64 v0, v2, v0, s[4:5]
	v_lshlrev_b32_e32 v2, 16, v7
	v_bfrev_b32_e32 v8, 60
	v_lshlrev_b32_e32 v0, 20, v0
	v_and_b32_e32 v2, 0x80000000, v2
	v_lshl_add_u32 v1, v1, 23, v8
	v_or3_b32 v32, v2, v1, v0
.LBB324_67:                             ;   in Loop: Header=BB324_9 Depth=1
	s_or_b64 exec, exec, s[36:37]
.LBB324_68:                             ;   in Loop: Header=BB324_9 Depth=1
	s_or_b64 exec, exec, s[34:35]
.LBB324_69:                             ;   in Loop: Header=BB324_9 Depth=1
	s_or_b64 exec, exec, s[16:17]
	v_lshrrev_b32_e32 v8, 16, v7
	v_cmp_ne_u16_sdwa s[4:5], v8, v19 src0_sel:BYTE_0 src1_sel:DWORD
	s_and_saveexec_b64 s[16:17], s[4:5]
	s_cbranch_execz .LBB324_75
; %bb.70:                               ;   in Loop: Header=BB324_9 Depth=1
	v_cmp_ne_u16_sdwa s[4:5], v8, s41 src0_sel:BYTE_0 src1_sel:DWORD
	v_bfrev_b32_e32 v33, 1
	s_and_saveexec_b64 s[34:35], s[4:5]
	s_cbranch_execz .LBB324_74
; %bb.71:                               ;   in Loop: Header=BB324_9 Depth=1
	v_bfe_u32 v0, v7, 16, 7
	v_cmp_ne_u32_e64 s[4:5], s42, v0
	v_mov_b32_e32 v33, 0x7f800001
	s_and_saveexec_b64 s[36:37], s[4:5]
	s_cbranch_execz .LBB324_73
; %bb.72:                               ;   in Loop: Header=BB324_9 Depth=1
	v_and_b32_e32 v2, 7, v8
	v_lshrrev_b32_e32 v9, 3, v0
	v_cmp_gt_u32_e64 s[4:5], 8, v0
	v_ffbh_u32_e32 v0, v2
	v_min_u32_e32 v10, 32, v0
	v_subrev_u32_e32 v0, 28, v10
	v_lshlrev_b64 v[0:1], v0, v[8:9]
	v_sub_u32_e32 v1, 29, v10
	v_and_b32_e32 v0, 7, v0
	v_cndmask_b32_e64 v1, v9, v1, s[4:5]
	v_cndmask_b32_e64 v0, v2, v0, s[4:5]
	v_lshlrev_b32_e32 v2, 24, v8
	v_bfrev_b32_e32 v8, 60
	v_lshlrev_b32_e32 v0, 20, v0
	v_and_b32_e32 v2, 0x80000000, v2
	v_lshl_add_u32 v1, v1, 23, v8
	v_or3_b32 v33, v2, v1, v0
.LBB324_73:                             ;   in Loop: Header=BB324_9 Depth=1
	s_or_b64 exec, exec, s[36:37]
.LBB324_74:                             ;   in Loop: Header=BB324_9 Depth=1
	s_or_b64 exec, exec, s[34:35]
.LBB324_75:                             ;   in Loop: Header=BB324_9 Depth=1
	s_or_b64 exec, exec, s[16:17]
	v_cmp_lt_u32_e64 s[4:5], s43, v7
	v_mov_b32_e32 v35, 0
	v_mov_b32_e32 v34, 0
	s_and_saveexec_b64 s[16:17], s[4:5]
	s_cbranch_execz .LBB324_81
; %bb.76:                               ;   in Loop: Header=BB324_9 Depth=1
	v_lshrrev_b32_e32 v8, 24, v7
	v_cmp_ne_u32_e64 s[4:5], s41, v8
	v_bfrev_b32_e32 v34, 1
	s_and_saveexec_b64 s[34:35], s[4:5]
	s_cbranch_execz .LBB324_80
; %bb.77:                               ;   in Loop: Header=BB324_9 Depth=1
	v_bfe_u32 v0, v7, 24, 7
	v_cmp_ne_u32_e64 s[4:5], s42, v0
	v_mov_b32_e32 v34, 0x7f800001
	s_and_saveexec_b64 s[36:37], s[4:5]
	s_cbranch_execz .LBB324_79
; %bb.78:                               ;   in Loop: Header=BB324_9 Depth=1
	v_and_b32_e32 v2, 7, v8
	v_lshrrev_b32_e32 v7, 3, v0
	v_cmp_gt_u32_e64 s[4:5], 8, v0
	v_ffbh_u32_e32 v0, v2
	v_min_u32_e32 v9, 32, v0
	v_subrev_u32_e32 v0, 28, v9
	v_lshlrev_b64 v[0:1], v0, v[8:9]
	v_sub_u32_e32 v1, 29, v9
	v_and_b32_e32 v0, 7, v0
	v_cndmask_b32_e64 v1, v7, v1, s[4:5]
	v_cndmask_b32_e64 v0, v2, v0, s[4:5]
	v_lshlrev_b32_e32 v2, 24, v8
	v_bfrev_b32_e32 v7, 60
	v_lshlrev_b32_e32 v0, 20, v0
	v_and_b32_e32 v2, 0x80000000, v2
	v_lshl_add_u32 v1, v1, 23, v7
	v_or3_b32 v34, v2, v1, v0
.LBB324_79:                             ;   in Loop: Header=BB324_9 Depth=1
	s_or_b64 exec, exec, s[36:37]
.LBB324_80:                             ;   in Loop: Header=BB324_9 Depth=1
	s_or_b64 exec, exec, s[34:35]
.LBB324_81:                             ;   in Loop: Header=BB324_9 Depth=1
	s_or_b64 exec, exec, s[16:17]
	global_load_dword v7, v[5:6], off offset:520
	s_waitcnt vmcnt(0)
	v_cmp_ne_u16_sdwa s[4:5], v7, v19 src0_sel:BYTE_0 src1_sel:DWORD
	s_and_saveexec_b64 s[16:17], s[4:5]
	s_cbranch_execz .LBB324_87
; %bb.82:                               ;   in Loop: Header=BB324_9 Depth=1
	v_cmp_ne_u16_sdwa s[4:5], v7, s41 src0_sel:BYTE_0 src1_sel:DWORD
	v_bfrev_b32_e32 v35, 1
	s_and_saveexec_b64 s[34:35], s[4:5]
	s_cbranch_execz .LBB324_86
; %bb.83:                               ;   in Loop: Header=BB324_9 Depth=1
	v_and_b32_e32 v0, 0x7f, v7
	v_cmp_ne_u32_e64 s[4:5], s42, v0
	v_mov_b32_e32 v35, 0x7f800001
	s_and_saveexec_b64 s[36:37], s[4:5]
	s_cbranch_execz .LBB324_85
; %bb.84:                               ;   in Loop: Header=BB324_9 Depth=1
	v_and_b32_e32 v2, 7, v7
	v_lshrrev_b32_e32 v8, 3, v0
	v_cmp_gt_u32_e64 s[4:5], 8, v0
	v_ffbh_u32_e32 v0, v2
	v_min_u32_e32 v9, 32, v0
	v_subrev_u32_e32 v0, 28, v9
	v_lshlrev_b64 v[0:1], v0, v[7:8]
	v_sub_u32_e32 v1, 29, v9
	v_and_b32_e32 v0, 7, v0
	v_cndmask_b32_e64 v1, v8, v1, s[4:5]
	v_cndmask_b32_e64 v0, v2, v0, s[4:5]
	v_lshlrev_b32_e32 v2, 24, v7
	v_bfrev_b32_e32 v8, 60
	v_lshlrev_b32_e32 v0, 20, v0
	v_and_b32_e32 v2, 0x80000000, v2
	v_lshl_add_u32 v1, v1, 23, v8
	v_or3_b32 v35, v2, v1, v0
.LBB324_85:                             ;   in Loop: Header=BB324_9 Depth=1
	s_or_b64 exec, exec, s[36:37]
.LBB324_86:                             ;   in Loop: Header=BB324_9 Depth=1
	s_or_b64 exec, exec, s[34:35]
.LBB324_87:                             ;   in Loop: Header=BB324_9 Depth=1
	s_or_b64 exec, exec, s[16:17]
	v_lshrrev_b16_e32 v8, 8, v7
	v_cmp_ne_u16_e64 s[4:5], 0, v8
	v_mov_b32_e32 v37, 0
	v_mov_b32_e32 v36, 0
	s_and_saveexec_b64 s[16:17], s[4:5]
	s_cbranch_execz .LBB324_93
; %bb.88:                               ;   in Loop: Header=BB324_9 Depth=1
	v_cmp_ne_u16_e64 s[4:5], s41, v8
	v_bfrev_b32_e32 v36, 1
	s_and_saveexec_b64 s[34:35], s[4:5]
	s_cbranch_execz .LBB324_92
; %bb.89:                               ;   in Loop: Header=BB324_9 Depth=1
	v_and_b32_e32 v0, 0x7f, v8
	v_cmp_ne_u32_e64 s[4:5], s42, v0
	v_mov_b32_e32 v36, 0x7f800001
	s_and_saveexec_b64 s[36:37], s[4:5]
	s_cbranch_execz .LBB324_91
; %bb.90:                               ;   in Loop: Header=BB324_9 Depth=1
	v_and_b32_e32 v2, 7, v8
	v_lshrrev_b32_e32 v9, 3, v0
	v_cmp_gt_u32_e64 s[4:5], 8, v0
	v_ffbh_u32_e32 v0, v2
	v_min_u32_e32 v10, 32, v0
	v_subrev_u32_e32 v0, 28, v10
	v_lshlrev_b64 v[0:1], v0, v[8:9]
	v_sub_u32_e32 v1, 29, v10
	v_and_b32_e32 v0, 7, v0
	v_cndmask_b32_e64 v1, v9, v1, s[4:5]
	v_cndmask_b32_e64 v0, v2, v0, s[4:5]
	v_lshlrev_b32_e32 v2, 16, v7
	v_bfrev_b32_e32 v8, 60
	v_lshlrev_b32_e32 v0, 20, v0
	v_and_b32_e32 v2, 0x80000000, v2
	v_lshl_add_u32 v1, v1, 23, v8
	v_or3_b32 v36, v2, v1, v0
.LBB324_91:                             ;   in Loop: Header=BB324_9 Depth=1
	s_or_b64 exec, exec, s[36:37]
.LBB324_92:                             ;   in Loop: Header=BB324_9 Depth=1
	s_or_b64 exec, exec, s[34:35]
.LBB324_93:                             ;   in Loop: Header=BB324_9 Depth=1
	s_or_b64 exec, exec, s[16:17]
	v_lshrrev_b32_e32 v8, 16, v7
	v_cmp_ne_u16_sdwa s[4:5], v8, v19 src0_sel:BYTE_0 src1_sel:DWORD
	s_and_saveexec_b64 s[16:17], s[4:5]
	s_cbranch_execz .LBB324_99
; %bb.94:                               ;   in Loop: Header=BB324_9 Depth=1
	v_cmp_ne_u16_sdwa s[4:5], v8, s41 src0_sel:BYTE_0 src1_sel:DWORD
	v_bfrev_b32_e32 v37, 1
	s_and_saveexec_b64 s[34:35], s[4:5]
	s_cbranch_execz .LBB324_98
; %bb.95:                               ;   in Loop: Header=BB324_9 Depth=1
	v_bfe_u32 v0, v7, 16, 7
	v_cmp_ne_u32_e64 s[4:5], s42, v0
	v_mov_b32_e32 v37, 0x7f800001
	s_and_saveexec_b64 s[36:37], s[4:5]
	s_cbranch_execz .LBB324_97
; %bb.96:                               ;   in Loop: Header=BB324_9 Depth=1
	v_and_b32_e32 v2, 7, v8
	v_lshrrev_b32_e32 v9, 3, v0
	v_cmp_gt_u32_e64 s[4:5], 8, v0
	v_ffbh_u32_e32 v0, v2
	v_min_u32_e32 v10, 32, v0
	v_subrev_u32_e32 v0, 28, v10
	v_lshlrev_b64 v[0:1], v0, v[8:9]
	v_sub_u32_e32 v1, 29, v10
	v_and_b32_e32 v0, 7, v0
	v_cndmask_b32_e64 v1, v9, v1, s[4:5]
	v_cndmask_b32_e64 v0, v2, v0, s[4:5]
	v_lshlrev_b32_e32 v2, 24, v8
	v_bfrev_b32_e32 v8, 60
	v_lshlrev_b32_e32 v0, 20, v0
	v_and_b32_e32 v2, 0x80000000, v2
	v_lshl_add_u32 v1, v1, 23, v8
	v_or3_b32 v37, v2, v1, v0
.LBB324_97:                             ;   in Loop: Header=BB324_9 Depth=1
	s_or_b64 exec, exec, s[36:37]
.LBB324_98:                             ;   in Loop: Header=BB324_9 Depth=1
	s_or_b64 exec, exec, s[34:35]
.LBB324_99:                             ;   in Loop: Header=BB324_9 Depth=1
	s_or_b64 exec, exec, s[16:17]
	v_cmp_lt_u32_e64 s[4:5], s43, v7
	v_mov_b32_e32 v39, 0
	v_mov_b32_e32 v38, 0
	s_and_saveexec_b64 s[16:17], s[4:5]
	s_cbranch_execz .LBB324_105
; %bb.100:                              ;   in Loop: Header=BB324_9 Depth=1
	v_lshrrev_b32_e32 v8, 24, v7
	v_cmp_ne_u32_e64 s[4:5], s41, v8
	v_bfrev_b32_e32 v38, 1
	s_and_saveexec_b64 s[34:35], s[4:5]
	s_cbranch_execz .LBB324_104
; %bb.101:                              ;   in Loop: Header=BB324_9 Depth=1
	v_bfe_u32 v0, v7, 24, 7
	v_cmp_ne_u32_e64 s[4:5], s42, v0
	v_mov_b32_e32 v38, 0x7f800001
	s_and_saveexec_b64 s[36:37], s[4:5]
	s_cbranch_execz .LBB324_103
; %bb.102:                              ;   in Loop: Header=BB324_9 Depth=1
	v_and_b32_e32 v2, 7, v8
	v_lshrrev_b32_e32 v7, 3, v0
	v_cmp_gt_u32_e64 s[4:5], 8, v0
	v_ffbh_u32_e32 v0, v2
	v_min_u32_e32 v9, 32, v0
	v_subrev_u32_e32 v0, 28, v9
	v_lshlrev_b64 v[0:1], v0, v[8:9]
	v_sub_u32_e32 v1, 29, v9
	v_and_b32_e32 v0, 7, v0
	v_cndmask_b32_e64 v1, v7, v1, s[4:5]
	v_cndmask_b32_e64 v0, v2, v0, s[4:5]
	v_lshlrev_b32_e32 v2, 24, v8
	v_bfrev_b32_e32 v7, 60
	v_lshlrev_b32_e32 v0, 20, v0
	v_and_b32_e32 v2, 0x80000000, v2
	v_lshl_add_u32 v1, v1, 23, v7
	v_or3_b32 v38, v2, v1, v0
.LBB324_103:                            ;   in Loop: Header=BB324_9 Depth=1
	s_or_b64 exec, exec, s[36:37]
.LBB324_104:                            ;   in Loop: Header=BB324_9 Depth=1
	s_or_b64 exec, exec, s[34:35]
.LBB324_105:                            ;   in Loop: Header=BB324_9 Depth=1
	s_or_b64 exec, exec, s[16:17]
	global_load_dword v7, v[5:6], off offset:1024
	s_waitcnt vmcnt(0)
	v_cmp_ne_u16_sdwa s[4:5], v7, v19 src0_sel:BYTE_0 src1_sel:DWORD
	s_and_saveexec_b64 s[16:17], s[4:5]
	s_cbranch_execz .LBB324_111
; %bb.106:                              ;   in Loop: Header=BB324_9 Depth=1
	v_cmp_ne_u16_sdwa s[4:5], v7, s41 src0_sel:BYTE_0 src1_sel:DWORD
	v_bfrev_b32_e32 v39, 1
	s_and_saveexec_b64 s[34:35], s[4:5]
	s_cbranch_execz .LBB324_110
; %bb.107:                              ;   in Loop: Header=BB324_9 Depth=1
	v_and_b32_e32 v0, 0x7f, v7
	v_cmp_ne_u32_e64 s[4:5], s42, v0
	v_mov_b32_e32 v39, 0x7f800001
	s_and_saveexec_b64 s[36:37], s[4:5]
	s_cbranch_execz .LBB324_109
; %bb.108:                              ;   in Loop: Header=BB324_9 Depth=1
	v_and_b32_e32 v2, 7, v7
	v_lshrrev_b32_e32 v8, 3, v0
	v_cmp_gt_u32_e64 s[4:5], 8, v0
	v_ffbh_u32_e32 v0, v2
	v_min_u32_e32 v9, 32, v0
	v_subrev_u32_e32 v0, 28, v9
	v_lshlrev_b64 v[0:1], v0, v[7:8]
	v_sub_u32_e32 v1, 29, v9
	v_and_b32_e32 v0, 7, v0
	v_cndmask_b32_e64 v1, v8, v1, s[4:5]
	v_cndmask_b32_e64 v0, v2, v0, s[4:5]
	v_lshlrev_b32_e32 v2, 24, v7
	v_bfrev_b32_e32 v8, 60
	v_lshlrev_b32_e32 v0, 20, v0
	v_and_b32_e32 v2, 0x80000000, v2
	v_lshl_add_u32 v1, v1, 23, v8
	v_or3_b32 v39, v2, v1, v0
.LBB324_109:                            ;   in Loop: Header=BB324_9 Depth=1
	s_or_b64 exec, exec, s[36:37]
.LBB324_110:                            ;   in Loop: Header=BB324_9 Depth=1
	s_or_b64 exec, exec, s[34:35]
.LBB324_111:                            ;   in Loop: Header=BB324_9 Depth=1
	s_or_b64 exec, exec, s[16:17]
	v_lshrrev_b16_e32 v8, 8, v7
	v_cmp_ne_u16_e64 s[4:5], 0, v8
	v_mov_b32_e32 v41, 0
	v_mov_b32_e32 v40, 0
	s_and_saveexec_b64 s[16:17], s[4:5]
	s_cbranch_execz .LBB324_117
; %bb.112:                              ;   in Loop: Header=BB324_9 Depth=1
	v_cmp_ne_u16_e64 s[4:5], s41, v8
	v_bfrev_b32_e32 v40, 1
	s_and_saveexec_b64 s[34:35], s[4:5]
	s_cbranch_execz .LBB324_116
; %bb.113:                              ;   in Loop: Header=BB324_9 Depth=1
	v_and_b32_e32 v0, 0x7f, v8
	v_cmp_ne_u32_e64 s[4:5], s42, v0
	v_mov_b32_e32 v40, 0x7f800001
	s_and_saveexec_b64 s[36:37], s[4:5]
	s_cbranch_execz .LBB324_115
; %bb.114:                              ;   in Loop: Header=BB324_9 Depth=1
	v_and_b32_e32 v2, 7, v8
	v_lshrrev_b32_e32 v9, 3, v0
	v_cmp_gt_u32_e64 s[4:5], 8, v0
	v_ffbh_u32_e32 v0, v2
	v_min_u32_e32 v10, 32, v0
	v_subrev_u32_e32 v0, 28, v10
	v_lshlrev_b64 v[0:1], v0, v[8:9]
	v_sub_u32_e32 v1, 29, v10
	v_and_b32_e32 v0, 7, v0
	v_cndmask_b32_e64 v1, v9, v1, s[4:5]
	v_cndmask_b32_e64 v0, v2, v0, s[4:5]
	v_lshlrev_b32_e32 v2, 16, v7
	v_bfrev_b32_e32 v8, 60
	v_lshlrev_b32_e32 v0, 20, v0
	v_and_b32_e32 v2, 0x80000000, v2
	v_lshl_add_u32 v1, v1, 23, v8
	v_or3_b32 v40, v2, v1, v0
.LBB324_115:                            ;   in Loop: Header=BB324_9 Depth=1
	s_or_b64 exec, exec, s[36:37]
.LBB324_116:                            ;   in Loop: Header=BB324_9 Depth=1
	s_or_b64 exec, exec, s[34:35]
.LBB324_117:                            ;   in Loop: Header=BB324_9 Depth=1
	s_or_b64 exec, exec, s[16:17]
	v_lshrrev_b32_e32 v8, 16, v7
	v_cmp_ne_u16_sdwa s[4:5], v8, v19 src0_sel:BYTE_0 src1_sel:DWORD
	s_and_saveexec_b64 s[16:17], s[4:5]
	s_cbranch_execz .LBB324_123
; %bb.118:                              ;   in Loop: Header=BB324_9 Depth=1
	v_cmp_ne_u16_sdwa s[4:5], v8, s41 src0_sel:BYTE_0 src1_sel:DWORD
	v_bfrev_b32_e32 v41, 1
	s_and_saveexec_b64 s[34:35], s[4:5]
	s_cbranch_execz .LBB324_122
; %bb.119:                              ;   in Loop: Header=BB324_9 Depth=1
	v_bfe_u32 v0, v7, 16, 7
	v_cmp_ne_u32_e64 s[4:5], s42, v0
	v_mov_b32_e32 v41, 0x7f800001
	s_and_saveexec_b64 s[36:37], s[4:5]
	s_cbranch_execz .LBB324_121
; %bb.120:                              ;   in Loop: Header=BB324_9 Depth=1
	v_and_b32_e32 v2, 7, v8
	v_lshrrev_b32_e32 v9, 3, v0
	v_cmp_gt_u32_e64 s[4:5], 8, v0
	v_ffbh_u32_e32 v0, v2
	v_min_u32_e32 v10, 32, v0
	v_subrev_u32_e32 v0, 28, v10
	v_lshlrev_b64 v[0:1], v0, v[8:9]
	v_sub_u32_e32 v1, 29, v10
	v_and_b32_e32 v0, 7, v0
	v_cndmask_b32_e64 v1, v9, v1, s[4:5]
	v_cndmask_b32_e64 v0, v2, v0, s[4:5]
	v_lshlrev_b32_e32 v2, 24, v8
	v_bfrev_b32_e32 v8, 60
	v_lshlrev_b32_e32 v0, 20, v0
	v_and_b32_e32 v2, 0x80000000, v2
	v_lshl_add_u32 v1, v1, 23, v8
	v_or3_b32 v41, v2, v1, v0
.LBB324_121:                            ;   in Loop: Header=BB324_9 Depth=1
	s_or_b64 exec, exec, s[36:37]
.LBB324_122:                            ;   in Loop: Header=BB324_9 Depth=1
	s_or_b64 exec, exec, s[34:35]
.LBB324_123:                            ;   in Loop: Header=BB324_9 Depth=1
	s_or_b64 exec, exec, s[16:17]
	v_cmp_lt_u32_e64 s[4:5], s43, v7
	v_mov_b32_e32 v43, 0
	v_mov_b32_e32 v42, 0
	s_and_saveexec_b64 s[16:17], s[4:5]
	s_cbranch_execz .LBB324_129
; %bb.124:                              ;   in Loop: Header=BB324_9 Depth=1
	v_lshrrev_b32_e32 v8, 24, v7
	v_cmp_ne_u32_e64 s[4:5], s41, v8
	v_bfrev_b32_e32 v42, 1
	s_and_saveexec_b64 s[34:35], s[4:5]
	s_cbranch_execz .LBB324_128
; %bb.125:                              ;   in Loop: Header=BB324_9 Depth=1
	v_bfe_u32 v0, v7, 24, 7
	v_cmp_ne_u32_e64 s[4:5], s42, v0
	v_mov_b32_e32 v42, 0x7f800001
	s_and_saveexec_b64 s[36:37], s[4:5]
	s_cbranch_execz .LBB324_127
; %bb.126:                              ;   in Loop: Header=BB324_9 Depth=1
	v_and_b32_e32 v2, 7, v8
	v_lshrrev_b32_e32 v7, 3, v0
	v_cmp_gt_u32_e64 s[4:5], 8, v0
	v_ffbh_u32_e32 v0, v2
	v_min_u32_e32 v9, 32, v0
	v_subrev_u32_e32 v0, 28, v9
	v_lshlrev_b64 v[0:1], v0, v[8:9]
	v_sub_u32_e32 v1, 29, v9
	v_and_b32_e32 v0, 7, v0
	v_cndmask_b32_e64 v1, v7, v1, s[4:5]
	v_cndmask_b32_e64 v0, v2, v0, s[4:5]
	v_lshlrev_b32_e32 v2, 24, v8
	v_bfrev_b32_e32 v7, 60
	v_lshlrev_b32_e32 v0, 20, v0
	v_and_b32_e32 v2, 0x80000000, v2
	v_lshl_add_u32 v1, v1, 23, v7
	v_or3_b32 v42, v2, v1, v0
.LBB324_127:                            ;   in Loop: Header=BB324_9 Depth=1
	s_or_b64 exec, exec, s[36:37]
.LBB324_128:                            ;   in Loop: Header=BB324_9 Depth=1
	s_or_b64 exec, exec, s[34:35]
.LBB324_129:                            ;   in Loop: Header=BB324_9 Depth=1
	s_or_b64 exec, exec, s[16:17]
	global_load_dword v7, v[5:6], off offset:1032
	s_waitcnt vmcnt(0)
	v_cmp_ne_u16_sdwa s[4:5], v7, v19 src0_sel:BYTE_0 src1_sel:DWORD
	s_and_saveexec_b64 s[16:17], s[4:5]
	s_cbranch_execz .LBB324_135
; %bb.130:                              ;   in Loop: Header=BB324_9 Depth=1
	v_cmp_ne_u16_sdwa s[4:5], v7, s41 src0_sel:BYTE_0 src1_sel:DWORD
	v_bfrev_b32_e32 v43, 1
	s_and_saveexec_b64 s[34:35], s[4:5]
	s_cbranch_execz .LBB324_134
; %bb.131:                              ;   in Loop: Header=BB324_9 Depth=1
	v_and_b32_e32 v0, 0x7f, v7
	v_cmp_ne_u32_e64 s[4:5], s42, v0
	v_mov_b32_e32 v43, 0x7f800001
	s_and_saveexec_b64 s[36:37], s[4:5]
	s_cbranch_execz .LBB324_133
; %bb.132:                              ;   in Loop: Header=BB324_9 Depth=1
	v_and_b32_e32 v2, 7, v7
	v_lshrrev_b32_e32 v8, 3, v0
	v_cmp_gt_u32_e64 s[4:5], 8, v0
	v_ffbh_u32_e32 v0, v2
	v_min_u32_e32 v9, 32, v0
	v_subrev_u32_e32 v0, 28, v9
	v_lshlrev_b64 v[0:1], v0, v[7:8]
	v_sub_u32_e32 v1, 29, v9
	v_and_b32_e32 v0, 7, v0
	v_cndmask_b32_e64 v1, v8, v1, s[4:5]
	v_cndmask_b32_e64 v0, v2, v0, s[4:5]
	v_lshlrev_b32_e32 v2, 24, v7
	v_bfrev_b32_e32 v8, 60
	v_lshlrev_b32_e32 v0, 20, v0
	v_and_b32_e32 v2, 0x80000000, v2
	v_lshl_add_u32 v1, v1, 23, v8
	v_or3_b32 v43, v2, v1, v0
.LBB324_133:                            ;   in Loop: Header=BB324_9 Depth=1
	s_or_b64 exec, exec, s[36:37]
.LBB324_134:                            ;   in Loop: Header=BB324_9 Depth=1
	s_or_b64 exec, exec, s[34:35]
.LBB324_135:                            ;   in Loop: Header=BB324_9 Depth=1
	s_or_b64 exec, exec, s[16:17]
	v_lshrrev_b16_e32 v8, 8, v7
	v_cmp_ne_u16_e64 s[4:5], 0, v8
	v_mov_b32_e32 v45, 0
	v_mov_b32_e32 v44, 0
	s_and_saveexec_b64 s[16:17], s[4:5]
	s_cbranch_execz .LBB324_141
; %bb.136:                              ;   in Loop: Header=BB324_9 Depth=1
	v_cmp_ne_u16_e64 s[4:5], s41, v8
	v_bfrev_b32_e32 v44, 1
	s_and_saveexec_b64 s[34:35], s[4:5]
	s_cbranch_execz .LBB324_140
; %bb.137:                              ;   in Loop: Header=BB324_9 Depth=1
	v_and_b32_e32 v0, 0x7f, v8
	v_cmp_ne_u32_e64 s[4:5], s42, v0
	v_mov_b32_e32 v44, 0x7f800001
	s_and_saveexec_b64 s[36:37], s[4:5]
	s_cbranch_execz .LBB324_139
; %bb.138:                              ;   in Loop: Header=BB324_9 Depth=1
	v_and_b32_e32 v2, 7, v8
	v_lshrrev_b32_e32 v9, 3, v0
	v_cmp_gt_u32_e64 s[4:5], 8, v0
	v_ffbh_u32_e32 v0, v2
	v_min_u32_e32 v10, 32, v0
	v_subrev_u32_e32 v0, 28, v10
	v_lshlrev_b64 v[0:1], v0, v[8:9]
	v_sub_u32_e32 v1, 29, v10
	v_and_b32_e32 v0, 7, v0
	v_cndmask_b32_e64 v1, v9, v1, s[4:5]
	v_cndmask_b32_e64 v0, v2, v0, s[4:5]
	v_lshlrev_b32_e32 v2, 16, v7
	v_bfrev_b32_e32 v8, 60
	v_lshlrev_b32_e32 v0, 20, v0
	v_and_b32_e32 v2, 0x80000000, v2
	v_lshl_add_u32 v1, v1, 23, v8
	v_or3_b32 v44, v2, v1, v0
.LBB324_139:                            ;   in Loop: Header=BB324_9 Depth=1
	s_or_b64 exec, exec, s[36:37]
.LBB324_140:                            ;   in Loop: Header=BB324_9 Depth=1
	s_or_b64 exec, exec, s[34:35]
.LBB324_141:                            ;   in Loop: Header=BB324_9 Depth=1
	s_or_b64 exec, exec, s[16:17]
	v_lshrrev_b32_e32 v8, 16, v7
	v_cmp_ne_u16_sdwa s[4:5], v8, v19 src0_sel:BYTE_0 src1_sel:DWORD
	s_and_saveexec_b64 s[16:17], s[4:5]
	s_cbranch_execz .LBB324_147
; %bb.142:                              ;   in Loop: Header=BB324_9 Depth=1
	v_cmp_ne_u16_sdwa s[4:5], v8, s41 src0_sel:BYTE_0 src1_sel:DWORD
	v_bfrev_b32_e32 v45, 1
	s_and_saveexec_b64 s[34:35], s[4:5]
	s_cbranch_execz .LBB324_146
; %bb.143:                              ;   in Loop: Header=BB324_9 Depth=1
	v_bfe_u32 v0, v7, 16, 7
	v_cmp_ne_u32_e64 s[4:5], s42, v0
	v_mov_b32_e32 v45, 0x7f800001
	s_and_saveexec_b64 s[36:37], s[4:5]
	s_cbranch_execz .LBB324_145
; %bb.144:                              ;   in Loop: Header=BB324_9 Depth=1
	v_and_b32_e32 v2, 7, v8
	v_lshrrev_b32_e32 v9, 3, v0
	v_cmp_gt_u32_e64 s[4:5], 8, v0
	v_ffbh_u32_e32 v0, v2
	v_min_u32_e32 v10, 32, v0
	v_subrev_u32_e32 v0, 28, v10
	v_lshlrev_b64 v[0:1], v0, v[8:9]
	v_sub_u32_e32 v1, 29, v10
	v_and_b32_e32 v0, 7, v0
	v_cndmask_b32_e64 v1, v9, v1, s[4:5]
	v_cndmask_b32_e64 v0, v2, v0, s[4:5]
	v_lshlrev_b32_e32 v2, 24, v8
	v_bfrev_b32_e32 v8, 60
	v_lshlrev_b32_e32 v0, 20, v0
	v_and_b32_e32 v2, 0x80000000, v2
	v_lshl_add_u32 v1, v1, 23, v8
	v_or3_b32 v45, v2, v1, v0
.LBB324_145:                            ;   in Loop: Header=BB324_9 Depth=1
	s_or_b64 exec, exec, s[36:37]
.LBB324_146:                            ;   in Loop: Header=BB324_9 Depth=1
	s_or_b64 exec, exec, s[34:35]
.LBB324_147:                            ;   in Loop: Header=BB324_9 Depth=1
	s_or_b64 exec, exec, s[16:17]
	v_cmp_lt_u32_e64 s[4:5], s43, v7
	v_mov_b32_e32 v47, 0
	v_mov_b32_e32 v46, 0
	s_and_saveexec_b64 s[16:17], s[4:5]
	s_cbranch_execz .LBB324_153
; %bb.148:                              ;   in Loop: Header=BB324_9 Depth=1
	v_lshrrev_b32_e32 v8, 24, v7
	v_cmp_ne_u32_e64 s[4:5], s41, v8
	v_bfrev_b32_e32 v46, 1
	s_and_saveexec_b64 s[34:35], s[4:5]
	s_cbranch_execz .LBB324_152
; %bb.149:                              ;   in Loop: Header=BB324_9 Depth=1
	v_bfe_u32 v0, v7, 24, 7
	v_cmp_ne_u32_e64 s[4:5], s42, v0
	v_mov_b32_e32 v46, 0x7f800001
	s_and_saveexec_b64 s[36:37], s[4:5]
	s_cbranch_execz .LBB324_151
; %bb.150:                              ;   in Loop: Header=BB324_9 Depth=1
	v_and_b32_e32 v2, 7, v8
	v_lshrrev_b32_e32 v7, 3, v0
	v_cmp_gt_u32_e64 s[4:5], 8, v0
	v_ffbh_u32_e32 v0, v2
	v_min_u32_e32 v9, 32, v0
	v_subrev_u32_e32 v0, 28, v9
	v_lshlrev_b64 v[0:1], v0, v[8:9]
	v_sub_u32_e32 v1, 29, v9
	v_and_b32_e32 v0, 7, v0
	v_cndmask_b32_e64 v1, v7, v1, s[4:5]
	v_cndmask_b32_e64 v0, v2, v0, s[4:5]
	v_lshlrev_b32_e32 v2, 24, v8
	v_bfrev_b32_e32 v7, 60
	v_lshlrev_b32_e32 v0, 20, v0
	v_and_b32_e32 v2, 0x80000000, v2
	v_lshl_add_u32 v1, v1, 23, v7
	v_or3_b32 v46, v2, v1, v0
.LBB324_151:                            ;   in Loop: Header=BB324_9 Depth=1
	s_or_b64 exec, exec, s[36:37]
.LBB324_152:                            ;   in Loop: Header=BB324_9 Depth=1
	s_or_b64 exec, exec, s[34:35]
.LBB324_153:                            ;   in Loop: Header=BB324_9 Depth=1
	s_or_b64 exec, exec, s[16:17]
	global_load_dword v7, v[5:6], off offset:1536
	s_waitcnt vmcnt(0)
	v_cmp_ne_u16_sdwa s[4:5], v7, v19 src0_sel:BYTE_0 src1_sel:DWORD
	s_and_saveexec_b64 s[16:17], s[4:5]
	s_cbranch_execz .LBB324_159
; %bb.154:                              ;   in Loop: Header=BB324_9 Depth=1
	v_cmp_ne_u16_sdwa s[4:5], v7, s41 src0_sel:BYTE_0 src1_sel:DWORD
	v_bfrev_b32_e32 v47, 1
	s_and_saveexec_b64 s[34:35], s[4:5]
	s_cbranch_execz .LBB324_158
; %bb.155:                              ;   in Loop: Header=BB324_9 Depth=1
	v_and_b32_e32 v0, 0x7f, v7
	v_cmp_ne_u32_e64 s[4:5], s42, v0
	v_mov_b32_e32 v47, 0x7f800001
	s_and_saveexec_b64 s[36:37], s[4:5]
	s_cbranch_execz .LBB324_157
; %bb.156:                              ;   in Loop: Header=BB324_9 Depth=1
	v_and_b32_e32 v2, 7, v7
	v_lshrrev_b32_e32 v8, 3, v0
	v_cmp_gt_u32_e64 s[4:5], 8, v0
	v_ffbh_u32_e32 v0, v2
	v_min_u32_e32 v9, 32, v0
	v_subrev_u32_e32 v0, 28, v9
	v_lshlrev_b64 v[0:1], v0, v[7:8]
	v_sub_u32_e32 v1, 29, v9
	v_and_b32_e32 v0, 7, v0
	v_cndmask_b32_e64 v1, v8, v1, s[4:5]
	v_cndmask_b32_e64 v0, v2, v0, s[4:5]
	v_lshlrev_b32_e32 v2, 24, v7
	v_bfrev_b32_e32 v8, 60
	v_lshlrev_b32_e32 v0, 20, v0
	v_and_b32_e32 v2, 0x80000000, v2
	v_lshl_add_u32 v1, v1, 23, v8
	v_or3_b32 v47, v2, v1, v0
.LBB324_157:                            ;   in Loop: Header=BB324_9 Depth=1
	s_or_b64 exec, exec, s[36:37]
.LBB324_158:                            ;   in Loop: Header=BB324_9 Depth=1
	s_or_b64 exec, exec, s[34:35]
.LBB324_159:                            ;   in Loop: Header=BB324_9 Depth=1
	s_or_b64 exec, exec, s[16:17]
	v_lshrrev_b16_e32 v8, 8, v7
	v_cmp_ne_u16_e64 s[4:5], 0, v8
	v_mov_b32_e32 v49, 0
	v_mov_b32_e32 v48, 0
	s_and_saveexec_b64 s[16:17], s[4:5]
	s_cbranch_execz .LBB324_165
; %bb.160:                              ;   in Loop: Header=BB324_9 Depth=1
	v_cmp_ne_u16_e64 s[4:5], s41, v8
	v_bfrev_b32_e32 v48, 1
	s_and_saveexec_b64 s[34:35], s[4:5]
	s_cbranch_execz .LBB324_164
; %bb.161:                              ;   in Loop: Header=BB324_9 Depth=1
	v_and_b32_e32 v0, 0x7f, v8
	v_cmp_ne_u32_e64 s[4:5], s42, v0
	v_mov_b32_e32 v48, 0x7f800001
	s_and_saveexec_b64 s[36:37], s[4:5]
	s_cbranch_execz .LBB324_163
; %bb.162:                              ;   in Loop: Header=BB324_9 Depth=1
	v_and_b32_e32 v2, 7, v8
	v_lshrrev_b32_e32 v9, 3, v0
	v_cmp_gt_u32_e64 s[4:5], 8, v0
	v_ffbh_u32_e32 v0, v2
	v_min_u32_e32 v10, 32, v0
	v_subrev_u32_e32 v0, 28, v10
	v_lshlrev_b64 v[0:1], v0, v[8:9]
	v_sub_u32_e32 v1, 29, v10
	v_and_b32_e32 v0, 7, v0
	v_cndmask_b32_e64 v1, v9, v1, s[4:5]
	v_cndmask_b32_e64 v0, v2, v0, s[4:5]
	v_lshlrev_b32_e32 v2, 16, v7
	v_bfrev_b32_e32 v8, 60
	v_lshlrev_b32_e32 v0, 20, v0
	v_and_b32_e32 v2, 0x80000000, v2
	v_lshl_add_u32 v1, v1, 23, v8
	v_or3_b32 v48, v2, v1, v0
.LBB324_163:                            ;   in Loop: Header=BB324_9 Depth=1
	s_or_b64 exec, exec, s[36:37]
.LBB324_164:                            ;   in Loop: Header=BB324_9 Depth=1
	s_or_b64 exec, exec, s[34:35]
.LBB324_165:                            ;   in Loop: Header=BB324_9 Depth=1
	s_or_b64 exec, exec, s[16:17]
	v_lshrrev_b32_e32 v8, 16, v7
	v_cmp_ne_u16_sdwa s[4:5], v8, v19 src0_sel:BYTE_0 src1_sel:DWORD
	s_and_saveexec_b64 s[16:17], s[4:5]
	s_cbranch_execz .LBB324_171
; %bb.166:                              ;   in Loop: Header=BB324_9 Depth=1
	v_cmp_ne_u16_sdwa s[4:5], v8, s41 src0_sel:BYTE_0 src1_sel:DWORD
	v_bfrev_b32_e32 v49, 1
	s_and_saveexec_b64 s[34:35], s[4:5]
	s_cbranch_execz .LBB324_170
; %bb.167:                              ;   in Loop: Header=BB324_9 Depth=1
	v_bfe_u32 v0, v7, 16, 7
	v_cmp_ne_u32_e64 s[4:5], s42, v0
	v_mov_b32_e32 v49, 0x7f800001
	s_and_saveexec_b64 s[36:37], s[4:5]
	s_cbranch_execz .LBB324_169
; %bb.168:                              ;   in Loop: Header=BB324_9 Depth=1
	v_and_b32_e32 v2, 7, v8
	v_lshrrev_b32_e32 v9, 3, v0
	v_cmp_gt_u32_e64 s[4:5], 8, v0
	v_ffbh_u32_e32 v0, v2
	v_min_u32_e32 v10, 32, v0
	v_subrev_u32_e32 v0, 28, v10
	v_lshlrev_b64 v[0:1], v0, v[8:9]
	v_sub_u32_e32 v1, 29, v10
	v_and_b32_e32 v0, 7, v0
	v_cndmask_b32_e64 v1, v9, v1, s[4:5]
	v_cndmask_b32_e64 v0, v2, v0, s[4:5]
	v_lshlrev_b32_e32 v2, 24, v8
	v_bfrev_b32_e32 v8, 60
	v_lshlrev_b32_e32 v0, 20, v0
	v_and_b32_e32 v2, 0x80000000, v2
	v_lshl_add_u32 v1, v1, 23, v8
	v_or3_b32 v49, v2, v1, v0
.LBB324_169:                            ;   in Loop: Header=BB324_9 Depth=1
	s_or_b64 exec, exec, s[36:37]
.LBB324_170:                            ;   in Loop: Header=BB324_9 Depth=1
	s_or_b64 exec, exec, s[34:35]
.LBB324_171:                            ;   in Loop: Header=BB324_9 Depth=1
	s_or_b64 exec, exec, s[16:17]
	v_cmp_lt_u32_e64 s[4:5], s43, v7
	v_mov_b32_e32 v51, 0
	v_mov_b32_e32 v50, 0
	s_and_saveexec_b64 s[16:17], s[4:5]
	s_cbranch_execz .LBB324_177
; %bb.172:                              ;   in Loop: Header=BB324_9 Depth=1
	v_lshrrev_b32_e32 v8, 24, v7
	v_cmp_ne_u32_e64 s[4:5], s41, v8
	v_bfrev_b32_e32 v50, 1
	s_and_saveexec_b64 s[34:35], s[4:5]
	s_cbranch_execz .LBB324_176
; %bb.173:                              ;   in Loop: Header=BB324_9 Depth=1
	v_bfe_u32 v0, v7, 24, 7
	v_cmp_ne_u32_e64 s[4:5], s42, v0
	v_mov_b32_e32 v50, 0x7f800001
	s_and_saveexec_b64 s[36:37], s[4:5]
	s_cbranch_execz .LBB324_175
; %bb.174:                              ;   in Loop: Header=BB324_9 Depth=1
	v_and_b32_e32 v2, 7, v8
	v_lshrrev_b32_e32 v7, 3, v0
	v_cmp_gt_u32_e64 s[4:5], 8, v0
	v_ffbh_u32_e32 v0, v2
	v_min_u32_e32 v9, 32, v0
	v_subrev_u32_e32 v0, 28, v9
	v_lshlrev_b64 v[0:1], v0, v[8:9]
	v_sub_u32_e32 v1, 29, v9
	v_and_b32_e32 v0, 7, v0
	v_cndmask_b32_e64 v1, v7, v1, s[4:5]
	v_cndmask_b32_e64 v0, v2, v0, s[4:5]
	v_lshlrev_b32_e32 v2, 24, v8
	v_bfrev_b32_e32 v7, 60
	v_lshlrev_b32_e32 v0, 20, v0
	v_and_b32_e32 v2, 0x80000000, v2
	v_lshl_add_u32 v1, v1, 23, v7
	v_or3_b32 v50, v2, v1, v0
.LBB324_175:                            ;   in Loop: Header=BB324_9 Depth=1
	s_or_b64 exec, exec, s[36:37]
.LBB324_176:                            ;   in Loop: Header=BB324_9 Depth=1
	s_or_b64 exec, exec, s[34:35]
.LBB324_177:                            ;   in Loop: Header=BB324_9 Depth=1
	s_or_b64 exec, exec, s[16:17]
	global_load_dword v7, v[5:6], off offset:1544
	s_waitcnt vmcnt(0)
	v_cmp_ne_u16_sdwa s[4:5], v7, v19 src0_sel:BYTE_0 src1_sel:DWORD
	s_and_saveexec_b64 s[16:17], s[4:5]
	s_cbranch_execz .LBB324_183
; %bb.178:                              ;   in Loop: Header=BB324_9 Depth=1
	v_cmp_ne_u16_sdwa s[4:5], v7, s41 src0_sel:BYTE_0 src1_sel:DWORD
	v_bfrev_b32_e32 v51, 1
	s_and_saveexec_b64 s[34:35], s[4:5]
	s_cbranch_execz .LBB324_182
; %bb.179:                              ;   in Loop: Header=BB324_9 Depth=1
	v_and_b32_e32 v0, 0x7f, v7
	v_cmp_ne_u32_e64 s[4:5], s42, v0
	v_mov_b32_e32 v51, 0x7f800001
	s_and_saveexec_b64 s[36:37], s[4:5]
	s_cbranch_execz .LBB324_181
; %bb.180:                              ;   in Loop: Header=BB324_9 Depth=1
	v_and_b32_e32 v2, 7, v7
	v_lshrrev_b32_e32 v8, 3, v0
	v_cmp_gt_u32_e64 s[4:5], 8, v0
	v_ffbh_u32_e32 v0, v2
	v_min_u32_e32 v9, 32, v0
	v_subrev_u32_e32 v0, 28, v9
	v_lshlrev_b64 v[0:1], v0, v[7:8]
	v_sub_u32_e32 v1, 29, v9
	v_and_b32_e32 v0, 7, v0
	v_cndmask_b32_e64 v1, v8, v1, s[4:5]
	v_cndmask_b32_e64 v0, v2, v0, s[4:5]
	v_lshlrev_b32_e32 v2, 24, v7
	v_bfrev_b32_e32 v8, 60
	v_lshlrev_b32_e32 v0, 20, v0
	v_and_b32_e32 v2, 0x80000000, v2
	v_lshl_add_u32 v1, v1, 23, v8
	v_or3_b32 v51, v2, v1, v0
.LBB324_181:                            ;   in Loop: Header=BB324_9 Depth=1
	s_or_b64 exec, exec, s[36:37]
.LBB324_182:                            ;   in Loop: Header=BB324_9 Depth=1
	s_or_b64 exec, exec, s[34:35]
.LBB324_183:                            ;   in Loop: Header=BB324_9 Depth=1
	s_or_b64 exec, exec, s[16:17]
	v_lshrrev_b16_e32 v8, 8, v7
	v_cmp_ne_u16_e64 s[4:5], 0, v8
	v_mov_b32_e32 v53, 0
	v_mov_b32_e32 v52, 0
	s_and_saveexec_b64 s[16:17], s[4:5]
	s_cbranch_execz .LBB324_189
; %bb.184:                              ;   in Loop: Header=BB324_9 Depth=1
	v_cmp_ne_u16_e64 s[4:5], s41, v8
	v_bfrev_b32_e32 v52, 1
	s_and_saveexec_b64 s[34:35], s[4:5]
	s_cbranch_execz .LBB324_188
; %bb.185:                              ;   in Loop: Header=BB324_9 Depth=1
	v_and_b32_e32 v0, 0x7f, v8
	v_cmp_ne_u32_e64 s[4:5], s42, v0
	v_mov_b32_e32 v52, 0x7f800001
	s_and_saveexec_b64 s[36:37], s[4:5]
	s_cbranch_execz .LBB324_187
; %bb.186:                              ;   in Loop: Header=BB324_9 Depth=1
	v_and_b32_e32 v2, 7, v8
	v_lshrrev_b32_e32 v9, 3, v0
	v_cmp_gt_u32_e64 s[4:5], 8, v0
	v_ffbh_u32_e32 v0, v2
	v_min_u32_e32 v10, 32, v0
	v_subrev_u32_e32 v0, 28, v10
	v_lshlrev_b64 v[0:1], v0, v[8:9]
	v_sub_u32_e32 v1, 29, v10
	v_and_b32_e32 v0, 7, v0
	v_cndmask_b32_e64 v1, v9, v1, s[4:5]
	v_cndmask_b32_e64 v0, v2, v0, s[4:5]
	v_lshlrev_b32_e32 v2, 16, v7
	v_bfrev_b32_e32 v8, 60
	v_lshlrev_b32_e32 v0, 20, v0
	v_and_b32_e32 v2, 0x80000000, v2
	v_lshl_add_u32 v1, v1, 23, v8
	v_or3_b32 v52, v2, v1, v0
.LBB324_187:                            ;   in Loop: Header=BB324_9 Depth=1
	s_or_b64 exec, exec, s[36:37]
.LBB324_188:                            ;   in Loop: Header=BB324_9 Depth=1
	s_or_b64 exec, exec, s[34:35]
.LBB324_189:                            ;   in Loop: Header=BB324_9 Depth=1
	s_or_b64 exec, exec, s[16:17]
	v_lshrrev_b32_e32 v8, 16, v7
	v_cmp_ne_u16_sdwa s[4:5], v8, v19 src0_sel:BYTE_0 src1_sel:DWORD
	s_and_saveexec_b64 s[16:17], s[4:5]
	s_cbranch_execz .LBB324_195
; %bb.190:                              ;   in Loop: Header=BB324_9 Depth=1
	v_cmp_ne_u16_sdwa s[4:5], v8, s41 src0_sel:BYTE_0 src1_sel:DWORD
	v_bfrev_b32_e32 v53, 1
	s_and_saveexec_b64 s[34:35], s[4:5]
	s_cbranch_execz .LBB324_194
; %bb.191:                              ;   in Loop: Header=BB324_9 Depth=1
	v_bfe_u32 v0, v7, 16, 7
	v_cmp_ne_u32_e64 s[4:5], s42, v0
	v_mov_b32_e32 v53, 0x7f800001
	s_and_saveexec_b64 s[36:37], s[4:5]
	s_cbranch_execz .LBB324_193
; %bb.192:                              ;   in Loop: Header=BB324_9 Depth=1
	v_and_b32_e32 v2, 7, v8
	v_lshrrev_b32_e32 v9, 3, v0
	v_cmp_gt_u32_e64 s[4:5], 8, v0
	v_ffbh_u32_e32 v0, v2
	v_min_u32_e32 v10, 32, v0
	v_subrev_u32_e32 v0, 28, v10
	v_lshlrev_b64 v[0:1], v0, v[8:9]
	v_sub_u32_e32 v1, 29, v10
	v_and_b32_e32 v0, 7, v0
	v_cndmask_b32_e64 v1, v9, v1, s[4:5]
	v_cndmask_b32_e64 v0, v2, v0, s[4:5]
	v_lshlrev_b32_e32 v2, 24, v8
	v_bfrev_b32_e32 v8, 60
	v_lshlrev_b32_e32 v0, 20, v0
	v_and_b32_e32 v2, 0x80000000, v2
	v_lshl_add_u32 v1, v1, 23, v8
	v_or3_b32 v53, v2, v1, v0
.LBB324_193:                            ;   in Loop: Header=BB324_9 Depth=1
	s_or_b64 exec, exec, s[36:37]
.LBB324_194:                            ;   in Loop: Header=BB324_9 Depth=1
	s_or_b64 exec, exec, s[34:35]
.LBB324_195:                            ;   in Loop: Header=BB324_9 Depth=1
	s_or_b64 exec, exec, s[16:17]
	v_cmp_lt_u32_e64 s[4:5], s43, v7
	v_mov_b32_e32 v55, 0
	v_mov_b32_e32 v54, 0
	s_and_saveexec_b64 s[16:17], s[4:5]
	s_cbranch_execz .LBB324_201
; %bb.196:                              ;   in Loop: Header=BB324_9 Depth=1
	v_lshrrev_b32_e32 v8, 24, v7
	v_cmp_ne_u32_e64 s[4:5], s41, v8
	v_bfrev_b32_e32 v54, 1
	s_and_saveexec_b64 s[34:35], s[4:5]
	s_cbranch_execz .LBB324_200
; %bb.197:                              ;   in Loop: Header=BB324_9 Depth=1
	v_bfe_u32 v0, v7, 24, 7
	v_cmp_ne_u32_e64 s[4:5], s42, v0
	v_mov_b32_e32 v54, 0x7f800001
	s_and_saveexec_b64 s[36:37], s[4:5]
	s_cbranch_execz .LBB324_199
; %bb.198:                              ;   in Loop: Header=BB324_9 Depth=1
	v_and_b32_e32 v2, 7, v8
	v_lshrrev_b32_e32 v7, 3, v0
	v_cmp_gt_u32_e64 s[4:5], 8, v0
	v_ffbh_u32_e32 v0, v2
	v_min_u32_e32 v9, 32, v0
	v_subrev_u32_e32 v0, 28, v9
	v_lshlrev_b64 v[0:1], v0, v[8:9]
	v_sub_u32_e32 v1, 29, v9
	v_and_b32_e32 v0, 7, v0
	v_cndmask_b32_e64 v1, v7, v1, s[4:5]
	v_cndmask_b32_e64 v0, v2, v0, s[4:5]
	v_lshlrev_b32_e32 v2, 24, v8
	v_bfrev_b32_e32 v7, 60
	v_lshlrev_b32_e32 v0, 20, v0
	v_and_b32_e32 v2, 0x80000000, v2
	v_lshl_add_u32 v1, v1, 23, v7
	v_or3_b32 v54, v2, v1, v0
.LBB324_199:                            ;   in Loop: Header=BB324_9 Depth=1
	s_or_b64 exec, exec, s[36:37]
.LBB324_200:                            ;   in Loop: Header=BB324_9 Depth=1
	s_or_b64 exec, exec, s[34:35]
.LBB324_201:                            ;   in Loop: Header=BB324_9 Depth=1
	s_or_b64 exec, exec, s[16:17]
	global_load_dword v7, v[5:6], off offset:2048
	s_waitcnt vmcnt(0)
	v_cmp_ne_u16_sdwa s[4:5], v7, v19 src0_sel:BYTE_0 src1_sel:DWORD
	s_and_saveexec_b64 s[16:17], s[4:5]
	s_cbranch_execz .LBB324_207
; %bb.202:                              ;   in Loop: Header=BB324_9 Depth=1
	v_cmp_ne_u16_sdwa s[4:5], v7, s41 src0_sel:BYTE_0 src1_sel:DWORD
	v_bfrev_b32_e32 v55, 1
	s_and_saveexec_b64 s[34:35], s[4:5]
	s_cbranch_execz .LBB324_206
; %bb.203:                              ;   in Loop: Header=BB324_9 Depth=1
	v_and_b32_e32 v0, 0x7f, v7
	v_cmp_ne_u32_e64 s[4:5], s42, v0
	v_mov_b32_e32 v55, 0x7f800001
	s_and_saveexec_b64 s[36:37], s[4:5]
	s_cbranch_execz .LBB324_205
; %bb.204:                              ;   in Loop: Header=BB324_9 Depth=1
	v_and_b32_e32 v2, 7, v7
	v_lshrrev_b32_e32 v8, 3, v0
	v_cmp_gt_u32_e64 s[4:5], 8, v0
	v_ffbh_u32_e32 v0, v2
	v_min_u32_e32 v9, 32, v0
	v_subrev_u32_e32 v0, 28, v9
	v_lshlrev_b64 v[0:1], v0, v[7:8]
	v_sub_u32_e32 v1, 29, v9
	v_and_b32_e32 v0, 7, v0
	v_cndmask_b32_e64 v1, v8, v1, s[4:5]
	v_cndmask_b32_e64 v0, v2, v0, s[4:5]
	v_lshlrev_b32_e32 v2, 24, v7
	v_bfrev_b32_e32 v8, 60
	v_lshlrev_b32_e32 v0, 20, v0
	v_and_b32_e32 v2, 0x80000000, v2
	v_lshl_add_u32 v1, v1, 23, v8
	v_or3_b32 v55, v2, v1, v0
.LBB324_205:                            ;   in Loop: Header=BB324_9 Depth=1
	s_or_b64 exec, exec, s[36:37]
.LBB324_206:                            ;   in Loop: Header=BB324_9 Depth=1
	s_or_b64 exec, exec, s[34:35]
.LBB324_207:                            ;   in Loop: Header=BB324_9 Depth=1
	s_or_b64 exec, exec, s[16:17]
	v_lshrrev_b16_e32 v8, 8, v7
	v_cmp_ne_u16_e64 s[4:5], 0, v8
	v_mov_b32_e32 v57, 0
	v_mov_b32_e32 v56, 0
	s_and_saveexec_b64 s[16:17], s[4:5]
	s_cbranch_execz .LBB324_213
; %bb.208:                              ;   in Loop: Header=BB324_9 Depth=1
	v_cmp_ne_u16_e64 s[4:5], s41, v8
	v_bfrev_b32_e32 v56, 1
	s_and_saveexec_b64 s[34:35], s[4:5]
	s_cbranch_execz .LBB324_212
; %bb.209:                              ;   in Loop: Header=BB324_9 Depth=1
	v_and_b32_e32 v0, 0x7f, v8
	v_cmp_ne_u32_e64 s[4:5], s42, v0
	v_mov_b32_e32 v56, 0x7f800001
	s_and_saveexec_b64 s[36:37], s[4:5]
	s_cbranch_execz .LBB324_211
; %bb.210:                              ;   in Loop: Header=BB324_9 Depth=1
	v_and_b32_e32 v2, 7, v8
	v_lshrrev_b32_e32 v9, 3, v0
	v_cmp_gt_u32_e64 s[4:5], 8, v0
	v_ffbh_u32_e32 v0, v2
	v_min_u32_e32 v10, 32, v0
	v_subrev_u32_e32 v0, 28, v10
	v_lshlrev_b64 v[0:1], v0, v[8:9]
	v_sub_u32_e32 v1, 29, v10
	v_and_b32_e32 v0, 7, v0
	v_cndmask_b32_e64 v1, v9, v1, s[4:5]
	v_cndmask_b32_e64 v0, v2, v0, s[4:5]
	v_lshlrev_b32_e32 v2, 16, v7
	v_bfrev_b32_e32 v8, 60
	v_lshlrev_b32_e32 v0, 20, v0
	v_and_b32_e32 v2, 0x80000000, v2
	v_lshl_add_u32 v1, v1, 23, v8
	v_or3_b32 v56, v2, v1, v0
.LBB324_211:                            ;   in Loop: Header=BB324_9 Depth=1
	s_or_b64 exec, exec, s[36:37]
.LBB324_212:                            ;   in Loop: Header=BB324_9 Depth=1
	s_or_b64 exec, exec, s[34:35]
.LBB324_213:                            ;   in Loop: Header=BB324_9 Depth=1
	s_or_b64 exec, exec, s[16:17]
	v_lshrrev_b32_e32 v8, 16, v7
	v_cmp_ne_u16_sdwa s[4:5], v8, v19 src0_sel:BYTE_0 src1_sel:DWORD
	s_and_saveexec_b64 s[16:17], s[4:5]
	s_cbranch_execz .LBB324_219
; %bb.214:                              ;   in Loop: Header=BB324_9 Depth=1
	v_cmp_ne_u16_sdwa s[4:5], v8, s41 src0_sel:BYTE_0 src1_sel:DWORD
	v_bfrev_b32_e32 v57, 1
	s_and_saveexec_b64 s[34:35], s[4:5]
	s_cbranch_execz .LBB324_218
; %bb.215:                              ;   in Loop: Header=BB324_9 Depth=1
	v_bfe_u32 v0, v7, 16, 7
	v_cmp_ne_u32_e64 s[4:5], s42, v0
	v_mov_b32_e32 v57, 0x7f800001
	s_and_saveexec_b64 s[36:37], s[4:5]
	s_cbranch_execz .LBB324_217
; %bb.216:                              ;   in Loop: Header=BB324_9 Depth=1
	v_and_b32_e32 v2, 7, v8
	v_lshrrev_b32_e32 v9, 3, v0
	v_cmp_gt_u32_e64 s[4:5], 8, v0
	v_ffbh_u32_e32 v0, v2
	v_min_u32_e32 v10, 32, v0
	v_subrev_u32_e32 v0, 28, v10
	v_lshlrev_b64 v[0:1], v0, v[8:9]
	v_sub_u32_e32 v1, 29, v10
	v_and_b32_e32 v0, 7, v0
	v_cndmask_b32_e64 v1, v9, v1, s[4:5]
	v_cndmask_b32_e64 v0, v2, v0, s[4:5]
	v_lshlrev_b32_e32 v2, 24, v8
	v_bfrev_b32_e32 v8, 60
	v_lshlrev_b32_e32 v0, 20, v0
	v_and_b32_e32 v2, 0x80000000, v2
	v_lshl_add_u32 v1, v1, 23, v8
	v_or3_b32 v57, v2, v1, v0
.LBB324_217:                            ;   in Loop: Header=BB324_9 Depth=1
	s_or_b64 exec, exec, s[36:37]
.LBB324_218:                            ;   in Loop: Header=BB324_9 Depth=1
	s_or_b64 exec, exec, s[34:35]
.LBB324_219:                            ;   in Loop: Header=BB324_9 Depth=1
	s_or_b64 exec, exec, s[16:17]
	v_cmp_lt_u32_e64 s[4:5], s43, v7
	v_mov_b32_e32 v59, 0
	v_mov_b32_e32 v58, 0
	s_and_saveexec_b64 s[16:17], s[4:5]
	s_cbranch_execz .LBB324_225
; %bb.220:                              ;   in Loop: Header=BB324_9 Depth=1
	v_lshrrev_b32_e32 v8, 24, v7
	v_cmp_ne_u32_e64 s[4:5], s41, v8
	v_bfrev_b32_e32 v58, 1
	s_and_saveexec_b64 s[34:35], s[4:5]
	s_cbranch_execz .LBB324_224
; %bb.221:                              ;   in Loop: Header=BB324_9 Depth=1
	v_bfe_u32 v0, v7, 24, 7
	v_cmp_ne_u32_e64 s[4:5], s42, v0
	v_mov_b32_e32 v58, 0x7f800001
	s_and_saveexec_b64 s[36:37], s[4:5]
	s_cbranch_execz .LBB324_223
; %bb.222:                              ;   in Loop: Header=BB324_9 Depth=1
	v_and_b32_e32 v2, 7, v8
	v_lshrrev_b32_e32 v7, 3, v0
	v_cmp_gt_u32_e64 s[4:5], 8, v0
	v_ffbh_u32_e32 v0, v2
	v_min_u32_e32 v9, 32, v0
	v_subrev_u32_e32 v0, 28, v9
	v_lshlrev_b64 v[0:1], v0, v[8:9]
	v_sub_u32_e32 v1, 29, v9
	v_and_b32_e32 v0, 7, v0
	v_cndmask_b32_e64 v1, v7, v1, s[4:5]
	v_cndmask_b32_e64 v0, v2, v0, s[4:5]
	v_lshlrev_b32_e32 v2, 24, v8
	v_bfrev_b32_e32 v7, 60
	v_lshlrev_b32_e32 v0, 20, v0
	v_and_b32_e32 v2, 0x80000000, v2
	v_lshl_add_u32 v1, v1, 23, v7
	v_or3_b32 v58, v2, v1, v0
.LBB324_223:                            ;   in Loop: Header=BB324_9 Depth=1
	s_or_b64 exec, exec, s[36:37]
.LBB324_224:                            ;   in Loop: Header=BB324_9 Depth=1
	s_or_b64 exec, exec, s[34:35]
.LBB324_225:                            ;   in Loop: Header=BB324_9 Depth=1
	s_or_b64 exec, exec, s[16:17]
	global_load_dword v7, v[5:6], off offset:2056
	s_waitcnt vmcnt(0)
	v_cmp_ne_u16_sdwa s[4:5], v7, v19 src0_sel:BYTE_0 src1_sel:DWORD
	s_and_saveexec_b64 s[16:17], s[4:5]
	s_cbranch_execz .LBB324_231
; %bb.226:                              ;   in Loop: Header=BB324_9 Depth=1
	v_cmp_ne_u16_sdwa s[4:5], v7, s41 src0_sel:BYTE_0 src1_sel:DWORD
	v_bfrev_b32_e32 v59, 1
	s_and_saveexec_b64 s[34:35], s[4:5]
	s_cbranch_execz .LBB324_230
; %bb.227:                              ;   in Loop: Header=BB324_9 Depth=1
	v_and_b32_e32 v0, 0x7f, v7
	v_cmp_ne_u32_e64 s[4:5], s42, v0
	v_mov_b32_e32 v59, 0x7f800001
	s_and_saveexec_b64 s[36:37], s[4:5]
	s_cbranch_execz .LBB324_229
; %bb.228:                              ;   in Loop: Header=BB324_9 Depth=1
	v_and_b32_e32 v2, 7, v7
	v_lshrrev_b32_e32 v8, 3, v0
	v_cmp_gt_u32_e64 s[4:5], 8, v0
	v_ffbh_u32_e32 v0, v2
	v_min_u32_e32 v9, 32, v0
	v_subrev_u32_e32 v0, 28, v9
	v_lshlrev_b64 v[0:1], v0, v[7:8]
	v_sub_u32_e32 v1, 29, v9
	v_and_b32_e32 v0, 7, v0
	v_cndmask_b32_e64 v1, v8, v1, s[4:5]
	v_cndmask_b32_e64 v0, v2, v0, s[4:5]
	v_lshlrev_b32_e32 v2, 24, v7
	v_bfrev_b32_e32 v8, 60
	v_lshlrev_b32_e32 v0, 20, v0
	v_and_b32_e32 v2, 0x80000000, v2
	v_lshl_add_u32 v1, v1, 23, v8
	v_or3_b32 v59, v2, v1, v0
.LBB324_229:                            ;   in Loop: Header=BB324_9 Depth=1
	s_or_b64 exec, exec, s[36:37]
.LBB324_230:                            ;   in Loop: Header=BB324_9 Depth=1
	s_or_b64 exec, exec, s[34:35]
.LBB324_231:                            ;   in Loop: Header=BB324_9 Depth=1
	s_or_b64 exec, exec, s[16:17]
	v_lshrrev_b16_e32 v8, 8, v7
	v_cmp_ne_u16_e64 s[4:5], 0, v8
	v_mov_b32_e32 v61, 0
	v_mov_b32_e32 v60, 0
	s_and_saveexec_b64 s[16:17], s[4:5]
	s_cbranch_execz .LBB324_237
; %bb.232:                              ;   in Loop: Header=BB324_9 Depth=1
	v_cmp_ne_u16_e64 s[4:5], s41, v8
	v_bfrev_b32_e32 v60, 1
	s_and_saveexec_b64 s[34:35], s[4:5]
	s_cbranch_execz .LBB324_236
; %bb.233:                              ;   in Loop: Header=BB324_9 Depth=1
	v_and_b32_e32 v0, 0x7f, v8
	v_cmp_ne_u32_e64 s[4:5], s42, v0
	v_mov_b32_e32 v60, 0x7f800001
	s_and_saveexec_b64 s[36:37], s[4:5]
	s_cbranch_execz .LBB324_235
; %bb.234:                              ;   in Loop: Header=BB324_9 Depth=1
	v_and_b32_e32 v2, 7, v8
	v_lshrrev_b32_e32 v9, 3, v0
	v_cmp_gt_u32_e64 s[4:5], 8, v0
	v_ffbh_u32_e32 v0, v2
	v_min_u32_e32 v10, 32, v0
	v_subrev_u32_e32 v0, 28, v10
	v_lshlrev_b64 v[0:1], v0, v[8:9]
	v_sub_u32_e32 v1, 29, v10
	v_and_b32_e32 v0, 7, v0
	v_cndmask_b32_e64 v1, v9, v1, s[4:5]
	v_cndmask_b32_e64 v0, v2, v0, s[4:5]
	v_lshlrev_b32_e32 v2, 16, v7
	v_bfrev_b32_e32 v8, 60
	v_lshlrev_b32_e32 v0, 20, v0
	v_and_b32_e32 v2, 0x80000000, v2
	v_lshl_add_u32 v1, v1, 23, v8
	v_or3_b32 v60, v2, v1, v0
.LBB324_235:                            ;   in Loop: Header=BB324_9 Depth=1
	s_or_b64 exec, exec, s[36:37]
.LBB324_236:                            ;   in Loop: Header=BB324_9 Depth=1
	s_or_b64 exec, exec, s[34:35]
.LBB324_237:                            ;   in Loop: Header=BB324_9 Depth=1
	s_or_b64 exec, exec, s[16:17]
	v_lshrrev_b32_e32 v8, 16, v7
	v_cmp_ne_u16_sdwa s[4:5], v8, v19 src0_sel:BYTE_0 src1_sel:DWORD
	s_and_saveexec_b64 s[16:17], s[4:5]
	s_cbranch_execz .LBB324_243
; %bb.238:                              ;   in Loop: Header=BB324_9 Depth=1
	v_cmp_ne_u16_sdwa s[4:5], v8, s41 src0_sel:BYTE_0 src1_sel:DWORD
	v_bfrev_b32_e32 v61, 1
	s_and_saveexec_b64 s[34:35], s[4:5]
	s_cbranch_execz .LBB324_242
; %bb.239:                              ;   in Loop: Header=BB324_9 Depth=1
	v_bfe_u32 v0, v7, 16, 7
	v_cmp_ne_u32_e64 s[4:5], s42, v0
	v_mov_b32_e32 v61, 0x7f800001
	s_and_saveexec_b64 s[36:37], s[4:5]
	s_cbranch_execz .LBB324_241
; %bb.240:                              ;   in Loop: Header=BB324_9 Depth=1
	v_and_b32_e32 v2, 7, v8
	v_lshrrev_b32_e32 v9, 3, v0
	v_cmp_gt_u32_e64 s[4:5], 8, v0
	v_ffbh_u32_e32 v0, v2
	v_min_u32_e32 v10, 32, v0
	v_subrev_u32_e32 v0, 28, v10
	v_lshlrev_b64 v[0:1], v0, v[8:9]
	v_sub_u32_e32 v1, 29, v10
	v_and_b32_e32 v0, 7, v0
	v_cndmask_b32_e64 v1, v9, v1, s[4:5]
	v_cndmask_b32_e64 v0, v2, v0, s[4:5]
	v_lshlrev_b32_e32 v2, 24, v8
	v_bfrev_b32_e32 v8, 60
	v_lshlrev_b32_e32 v0, 20, v0
	v_and_b32_e32 v2, 0x80000000, v2
	v_lshl_add_u32 v1, v1, 23, v8
	v_or3_b32 v61, v2, v1, v0
.LBB324_241:                            ;   in Loop: Header=BB324_9 Depth=1
	s_or_b64 exec, exec, s[36:37]
.LBB324_242:                            ;   in Loop: Header=BB324_9 Depth=1
	s_or_b64 exec, exec, s[34:35]
.LBB324_243:                            ;   in Loop: Header=BB324_9 Depth=1
	s_or_b64 exec, exec, s[16:17]
	v_cmp_lt_u32_e64 s[4:5], s43, v7
	v_mov_b32_e32 v63, 0
	v_mov_b32_e32 v62, 0
	s_and_saveexec_b64 s[16:17], s[4:5]
	s_cbranch_execz .LBB324_249
; %bb.244:                              ;   in Loop: Header=BB324_9 Depth=1
	v_lshrrev_b32_e32 v8, 24, v7
	v_cmp_ne_u32_e64 s[4:5], s41, v8
	v_bfrev_b32_e32 v62, 1
	s_and_saveexec_b64 s[34:35], s[4:5]
	s_cbranch_execz .LBB324_248
; %bb.245:                              ;   in Loop: Header=BB324_9 Depth=1
	v_bfe_u32 v0, v7, 24, 7
	v_cmp_ne_u32_e64 s[4:5], s42, v0
	v_mov_b32_e32 v62, 0x7f800001
	s_and_saveexec_b64 s[36:37], s[4:5]
	s_cbranch_execz .LBB324_247
; %bb.246:                              ;   in Loop: Header=BB324_9 Depth=1
	v_and_b32_e32 v2, 7, v8
	v_lshrrev_b32_e32 v7, 3, v0
	v_cmp_gt_u32_e64 s[4:5], 8, v0
	v_ffbh_u32_e32 v0, v2
	v_min_u32_e32 v9, 32, v0
	v_subrev_u32_e32 v0, 28, v9
	v_lshlrev_b64 v[0:1], v0, v[8:9]
	v_sub_u32_e32 v1, 29, v9
	v_and_b32_e32 v0, 7, v0
	v_cndmask_b32_e64 v1, v7, v1, s[4:5]
	v_cndmask_b32_e64 v0, v2, v0, s[4:5]
	v_lshlrev_b32_e32 v2, 24, v8
	v_bfrev_b32_e32 v7, 60
	v_lshlrev_b32_e32 v0, 20, v0
	v_and_b32_e32 v2, 0x80000000, v2
	v_lshl_add_u32 v1, v1, 23, v7
	v_or3_b32 v62, v2, v1, v0
.LBB324_247:                            ;   in Loop: Header=BB324_9 Depth=1
	s_or_b64 exec, exec, s[36:37]
.LBB324_248:                            ;   in Loop: Header=BB324_9 Depth=1
	s_or_b64 exec, exec, s[34:35]
.LBB324_249:                            ;   in Loop: Header=BB324_9 Depth=1
	s_or_b64 exec, exec, s[16:17]
	global_load_dword v7, v[5:6], off offset:2560
	s_waitcnt vmcnt(0)
	v_cmp_ne_u16_sdwa s[4:5], v7, v19 src0_sel:BYTE_0 src1_sel:DWORD
	s_and_saveexec_b64 s[16:17], s[4:5]
	s_cbranch_execz .LBB324_255
; %bb.250:                              ;   in Loop: Header=BB324_9 Depth=1
	v_cmp_ne_u16_sdwa s[4:5], v7, s41 src0_sel:BYTE_0 src1_sel:DWORD
	v_bfrev_b32_e32 v63, 1
	s_and_saveexec_b64 s[34:35], s[4:5]
	s_cbranch_execz .LBB324_254
; %bb.251:                              ;   in Loop: Header=BB324_9 Depth=1
	v_and_b32_e32 v0, 0x7f, v7
	v_cmp_ne_u32_e64 s[4:5], s42, v0
	v_mov_b32_e32 v63, 0x7f800001
	s_and_saveexec_b64 s[36:37], s[4:5]
	s_cbranch_execz .LBB324_253
; %bb.252:                              ;   in Loop: Header=BB324_9 Depth=1
	v_and_b32_e32 v2, 7, v7
	v_lshrrev_b32_e32 v8, 3, v0
	v_cmp_gt_u32_e64 s[4:5], 8, v0
	v_ffbh_u32_e32 v0, v2
	v_min_u32_e32 v9, 32, v0
	v_subrev_u32_e32 v0, 28, v9
	v_lshlrev_b64 v[0:1], v0, v[7:8]
	v_sub_u32_e32 v1, 29, v9
	v_and_b32_e32 v0, 7, v0
	v_cndmask_b32_e64 v1, v8, v1, s[4:5]
	v_cndmask_b32_e64 v0, v2, v0, s[4:5]
	v_lshlrev_b32_e32 v2, 24, v7
	v_bfrev_b32_e32 v8, 60
	v_lshlrev_b32_e32 v0, 20, v0
	v_and_b32_e32 v2, 0x80000000, v2
	v_lshl_add_u32 v1, v1, 23, v8
	v_or3_b32 v63, v2, v1, v0
.LBB324_253:                            ;   in Loop: Header=BB324_9 Depth=1
	s_or_b64 exec, exec, s[36:37]
.LBB324_254:                            ;   in Loop: Header=BB324_9 Depth=1
	s_or_b64 exec, exec, s[34:35]
.LBB324_255:                            ;   in Loop: Header=BB324_9 Depth=1
	s_or_b64 exec, exec, s[16:17]
	v_lshrrev_b16_e32 v8, 8, v7
	v_cmp_ne_u16_e64 s[4:5], 0, v8
	v_mov_b32_e32 v9, 0
	v_mov_b32_e32 v13, 0
	s_and_saveexec_b64 s[16:17], s[4:5]
	s_cbranch_execz .LBB324_261
; %bb.256:                              ;   in Loop: Header=BB324_9 Depth=1
	v_cmp_ne_u16_e64 s[4:5], s41, v8
	v_bfrev_b32_e32 v13, 1
	s_and_saveexec_b64 s[34:35], s[4:5]
	s_cbranch_execz .LBB324_260
; %bb.257:                              ;   in Loop: Header=BB324_9 Depth=1
	v_and_b32_e32 v0, 0x7f, v8
	v_cmp_ne_u32_e64 s[4:5], s42, v0
	v_mov_b32_e32 v13, 0x7f800001
	s_and_saveexec_b64 s[36:37], s[4:5]
	s_cbranch_execz .LBB324_259
; %bb.258:                              ;   in Loop: Header=BB324_9 Depth=1
	v_and_b32_e32 v2, 7, v8
	v_lshrrev_b32_e32 v10, 3, v0
	v_cmp_gt_u32_e64 s[4:5], 8, v0
	v_ffbh_u32_e32 v0, v2
	v_min_u32_e32 v11, 32, v0
	v_subrev_u32_e32 v0, 28, v11
	v_lshlrev_b64 v[0:1], v0, v[8:9]
	v_sub_u32_e32 v1, 29, v11
	v_and_b32_e32 v0, 7, v0
	v_cndmask_b32_e64 v1, v10, v1, s[4:5]
	v_cndmask_b32_e64 v0, v2, v0, s[4:5]
	v_lshlrev_b32_e32 v2, 16, v7
	v_bfrev_b32_e32 v8, 60
	v_lshlrev_b32_e32 v0, 20, v0
	v_and_b32_e32 v2, 0x80000000, v2
	v_lshl_add_u32 v1, v1, 23, v8
	v_or3_b32 v13, v2, v1, v0
.LBB324_259:                            ;   in Loop: Header=BB324_9 Depth=1
	s_or_b64 exec, exec, s[36:37]
.LBB324_260:                            ;   in Loop: Header=BB324_9 Depth=1
	s_or_b64 exec, exec, s[34:35]
.LBB324_261:                            ;   in Loop: Header=BB324_9 Depth=1
	s_or_b64 exec, exec, s[16:17]
	v_lshrrev_b32_e32 v8, 16, v7
	v_cmp_ne_u16_sdwa s[4:5], v8, v19 src0_sel:BYTE_0 src1_sel:DWORD
	s_and_saveexec_b64 s[16:17], s[4:5]
	s_cbranch_execz .LBB324_267
; %bb.262:                              ;   in Loop: Header=BB324_9 Depth=1
	v_cmp_ne_u16_sdwa s[4:5], v8, s41 src0_sel:BYTE_0 src1_sel:DWORD
	v_bfrev_b32_e32 v9, 1
	s_and_saveexec_b64 s[34:35], s[4:5]
	s_cbranch_execz .LBB324_266
; %bb.263:                              ;   in Loop: Header=BB324_9 Depth=1
	v_bfe_u32 v0, v7, 16, 7
	v_cmp_ne_u32_e64 s[4:5], s42, v0
	v_mov_b32_e32 v9, 0x7f800001
	s_and_saveexec_b64 s[36:37], s[4:5]
	s_cbranch_execz .LBB324_265
; %bb.264:                              ;   in Loop: Header=BB324_9 Depth=1
	v_and_b32_e32 v2, 7, v8
	v_lshrrev_b32_e32 v9, 3, v0
	v_cmp_gt_u32_e64 s[4:5], 8, v0
	v_ffbh_u32_e32 v0, v2
	v_min_u32_e32 v10, 32, v0
	v_subrev_u32_e32 v0, 28, v10
	v_lshlrev_b64 v[0:1], v0, v[8:9]
	v_sub_u32_e32 v1, 29, v10
	v_and_b32_e32 v0, 7, v0
	v_cndmask_b32_e64 v1, v9, v1, s[4:5]
	v_cndmask_b32_e64 v0, v2, v0, s[4:5]
	v_lshlrev_b32_e32 v2, 24, v8
	v_bfrev_b32_e32 v8, 60
	v_lshlrev_b32_e32 v0, 20, v0
	v_and_b32_e32 v2, 0x80000000, v2
	v_lshl_add_u32 v1, v1, 23, v8
	v_or3_b32 v9, v2, v1, v0
.LBB324_265:                            ;   in Loop: Header=BB324_9 Depth=1
	s_or_b64 exec, exec, s[36:37]
.LBB324_266:                            ;   in Loop: Header=BB324_9 Depth=1
	s_or_b64 exec, exec, s[34:35]
.LBB324_267:                            ;   in Loop: Header=BB324_9 Depth=1
	s_or_b64 exec, exec, s[16:17]
	v_cmp_lt_u32_e64 s[4:5], s43, v7
	v_mov_b32_e32 v12, 0
	v_mov_b32_e32 v11, 0
	s_and_saveexec_b64 s[16:17], s[4:5]
	s_cbranch_execz .LBB324_273
; %bb.268:                              ;   in Loop: Header=BB324_9 Depth=1
	v_lshrrev_b32_e32 v8, 24, v7
	v_cmp_ne_u32_e64 s[4:5], s41, v8
	v_bfrev_b32_e32 v11, 1
	s_and_saveexec_b64 s[34:35], s[4:5]
	s_cbranch_execz .LBB324_272
; %bb.269:                              ;   in Loop: Header=BB324_9 Depth=1
	v_bfe_u32 v0, v7, 24, 7
	v_cmp_ne_u32_e64 s[4:5], s42, v0
	v_mov_b32_e32 v11, 0x7f800001
	s_and_saveexec_b64 s[36:37], s[4:5]
	s_cbranch_execz .LBB324_271
; %bb.270:                              ;   in Loop: Header=BB324_9 Depth=1
	v_and_b32_e32 v2, 7, v8
	v_lshrrev_b32_e32 v7, 3, v0
	v_cmp_gt_u32_e64 s[4:5], 8, v0
	v_ffbh_u32_e32 v0, v2
	v_min_u32_e32 v10, 32, v0
	v_subrev_u32_e32 v0, 28, v10
	v_lshlrev_b64 v[0:1], v0, v[8:9]
	v_sub_u32_e32 v1, 29, v10
	v_and_b32_e32 v0, 7, v0
	v_cndmask_b32_e64 v1, v7, v1, s[4:5]
	v_cndmask_b32_e64 v0, v2, v0, s[4:5]
	v_lshlrev_b32_e32 v2, 24, v8
	v_bfrev_b32_e32 v7, 60
	v_lshlrev_b32_e32 v0, 20, v0
	v_and_b32_e32 v2, 0x80000000, v2
	v_lshl_add_u32 v1, v1, 23, v7
	v_or3_b32 v11, v2, v1, v0
.LBB324_271:                            ;   in Loop: Header=BB324_9 Depth=1
	s_or_b64 exec, exec, s[36:37]
.LBB324_272:                            ;   in Loop: Header=BB324_9 Depth=1
	s_or_b64 exec, exec, s[34:35]
.LBB324_273:                            ;   in Loop: Header=BB324_9 Depth=1
	s_or_b64 exec, exec, s[16:17]
	global_load_dword v7, v[5:6], off offset:2568
	s_waitcnt vmcnt(0)
	v_cmp_ne_u16_sdwa s[4:5], v7, v19 src0_sel:BYTE_0 src1_sel:DWORD
	s_and_saveexec_b64 s[16:17], s[4:5]
	s_cbranch_execz .LBB324_279
; %bb.274:                              ;   in Loop: Header=BB324_9 Depth=1
	v_cmp_ne_u16_sdwa s[4:5], v7, s41 src0_sel:BYTE_0 src1_sel:DWORD
	v_bfrev_b32_e32 v12, 1
	s_and_saveexec_b64 s[34:35], s[4:5]
	s_cbranch_execz .LBB324_278
; %bb.275:                              ;   in Loop: Header=BB324_9 Depth=1
	v_and_b32_e32 v0, 0x7f, v7
	v_cmp_ne_u32_e64 s[4:5], s42, v0
	v_mov_b32_e32 v12, 0x7f800001
	s_and_saveexec_b64 s[36:37], s[4:5]
	s_cbranch_execz .LBB324_277
; %bb.276:                              ;   in Loop: Header=BB324_9 Depth=1
	v_and_b32_e32 v2, 7, v7
	v_lshrrev_b32_e32 v8, 3, v0
	v_cmp_gt_u32_e64 s[4:5], 8, v0
	v_ffbh_u32_e32 v0, v2
	v_min_u32_e32 v10, 32, v0
	v_subrev_u32_e32 v0, 28, v10
	v_lshlrev_b64 v[0:1], v0, v[7:8]
	v_sub_u32_e32 v1, 29, v10
	v_and_b32_e32 v0, 7, v0
	v_cndmask_b32_e64 v1, v8, v1, s[4:5]
	v_cndmask_b32_e64 v0, v2, v0, s[4:5]
	v_lshlrev_b32_e32 v2, 24, v7
	v_bfrev_b32_e32 v8, 60
	v_lshlrev_b32_e32 v0, 20, v0
	v_and_b32_e32 v2, 0x80000000, v2
	v_lshl_add_u32 v1, v1, 23, v8
	v_or3_b32 v12, v2, v1, v0
.LBB324_277:                            ;   in Loop: Header=BB324_9 Depth=1
	s_or_b64 exec, exec, s[36:37]
.LBB324_278:                            ;   in Loop: Header=BB324_9 Depth=1
	s_or_b64 exec, exec, s[34:35]
.LBB324_279:                            ;   in Loop: Header=BB324_9 Depth=1
	s_or_b64 exec, exec, s[16:17]
	v_lshrrev_b16_e32 v8, 8, v7
	v_cmp_ne_u16_e64 s[4:5], 0, v8
	v_mov_b32_e32 v10, 0
	v_mov_b32_e32 v0, 0
	s_and_saveexec_b64 s[16:17], s[4:5]
	s_cbranch_execz .LBB324_285
; %bb.280:                              ;   in Loop: Header=BB324_9 Depth=1
	v_cmp_ne_u16_e64 s[4:5], s41, v8
	v_bfrev_b32_e32 v0, 1
	s_and_saveexec_b64 s[34:35], s[4:5]
	s_cbranch_execz .LBB324_284
; %bb.281:                              ;   in Loop: Header=BB324_9 Depth=1
	v_and_b32_e32 v1, 0x7f, v8
	v_cmp_ne_u32_e64 s[4:5], s42, v1
	v_mov_b32_e32 v0, 0x7f800001
	s_and_saveexec_b64 s[36:37], s[4:5]
	s_cbranch_execz .LBB324_283
; %bb.282:                              ;   in Loop: Header=BB324_9 Depth=1
	v_and_b32_e32 v2, 7, v8
	v_ffbh_u32_e32 v0, v2
	v_min_u32_e32 v15, 32, v0
	v_subrev_u32_e32 v0, 28, v15
	v_lshrrev_b32_e32 v14, 3, v1
	v_cmp_gt_u32_e64 s[4:5], 8, v1
	v_lshlrev_b64 v[0:1], v0, v[8:9]
	v_sub_u32_e32 v1, 29, v15
	v_and_b32_e32 v0, 7, v0
	v_cndmask_b32_e64 v1, v14, v1, s[4:5]
	v_cndmask_b32_e64 v0, v2, v0, s[4:5]
	v_lshlrev_b32_e32 v2, 16, v7
	v_bfrev_b32_e32 v8, 60
	v_lshlrev_b32_e32 v0, 20, v0
	v_and_b32_e32 v2, 0x80000000, v2
	v_lshl_add_u32 v1, v1, 23, v8
	v_or3_b32 v0, v2, v1, v0
.LBB324_283:                            ;   in Loop: Header=BB324_9 Depth=1
	s_or_b64 exec, exec, s[36:37]
.LBB324_284:                            ;   in Loop: Header=BB324_9 Depth=1
	s_or_b64 exec, exec, s[34:35]
.LBB324_285:                            ;   in Loop: Header=BB324_9 Depth=1
	s_or_b64 exec, exec, s[16:17]
	v_lshrrev_b32_e32 v8, 16, v7
	v_cmp_ne_u16_sdwa s[4:5], v8, v19 src0_sel:BYTE_0 src1_sel:DWORD
	s_and_saveexec_b64 s[16:17], s[4:5]
	s_cbranch_execz .LBB324_291
; %bb.286:                              ;   in Loop: Header=BB324_9 Depth=1
	v_cmp_ne_u16_sdwa s[4:5], v8, s41 src0_sel:BYTE_0 src1_sel:DWORD
	v_bfrev_b32_e32 v10, 1
	s_and_saveexec_b64 s[34:35], s[4:5]
	s_cbranch_execz .LBB324_290
; %bb.287:                              ;   in Loop: Header=BB324_9 Depth=1
	v_bfe_u32 v1, v7, 16, 7
	v_cmp_ne_u32_e64 s[4:5], s42, v1
	v_mov_b32_e32 v10, 0x7f800001
	s_and_saveexec_b64 s[36:37], s[4:5]
	s_cbranch_execz .LBB324_289
; %bb.288:                              ;   in Loop: Header=BB324_9 Depth=1
	v_and_b32_e32 v10, 7, v8
	v_lshrrev_b32_e32 v14, 3, v1
	v_cmp_gt_u32_e64 s[4:5], 8, v1
	v_ffbh_u32_e32 v1, v10
	v_min_u32_e32 v15, 32, v1
	v_subrev_u32_e32 v1, 28, v15
	v_lshlrev_b64 v[1:2], v1, v[8:9]
	v_sub_u32_e32 v2, 29, v15
	v_and_b32_e32 v1, 7, v1
	v_cndmask_b32_e64 v2, v14, v2, s[4:5]
	v_cndmask_b32_e64 v1, v10, v1, s[4:5]
	v_lshlrev_b32_e32 v8, 24, v8
	v_bfrev_b32_e32 v10, 60
	v_lshlrev_b32_e32 v1, 20, v1
	v_and_b32_e32 v8, 0x80000000, v8
	v_lshl_add_u32 v2, v2, 23, v10
	v_or3_b32 v10, v8, v2, v1
.LBB324_289:                            ;   in Loop: Header=BB324_9 Depth=1
	s_or_b64 exec, exec, s[36:37]
.LBB324_290:                            ;   in Loop: Header=BB324_9 Depth=1
	s_or_b64 exec, exec, s[34:35]
.LBB324_291:                            ;   in Loop: Header=BB324_9 Depth=1
	s_or_b64 exec, exec, s[16:17]
	v_cmp_lt_u32_e64 s[4:5], s43, v7
	v_mov_b32_e32 v2, 0
	v_mov_b32_e32 v16, 0
	s_and_saveexec_b64 s[16:17], s[4:5]
	s_cbranch_execz .LBB324_297
; %bb.292:                              ;   in Loop: Header=BB324_9 Depth=1
	v_lshrrev_b32_e32 v8, 24, v7
	v_cmp_ne_u32_e64 s[4:5], s41, v8
	v_bfrev_b32_e32 v16, 1
	s_and_saveexec_b64 s[34:35], s[4:5]
	s_cbranch_execz .LBB324_296
; %bb.293:                              ;   in Loop: Header=BB324_9 Depth=1
	v_bfe_u32 v1, v7, 24, 7
	v_cmp_ne_u32_e64 s[4:5], s42, v1
	v_mov_b32_e32 v16, 0x7f800001
	s_and_saveexec_b64 s[36:37], s[4:5]
	s_cbranch_execz .LBB324_295
; %bb.294:                              ;   in Loop: Header=BB324_9 Depth=1
	v_and_b32_e32 v7, 7, v8
	v_lshrrev_b32_e32 v16, 3, v1
	v_cmp_gt_u32_e64 s[4:5], 8, v1
	v_ffbh_u32_e32 v1, v7
	v_min_u32_e32 v1, 32, v1
	v_subrev_u32_e32 v14, 28, v1
	v_lshlrev_b64 v[14:15], v14, v[8:9]
	v_sub_u32_e32 v1, 29, v1
	v_and_b32_e32 v14, 7, v14
	v_cndmask_b32_e64 v1, v16, v1, s[4:5]
	v_cndmask_b32_e64 v7, v7, v14, s[4:5]
	v_lshlrev_b32_e32 v8, 24, v8
	v_bfrev_b32_e32 v14, 60
	v_lshlrev_b32_e32 v7, 20, v7
	v_and_b32_e32 v8, 0x80000000, v8
	v_lshl_add_u32 v1, v1, 23, v14
	v_or3_b32 v16, v8, v1, v7
.LBB324_295:                            ;   in Loop: Header=BB324_9 Depth=1
	s_or_b64 exec, exec, s[36:37]
.LBB324_296:                            ;   in Loop: Header=BB324_9 Depth=1
	s_or_b64 exec, exec, s[34:35]
.LBB324_297:                            ;   in Loop: Header=BB324_9 Depth=1
	s_or_b64 exec, exec, s[16:17]
	global_load_dword v7, v[5:6], off offset:3072
	s_waitcnt vmcnt(0)
	v_cmp_ne_u16_sdwa s[4:5], v7, v19 src0_sel:BYTE_0 src1_sel:DWORD
	s_and_saveexec_b64 s[16:17], s[4:5]
	s_cbranch_execz .LBB324_303
; %bb.298:                              ;   in Loop: Header=BB324_9 Depth=1
	v_cmp_ne_u16_sdwa s[4:5], v7, s41 src0_sel:BYTE_0 src1_sel:DWORD
	v_bfrev_b32_e32 v2, 1
	s_and_saveexec_b64 s[34:35], s[4:5]
	s_cbranch_execz .LBB324_302
; %bb.299:                              ;   in Loop: Header=BB324_9 Depth=1
	v_and_b32_e32 v1, 0x7f, v7
	v_cmp_ne_u32_e64 s[4:5], s42, v1
	v_mov_b32_e32 v2, 0x7f800001
	s_and_saveexec_b64 s[36:37], s[4:5]
	s_cbranch_execz .LBB324_301
; %bb.300:                              ;   in Loop: Header=BB324_9 Depth=1
	v_and_b32_e32 v8, 7, v7
	v_lshrrev_b32_e32 v14, 3, v1
	v_cmp_gt_u32_e64 s[4:5], 8, v1
	v_ffbh_u32_e32 v1, v8
	v_min_u32_e32 v15, 32, v1
	v_subrev_u32_e32 v1, 28, v15
	v_lshlrev_b64 v[1:2], v1, v[7:8]
	v_sub_u32_e32 v2, 29, v15
	v_and_b32_e32 v1, 7, v1
	v_cndmask_b32_e64 v2, v14, v2, s[4:5]
	v_cndmask_b32_e64 v1, v8, v1, s[4:5]
	v_lshlrev_b32_e32 v8, 24, v7
	v_bfrev_b32_e32 v14, 60
	v_lshlrev_b32_e32 v1, 20, v1
	v_and_b32_e32 v8, 0x80000000, v8
	v_lshl_add_u32 v2, v2, 23, v14
	v_or3_b32 v2, v8, v2, v1
.LBB324_301:                            ;   in Loop: Header=BB324_9 Depth=1
	s_or_b64 exec, exec, s[36:37]
.LBB324_302:                            ;   in Loop: Header=BB324_9 Depth=1
	s_or_b64 exec, exec, s[34:35]
.LBB324_303:                            ;   in Loop: Header=BB324_9 Depth=1
	s_or_b64 exec, exec, s[16:17]
	v_lshrrev_b16_e32 v8, 8, v7
	v_cmp_ne_u16_e64 s[4:5], 0, v8
	v_mov_b32_e32 v23, 0
	v_mov_b32_e32 v1, 0
	s_and_saveexec_b64 s[16:17], s[4:5]
	s_cbranch_execz .LBB324_309
; %bb.304:                              ;   in Loop: Header=BB324_9 Depth=1
	v_cmp_ne_u16_e64 s[4:5], s41, v8
	v_bfrev_b32_e32 v1, 1
	s_and_saveexec_b64 s[34:35], s[4:5]
	s_cbranch_execz .LBB324_308
; %bb.305:                              ;   in Loop: Header=BB324_9 Depth=1
	v_and_b32_e32 v14, 0x7f, v8
	v_cmp_ne_u32_e64 s[4:5], s42, v14
	v_mov_b32_e32 v1, 0x7f800001
	s_and_saveexec_b64 s[36:37], s[4:5]
	s_cbranch_execz .LBB324_307
; %bb.306:                              ;   in Loop: Header=BB324_9 Depth=1
	v_and_b32_e32 v1, 7, v8
	v_lshrrev_b32_e32 v24, 3, v14
	v_cmp_gt_u32_e64 s[4:5], 8, v14
	v_ffbh_u32_e32 v14, v1
	v_min_u32_e32 v25, 32, v14
	v_subrev_u32_e32 v14, 28, v25
	v_lshlrev_b64 v[14:15], v14, v[8:9]
	v_sub_u32_e32 v8, 29, v25
	v_and_b32_e32 v14, 7, v14
	v_cndmask_b32_e64 v8, v24, v8, s[4:5]
	v_cndmask_b32_e64 v1, v1, v14, s[4:5]
	v_lshlrev_b32_e32 v14, 16, v7
	v_bfrev_b32_e32 v15, 60
	v_lshlrev_b32_e32 v1, 20, v1
	v_and_b32_e32 v14, 0x80000000, v14
	v_lshl_add_u32 v8, v8, 23, v15
	v_or3_b32 v1, v14, v8, v1
.LBB324_307:                            ;   in Loop: Header=BB324_9 Depth=1
	s_or_b64 exec, exec, s[36:37]
.LBB324_308:                            ;   in Loop: Header=BB324_9 Depth=1
	s_or_b64 exec, exec, s[34:35]
.LBB324_309:                            ;   in Loop: Header=BB324_9 Depth=1
	s_or_b64 exec, exec, s[16:17]
	v_lshrrev_b32_e32 v8, 16, v7
	v_cmp_ne_u16_sdwa s[4:5], v8, v19 src0_sel:BYTE_0 src1_sel:DWORD
	s_and_saveexec_b64 s[16:17], s[4:5]
	s_cbranch_execz .LBB324_315
; %bb.310:                              ;   in Loop: Header=BB324_9 Depth=1
	v_cmp_ne_u16_sdwa s[4:5], v8, s41 src0_sel:BYTE_0 src1_sel:DWORD
	v_bfrev_b32_e32 v23, 1
	s_and_saveexec_b64 s[34:35], s[4:5]
	s_cbranch_execz .LBB324_314
; %bb.311:                              ;   in Loop: Header=BB324_9 Depth=1
	v_bfe_u32 v14, v7, 16, 7
	v_cmp_ne_u32_e64 s[4:5], s42, v14
	v_mov_b32_e32 v23, 0x7f800001
	s_and_saveexec_b64 s[36:37], s[4:5]
	s_cbranch_execz .LBB324_313
; %bb.312:                              ;   in Loop: Header=BB324_9 Depth=1
	v_and_b32_e32 v23, 7, v8
	v_lshrrev_b32_e32 v24, 3, v14
	v_cmp_gt_u32_e64 s[4:5], 8, v14
	v_ffbh_u32_e32 v14, v23
	v_min_u32_e32 v25, 32, v14
	v_subrev_u32_e32 v14, 28, v25
	v_lshlrev_b64 v[14:15], v14, v[8:9]
	v_sub_u32_e32 v15, 29, v25
	v_and_b32_e32 v14, 7, v14
	v_cndmask_b32_e64 v15, v24, v15, s[4:5]
	v_cndmask_b32_e64 v14, v23, v14, s[4:5]
	v_lshlrev_b32_e32 v8, 24, v8
	v_bfrev_b32_e32 v21, 60
	v_lshlrev_b32_e32 v14, 20, v14
	v_and_b32_e32 v8, 0x80000000, v8
	v_lshl_add_u32 v15, v15, 23, v21
	v_or3_b32 v23, v8, v15, v14
.LBB324_313:                            ;   in Loop: Header=BB324_9 Depth=1
	s_or_b64 exec, exec, s[36:37]
.LBB324_314:                            ;   in Loop: Header=BB324_9 Depth=1
	s_or_b64 exec, exec, s[34:35]
.LBB324_315:                            ;   in Loop: Header=BB324_9 Depth=1
	s_or_b64 exec, exec, s[16:17]
	v_cmp_lt_u32_e64 s[4:5], s43, v7
	v_mov_b32_e32 v25, 0
	v_mov_b32_e32 v24, 0
	s_and_saveexec_b64 s[16:17], s[4:5]
	s_cbranch_execz .LBB324_321
; %bb.316:                              ;   in Loop: Header=BB324_9 Depth=1
	v_lshrrev_b32_e32 v8, 24, v7
	v_cmp_ne_u32_e64 s[4:5], s41, v8
	v_bfrev_b32_e32 v24, 1
	s_and_saveexec_b64 s[34:35], s[4:5]
	s_cbranch_execz .LBB324_320
; %bb.317:                              ;   in Loop: Header=BB324_9 Depth=1
	v_bfe_u32 v7, v7, 24, 7
	v_cmp_ne_u32_e64 s[4:5], s42, v7
	v_mov_b32_e32 v24, 0x7f800001
	s_and_saveexec_b64 s[36:37], s[4:5]
	s_cbranch_execz .LBB324_319
; %bb.318:                              ;   in Loop: Header=BB324_9 Depth=1
	v_and_b32_e32 v24, 7, v8
	v_lshrrev_b32_e32 v26, 3, v7
	v_cmp_gt_u32_e64 s[4:5], 8, v7
	v_ffbh_u32_e32 v7, v24
	v_min_u32_e32 v7, 32, v7
	v_subrev_u32_e32 v14, 28, v7
	v_lshlrev_b64 v[14:15], v14, v[8:9]
	v_sub_u32_e32 v7, 29, v7
	v_and_b32_e32 v14, 7, v14
	v_cndmask_b32_e64 v7, v26, v7, s[4:5]
	v_cndmask_b32_e64 v14, v24, v14, s[4:5]
	v_lshlrev_b32_e32 v8, 24, v8
	v_bfrev_b32_e32 v15, 60
	v_lshlrev_b32_e32 v14, 20, v14
	v_and_b32_e32 v8, 0x80000000, v8
	v_lshl_add_u32 v7, v7, 23, v15
	v_or3_b32 v24, v8, v7, v14
.LBB324_319:                            ;   in Loop: Header=BB324_9 Depth=1
	s_or_b64 exec, exec, s[36:37]
.LBB324_320:                            ;   in Loop: Header=BB324_9 Depth=1
	s_or_b64 exec, exec, s[34:35]
.LBB324_321:                            ;   in Loop: Header=BB324_9 Depth=1
	s_or_b64 exec, exec, s[16:17]
	global_load_dword v5, v[5:6], off offset:3080
	s_waitcnt vmcnt(0)
	v_cmp_ne_u16_sdwa s[4:5], v5, v19 src0_sel:BYTE_0 src1_sel:DWORD
	s_and_saveexec_b64 s[16:17], s[4:5]
	s_cbranch_execz .LBB324_327
; %bb.322:                              ;   in Loop: Header=BB324_9 Depth=1
	v_cmp_ne_u16_sdwa s[4:5], v5, s41 src0_sel:BYTE_0 src1_sel:DWORD
	v_bfrev_b32_e32 v25, 1
	s_and_saveexec_b64 s[34:35], s[4:5]
	s_cbranch_execz .LBB324_326
; %bb.323:                              ;   in Loop: Header=BB324_9 Depth=1
	v_and_b32_e32 v6, 0x7f, v5
	v_cmp_ne_u32_e64 s[4:5], s42, v6
	v_mov_b32_e32 v25, 0x7f800001
	s_and_saveexec_b64 s[36:37], s[4:5]
	s_cbranch_execz .LBB324_325
; %bb.324:                              ;   in Loop: Header=BB324_9 Depth=1
	v_and_b32_e32 v8, 7, v5
	v_lshrrev_b32_e32 v14, 3, v6
	v_cmp_gt_u32_e64 s[4:5], 8, v6
	v_ffbh_u32_e32 v6, v8
	v_min_u32_e32 v15, 32, v6
	v_subrev_u32_e32 v6, 28, v15
	v_lshlrev_b64 v[6:7], v6, v[5:6]
	v_sub_u32_e32 v7, 29, v15
	v_and_b32_e32 v6, 7, v6
	v_cndmask_b32_e64 v7, v14, v7, s[4:5]
	v_cndmask_b32_e64 v6, v8, v6, s[4:5]
	v_lshlrev_b32_e32 v8, 24, v5
	v_bfrev_b32_e32 v14, 60
	v_lshlrev_b32_e32 v6, 20, v6
	v_and_b32_e32 v8, 0x80000000, v8
	v_lshl_add_u32 v7, v7, 23, v14
	v_or3_b32 v25, v8, v7, v6
.LBB324_325:                            ;   in Loop: Header=BB324_9 Depth=1
	s_or_b64 exec, exec, s[36:37]
.LBB324_326:                            ;   in Loop: Header=BB324_9 Depth=1
	s_or_b64 exec, exec, s[34:35]
.LBB324_327:                            ;   in Loop: Header=BB324_9 Depth=1
	s_or_b64 exec, exec, s[16:17]
	v_lshrrev_b16_e32 v6, 8, v5
	v_cmp_ne_u16_e64 s[4:5], 0, v6
	v_mov_b32_e32 v14, 0
	v_mov_b32_e32 v7, 0
	s_and_saveexec_b64 s[16:17], s[4:5]
	s_cbranch_execz .LBB324_333
; %bb.328:                              ;   in Loop: Header=BB324_9 Depth=1
	v_cmp_ne_u16_e64 s[4:5], s41, v6
	v_bfrev_b32_e32 v7, 1
	s_and_saveexec_b64 s[34:35], s[4:5]
	s_cbranch_execz .LBB324_332
; %bb.329:                              ;   in Loop: Header=BB324_9 Depth=1
	v_and_b32_e32 v8, 0x7f, v6
	v_cmp_ne_u32_e64 s[4:5], s42, v8
	v_mov_b32_e32 v7, 0x7f800001
	s_and_saveexec_b64 s[36:37], s[4:5]
	s_cbranch_execz .LBB324_331
; %bb.330:                              ;   in Loop: Header=BB324_9 Depth=1
	v_and_b32_e32 v15, 7, v6
	v_ffbh_u32_e32 v7, v15
	v_lshrrev_b32_e32 v26, 3, v8
	v_cmp_gt_u32_e64 s[4:5], 8, v8
	v_min_u32_e32 v8, 32, v7
	v_subrev_u32_e32 v7, 28, v8
	v_lshlrev_b64 v[6:7], v7, v[6:7]
	v_sub_u32_e32 v7, 29, v8
	v_and_b32_e32 v6, 7, v6
	v_cndmask_b32_e64 v7, v26, v7, s[4:5]
	v_cndmask_b32_e64 v6, v15, v6, s[4:5]
	v_lshlrev_b32_e32 v8, 16, v5
	v_bfrev_b32_e32 v15, 60
	v_lshlrev_b32_e32 v6, 20, v6
	v_and_b32_e32 v8, 0x80000000, v8
	v_lshl_add_u32 v7, v7, 23, v15
	v_or3_b32 v7, v8, v7, v6
.LBB324_331:                            ;   in Loop: Header=BB324_9 Depth=1
	s_or_b64 exec, exec, s[36:37]
.LBB324_332:                            ;   in Loop: Header=BB324_9 Depth=1
	s_or_b64 exec, exec, s[34:35]
.LBB324_333:                            ;   in Loop: Header=BB324_9 Depth=1
	s_or_b64 exec, exec, s[16:17]
	v_lshrrev_b32_e32 v6, 16, v5
	v_cmp_ne_u16_sdwa s[4:5], v6, v19 src0_sel:BYTE_0 src1_sel:DWORD
	s_and_saveexec_b64 s[16:17], s[4:5]
	s_cbranch_execz .LBB324_339
; %bb.334:                              ;   in Loop: Header=BB324_9 Depth=1
	v_cmp_ne_u16_sdwa s[4:5], v6, s41 src0_sel:BYTE_0 src1_sel:DWORD
	v_bfrev_b32_e32 v14, 1
	s_and_saveexec_b64 s[34:35], s[4:5]
	s_cbranch_execz .LBB324_338
; %bb.335:                              ;   in Loop: Header=BB324_9 Depth=1
	v_bfe_u32 v8, v5, 16, 7
	v_cmp_ne_u32_e64 s[4:5], s42, v8
	v_mov_b32_e32 v14, 0x7f800001
	s_and_saveexec_b64 s[36:37], s[4:5]
	s_cbranch_execz .LBB324_337
; %bb.336:                              ;   in Loop: Header=BB324_9 Depth=1
	v_and_b32_e32 v26, 7, v6
	v_mov_b32_e32 v21, v27
	v_lshrrev_b32_e32 v27, 3, v8
	v_cmp_gt_u32_e64 s[4:5], 8, v8
	v_ffbh_u32_e32 v8, v26
	v_min_u32_e32 v8, 32, v8
	v_subrev_u32_e32 v14, 28, v8
	v_lshlrev_b64 v[14:15], v14, v[6:7]
	v_sub_u32_e32 v8, 29, v8
	v_and_b32_e32 v14, 7, v14
	v_cndmask_b32_e64 v8, v27, v8, s[4:5]
	v_cndmask_b32_e64 v14, v26, v14, s[4:5]
	v_lshlrev_b32_e32 v6, 24, v6
	v_bfrev_b32_e32 v15, 60
	v_lshlrev_b32_e32 v14, 20, v14
	v_and_b32_e32 v6, 0x80000000, v6
	v_lshl_add_u32 v8, v8, 23, v15
	v_mov_b32_e32 v27, v21
	v_or3_b32 v14, v6, v8, v14
.LBB324_337:                            ;   in Loop: Header=BB324_9 Depth=1
	s_or_b64 exec, exec, s[36:37]
.LBB324_338:                            ;   in Loop: Header=BB324_9 Depth=1
	s_or_b64 exec, exec, s[34:35]
.LBB324_339:                            ;   in Loop: Header=BB324_9 Depth=1
	s_or_b64 exec, exec, s[16:17]
	v_mov_b32_e32 v21, v27
	v_cmp_lt_u32_e64 s[4:5], s43, v5
	v_mov_b32_e32 v15, 0
	s_and_saveexec_b64 s[16:17], s[4:5]
	s_cbranch_execz .LBB324_345
; %bb.340:                              ;   in Loop: Header=BB324_9 Depth=1
	v_lshrrev_b32_e32 v6, 24, v5
	v_cmp_ne_u32_e64 s[4:5], s41, v6
	v_bfrev_b32_e32 v15, 1
	s_and_saveexec_b64 s[34:35], s[4:5]
	s_cbranch_execz .LBB324_344
; %bb.341:                              ;   in Loop: Header=BB324_9 Depth=1
	v_bfe_u32 v5, v5, 24, 7
	v_cmp_ne_u32_e64 s[4:5], s42, v5
	v_mov_b32_e32 v15, 0x7f800001
	s_and_saveexec_b64 s[36:37], s[4:5]
	s_cbranch_execz .LBB324_343
; %bb.342:                              ;   in Loop: Header=BB324_9 Depth=1
	v_and_b32_e32 v8, 7, v6
	v_lshrrev_b32_e32 v15, 3, v5
	v_cmp_gt_u32_e64 s[4:5], 8, v5
	v_ffbh_u32_e32 v5, v8
	v_min_u32_e32 v5, 32, v5
	v_subrev_u32_e32 v26, 28, v5
	v_lshlrev_b64 v[26:27], v26, v[6:7]
	v_sub_u32_e32 v5, 29, v5
	v_and_b32_e32 v26, 7, v26
	v_cndmask_b32_e64 v5, v15, v5, s[4:5]
	v_cndmask_b32_e64 v8, v8, v26, s[4:5]
	v_lshlrev_b32_e32 v6, 24, v6
	v_bfrev_b32_e32 v15, 60
	v_lshlrev_b32_e32 v8, 20, v8
	v_and_b32_e32 v6, 0x80000000, v6
	v_lshl_add_u32 v5, v5, 23, v15
	v_or3_b32 v15, v6, v5, v8
.LBB324_343:                            ;   in Loop: Header=BB324_9 Depth=1
	s_or_b64 exec, exec, s[36:37]
.LBB324_344:                            ;   in Loop: Header=BB324_9 Depth=1
	s_or_b64 exec, exec, s[34:35]
.LBB324_345:                            ;   in Loop: Header=BB324_9 Depth=1
	s_or_b64 exec, exec, s[16:17]
	s_waitcnt lgkmcnt(0)
	v_mul_f32_e32 v5, s40, v7
	v_bfe_u32 v6, v5, 16, 1
	v_add3_u32 v6, v6, v5, s44
	v_or_b32_e32 v7, 0x400000, v5
	v_cmp_u_f32_e64 s[4:5], v5, v5
	v_cndmask_b32_e64 v5, v6, v7, s[4:5]
	v_mul_f32_e32 v6, s40, v25
	v_bfe_u32 v7, v6, 16, 1
	v_add3_u32 v7, v7, v6, s44
	v_or_b32_e32 v8, 0x400000, v6
	v_cmp_u_f32_e64 s[4:5], v6, v6
	v_cndmask_b32_e64 v6, v7, v8, s[4:5]
	;; [unrolled: 6-line block ×3, first 2 shown]
	v_mul_f32_e32 v8, s40, v24
	v_bfe_u32 v23, v8, 16, 1
	v_add3_u32 v23, v23, v8, s44
	v_or_b32_e32 v24, 0x400000, v8
	v_cmp_u_f32_e64 s[4:5], v8, v8
	v_mul_f32_e32 v1, s40, v1
	v_cndmask_b32_e64 v8, v23, v24, s[4:5]
	v_bfe_u32 v23, v1, 16, 1
	v_add3_u32 v23, v23, v1, s44
	v_or_b32_e32 v24, 0x400000, v1
	v_cmp_u_f32_e64 s[4:5], v1, v1
	v_mul_f32_e32 v2, s40, v2
	v_cndmask_b32_e64 v1, v23, v24, s[4:5]
	;; [unrolled: 6-line block ×9, first 2 shown]
	v_bfe_u32 v23, v13, 16, 1
	v_add3_u32 v23, v23, v13, s44
	v_or_b32_e32 v24, 0x400000, v13
	v_cmp_u_f32_e64 s[4:5], v13, v13
	v_cndmask_b32_e64 v13, v23, v24, s[4:5]
	v_mul_f32_e32 v23, s40, v63
	v_bfe_u32 v24, v23, 16, 1
	v_add3_u32 v24, v24, v23, s44
	v_or_b32_e32 v25, 0x400000, v23
	v_cmp_u_f32_e64 s[4:5], v23, v23
	v_mul_f32_e32 v23, s40, v61
	v_cndmask_b32_e64 v63, v24, v25, s[4:5]
	v_bfe_u32 v24, v23, 16, 1
	v_add3_u32 v24, v24, v23, s44
	v_or_b32_e32 v25, 0x400000, v23
	v_cmp_u_f32_e64 s[4:5], v23, v23
	v_mul_f32_e32 v23, s40, v62
	v_cndmask_b32_e64 v61, v24, v25, s[4:5]
	;; [unrolled: 6-line block ×5, first 2 shown]
	v_bfe_u32 v24, v23, 16, 1
	v_add3_u32 v24, v24, v23, s44
	v_or_b32_e32 v25, 0x400000, v23
	v_cmp_u_f32_e64 s[4:5], v23, v23
	v_cndmask_b32_e64 v23, v24, v25, s[4:5]
	v_mul_f32_e32 v24, s40, v58
	v_bfe_u32 v25, v24, 16, 1
	v_add3_u32 v25, v25, v24, s44
	v_or_b32_e32 v26, 0x400000, v24
	v_cmp_u_f32_e64 s[4:5], v24, v24
	v_mul_f32_e32 v24, s40, v56
	v_cndmask_b32_e64 v57, v25, v26, s[4:5]
	v_bfe_u32 v25, v24, 16, 1
	v_add3_u32 v25, v25, v24, s44
	v_or_b32_e32 v26, 0x400000, v24
	v_cmp_u_f32_e64 s[4:5], v24, v24
	v_mul_f32_e32 v24, s40, v55
	v_cndmask_b32_e64 v56, v25, v26, s[4:5]
	;; [unrolled: 6-line block ×9, first 2 shown]
	v_bfe_u32 v25, v24, 16, 1
	v_add3_u32 v25, v25, v24, s44
	v_or_b32_e32 v26, 0x400000, v24
	v_cmp_u_f32_e64 s[4:5], v24, v24
	v_cndmask_b32_e64 v24, v25, v26, s[4:5]
	v_mul_f32_e32 v25, s40, v47
	v_bfe_u32 v26, v25, 16, 1
	v_add3_u32 v26, v26, v25, s44
	v_or_b32_e32 v27, 0x400000, v25
	v_cmp_u_f32_e64 s[4:5], v25, v25
	v_mul_f32_e32 v25, s40, v45
	v_cndmask_b32_e64 v47, v26, v27, s[4:5]
	v_bfe_u32 v26, v25, 16, 1
	v_add3_u32 v26, v26, v25, s44
	v_or_b32_e32 v27, 0x400000, v25
	v_cmp_u_f32_e64 s[4:5], v25, v25
	v_cndmask_b32_e64 v25, v26, v27, s[4:5]
	v_mul_f32_e32 v26, s40, v46
	v_bfe_u32 v27, v26, 16, 1
	v_add3_u32 v27, v27, v26, s44
	v_or_b32_e32 v45, 0x400000, v26
	v_cmp_u_f32_e64 s[4:5], v26, v26
	v_mul_f32_e32 v26, s40, v44
	v_cndmask_b32_e64 v45, v27, v45, s[4:5]
	v_bfe_u32 v27, v26, 16, 1
	v_add3_u32 v27, v27, v26, s44
	v_or_b32_e32 v44, 0x400000, v26
	v_cmp_u_f32_e64 s[4:5], v26, v26
	v_mul_f32_e32 v26, s40, v43
	v_cndmask_b32_e64 v44, v27, v44, s[4:5]
	;; [unrolled: 6-line block ×17, first 2 shown]
	v_bfe_u32 v27, v26, 16, 1
	v_add3_u32 v27, v27, v26, s44
	v_or_b32_e32 v28, 0x400000, v26
	v_cmp_u_f32_e64 s[4:5], v26, v26
	buffer_load_dword v26, off, s[48:51], 0 offset:8 ; 4-byte Folded Reload
	v_cndmask_b32_e64 v27, v27, v28, s[4:5]
	v_mul_f32_e32 v14, s40, v14
	v_mul_f32_e32 v15, s40, v15
	v_and_b32_e32 v27, 0xffff0000, v27
	v_and_b32_e32 v13, 0xffff0000, v13
	;; [unrolled: 1-line block ×4, first 2 shown]
	s_waitcnt vmcnt(0)
	v_mul_f32_e32 v26, s40, v26
	v_bfe_u32 v28, v26, 16, 1
	v_add3_u32 v28, v28, v26, s44
	v_or_b32_e32 v46, 0x400000, v26
	v_cmp_u_f32_e64 s[4:5], v26, v26
	v_cndmask_b32_e64 v26, v28, v46, s[4:5]
	v_mul_f32_e32 v28, s40, v22
	buffer_load_dword v22, off, s[48:51], 0 offset:12 ; 4-byte Folded Reload
	v_bfe_u32 v46, v28, 16, 1
	v_add3_u32 v46, v46, v28, s44
	v_or_b32_e32 v48, 0x400000, v28
	v_cmp_u_f32_e64 s[4:5], v28, v28
	v_cndmask_b32_e64 v28, v46, v48, s[4:5]
	v_and_b32_e32 v26, 0xffff0000, v26
	s_waitcnt vmcnt(0)
	v_mul_f32_e32 v22, s40, v22
	v_bfe_u32 v46, v22, 16, 1
	v_add3_u32 v46, v46, v22, s44
	v_or_b32_e32 v48, 0x400000, v22
	v_cmp_u_f32_e64 s[4:5], v22, v22
	v_cndmask_b32_e64 v22, v46, v48, s[4:5]
	v_mul_f32_e32 v46, s40, v21
	buffer_load_dword v21, off, s[48:51], 0 offset:4 ; 4-byte Folded Reload
	v_bfe_u32 v48, v46, 16, 1
	v_add3_u32 v48, v48, v46, s44
	v_or_b32_e32 v58, 0x400000, v46
	v_cmp_u_f32_e64 s[4:5], v46, v46
	v_cndmask_b32_e64 v46, v48, v58, s[4:5]
	s_waitcnt vmcnt(0)
	v_mul_f32_e32 v48, s40, v21
	v_bfe_u32 v58, v48, 16, 1
	v_add3_u32 v58, v58, v48, s44
	v_or_b32_e32 v21, 0x400000, v48
	v_cmp_u_f32_e64 s[4:5], v48, v48
	v_bfe_u32 v48, v14, 16, 1
	v_cndmask_b32_e64 v21, v58, v21, s[4:5]
	v_add3_u32 v48, v48, v14, s44
	v_or_b32_e32 v58, 0x400000, v14
	v_cmp_u_f32_e64 s[4:5], v14, v14
	v_cndmask_b32_e64 v14, v48, v58, s[4:5]
	v_bfe_u32 v48, v15, 16, 1
	v_add3_u32 v48, v48, v15, s44
	v_or_b32_e32 v58, 0x400000, v15
	v_cmp_u_f32_e64 s[4:5], v15, v15
	v_cndmask_b32_e64 v15, v48, v58, s[4:5]
	buffer_load_dword v48, off, s[48:51], 0 offset:36 ; 4-byte Folded Reload
	v_and_b32_e32 v21, 0xffff0000, v21
	s_waitcnt vmcnt(0)
	v_mul_f32_e32 v26, v48, v26
	buffer_load_dword v48, off, s[48:51], 0 offset:20 ; 4-byte Folded Reload
	s_waitcnt vmcnt(0)
	v_fmac_f32_e32 v26, v48, v21
	v_and_b32_e32 v21, 0xffff0000, v46
	buffer_load_dword v46, off, s[48:51], 0 offset:40 ; 4-byte Folded Reload
	s_waitcnt vmcnt(0)
	v_mul_f32_e32 v27, v46, v27
	buffer_load_dword v46, off, s[48:51], 0 offset:24 ; 4-byte Folded Reload
	s_waitcnt vmcnt(0)
	v_fmac_f32_e32 v27, v46, v21
	v_and_b32_e32 v21, 0xffff0000, v28
	v_and_b32_e32 v28, 0xffff0000, v29
	buffer_load_dword v29, off, s[48:51], 0 offset:44 ; 4-byte Folded Reload
	s_waitcnt vmcnt(0)
	v_mul_f32_e32 v28, v29, v28
	buffer_load_dword v29, off, s[48:51], 0 offset:28 ; 4-byte Folded Reload
	s_waitcnt vmcnt(0)
	v_fmac_f32_e32 v28, v29, v21
	buffer_load_dword v29, off, s[48:51], 0 offset:48 ; 4-byte Folded Reload
	v_and_b32_e32 v21, 0xffff0000, v22
	v_and_b32_e32 v22, 0xffff0000, v30
	s_waitcnt vmcnt(0)
	v_mul_f32_e32 v29, v29, v22
	buffer_load_dword v22, off, s[48:51], 0 offset:32 ; 4-byte Folded Reload
	s_waitcnt vmcnt(0)
	v_fmac_f32_e32 v29, v22, v21
	buffer_load_dword v22, off, s[48:51], 0 offset:52 ; 4-byte Folded Reload
	v_and_b32_e32 v21, 0xffff0000, v31
	s_waitcnt vmcnt(0)
	v_fmac_f32_e32 v26, v22, v21
	buffer_load_dword v22, off, s[48:51], 0 offset:56 ; 4-byte Folded Reload
	v_and_b32_e32 v21, 0xffff0000, v32
	;; [unrolled: 4-line block ×33, first 2 shown]
	s_waitcnt vmcnt(0)
	v_fmac_f32_e32 v26, v22, v21
	buffer_load_dword v21, off, s[48:51], 0 offset:188 ; 4-byte Folded Reload
	s_waitcnt vmcnt(0)
	v_fmac_f32_e32 v27, v21, v13
	buffer_load_dword v13, off, s[48:51], 0 offset:192 ; 4-byte Folded Reload
	s_waitcnt vmcnt(0)
	v_fmac_f32_e32 v28, v13, v9
	v_and_b32_e32 v9, 0xffff0000, v11
	buffer_load_dword v11, off, s[48:51], 0 offset:196 ; 4-byte Folded Reload
	s_waitcnt vmcnt(0)
	v_fmac_f32_e32 v29, v11, v9
	buffer_load_dword v11, off, s[48:51], 0 offset:200 ; 4-byte Folded Reload
	v_and_b32_e32 v9, 0xffff0000, v12
	s_waitcnt vmcnt(0)
	v_fmac_f32_e32 v26, v11, v9
	buffer_load_dword v9, off, s[48:51], 0 offset:204 ; 4-byte Folded Reload
	s_waitcnt vmcnt(0)
	v_fmac_f32_e32 v27, v9, v0
	buffer_load_dword v9, off, s[48:51], 0 offset:208 ; 4-byte Folded Reload
	v_and_b32_e32 v0, 0xffff0000, v10
	s_waitcnt vmcnt(0)
	v_fmac_f32_e32 v28, v9, v0
	buffer_load_dword v9, off, s[48:51], 0 offset:212 ; 4-byte Folded Reload
	v_and_b32_e32 v0, 0xffff0000, v16
	s_waitcnt vmcnt(0)
	v_fmac_f32_e32 v29, v9, v0
	v_and_b32_e32 v0, 0xffff0000, v2
	buffer_load_dword v2, off, s[48:51], 0 offset:216 ; 4-byte Folded Reload
	s_waitcnt vmcnt(0)
	v_fmac_f32_e32 v26, v2, v0
	v_and_b32_e32 v0, 0xffff0000, v1
	buffer_load_dword v1, off, s[48:51], 0 offset:220 ; 4-byte Folded Reload
	s_waitcnt vmcnt(0)
	v_fmac_f32_e32 v27, v1, v0
	buffer_load_dword v1, off, s[48:51], 0 offset:224 ; 4-byte Folded Reload
	v_and_b32_e32 v0, 0xffff0000, v7
	s_waitcnt vmcnt(0)
	v_fmac_f32_e32 v28, v1, v0
	buffer_load_dword v1, off, s[48:51], 0 offset:228 ; 4-byte Folded Reload
	v_and_b32_e32 v0, 0xffff0000, v8
	;; [unrolled: 4-line block ×6, first 2 shown]
	s_waitcnt vmcnt(0)
	v_fmac_f32_e32 v29, v1, v0
	buffer_load_dword v1, off, s[48:51], 0 offset:256 ; 4-byte Folded Reload
	v_add_f32_e32 v0, v26, v27
	v_add_f32_e32 v0, v0, v28
	;; [unrolled: 1-line block ×3, first 2 shown]
	s_waitcnt vmcnt(0)
	ds_bpermute_b32 v1, v1, v0
	s_and_saveexec_b64 s[16:17], vcc
	s_cbranch_execz .LBB324_8
; %bb.346:                              ;   in Loop: Header=BB324_9 Depth=1
	buffer_load_dword v5, off, s[48:51], 0 offset:16 ; 4-byte Folded Reload
	v_add_u32_e32 v2, s38, v17
	v_cvt_f32_i32_e32 v2, v2
	s_waitcnt lgkmcnt(0)
	v_add_f32_e32 v0, v0, v1
	v_cmp_gt_i32_e64 s[4:5], s30, v17
	v_mul_f32_e32 v2, s33, v2
	v_cndmask_b32_e64 v2, 0, v2, s[2:3]
	v_fmac_f32_e32 v2, s31, v0
	v_cndmask_b32_e64 v0, 0, v2, s[4:5]
	ds_write_b32 v18, v0
	s_waitcnt vmcnt(0)
	v_max_f32_e32 v1, v5, v5
	v_max_f32_e32 v0, v1, v2
	v_cndmask_b32_e64 v5, v5, v0, s[4:5]
	buffer_store_dword v5, off, s[48:51], 0 offset:16 ; 4-byte Folded Spill
	s_branch .LBB324_8
.LBB324_347:
	s_or_b64 exec, exec, s[14:15]
	buffer_load_dword v15, off, s[48:51], 0 offset:264 ; 4-byte Folded Reload
	buffer_load_dword v16, off, s[48:51], 0 offset:268 ; 4-byte Folded Reload
	buffer_load_dword v14, off, s[48:51], 0 offset:272 ; 4-byte Folded Reload
	buffer_load_dword v8, off, s[48:51], 0 offset:276 ; 4-byte Folded Reload
	buffer_load_dword v9, off, s[48:51], 0 offset:280 ; 4-byte Folded Reload
	buffer_load_dword v2, off, s[48:51], 0 offset:16 ; 4-byte Folded Reload
.LBB324_348:
	s_or_b64 exec, exec, s[6:7]
	s_waitcnt vmcnt(3)
	v_xor_b32_e32 v0, 32, v14
	s_waitcnt vmcnt(1)
	v_cmp_lt_i32_e32 vcc, v0, v9
	v_cndmask_b32_e32 v0, v14, v0, vcc
	v_lshlrev_b32_e32 v0, 2, v0
	s_waitcnt vmcnt(0) lgkmcnt(0)
	ds_bpermute_b32 v1, v0, v2
	v_xor_b32_e32 v3, 16, v14
	v_max_f32_e32 v2, v2, v2
	v_cmp_lt_i32_e32 vcc, v3, v9
	v_xor_b32_e32 v4, 8, v14
	s_waitcnt lgkmcnt(0)
	v_max_f32_e32 v1, v1, v1
	v_max_f32_e32 v2, v2, v1
	v_cndmask_b32_e32 v1, v14, v3, vcc
	v_lshlrev_b32_e32 v1, 2, v1
	ds_bpermute_b32 v3, v1, v2
	v_cmp_lt_i32_e32 vcc, v4, v9
	v_xor_b32_e32 v5, 4, v14
	v_xor_b32_e32 v6, 2, v14
	s_waitcnt lgkmcnt(0)
	v_max_f32_e32 v3, v3, v3
	v_max_f32_e32 v3, v2, v3
	v_cndmask_b32_e32 v2, v14, v4, vcc
	v_lshlrev_b32_e32 v2, 2, v2
	ds_bpermute_b32 v4, v2, v3
	v_cmp_lt_i32_e32 vcc, v5, v9
	s_waitcnt lgkmcnt(0)
	v_max_f32_e32 v4, v4, v4
	v_max_f32_e32 v4, v3, v4
	v_cndmask_b32_e32 v3, v14, v5, vcc
	v_lshlrev_b32_e32 v3, 2, v3
	ds_bpermute_b32 v5, v3, v4
	v_cmp_lt_i32_e32 vcc, v6, v9
	s_waitcnt lgkmcnt(0)
	v_max_f32_e32 v5, v5, v5
	v_max_f32_e32 v5, v4, v5
	v_cndmask_b32_e32 v4, v14, v6, vcc
	v_lshlrev_b32_e32 v11, 2, v4
	buffer_load_dword v4, off, s[48:51], 0 offset:260 ; 4-byte Folded Reload
	ds_bpermute_b32 v6, v11, v5
	s_waitcnt vmcnt(0)
	v_and_b32_e32 v13, 63, v4
	buffer_load_dword v4, off, s[48:51], 0  ; 4-byte Folded Reload
	v_cmp_eq_u32_e32 vcc, 0, v13
	s_waitcnt vmcnt(0)
	v_lshlrev_b32_e32 v4, 2, v4
	s_and_saveexec_b64 s[2:3], vcc
	s_cbranch_execz .LBB324_350
; %bb.349:
	s_waitcnt lgkmcnt(0)
	v_max_f32_e32 v6, v6, v6
	v_max_f32_e32 v5, v5, v5
	;; [unrolled: 1-line block ×3, first 2 shown]
	ds_write_b32 v4, v5 offset:224
.LBB324_350:
	s_or_b64 exec, exec, s[2:3]
	v_cmp_gt_u32_e64 s[2:3], 2, v13
	s_waitcnt lgkmcnt(0)
	v_mov_b32_e32 v6, 0xff7fffff
	v_lshlrev_b32_e32 v5, 2, v13
	s_barrier
	s_and_saveexec_b64 s[4:5], s[2:3]
; %bb.351:
	ds_read_b32 v6, v5 offset:224
; %bb.352:
	s_or_b64 exec, exec, s[4:5]
	v_xor_b32_e32 v7, 1, v14
	v_cmp_lt_i32_e64 s[4:5], v7, v9
	v_cndmask_b32_e64 v7, v14, v7, s[4:5]
	v_lshlrev_b32_e32 v12, 2, v7
	s_waitcnt lgkmcnt(0)
	ds_bpermute_b32 v7, v12, v6
	v_max_f32_e32 v6, v6, v6
	s_lshl_b32 s4, s21, 5
	s_min_i32 s31, s4, s30
	s_waitcnt lgkmcnt(0)
	v_max_f32_e32 v7, v7, v7
	v_max_f32_e32 v6, v6, v7
	v_lshlrev_b32_e32 v7, 2, v8
	ds_bpermute_b32 v7, v7, v6
	buffer_load_dword v6, off, s[48:51], 0 offset:260 ; 4-byte Folded Reload
	s_waitcnt vmcnt(0)
	v_cmp_gt_i32_e64 s[4:5], s31, v6
	v_mov_b32_e32 v6, 0
	s_and_saveexec_b64 s[14:15], s[4:5]
	s_cbranch_execz .LBB324_356
; %bb.353:
	buffer_load_dword v9, off, s[48:51], 0 offset:260 ; 4-byte Folded Reload
	v_mov_b32_e32 v6, 0xf0
	s_mov_b64 s[16:17], 0
	s_waitcnt vmcnt(0)
	v_lshl_add_u32 v8, v9, 2, v6
	v_mov_b32_e32 v6, 0
.LBB324_354:                            ; =>This Inner Loop Header: Depth=1
	ds_read_b32 v10, v8
	v_add_u32_e32 v9, 0x80, v9
	v_cmp_le_i32_e64 s[6:7], s31, v9
	s_or_b64 s[16:17], s[6:7], s[16:17]
	s_waitcnt lgkmcnt(0)
	v_sub_f32_e32 v10, v10, v7
	v_mul_f32_e32 v10, 0x3fb8aa3b, v10
	v_exp_f32_e32 v10, v10
	ds_write_b32 v8, v10
	v_add_f32_e32 v6, v6, v10
	v_add_u32_e32 v8, 0x200, v8
	s_andn2_b64 exec, exec, s[16:17]
	s_cbranch_execnz .LBB324_354
; %bb.355:
	s_or_b64 exec, exec, s[16:17]
.LBB324_356:
	s_or_b64 exec, exec, s[14:15]
	ds_bpermute_b32 v0, v0, v6
	s_waitcnt lgkmcnt(0)
	v_add_f32_e32 v0, v6, v0
	ds_bpermute_b32 v1, v1, v0
	s_waitcnt lgkmcnt(0)
	v_add_f32_e32 v0, v0, v1
	;; [unrolled: 3-line block ×6, first 2 shown]
	s_and_saveexec_b64 s[6:7], vcc
; %bb.357:
	ds_write_b32 v4, v0 offset:232
; %bb.358:
	s_or_b64 exec, exec, s[6:7]
	s_waitcnt lgkmcnt(0)
	s_barrier
	s_and_saveexec_b64 s[6:7], s[2:3]
; %bb.359:
	ds_read_b32 v0, v5 offset:232
; %bb.360:
	s_or_b64 exec, exec, s[6:7]
	s_waitcnt lgkmcnt(0)
	ds_bpermute_b32 v1, v12, v0
	v_lshlrev_b32_e32 v2, 2, v14
	s_waitcnt lgkmcnt(0)
	v_add_f32_e32 v0, v0, v1
	v_and_b32_e32 v1, 0xffffff00, v2
	ds_bpermute_b32 v0, v1, v0
	s_and_saveexec_b64 s[2:3], s[4:5]
	s_cbranch_execz .LBB324_363
; %bb.361:
	s_waitcnt lgkmcnt(0)
	v_add_f32_e32 v1, 0x358637bd, v0
	v_div_scale_f32 v0, s[4:5], v1, v1, 1.0
	v_div_scale_f32 v2, vcc, 1.0, v1, 1.0
	s_mov_b64 s[4:5], 0
	v_rcp_f32_e32 v3, v0
	v_fma_f32 v4, -v0, v3, 1.0
	v_fmac_f32_e32 v3, v4, v3
	v_mul_f32_e32 v4, v2, v3
	v_fma_f32 v5, -v0, v4, v2
	v_fmac_f32_e32 v4, v5, v3
	v_fma_f32 v0, -v0, v4, v2
	v_div_fmas_f32 v2, v0, v3, v4
	buffer_load_dword v3, off, s[48:51], 0 offset:260 ; 4-byte Folded Reload
	v_mov_b32_e32 v0, 0xf0
	v_div_fixup_f32 v1, v2, v1, 1.0
	s_waitcnt vmcnt(0)
	v_lshl_add_u32 v0, v3, 2, v0
	v_mov_b32_e32 v2, v3
.LBB324_362:                            ; =>This Inner Loop Header: Depth=1
	ds_read_b32 v3, v0
	v_add_u32_e32 v2, 0x80, v2
	v_cmp_le_i32_e32 vcc, s31, v2
	s_or_b64 s[4:5], vcc, s[4:5]
	s_waitcnt lgkmcnt(0)
	v_mul_f32_e32 v3, v1, v3
	ds_write_b32 v0, v3
	v_add_u32_e32 v0, 0x200, v0
	s_andn2_b64 exec, exec, s[4:5]
	s_cbranch_execnz .LBB324_362
.LBB324_363:
	s_or_b64 exec, exec, s[2:3]
	s_waitcnt lgkmcnt(0)
	s_barrier
	buffer_load_dword v0, off, s[48:51], 0 offset:260 ; 4-byte Folded Reload
	v_mov_b32_e32 v30, 0
	v_mov_b32_e32 v31, 0
	;; [unrolled: 1-line block ×7, first 2 shown]
	s_waitcnt vmcnt(0)
	v_and_b32_e32 v14, 3, v0
	s_and_saveexec_b64 s[2:3], s[0:1]
	s_cbranch_execz .LBB324_717
; %bb.364:
	s_ashr_i32 s0, s12, 31
	s_add_u32 s1, s28, s12
	s_addc_u32 s0, s29, s0
	v_and_b32_e32 v1, 0x1f8, v15
	buffer_store_dword v12, off, s[48:51], 0 offset:96 ; 4-byte Folded Spill
	buffer_store_dword v11, off, s[48:51], 0 offset:92 ; 4-byte Folded Spill
	;; [unrolled: 1-line block ×3, first 2 shown]
	v_mov_b32_e32 v2, s0
	v_add_co_u32_e32 v58, vcc, s1, v1
	v_addc_co_u32_e32 v59, vcc, 0, v2, vcc
	buffer_load_dword v2, off, s[48:51], 0  ; 4-byte Folded Reload
	v_and_b32_e32 v0, 24, v15
	s_load_dword s18, s[18:19], 0x0
	s_add_i32 s19, s21, -1
	s_lshl_b64 s[0:1], s[26:27], 2
	s_add_u32 s0, s24, s0
	s_addc_u32 s1, s25, s1
	s_mov_b32 s4, -1
	s_mov_b32 s31, s13
	s_mov_b32 s5, 0xffffff
	v_mov_b32_e32 v10, 0
	buffer_store_dword v14, off, s[48:51], 0 offset:100 ; 4-byte Folded Spill
	s_mov_b64 s[6:7], 0
	s_movk_i32 s24, 0x80
	s_movk_i32 s25, 0x7f
	;; [unrolled: 1-line block ×3, first 2 shown]
	v_bfrev_b32_e32 v57, 60
	v_mov_b32_e32 v25, 0
	v_mov_b32_e32 v26, 0
	;; [unrolled: 1-line block ×7, first 2 shown]
	buffer_store_dword v58, off, s[48:51], 0 offset:80 ; 4-byte Folded Spill
	s_nop 0
	buffer_store_dword v59, off, s[48:51], 0 offset:84 ; 4-byte Folded Spill
	s_waitcnt vmcnt(3)
	v_lshlrev_b32_e32 v1, 5, v2
	v_or3_b32 v32, v1, v0, 7
	v_lshlrev_b32_e32 v0, 5, v14
	v_lshl_or_b32 v0, v2, 7, v0
	v_add_u32_e32 v33, 0xf0, v0
	v_and_b32_e32 v0, 60, v16
	v_mov_b32_e32 v1, s1
	v_add_co_u32_e32 v13, vcc, s0, v0
	v_addc_co_u32_e32 v14, vcc, 0, v1, vcc
	s_branch .LBB324_366
.LBB324_365:                            ;   in Loop: Header=BB324_366 Depth=1
	s_or_b64 exec, exec, s[0:1]
	v_bfe_u32 v22, v5, 16, 1
	v_add3_u32 v22, v22, v5, s26
	v_or_b32_e32 v48, 0x400000, v5
	v_cmp_u_f32_e32 vcc, v5, v5
	v_bfe_u32 v5, v6, 16, 1
	v_cndmask_b32_e32 v48, v22, v48, vcc
	v_add3_u32 v5, v5, v6, s26
	v_or_b32_e32 v22, 0x400000, v6
	v_cmp_u_f32_e32 vcc, v6, v6
	v_cndmask_b32_e32 v55, v5, v22, vcc
	v_bfe_u32 v5, v7, 16, 1
	v_add3_u32 v5, v5, v7, s26
	v_or_b32_e32 v6, 0x400000, v7
	v_cmp_u_f32_e32 vcc, v7, v7
	v_cndmask_b32_e32 v5, v5, v6, vcc
	v_bfe_u32 v6, v8, 16, 1
	;; [unrolled: 5-line block ×3, first 2 shown]
	v_add3_u32 v7, v7, v1, s26
	v_or_b32_e32 v8, 0x400000, v1
	v_cmp_u_f32_e32 vcc, v1, v1
	v_bfe_u32 v1, v2, 16, 1
	v_cndmask_b32_e32 v7, v7, v8, vcc
	v_add3_u32 v1, v1, v2, s26
	v_or_b32_e32 v8, 0x400000, v2
	v_cmp_u_f32_e32 vcc, v2, v2
	v_cndmask_b32_e32 v22, v1, v8, vcc
	v_bfe_u32 v1, v3, 16, 1
	v_add3_u32 v1, v1, v3, s26
	v_or_b32_e32 v2, 0x400000, v3
	v_cmp_u_f32_e32 vcc, v3, v3
	v_cndmask_b32_e32 v8, v1, v2, vcc
	v_bfe_u32 v1, v4, 16, 1
	v_add3_u32 v1, v1, v4, s26
	v_or_b32_e32 v2, 0x400000, v4
	v_cmp_u_f32_e32 vcc, v4, v4
	v_cndmask_b32_e32 v56, v1, v2, vcc
	v_and_b32_e32 v1, 0xffff0000, v55
	v_lshlrev_b32_e32 v2, 16, v43
	v_mul_f32_e32 v2, v1, v2
	v_bfe_u32 v3, v2, 16, 1
	v_add3_u32 v3, v3, v2, s26
	v_or_b32_e32 v4, 0x400000, v2
	v_cmp_u_f32_e32 vcc, v2, v2
	v_cndmask_b32_e32 v43, v3, v4, vcc
	v_and_b32_e32 v4, 0xffff0000, v48
	v_lshlrev_b32_e32 v2, 16, v34
	v_mul_f32_e32 v2, v4, v2
	;; [unrolled: 8-line block ×5, first 2 shown]
	v_bfe_u32 v19, v5, 16, 1
	v_add3_u32 v19, v19, v5, s26
	v_or_b32_e32 v22, 0x400000, v5
	v_cmp_u_f32_e32 vcc, v5, v5
	v_and_b32_e32 v7, 0xffff0000, v7
	v_lshlrev_b32_e32 v5, 16, v18
	v_mul_f32_e32 v5, v7, v5
	v_bfe_u32 v18, v5, 16, 1
	v_cndmask_b32_e32 v19, v19, v22, vcc
	v_add3_u32 v18, v18, v5, s26
	v_or_b32_e32 v22, 0x400000, v5
	v_cmp_u_f32_e32 vcc, v5, v5
	v_cndmask_b32_e32 v18, v18, v22, vcc
	v_and_b32_e32 v5, 0xffff0000, v56
	v_lshlrev_b32_e32 v22, 16, v41
	v_mul_f32_e32 v22, v5, v22
	v_bfe_u32 v41, v22, 16, 1
	v_and_b32_e32 v8, 0xffff0000, v8
	v_lshlrev_b32_e32 v39, 16, v39
	v_add3_u32 v41, v41, v22, s26
	v_or_b32_e32 v48, 0x400000, v22
	v_cmp_u_f32_e32 vcc, v22, v22
	v_mul_f32_e32 v39, v8, v39
	v_cndmask_b32_e32 v22, v41, v48, vcc
	v_bfe_u32 v41, v39, 16, 1
	v_add3_u32 v41, v41, v39, s26
	v_or_b32_e32 v48, 0x400000, v39
	v_cmp_u_f32_e32 vcc, v39, v39
	v_cndmask_b32_e32 v39, v41, v48, vcc
	v_and_b32_e32 v34, 0xffff0000, v34
	v_and_b32_e32 v41, 0xffff0000, v43
	v_add_f32_e32 v34, v34, v41
	v_and_b32_e32 v40, 0xffff0000, v40
	v_and_b32_e32 v41, 0xffff0000, v42
	v_add_f32_e32 v40, v40, v41
	;; [unrolled: 3-line block ×3, first 2 shown]
	v_add_f32_e32 v18, v18, v19
	v_and_b32_e32 v19, 0xffff0000, v39
	v_and_b32_e32 v22, 0xffff0000, v22
	v_add_f32_e32 v18, v18, v34
	v_add_f32_e32 v19, v19, v22
	;; [unrolled: 1-line block ×4, first 2 shown]
	v_lshlrev_b32_e32 v18, 16, v38
	v_mul_f32_e32 v18, v1, v18
	v_bfe_u32 v19, v18, 16, 1
	v_add3_u32 v19, v19, v18, s26
	v_or_b32_e32 v22, 0x400000, v18
	v_cmp_u_f32_e32 vcc, v18, v18
	v_cndmask_b32_e32 v18, v19, v22, vcc
	v_lshlrev_b32_e32 v19, 16, v37
	v_mul_f32_e32 v19, v4, v19
	v_bfe_u32 v22, v19, 16, 1
	v_add3_u32 v22, v22, v19, s26
	v_or_b32_e32 v34, 0x400000, v19
	v_cmp_u_f32_e32 vcc, v19, v19
	v_cndmask_b32_e32 v19, v22, v34, vcc
	;; [unrolled: 7-line block ×5, first 2 shown]
	v_lshlrev_b32_e32 v37, 16, v51
	v_mul_f32_e32 v37, v7, v37
	v_bfe_u32 v38, v37, 16, 1
	v_lshlrev_b32_e32 v36, 16, v36
	v_add3_u32 v38, v38, v37, s26
	v_or_b32_e32 v39, 0x400000, v37
	v_cmp_u_f32_e32 vcc, v37, v37
	v_mul_f32_e32 v36, v5, v36
	v_cndmask_b32_e32 v37, v38, v39, vcc
	v_bfe_u32 v38, v36, 16, 1
	v_add3_u32 v38, v38, v36, s26
	v_or_b32_e32 v39, 0x400000, v36
	v_cmp_u_f32_e32 vcc, v36, v36
	v_cndmask_b32_e32 v36, v38, v39, vcc
	v_lshlrev_b32_e32 v38, 16, v53
	v_and_b32_e32 v19, 0xffff0000, v19
	v_and_b32_e32 v18, 0xffff0000, v18
	v_mul_f32_e32 v38, v8, v38
	v_add_f32_e32 v18, v19, v18
	v_and_b32_e32 v19, 0xffff0000, v34
	v_and_b32_e32 v22, 0xffff0000, v22
	v_bfe_u32 v39, v38, 16, 1
	v_add_f32_e32 v19, v19, v22
	v_add3_u32 v39, v39, v38, s26
	v_or_b32_e32 v40, 0x400000, v38
	v_cmp_u_f32_e32 vcc, v38, v38
	v_add_f32_e32 v18, v19, v18
	v_and_b32_e32 v19, 0xffff0000, v37
	v_and_b32_e32 v22, 0xffff0000, v35
	v_cndmask_b32_e32 v38, v39, v40, vcc
	v_add_f32_e32 v19, v19, v22
	v_add_f32_e32 v18, v19, v18
	v_and_b32_e32 v19, 0xffff0000, v38
	v_and_b32_e32 v22, 0xffff0000, v36
	v_add_f32_e32 v19, v19, v22
	v_add_f32_e32 v18, v19, v18
	v_add_f32_e32 v27, v27, v18
	v_lshlrev_b32_e32 v18, 16, v50
	v_mul_f32_e32 v18, v1, v18
	v_bfe_u32 v19, v18, 16, 1
	v_add3_u32 v19, v19, v18, s26
	v_or_b32_e32 v22, 0x400000, v18
	v_cmp_u_f32_e32 vcc, v18, v18
	v_cndmask_b32_e32 v18, v19, v22, vcc
	v_lshlrev_b32_e32 v19, 16, v49
	v_mul_f32_e32 v19, v4, v19
	v_bfe_u32 v22, v19, 16, 1
	v_lshlrev_b32_e32 v12, 16, v12
	v_add3_u32 v22, v22, v19, s26
	v_or_b32_e32 v34, 0x400000, v19
	v_cmp_u_f32_e32 vcc, v19, v19
	v_mul_f32_e32 v12, v2, v12
	v_cndmask_b32_e32 v19, v22, v34, vcc
	v_bfe_u32 v22, v12, 16, 1
	v_lshlrev_b32_e32 v11, 16, v11
	v_add3_u32 v22, v22, v12, s26
	v_or_b32_e32 v34, 0x400000, v12
	v_cmp_u_f32_e32 vcc, v12, v12
	v_mul_f32_e32 v11, v6, v11
	v_cndmask_b32_e32 v12, v22, v34, vcc
	;; [unrolled: 7-line block ×5, first 2 shown]
	v_bfe_u32 v22, v20, 16, 1
	v_add3_u32 v22, v22, v20, s26
	v_or_b32_e32 v34, 0x400000, v20
	v_cmp_u_f32_e32 vcc, v20, v20
	v_cndmask_b32_e32 v20, v22, v34, vcc
	v_lshlrev_b32_e32 v22, 16, v23
	v_mul_f32_e32 v22, v8, v22
	v_bfe_u32 v23, v22, 16, 1
	v_and_b32_e32 v19, 0xffff0000, v19
	v_and_b32_e32 v18, 0xffff0000, v18
	;; [unrolled: 1-line block ×4, first 2 shown]
	v_add3_u32 v23, v23, v22, s26
	v_or_b32_e32 v34, 0x400000, v22
	v_cmp_u_f32_e32 vcc, v22, v22
	v_add_f32_e32 v18, v19, v18
	v_add_f32_e32 v11, v11, v12
	v_and_b32_e32 v12, 0xffff0000, v21
	v_and_b32_e32 v0, 0xffff0000, v0
	v_cndmask_b32_e32 v22, v23, v34, vcc
	v_add_f32_e32 v11, v11, v18
	v_add_f32_e32 v0, v12, v0
	;; [unrolled: 1-line block ×3, first 2 shown]
	v_and_b32_e32 v11, 0xffff0000, v22
	v_and_b32_e32 v12, 0xffff0000, v20
	v_add_f32_e32 v11, v11, v12
	v_add_f32_e32 v0, v11, v0
	;; [unrolled: 1-line block ×3, first 2 shown]
	v_lshlrev_b32_e32 v0, 16, v24
	v_mul_f32_e32 v0, v1, v0
	v_bfe_u32 v11, v0, 16, 1
	v_add3_u32 v11, v11, v0, s26
	v_or_b32_e32 v12, 0x400000, v0
	v_cmp_u_f32_e32 vcc, v0, v0
	v_cndmask_b32_e32 v0, v11, v12, vcc
	v_lshlrev_b32_e32 v11, 16, v63
	v_mul_f32_e32 v11, v4, v11
	v_bfe_u32 v12, v11, 16, 1
	v_add3_u32 v12, v12, v11, s26
	v_or_b32_e32 v18, 0x400000, v11
	v_cmp_u_f32_e32 vcc, v11, v11
	v_cndmask_b32_e32 v11, v12, v18, vcc
	;; [unrolled: 7-line block ×4, first 2 shown]
	buffer_load_dword v19, off, s[48:51], 0 offset:72 ; 4-byte Folded Reload
	v_and_b32_e32 v11, 0xffff0000, v11
	v_and_b32_e32 v0, 0xffff0000, v0
	v_add_f32_e32 v0, v11, v0
	v_and_b32_e32 v11, 0xffff0000, v18
	v_and_b32_e32 v12, 0xffff0000, v12
	v_add_f32_e32 v11, v11, v12
	v_add_f32_e32 v0, v11, v0
	v_add_u32_e32 v32, 64, v32
	v_add_u32_e32 v33, 0x100, v33
	s_waitcnt vmcnt(0)
	v_lshlrev_b32_e32 v19, 16, v19
	v_mul_f32_e32 v19, v3, v19
	v_bfe_u32 v20, v19, 16, 1
	v_add3_u32 v20, v20, v19, s26
	v_or_b32_e32 v21, 0x400000, v19
	v_cmp_u_f32_e32 vcc, v19, v19
	v_cndmask_b32_e32 v19, v20, v21, vcc
	buffer_load_dword v20, off, s[48:51], 0 offset:68 ; 4-byte Folded Reload
	v_and_b32_e32 v12, 0xffff0000, v19
	s_waitcnt vmcnt(0)
	v_lshlrev_b32_e32 v20, 16, v20
	v_mul_f32_e32 v20, v7, v20
	v_bfe_u32 v21, v20, 16, 1
	v_add3_u32 v21, v21, v20, s26
	v_or_b32_e32 v22, 0x400000, v20
	v_cmp_u_f32_e32 vcc, v20, v20
	v_cndmask_b32_e32 v20, v21, v22, vcc
	v_lshlrev_b32_e32 v21, 16, v62
	v_mul_f32_e32 v21, v5, v21
	v_bfe_u32 v22, v21, 16, 1
	v_add3_u32 v22, v22, v21, s26
	v_or_b32_e32 v23, 0x400000, v21
	v_cmp_u_f32_e32 vcc, v21, v21
	v_cndmask_b32_e32 v21, v22, v23, vcc
	buffer_load_dword v22, off, s[48:51], 0 offset:76 ; 4-byte Folded Reload
	v_and_b32_e32 v11, 0xffff0000, v20
	v_add_f32_e32 v11, v11, v12
	v_add_f32_e32 v0, v11, v0
	v_and_b32_e32 v12, 0xffff0000, v21
	s_waitcnt vmcnt(0)
	v_lshlrev_b32_e32 v22, 16, v22
	v_mul_f32_e32 v22, v8, v22
	v_bfe_u32 v23, v22, 16, 1
	v_add3_u32 v23, v23, v22, s26
	v_or_b32_e32 v24, 0x400000, v22
	v_cmp_u_f32_e32 vcc, v22, v22
	v_cndmask_b32_e32 v22, v23, v24, vcc
	v_and_b32_e32 v11, 0xffff0000, v22
	v_add_f32_e32 v11, v11, v12
	v_add_f32_e32 v0, v11, v0
	;; [unrolled: 1-line block ×3, first 2 shown]
	buffer_load_dword v0, off, s[48:51], 0 offset:60 ; 4-byte Folded Reload
	s_waitcnt vmcnt(0)
	v_lshlrev_b32_e32 v0, 16, v0
	v_mul_f32_e32 v0, v1, v0
	v_bfe_u32 v11, v0, 16, 1
	v_add3_u32 v11, v11, v0, s26
	v_or_b32_e32 v12, 0x400000, v0
	v_cmp_u_f32_e32 vcc, v0, v0
	v_cndmask_b32_e32 v0, v11, v12, vcc
	buffer_load_dword v11, off, s[48:51], 0 offset:64 ; 4-byte Folded Reload
	v_and_b32_e32 v0, 0xffff0000, v0
	s_waitcnt vmcnt(0)
	v_lshlrev_b32_e32 v11, 16, v11
	v_mul_f32_e32 v11, v4, v11
	v_bfe_u32 v12, v11, 16, 1
	v_add3_u32 v12, v12, v11, s26
	v_or_b32_e32 v18, 0x400000, v11
	v_cmp_u_f32_e32 vcc, v11, v11
	v_cndmask_b32_e32 v11, v12, v18, vcc
	buffer_load_dword v12, off, s[48:51], 0 offset:48 ; 4-byte Folded Reload
	v_and_b32_e32 v11, 0xffff0000, v11
	v_add_f32_e32 v0, v11, v0
	s_waitcnt vmcnt(0)
	v_lshlrev_b32_e32 v12, 16, v12
	v_mul_f32_e32 v12, v2, v12
	v_bfe_u32 v18, v12, 16, 1
	v_add3_u32 v18, v18, v12, s26
	v_or_b32_e32 v19, 0x400000, v12
	v_cmp_u_f32_e32 vcc, v12, v12
	v_cndmask_b32_e32 v12, v18, v19, vcc
	buffer_load_dword v18, off, s[48:51], 0 offset:52 ; 4-byte Folded Reload
	v_and_b32_e32 v12, 0xffff0000, v12
	s_waitcnt vmcnt(0)
	v_lshlrev_b32_e32 v18, 16, v18
	v_mul_f32_e32 v18, v6, v18
	v_bfe_u32 v19, v18, 16, 1
	v_add3_u32 v19, v19, v18, s26
	v_or_b32_e32 v20, 0x400000, v18
	v_cmp_u_f32_e32 vcc, v18, v18
	v_cndmask_b32_e32 v18, v19, v20, vcc
	buffer_load_dword v19, off, s[48:51], 0 offset:36 ; 4-byte Folded Reload
	v_and_b32_e32 v11, 0xffff0000, v18
	v_add_f32_e32 v11, v11, v12
	v_add_f32_e32 v0, v11, v0
	s_waitcnt vmcnt(0)
	v_lshlrev_b32_e32 v19, 16, v19
	v_mul_f32_e32 v19, v3, v19
	v_bfe_u32 v20, v19, 16, 1
	v_add3_u32 v20, v20, v19, s26
	v_or_b32_e32 v21, 0x400000, v19
	v_cmp_u_f32_e32 vcc, v19, v19
	v_cndmask_b32_e32 v19, v20, v21, vcc
	buffer_load_dword v20, off, s[48:51], 0 offset:40 ; 4-byte Folded Reload
	v_and_b32_e32 v12, 0xffff0000, v19
	s_waitcnt vmcnt(0)
	v_lshlrev_b32_e32 v20, 16, v20
	v_mul_f32_e32 v20, v7, v20
	v_bfe_u32 v21, v20, 16, 1
	v_add3_u32 v21, v21, v20, s26
	v_or_b32_e32 v22, 0x400000, v20
	v_cmp_u_f32_e32 vcc, v20, v20
	v_cndmask_b32_e32 v20, v21, v22, vcc
	buffer_load_dword v21, off, s[48:51], 0 offset:56 ; 4-byte Folded Reload
	v_and_b32_e32 v11, 0xffff0000, v20
	v_add_f32_e32 v11, v11, v12
	v_add_f32_e32 v0, v11, v0
	s_waitcnt vmcnt(0)
	v_lshlrev_b32_e32 v21, 16, v21
	v_mul_f32_e32 v21, v5, v21
	v_bfe_u32 v22, v21, 16, 1
	v_add3_u32 v22, v22, v21, s26
	v_or_b32_e32 v23, 0x400000, v21
	v_cmp_u_f32_e32 vcc, v21, v21
	v_cndmask_b32_e32 v21, v22, v23, vcc
	buffer_load_dword v22, off, s[48:51], 0 offset:44 ; 4-byte Folded Reload
	v_and_b32_e32 v12, 0xffff0000, v21
	s_waitcnt vmcnt(0)
	v_lshlrev_b32_e32 v22, 16, v22
	v_mul_f32_e32 v22, v8, v22
	v_bfe_u32 v23, v22, 16, 1
	v_add3_u32 v23, v23, v22, s26
	v_or_b32_e32 v24, 0x400000, v22
	v_cmp_u_f32_e32 vcc, v22, v22
	v_cndmask_b32_e32 v22, v23, v24, vcc
	v_and_b32_e32 v11, 0xffff0000, v22
	v_add_f32_e32 v11, v11, v12
	v_add_f32_e32 v0, v11, v0
	v_add_f32_e32 v31, v31, v0
	buffer_load_dword v0, off, s[48:51], 0 offset:28 ; 4-byte Folded Reload
	s_waitcnt vmcnt(0)
	v_lshlrev_b32_e32 v0, 16, v0
	v_mul_f32_e32 v0, v1, v0
	v_bfe_u32 v11, v0, 16, 1
	v_add3_u32 v11, v11, v0, s26
	v_or_b32_e32 v12, 0x400000, v0
	v_cmp_u_f32_e32 vcc, v0, v0
	v_cndmask_b32_e32 v0, v11, v12, vcc
	buffer_load_dword v11, off, s[48:51], 0 offset:32 ; 4-byte Folded Reload
	v_and_b32_e32 v0, 0xffff0000, v0
	s_waitcnt vmcnt(0)
	v_lshlrev_b32_e32 v11, 16, v11
	v_mul_f32_e32 v11, v4, v11
	v_bfe_u32 v12, v11, 16, 1
	v_add3_u32 v12, v12, v11, s26
	v_or_b32_e32 v18, 0x400000, v11
	v_cmp_u_f32_e32 vcc, v11, v11
	v_cndmask_b32_e32 v11, v12, v18, vcc
	buffer_load_dword v12, off, s[48:51], 0 offset:16 ; 4-byte Folded Reload
	v_and_b32_e32 v11, 0xffff0000, v11
	v_add_f32_e32 v0, v11, v0
	s_waitcnt vmcnt(0)
	v_lshlrev_b32_e32 v12, 16, v12
	v_mul_f32_e32 v12, v2, v12
	v_bfe_u32 v18, v12, 16, 1
	v_add3_u32 v18, v18, v12, s26
	v_or_b32_e32 v19, 0x400000, v12
	v_cmp_u_f32_e32 vcc, v12, v12
	v_cndmask_b32_e32 v12, v18, v19, vcc
	buffer_load_dword v18, off, s[48:51], 0 offset:20 ; 4-byte Folded Reload
	v_and_b32_e32 v12, 0xffff0000, v12
	s_waitcnt vmcnt(0)
	v_lshlrev_b32_e32 v18, 16, v18
	v_mul_f32_e32 v18, v6, v18
	v_bfe_u32 v19, v18, 16, 1
	v_add3_u32 v19, v19, v18, s26
	v_or_b32_e32 v20, 0x400000, v18
	v_cmp_u_f32_e32 vcc, v18, v18
	v_cndmask_b32_e32 v18, v19, v20, vcc
	buffer_load_dword v19, off, s[48:51], 0 offset:4 ; 4-byte Folded Reload
	v_and_b32_e32 v11, 0xffff0000, v18
	v_add_f32_e32 v11, v11, v12
	v_add_f32_e32 v0, v11, v0
	s_waitcnt vmcnt(0)
	v_lshlrev_b32_e32 v19, 16, v19
	v_mul_f32_e32 v19, v3, v19
	v_bfe_u32 v20, v19, 16, 1
	v_add3_u32 v20, v20, v19, s26
	v_or_b32_e32 v21, 0x400000, v19
	v_cmp_u_f32_e32 vcc, v19, v19
	v_cndmask_b32_e32 v19, v20, v21, vcc
	buffer_load_dword v20, off, s[48:51], 0 offset:8 ; 4-byte Folded Reload
	v_and_b32_e32 v12, 0xffff0000, v19
	s_waitcnt vmcnt(0)
	v_lshlrev_b32_e32 v20, 16, v20
	v_mul_f32_e32 v20, v7, v20
	v_bfe_u32 v21, v20, 16, 1
	v_add3_u32 v21, v21, v20, s26
	v_or_b32_e32 v22, 0x400000, v20
	v_cmp_u_f32_e32 vcc, v20, v20
	v_cndmask_b32_e32 v20, v21, v22, vcc
	buffer_load_dword v21, off, s[48:51], 0 offset:24 ; 4-byte Folded Reload
	v_and_b32_e32 v11, 0xffff0000, v20
	v_add_f32_e32 v11, v11, v12
	v_add_f32_e32 v0, v11, v0
	s_waitcnt vmcnt(0)
	v_lshlrev_b32_e32 v21, 16, v21
	v_mul_f32_e32 v21, v5, v21
	v_bfe_u32 v22, v21, 16, 1
	v_add3_u32 v22, v22, v21, s26
	v_or_b32_e32 v23, 0x400000, v21
	v_cmp_u_f32_e32 vcc, v21, v21
	v_cndmask_b32_e32 v21, v22, v23, vcc
	buffer_load_dword v22, off, s[48:51], 0 offset:12 ; 4-byte Folded Reload
	v_and_b32_e32 v12, 0xffff0000, v21
	s_waitcnt vmcnt(0)
	v_lshlrev_b32_e32 v22, 16, v22
	v_mul_f32_e32 v22, v8, v22
	v_bfe_u32 v23, v22, 16, 1
	v_add3_u32 v23, v23, v22, s26
	v_or_b32_e32 v24, 0x400000, v22
	v_cmp_u_f32_e32 vcc, v22, v22
	v_cndmask_b32_e32 v22, v23, v24, vcc
	v_and_b32_e32 v11, 0xffff0000, v22
	v_add_f32_e32 v11, v11, v12
	v_add_f32_e32 v0, v11, v0
	;; [unrolled: 1-line block ×3, first 2 shown]
	v_lshlrev_b32_e32 v0, 16, v47
	v_mul_f32_e32 v0, v4, v0
	v_bfe_u32 v4, v0, 16, 1
	v_add3_u32 v4, v4, v0, s26
	v_or_b32_e32 v11, 0x400000, v0
	v_cmp_u_f32_e32 vcc, v0, v0
	v_cndmask_b32_e32 v0, v4, v11, vcc
	v_lshlrev_b32_e32 v4, 16, v46
	v_mul_f32_e32 v1, v1, v4
	v_bfe_u32 v4, v1, 16, 1
	v_add3_u32 v4, v4, v1, s26
	v_or_b32_e32 v11, 0x400000, v1
	v_cmp_u_f32_e32 vcc, v1, v1
	v_cndmask_b32_e32 v1, v4, v11, vcc
	;; [unrolled: 7-line block ×7, first 2 shown]
	v_lshlrev_b32_e32 v8, 16, v44
	v_and_b32_e32 v1, 0xffff0000, v1
	v_and_b32_e32 v0, 0xffff0000, v0
	v_mul_f32_e32 v5, v5, v8
	v_add_f32_e32 v0, v0, v1
	v_and_b32_e32 v1, 0xffff0000, v2
	v_and_b32_e32 v2, 0xffff0000, v4
	v_bfe_u32 v8, v5, 16, 1
	v_add_f32_e32 v1, v2, v1
	v_add3_u32 v8, v8, v5, s26
	v_or_b32_e32 v9, 0x400000, v5
	v_cmp_u_f32_e32 vcc, v5, v5
	v_add_f32_e32 v0, v1, v0
	v_and_b32_e32 v1, 0xffff0000, v3
	v_and_b32_e32 v2, 0xffff0000, v6
	v_cndmask_b32_e32 v5, v8, v9, vcc
	v_add_f32_e32 v1, v2, v1
	v_add_f32_e32 v0, v1, v0
	v_and_b32_e32 v1, 0xffff0000, v5
	v_and_b32_e32 v2, 0xffff0000, v7
	v_add_f32_e32 v1, v2, v1
	v_add_f32_e32 v0, v1, v0
	;; [unrolled: 1-line block ×3, first 2 shown]
	buffer_load_dword v0, off, s[48:51], 0  ; 4-byte Folded Reload
	v_add_co_u32_e32 v13, vcc, 8, v13
	v_addc_co_u32_e32 v14, vcc, 0, v14, vcc
	s_waitcnt vmcnt(0)
	v_add_u32_e32 v0, 2, v0
	v_cmp_le_i32_e32 vcc, s21, v0
	s_or_b64 s[6:7], vcc, s[6:7]
	buffer_store_dword v0, off, s[48:51], 0 ; 4-byte Folded Spill
	s_andn2_b64 exec, exec, s[6:7]
	s_cbranch_execz .LBB324_716
.LBB324_366:                            ; =>This Inner Loop Header: Depth=1
	global_load_dword v0, v[13:14], off
	s_waitcnt vmcnt(0)
	v_mad_i64_i32 v[15:16], s[0:1], v0, s31, v[58:59]
	v_mov_b32_e32 v0, 0
	global_load_dwordx2 v[17:18], v[15:16], off
	ds_read2_b64 v[5:8], v33 offset1:1
	ds_read2_b64 v[1:4], v33 offset0:2 offset1:3
	s_waitcnt vmcnt(0)
	v_cmp_ne_u16_sdwa s[12:13], v17, v10 src0_sel:BYTE_0 src1_sel:DWORD
	s_and_saveexec_b64 s[0:1], s[12:13]
	s_cbranch_execz .LBB324_372
; %bb.367:                              ;   in Loop: Header=BB324_366 Depth=1
	v_cmp_ne_u16_sdwa s[14:15], v17, s24 src0_sel:BYTE_0 src1_sel:DWORD
	v_bfrev_b32_e32 v0, 1
	s_and_saveexec_b64 s[12:13], s[14:15]
	s_cbranch_execz .LBB324_371
; %bb.368:                              ;   in Loop: Header=BB324_366 Depth=1
	v_and_b32_e32 v9, 0x7f, v17
	v_cmp_ne_u32_e32 vcc, s25, v9
	v_mov_b32_e32 v0, 0x7f800001
	s_and_saveexec_b64 s[14:15], vcc
	s_cbranch_execz .LBB324_370
; %bb.369:                              ;   in Loop: Header=BB324_366 Depth=1
	v_and_b32_e32 v0, 7, v17
	v_ffbh_u32_e32 v0, v0
	v_min_u32_e32 v0, 32, v0
	v_subrev_u32_e32 v12, 28, v0
	v_cmp_gt_u32_e32 vcc, 8, v9
	v_lshrrev_b32_e32 v11, 3, v9
	v_sub_u32_e32 v0, 29, v0
	v_cndmask_b32_e32 v9, 0, v12, vcc
	v_cndmask_b32_e32 v0, v11, v0, vcc
	v_lshlrev_b64 v[11:12], v9, v[17:18]
	v_lshl_add_u32 v0, v0, 23, v57
	v_lshlrev_b32_e32 v9, 20, v11
	v_lshlrev_b32_e32 v11, 24, v17
	v_and_b32_e32 v9, 0x700000, v9
	v_and_b32_e32 v11, 0x80000000, v11
	v_or3_b32 v0, v11, v0, v9
.LBB324_370:                            ;   in Loop: Header=BB324_366 Depth=1
	s_or_b64 exec, exec, s[14:15]
.LBB324_371:                            ;   in Loop: Header=BB324_366 Depth=1
	s_or_b64 exec, exec, s[12:13]
.LBB324_372:                            ;   in Loop: Header=BB324_366 Depth=1
	s_or_b64 exec, exec, s[0:1]
	v_lshrrev_b16_e32 v9, 8, v17
	v_cmp_ne_u16_e32 vcc, 0, v9
	v_mov_b32_e32 v12, 0
	v_mov_b32_e32 v11, 0
	s_and_saveexec_b64 s[0:1], vcc
	s_cbranch_execz .LBB324_378
; %bb.373:                              ;   in Loop: Header=BB324_366 Depth=1
	v_cmp_ne_u16_e32 vcc, s24, v9
	v_bfrev_b32_e32 v11, 1
	s_and_saveexec_b64 s[12:13], vcc
	s_cbranch_execz .LBB324_377
; %bb.374:                              ;   in Loop: Header=BB324_366 Depth=1
	v_and_b32_e32 v19, 0x7f, v9
	v_cmp_ne_u32_e32 vcc, s25, v19
	v_mov_b32_e32 v11, 0x7f800001
	s_and_saveexec_b64 s[14:15], vcc
	s_cbranch_execz .LBB324_376
; %bb.375:                              ;   in Loop: Header=BB324_366 Depth=1
	v_and_b32_e32 v11, 7, v9
	v_ffbh_u32_e32 v20, v11
	v_min_u32_e32 v23, 32, v20
	v_subrev_u32_e32 v20, 28, v23
	v_lshlrev_b64 v[20:21], v20, v[9:10]
	v_lshrrev_b32_e32 v22, 3, v19
	v_sub_u32_e32 v9, 29, v23
	v_and_b32_e32 v20, 7, v20
	v_cmp_gt_u32_e32 vcc, 8, v19
	v_cndmask_b32_e32 v9, v22, v9, vcc
	v_cndmask_b32_e32 v11, v11, v20, vcc
	v_lshlrev_b32_e32 v19, 16, v17
	v_lshlrev_b32_e32 v11, 20, v11
	v_and_b32_e32 v19, 0x80000000, v19
	v_lshl_add_u32 v9, v9, 23, v57
	v_or3_b32 v11, v19, v9, v11
.LBB324_376:                            ;   in Loop: Header=BB324_366 Depth=1
	s_or_b64 exec, exec, s[14:15]
.LBB324_377:                            ;   in Loop: Header=BB324_366 Depth=1
	s_or_b64 exec, exec, s[12:13]
.LBB324_378:                            ;   in Loop: Header=BB324_366 Depth=1
	s_or_b64 exec, exec, s[0:1]
	v_lshrrev_b32_e32 v9, 16, v17
	v_cmp_ne_u16_sdwa s[12:13], v9, v10 src0_sel:BYTE_0 src1_sel:DWORD
	s_and_saveexec_b64 s[0:1], s[12:13]
	s_cbranch_execz .LBB324_384
; %bb.379:                              ;   in Loop: Header=BB324_366 Depth=1
	v_cmp_ne_u16_sdwa s[14:15], v9, s24 src0_sel:BYTE_0 src1_sel:DWORD
	v_bfrev_b32_e32 v12, 1
	s_and_saveexec_b64 s[12:13], s[14:15]
	s_cbranch_execz .LBB324_383
; %bb.380:                              ;   in Loop: Header=BB324_366 Depth=1
	v_bfe_u32 v19, v17, 16, 7
	v_cmp_ne_u32_e32 vcc, s25, v19
	v_mov_b32_e32 v12, 0x7f800001
	s_and_saveexec_b64 s[14:15], vcc
	s_cbranch_execz .LBB324_382
; %bb.381:                              ;   in Loop: Header=BB324_366 Depth=1
	v_and_b32_e32 v12, 7, v9
	v_ffbh_u32_e32 v20, v12
	v_min_u32_e32 v23, 32, v20
	v_subrev_u32_e32 v20, 28, v23
	v_lshlrev_b64 v[20:21], v20, v[9:10]
	v_lshrrev_b32_e32 v22, 3, v19
	v_sub_u32_e32 v21, 29, v23
	v_and_b32_e32 v20, 7, v20
	v_cmp_gt_u32_e32 vcc, 8, v19
	v_cndmask_b32_e32 v19, v22, v21, vcc
	v_cndmask_b32_e32 v12, v12, v20, vcc
	v_lshlrev_b32_e32 v9, 24, v9
	v_lshlrev_b32_e32 v12, 20, v12
	v_and_b32_e32 v9, 0x80000000, v9
	v_lshl_add_u32 v19, v19, 23, v57
	v_or3_b32 v12, v9, v19, v12
.LBB324_382:                            ;   in Loop: Header=BB324_366 Depth=1
	s_or_b64 exec, exec, s[14:15]
.LBB324_383:                            ;   in Loop: Header=BB324_366 Depth=1
	s_or_b64 exec, exec, s[12:13]
.LBB324_384:                            ;   in Loop: Header=BB324_366 Depth=1
	s_or_b64 exec, exec, s[0:1]
	v_cmp_lt_u32_e32 vcc, s5, v17
	v_mov_b32_e32 v21, 0
	v_mov_b32_e32 v20, 0
	s_and_saveexec_b64 s[0:1], vcc
	s_cbranch_execz .LBB324_390
; %bb.385:                              ;   in Loop: Header=BB324_366 Depth=1
	v_lshrrev_b32_e32 v9, 24, v17
	v_cmp_ne_u32_e32 vcc, s24, v9
	v_bfrev_b32_e32 v20, 1
	s_and_saveexec_b64 s[12:13], vcc
	s_cbranch_execz .LBB324_389
; %bb.386:                              ;   in Loop: Header=BB324_366 Depth=1
	v_bfe_u32 v19, v17, 24, 7
	v_cmp_ne_u32_e32 vcc, s25, v19
	v_mov_b32_e32 v20, 0x7f800001
	s_and_saveexec_b64 s[14:15], vcc
	s_cbranch_execz .LBB324_388
; %bb.387:                              ;   in Loop: Header=BB324_366 Depth=1
	v_and_b32_e32 v20, 7, v9
	v_ffbh_u32_e32 v22, v20
	v_min_u32_e32 v34, 32, v22
	v_subrev_u32_e32 v22, 28, v34
	v_lshlrev_b64 v[22:23], v22, v[9:10]
	v_lshrrev_b32_e32 v24, 3, v19
	v_sub_u32_e32 v23, 29, v34
	v_and_b32_e32 v22, 7, v22
	v_cmp_gt_u32_e32 vcc, 8, v19
	v_cndmask_b32_e32 v19, v24, v23, vcc
	v_cndmask_b32_e32 v20, v20, v22, vcc
	v_lshlrev_b32_e32 v9, 24, v9
	v_lshlrev_b32_e32 v20, 20, v20
	v_and_b32_e32 v9, 0x80000000, v9
	v_lshl_add_u32 v19, v19, 23, v57
	v_or3_b32 v20, v9, v19, v20
.LBB324_388:                            ;   in Loop: Header=BB324_366 Depth=1
	s_or_b64 exec, exec, s[14:15]
.LBB324_389:                            ;   in Loop: Header=BB324_366 Depth=1
	s_or_b64 exec, exec, s[12:13]
.LBB324_390:                            ;   in Loop: Header=BB324_366 Depth=1
	s_or_b64 exec, exec, s[0:1]
	v_mov_b32_e32 v9, v18
	v_cmp_ne_u16_sdwa s[12:13], v18, v10 src0_sel:BYTE_0 src1_sel:DWORD
	s_and_saveexec_b64 s[0:1], s[12:13]
	s_cbranch_execz .LBB324_396
; %bb.391:                              ;   in Loop: Header=BB324_366 Depth=1
	v_cmp_ne_u16_sdwa s[14:15], v18, s24 src0_sel:BYTE_0 src1_sel:DWORD
	v_bfrev_b32_e32 v21, 1
	s_and_saveexec_b64 s[12:13], s[14:15]
	s_cbranch_execz .LBB324_395
; %bb.392:                              ;   in Loop: Header=BB324_366 Depth=1
	v_and_b32_e32 v19, 0x7f, v18
	v_cmp_ne_u32_e32 vcc, s25, v19
	v_mov_b32_e32 v21, 0x7f800001
	s_and_saveexec_b64 s[14:15], vcc
	s_cbranch_execz .LBB324_394
; %bb.393:                              ;   in Loop: Header=BB324_366 Depth=1
	v_and_b32_e32 v21, 7, v18
	v_ffbh_u32_e32 v21, v21
	v_min_u32_e32 v21, 32, v21
	v_lshrrev_b32_e32 v22, 3, v19
	v_subrev_u32_e32 v23, 28, v21
	v_sub_u32_e32 v21, 29, v21
	v_cmp_gt_u32_e32 vcc, 8, v19
	v_cndmask_b32_e32 v19, v22, v21, vcc
	v_cndmask_b32_e32 v21, 0, v23, vcc
	v_lshlrev_b64 v[21:22], v21, v[9:10]
	v_lshlrev_b32_e32 v22, 24, v9
	v_lshlrev_b32_e32 v21, 20, v21
	v_and_b32_e32 v21, 0x700000, v21
	v_and_b32_e32 v22, 0x80000000, v22
	v_lshl_add_u32 v19, v19, 23, v57
	v_or3_b32 v21, v22, v19, v21
.LBB324_394:                            ;   in Loop: Header=BB324_366 Depth=1
	s_or_b64 exec, exec, s[14:15]
.LBB324_395:                            ;   in Loop: Header=BB324_366 Depth=1
	s_or_b64 exec, exec, s[12:13]
.LBB324_396:                            ;   in Loop: Header=BB324_366 Depth=1
	s_or_b64 exec, exec, s[0:1]
	v_lshrrev_b16_e32 v19, 8, v9
	v_cmp_ne_u16_e32 vcc, 0, v19
	v_mov_b32_e32 v23, 0
	v_mov_b32_e32 v24, 0
	s_and_saveexec_b64 s[0:1], vcc
	s_cbranch_execz .LBB324_402
; %bb.397:                              ;   in Loop: Header=BB324_366 Depth=1
	v_cmp_ne_u16_e32 vcc, s24, v19
	v_bfrev_b32_e32 v24, 1
	s_and_saveexec_b64 s[12:13], vcc
	s_cbranch_execz .LBB324_401
; %bb.398:                              ;   in Loop: Header=BB324_366 Depth=1
	v_and_b32_e32 v34, 0x7f, v19
	v_cmp_ne_u32_e32 vcc, s25, v34
	v_mov_b32_e32 v24, 0x7f800001
	s_and_saveexec_b64 s[14:15], vcc
	s_cbranch_execz .LBB324_400
; %bb.399:                              ;   in Loop: Header=BB324_366 Depth=1
	v_and_b32_e32 v22, 7, v19
	v_ffbh_u32_e32 v35, v22
	v_min_u32_e32 v37, 32, v35
	v_subrev_u32_e32 v35, 28, v37
	v_lshlrev_b64 v[35:36], v35, v[19:20]
	v_lshrrev_b32_e32 v24, 3, v34
	v_sub_u32_e32 v19, 29, v37
	v_and_b32_e32 v35, 7, v35
	v_cmp_gt_u32_e32 vcc, 8, v34
	v_cndmask_b32_e32 v19, v24, v19, vcc
	v_cndmask_b32_e32 v22, v22, v35, vcc
	v_lshlrev_b32_e32 v9, 16, v9
	v_lshlrev_b32_e32 v22, 20, v22
	v_and_b32_e32 v9, 0x80000000, v9
	v_lshl_add_u32 v19, v19, 23, v57
	v_or3_b32 v24, v9, v19, v22
.LBB324_400:                            ;   in Loop: Header=BB324_366 Depth=1
	s_or_b64 exec, exec, s[14:15]
.LBB324_401:                            ;   in Loop: Header=BB324_366 Depth=1
	s_or_b64 exec, exec, s[12:13]
.LBB324_402:                            ;   in Loop: Header=BB324_366 Depth=1
	s_or_b64 exec, exec, s[0:1]
	v_lshrrev_b32_e32 v9, 16, v18
	v_cmp_ne_u16_sdwa s[12:13], v9, v10 src0_sel:BYTE_0 src1_sel:DWORD
	s_and_saveexec_b64 s[0:1], s[12:13]
	s_cbranch_execz .LBB324_408
; %bb.403:                              ;   in Loop: Header=BB324_366 Depth=1
	v_cmp_ne_u16_sdwa s[14:15], v9, s24 src0_sel:BYTE_0 src1_sel:DWORD
	v_bfrev_b32_e32 v23, 1
	s_and_saveexec_b64 s[12:13], s[14:15]
	s_cbranch_execz .LBB324_407
; %bb.404:                              ;   in Loop: Header=BB324_366 Depth=1
	v_bfe_u32 v19, v18, 16, 7
	v_cmp_ne_u32_e32 vcc, s25, v19
	v_mov_b32_e32 v23, 0x7f800001
	s_and_saveexec_b64 s[14:15], vcc
	s_cbranch_execz .LBB324_406
; %bb.405:                              ;   in Loop: Header=BB324_366 Depth=1
	v_and_b32_e32 v34, 7, v9
	v_ffbh_u32_e32 v22, v34
	v_min_u32_e32 v36, 32, v22
	v_subrev_u32_e32 v22, 28, v36
	v_lshlrev_b64 v[22:23], v22, v[9:10]
	v_lshrrev_b32_e32 v35, 3, v19
	v_sub_u32_e32 v23, 29, v36
	v_and_b32_e32 v22, 7, v22
	v_cmp_gt_u32_e32 vcc, 8, v19
	v_cndmask_b32_e32 v19, v35, v23, vcc
	v_cndmask_b32_e32 v22, v34, v22, vcc
	v_lshlrev_b32_e32 v9, 24, v9
	v_lshlrev_b32_e32 v22, 20, v22
	v_and_b32_e32 v9, 0x80000000, v9
	v_lshl_add_u32 v19, v19, 23, v57
	v_or3_b32 v23, v9, v19, v22
.LBB324_406:                            ;   in Loop: Header=BB324_366 Depth=1
	s_or_b64 exec, exec, s[14:15]
.LBB324_407:                            ;   in Loop: Header=BB324_366 Depth=1
	s_or_b64 exec, exec, s[12:13]
.LBB324_408:                            ;   in Loop: Header=BB324_366 Depth=1
	s_or_b64 exec, exec, s[0:1]
	v_cmp_lt_u64_e32 vcc, s[4:5], v[17:18]
	v_mov_b32_e32 v17, 0
	s_and_saveexec_b64 s[0:1], vcc
	s_cbranch_execz .LBB324_414
; %bb.409:                              ;   in Loop: Header=BB324_366 Depth=1
	v_lshrrev_b32_e32 v9, 24, v18
	v_cmp_ne_u32_e32 vcc, s24, v9
	v_bfrev_b32_e32 v17, 1
	s_and_saveexec_b64 s[12:13], vcc
	s_cbranch_execz .LBB324_413
; %bb.410:                              ;   in Loop: Header=BB324_366 Depth=1
	v_bfe_u32 v18, v18, 24, 7
	v_cmp_ne_u32_e32 vcc, s25, v18
	v_mov_b32_e32 v17, 0x7f800001
	s_and_saveexec_b64 s[14:15], vcc
	s_cbranch_execz .LBB324_412
; %bb.411:                              ;   in Loop: Header=BB324_366 Depth=1
	v_and_b32_e32 v17, 7, v9
	v_ffbh_u32_e32 v22, v17
	v_min_u32_e32 v22, 32, v22
	v_subrev_u32_e32 v34, 28, v22
	v_lshlrev_b64 v[34:35], v34, v[9:10]
	v_lshrrev_b32_e32 v19, 3, v18
	v_sub_u32_e32 v22, 29, v22
	v_and_b32_e32 v34, 7, v34
	v_cmp_gt_u32_e32 vcc, 8, v18
	v_cndmask_b32_e32 v18, v19, v22, vcc
	v_cndmask_b32_e32 v17, v17, v34, vcc
	v_lshlrev_b32_e32 v9, 24, v9
	v_lshlrev_b32_e32 v17, 20, v17
	v_and_b32_e32 v9, 0x80000000, v9
	v_lshl_add_u32 v18, v18, 23, v57
	v_or3_b32 v17, v9, v18, v17
.LBB324_412:                            ;   in Loop: Header=BB324_366 Depth=1
	s_or_b64 exec, exec, s[14:15]
.LBB324_413:                            ;   in Loop: Header=BB324_366 Depth=1
	s_or_b64 exec, exec, s[12:13]
.LBB324_414:                            ;   in Loop: Header=BB324_366 Depth=1
	s_or_b64 exec, exec, s[0:1]
	buffer_load_dword v9, off, s[48:51], 0  ; 4-byte Folded Reload
	s_waitcnt lgkmcnt(0)
	v_mul_f32_e32 v0, s18, v0
	s_waitcnt vmcnt(0)
	v_cmp_eq_u32_e32 vcc, s19, v9
	v_mul_f32_e32 v9, s18, v24
	v_bfe_u32 v18, v9, 16, 1
	v_add3_u32 v18, v18, v9, s26
	v_or_b32_e32 v19, 0x400000, v9
	v_cmp_u_f32_e64 s[0:1], v9, v9
	v_cndmask_b32_e64 v9, v18, v19, s[0:1]
	v_lshrrev_b32_e32 v9, 16, v9
	buffer_store_dword v9, off, s[48:51], 0 offset:4 ; 4-byte Folded Spill
	v_mul_f32_e32 v9, s18, v21
	v_bfe_u32 v18, v9, 16, 1
	v_add3_u32 v18, v18, v9, s26
	v_or_b32_e32 v19, 0x400000, v9
	v_cmp_u_f32_e64 s[0:1], v9, v9
	v_cndmask_b32_e64 v9, v18, v19, s[0:1]
	v_lshrrev_b32_e32 v9, 16, v9
	buffer_store_dword v9, off, s[48:51], 0 offset:8 ; 4-byte Folded Spill
	;; [unrolled: 8-line block ×5, first 2 shown]
	v_bfe_u32 v9, v0, 16, 1
	v_add3_u32 v9, v9, v0, s26
	v_or_b32_e32 v11, 0x400000, v0
	v_cmp_u_f32_e64 s[0:1], v0, v0
	v_cndmask_b32_e64 v0, v9, v11, s[0:1]
	v_lshrrev_b32_e32 v0, 16, v0
	buffer_store_dword v0, off, s[48:51], 0 offset:32 ; 4-byte Folded Spill
	v_mul_f32_e32 v0, s18, v23
	v_bfe_u32 v9, v0, 16, 1
	v_add3_u32 v9, v9, v0, s26
	v_or_b32_e32 v11, 0x400000, v0
	v_cmp_u_f32_e64 s[0:1], v0, v0
	v_cndmask_b32_e64 v0, v9, v11, s[0:1]
	v_lshrrev_b32_e32 v0, 16, v0
	buffer_store_dword v0, off, s[48:51], 0 offset:12 ; 4-byte Folded Spill
	v_mul_f32_e32 v0, s18, v17
	v_bfe_u32 v9, v0, 16, 1
	v_add3_u32 v9, v9, v0, s26
	v_or_b32_e32 v11, 0x400000, v0
	v_cmp_u_f32_e64 s[0:1], v0, v0
	v_cndmask_b32_e64 v0, v9, v11, s[0:1]
	v_lshrrev_b32_e32 v0, 16, v0
	buffer_store_dword v0, off, s[48:51], 0 offset:24 ; 4-byte Folded Spill
	s_and_saveexec_b64 s[12:13], vcc
	s_cbranch_execz .LBB324_416
; %bb.415:                              ;   in Loop: Header=BB324_366 Depth=1
	v_add_u32_e32 v0, -7, v32
	v_cmp_gt_i32_e64 s[0:1], s30, v0
	buffer_load_dword v0, off, s[48:51], 0 offset:32 ; 4-byte Folded Reload
	s_waitcnt vmcnt(0)
	v_cndmask_b32_e64 v0, 0, v0, s[0:1]
	buffer_store_dword v0, off, s[48:51], 0 offset:32 ; 4-byte Folded Spill
	v_add_u32_e32 v0, -6, v32
	v_cmp_gt_i32_e64 s[0:1], s30, v0
	buffer_load_dword v0, off, s[48:51], 0 offset:28 ; 4-byte Folded Reload
	s_waitcnt vmcnt(0)
	v_cndmask_b32_e64 v0, 0, v0, s[0:1]
	buffer_store_dword v0, off, s[48:51], 0 offset:28 ; 4-byte Folded Spill
	;; [unrolled: 6-line block ×7, first 2 shown]
	buffer_load_dword v0, off, s[48:51], 0 offset:24 ; 4-byte Folded Reload
	v_cmp_gt_i32_e64 s[0:1], s30, v32
	s_waitcnt vmcnt(0)
	v_cndmask_b32_e64 v0, 0, v0, s[0:1]
	buffer_store_dword v0, off, s[48:51], 0 offset:24 ; 4-byte Folded Spill
.LBB324_416:                            ;   in Loop: Header=BB324_366 Depth=1
	s_or_b64 exec, exec, s[12:13]
	global_load_dwordx2 v[17:18], v[15:16], off offset:512
	v_mov_b32_e32 v11, 0
	v_mov_b32_e32 v0, 0
	s_waitcnt vmcnt(0)
	v_cmp_ne_u16_sdwa s[0:1], v17, v10 src0_sel:BYTE_0 src1_sel:DWORD
	s_and_saveexec_b64 s[12:13], s[0:1]
	s_cbranch_execz .LBB324_422
; %bb.417:                              ;   in Loop: Header=BB324_366 Depth=1
	v_cmp_ne_u16_sdwa s[0:1], v17, s24 src0_sel:BYTE_0 src1_sel:DWORD
	v_bfrev_b32_e32 v0, 1
	s_and_saveexec_b64 s[14:15], s[0:1]
	s_cbranch_execz .LBB324_421
; %bb.418:                              ;   in Loop: Header=BB324_366 Depth=1
	v_and_b32_e32 v9, 0x7f, v17
	v_cmp_ne_u32_e64 s[0:1], s25, v9
	v_mov_b32_e32 v0, 0x7f800001
	s_and_saveexec_b64 s[16:17], s[0:1]
	s_cbranch_execz .LBB324_420
; %bb.419:                              ;   in Loop: Header=BB324_366 Depth=1
	v_and_b32_e32 v0, 7, v17
	v_ffbh_u32_e32 v0, v0
	v_min_u32_e32 v0, 32, v0
	v_subrev_u32_e32 v19, 28, v0
	v_cmp_gt_u32_e64 s[0:1], 8, v9
	v_lshrrev_b32_e32 v12, 3, v9
	v_cndmask_b32_e64 v9, 0, v19, s[0:1]
	v_lshlrev_b64 v[19:20], v9, v[17:18]
	v_sub_u32_e32 v0, 29, v0
	v_cndmask_b32_e64 v0, v12, v0, s[0:1]
	v_lshlrev_b32_e32 v9, 20, v19
	v_lshlrev_b32_e32 v12, 24, v17
	v_and_b32_e32 v9, 0x700000, v9
	v_and_b32_e32 v12, 0x80000000, v12
	v_lshl_add_u32 v0, v0, 23, v57
	v_or3_b32 v0, v12, v0, v9
.LBB324_420:                            ;   in Loop: Header=BB324_366 Depth=1
	s_or_b64 exec, exec, s[16:17]
.LBB324_421:                            ;   in Loop: Header=BB324_366 Depth=1
	s_or_b64 exec, exec, s[14:15]
.LBB324_422:                            ;   in Loop: Header=BB324_366 Depth=1
	s_or_b64 exec, exec, s[12:13]
	v_lshrrev_b16_e32 v9, 8, v17
	v_cmp_ne_u16_e64 s[0:1], 0, v9
	s_and_saveexec_b64 s[12:13], s[0:1]
	s_cbranch_execz .LBB324_428
; %bb.423:                              ;   in Loop: Header=BB324_366 Depth=1
	v_cmp_ne_u16_e64 s[0:1], s24, v9
	v_bfrev_b32_e32 v11, 1
	s_and_saveexec_b64 s[14:15], s[0:1]
	s_cbranch_execz .LBB324_427
; %bb.424:                              ;   in Loop: Header=BB324_366 Depth=1
	v_and_b32_e32 v12, 0x7f, v9
	v_cmp_ne_u32_e64 s[0:1], s25, v12
	v_mov_b32_e32 v11, 0x7f800001
	s_and_saveexec_b64 s[16:17], s[0:1]
	s_cbranch_execz .LBB324_426
; %bb.425:                              ;   in Loop: Header=BB324_366 Depth=1
	v_and_b32_e32 v11, 7, v9
	v_ffbh_u32_e32 v19, v11
	v_min_u32_e32 v22, 32, v19
	v_subrev_u32_e32 v19, 28, v22
	v_lshlrev_b64 v[19:20], v19, v[9:10]
	v_lshrrev_b32_e32 v21, 3, v12
	v_sub_u32_e32 v9, 29, v22
	v_and_b32_e32 v19, 7, v19
	v_cmp_gt_u32_e64 s[0:1], 8, v12
	v_cndmask_b32_e64 v9, v21, v9, s[0:1]
	v_cndmask_b32_e64 v11, v11, v19, s[0:1]
	v_lshlrev_b32_e32 v12, 16, v17
	v_lshlrev_b32_e32 v11, 20, v11
	v_and_b32_e32 v12, 0x80000000, v12
	v_lshl_add_u32 v9, v9, 23, v57
	v_or3_b32 v11, v12, v9, v11
.LBB324_426:                            ;   in Loop: Header=BB324_366 Depth=1
	s_or_b64 exec, exec, s[16:17]
.LBB324_427:                            ;   in Loop: Header=BB324_366 Depth=1
	s_or_b64 exec, exec, s[14:15]
.LBB324_428:                            ;   in Loop: Header=BB324_366 Depth=1
	s_or_b64 exec, exec, s[12:13]
	v_lshrrev_b32_e32 v9, 16, v17
	v_cmp_ne_u16_sdwa s[0:1], v9, v10 src0_sel:BYTE_0 src1_sel:DWORD
	v_mov_b32_e32 v20, 0
	v_mov_b32_e32 v12, 0
	s_and_saveexec_b64 s[12:13], s[0:1]
	s_cbranch_execz .LBB324_434
; %bb.429:                              ;   in Loop: Header=BB324_366 Depth=1
	v_cmp_ne_u16_sdwa s[0:1], v9, s24 src0_sel:BYTE_0 src1_sel:DWORD
	v_bfrev_b32_e32 v12, 1
	s_and_saveexec_b64 s[14:15], s[0:1]
	s_cbranch_execz .LBB324_433
; %bb.430:                              ;   in Loop: Header=BB324_366 Depth=1
	v_bfe_u32 v19, v17, 16, 7
	v_cmp_ne_u32_e64 s[0:1], s25, v19
	v_mov_b32_e32 v12, 0x7f800001
	s_and_saveexec_b64 s[16:17], s[0:1]
	s_cbranch_execz .LBB324_432
; %bb.431:                              ;   in Loop: Header=BB324_366 Depth=1
	v_and_b32_e32 v12, 7, v9
	v_ffbh_u32_e32 v21, v12
	v_min_u32_e32 v24, 32, v21
	v_subrev_u32_e32 v21, 28, v24
	v_lshlrev_b64 v[21:22], v21, v[9:10]
	v_lshrrev_b32_e32 v23, 3, v19
	v_sub_u32_e32 v22, 29, v24
	v_and_b32_e32 v21, 7, v21
	v_cmp_gt_u32_e64 s[0:1], 8, v19
	v_cndmask_b32_e64 v19, v23, v22, s[0:1]
	v_cndmask_b32_e64 v12, v12, v21, s[0:1]
	v_lshlrev_b32_e32 v9, 24, v9
	v_lshlrev_b32_e32 v12, 20, v12
	v_and_b32_e32 v9, 0x80000000, v9
	v_lshl_add_u32 v19, v19, 23, v57
	v_or3_b32 v12, v9, v19, v12
.LBB324_432:                            ;   in Loop: Header=BB324_366 Depth=1
	s_or_b64 exec, exec, s[16:17]
.LBB324_433:                            ;   in Loop: Header=BB324_366 Depth=1
	s_or_b64 exec, exec, s[14:15]
.LBB324_434:                            ;   in Loop: Header=BB324_366 Depth=1
	s_or_b64 exec, exec, s[12:13]
	v_cmp_lt_u32_e64 s[0:1], s5, v17
	s_and_saveexec_b64 s[12:13], s[0:1]
	s_cbranch_execz .LBB324_440
; %bb.435:                              ;   in Loop: Header=BB324_366 Depth=1
	v_lshrrev_b32_e32 v9, 24, v17
	v_cmp_ne_u32_e64 s[0:1], s24, v9
	v_bfrev_b32_e32 v20, 1
	s_and_saveexec_b64 s[14:15], s[0:1]
	s_cbranch_execz .LBB324_439
; %bb.436:                              ;   in Loop: Header=BB324_366 Depth=1
	v_bfe_u32 v19, v17, 24, 7
	v_cmp_ne_u32_e64 s[0:1], s25, v19
	v_mov_b32_e32 v20, 0x7f800001
	s_and_saveexec_b64 s[16:17], s[0:1]
	s_cbranch_execz .LBB324_438
; %bb.437:                              ;   in Loop: Header=BB324_366 Depth=1
	v_and_b32_e32 v22, 7, v9
	v_ffbh_u32_e32 v20, v22
	v_min_u32_e32 v24, 32, v20
	v_subrev_u32_e32 v20, 28, v24
	v_lshlrev_b64 v[20:21], v20, v[9:10]
	v_lshrrev_b32_e32 v23, 3, v19
	v_sub_u32_e32 v21, 29, v24
	v_and_b32_e32 v20, 7, v20
	v_cmp_gt_u32_e64 s[0:1], 8, v19
	v_cndmask_b32_e64 v19, v23, v21, s[0:1]
	v_cndmask_b32_e64 v20, v22, v20, s[0:1]
	v_lshlrev_b32_e32 v9, 24, v9
	v_lshlrev_b32_e32 v20, 20, v20
	v_and_b32_e32 v9, 0x80000000, v9
	v_lshl_add_u32 v19, v19, 23, v57
	v_or3_b32 v20, v9, v19, v20
.LBB324_438:                            ;   in Loop: Header=BB324_366 Depth=1
	s_or_b64 exec, exec, s[16:17]
.LBB324_439:                            ;   in Loop: Header=BB324_366 Depth=1
	s_or_b64 exec, exec, s[14:15]
.LBB324_440:                            ;   in Loop: Header=BB324_366 Depth=1
	s_or_b64 exec, exec, s[12:13]
	v_mov_b32_e32 v9, v18
	v_cmp_ne_u16_sdwa s[0:1], v18, v10 src0_sel:BYTE_0 src1_sel:DWORD
	v_mov_b32_e32 v23, 0
	v_mov_b32_e32 v21, 0
	s_and_saveexec_b64 s[12:13], s[0:1]
	s_cbranch_execz .LBB324_446
; %bb.441:                              ;   in Loop: Header=BB324_366 Depth=1
	v_cmp_ne_u16_sdwa s[0:1], v18, s24 src0_sel:BYTE_0 src1_sel:DWORD
	v_bfrev_b32_e32 v21, 1
	s_and_saveexec_b64 s[14:15], s[0:1]
	s_cbranch_execz .LBB324_445
; %bb.442:                              ;   in Loop: Header=BB324_366 Depth=1
	v_and_b32_e32 v19, 0x7f, v18
	v_cmp_ne_u32_e64 s[0:1], s25, v19
	v_mov_b32_e32 v21, 0x7f800001
	s_and_saveexec_b64 s[16:17], s[0:1]
	s_cbranch_execz .LBB324_444
; %bb.443:                              ;   in Loop: Header=BB324_366 Depth=1
	v_and_b32_e32 v21, 7, v18
	v_ffbh_u32_e32 v21, v21
	v_min_u32_e32 v21, 32, v21
	v_lshrrev_b32_e32 v22, 3, v19
	v_subrev_u32_e32 v24, 28, v21
	v_sub_u32_e32 v21, 29, v21
	v_cmp_gt_u32_e64 s[0:1], 8, v19
	v_cndmask_b32_e64 v19, v22, v21, s[0:1]
	v_cndmask_b32_e64 v21, 0, v24, s[0:1]
	v_lshlrev_b64 v[21:22], v21, v[9:10]
	v_lshlrev_b32_e32 v22, 24, v9
	v_lshlrev_b32_e32 v21, 20, v21
	v_and_b32_e32 v21, 0x700000, v21
	v_and_b32_e32 v22, 0x80000000, v22
	v_lshl_add_u32 v19, v19, 23, v57
	v_or3_b32 v21, v22, v19, v21
.LBB324_444:                            ;   in Loop: Header=BB324_366 Depth=1
	s_or_b64 exec, exec, s[16:17]
.LBB324_445:                            ;   in Loop: Header=BB324_366 Depth=1
	s_or_b64 exec, exec, s[14:15]
.LBB324_446:                            ;   in Loop: Header=BB324_366 Depth=1
	s_or_b64 exec, exec, s[12:13]
	v_lshrrev_b16_e32 v19, 8, v9
	v_cmp_ne_u16_e64 s[0:1], 0, v19
	s_and_saveexec_b64 s[12:13], s[0:1]
	s_cbranch_execz .LBB324_452
; %bb.447:                              ;   in Loop: Header=BB324_366 Depth=1
	v_cmp_ne_u16_e64 s[0:1], s24, v19
	v_bfrev_b32_e32 v23, 1
	s_and_saveexec_b64 s[14:15], s[0:1]
	s_cbranch_execz .LBB324_451
; %bb.448:                              ;   in Loop: Header=BB324_366 Depth=1
	v_and_b32_e32 v24, 0x7f, v19
	v_cmp_ne_u32_e64 s[0:1], s25, v24
	v_mov_b32_e32 v23, 0x7f800001
	s_and_saveexec_b64 s[16:17], s[0:1]
	s_cbranch_execz .LBB324_450
; %bb.449:                              ;   in Loop: Header=BB324_366 Depth=1
	v_and_b32_e32 v34, 7, v19
	v_ffbh_u32_e32 v22, v34
	v_min_u32_e32 v36, 32, v22
	v_subrev_u32_e32 v22, 28, v36
	v_lshlrev_b64 v[22:23], v22, v[19:20]
	v_lshrrev_b32_e32 v35, 3, v24
	v_sub_u32_e32 v19, 29, v36
	v_and_b32_e32 v22, 7, v22
	v_cmp_gt_u32_e64 s[0:1], 8, v24
	v_cndmask_b32_e64 v19, v35, v19, s[0:1]
	v_cndmask_b32_e64 v22, v34, v22, s[0:1]
	v_lshlrev_b32_e32 v9, 16, v9
	v_lshlrev_b32_e32 v22, 20, v22
	v_and_b32_e32 v9, 0x80000000, v9
	v_lshl_add_u32 v19, v19, 23, v57
	v_or3_b32 v23, v9, v19, v22
.LBB324_450:                            ;   in Loop: Header=BB324_366 Depth=1
	s_or_b64 exec, exec, s[16:17]
.LBB324_451:                            ;   in Loop: Header=BB324_366 Depth=1
	s_or_b64 exec, exec, s[14:15]
.LBB324_452:                            ;   in Loop: Header=BB324_366 Depth=1
	s_or_b64 exec, exec, s[12:13]
	v_lshrrev_b32_e32 v9, 16, v18
	v_cmp_ne_u16_sdwa s[0:1], v9, v10 src0_sel:BYTE_0 src1_sel:DWORD
	v_mov_b32_e32 v19, 0
	v_mov_b32_e32 v24, 0
	s_and_saveexec_b64 s[12:13], s[0:1]
	s_cbranch_execz .LBB324_458
; %bb.453:                              ;   in Loop: Header=BB324_366 Depth=1
	v_cmp_ne_u16_sdwa s[0:1], v9, s24 src0_sel:BYTE_0 src1_sel:DWORD
	v_bfrev_b32_e32 v24, 1
	s_and_saveexec_b64 s[14:15], s[0:1]
	s_cbranch_execz .LBB324_457
; %bb.454:                              ;   in Loop: Header=BB324_366 Depth=1
	v_bfe_u32 v34, v18, 16, 7
	v_cmp_ne_u32_e64 s[0:1], s25, v34
	v_mov_b32_e32 v24, 0x7f800001
	s_and_saveexec_b64 s[16:17], s[0:1]
	s_cbranch_execz .LBB324_456
; %bb.455:                              ;   in Loop: Header=BB324_366 Depth=1
	v_and_b32_e32 v22, 7, v9
	v_ffbh_u32_e32 v35, v22
	v_min_u32_e32 v37, 32, v35
	v_subrev_u32_e32 v35, 28, v37
	v_lshlrev_b64 v[35:36], v35, v[9:10]
	v_lshrrev_b32_e32 v24, 3, v34
	v_sub_u32_e32 v36, 29, v37
	v_and_b32_e32 v35, 7, v35
	v_cmp_gt_u32_e64 s[0:1], 8, v34
	v_cndmask_b32_e64 v24, v24, v36, s[0:1]
	v_cndmask_b32_e64 v22, v22, v35, s[0:1]
	v_lshlrev_b32_e32 v9, 24, v9
	v_lshlrev_b32_e32 v22, 20, v22
	v_and_b32_e32 v9, 0x80000000, v9
	v_lshl_add_u32 v24, v24, 23, v57
	v_or3_b32 v24, v9, v24, v22
.LBB324_456:                            ;   in Loop: Header=BB324_366 Depth=1
	s_or_b64 exec, exec, s[16:17]
.LBB324_457:                            ;   in Loop: Header=BB324_366 Depth=1
	s_or_b64 exec, exec, s[14:15]
.LBB324_458:                            ;   in Loop: Header=BB324_366 Depth=1
	s_or_b64 exec, exec, s[12:13]
	v_cmp_lt_u64_e64 s[0:1], s[4:5], v[17:18]
	s_and_saveexec_b64 s[12:13], s[0:1]
	s_cbranch_execz .LBB324_464
; %bb.459:                              ;   in Loop: Header=BB324_366 Depth=1
	v_lshrrev_b32_e32 v9, 24, v18
	v_cmp_ne_u32_e64 s[0:1], s24, v9
	v_bfrev_b32_e32 v19, 1
	s_and_saveexec_b64 s[14:15], s[0:1]
	s_cbranch_execz .LBB324_463
; %bb.460:                              ;   in Loop: Header=BB324_366 Depth=1
	v_bfe_u32 v17, v18, 24, 7
	v_cmp_ne_u32_e64 s[0:1], s25, v17
	v_mov_b32_e32 v19, 0x7f800001
	s_and_saveexec_b64 s[16:17], s[0:1]
	s_cbranch_execz .LBB324_462
; %bb.461:                              ;   in Loop: Header=BB324_366 Depth=1
	v_and_b32_e32 v22, 7, v9
	v_ffbh_u32_e32 v18, v22
	v_min_u32_e32 v35, 32, v18
	v_subrev_u32_e32 v18, 28, v35
	v_lshlrev_b64 v[18:19], v18, v[9:10]
	v_lshrrev_b32_e32 v34, 3, v17
	v_sub_u32_e32 v19, 29, v35
	v_and_b32_e32 v18, 7, v18
	v_cmp_gt_u32_e64 s[0:1], 8, v17
	v_cndmask_b32_e64 v17, v34, v19, s[0:1]
	v_cndmask_b32_e64 v18, v22, v18, s[0:1]
	v_lshlrev_b32_e32 v9, 24, v9
	v_lshlrev_b32_e32 v18, 20, v18
	v_and_b32_e32 v9, 0x80000000, v9
	v_lshl_add_u32 v17, v17, 23, v57
	v_or3_b32 v19, v9, v17, v18
.LBB324_462:                            ;   in Loop: Header=BB324_366 Depth=1
	s_or_b64 exec, exec, s[16:17]
.LBB324_463:                            ;   in Loop: Header=BB324_366 Depth=1
	s_or_b64 exec, exec, s[14:15]
.LBB324_464:                            ;   in Loop: Header=BB324_366 Depth=1
	s_or_b64 exec, exec, s[12:13]
	v_mul_f32_e32 v9, s18, v23
	v_bfe_u32 v17, v9, 16, 1
	v_add3_u32 v17, v17, v9, s26
	v_or_b32_e32 v18, 0x400000, v9
	v_cmp_u_f32_e64 s[0:1], v9, v9
	v_cndmask_b32_e64 v9, v17, v18, s[0:1]
	v_lshrrev_b32_e32 v9, 16, v9
	buffer_store_dword v9, off, s[48:51], 0 offset:36 ; 4-byte Folded Spill
	v_mul_f32_e32 v9, s18, v21
	v_bfe_u32 v17, v9, 16, 1
	v_add3_u32 v17, v17, v9, s26
	v_or_b32_e32 v18, 0x400000, v9
	v_cmp_u_f32_e64 s[0:1], v9, v9
	v_cndmask_b32_e64 v9, v17, v18, s[0:1]
	v_lshrrev_b32_e32 v9, 16, v9
	buffer_store_dword v9, off, s[48:51], 0 offset:40 ; 4-byte Folded Spill
	;; [unrolled: 8-line block ×4, first 2 shown]
	v_mul_f32_e32 v9, s18, v11
	v_bfe_u32 v11, v9, 16, 1
	v_add3_u32 v11, v11, v9, s26
	v_or_b32_e32 v12, 0x400000, v9
	v_cmp_u_f32_e64 s[0:1], v9, v9
	v_cndmask_b32_e64 v9, v11, v12, s[0:1]
	v_lshrrev_b32_e32 v9, 16, v9
	v_mul_f32_e32 v0, s18, v0
	buffer_store_dword v9, off, s[48:51], 0 offset:60 ; 4-byte Folded Spill
	v_bfe_u32 v9, v0, 16, 1
	v_add3_u32 v9, v9, v0, s26
	v_or_b32_e32 v11, 0x400000, v0
	v_cmp_u_f32_e64 s[0:1], v0, v0
	v_cndmask_b32_e64 v0, v9, v11, s[0:1]
	v_lshrrev_b32_e32 v0, 16, v0
	buffer_store_dword v0, off, s[48:51], 0 offset:64 ; 4-byte Folded Spill
	v_mul_f32_e32 v0, s18, v24
	v_bfe_u32 v9, v0, 16, 1
	v_add3_u32 v9, v9, v0, s26
	v_or_b32_e32 v11, 0x400000, v0
	v_cmp_u_f32_e64 s[0:1], v0, v0
	v_cndmask_b32_e64 v0, v9, v11, s[0:1]
	v_lshrrev_b32_e32 v0, 16, v0
	buffer_store_dword v0, off, s[48:51], 0 offset:44 ; 4-byte Folded Spill
	v_mul_f32_e32 v0, s18, v19
	v_bfe_u32 v9, v0, 16, 1
	v_add3_u32 v9, v9, v0, s26
	v_or_b32_e32 v11, 0x400000, v0
	v_cmp_u_f32_e64 s[0:1], v0, v0
	v_cndmask_b32_e64 v0, v9, v11, s[0:1]
	v_lshrrev_b32_e32 v0, 16, v0
	buffer_store_dword v0, off, s[48:51], 0 offset:56 ; 4-byte Folded Spill
	s_and_saveexec_b64 s[12:13], vcc
	s_cbranch_execz .LBB324_466
; %bb.465:                              ;   in Loop: Header=BB324_366 Depth=1
	v_add_u32_e32 v0, -7, v32
	v_cmp_gt_i32_e64 s[0:1], s30, v0
	buffer_load_dword v0, off, s[48:51], 0 offset:64 ; 4-byte Folded Reload
	s_waitcnt vmcnt(0)
	v_cndmask_b32_e64 v0, 0, v0, s[0:1]
	buffer_store_dword v0, off, s[48:51], 0 offset:64 ; 4-byte Folded Spill
	v_add_u32_e32 v0, -6, v32
	v_cmp_gt_i32_e64 s[0:1], s30, v0
	buffer_load_dword v0, off, s[48:51], 0 offset:60 ; 4-byte Folded Reload
	s_waitcnt vmcnt(0)
	v_cndmask_b32_e64 v0, 0, v0, s[0:1]
	buffer_store_dword v0, off, s[48:51], 0 offset:60 ; 4-byte Folded Spill
	;; [unrolled: 6-line block ×7, first 2 shown]
	buffer_load_dword v0, off, s[48:51], 0 offset:56 ; 4-byte Folded Reload
	v_cmp_gt_i32_e64 s[0:1], s30, v32
	s_waitcnt vmcnt(0)
	v_cndmask_b32_e64 v0, 0, v0, s[0:1]
	buffer_store_dword v0, off, s[48:51], 0 offset:56 ; 4-byte Folded Spill
.LBB324_466:                            ;   in Loop: Header=BB324_366 Depth=1
	s_or_b64 exec, exec, s[12:13]
	global_load_dwordx2 v[17:18], v[15:16], off offset:1024
	v_mov_b32_e32 v11, 0
	v_mov_b32_e32 v0, 0
	s_waitcnt vmcnt(0)
	v_cmp_ne_u16_sdwa s[0:1], v17, v10 src0_sel:BYTE_0 src1_sel:DWORD
	s_and_saveexec_b64 s[12:13], s[0:1]
	s_cbranch_execz .LBB324_472
; %bb.467:                              ;   in Loop: Header=BB324_366 Depth=1
	v_cmp_ne_u16_sdwa s[0:1], v17, s24 src0_sel:BYTE_0 src1_sel:DWORD
	v_bfrev_b32_e32 v0, 1
	s_and_saveexec_b64 s[14:15], s[0:1]
	s_cbranch_execz .LBB324_471
; %bb.468:                              ;   in Loop: Header=BB324_366 Depth=1
	v_and_b32_e32 v9, 0x7f, v17
	v_cmp_ne_u32_e64 s[0:1], s25, v9
	v_mov_b32_e32 v0, 0x7f800001
	s_and_saveexec_b64 s[16:17], s[0:1]
	s_cbranch_execz .LBB324_470
; %bb.469:                              ;   in Loop: Header=BB324_366 Depth=1
	v_and_b32_e32 v0, 7, v17
	v_ffbh_u32_e32 v0, v0
	v_min_u32_e32 v0, 32, v0
	v_subrev_u32_e32 v19, 28, v0
	v_cmp_gt_u32_e64 s[0:1], 8, v9
	v_lshrrev_b32_e32 v12, 3, v9
	v_cndmask_b32_e64 v9, 0, v19, s[0:1]
	v_lshlrev_b64 v[19:20], v9, v[17:18]
	v_sub_u32_e32 v0, 29, v0
	v_cndmask_b32_e64 v0, v12, v0, s[0:1]
	v_lshlrev_b32_e32 v9, 20, v19
	v_lshlrev_b32_e32 v12, 24, v17
	v_and_b32_e32 v9, 0x700000, v9
	v_and_b32_e32 v12, 0x80000000, v12
	v_lshl_add_u32 v0, v0, 23, v57
	v_or3_b32 v0, v12, v0, v9
.LBB324_470:                            ;   in Loop: Header=BB324_366 Depth=1
	s_or_b64 exec, exec, s[16:17]
.LBB324_471:                            ;   in Loop: Header=BB324_366 Depth=1
	s_or_b64 exec, exec, s[14:15]
.LBB324_472:                            ;   in Loop: Header=BB324_366 Depth=1
	s_or_b64 exec, exec, s[12:13]
	v_lshrrev_b16_e32 v9, 8, v17
	v_cmp_ne_u16_e64 s[0:1], 0, v9
	s_and_saveexec_b64 s[12:13], s[0:1]
	s_cbranch_execz .LBB324_478
; %bb.473:                              ;   in Loop: Header=BB324_366 Depth=1
	v_cmp_ne_u16_e64 s[0:1], s24, v9
	v_bfrev_b32_e32 v11, 1
	s_and_saveexec_b64 s[14:15], s[0:1]
	s_cbranch_execz .LBB324_477
; %bb.474:                              ;   in Loop: Header=BB324_366 Depth=1
	v_and_b32_e32 v12, 0x7f, v9
	v_cmp_ne_u32_e64 s[0:1], s25, v12
	v_mov_b32_e32 v11, 0x7f800001
	s_and_saveexec_b64 s[16:17], s[0:1]
	s_cbranch_execz .LBB324_476
; %bb.475:                              ;   in Loop: Header=BB324_366 Depth=1
	v_and_b32_e32 v19, 7, v9
	v_ffbh_u32_e32 v11, v19
	v_min_u32_e32 v21, 32, v11
	v_subrev_u32_e32 v11, 28, v21
	v_lshrrev_b32_e32 v20, 3, v12
	v_cmp_gt_u32_e64 s[0:1], 8, v12
	v_lshlrev_b64 v[11:12], v11, v[9:10]
	v_sub_u32_e32 v9, 29, v21
	v_and_b32_e32 v11, 7, v11
	v_cndmask_b32_e64 v9, v20, v9, s[0:1]
	v_cndmask_b32_e64 v11, v19, v11, s[0:1]
	v_lshlrev_b32_e32 v12, 16, v17
	v_lshlrev_b32_e32 v11, 20, v11
	v_and_b32_e32 v12, 0x80000000, v12
	v_lshl_add_u32 v9, v9, 23, v57
	v_or3_b32 v11, v12, v9, v11
.LBB324_476:                            ;   in Loop: Header=BB324_366 Depth=1
	s_or_b64 exec, exec, s[16:17]
.LBB324_477:                            ;   in Loop: Header=BB324_366 Depth=1
	s_or_b64 exec, exec, s[14:15]
.LBB324_478:                            ;   in Loop: Header=BB324_366 Depth=1
	s_or_b64 exec, exec, s[12:13]
	v_lshrrev_b32_e32 v9, 16, v17
	v_cmp_ne_u16_sdwa s[0:1], v9, v10 src0_sel:BYTE_0 src1_sel:DWORD
	v_mov_b32_e32 v20, 0
	v_mov_b32_e32 v12, 0
	s_and_saveexec_b64 s[12:13], s[0:1]
	s_cbranch_execz .LBB324_484
; %bb.479:                              ;   in Loop: Header=BB324_366 Depth=1
	v_cmp_ne_u16_sdwa s[0:1], v9, s24 src0_sel:BYTE_0 src1_sel:DWORD
	v_bfrev_b32_e32 v12, 1
	s_and_saveexec_b64 s[14:15], s[0:1]
	s_cbranch_execz .LBB324_483
; %bb.480:                              ;   in Loop: Header=BB324_366 Depth=1
	v_bfe_u32 v19, v17, 16, 7
	v_cmp_ne_u32_e64 s[0:1], s25, v19
	v_mov_b32_e32 v12, 0x7f800001
	s_and_saveexec_b64 s[16:17], s[0:1]
	s_cbranch_execz .LBB324_482
; %bb.481:                              ;   in Loop: Header=BB324_366 Depth=1
	v_and_b32_e32 v12, 7, v9
	v_lshrrev_b32_e32 v23, 3, v19
	v_cmp_gt_u32_e64 s[0:1], 8, v19
	v_ffbh_u32_e32 v19, v12
	v_min_u32_e32 v19, 32, v19
	v_subrev_u32_e32 v21, 28, v19
	v_lshlrev_b64 v[21:22], v21, v[9:10]
	v_sub_u32_e32 v19, 29, v19
	v_and_b32_e32 v21, 7, v21
	v_cndmask_b32_e64 v19, v23, v19, s[0:1]
	v_cndmask_b32_e64 v12, v12, v21, s[0:1]
	v_lshlrev_b32_e32 v9, 24, v9
	v_lshlrev_b32_e32 v12, 20, v12
	v_and_b32_e32 v9, 0x80000000, v9
	v_lshl_add_u32 v19, v19, 23, v57
	v_or3_b32 v12, v9, v19, v12
.LBB324_482:                            ;   in Loop: Header=BB324_366 Depth=1
	s_or_b64 exec, exec, s[16:17]
.LBB324_483:                            ;   in Loop: Header=BB324_366 Depth=1
	s_or_b64 exec, exec, s[14:15]
.LBB324_484:                            ;   in Loop: Header=BB324_366 Depth=1
	s_or_b64 exec, exec, s[12:13]
	v_cmp_lt_u32_e64 s[0:1], s5, v17
	s_and_saveexec_b64 s[12:13], s[0:1]
	s_cbranch_execz .LBB324_490
; %bb.485:                              ;   in Loop: Header=BB324_366 Depth=1
	v_lshrrev_b32_e32 v9, 24, v17
	v_cmp_ne_u32_e64 s[0:1], s24, v9
	v_bfrev_b32_e32 v20, 1
	s_and_saveexec_b64 s[14:15], s[0:1]
	s_cbranch_execz .LBB324_489
; %bb.486:                              ;   in Loop: Header=BB324_366 Depth=1
	v_bfe_u32 v19, v17, 24, 7
	v_cmp_ne_u32_e64 s[0:1], s25, v19
	v_mov_b32_e32 v20, 0x7f800001
	s_and_saveexec_b64 s[16:17], s[0:1]
	s_cbranch_execz .LBB324_488
; %bb.487:                              ;   in Loop: Header=BB324_366 Depth=1
	v_and_b32_e32 v21, 7, v9
	v_lshrrev_b32_e32 v22, 3, v19
	v_cmp_gt_u32_e64 s[0:1], 8, v19
	v_ffbh_u32_e32 v19, v21
	v_min_u32_e32 v23, 32, v19
	v_subrev_u32_e32 v19, 28, v23
	v_lshlrev_b64 v[19:20], v19, v[9:10]
	v_sub_u32_e32 v20, 29, v23
	v_and_b32_e32 v19, 7, v19
	v_cndmask_b32_e64 v20, v22, v20, s[0:1]
	v_cndmask_b32_e64 v19, v21, v19, s[0:1]
	v_lshlrev_b32_e32 v9, 24, v9
	v_lshlrev_b32_e32 v19, 20, v19
	v_and_b32_e32 v9, 0x80000000, v9
	v_lshl_add_u32 v20, v20, 23, v57
	v_or3_b32 v20, v9, v20, v19
.LBB324_488:                            ;   in Loop: Header=BB324_366 Depth=1
	s_or_b64 exec, exec, s[16:17]
.LBB324_489:                            ;   in Loop: Header=BB324_366 Depth=1
	s_or_b64 exec, exec, s[14:15]
.LBB324_490:                            ;   in Loop: Header=BB324_366 Depth=1
	s_or_b64 exec, exec, s[12:13]
	v_mov_b32_e32 v9, v18
	v_cmp_ne_u16_sdwa s[0:1], v18, v10 src0_sel:BYTE_0 src1_sel:DWORD
	v_mov_b32_e32 v23, 0
	v_mov_b32_e32 v21, 0
	s_and_saveexec_b64 s[12:13], s[0:1]
	s_cbranch_execz .LBB324_496
; %bb.491:                              ;   in Loop: Header=BB324_366 Depth=1
	v_cmp_ne_u16_sdwa s[0:1], v18, s24 src0_sel:BYTE_0 src1_sel:DWORD
	v_bfrev_b32_e32 v21, 1
	s_and_saveexec_b64 s[14:15], s[0:1]
	s_cbranch_execz .LBB324_495
; %bb.492:                              ;   in Loop: Header=BB324_366 Depth=1
	v_and_b32_e32 v19, 0x7f, v18
	v_cmp_ne_u32_e64 s[0:1], s25, v19
	v_mov_b32_e32 v21, 0x7f800001
	s_and_saveexec_b64 s[16:17], s[0:1]
	s_cbranch_execz .LBB324_494
; %bb.493:                              ;   in Loop: Header=BB324_366 Depth=1
	v_and_b32_e32 v21, 7, v18
	v_lshrrev_b32_e32 v22, 3, v19
	v_cmp_gt_u32_e64 s[0:1], 8, v19
	v_ffbh_u32_e32 v19, v21
	v_min_u32_e32 v19, 32, v19
	v_subrev_u32_e32 v21, 28, v19
	v_sub_u32_e32 v19, 29, v19
	v_cndmask_b32_e64 v21, 0, v21, s[0:1]
	v_cndmask_b32_e64 v19, v22, v19, s[0:1]
	v_lshlrev_b64 v[21:22], v21, v[9:10]
	v_lshlrev_b32_e32 v22, 24, v9
	v_lshlrev_b32_e32 v21, 20, v21
	v_and_b32_e32 v21, 0x700000, v21
	v_and_b32_e32 v22, 0x80000000, v22
	v_lshl_add_u32 v19, v19, 23, v57
	v_or3_b32 v21, v22, v19, v21
.LBB324_494:                            ;   in Loop: Header=BB324_366 Depth=1
	s_or_b64 exec, exec, s[16:17]
.LBB324_495:                            ;   in Loop: Header=BB324_366 Depth=1
	s_or_b64 exec, exec, s[14:15]
.LBB324_496:                            ;   in Loop: Header=BB324_366 Depth=1
	s_or_b64 exec, exec, s[12:13]
	v_lshrrev_b16_e32 v19, 8, v9
	v_cmp_ne_u16_e64 s[0:1], 0, v19
	s_and_saveexec_b64 s[12:13], s[0:1]
	s_cbranch_execz .LBB324_502
; %bb.497:                              ;   in Loop: Header=BB324_366 Depth=1
	v_cmp_ne_u16_e64 s[0:1], s24, v19
	v_bfrev_b32_e32 v23, 1
	s_and_saveexec_b64 s[14:15], s[0:1]
	s_cbranch_execz .LBB324_501
; %bb.498:                              ;   in Loop: Header=BB324_366 Depth=1
	v_and_b32_e32 v24, 0x7f, v19
	v_cmp_ne_u32_e64 s[0:1], s25, v24
	v_mov_b32_e32 v23, 0x7f800001
	s_and_saveexec_b64 s[16:17], s[0:1]
	s_cbranch_execz .LBB324_500
; %bb.499:                              ;   in Loop: Header=BB324_366 Depth=1
	v_and_b32_e32 v34, 7, v19
	v_ffbh_u32_e32 v22, v34
	v_lshrrev_b32_e32 v35, 3, v24
	v_cmp_gt_u32_e64 s[0:1], 8, v24
	v_min_u32_e32 v24, 32, v22
	v_subrev_u32_e32 v22, 28, v24
	v_lshlrev_b64 v[22:23], v22, v[19:20]
	v_sub_u32_e32 v19, 29, v24
	v_and_b32_e32 v22, 7, v22
	v_cndmask_b32_e64 v19, v35, v19, s[0:1]
	v_cndmask_b32_e64 v22, v34, v22, s[0:1]
	v_lshlrev_b32_e32 v9, 16, v9
	v_lshlrev_b32_e32 v22, 20, v22
	v_and_b32_e32 v9, 0x80000000, v9
	v_lshl_add_u32 v19, v19, 23, v57
	v_or3_b32 v23, v9, v19, v22
.LBB324_500:                            ;   in Loop: Header=BB324_366 Depth=1
	s_or_b64 exec, exec, s[16:17]
.LBB324_501:                            ;   in Loop: Header=BB324_366 Depth=1
	s_or_b64 exec, exec, s[14:15]
.LBB324_502:                            ;   in Loop: Header=BB324_366 Depth=1
	s_or_b64 exec, exec, s[12:13]
	v_lshrrev_b32_e32 v9, 16, v18
	v_cmp_ne_u16_sdwa s[0:1], v9, v10 src0_sel:BYTE_0 src1_sel:DWORD
	v_mov_b32_e32 v19, 0
	v_mov_b32_e32 v34, 0
	s_and_saveexec_b64 s[12:13], s[0:1]
	s_cbranch_execz .LBB324_508
; %bb.503:                              ;   in Loop: Header=BB324_366 Depth=1
	v_cmp_ne_u16_sdwa s[0:1], v9, s24 src0_sel:BYTE_0 src1_sel:DWORD
	v_bfrev_b32_e32 v34, 1
	s_and_saveexec_b64 s[14:15], s[0:1]
	s_cbranch_execz .LBB324_507
; %bb.504:                              ;   in Loop: Header=BB324_366 Depth=1
	v_bfe_u32 v24, v18, 16, 7
	v_cmp_ne_u32_e64 s[0:1], s25, v24
	v_mov_b32_e32 v34, 0x7f800001
	s_and_saveexec_b64 s[16:17], s[0:1]
	s_cbranch_execz .LBB324_506
; %bb.505:                              ;   in Loop: Header=BB324_366 Depth=1
	v_and_b32_e32 v22, 7, v9
	v_lshrrev_b32_e32 v36, 3, v24
	v_cmp_gt_u32_e64 s[0:1], 8, v24
	v_ffbh_u32_e32 v24, v22
	v_min_u32_e32 v24, 32, v24
	v_subrev_u32_e32 v34, 28, v24
	v_lshlrev_b64 v[34:35], v34, v[9:10]
	v_sub_u32_e32 v24, 29, v24
	v_and_b32_e32 v34, 7, v34
	v_cndmask_b32_e64 v24, v36, v24, s[0:1]
	v_cndmask_b32_e64 v22, v22, v34, s[0:1]
	v_lshlrev_b32_e32 v9, 24, v9
	v_lshlrev_b32_e32 v22, 20, v22
	v_and_b32_e32 v9, 0x80000000, v9
	v_lshl_add_u32 v24, v24, 23, v57
	v_or3_b32 v34, v9, v24, v22
.LBB324_506:                            ;   in Loop: Header=BB324_366 Depth=1
	s_or_b64 exec, exec, s[16:17]
.LBB324_507:                            ;   in Loop: Header=BB324_366 Depth=1
	s_or_b64 exec, exec, s[14:15]
.LBB324_508:                            ;   in Loop: Header=BB324_366 Depth=1
	s_or_b64 exec, exec, s[12:13]
	v_cmp_lt_u64_e64 s[0:1], s[4:5], v[17:18]
	s_and_saveexec_b64 s[12:13], s[0:1]
	s_cbranch_execz .LBB324_514
; %bb.509:                              ;   in Loop: Header=BB324_366 Depth=1
	v_lshrrev_b32_e32 v9, 24, v18
	v_cmp_ne_u32_e64 s[0:1], s24, v9
	v_bfrev_b32_e32 v19, 1
	s_and_saveexec_b64 s[14:15], s[0:1]
	s_cbranch_execz .LBB324_513
; %bb.510:                              ;   in Loop: Header=BB324_366 Depth=1
	v_bfe_u32 v17, v18, 24, 7
	v_cmp_ne_u32_e64 s[0:1], s25, v17
	v_mov_b32_e32 v19, 0x7f800001
	s_and_saveexec_b64 s[16:17], s[0:1]
	s_cbranch_execz .LBB324_512
; %bb.511:                              ;   in Loop: Header=BB324_366 Depth=1
	v_and_b32_e32 v19, 7, v9
	v_lshrrev_b32_e32 v22, 3, v17
	v_cmp_gt_u32_e64 s[0:1], 8, v17
	v_ffbh_u32_e32 v17, v19
	v_min_u32_e32 v24, 32, v17
	v_subrev_u32_e32 v17, 28, v24
	v_lshlrev_b64 v[17:18], v17, v[9:10]
	v_sub_u32_e32 v18, 29, v24
	v_and_b32_e32 v17, 7, v17
	v_cndmask_b32_e64 v18, v22, v18, s[0:1]
	v_cndmask_b32_e64 v17, v19, v17, s[0:1]
	v_lshlrev_b32_e32 v9, 24, v9
	v_lshlrev_b32_e32 v17, 20, v17
	v_and_b32_e32 v9, 0x80000000, v9
	v_lshl_add_u32 v18, v18, 23, v57
	v_or3_b32 v19, v9, v18, v17
.LBB324_512:                            ;   in Loop: Header=BB324_366 Depth=1
	s_or_b64 exec, exec, s[16:17]
.LBB324_513:                            ;   in Loop: Header=BB324_366 Depth=1
	s_or_b64 exec, exec, s[14:15]
.LBB324_514:                            ;   in Loop: Header=BB324_366 Depth=1
	s_or_b64 exec, exec, s[12:13]
	v_mul_f32_e32 v9, s18, v23
	v_bfe_u32 v17, v9, 16, 1
	v_add3_u32 v17, v17, v9, s26
	v_or_b32_e32 v18, 0x400000, v9
	v_cmp_u_f32_e64 s[0:1], v9, v9
	v_cndmask_b32_e64 v9, v17, v18, s[0:1]
	v_lshrrev_b32_e32 v9, 16, v9
	buffer_store_dword v9, off, s[48:51], 0 offset:72 ; 4-byte Folded Spill
	v_mul_f32_e32 v9, s18, v21
	v_bfe_u32 v17, v9, 16, 1
	v_add3_u32 v17, v17, v9, s26
	v_or_b32_e32 v18, 0x400000, v9
	v_cmp_u_f32_e64 s[0:1], v9, v9
	v_cndmask_b32_e64 v9, v17, v18, s[0:1]
	v_lshrrev_b32_e32 v9, 16, v9
	buffer_store_dword v9, off, s[48:51], 0 offset:68 ; 4-byte Folded Spill
	v_mul_f32_e32 v9, s18, v20
	v_bfe_u32 v17, v9, 16, 1
	v_add3_u32 v17, v17, v9, s26
	v_or_b32_e32 v18, 0x400000, v9
	v_cmp_u_f32_e64 s[0:1], v9, v9
	v_cndmask_b32_e64 v9, v17, v18, s[0:1]
	v_lshrrev_b32_e32 v61, 16, v9
	v_mul_f32_e32 v9, s18, v12
	v_bfe_u32 v12, v9, 16, 1
	v_add3_u32 v12, v12, v9, s26
	v_or_b32_e32 v17, 0x400000, v9
	v_cmp_u_f32_e64 s[0:1], v9, v9
	v_cndmask_b32_e64 v9, v12, v17, s[0:1]
	v_lshrrev_b32_e32 v60, 16, v9
	v_mul_f32_e32 v9, s18, v11
	v_bfe_u32 v11, v9, 16, 1
	v_add3_u32 v11, v11, v9, s26
	v_or_b32_e32 v12, 0x400000, v9
	v_cmp_u_f32_e64 s[0:1], v9, v9
	v_cndmask_b32_e64 v9, v11, v12, s[0:1]
	v_mul_f32_e32 v0, s18, v0
	v_lshrrev_b32_e32 v24, 16, v9
	v_bfe_u32 v9, v0, 16, 1
	v_add3_u32 v9, v9, v0, s26
	v_or_b32_e32 v11, 0x400000, v0
	v_cmp_u_f32_e64 s[0:1], v0, v0
	v_cndmask_b32_e64 v0, v9, v11, s[0:1]
	v_lshrrev_b32_e32 v63, 16, v0
	v_mul_f32_e32 v0, s18, v34
	v_bfe_u32 v9, v0, 16, 1
	v_add3_u32 v9, v9, v0, s26
	v_or_b32_e32 v11, 0x400000, v0
	v_cmp_u_f32_e64 s[0:1], v0, v0
	v_cndmask_b32_e64 v0, v9, v11, s[0:1]
	v_lshrrev_b32_e32 v0, 16, v0
	buffer_store_dword v0, off, s[48:51], 0 offset:76 ; 4-byte Folded Spill
	v_mul_f32_e32 v0, s18, v19
	v_bfe_u32 v9, v0, 16, 1
	v_add3_u32 v9, v9, v0, s26
	v_or_b32_e32 v11, 0x400000, v0
	v_cmp_u_f32_e64 s[0:1], v0, v0
	v_cndmask_b32_e64 v0, v9, v11, s[0:1]
	v_lshrrev_b32_e32 v62, 16, v0
	s_and_saveexec_b64 s[12:13], vcc
	s_cbranch_execz .LBB324_516
; %bb.515:                              ;   in Loop: Header=BB324_366 Depth=1
	v_add_u32_e32 v0, -7, v32
	v_cmp_gt_i32_e64 s[0:1], s30, v0
	v_add_u32_e32 v0, -6, v32
	v_cndmask_b32_e64 v63, 0, v63, s[0:1]
	v_cmp_gt_i32_e64 s[0:1], s30, v0
	v_add_u32_e32 v0, -5, v32
	v_cndmask_b32_e64 v24, 0, v24, s[0:1]
	;; [unrolled: 3-line block ×4, first 2 shown]
	v_cmp_gt_i32_e64 s[0:1], s30, v0
	buffer_load_dword v0, off, s[48:51], 0 offset:68 ; 4-byte Folded Reload
	s_waitcnt vmcnt(0)
	v_cndmask_b32_e64 v0, 0, v0, s[0:1]
	buffer_store_dword v0, off, s[48:51], 0 offset:68 ; 4-byte Folded Spill
	v_add_u32_e32 v0, -2, v32
	v_cmp_gt_i32_e64 s[0:1], s30, v0
	buffer_load_dword v0, off, s[48:51], 0 offset:72 ; 4-byte Folded Reload
	s_waitcnt vmcnt(0)
	v_cndmask_b32_e64 v0, 0, v0, s[0:1]
	buffer_store_dword v0, off, s[48:51], 0 offset:72 ; 4-byte Folded Spill
	v_add_u32_e32 v0, -1, v32
	v_cmp_gt_i32_e64 s[0:1], s30, v0
	buffer_load_dword v0, off, s[48:51], 0 offset:76 ; 4-byte Folded Reload
	s_waitcnt vmcnt(0)
	v_cndmask_b32_e64 v0, 0, v0, s[0:1]
	v_cmp_gt_i32_e64 s[0:1], s30, v32
	v_cndmask_b32_e64 v62, 0, v62, s[0:1]
	buffer_store_dword v0, off, s[48:51], 0 offset:76 ; 4-byte Folded Spill
.LBB324_516:                            ;   in Loop: Header=BB324_366 Depth=1
	s_or_b64 exec, exec, s[12:13]
	global_load_dwordx2 v[17:18], v[15:16], off offset:1536
	v_mov_b32_e32 v23, 0
	v_mov_b32_e32 v20, 0
	s_waitcnt vmcnt(0)
	v_cmp_ne_u16_sdwa s[0:1], v17, v10 src0_sel:BYTE_0 src1_sel:DWORD
	s_and_saveexec_b64 s[12:13], s[0:1]
	s_cbranch_execz .LBB324_522
; %bb.517:                              ;   in Loop: Header=BB324_366 Depth=1
	v_cmp_ne_u16_sdwa s[0:1], v17, s24 src0_sel:BYTE_0 src1_sel:DWORD
	v_bfrev_b32_e32 v20, 1
	s_and_saveexec_b64 s[14:15], s[0:1]
	s_cbranch_execz .LBB324_521
; %bb.518:                              ;   in Loop: Header=BB324_366 Depth=1
	v_and_b32_e32 v0, 0x7f, v17
	v_cmp_ne_u32_e64 s[0:1], s25, v0
	v_mov_b32_e32 v20, 0x7f800001
	s_and_saveexec_b64 s[16:17], s[0:1]
	s_cbranch_execz .LBB324_520
; %bb.519:                              ;   in Loop: Header=BB324_366 Depth=1
	v_and_b32_e32 v9, 7, v17
	v_lshrrev_b32_e32 v11, 3, v0
	v_cmp_gt_u32_e64 s[0:1], 8, v0
	v_ffbh_u32_e32 v0, v9
	v_min_u32_e32 v0, 32, v0
	v_subrev_u32_e32 v9, 28, v0
	v_sub_u32_e32 v0, 29, v0
	v_cndmask_b32_e64 v9, 0, v9, s[0:1]
	v_cndmask_b32_e64 v0, v11, v0, s[0:1]
	v_lshlrev_b64 v[11:12], v9, v[17:18]
	v_lshl_add_u32 v0, v0, 23, v57
	v_lshlrev_b32_e32 v9, 20, v11
	v_lshlrev_b32_e32 v11, 24, v17
	v_and_b32_e32 v9, 0x700000, v9
	v_and_b32_e32 v11, 0x80000000, v11
	v_or3_b32 v20, v11, v0, v9
.LBB324_520:                            ;   in Loop: Header=BB324_366 Depth=1
	s_or_b64 exec, exec, s[16:17]
.LBB324_521:                            ;   in Loop: Header=BB324_366 Depth=1
	s_or_b64 exec, exec, s[14:15]
.LBB324_522:                            ;   in Loop: Header=BB324_366 Depth=1
	s_or_b64 exec, exec, s[12:13]
	v_lshrrev_b16_e32 v9, 8, v17
	v_cmp_ne_u16_e64 s[0:1], 0, v9
	s_and_saveexec_b64 s[12:13], s[0:1]
	s_cbranch_execz .LBB324_528
; %bb.523:                              ;   in Loop: Header=BB324_366 Depth=1
	v_cmp_ne_u16_e64 s[0:1], s24, v9
	v_bfrev_b32_e32 v23, 1
	s_and_saveexec_b64 s[14:15], s[0:1]
	s_cbranch_execz .LBB324_527
; %bb.524:                              ;   in Loop: Header=BB324_366 Depth=1
	v_and_b32_e32 v0, 0x7f, v9
	v_cmp_ne_u32_e64 s[0:1], s25, v0
	v_mov_b32_e32 v23, 0x7f800001
	s_and_saveexec_b64 s[16:17], s[0:1]
	s_cbranch_execz .LBB324_526
; %bb.525:                              ;   in Loop: Header=BB324_366 Depth=1
	v_and_b32_e32 v19, 7, v9
	v_lshrrev_b32_e32 v21, 3, v0
	v_cmp_gt_u32_e64 s[0:1], 8, v0
	v_ffbh_u32_e32 v0, v19
	v_min_u32_e32 v0, 32, v0
	v_subrev_u32_e32 v11, 28, v0
	v_lshlrev_b64 v[11:12], v11, v[9:10]
	v_sub_u32_e32 v0, 29, v0
	v_and_b32_e32 v9, 7, v11
	v_cndmask_b32_e64 v0, v21, v0, s[0:1]
	v_cndmask_b32_e64 v9, v19, v9, s[0:1]
	v_lshlrev_b32_e32 v11, 16, v17
	v_lshlrev_b32_e32 v9, 20, v9
	v_and_b32_e32 v11, 0x80000000, v11
	v_lshl_add_u32 v0, v0, 23, v57
	v_or3_b32 v23, v11, v0, v9
.LBB324_526:                            ;   in Loop: Header=BB324_366 Depth=1
	s_or_b64 exec, exec, s[16:17]
.LBB324_527:                            ;   in Loop: Header=BB324_366 Depth=1
	s_or_b64 exec, exec, s[14:15]
.LBB324_528:                            ;   in Loop: Header=BB324_366 Depth=1
	s_or_b64 exec, exec, s[12:13]
	v_lshrrev_b32_e32 v9, 16, v17
	v_cmp_ne_u16_sdwa s[0:1], v9, v10 src0_sel:BYTE_0 src1_sel:DWORD
	v_mov_b32_e32 v12, 0
	v_mov_b32_e32 v11, 0
	s_and_saveexec_b64 s[12:13], s[0:1]
	s_cbranch_execz .LBB324_534
; %bb.529:                              ;   in Loop: Header=BB324_366 Depth=1
	v_cmp_ne_u16_sdwa s[0:1], v9, s24 src0_sel:BYTE_0 src1_sel:DWORD
	v_bfrev_b32_e32 v11, 1
	s_and_saveexec_b64 s[14:15], s[0:1]
	s_cbranch_execz .LBB324_533
; %bb.530:                              ;   in Loop: Header=BB324_366 Depth=1
	v_bfe_u32 v0, v17, 16, 7
	v_cmp_ne_u32_e64 s[0:1], s25, v0
	v_mov_b32_e32 v11, 0x7f800001
	s_and_saveexec_b64 s[16:17], s[0:1]
	s_cbranch_execz .LBB324_532
; %bb.531:                              ;   in Loop: Header=BB324_366 Depth=1
	v_and_b32_e32 v11, 7, v9
	v_lshrrev_b32_e32 v19, 3, v0
	v_cmp_gt_u32_e64 s[0:1], 8, v0
	v_ffbh_u32_e32 v0, v11
	v_min_u32_e32 v0, 32, v0
	v_subrev_u32_e32 v21, 28, v0
	v_lshlrev_b64 v[21:22], v21, v[9:10]
	v_sub_u32_e32 v0, 29, v0
	v_and_b32_e32 v21, 7, v21
	v_cndmask_b32_e64 v0, v19, v0, s[0:1]
	v_cndmask_b32_e64 v11, v11, v21, s[0:1]
	v_lshlrev_b32_e32 v9, 24, v9
	v_lshlrev_b32_e32 v11, 20, v11
	v_and_b32_e32 v9, 0x80000000, v9
	v_lshl_add_u32 v0, v0, 23, v57
	v_or3_b32 v11, v9, v0, v11
.LBB324_532:                            ;   in Loop: Header=BB324_366 Depth=1
	s_or_b64 exec, exec, s[16:17]
.LBB324_533:                            ;   in Loop: Header=BB324_366 Depth=1
	s_or_b64 exec, exec, s[14:15]
.LBB324_534:                            ;   in Loop: Header=BB324_366 Depth=1
	s_or_b64 exec, exec, s[12:13]
	v_cmp_lt_u32_e64 s[0:1], s5, v17
	s_and_saveexec_b64 s[12:13], s[0:1]
	s_cbranch_execz .LBB324_540
; %bb.535:                              ;   in Loop: Header=BB324_366 Depth=1
	v_lshrrev_b32_e32 v9, 24, v17
	v_cmp_ne_u32_e64 s[0:1], s24, v9
	v_bfrev_b32_e32 v12, 1
	s_and_saveexec_b64 s[14:15], s[0:1]
	s_cbranch_execz .LBB324_539
; %bb.536:                              ;   in Loop: Header=BB324_366 Depth=1
	v_bfe_u32 v0, v17, 24, 7
	v_cmp_ne_u32_e64 s[0:1], s25, v0
	v_mov_b32_e32 v12, 0x7f800001
	s_and_saveexec_b64 s[16:17], s[0:1]
	s_cbranch_execz .LBB324_538
; %bb.537:                              ;   in Loop: Header=BB324_366 Depth=1
	v_and_b32_e32 v12, 7, v9
	v_lshrrev_b32_e32 v19, 3, v0
	v_cmp_gt_u32_e64 s[0:1], 8, v0
	v_ffbh_u32_e32 v0, v12
	v_min_u32_e32 v0, 32, v0
	v_subrev_u32_e32 v21, 28, v0
	v_lshlrev_b64 v[21:22], v21, v[9:10]
	v_sub_u32_e32 v0, 29, v0
	v_and_b32_e32 v21, 7, v21
	v_cndmask_b32_e64 v0, v19, v0, s[0:1]
	v_cndmask_b32_e64 v12, v12, v21, s[0:1]
	v_lshlrev_b32_e32 v9, 24, v9
	v_lshlrev_b32_e32 v12, 20, v12
	v_and_b32_e32 v9, 0x80000000, v9
	v_lshl_add_u32 v0, v0, 23, v57
	v_or3_b32 v12, v9, v0, v12
.LBB324_538:                            ;   in Loop: Header=BB324_366 Depth=1
	s_or_b64 exec, exec, s[16:17]
.LBB324_539:                            ;   in Loop: Header=BB324_366 Depth=1
	s_or_b64 exec, exec, s[14:15]
.LBB324_540:                            ;   in Loop: Header=BB324_366 Depth=1
	s_or_b64 exec, exec, s[12:13]
	v_mov_b32_e32 v9, v18
	v_cmp_ne_u16_sdwa s[0:1], v18, v10 src0_sel:BYTE_0 src1_sel:DWORD
	v_mov_b32_e32 v0, 0
	v_mov_b32_e32 v21, 0
	s_and_saveexec_b64 s[12:13], s[0:1]
	s_cbranch_execz .LBB324_546
; %bb.541:                              ;   in Loop: Header=BB324_366 Depth=1
	v_cmp_ne_u16_sdwa s[0:1], v18, s24 src0_sel:BYTE_0 src1_sel:DWORD
	v_bfrev_b32_e32 v21, 1
	s_and_saveexec_b64 s[14:15], s[0:1]
	s_cbranch_execz .LBB324_545
; %bb.542:                              ;   in Loop: Header=BB324_366 Depth=1
	v_and_b32_e32 v19, 0x7f, v18
	v_cmp_ne_u32_e64 s[0:1], s25, v19
	v_mov_b32_e32 v21, 0x7f800001
	s_and_saveexec_b64 s[16:17], s[0:1]
	s_cbranch_execz .LBB324_544
; %bb.543:                              ;   in Loop: Header=BB324_366 Depth=1
	v_and_b32_e32 v21, 7, v18
	v_lshrrev_b32_e32 v22, 3, v19
	v_cmp_gt_u32_e64 s[0:1], 8, v19
	v_ffbh_u32_e32 v19, v21
	v_min_u32_e32 v19, 32, v19
	v_subrev_u32_e32 v21, 28, v19
	v_sub_u32_e32 v19, 29, v19
	v_cndmask_b32_e64 v21, 0, v21, s[0:1]
	v_cndmask_b32_e64 v19, v22, v19, s[0:1]
	v_lshlrev_b64 v[21:22], v21, v[9:10]
	v_lshlrev_b32_e32 v22, 24, v9
	v_lshlrev_b32_e32 v21, 20, v21
	v_and_b32_e32 v21, 0x700000, v21
	v_and_b32_e32 v22, 0x80000000, v22
	v_lshl_add_u32 v19, v19, 23, v57
	v_or3_b32 v21, v22, v19, v21
.LBB324_544:                            ;   in Loop: Header=BB324_366 Depth=1
	s_or_b64 exec, exec, s[16:17]
.LBB324_545:                            ;   in Loop: Header=BB324_366 Depth=1
	s_or_b64 exec, exec, s[14:15]
.LBB324_546:                            ;   in Loop: Header=BB324_366 Depth=1
	s_or_b64 exec, exec, s[12:13]
	v_lshrrev_b16_e32 v19, 8, v9
	v_cmp_ne_u16_e64 s[0:1], 0, v19
	s_and_saveexec_b64 s[12:13], s[0:1]
	s_cbranch_execz .LBB324_552
; %bb.547:                              ;   in Loop: Header=BB324_366 Depth=1
	v_cmp_ne_u16_e64 s[0:1], s24, v19
	v_bfrev_b32_e32 v0, 1
	s_and_saveexec_b64 s[14:15], s[0:1]
	s_cbranch_execz .LBB324_551
; %bb.548:                              ;   in Loop: Header=BB324_366 Depth=1
	v_and_b32_e32 v34, 0x7f, v19
	v_cmp_ne_u32_e64 s[0:1], s25, v34
	v_mov_b32_e32 v0, 0x7f800001
	s_and_saveexec_b64 s[16:17], s[0:1]
	s_cbranch_execz .LBB324_550
; %bb.549:                              ;   in Loop: Header=BB324_366 Depth=1
	v_and_b32_e32 v0, 7, v19
	v_lshrrev_b32_e32 v22, 3, v34
	v_cmp_gt_u32_e64 s[0:1], 8, v34
	v_ffbh_u32_e32 v34, v0
	v_min_u32_e32 v36, 32, v34
	v_subrev_u32_e32 v34, 28, v36
	v_lshlrev_b64 v[34:35], v34, v[19:20]
	v_sub_u32_e32 v19, 29, v36
	v_and_b32_e32 v34, 7, v34
	v_cndmask_b32_e64 v19, v22, v19, s[0:1]
	v_cndmask_b32_e64 v0, v0, v34, s[0:1]
	v_lshlrev_b32_e32 v9, 16, v9
	v_lshlrev_b32_e32 v0, 20, v0
	v_and_b32_e32 v9, 0x80000000, v9
	v_lshl_add_u32 v19, v19, 23, v57
	v_or3_b32 v0, v9, v19, v0
.LBB324_550:                            ;   in Loop: Header=BB324_366 Depth=1
	s_or_b64 exec, exec, s[16:17]
.LBB324_551:                            ;   in Loop: Header=BB324_366 Depth=1
	s_or_b64 exec, exec, s[14:15]
.LBB324_552:                            ;   in Loop: Header=BB324_366 Depth=1
	s_or_b64 exec, exec, s[12:13]
	v_lshrrev_b32_e32 v9, 16, v18
	v_cmp_ne_u16_sdwa s[0:1], v9, v10 src0_sel:BYTE_0 src1_sel:DWORD
	v_mov_b32_e32 v19, 0
	v_mov_b32_e32 v34, 0
	s_and_saveexec_b64 s[12:13], s[0:1]
	s_cbranch_execz .LBB324_558
; %bb.553:                              ;   in Loop: Header=BB324_366 Depth=1
	v_cmp_ne_u16_sdwa s[0:1], v9, s24 src0_sel:BYTE_0 src1_sel:DWORD
	v_bfrev_b32_e32 v34, 1
	s_and_saveexec_b64 s[14:15], s[0:1]
	s_cbranch_execz .LBB324_557
; %bb.554:                              ;   in Loop: Header=BB324_366 Depth=1
	v_bfe_u32 v35, v18, 16, 7
	v_cmp_ne_u32_e64 s[0:1], s25, v35
	v_mov_b32_e32 v34, 0x7f800001
	s_and_saveexec_b64 s[16:17], s[0:1]
	s_cbranch_execz .LBB324_556
; %bb.555:                              ;   in Loop: Header=BB324_366 Depth=1
	v_and_b32_e32 v22, 7, v9
	v_ffbh_u32_e32 v34, v22
	v_min_u32_e32 v37, 32, v34
	v_subrev_u32_e32 v34, 28, v37
	v_lshrrev_b32_e32 v36, 3, v35
	v_cmp_gt_u32_e64 s[0:1], 8, v35
	v_lshlrev_b64 v[34:35], v34, v[9:10]
	v_sub_u32_e32 v35, 29, v37
	v_and_b32_e32 v34, 7, v34
	v_cndmask_b32_e64 v35, v36, v35, s[0:1]
	v_cndmask_b32_e64 v22, v22, v34, s[0:1]
	v_lshlrev_b32_e32 v9, 24, v9
	v_lshlrev_b32_e32 v22, 20, v22
	v_and_b32_e32 v9, 0x80000000, v9
	v_lshl_add_u32 v34, v35, 23, v57
	v_or3_b32 v34, v9, v34, v22
.LBB324_556:                            ;   in Loop: Header=BB324_366 Depth=1
	s_or_b64 exec, exec, s[16:17]
.LBB324_557:                            ;   in Loop: Header=BB324_366 Depth=1
	s_or_b64 exec, exec, s[14:15]
.LBB324_558:                            ;   in Loop: Header=BB324_366 Depth=1
	s_or_b64 exec, exec, s[12:13]
	v_cmp_lt_u64_e64 s[0:1], s[4:5], v[17:18]
	s_and_saveexec_b64 s[12:13], s[0:1]
	s_cbranch_execz .LBB324_564
; %bb.559:                              ;   in Loop: Header=BB324_366 Depth=1
	v_lshrrev_b32_e32 v9, 24, v18
	v_cmp_ne_u32_e64 s[0:1], s24, v9
	v_bfrev_b32_e32 v19, 1
	s_and_saveexec_b64 s[14:15], s[0:1]
	s_cbranch_execz .LBB324_563
; %bb.560:                              ;   in Loop: Header=BB324_366 Depth=1
	v_bfe_u32 v17, v18, 24, 7
	v_cmp_ne_u32_e64 s[0:1], s25, v17
	v_mov_b32_e32 v19, 0x7f800001
	s_and_saveexec_b64 s[16:17], s[0:1]
	s_cbranch_execz .LBB324_562
; %bb.561:                              ;   in Loop: Header=BB324_366 Depth=1
	v_and_b32_e32 v19, 7, v9
	v_lshrrev_b32_e32 v22, 3, v17
	v_cmp_gt_u32_e64 s[0:1], 8, v17
	v_ffbh_u32_e32 v17, v19
	v_min_u32_e32 v35, 32, v17
	v_subrev_u32_e32 v17, 28, v35
	v_lshlrev_b64 v[17:18], v17, v[9:10]
	v_sub_u32_e32 v18, 29, v35
	v_and_b32_e32 v17, 7, v17
	v_cndmask_b32_e64 v18, v22, v18, s[0:1]
	v_cndmask_b32_e64 v17, v19, v17, s[0:1]
	v_lshlrev_b32_e32 v9, 24, v9
	v_lshlrev_b32_e32 v17, 20, v17
	v_and_b32_e32 v9, 0x80000000, v9
	v_lshl_add_u32 v18, v18, 23, v57
	v_or3_b32 v19, v9, v18, v17
.LBB324_562:                            ;   in Loop: Header=BB324_366 Depth=1
	s_or_b64 exec, exec, s[16:17]
.LBB324_563:                            ;   in Loop: Header=BB324_366 Depth=1
	s_or_b64 exec, exec, s[14:15]
.LBB324_564:                            ;   in Loop: Header=BB324_366 Depth=1
	s_or_b64 exec, exec, s[12:13]
	v_mul_f32_e32 v0, s18, v0
	v_bfe_u32 v9, v0, 16, 1
	v_add3_u32 v9, v9, v0, s26
	v_or_b32_e32 v17, 0x400000, v0
	v_cmp_u_f32_e64 s[0:1], v0, v0
	v_cndmask_b32_e64 v0, v9, v17, s[0:1]
	v_mul_f32_e32 v9, s18, v21
	v_bfe_u32 v17, v9, 16, 1
	v_add3_u32 v17, v17, v9, s26
	v_or_b32_e32 v18, 0x400000, v9
	v_cmp_u_f32_e64 s[0:1], v9, v9
	v_cndmask_b32_e64 v9, v17, v18, s[0:1]
	v_lshrrev_b32_e32 v21, 16, v9
	v_mul_f32_e32 v9, s18, v12
	v_bfe_u32 v12, v9, 16, 1
	v_add3_u32 v12, v12, v9, s26
	v_or_b32_e32 v17, 0x400000, v9
	v_cmp_u_f32_e64 s[0:1], v9, v9
	v_cndmask_b32_e64 v9, v12, v17, s[0:1]
	v_lshrrev_b32_e32 v12, 16, v9
	v_mul_f32_e32 v9, s18, v11
	v_bfe_u32 v11, v9, 16, 1
	v_add3_u32 v11, v11, v9, s26
	v_or_b32_e32 v17, 0x400000, v9
	v_cmp_u_f32_e64 s[0:1], v9, v9
	v_cndmask_b32_e64 v9, v11, v17, s[0:1]
	v_lshrrev_b32_e32 v11, 16, v9
	v_mul_f32_e32 v9, s18, v23
	v_bfe_u32 v17, v9, 16, 1
	v_add3_u32 v17, v17, v9, s26
	v_or_b32_e32 v18, 0x400000, v9
	v_cmp_u_f32_e64 s[0:1], v9, v9
	v_cndmask_b32_e64 v9, v17, v18, s[0:1]
	v_lshrrev_b32_e32 v50, 16, v9
	v_mul_f32_e32 v9, s18, v20
	v_bfe_u32 v17, v9, 16, 1
	v_add3_u32 v17, v17, v9, s26
	v_or_b32_e32 v18, 0x400000, v9
	v_cmp_u_f32_e64 s[0:1], v9, v9
	v_cndmask_b32_e64 v9, v17, v18, s[0:1]
	v_lshrrev_b32_e32 v49, 16, v9
	v_mul_f32_e32 v9, s18, v34
	v_bfe_u32 v17, v9, 16, 1
	v_add3_u32 v17, v17, v9, s26
	v_or_b32_e32 v18, 0x400000, v9
	v_cmp_u_f32_e64 s[0:1], v9, v9
	v_cndmask_b32_e64 v9, v17, v18, s[0:1]
	v_lshrrev_b32_e32 v23, 16, v9
	v_mul_f32_e32 v9, s18, v19
	v_bfe_u32 v17, v9, 16, 1
	v_add3_u32 v17, v17, v9, s26
	v_or_b32_e32 v18, 0x400000, v9
	v_cmp_u_f32_e64 s[0:1], v9, v9
	v_cndmask_b32_e64 v9, v17, v18, s[0:1]
	v_lshrrev_b32_e32 v0, 16, v0
	v_lshrrev_b32_e32 v20, 16, v9
	s_and_saveexec_b64 s[12:13], vcc
	s_cbranch_execz .LBB324_566
; %bb.565:                              ;   in Loop: Header=BB324_366 Depth=1
	v_add_u32_e32 v9, -7, v32
	v_cmp_gt_i32_e64 s[0:1], s30, v9
	v_add_u32_e32 v9, -6, v32
	v_cndmask_b32_e64 v49, 0, v49, s[0:1]
	v_cmp_gt_i32_e64 s[0:1], s30, v9
	v_add_u32_e32 v9, -5, v32
	v_cndmask_b32_e64 v50, 0, v50, s[0:1]
	;; [unrolled: 3-line block ×6, first 2 shown]
	v_cmp_gt_i32_e64 s[0:1], s30, v9
	v_cndmask_b32_e64 v23, 0, v23, s[0:1]
	v_cmp_gt_i32_e64 s[0:1], s30, v32
	v_cndmask_b32_e64 v20, 0, v20, s[0:1]
.LBB324_566:                            ;   in Loop: Header=BB324_366 Depth=1
	s_or_b64 exec, exec, s[12:13]
	global_load_dwordx2 v[17:18], v[15:16], off offset:2048
	v_mov_b32_e32 v36, 0
	v_mov_b32_e32 v34, 0
	s_waitcnt vmcnt(0)
	v_cmp_ne_u16_sdwa s[0:1], v17, v10 src0_sel:BYTE_0 src1_sel:DWORD
	s_and_saveexec_b64 s[12:13], s[0:1]
	s_cbranch_execz .LBB324_572
; %bb.567:                              ;   in Loop: Header=BB324_366 Depth=1
	v_cmp_ne_u16_sdwa s[0:1], v17, s24 src0_sel:BYTE_0 src1_sel:DWORD
	v_bfrev_b32_e32 v34, 1
	s_and_saveexec_b64 s[14:15], s[0:1]
	s_cbranch_execz .LBB324_571
; %bb.568:                              ;   in Loop: Header=BB324_366 Depth=1
	v_and_b32_e32 v9, 0x7f, v17
	v_cmp_ne_u32_e64 s[0:1], s25, v9
	v_mov_b32_e32 v34, 0x7f800001
	s_and_saveexec_b64 s[16:17], s[0:1]
	s_cbranch_execz .LBB324_570
; %bb.569:                              ;   in Loop: Header=BB324_366 Depth=1
	v_and_b32_e32 v19, 7, v17
	v_lshrrev_b32_e32 v22, 3, v9
	v_cmp_gt_u32_e64 s[0:1], 8, v9
	v_ffbh_u32_e32 v9, v19
	v_min_u32_e32 v9, 32, v9
	v_subrev_u32_e32 v19, 28, v9
	v_cndmask_b32_e64 v19, 0, v19, s[0:1]
	v_lshlrev_b64 v[34:35], v19, v[17:18]
	v_sub_u32_e32 v9, 29, v9
	v_cndmask_b32_e64 v9, v22, v9, s[0:1]
	v_lshlrev_b32_e32 v19, 20, v34
	v_lshlrev_b32_e32 v22, 24, v17
	v_and_b32_e32 v19, 0x700000, v19
	v_and_b32_e32 v22, 0x80000000, v22
	v_lshl_add_u32 v9, v9, 23, v57
	v_or3_b32 v34, v22, v9, v19
.LBB324_570:                            ;   in Loop: Header=BB324_366 Depth=1
	s_or_b64 exec, exec, s[16:17]
.LBB324_571:                            ;   in Loop: Header=BB324_366 Depth=1
	s_or_b64 exec, exec, s[14:15]
.LBB324_572:                            ;   in Loop: Header=BB324_366 Depth=1
	s_or_b64 exec, exec, s[12:13]
	v_lshrrev_b16_e32 v9, 8, v17
	v_cmp_ne_u16_e64 s[0:1], 0, v9
	s_and_saveexec_b64 s[12:13], s[0:1]
	s_cbranch_execz .LBB324_578
; %bb.573:                              ;   in Loop: Header=BB324_366 Depth=1
	v_cmp_ne_u16_e64 s[0:1], s24, v9
	v_bfrev_b32_e32 v36, 1
	s_and_saveexec_b64 s[14:15], s[0:1]
	s_cbranch_execz .LBB324_577
; %bb.574:                              ;   in Loop: Header=BB324_366 Depth=1
	v_and_b32_e32 v19, 0x7f, v9
	v_cmp_ne_u32_e64 s[0:1], s25, v19
	v_mov_b32_e32 v36, 0x7f800001
	s_and_saveexec_b64 s[16:17], s[0:1]
	s_cbranch_execz .LBB324_576
; %bb.575:                              ;   in Loop: Header=BB324_366 Depth=1
	v_and_b32_e32 v22, 7, v9
	v_lshrrev_b32_e32 v37, 3, v19
	v_cmp_gt_u32_e64 s[0:1], 8, v19
	v_ffbh_u32_e32 v19, v22
	v_min_u32_e32 v19, 32, v19
	v_subrev_u32_e32 v35, 28, v19
	v_lshlrev_b64 v[35:36], v35, v[9:10]
	v_sub_u32_e32 v9, 29, v19
	v_and_b32_e32 v19, 7, v35
	v_cndmask_b32_e64 v9, v37, v9, s[0:1]
	v_cndmask_b32_e64 v19, v22, v19, s[0:1]
	v_lshlrev_b32_e32 v22, 16, v17
	v_lshlrev_b32_e32 v19, 20, v19
	v_and_b32_e32 v22, 0x80000000, v22
	v_lshl_add_u32 v9, v9, 23, v57
	v_or3_b32 v36, v22, v9, v19
.LBB324_576:                            ;   in Loop: Header=BB324_366 Depth=1
	s_or_b64 exec, exec, s[16:17]
.LBB324_577:                            ;   in Loop: Header=BB324_366 Depth=1
	s_or_b64 exec, exec, s[14:15]
.LBB324_578:                            ;   in Loop: Header=BB324_366 Depth=1
	s_or_b64 exec, exec, s[12:13]
	v_lshrrev_b32_e32 v9, 16, v17
	v_cmp_ne_u16_sdwa s[0:1], v9, v10 src0_sel:BYTE_0 src1_sel:DWORD
	v_mov_b32_e32 v35, 0
	v_mov_b32_e32 v37, 0
	s_and_saveexec_b64 s[12:13], s[0:1]
	s_cbranch_execz .LBB324_584
; %bb.579:                              ;   in Loop: Header=BB324_366 Depth=1
	v_cmp_ne_u16_sdwa s[0:1], v9, s24 src0_sel:BYTE_0 src1_sel:DWORD
	v_bfrev_b32_e32 v37, 1
	s_and_saveexec_b64 s[14:15], s[0:1]
	s_cbranch_execz .LBB324_583
; %bb.580:                              ;   in Loop: Header=BB324_366 Depth=1
	v_bfe_u32 v19, v17, 16, 7
	v_cmp_ne_u32_e64 s[0:1], s25, v19
	v_mov_b32_e32 v37, 0x7f800001
	s_and_saveexec_b64 s[16:17], s[0:1]
	s_cbranch_execz .LBB324_582
; %bb.581:                              ;   in Loop: Header=BB324_366 Depth=1
	v_and_b32_e32 v22, 7, v9
	v_lshrrev_b32_e32 v39, 3, v19
	v_cmp_gt_u32_e64 s[0:1], 8, v19
	v_ffbh_u32_e32 v19, v22
	v_min_u32_e32 v19, 32, v19
	v_subrev_u32_e32 v37, 28, v19
	v_lshlrev_b64 v[37:38], v37, v[9:10]
	v_sub_u32_e32 v19, 29, v19
	v_and_b32_e32 v37, 7, v37
	v_cndmask_b32_e64 v19, v39, v19, s[0:1]
	v_cndmask_b32_e64 v22, v22, v37, s[0:1]
	v_lshlrev_b32_e32 v9, 24, v9
	v_lshlrev_b32_e32 v22, 20, v22
	v_and_b32_e32 v9, 0x80000000, v9
	v_lshl_add_u32 v19, v19, 23, v57
	v_or3_b32 v37, v9, v19, v22
.LBB324_582:                            ;   in Loop: Header=BB324_366 Depth=1
	s_or_b64 exec, exec, s[16:17]
.LBB324_583:                            ;   in Loop: Header=BB324_366 Depth=1
	s_or_b64 exec, exec, s[14:15]
.LBB324_584:                            ;   in Loop: Header=BB324_366 Depth=1
	s_or_b64 exec, exec, s[12:13]
	v_cmp_lt_u32_e64 s[0:1], s5, v17
	s_and_saveexec_b64 s[12:13], s[0:1]
	s_cbranch_execz .LBB324_590
; %bb.585:                              ;   in Loop: Header=BB324_366 Depth=1
	v_lshrrev_b32_e32 v9, 24, v17
	v_cmp_ne_u32_e64 s[0:1], s24, v9
	v_bfrev_b32_e32 v35, 1
	s_and_saveexec_b64 s[14:15], s[0:1]
	s_cbranch_execz .LBB324_589
; %bb.586:                              ;   in Loop: Header=BB324_366 Depth=1
	v_bfe_u32 v19, v17, 24, 7
	v_cmp_ne_u32_e64 s[0:1], s25, v19
	v_mov_b32_e32 v35, 0x7f800001
	s_and_saveexec_b64 s[16:17], s[0:1]
	s_cbranch_execz .LBB324_588
; %bb.587:                              ;   in Loop: Header=BB324_366 Depth=1
	v_and_b32_e32 v22, 7, v9
	v_lshrrev_b32_e32 v35, 3, v19
	v_cmp_gt_u32_e64 s[0:1], 8, v19
	v_ffbh_u32_e32 v19, v22
	v_min_u32_e32 v19, 32, v19
	v_subrev_u32_e32 v38, 28, v19
	v_lshlrev_b64 v[38:39], v38, v[9:10]
	v_sub_u32_e32 v19, 29, v19
	v_and_b32_e32 v38, 7, v38
	v_cndmask_b32_e64 v19, v35, v19, s[0:1]
	v_cndmask_b32_e64 v22, v22, v38, s[0:1]
	v_lshlrev_b32_e32 v9, 24, v9
	v_lshlrev_b32_e32 v22, 20, v22
	v_and_b32_e32 v9, 0x80000000, v9
	v_lshl_add_u32 v19, v19, 23, v57
	v_or3_b32 v35, v9, v19, v22
.LBB324_588:                            ;   in Loop: Header=BB324_366 Depth=1
	s_or_b64 exec, exec, s[16:17]
.LBB324_589:                            ;   in Loop: Header=BB324_366 Depth=1
	s_or_b64 exec, exec, s[14:15]
.LBB324_590:                            ;   in Loop: Header=BB324_366 Depth=1
	s_or_b64 exec, exec, s[12:13]
	v_mov_b32_e32 v9, v18
	v_cmp_ne_u16_sdwa s[0:1], v18, v10 src0_sel:BYTE_0 src1_sel:DWORD
	v_mov_b32_e32 v39, 0
	v_mov_b32_e32 v38, 0
	s_and_saveexec_b64 s[12:13], s[0:1]
	s_cbranch_execz .LBB324_596
; %bb.591:                              ;   in Loop: Header=BB324_366 Depth=1
	v_cmp_ne_u16_sdwa s[0:1], v18, s24 src0_sel:BYTE_0 src1_sel:DWORD
	v_bfrev_b32_e32 v38, 1
	s_and_saveexec_b64 s[14:15], s[0:1]
	s_cbranch_execz .LBB324_595
; %bb.592:                              ;   in Loop: Header=BB324_366 Depth=1
	v_and_b32_e32 v19, 0x7f, v18
	v_cmp_ne_u32_e64 s[0:1], s25, v19
	v_mov_b32_e32 v38, 0x7f800001
	s_and_saveexec_b64 s[16:17], s[0:1]
	s_cbranch_execz .LBB324_594
; %bb.593:                              ;   in Loop: Header=BB324_366 Depth=1
	v_and_b32_e32 v22, 7, v18
	v_lshrrev_b32_e32 v38, 3, v19
	v_cmp_gt_u32_e64 s[0:1], 8, v19
	v_ffbh_u32_e32 v19, v22
	v_min_u32_e32 v19, 32, v19
	v_subrev_u32_e32 v22, 28, v19
	v_cndmask_b32_e64 v22, 0, v22, s[0:1]
	v_lshlrev_b64 v[40:41], v22, v[9:10]
	v_sub_u32_e32 v19, 29, v19
	v_cndmask_b32_e64 v19, v38, v19, s[0:1]
	v_lshlrev_b32_e32 v22, 20, v40
	v_lshlrev_b32_e32 v38, 24, v9
	v_and_b32_e32 v22, 0x700000, v22
	v_and_b32_e32 v38, 0x80000000, v38
	v_lshl_add_u32 v19, v19, 23, v57
	v_or3_b32 v38, v38, v19, v22
.LBB324_594:                            ;   in Loop: Header=BB324_366 Depth=1
	s_or_b64 exec, exec, s[16:17]
.LBB324_595:                            ;   in Loop: Header=BB324_366 Depth=1
	s_or_b64 exec, exec, s[14:15]
.LBB324_596:                            ;   in Loop: Header=BB324_366 Depth=1
	s_or_b64 exec, exec, s[12:13]
	v_lshrrev_b16_e32 v19, 8, v9
	v_cmp_ne_u16_e64 s[0:1], 0, v19
	s_and_saveexec_b64 s[12:13], s[0:1]
	s_cbranch_execz .LBB324_602
; %bb.597:                              ;   in Loop: Header=BB324_366 Depth=1
	v_cmp_ne_u16_e64 s[0:1], s24, v19
	v_bfrev_b32_e32 v39, 1
	s_and_saveexec_b64 s[14:15], s[0:1]
	s_cbranch_execz .LBB324_601
; %bb.598:                              ;   in Loop: Header=BB324_366 Depth=1
	v_and_b32_e32 v40, 0x7f, v19
	v_cmp_ne_u32_e64 s[0:1], s25, v40
	v_mov_b32_e32 v39, 0x7f800001
	s_and_saveexec_b64 s[16:17], s[0:1]
	s_cbranch_execz .LBB324_600
; %bb.599:                              ;   in Loop: Header=BB324_366 Depth=1
	v_and_b32_e32 v22, 7, v19
	v_ffbh_u32_e32 v39, v22
	v_min_u32_e32 v42, 32, v39
	v_subrev_u32_e32 v39, 28, v42
	v_lshrrev_b32_e32 v41, 3, v40
	v_cmp_gt_u32_e64 s[0:1], 8, v40
	v_lshlrev_b64 v[39:40], v39, v[19:20]
	v_sub_u32_e32 v19, 29, v42
	v_and_b32_e32 v39, 7, v39
	v_cndmask_b32_e64 v19, v41, v19, s[0:1]
	v_cndmask_b32_e64 v22, v22, v39, s[0:1]
	v_lshlrev_b32_e32 v9, 16, v9
	v_lshlrev_b32_e32 v22, 20, v22
	v_and_b32_e32 v9, 0x80000000, v9
	v_lshl_add_u32 v19, v19, 23, v57
	v_or3_b32 v39, v9, v19, v22
.LBB324_600:                            ;   in Loop: Header=BB324_366 Depth=1
	s_or_b64 exec, exec, s[16:17]
.LBB324_601:                            ;   in Loop: Header=BB324_366 Depth=1
	s_or_b64 exec, exec, s[14:15]
.LBB324_602:                            ;   in Loop: Header=BB324_366 Depth=1
	s_or_b64 exec, exec, s[12:13]
	v_lshrrev_b32_e32 v9, 16, v18
	v_cmp_ne_u16_sdwa s[0:1], v9, v10 src0_sel:BYTE_0 src1_sel:DWORD
	v_mov_b32_e32 v19, 0
	v_mov_b32_e32 v40, 0
	s_and_saveexec_b64 s[12:13], s[0:1]
	s_cbranch_execz .LBB324_608
; %bb.603:                              ;   in Loop: Header=BB324_366 Depth=1
	v_cmp_ne_u16_sdwa s[0:1], v9, s24 src0_sel:BYTE_0 src1_sel:DWORD
	v_bfrev_b32_e32 v40, 1
	s_and_saveexec_b64 s[14:15], s[0:1]
	s_cbranch_execz .LBB324_607
; %bb.604:                              ;   in Loop: Header=BB324_366 Depth=1
	v_bfe_u32 v41, v18, 16, 7
	v_cmp_ne_u32_e64 s[0:1], s25, v41
	v_mov_b32_e32 v40, 0x7f800001
	s_and_saveexec_b64 s[16:17], s[0:1]
	s_cbranch_execz .LBB324_606
; %bb.605:                              ;   in Loop: Header=BB324_366 Depth=1
	v_and_b32_e32 v22, 7, v9
	v_ffbh_u32_e32 v40, v22
	v_min_u32_e32 v43, 32, v40
	v_subrev_u32_e32 v40, 28, v43
	v_lshrrev_b32_e32 v42, 3, v41
	v_cmp_gt_u32_e64 s[0:1], 8, v41
	v_lshlrev_b64 v[40:41], v40, v[9:10]
	v_sub_u32_e32 v41, 29, v43
	v_and_b32_e32 v40, 7, v40
	v_cndmask_b32_e64 v41, v42, v41, s[0:1]
	v_cndmask_b32_e64 v22, v22, v40, s[0:1]
	v_lshlrev_b32_e32 v9, 24, v9
	v_lshlrev_b32_e32 v22, 20, v22
	v_and_b32_e32 v9, 0x80000000, v9
	v_lshl_add_u32 v40, v41, 23, v57
	v_or3_b32 v40, v9, v40, v22
.LBB324_606:                            ;   in Loop: Header=BB324_366 Depth=1
	s_or_b64 exec, exec, s[16:17]
.LBB324_607:                            ;   in Loop: Header=BB324_366 Depth=1
	s_or_b64 exec, exec, s[14:15]
.LBB324_608:                            ;   in Loop: Header=BB324_366 Depth=1
	s_or_b64 exec, exec, s[12:13]
	v_cmp_lt_u64_e64 s[0:1], s[4:5], v[17:18]
	s_and_saveexec_b64 s[12:13], s[0:1]
	s_cbranch_execz .LBB324_614
; %bb.609:                              ;   in Loop: Header=BB324_366 Depth=1
	v_lshrrev_b32_e32 v9, 24, v18
	v_cmp_ne_u32_e64 s[0:1], s24, v9
	v_bfrev_b32_e32 v19, 1
	s_and_saveexec_b64 s[14:15], s[0:1]
	s_cbranch_execz .LBB324_613
; %bb.610:                              ;   in Loop: Header=BB324_366 Depth=1
	v_bfe_u32 v17, v18, 24, 7
	v_cmp_ne_u32_e64 s[0:1], s25, v17
	v_mov_b32_e32 v19, 0x7f800001
	s_and_saveexec_b64 s[16:17], s[0:1]
	s_cbranch_execz .LBB324_612
; %bb.611:                              ;   in Loop: Header=BB324_366 Depth=1
	v_and_b32_e32 v19, 7, v9
	v_lshrrev_b32_e32 v22, 3, v17
	v_cmp_gt_u32_e64 s[0:1], 8, v17
	v_ffbh_u32_e32 v17, v19
	v_min_u32_e32 v41, 32, v17
	v_subrev_u32_e32 v17, 28, v41
	v_lshlrev_b64 v[17:18], v17, v[9:10]
	v_sub_u32_e32 v18, 29, v41
	v_and_b32_e32 v17, 7, v17
	v_cndmask_b32_e64 v18, v22, v18, s[0:1]
	v_cndmask_b32_e64 v17, v19, v17, s[0:1]
	v_lshlrev_b32_e32 v9, 24, v9
	v_lshlrev_b32_e32 v17, 20, v17
	v_and_b32_e32 v9, 0x80000000, v9
	v_lshl_add_u32 v18, v18, 23, v57
	v_or3_b32 v19, v9, v18, v17
.LBB324_612:                            ;   in Loop: Header=BB324_366 Depth=1
	s_or_b64 exec, exec, s[16:17]
.LBB324_613:                            ;   in Loop: Header=BB324_366 Depth=1
	s_or_b64 exec, exec, s[14:15]
.LBB324_614:                            ;   in Loop: Header=BB324_366 Depth=1
	s_or_b64 exec, exec, s[12:13]
	v_mul_f32_e32 v9, s18, v39
	v_bfe_u32 v17, v9, 16, 1
	v_add3_u32 v17, v17, v9, s26
	v_or_b32_e32 v18, 0x400000, v9
	v_cmp_u_f32_e64 s[0:1], v9, v9
	v_cndmask_b32_e64 v9, v17, v18, s[0:1]
	v_lshrrev_b32_e32 v52, 16, v9
	v_mul_f32_e32 v9, s18, v38
	v_bfe_u32 v17, v9, 16, 1
	v_add3_u32 v17, v17, v9, s26
	v_or_b32_e32 v18, 0x400000, v9
	v_cmp_u_f32_e64 s[0:1], v9, v9
	v_cndmask_b32_e64 v9, v17, v18, s[0:1]
	v_lshrrev_b32_e32 v51, 16, v9
	;; [unrolled: 7-line block ×8, first 2 shown]
	s_and_saveexec_b64 s[12:13], vcc
	s_cbranch_execz .LBB324_616
; %bb.615:                              ;   in Loop: Header=BB324_366 Depth=1
	v_add_u32_e32 v9, -7, v32
	v_cmp_gt_i32_e64 s[0:1], s30, v9
	v_add_u32_e32 v9, -6, v32
	v_cndmask_b32_e64 v37, 0, v37, s[0:1]
	v_cmp_gt_i32_e64 s[0:1], s30, v9
	v_add_u32_e32 v9, -5, v32
	v_cndmask_b32_e64 v38, 0, v38, s[0:1]
	v_cmp_gt_i32_e64 s[0:1], s30, v9
	v_add_u32_e32 v9, -4, v32
	v_cndmask_b32_e64 v54, 0, v54, s[0:1]
	v_cmp_gt_i32_e64 s[0:1], s30, v9
	v_add_u32_e32 v9, -3, v32
	v_cndmask_b32_e64 v35, 0, v35, s[0:1]
	v_cmp_gt_i32_e64 s[0:1], s30, v9
	v_add_u32_e32 v9, -2, v32
	v_cndmask_b32_e64 v51, 0, v51, s[0:1]
	v_cmp_gt_i32_e64 s[0:1], s30, v9
	v_add_u32_e32 v9, -1, v32
	v_cndmask_b32_e64 v52, 0, v52, s[0:1]
	v_cmp_gt_i32_e64 s[0:1], s30, v9
	v_cndmask_b32_e64 v53, 0, v53, s[0:1]
	v_cmp_gt_i32_e64 s[0:1], s30, v32
	v_cndmask_b32_e64 v36, 0, v36, s[0:1]
.LBB324_616:                            ;   in Loop: Header=BB324_366 Depth=1
	s_or_b64 exec, exec, s[12:13]
	global_load_dwordx2 v[17:18], v[15:16], off offset:2560
	v_mov_b32_e32 v39, 0
	v_mov_b32_e32 v34, 0
	s_waitcnt vmcnt(0)
	v_cmp_ne_u16_sdwa s[0:1], v17, v10 src0_sel:BYTE_0 src1_sel:DWORD
	s_and_saveexec_b64 s[12:13], s[0:1]
	s_cbranch_execz .LBB324_622
; %bb.617:                              ;   in Loop: Header=BB324_366 Depth=1
	v_cmp_ne_u16_sdwa s[0:1], v17, s24 src0_sel:BYTE_0 src1_sel:DWORD
	v_bfrev_b32_e32 v34, 1
	s_and_saveexec_b64 s[14:15], s[0:1]
	s_cbranch_execz .LBB324_621
; %bb.618:                              ;   in Loop: Header=BB324_366 Depth=1
	v_and_b32_e32 v9, 0x7f, v17
	v_cmp_ne_u32_e64 s[0:1], s25, v9
	v_mov_b32_e32 v34, 0x7f800001
	s_and_saveexec_b64 s[16:17], s[0:1]
	s_cbranch_execz .LBB324_620
; %bb.619:                              ;   in Loop: Header=BB324_366 Depth=1
	v_and_b32_e32 v19, 7, v17
	v_lshrrev_b32_e32 v22, 3, v9
	v_cmp_gt_u32_e64 s[0:1], 8, v9
	v_ffbh_u32_e32 v9, v19
	v_min_u32_e32 v9, 32, v9
	v_subrev_u32_e32 v19, 28, v9
	v_cndmask_b32_e64 v19, 0, v19, s[0:1]
	v_lshlrev_b64 v[40:41], v19, v[17:18]
	v_sub_u32_e32 v9, 29, v9
	v_cndmask_b32_e64 v9, v22, v9, s[0:1]
	v_lshlrev_b32_e32 v19, 20, v40
	v_lshlrev_b32_e32 v22, 24, v17
	v_and_b32_e32 v19, 0x700000, v19
	v_and_b32_e32 v22, 0x80000000, v22
	v_lshl_add_u32 v9, v9, 23, v57
	v_or3_b32 v34, v22, v9, v19
.LBB324_620:                            ;   in Loop: Header=BB324_366 Depth=1
	s_or_b64 exec, exec, s[16:17]
.LBB324_621:                            ;   in Loop: Header=BB324_366 Depth=1
	s_or_b64 exec, exec, s[14:15]
.LBB324_622:                            ;   in Loop: Header=BB324_366 Depth=1
	s_or_b64 exec, exec, s[12:13]
	v_lshrrev_b16_e32 v9, 8, v17
	v_cmp_ne_u16_e64 s[0:1], 0, v9
	s_and_saveexec_b64 s[12:13], s[0:1]
	s_cbranch_execz .LBB324_628
; %bb.623:                              ;   in Loop: Header=BB324_366 Depth=1
	v_cmp_ne_u16_e64 s[0:1], s24, v9
	v_bfrev_b32_e32 v39, 1
	s_and_saveexec_b64 s[14:15], s[0:1]
	s_cbranch_execz .LBB324_627
; %bb.624:                              ;   in Loop: Header=BB324_366 Depth=1
	v_and_b32_e32 v19, 0x7f, v9
	v_cmp_ne_u32_e64 s[0:1], s25, v19
	v_mov_b32_e32 v39, 0x7f800001
	s_and_saveexec_b64 s[16:17], s[0:1]
	s_cbranch_execz .LBB324_626
; %bb.625:                              ;   in Loop: Header=BB324_366 Depth=1
	v_and_b32_e32 v22, 7, v9
	v_lshrrev_b32_e32 v41, 3, v19
	v_cmp_gt_u32_e64 s[0:1], 8, v19
	v_ffbh_u32_e32 v19, v22
	v_min_u32_e32 v19, 32, v19
	v_subrev_u32_e32 v39, 28, v19
	v_lshlrev_b64 v[39:40], v39, v[9:10]
	v_sub_u32_e32 v9, 29, v19
	v_and_b32_e32 v19, 7, v39
	v_cndmask_b32_e64 v9, v41, v9, s[0:1]
	v_cndmask_b32_e64 v19, v22, v19, s[0:1]
	v_lshlrev_b32_e32 v22, 16, v17
	v_lshlrev_b32_e32 v19, 20, v19
	v_and_b32_e32 v22, 0x80000000, v22
	v_lshl_add_u32 v9, v9, 23, v57
	v_or3_b32 v39, v22, v9, v19
.LBB324_626:                            ;   in Loop: Header=BB324_366 Depth=1
	s_or_b64 exec, exec, s[16:17]
.LBB324_627:                            ;   in Loop: Header=BB324_366 Depth=1
	s_or_b64 exec, exec, s[14:15]
.LBB324_628:                            ;   in Loop: Header=BB324_366 Depth=1
	s_or_b64 exec, exec, s[12:13]
	v_lshrrev_b32_e32 v9, 16, v17
	v_cmp_ne_u16_sdwa s[0:1], v9, v10 src0_sel:BYTE_0 src1_sel:DWORD
	v_mov_b32_e32 v41, 0
	v_mov_b32_e32 v40, 0
	s_and_saveexec_b64 s[12:13], s[0:1]
	s_cbranch_execz .LBB324_634
; %bb.629:                              ;   in Loop: Header=BB324_366 Depth=1
	v_cmp_ne_u16_sdwa s[0:1], v9, s24 src0_sel:BYTE_0 src1_sel:DWORD
	v_bfrev_b32_e32 v40, 1
	s_and_saveexec_b64 s[14:15], s[0:1]
	s_cbranch_execz .LBB324_633
; %bb.630:                              ;   in Loop: Header=BB324_366 Depth=1
	v_bfe_u32 v19, v17, 16, 7
	v_cmp_ne_u32_e64 s[0:1], s25, v19
	v_mov_b32_e32 v40, 0x7f800001
	s_and_saveexec_b64 s[16:17], s[0:1]
	s_cbranch_execz .LBB324_632
; %bb.631:                              ;   in Loop: Header=BB324_366 Depth=1
	v_and_b32_e32 v22, 7, v9
	v_lshrrev_b32_e32 v40, 3, v19
	v_cmp_gt_u32_e64 s[0:1], 8, v19
	v_ffbh_u32_e32 v19, v22
	v_min_u32_e32 v19, 32, v19
	v_subrev_u32_e32 v42, 28, v19
	v_lshlrev_b64 v[42:43], v42, v[9:10]
	v_sub_u32_e32 v19, 29, v19
	v_and_b32_e32 v42, 7, v42
	v_cndmask_b32_e64 v19, v40, v19, s[0:1]
	v_cndmask_b32_e64 v22, v22, v42, s[0:1]
	v_lshlrev_b32_e32 v9, 24, v9
	v_lshlrev_b32_e32 v22, 20, v22
	v_and_b32_e32 v9, 0x80000000, v9
	v_lshl_add_u32 v19, v19, 23, v57
	v_or3_b32 v40, v9, v19, v22
.LBB324_632:                            ;   in Loop: Header=BB324_366 Depth=1
	s_or_b64 exec, exec, s[16:17]
.LBB324_633:                            ;   in Loop: Header=BB324_366 Depth=1
	s_or_b64 exec, exec, s[14:15]
.LBB324_634:                            ;   in Loop: Header=BB324_366 Depth=1
	s_or_b64 exec, exec, s[12:13]
	v_cmp_lt_u32_e64 s[0:1], s5, v17
	s_and_saveexec_b64 s[12:13], s[0:1]
	s_cbranch_execz .LBB324_640
; %bb.635:                              ;   in Loop: Header=BB324_366 Depth=1
	v_lshrrev_b32_e32 v9, 24, v17
	v_cmp_ne_u32_e64 s[0:1], s24, v9
	v_bfrev_b32_e32 v41, 1
	s_and_saveexec_b64 s[14:15], s[0:1]
	s_cbranch_execz .LBB324_639
; %bb.636:                              ;   in Loop: Header=BB324_366 Depth=1
	v_bfe_u32 v19, v17, 24, 7
	v_cmp_ne_u32_e64 s[0:1], s25, v19
	v_mov_b32_e32 v41, 0x7f800001
	s_and_saveexec_b64 s[16:17], s[0:1]
	s_cbranch_execz .LBB324_638
; %bb.637:                              ;   in Loop: Header=BB324_366 Depth=1
	v_and_b32_e32 v22, 7, v9
	v_lshrrev_b32_e32 v43, 3, v19
	v_cmp_gt_u32_e64 s[0:1], 8, v19
	v_ffbh_u32_e32 v19, v22
	v_min_u32_e32 v19, 32, v19
	v_subrev_u32_e32 v41, 28, v19
	v_lshlrev_b64 v[41:42], v41, v[9:10]
	v_sub_u32_e32 v19, 29, v19
	v_and_b32_e32 v41, 7, v41
	v_cndmask_b32_e64 v19, v43, v19, s[0:1]
	v_cndmask_b32_e64 v22, v22, v41, s[0:1]
	v_lshlrev_b32_e32 v9, 24, v9
	v_lshlrev_b32_e32 v22, 20, v22
	v_and_b32_e32 v9, 0x80000000, v9
	v_lshl_add_u32 v19, v19, 23, v57
	v_or3_b32 v41, v9, v19, v22
.LBB324_638:                            ;   in Loop: Header=BB324_366 Depth=1
	s_or_b64 exec, exec, s[16:17]
.LBB324_639:                            ;   in Loop: Header=BB324_366 Depth=1
	s_or_b64 exec, exec, s[14:15]
.LBB324_640:                            ;   in Loop: Header=BB324_366 Depth=1
	s_or_b64 exec, exec, s[12:13]
	v_mov_b32_e32 v9, v18
	v_cmp_ne_u16_sdwa s[0:1], v18, v10 src0_sel:BYTE_0 src1_sel:DWORD
	v_mov_b32_e32 v43, 0
	v_mov_b32_e32 v42, 0
	s_and_saveexec_b64 s[12:13], s[0:1]
	s_cbranch_execz .LBB324_646
; %bb.641:                              ;   in Loop: Header=BB324_366 Depth=1
	v_cmp_ne_u16_sdwa s[0:1], v18, s24 src0_sel:BYTE_0 src1_sel:DWORD
	v_bfrev_b32_e32 v42, 1
	s_and_saveexec_b64 s[14:15], s[0:1]
	s_cbranch_execz .LBB324_645
; %bb.642:                              ;   in Loop: Header=BB324_366 Depth=1
	v_and_b32_e32 v19, 0x7f, v18
	v_cmp_ne_u32_e64 s[0:1], s25, v19
	v_mov_b32_e32 v42, 0x7f800001
	s_and_saveexec_b64 s[16:17], s[0:1]
	s_cbranch_execz .LBB324_644
; %bb.643:                              ;   in Loop: Header=BB324_366 Depth=1
	v_and_b32_e32 v22, 7, v18
	v_lshrrev_b32_e32 v42, 3, v19
	v_cmp_gt_u32_e64 s[0:1], 8, v19
	v_ffbh_u32_e32 v19, v22
	v_min_u32_e32 v19, 32, v19
	v_subrev_u32_e32 v22, 28, v19
	v_cndmask_b32_e64 v22, 0, v22, s[0:1]
	v_lshlrev_b64 v[44:45], v22, v[9:10]
	v_sub_u32_e32 v19, 29, v19
	v_cndmask_b32_e64 v19, v42, v19, s[0:1]
	v_lshlrev_b32_e32 v22, 20, v44
	v_lshlrev_b32_e32 v42, 24, v9
	v_and_b32_e32 v22, 0x700000, v22
	v_and_b32_e32 v42, 0x80000000, v42
	v_lshl_add_u32 v19, v19, 23, v57
	v_or3_b32 v42, v42, v19, v22
.LBB324_644:                            ;   in Loop: Header=BB324_366 Depth=1
	s_or_b64 exec, exec, s[16:17]
.LBB324_645:                            ;   in Loop: Header=BB324_366 Depth=1
	s_or_b64 exec, exec, s[14:15]
.LBB324_646:                            ;   in Loop: Header=BB324_366 Depth=1
	s_or_b64 exec, exec, s[12:13]
	v_lshrrev_b16_e32 v19, 8, v9
	v_cmp_ne_u16_e64 s[0:1], 0, v19
	s_and_saveexec_b64 s[12:13], s[0:1]
	s_cbranch_execz .LBB324_652
; %bb.647:                              ;   in Loop: Header=BB324_366 Depth=1
	v_cmp_ne_u16_e64 s[0:1], s24, v19
	v_bfrev_b32_e32 v43, 1
	s_and_saveexec_b64 s[14:15], s[0:1]
	s_cbranch_execz .LBB324_651
; %bb.648:                              ;   in Loop: Header=BB324_366 Depth=1
	v_and_b32_e32 v44, 0x7f, v19
	v_cmp_ne_u32_e64 s[0:1], s25, v44
	v_mov_b32_e32 v43, 0x7f800001
	s_and_saveexec_b64 s[16:17], s[0:1]
	s_cbranch_execz .LBB324_650
; %bb.649:                              ;   in Loop: Header=BB324_366 Depth=1
	v_and_b32_e32 v22, 7, v19
	v_ffbh_u32_e32 v43, v22
	v_min_u32_e32 v46, 32, v43
	v_subrev_u32_e32 v43, 28, v46
	v_lshrrev_b32_e32 v45, 3, v44
	v_cmp_gt_u32_e64 s[0:1], 8, v44
	v_lshlrev_b64 v[43:44], v43, v[19:20]
	v_sub_u32_e32 v19, 29, v46
	v_and_b32_e32 v43, 7, v43
	v_cndmask_b32_e64 v19, v45, v19, s[0:1]
	v_cndmask_b32_e64 v22, v22, v43, s[0:1]
	v_lshlrev_b32_e32 v9, 16, v9
	v_lshlrev_b32_e32 v22, 20, v22
	v_and_b32_e32 v9, 0x80000000, v9
	v_lshl_add_u32 v19, v19, 23, v57
	v_or3_b32 v43, v9, v19, v22
.LBB324_650:                            ;   in Loop: Header=BB324_366 Depth=1
	s_or_b64 exec, exec, s[16:17]
.LBB324_651:                            ;   in Loop: Header=BB324_366 Depth=1
	s_or_b64 exec, exec, s[14:15]
.LBB324_652:                            ;   in Loop: Header=BB324_366 Depth=1
	s_or_b64 exec, exec, s[12:13]
	v_lshrrev_b32_e32 v9, 16, v18
	v_cmp_ne_u16_sdwa s[0:1], v9, v10 src0_sel:BYTE_0 src1_sel:DWORD
	v_mov_b32_e32 v44, 0
	v_mov_b32_e32 v45, 0
	s_and_saveexec_b64 s[12:13], s[0:1]
	s_cbranch_execz .LBB324_658
; %bb.653:                              ;   in Loop: Header=BB324_366 Depth=1
	v_cmp_ne_u16_sdwa s[0:1], v9, s24 src0_sel:BYTE_0 src1_sel:DWORD
	v_bfrev_b32_e32 v45, 1
	s_and_saveexec_b64 s[14:15], s[0:1]
	s_cbranch_execz .LBB324_657
; %bb.654:                              ;   in Loop: Header=BB324_366 Depth=1
	v_bfe_u32 v19, v18, 16, 7
	v_cmp_ne_u32_e64 s[0:1], s25, v19
	v_mov_b32_e32 v45, 0x7f800001
	s_and_saveexec_b64 s[16:17], s[0:1]
	s_cbranch_execz .LBB324_656
; %bb.655:                              ;   in Loop: Header=BB324_366 Depth=1
	v_and_b32_e32 v22, 7, v9
	v_lshrrev_b32_e32 v47, 3, v19
	v_cmp_gt_u32_e64 s[0:1], 8, v19
	v_ffbh_u32_e32 v19, v22
	v_min_u32_e32 v19, 32, v19
	v_subrev_u32_e32 v45, 28, v19
	v_lshlrev_b64 v[45:46], v45, v[9:10]
	v_sub_u32_e32 v19, 29, v19
	v_and_b32_e32 v45, 7, v45
	v_cndmask_b32_e64 v19, v47, v19, s[0:1]
	v_cndmask_b32_e64 v22, v22, v45, s[0:1]
	v_lshlrev_b32_e32 v9, 24, v9
	v_lshlrev_b32_e32 v22, 20, v22
	v_and_b32_e32 v9, 0x80000000, v9
	v_lshl_add_u32 v19, v19, 23, v57
	v_or3_b32 v45, v9, v19, v22
.LBB324_656:                            ;   in Loop: Header=BB324_366 Depth=1
	s_or_b64 exec, exec, s[16:17]
.LBB324_657:                            ;   in Loop: Header=BB324_366 Depth=1
	s_or_b64 exec, exec, s[14:15]
.LBB324_658:                            ;   in Loop: Header=BB324_366 Depth=1
	s_or_b64 exec, exec, s[12:13]
	v_cmp_lt_u64_e64 s[0:1], s[4:5], v[17:18]
	s_and_saveexec_b64 s[12:13], s[0:1]
	s_cbranch_execz .LBB324_664
; %bb.659:                              ;   in Loop: Header=BB324_366 Depth=1
	v_lshrrev_b32_e32 v9, 24, v18
	v_cmp_ne_u32_e64 s[0:1], s24, v9
	v_bfrev_b32_e32 v44, 1
	s_and_saveexec_b64 s[14:15], s[0:1]
	s_cbranch_execz .LBB324_663
; %bb.660:                              ;   in Loop: Header=BB324_366 Depth=1
	v_bfe_u32 v17, v18, 24, 7
	v_cmp_ne_u32_e64 s[0:1], s25, v17
	v_mov_b32_e32 v44, 0x7f800001
	s_and_saveexec_b64 s[16:17], s[0:1]
	s_cbranch_execz .LBB324_662
; %bb.661:                              ;   in Loop: Header=BB324_366 Depth=1
	v_and_b32_e32 v19, 7, v9
	v_lshrrev_b32_e32 v22, 3, v17
	v_cmp_gt_u32_e64 s[0:1], 8, v17
	v_ffbh_u32_e32 v17, v19
	v_min_u32_e32 v44, 32, v17
	v_subrev_u32_e32 v17, 28, v44
	v_lshlrev_b64 v[17:18], v17, v[9:10]
	v_sub_u32_e32 v18, 29, v44
	v_and_b32_e32 v17, 7, v17
	v_cndmask_b32_e64 v18, v22, v18, s[0:1]
	v_cndmask_b32_e64 v17, v19, v17, s[0:1]
	v_lshlrev_b32_e32 v9, 24, v9
	v_lshlrev_b32_e32 v17, 20, v17
	v_and_b32_e32 v9, 0x80000000, v9
	v_lshl_add_u32 v18, v18, 23, v57
	v_or3_b32 v44, v9, v18, v17
.LBB324_662:                            ;   in Loop: Header=BB324_366 Depth=1
	s_or_b64 exec, exec, s[16:17]
.LBB324_663:                            ;   in Loop: Header=BB324_366 Depth=1
	s_or_b64 exec, exec, s[14:15]
.LBB324_664:                            ;   in Loop: Header=BB324_366 Depth=1
	s_or_b64 exec, exec, s[12:13]
	v_mul_f32_e32 v9, s18, v43
	v_bfe_u32 v17, v9, 16, 1
	v_add3_u32 v17, v17, v9, s26
	v_or_b32_e32 v18, 0x400000, v9
	v_cmp_u_f32_e64 s[0:1], v9, v9
	v_cndmask_b32_e64 v9, v17, v18, s[0:1]
	v_lshrrev_b32_e32 v19, 16, v9
	v_mul_f32_e32 v9, s18, v42
	v_bfe_u32 v17, v9, 16, 1
	v_add3_u32 v17, v17, v9, s26
	v_or_b32_e32 v18, 0x400000, v9
	v_cmp_u_f32_e64 s[0:1], v9, v9
	v_cndmask_b32_e64 v9, v17, v18, s[0:1]
	v_lshrrev_b32_e32 v18, 16, v9
	;; [unrolled: 7-line block ×8, first 2 shown]
	s_and_saveexec_b64 s[12:13], vcc
	s_cbranch_execz .LBB324_666
; %bb.665:                              ;   in Loop: Header=BB324_366 Depth=1
	v_add_u32_e32 v9, -7, v32
	v_cmp_gt_i32_e64 s[0:1], s30, v9
	v_add_u32_e32 v9, -6, v32
	v_cndmask_b32_e64 v34, 0, v34, s[0:1]
	v_cmp_gt_i32_e64 s[0:1], s30, v9
	v_add_u32_e32 v9, -5, v32
	v_cndmask_b32_e64 v43, 0, v43, s[0:1]
	;; [unrolled: 3-line block ×6, first 2 shown]
	v_cmp_gt_i32_e64 s[0:1], s30, v9
	v_cndmask_b32_e64 v39, 0, v39, s[0:1]
	v_cmp_gt_i32_e64 s[0:1], s30, v32
	v_cndmask_b32_e64 v41, 0, v41, s[0:1]
.LBB324_666:                            ;   in Loop: Header=BB324_366 Depth=1
	s_or_b64 exec, exec, s[12:13]
	global_load_dwordx2 v[15:16], v[15:16], off offset:3072
	v_mov_b32_e32 v46, 0
	v_mov_b32_e32 v44, 0
	s_waitcnt vmcnt(0)
	v_cmp_ne_u16_sdwa s[0:1], v15, v10 src0_sel:BYTE_0 src1_sel:DWORD
	s_and_saveexec_b64 s[12:13], s[0:1]
	s_cbranch_execz .LBB324_672
; %bb.667:                              ;   in Loop: Header=BB324_366 Depth=1
	v_cmp_ne_u16_sdwa s[0:1], v15, s24 src0_sel:BYTE_0 src1_sel:DWORD
	v_bfrev_b32_e32 v44, 1
	s_and_saveexec_b64 s[14:15], s[0:1]
	s_cbranch_execz .LBB324_671
; %bb.668:                              ;   in Loop: Header=BB324_366 Depth=1
	v_and_b32_e32 v9, 0x7f, v15
	v_cmp_ne_u32_e64 s[0:1], s25, v9
	v_mov_b32_e32 v44, 0x7f800001
	s_and_saveexec_b64 s[16:17], s[0:1]
	s_cbranch_execz .LBB324_670
; %bb.669:                              ;   in Loop: Header=BB324_366 Depth=1
	v_and_b32_e32 v17, 7, v15
	v_lshrrev_b32_e32 v22, 3, v9
	v_cmp_gt_u32_e64 s[0:1], 8, v9
	v_ffbh_u32_e32 v9, v17
	v_min_u32_e32 v9, 32, v9
	v_subrev_u32_e32 v17, 28, v9
	v_cndmask_b32_e64 v17, 0, v17, s[0:1]
	v_lshlrev_b64 v[44:45], v17, v[15:16]
	v_sub_u32_e32 v9, 29, v9
	v_cndmask_b32_e64 v9, v22, v9, s[0:1]
	v_lshlrev_b32_e32 v17, 20, v44
	v_lshlrev_b32_e32 v22, 24, v15
	v_and_b32_e32 v17, 0x700000, v17
	v_and_b32_e32 v22, 0x80000000, v22
	v_lshl_add_u32 v9, v9, 23, v57
	v_or3_b32 v44, v22, v9, v17
.LBB324_670:                            ;   in Loop: Header=BB324_366 Depth=1
	s_or_b64 exec, exec, s[16:17]
.LBB324_671:                            ;   in Loop: Header=BB324_366 Depth=1
	s_or_b64 exec, exec, s[14:15]
.LBB324_672:                            ;   in Loop: Header=BB324_366 Depth=1
	s_or_b64 exec, exec, s[12:13]
	v_lshrrev_b16_e32 v9, 8, v15
	v_cmp_ne_u16_e64 s[0:1], 0, v9
	s_and_saveexec_b64 s[12:13], s[0:1]
	s_cbranch_execz .LBB324_678
; %bb.673:                              ;   in Loop: Header=BB324_366 Depth=1
	v_cmp_ne_u16_e64 s[0:1], s24, v9
	v_bfrev_b32_e32 v46, 1
	s_and_saveexec_b64 s[14:15], s[0:1]
	s_cbranch_execz .LBB324_677
; %bb.674:                              ;   in Loop: Header=BB324_366 Depth=1
	v_and_b32_e32 v17, 0x7f, v9
	v_cmp_ne_u32_e64 s[0:1], s25, v17
	v_mov_b32_e32 v46, 0x7f800001
	s_and_saveexec_b64 s[16:17], s[0:1]
	s_cbranch_execz .LBB324_676
; %bb.675:                              ;   in Loop: Header=BB324_366 Depth=1
	v_and_b32_e32 v22, 7, v9
	v_lshrrev_b32_e32 v47, 3, v17
	v_cmp_gt_u32_e64 s[0:1], 8, v17
	v_ffbh_u32_e32 v17, v22
	v_min_u32_e32 v17, 32, v17
	v_subrev_u32_e32 v45, 28, v17
	v_lshlrev_b64 v[45:46], v45, v[9:10]
	v_sub_u32_e32 v9, 29, v17
	v_and_b32_e32 v17, 7, v45
	v_cndmask_b32_e64 v9, v47, v9, s[0:1]
	v_cndmask_b32_e64 v17, v22, v17, s[0:1]
	v_lshlrev_b32_e32 v22, 16, v15
	v_lshlrev_b32_e32 v17, 20, v17
	v_and_b32_e32 v22, 0x80000000, v22
	v_lshl_add_u32 v9, v9, 23, v57
	v_or3_b32 v46, v22, v9, v17
.LBB324_676:                            ;   in Loop: Header=BB324_366 Depth=1
	s_or_b64 exec, exec, s[16:17]
.LBB324_677:                            ;   in Loop: Header=BB324_366 Depth=1
	s_or_b64 exec, exec, s[14:15]
.LBB324_678:                            ;   in Loop: Header=BB324_366 Depth=1
	s_or_b64 exec, exec, s[12:13]
	v_lshrrev_b32_e32 v9, 16, v15
	v_cmp_ne_u16_sdwa s[0:1], v9, v10 src0_sel:BYTE_0 src1_sel:DWORD
	v_mov_b32_e32 v47, 0
	v_mov_b32_e32 v45, 0
	s_and_saveexec_b64 s[12:13], s[0:1]
	s_cbranch_execz .LBB324_684
; %bb.679:                              ;   in Loop: Header=BB324_366 Depth=1
	v_cmp_ne_u16_sdwa s[0:1], v9, s24 src0_sel:BYTE_0 src1_sel:DWORD
	v_bfrev_b32_e32 v45, 1
	s_and_saveexec_b64 s[14:15], s[0:1]
	s_cbranch_execz .LBB324_683
; %bb.680:                              ;   in Loop: Header=BB324_366 Depth=1
	v_bfe_u32 v17, v15, 16, 7
	v_cmp_ne_u32_e64 s[0:1], s25, v17
	v_mov_b32_e32 v45, 0x7f800001
	s_and_saveexec_b64 s[16:17], s[0:1]
	s_cbranch_execz .LBB324_682
; %bb.681:                              ;   in Loop: Header=BB324_366 Depth=1
	v_and_b32_e32 v22, 7, v9
	v_lshrrev_b32_e32 v45, 3, v17
	v_cmp_gt_u32_e64 s[0:1], 8, v17
	v_ffbh_u32_e32 v17, v22
	v_min_u32_e32 v17, 32, v17
	v_subrev_u32_e32 v48, 28, v17
	v_lshlrev_b64 v[55:56], v48, v[9:10]
	v_sub_u32_e32 v17, 29, v17
	v_and_b32_e32 v48, 7, v55
	v_cndmask_b32_e64 v17, v45, v17, s[0:1]
	v_cndmask_b32_e64 v22, v22, v48, s[0:1]
	v_lshlrev_b32_e32 v9, 24, v9
	v_lshlrev_b32_e32 v22, 20, v22
	v_and_b32_e32 v9, 0x80000000, v9
	v_lshl_add_u32 v17, v17, 23, v57
	v_or3_b32 v45, v9, v17, v22
.LBB324_682:                            ;   in Loop: Header=BB324_366 Depth=1
	s_or_b64 exec, exec, s[16:17]
.LBB324_683:                            ;   in Loop: Header=BB324_366 Depth=1
	s_or_b64 exec, exec, s[14:15]
.LBB324_684:                            ;   in Loop: Header=BB324_366 Depth=1
	s_or_b64 exec, exec, s[12:13]
	v_cmp_lt_u32_e64 s[0:1], s5, v15
	s_and_saveexec_b64 s[12:13], s[0:1]
	s_cbranch_execz .LBB324_690
; %bb.685:                              ;   in Loop: Header=BB324_366 Depth=1
	v_lshrrev_b32_e32 v9, 24, v15
	v_cmp_ne_u32_e64 s[0:1], s24, v9
	v_bfrev_b32_e32 v47, 1
	s_and_saveexec_b64 s[14:15], s[0:1]
	s_cbranch_execz .LBB324_689
; %bb.686:                              ;   in Loop: Header=BB324_366 Depth=1
	v_bfe_u32 v17, v15, 24, 7
	v_cmp_ne_u32_e64 s[0:1], s25, v17
	v_mov_b32_e32 v47, 0x7f800001
	s_and_saveexec_b64 s[16:17], s[0:1]
	s_cbranch_execz .LBB324_688
; %bb.687:                              ;   in Loop: Header=BB324_366 Depth=1
	v_and_b32_e32 v22, 7, v9
	v_lshrrev_b32_e32 v55, 3, v17
	v_cmp_gt_u32_e64 s[0:1], 8, v17
	v_ffbh_u32_e32 v17, v22
	v_min_u32_e32 v17, 32, v17
	v_subrev_u32_e32 v47, 28, v17
	v_lshlrev_b64 v[47:48], v47, v[9:10]
	v_sub_u32_e32 v17, 29, v17
	v_and_b32_e32 v47, 7, v47
	v_cndmask_b32_e64 v17, v55, v17, s[0:1]
	v_cndmask_b32_e64 v22, v22, v47, s[0:1]
	v_lshlrev_b32_e32 v9, 24, v9
	v_lshlrev_b32_e32 v22, 20, v22
	v_and_b32_e32 v9, 0x80000000, v9
	v_lshl_add_u32 v17, v17, 23, v57
	v_or3_b32 v47, v9, v17, v22
.LBB324_688:                            ;   in Loop: Header=BB324_366 Depth=1
	s_or_b64 exec, exec, s[16:17]
.LBB324_689:                            ;   in Loop: Header=BB324_366 Depth=1
	s_or_b64 exec, exec, s[14:15]
.LBB324_690:                            ;   in Loop: Header=BB324_366 Depth=1
	s_or_b64 exec, exec, s[12:13]
	v_mov_b32_e32 v9, v16
	v_cmp_ne_u16_sdwa s[0:1], v16, v10 src0_sel:BYTE_0 src1_sel:DWORD
	v_mov_b32_e32 v55, 0
	v_mov_b32_e32 v48, 0
	s_and_saveexec_b64 s[12:13], s[0:1]
	s_cbranch_execz .LBB324_696
; %bb.691:                              ;   in Loop: Header=BB324_366 Depth=1
	v_cmp_ne_u16_sdwa s[0:1], v16, s24 src0_sel:BYTE_0 src1_sel:DWORD
	v_bfrev_b32_e32 v48, 1
	s_and_saveexec_b64 s[14:15], s[0:1]
	s_cbranch_execz .LBB324_695
; %bb.692:                              ;   in Loop: Header=BB324_366 Depth=1
	v_and_b32_e32 v17, 0x7f, v16
	v_cmp_ne_u32_e64 s[0:1], s25, v17
	v_mov_b32_e32 v48, 0x7f800001
	s_and_saveexec_b64 s[16:17], s[0:1]
	s_cbranch_execz .LBB324_694
; %bb.693:                              ;   in Loop: Header=BB324_366 Depth=1
	v_and_b32_e32 v22, 7, v16
	v_lshrrev_b32_e32 v48, 3, v17
	v_cmp_gt_u32_e64 s[0:1], 8, v17
	v_ffbh_u32_e32 v17, v22
	v_min_u32_e32 v17, 32, v17
	v_subrev_u32_e32 v22, 28, v17
	v_cndmask_b32_e64 v22, 0, v22, s[0:1]
	v_lshlrev_b64 v[56:57], v22, v[9:10]
	v_sub_u32_e32 v17, 29, v17
	v_cndmask_b32_e64 v17, v48, v17, s[0:1]
	v_bfrev_b32_e32 v57, 60
	v_lshlrev_b32_e32 v22, 20, v56
	v_lshlrev_b32_e32 v48, 24, v9
	v_and_b32_e32 v22, 0x700000, v22
	v_and_b32_e32 v48, 0x80000000, v48
	v_lshl_add_u32 v17, v17, 23, v57
	v_or3_b32 v48, v48, v17, v22
.LBB324_694:                            ;   in Loop: Header=BB324_366 Depth=1
	s_or_b64 exec, exec, s[16:17]
.LBB324_695:                            ;   in Loop: Header=BB324_366 Depth=1
	s_or_b64 exec, exec, s[14:15]
.LBB324_696:                            ;   in Loop: Header=BB324_366 Depth=1
	s_or_b64 exec, exec, s[12:13]
	v_lshrrev_b16_e32 v17, 8, v9
	v_cmp_ne_u16_e64 s[0:1], 0, v17
	s_and_saveexec_b64 s[12:13], s[0:1]
	s_cbranch_execz .LBB324_702
; %bb.697:                              ;   in Loop: Header=BB324_366 Depth=1
	v_cmp_ne_u16_e64 s[0:1], s24, v17
	v_bfrev_b32_e32 v55, 1
	s_and_saveexec_b64 s[14:15], s[0:1]
	s_cbranch_execz .LBB324_701
; %bb.698:                              ;   in Loop: Header=BB324_366 Depth=1
	v_and_b32_e32 v56, 0x7f, v17
	v_cmp_ne_u32_e64 s[0:1], s25, v56
	v_mov_b32_e32 v55, 0x7f800001
	s_and_saveexec_b64 s[16:17], s[0:1]
	s_cbranch_execz .LBB324_700
; %bb.699:                              ;   in Loop: Header=BB324_366 Depth=1
	v_and_b32_e32 v22, 7, v17
	v_ffbh_u32_e32 v55, v22
	v_min_u32_e32 v58, 32, v55
	v_subrev_u32_e32 v55, 28, v58
	v_lshrrev_b32_e32 v57, 3, v56
	v_cmp_gt_u32_e64 s[0:1], 8, v56
	v_lshlrev_b64 v[55:56], v55, v[17:18]
	v_sub_u32_e32 v17, 29, v58
	buffer_load_dword v58, off, s[48:51], 0 offset:80 ; 4-byte Folded Reload
	buffer_load_dword v59, off, s[48:51], 0 offset:84 ; 4-byte Folded Reload
	v_and_b32_e32 v55, 7, v55
	v_cndmask_b32_e64 v17, v57, v17, s[0:1]
	v_bfrev_b32_e32 v57, 60
	v_cndmask_b32_e64 v22, v22, v55, s[0:1]
	v_lshlrev_b32_e32 v9, 16, v9
	v_lshlrev_b32_e32 v22, 20, v22
	v_and_b32_e32 v9, 0x80000000, v9
	v_lshl_add_u32 v17, v17, 23, v57
	v_or3_b32 v55, v9, v17, v22
.LBB324_700:                            ;   in Loop: Header=BB324_366 Depth=1
	s_or_b64 exec, exec, s[16:17]
.LBB324_701:                            ;   in Loop: Header=BB324_366 Depth=1
	s_or_b64 exec, exec, s[14:15]
.LBB324_702:                            ;   in Loop: Header=BB324_366 Depth=1
	s_or_b64 exec, exec, s[12:13]
	v_lshrrev_b32_e32 v9, 16, v16
	v_cmp_ne_u16_sdwa s[0:1], v9, v10 src0_sel:BYTE_0 src1_sel:DWORD
	v_mov_b32_e32 v56, 0
	v_mov_b32_e32 v17, 0
	s_and_saveexec_b64 s[12:13], s[0:1]
	s_cbranch_execz .LBB324_708
; %bb.703:                              ;   in Loop: Header=BB324_366 Depth=1
	v_cmp_ne_u16_sdwa s[0:1], v9, s24 src0_sel:BYTE_0 src1_sel:DWORD
	v_bfrev_b32_e32 v17, 1
	s_and_saveexec_b64 s[14:15], s[0:1]
	s_cbranch_execz .LBB324_707
; %bb.704:                              ;   in Loop: Header=BB324_366 Depth=1
	v_bfe_u32 v22, v16, 16, 7
	v_cmp_ne_u32_e64 s[0:1], s25, v22
	v_mov_b32_e32 v17, 0x7f800001
	s_and_saveexec_b64 s[16:17], s[0:1]
	s_cbranch_execz .LBB324_706
; %bb.705:                              ;   in Loop: Header=BB324_366 Depth=1
	v_and_b32_e32 v17, 7, v9
	s_waitcnt vmcnt(0)
	v_lshrrev_b32_e32 v59, 3, v22
	v_cmp_gt_u32_e64 s[0:1], 8, v22
	v_ffbh_u32_e32 v22, v17
	v_min_u32_e32 v22, 32, v22
	v_subrev_u32_e32 v57, 28, v22
	v_lshlrev_b64 v[57:58], v57, v[9:10]
	v_sub_u32_e32 v22, 29, v22
	v_cndmask_b32_e64 v22, v59, v22, s[0:1]
	buffer_load_dword v58, off, s[48:51], 0 offset:80 ; 4-byte Folded Reload
	buffer_load_dword v59, off, s[48:51], 0 offset:84 ; 4-byte Folded Reload
	v_and_b32_e32 v57, 7, v57
	v_cndmask_b32_e64 v17, v17, v57, s[0:1]
	v_bfrev_b32_e32 v57, 60
	v_lshlrev_b32_e32 v9, 24, v9
	v_lshlrev_b32_e32 v17, 20, v17
	v_and_b32_e32 v9, 0x80000000, v9
	v_lshl_add_u32 v22, v22, 23, v57
	v_or3_b32 v17, v9, v22, v17
.LBB324_706:                            ;   in Loop: Header=BB324_366 Depth=1
	s_or_b64 exec, exec, s[16:17]
.LBB324_707:                            ;   in Loop: Header=BB324_366 Depth=1
	s_or_b64 exec, exec, s[14:15]
.LBB324_708:                            ;   in Loop: Header=BB324_366 Depth=1
	s_or_b64 exec, exec, s[12:13]
	v_cmp_lt_u64_e64 s[0:1], s[4:5], v[15:16]
	s_and_saveexec_b64 s[12:13], s[0:1]
	s_cbranch_execz .LBB324_714
; %bb.709:                              ;   in Loop: Header=BB324_366 Depth=1
	v_lshrrev_b32_e32 v9, 24, v16
	v_cmp_ne_u32_e64 s[0:1], s24, v9
	v_bfrev_b32_e32 v56, 1
	s_and_saveexec_b64 s[14:15], s[0:1]
	s_cbranch_execz .LBB324_713
; %bb.710:                              ;   in Loop: Header=BB324_366 Depth=1
	v_bfe_u32 v15, v16, 24, 7
	v_cmp_ne_u32_e64 s[0:1], s25, v15
	v_mov_b32_e32 v56, 0x7f800001
	s_and_saveexec_b64 s[16:17], s[0:1]
	s_cbranch_execz .LBB324_712
; %bb.711:                              ;   in Loop: Header=BB324_366 Depth=1
	v_and_b32_e32 v22, 7, v9
	v_lshrrev_b32_e32 v56, 3, v15
	v_cmp_gt_u32_e64 s[0:1], 8, v15
	v_ffbh_u32_e32 v15, v22
	v_min_u32_e32 v57, 32, v15
	v_subrev_u32_e32 v15, 28, v57
	v_lshlrev_b64 v[15:16], v15, v[9:10]
	v_sub_u32_e32 v16, 29, v57
	v_and_b32_e32 v15, 7, v15
	v_bfrev_b32_e32 v57, 60
	v_cndmask_b32_e64 v16, v56, v16, s[0:1]
	v_cndmask_b32_e64 v15, v22, v15, s[0:1]
	v_lshlrev_b32_e32 v9, 24, v9
	v_lshlrev_b32_e32 v15, 20, v15
	v_and_b32_e32 v9, 0x80000000, v9
	v_lshl_add_u32 v16, v16, 23, v57
	v_or3_b32 v56, v9, v16, v15
.LBB324_712:                            ;   in Loop: Header=BB324_366 Depth=1
	s_or_b64 exec, exec, s[16:17]
.LBB324_713:                            ;   in Loop: Header=BB324_366 Depth=1
	s_or_b64 exec, exec, s[14:15]
.LBB324_714:                            ;   in Loop: Header=BB324_366 Depth=1
	s_or_b64 exec, exec, s[12:13]
	v_mul_f32_e32 v9, s18, v55
	v_bfe_u32 v15, v9, 16, 1
	v_add3_u32 v15, v15, v9, s26
	v_or_b32_e32 v16, 0x400000, v9
	v_cmp_u_f32_e64 s[0:1], v9, v9
	v_cndmask_b32_e64 v9, v15, v16, s[0:1]
	v_mul_f32_e32 v15, s18, v48
	v_bfe_u32 v16, v15, 16, 1
	v_add3_u32 v16, v16, v15, s26
	v_or_b32_e32 v22, 0x400000, v15
	v_cmp_u_f32_e64 s[0:1], v15, v15
	v_cndmask_b32_e64 v15, v16, v22, s[0:1]
	;; [unrolled: 6-line block ×4, first 2 shown]
	v_lshrrev_b32_e32 v45, 16, v22
	v_mul_f32_e32 v22, s18, v46
	v_bfe_u32 v46, v22, 16, 1
	v_add3_u32 v46, v46, v22, s26
	v_or_b32_e32 v47, 0x400000, v22
	v_cmp_u_f32_e64 s[0:1], v22, v22
	v_cndmask_b32_e64 v22, v46, v47, s[0:1]
	v_lshrrev_b32_e32 v46, 16, v22
	v_mul_f32_e32 v22, s18, v44
	v_bfe_u32 v44, v22, 16, 1
	v_add3_u32 v44, v44, v22, s26
	v_or_b32_e32 v47, 0x400000, v22
	v_cmp_u_f32_e64 s[0:1], v22, v22
	v_cndmask_b32_e64 v22, v44, v47, s[0:1]
	v_mul_f32_e32 v17, s18, v17
	v_lshrrev_b32_e32 v47, 16, v22
	v_bfe_u32 v22, v17, 16, 1
	v_add3_u32 v22, v22, v17, s26
	v_or_b32_e32 v44, 0x400000, v17
	v_cmp_u_f32_e64 s[0:1], v17, v17
	v_cndmask_b32_e64 v17, v22, v44, s[0:1]
	v_mul_f32_e32 v22, s18, v56
	v_bfe_u32 v44, v22, 16, 1
	v_add3_u32 v44, v44, v22, s26
	v_or_b32_e32 v48, 0x400000, v22
	v_cmp_u_f32_e64 s[0:1], v22, v22
	v_cndmask_b32_e64 v22, v44, v48, s[0:1]
	v_lshrrev_b32_e32 v9, 16, v9
	v_lshrrev_b32_e32 v15, 16, v15
	v_lshrrev_b32_e32 v16, 16, v16
	v_lshrrev_b32_e32 v17, 16, v17
	v_lshrrev_b32_e32 v44, 16, v22
	s_and_saveexec_b64 s[0:1], vcc
	s_cbranch_execz .LBB324_365
; %bb.715:                              ;   in Loop: Header=BB324_366 Depth=1
	v_add_u32_e32 v22, -7, v32
	v_cmp_gt_i32_e32 vcc, s30, v22
	v_add_u32_e32 v22, -6, v32
	v_cndmask_b32_e32 v47, 0, v47, vcc
	v_cmp_gt_i32_e32 vcc, s30, v22
	v_add_u32_e32 v22, -5, v32
	v_cndmask_b32_e32 v46, 0, v46, vcc
	;; [unrolled: 3-line block ×6, first 2 shown]
	v_cmp_gt_i32_e32 vcc, s30, v22
	v_cndmask_b32_e32 v17, 0, v17, vcc
	v_cmp_gt_i32_e32 vcc, s30, v32
	v_cndmask_b32_e32 v44, 0, v44, vcc
	s_branch .LBB324_365
.LBB324_716:
	s_or_b64 exec, exec, s[6:7]
	buffer_load_dword v13, off, s[48:51], 0 offset:88 ; 4-byte Folded Reload
	buffer_load_dword v11, off, s[48:51], 0 offset:92 ; 4-byte Folded Reload
	;; [unrolled: 1-line block ×4, first 2 shown]
.LBB324_717:
	s_or_b64 exec, exec, s[2:3]
	s_waitcnt vmcnt(2)
	ds_bpermute_b32 v1, v11, v31
	ds_bpermute_b32 v5, v11, v28
	s_waitcnt vmcnt(0) lgkmcnt(0)
	s_barrier
	v_add_f32_e32 v1, v31, v1
	ds_bpermute_b32 v4, v12, v1
	ds_bpermute_b32 v0, v11, v30
	;; [unrolled: 1-line block ×4, first 2 shown]
	s_waitcnt lgkmcnt(3)
	v_add_f32_e32 v1, v1, v4
	v_add_f32_e32 v4, v28, v5
	ds_bpermute_b32 v5, v11, v26
	ds_bpermute_b32 v7, v12, v4
	s_waitcnt lgkmcnt(4)
	v_add_f32_e32 v0, v30, v0
	ds_bpermute_b32 v3, v12, v0
	s_waitcnt lgkmcnt(4)
	v_add_f32_e32 v2, v29, v2
	s_waitcnt lgkmcnt(2)
	v_add_f32_e32 v10, v26, v5
	s_waitcnt lgkmcnt(1)
	v_add_f32_e32 v5, v4, v7
	buffer_load_dword v7, off, s[48:51], 0 offset:260 ; 4-byte Folded Reload
	s_waitcnt lgkmcnt(0)
	v_add_f32_e32 v3, v0, v3
	ds_bpermute_b32 v0, v11, v27
	v_add_f32_e32 v8, v25, v8
	ds_bpermute_b32 v6, v12, v2
	ds_bpermute_b32 v11, v12, v10
	s_waitcnt lgkmcnt(2)
	v_add_f32_e32 v0, v27, v0
	ds_bpermute_b32 v9, v12, v0
	ds_bpermute_b32 v12, v12, v8
	s_waitcnt lgkmcnt(3)
	v_add_f32_e32 v6, v2, v6
	s_waitcnt lgkmcnt(2)
	v_add_f32_e32 v2, v10, v11
	;; [unrolled: 2-line block ×4, first 2 shown]
	s_waitcnt vmcnt(0)
	v_and_b32_e32 v8, 0x3c3, v7
	v_cmp_eq_u32_e32 vcc, 64, v8
	s_and_saveexec_b64 s[0:1], vcc
	s_cbranch_execz .LBB324_719
; %bb.718:
	v_add_u32_e32 v7, 0xf0, v13
	ds_write2_b32 v7, v3, v1 offset1:16
	ds_write2_b32 v7, v6, v5 offset0:32 offset1:48
	ds_write2_b32 v7, v4, v2 offset0:64 offset1:80
	ds_write_b32 v7, v0 offset:384
.LBB324_719:
	s_or_b64 exec, exec, s[0:1]
	buffer_load_dword v7, off, s[48:51], 0 offset:260 ; 4-byte Folded Reload
	s_waitcnt vmcnt(0) lgkmcnt(0)
	s_barrier
	v_cmp_gt_u32_e32 vcc, 64, v7
	v_lshrrev_b32_e32 v7, 2, v7
	s_and_saveexec_b64 s[0:1], vcc
	s_cbranch_execz .LBB324_729
; %bb.720:
	v_mov_b32_e32 v9, 0xf0
	v_cmp_eq_u32_e32 vcc, 0, v14
	v_lshl_add_u32 v9, v7, 2, v9
	s_and_saveexec_b64 s[2:3], vcc
	s_cbranch_execnz .LBB324_732
; %bb.721:
	s_or_b64 exec, exec, s[2:3]
	s_and_saveexec_b64 s[2:3], vcc
	s_cbranch_execnz .LBB324_733
.LBB324_722:
	s_or_b64 exec, exec, s[2:3]
	s_and_saveexec_b64 s[2:3], vcc
	s_cbranch_execnz .LBB324_734
.LBB324_723:
	s_or_b64 exec, exec, s[2:3]
	s_and_saveexec_b64 s[2:3], vcc
	s_cbranch_execnz .LBB324_735
.LBB324_724:
	s_or_b64 exec, exec, s[2:3]
	s_and_saveexec_b64 s[2:3], vcc
	s_cbranch_execnz .LBB324_736
.LBB324_725:
	s_or_b64 exec, exec, s[2:3]
	s_and_saveexec_b64 s[2:3], vcc
	s_cbranch_execnz .LBB324_737
.LBB324_726:
	s_or_b64 exec, exec, s[2:3]
	s_and_saveexec_b64 s[2:3], vcc
	s_cbranch_execz .LBB324_728
.LBB324_727:
	ds_read_b32 v9, v9 offset:384
	s_waitcnt lgkmcnt(0)
	v_add_f32_e32 v0, v0, v9
.LBB324_728:
	s_or_b64 exec, exec, s[2:3]
.LBB324_729:
	s_or_b64 exec, exec, s[0:1]
	v_cmp_eq_u32_e32 vcc, 0, v8
	s_barrier
	s_and_saveexec_b64 s[0:1], vcc
	s_cbranch_execz .LBB324_731
; %bb.730:
	s_mul_i32 s0, s10, s11
	s_mul_i32 s0, s0, s9
	s_mulk_i32 s0, 0x70
	s_ashr_i32 s1, s0, 31
	s_lshl_b64 s[0:1], s[0:1], 1
	s_add_u32 s2, s22, s0
	s_mul_i32 s0, s11, s20
	s_addc_u32 s3, s23, s1
	s_ashr_i32 s1, s0, 31
	s_lshl_b64 s[0:1], s[0:1], 1
	s_add_u32 s2, s2, s0
	s_mul_i32 s0, s8, 0x70
	s_addc_u32 s3, s3, s1
	s_ashr_i32 s1, s0, 31
	s_lshl_b64 s[0:1], s[0:1], 1
	s_add_u32 s0, s2, s0
	v_bfe_u32 v8, v3, 16, 1
	s_movk_i32 s2, 0x7fff
	v_add3_u32 v8, v8, v3, s2
	v_or_b32_e32 v9, 0x400000, v3
	v_cmp_u_f32_e32 vcc, v3, v3
	s_addc_u32 s1, s3, s1
	v_lshlrev_b32_e32 v7, 1, v7
	v_cndmask_b32_e32 v3, v8, v9, vcc
	global_store_short_d16_hi v7, v3, s[0:1]
	v_bfe_u32 v3, v1, 16, 1
	v_add3_u32 v3, v3, v1, s2
	v_or_b32_e32 v8, 0x400000, v1
	v_cmp_u_f32_e32 vcc, v1, v1
	v_cndmask_b32_e32 v1, v3, v8, vcc
	global_store_short_d16_hi v7, v1, s[0:1] offset:32
	v_bfe_u32 v1, v6, 16, 1
	v_add3_u32 v1, v1, v6, s2
	v_or_b32_e32 v3, 0x400000, v6
	v_cmp_u_f32_e32 vcc, v6, v6
	v_cndmask_b32_e32 v1, v1, v3, vcc
	global_store_short_d16_hi v7, v1, s[0:1] offset:64
	;; [unrolled: 6-line block ×6, first 2 shown]
.LBB324_731:
	s_endpgm
.LBB324_732:
	ds_read_b32 v10, v9
	s_waitcnt lgkmcnt(0)
	v_add_f32_e32 v3, v3, v10
	s_or_b64 exec, exec, s[2:3]
	s_and_saveexec_b64 s[2:3], vcc
	s_cbranch_execz .LBB324_722
.LBB324_733:
	ds_read_b32 v10, v9 offset:64
	s_waitcnt lgkmcnt(0)
	v_add_f32_e32 v1, v1, v10
	s_or_b64 exec, exec, s[2:3]
	s_and_saveexec_b64 s[2:3], vcc
	s_cbranch_execz .LBB324_723
.LBB324_734:
	ds_read_b32 v10, v9 offset:128
	s_waitcnt lgkmcnt(0)
	v_add_f32_e32 v6, v6, v10
	s_or_b64 exec, exec, s[2:3]
	s_and_saveexec_b64 s[2:3], vcc
	s_cbranch_execz .LBB324_724
.LBB324_735:
	ds_read_b32 v10, v9 offset:192
	s_waitcnt lgkmcnt(0)
	v_add_f32_e32 v5, v5, v10
	s_or_b64 exec, exec, s[2:3]
	s_and_saveexec_b64 s[2:3], vcc
	s_cbranch_execz .LBB324_725
.LBB324_736:
	ds_read_b32 v10, v9 offset:256
	s_waitcnt lgkmcnt(0)
	v_add_f32_e32 v4, v4, v10
	s_or_b64 exec, exec, s[2:3]
	s_and_saveexec_b64 s[2:3], vcc
	s_cbranch_execz .LBB324_726
.LBB324_737:
	ds_read_b32 v10, v9 offset:320
	s_waitcnt lgkmcnt(0)
	v_add_f32_e32 v2, v2, v10
	s_or_b64 exec, exec, s[2:3]
	s_and_saveexec_b64 s[2:3], vcc
	s_cbranch_execnz .LBB324_727
	s_branch .LBB324_728
	.section	.rodata,"a",@progbits
	.p2align	6, 0x0
	.amdhsa_kernel _ZN4vllm25paged_attention_v1_kernelI14__hip_bfloat16hLi112ELi32ELi128ELNS_18Fp8KVCacheDataTypeE1ELb0EEEvPT_PKS3_PKT0_S9_ifPKiSB_iPKfiiiSD_SD_iiiii
		.amdhsa_group_segment_fixed_size 240
		.amdhsa_private_segment_fixed_size 288
		.amdhsa_kernarg_size 384
		.amdhsa_user_sgpr_count 6
		.amdhsa_user_sgpr_private_segment_buffer 1
		.amdhsa_user_sgpr_dispatch_ptr 0
		.amdhsa_user_sgpr_queue_ptr 0
		.amdhsa_user_sgpr_kernarg_segment_ptr 1
		.amdhsa_user_sgpr_dispatch_id 0
		.amdhsa_user_sgpr_flat_scratch_init 0
		.amdhsa_user_sgpr_private_segment_size 0
		.amdhsa_uses_dynamic_stack 0
		.amdhsa_system_sgpr_private_segment_wavefront_offset 1
		.amdhsa_system_sgpr_workgroup_id_x 1
		.amdhsa_system_sgpr_workgroup_id_y 1
		.amdhsa_system_sgpr_workgroup_id_z 1
		.amdhsa_system_sgpr_workgroup_info 0
		.amdhsa_system_vgpr_workitem_id 0
		.amdhsa_next_free_vgpr 64
		.amdhsa_next_free_sgpr 52
		.amdhsa_reserve_vcc 1
		.amdhsa_reserve_flat_scratch 0
		.amdhsa_float_round_mode_32 0
		.amdhsa_float_round_mode_16_64 0
		.amdhsa_float_denorm_mode_32 3
		.amdhsa_float_denorm_mode_16_64 3
		.amdhsa_dx10_clamp 1
		.amdhsa_ieee_mode 1
		.amdhsa_fp16_overflow 0
		.amdhsa_exception_fp_ieee_invalid_op 0
		.amdhsa_exception_fp_denorm_src 0
		.amdhsa_exception_fp_ieee_div_zero 0
		.amdhsa_exception_fp_ieee_overflow 0
		.amdhsa_exception_fp_ieee_underflow 0
		.amdhsa_exception_fp_ieee_inexact 0
		.amdhsa_exception_int_div_zero 0
	.end_amdhsa_kernel
	.section	.text._ZN4vllm25paged_attention_v1_kernelI14__hip_bfloat16hLi112ELi32ELi128ELNS_18Fp8KVCacheDataTypeE1ELb0EEEvPT_PKS3_PKT0_S9_ifPKiSB_iPKfiiiSD_SD_iiiii,"axG",@progbits,_ZN4vllm25paged_attention_v1_kernelI14__hip_bfloat16hLi112ELi32ELi128ELNS_18Fp8KVCacheDataTypeE1ELb0EEEvPT_PKS3_PKT0_S9_ifPKiSB_iPKfiiiSD_SD_iiiii,comdat
.Lfunc_end324:
	.size	_ZN4vllm25paged_attention_v1_kernelI14__hip_bfloat16hLi112ELi32ELi128ELNS_18Fp8KVCacheDataTypeE1ELb0EEEvPT_PKS3_PKT0_S9_ifPKiSB_iPKfiiiSD_SD_iiiii, .Lfunc_end324-_ZN4vllm25paged_attention_v1_kernelI14__hip_bfloat16hLi112ELi32ELi128ELNS_18Fp8KVCacheDataTypeE1ELb0EEEvPT_PKS3_PKT0_S9_ifPKiSB_iPKfiiiSD_SD_iiiii
                                        ; -- End function
	.set _ZN4vllm25paged_attention_v1_kernelI14__hip_bfloat16hLi112ELi32ELi128ELNS_18Fp8KVCacheDataTypeE1ELb0EEEvPT_PKS3_PKT0_S9_ifPKiSB_iPKfiiiSD_SD_iiiii.num_vgpr, 64
	.set _ZN4vllm25paged_attention_v1_kernelI14__hip_bfloat16hLi112ELi32ELi128ELNS_18Fp8KVCacheDataTypeE1ELb0EEEvPT_PKS3_PKT0_S9_ifPKiSB_iPKfiiiSD_SD_iiiii.num_agpr, 0
	.set _ZN4vllm25paged_attention_v1_kernelI14__hip_bfloat16hLi112ELi32ELi128ELNS_18Fp8KVCacheDataTypeE1ELb0EEEvPT_PKS3_PKT0_S9_ifPKiSB_iPKfiiiSD_SD_iiiii.numbered_sgpr, 52
	.set _ZN4vllm25paged_attention_v1_kernelI14__hip_bfloat16hLi112ELi32ELi128ELNS_18Fp8KVCacheDataTypeE1ELb0EEEvPT_PKS3_PKT0_S9_ifPKiSB_iPKfiiiSD_SD_iiiii.num_named_barrier, 0
	.set _ZN4vllm25paged_attention_v1_kernelI14__hip_bfloat16hLi112ELi32ELi128ELNS_18Fp8KVCacheDataTypeE1ELb0EEEvPT_PKS3_PKT0_S9_ifPKiSB_iPKfiiiSD_SD_iiiii.private_seg_size, 288
	.set _ZN4vllm25paged_attention_v1_kernelI14__hip_bfloat16hLi112ELi32ELi128ELNS_18Fp8KVCacheDataTypeE1ELb0EEEvPT_PKS3_PKT0_S9_ifPKiSB_iPKfiiiSD_SD_iiiii.uses_vcc, 1
	.set _ZN4vllm25paged_attention_v1_kernelI14__hip_bfloat16hLi112ELi32ELi128ELNS_18Fp8KVCacheDataTypeE1ELb0EEEvPT_PKS3_PKT0_S9_ifPKiSB_iPKfiiiSD_SD_iiiii.uses_flat_scratch, 0
	.set _ZN4vllm25paged_attention_v1_kernelI14__hip_bfloat16hLi112ELi32ELi128ELNS_18Fp8KVCacheDataTypeE1ELb0EEEvPT_PKS3_PKT0_S9_ifPKiSB_iPKfiiiSD_SD_iiiii.has_dyn_sized_stack, 0
	.set _ZN4vllm25paged_attention_v1_kernelI14__hip_bfloat16hLi112ELi32ELi128ELNS_18Fp8KVCacheDataTypeE1ELb0EEEvPT_PKS3_PKT0_S9_ifPKiSB_iPKfiiiSD_SD_iiiii.has_recursion, 0
	.set _ZN4vllm25paged_attention_v1_kernelI14__hip_bfloat16hLi112ELi32ELi128ELNS_18Fp8KVCacheDataTypeE1ELb0EEEvPT_PKS3_PKT0_S9_ifPKiSB_iPKfiiiSD_SD_iiiii.has_indirect_call, 0
	.section	.AMDGPU.csdata,"",@progbits
; Kernel info:
; codeLenInByte = 36768
; TotalNumSgprs: 56
; NumVgprs: 64
; ScratchSize: 288
; MemoryBound: 0
; FloatMode: 240
; IeeeMode: 1
; LDSByteSize: 240 bytes/workgroup (compile time only)
; SGPRBlocks: 6
; VGPRBlocks: 15
; NumSGPRsForWavesPerEU: 56
; NumVGPRsForWavesPerEU: 64
; Occupancy: 4
; WaveLimiterHint : 1
; COMPUTE_PGM_RSRC2:SCRATCH_EN: 1
; COMPUTE_PGM_RSRC2:USER_SGPR: 6
; COMPUTE_PGM_RSRC2:TRAP_HANDLER: 0
; COMPUTE_PGM_RSRC2:TGID_X_EN: 1
; COMPUTE_PGM_RSRC2:TGID_Y_EN: 1
; COMPUTE_PGM_RSRC2:TGID_Z_EN: 1
; COMPUTE_PGM_RSRC2:TIDIG_COMP_CNT: 0
	.section	.text._ZN4vllm25paged_attention_v1_kernelI14__hip_bfloat16hLi120ELi32ELi128ELNS_18Fp8KVCacheDataTypeE1ELb0EEEvPT_PKS3_PKT0_S9_ifPKiSB_iPKfiiiSD_SD_iiiii,"axG",@progbits,_ZN4vllm25paged_attention_v1_kernelI14__hip_bfloat16hLi120ELi32ELi128ELNS_18Fp8KVCacheDataTypeE1ELb0EEEvPT_PKS3_PKT0_S9_ifPKiSB_iPKfiiiSD_SD_iiiii,comdat
	.protected	_ZN4vllm25paged_attention_v1_kernelI14__hip_bfloat16hLi120ELi32ELi128ELNS_18Fp8KVCacheDataTypeE1ELb0EEEvPT_PKS3_PKT0_S9_ifPKiSB_iPKfiiiSD_SD_iiiii ; -- Begin function _ZN4vllm25paged_attention_v1_kernelI14__hip_bfloat16hLi120ELi32ELi128ELNS_18Fp8KVCacheDataTypeE1ELb0EEEvPT_PKS3_PKT0_S9_ifPKiSB_iPKfiiiSD_SD_iiiii
	.globl	_ZN4vllm25paged_attention_v1_kernelI14__hip_bfloat16hLi120ELi32ELi128ELNS_18Fp8KVCacheDataTypeE1ELb0EEEvPT_PKS3_PKT0_S9_ifPKiSB_iPKfiiiSD_SD_iiiii
	.p2align	8
	.type	_ZN4vllm25paged_attention_v1_kernelI14__hip_bfloat16hLi120ELi32ELi128ELNS_18Fp8KVCacheDataTypeE1ELb0EEEvPT_PKS3_PKT0_S9_ifPKiSB_iPKfiiiSD_SD_iiiii,@function
_ZN4vllm25paged_attention_v1_kernelI14__hip_bfloat16hLi120ELi32ELi128ELNS_18Fp8KVCacheDataTypeE1ELb0EEEvPT_PKS3_PKT0_S9_ifPKiSB_iPKfiiiSD_SD_iiiii: ; @_ZN4vllm25paged_attention_v1_kernelI14__hip_bfloat16hLi120ELi32ELi128ELNS_18Fp8KVCacheDataTypeE1ELb0EEEvPT_PKS3_PKT0_S9_ifPKiSB_iPKfiiiSD_SD_iiiii
; %bb.0:
	s_mov_b64 s[50:51], s[2:3]
	s_mov_b64 s[48:49], s[0:1]
	s_add_u32 s48, s48, s9
	s_load_dword s9, s[4:5], 0x80
	s_load_dwordx2 s[0:1], s[4:5], 0x30
	s_load_dwordx2 s[30:31], s[4:5], 0x20
	s_addc_u32 s49, s49, 0
	s_mov_b32 s10, s7
	s_ashr_i32 s11, s7, 31
	s_lshl_b64 s[2:3], s[10:11], 2
	s_waitcnt lgkmcnt(0)
	s_add_u32 s0, s0, s2
	s_addc_u32 s1, s1, s3
	s_abs_i32 s2, s30
	v_mov_b32_e32 v12, v0
	v_cvt_f32_u32_e32 v0, s2
	s_sub_i32 s11, 0, s2
	s_abs_i32 s7, s9
	s_xor_b32 s3, s9, s30
	v_rcp_iflag_f32_e32 v0, v0
	s_ashr_i32 s3, s3, 31
	s_mov_b32 s33, 0
	v_mul_f32_e32 v0, 0x4f7ffffe, v0
	v_cvt_u32_f32_e32 v0, v0
	v_readfirstlane_b32 s12, v0
	s_mul_i32 s11, s11, s12
	s_mul_hi_u32 s11, s12, s11
	s_add_i32 s12, s12, s11
	s_mul_hi_u32 s11, s7, s12
	s_mul_i32 s12, s11, s2
	s_sub_i32 s7, s7, s12
	s_add_i32 s12, s11, 1
	s_sub_i32 s13, s7, s2
	s_cmp_ge_u32 s7, s2
	s_cselect_b32 s11, s12, s11
	s_cselect_b32 s7, s13, s7
	s_add_i32 s12, s11, 1
	s_cmp_ge_u32 s7, s2
	s_cselect_b32 s2, s12, s11
	s_xor_b32 s2, s2, s3
	s_sub_i32 s12, s2, s3
	s_abs_i32 s11, s12
	v_cvt_f32_u32_e32 v0, s11
	s_load_dwordx2 s[2:3], s[4:5], 0x40
	s_sub_i32 s7, 0, s11
	s_abs_i32 s16, s6
	v_rcp_iflag_f32_e32 v0, v0
	v_mul_f32_e32 v0, 0x4f7ffffe, v0
	v_cvt_u32_f32_e32 v0, v0
	v_readfirstlane_b32 s13, v0
	s_mul_i32 s7, s7, s13
	s_mul_hi_u32 s7, s13, s7
	s_add_i32 s13, s13, s7
	s_waitcnt lgkmcnt(0)
	s_cmp_eq_u64 s[2:3], 0
	s_mul_hi_u32 s17, s16, s13
	s_cbranch_scc1 .LBB325_2
; %bb.1:
	s_ashr_i32 s7, s6, 31
	s_lshl_b64 s[14:15], s[6:7], 2
	s_add_u32 s2, s2, s14
	s_addc_u32 s3, s3, s15
	s_load_dword s33, s[2:3], 0x0
.LBB325_2:
	s_load_dword s30, s[0:1], 0x0
	s_ashr_i32 s3, s12, 31
	s_load_dwordx4 s[12:15], s[4:5], 0x48
	s_ashr_i32 s2, s6, 31
	v_and_b32_e32 v1, 1, v12
	s_movk_i32 s7, 0x78
	s_mul_i32 s20, s6, 0x78
	v_cmp_gt_u32_e32 vcc, 30, v12
	v_lshlrev_b32_e32 v0, 3, v12
	buffer_store_dword v0, off, s[48:51], 0 offset:304 ; 4-byte Folded Spill
	s_and_saveexec_b64 s[0:1], vcc
	s_cbranch_execz .LBB325_4
; %bb.3:
	s_load_dwordx2 s[18:19], s[4:5], 0x8
	s_waitcnt lgkmcnt(0)
	s_mul_i32 s22, s12, s10
	s_ashr_i32 s23, s22, 31
	s_lshl_b64 s[22:23], s[22:23], 1
	v_lshlrev_b32_e32 v0, 3, v12
	s_add_u32 s6, s18, s22
	s_addc_u32 s12, s19, s23
	s_ashr_i32 s21, s20, 31
	s_lshl_b64 s[18:19], s[20:21], 1
	s_add_u32 s18, s6, s18
	s_addc_u32 s19, s12, s19
	global_load_dwordx2 v[2:3], v0, s[18:19]
	v_lshlrev_b32_e32 v0, 2, v12
	v_and_b32_e32 v0, 0xff8, v0
	v_mad_u32_u24 v0, v1, s7, v0
	s_waitcnt vmcnt(0)
	ds_write_b64 v0, v[2:3]
.LBB325_4:
	s_or_b64 exec, exec, s[0:1]
	s_waitcnt lgkmcnt(0)
	s_add_i32 s1, s30, 31
	s_ashr_i32 s6, s1, 31
	s_lshr_b32 s6, s6, 27
	s_add_i32 s1, s1, s6
	s_ashr_i32 s21, s1, 5
	s_xor_b32 s1, s2, s3
	s_mul_i32 s2, s17, s11
	s_sub_i32 s2, s16, s2
	s_add_i32 s3, s17, 1
	s_sub_i32 s6, s2, s11
	s_load_dwordx2 s[24:25], s[4:5], 0x28
	s_load_dword s0, s[4:5], 0x38
	s_cmp_ge_u32 s2, s11
	s_cselect_b32 s3, s3, s17
	s_cselect_b32 s2, s6, s2
	s_add_i32 s6, s3, 1
	s_cmp_ge_u32 s2, s11
	s_cselect_b32 s2, s6, s3
	v_lshrrev_b32_e32 v0, 6, v12
	s_xor_b32 s2, s2, s1
	s_waitcnt lgkmcnt(0)
	s_mul_i32 s26, s0, s10
	s_sub_i32 s12, s2, s1
	s_ashr_i32 s27, s26, 31
	v_cmp_le_i32_e64 s[0:1], s21, v0
	v_mbcnt_lo_u32_b32 v5, -1, 0
	s_waitcnt vmcnt(0)
	s_barrier
	buffer_store_dword v0, off, s[48:51], 0 ; 4-byte Folded Spill
                                        ; implicit-def: $vgpr9
                                        ; implicit-def: $vgpr10
                                        ; implicit-def: $vgpr11
	s_and_saveexec_b64 s[2:3], s[0:1]
	s_xor_b64 s[2:3], exec, s[2:3]
; %bb.5:
	v_mbcnt_hi_u32_b32 v9, -1, v5
	v_and_b32_e32 v10, 64, v9
	v_add_u32_e32 v11, 64, v10
                                        ; implicit-def: $vgpr1
                                        ; implicit-def: $vgpr5
; %bb.6:
	s_or_saveexec_b64 s[6:7], s[2:3]
	s_load_dwordx2 s[22:23], s[4:5], 0x0
	s_load_dwordx2 s[28:29], s[4:5], 0x18
	s_load_dword s11, s[4:5], 0x88
	s_load_dwordx4 s[16:19], s[4:5], 0x58
	v_mov_b32_e32 v0, 0xff7fffff
	buffer_store_dword v0, off, s[48:51], 0 offset:36 ; 4-byte Folded Spill
	s_mul_i32 s12, s12, s14
	v_lshrrev_b32_e32 v0, 4, v12
	buffer_store_dword v0, off, s[48:51], 0 offset:300 ; 4-byte Folded Spill
	buffer_store_dword v12, off, s[48:51], 0 offset:296 ; 4-byte Folded Spill
	s_xor_b64 exec, exec, s[6:7]
	s_cbranch_execz .LBB325_372
; %bb.7:
	v_mul_u32_u24_e32 v6, 0x78, v1
	v_bfe_u32 v0, v12, 1, 5
	ds_read2_b64 v[11:14], v6 offset1:1
	s_load_dwordx2 s[2:3], s[4:5], 0x10
	s_ashr_i32 s4, s12, 31
	v_lshlrev_b32_e32 v2, 4, v0
	v_lshlrev_b32_e32 v4, 2, v1
	s_waitcnt lgkmcnt(0)
	v_lshlrev_b32_e32 v7, 16, v11
	buffer_store_dword v7, off, s[48:51], 0 offset:40 ; 4-byte Folded Spill
	v_and_b32_e32 v7, 0xffff0000, v11
	buffer_store_dword v7, off, s[48:51], 0 offset:44 ; 4-byte Folded Spill
	v_lshlrev_b32_e32 v7, 16, v12
	buffer_store_dword v7, off, s[48:51], 0 offset:48 ; 4-byte Folded Spill
	v_and_b32_e32 v7, 0xffff0000, v12
	buffer_store_dword v7, off, s[48:51], 0 offset:52 ; 4-byte Folded Spill
	;; [unrolled: 4-line block ×3, first 2 shown]
	v_lshlrev_b32_e32 v7, 16, v14
	buffer_store_dword v7, off, s[48:51], 0 offset:64 ; 4-byte Folded Spill
	v_and_b32_e32 v7, 0xffff0000, v14
	ds_read2_b64 v[11:14], v6 offset0:2 offset1:3
	buffer_store_dword v7, off, s[48:51], 0 offset:68 ; 4-byte Folded Spill
	s_add_u32 s2, s2, s12
	s_addc_u32 s3, s3, s4
	v_add_co_u32_e32 v2, vcc, s2, v2
	s_waitcnt lgkmcnt(0)
	v_lshlrev_b32_e32 v7, 16, v11
	buffer_store_dword v7, off, s[48:51], 0 offset:72 ; 4-byte Folded Spill
	v_and_b32_e32 v7, 0xffff0000, v11
	buffer_store_dword v7, off, s[48:51], 0 offset:76 ; 4-byte Folded Spill
	v_lshlrev_b32_e32 v7, 16, v12
	buffer_store_dword v7, off, s[48:51], 0 offset:80 ; 4-byte Folded Spill
	v_and_b32_e32 v7, 0xffff0000, v12
	buffer_store_dword v7, off, s[48:51], 0 offset:84 ; 4-byte Folded Spill
	v_lshlrev_b32_e32 v7, 16, v13
	buffer_store_dword v7, off, s[48:51], 0 offset:88 ; 4-byte Folded Spill
	v_and_b32_e32 v7, 0xffff0000, v13
	buffer_store_dword v7, off, s[48:51], 0 offset:92 ; 4-byte Folded Spill
	v_lshlrev_b32_e32 v7, 16, v14
	buffer_store_dword v7, off, s[48:51], 0 offset:96 ; 4-byte Folded Spill
	v_and_b32_e32 v7, 0xffff0000, v14
	ds_read2_b64 v[11:14], v6 offset0:4 offset1:5
	buffer_store_dword v7, off, s[48:51], 0 offset:100 ; 4-byte Folded Spill
	v_mov_b32_e32 v3, s3
	v_addc_co_u32_e32 v3, vcc, 0, v3, vcc
	s_waitcnt lgkmcnt(0)
	v_lshlrev_b32_e32 v7, 16, v11
	buffer_store_dword v7, off, s[48:51], 0 offset:104 ; 4-byte Folded Spill
	v_and_b32_e32 v7, 0xffff0000, v11
	buffer_store_dword v7, off, s[48:51], 0 offset:108 ; 4-byte Folded Spill
	v_lshlrev_b32_e32 v7, 16, v12
	buffer_store_dword v7, off, s[48:51], 0 offset:116 ; 4-byte Folded Spill
	v_and_b32_e32 v7, 0xffff0000, v12
	buffer_store_dword v7, off, s[48:51], 0 offset:120 ; 4-byte Folded Spill
	;; [unrolled: 4-line block ×3, first 2 shown]
	v_lshlrev_b32_e32 v7, 16, v14
	buffer_store_dword v7, off, s[48:51], 0 offset:132 ; 4-byte Folded Spill
	v_and_b32_e32 v7, 0xffff0000, v14
	ds_read2_b64 v[11:14], v6 offset0:6 offset1:7
	buffer_store_dword v7, off, s[48:51], 0 offset:136 ; 4-byte Folded Spill
	s_load_dword s39, s[16:17], 0x0
	s_sub_i32 s40, 1, s30
	s_mov_b32 s38, s13
	s_waitcnt lgkmcnt(0)
	v_lshlrev_b32_e32 v7, 16, v11
	buffer_store_dword v7, off, s[48:51], 0 offset:140 ; 4-byte Folded Spill
	v_and_b32_e32 v7, 0xffff0000, v11
	buffer_store_dword v7, off, s[48:51], 0 offset:144 ; 4-byte Folded Spill
	v_lshlrev_b32_e32 v7, 16, v12
	buffer_store_dword v7, off, s[48:51], 0 offset:148 ; 4-byte Folded Spill
	v_and_b32_e32 v7, 0xffff0000, v12
	buffer_store_dword v7, off, s[48:51], 0 offset:152 ; 4-byte Folded Spill
	;; [unrolled: 4-line block ×3, first 2 shown]
	v_lshlrev_b32_e32 v7, 16, v14
	buffer_store_dword v7, off, s[48:51], 0 offset:164 ; 4-byte Folded Spill
	v_and_b32_e32 v7, 0xffff0000, v14
	ds_read2_b64 v[11:14], v6 offset0:8 offset1:9
	buffer_store_dword v7, off, s[48:51], 0 offset:168 ; 4-byte Folded Spill
	v_cmp_neq_f32_e64 s[2:3], s33, 0
	s_movk_i32 s41, 0x80
	s_movk_i32 s42, 0x7f
	s_waitcnt lgkmcnt(0)
	v_lshlrev_b32_e32 v7, 16, v11
	buffer_store_dword v7, off, s[48:51], 0 offset:172 ; 4-byte Folded Spill
	v_and_b32_e32 v7, 0xffff0000, v11
	buffer_store_dword v7, off, s[48:51], 0 offset:176 ; 4-byte Folded Spill
	v_lshlrev_b32_e32 v7, 16, v12
	buffer_store_dword v7, off, s[48:51], 0 offset:180 ; 4-byte Folded Spill
	v_and_b32_e32 v7, 0xffff0000, v12
	buffer_store_dword v7, off, s[48:51], 0 offset:184 ; 4-byte Folded Spill
	;; [unrolled: 4-line block ×3, first 2 shown]
	v_lshlrev_b32_e32 v7, 16, v14
	buffer_store_dword v7, off, s[48:51], 0 offset:196 ; 4-byte Folded Spill
	v_and_b32_e32 v7, 0xffff0000, v14
	ds_read2_b64 v[11:14], v6 offset0:10 offset1:11
	buffer_store_dword v7, off, s[48:51], 0 offset:200 ; 4-byte Folded Spill
	s_mov_b32 s43, 0xffffff
	s_movk_i32 s44, 0x7fff
	s_waitcnt lgkmcnt(0)
	v_lshlrev_b32_e32 v7, 16, v11
	buffer_store_dword v7, off, s[48:51], 0 offset:204 ; 4-byte Folded Spill
	v_and_b32_e32 v7, 0xffff0000, v11
	buffer_store_dword v7, off, s[48:51], 0 offset:208 ; 4-byte Folded Spill
	v_lshlrev_b32_e32 v7, 16, v12
	buffer_store_dword v7, off, s[48:51], 0 offset:212 ; 4-byte Folded Spill
	v_and_b32_e32 v7, 0xffff0000, v12
	buffer_store_dword v7, off, s[48:51], 0 offset:216 ; 4-byte Folded Spill
	;; [unrolled: 4-line block ×3, first 2 shown]
	v_lshlrev_b32_e32 v7, 16, v14
	buffer_store_dword v7, off, s[48:51], 0 offset:228 ; 4-byte Folded Spill
	v_and_b32_e32 v7, 0xffff0000, v14
	ds_read2_b64 v[11:14], v6 offset0:12 offset1:13
	buffer_store_dword v7, off, s[48:51], 0 offset:232 ; 4-byte Folded Spill
	s_waitcnt lgkmcnt(0)
	v_lshlrev_b32_e32 v7, 16, v11
	buffer_store_dword v7, off, s[48:51], 0 offset:236 ; 4-byte Folded Spill
	v_and_b32_e32 v7, 0xffff0000, v11
	buffer_store_dword v7, off, s[48:51], 0 offset:240 ; 4-byte Folded Spill
	v_lshlrev_b32_e32 v7, 16, v12
	buffer_store_dword v7, off, s[48:51], 0 offset:244 ; 4-byte Folded Spill
	v_mbcnt_hi_u32_b32 v7, -1, v5
	v_and_b32_e32 v8, 64, v7
	v_xor_b32_e32 v5, 1, v7
	buffer_store_dword v8, off, s[48:51], 0 offset:312 ; 4-byte Folded Spill
	v_add_u32_e32 v8, 64, v8
	v_cmp_lt_i32_e32 vcc, v5, v8
	v_cndmask_b32_e32 v5, v7, v5, vcc
	v_lshlrev_b32_e32 v5, 2, v5
	buffer_store_dword v5, off, s[48:51], 0 offset:248 ; 4-byte Folded Spill
	v_cmp_eq_u32_e32 vcc, 0, v1
	v_and_b32_e32 v1, 0xffff0000, v12
	ds_read_b64 v[5:6], v6 offset:112
	buffer_store_dword v1, off, s[48:51], 0 offset:252 ; 4-byte Folded Spill
	v_lshlrev_b32_e32 v1, 16, v13
	buffer_store_dword v1, off, s[48:51], 0 offset:256 ; 4-byte Folded Spill
	v_and_b32_e32 v1, 0xffff0000, v13
	buffer_store_dword v1, off, s[48:51], 0 offset:260 ; 4-byte Folded Spill
	v_lshlrev_b32_e32 v1, 16, v14
	buffer_store_dword v1, off, s[48:51], 0 offset:264 ; 4-byte Folded Spill
	v_and_b32_e32 v1, 0xffff0000, v14
	buffer_store_dword v1, off, s[48:51], 0 offset:268 ; 4-byte Folded Spill
	s_waitcnt lgkmcnt(0)
	v_lshlrev_b32_e32 v1, 16, v5
	buffer_store_dword v1, off, s[48:51], 0 offset:272 ; 4-byte Folded Spill
	v_and_b32_e32 v1, 0xffff0000, v5
	buffer_store_dword v1, off, s[48:51], 0 offset:276 ; 4-byte Folded Spill
	v_lshlrev_b32_e32 v1, 16, v6
	buffer_store_dword v1, off, s[48:51], 0 offset:280 ; 4-byte Folded Spill
	v_and_b32_e32 v1, 0xffff0000, v6
	buffer_store_dword v1, off, s[48:51], 0 offset:284 ; 4-byte Folded Spill
	v_add_co_u32_e64 v1, s[4:5], v2, v4
	v_addc_co_u32_e64 v2, s[4:5], 0, v3, s[4:5]
	buffer_store_dword v8, off, s[48:51], 0 offset:316 ; 4-byte Folded Spill
	buffer_store_dword v7, off, s[48:51], 0 offset:308 ; 4-byte Folded Spill
	;; [unrolled: 1-line block ×3, first 2 shown]
	s_nop 0
	buffer_store_dword v2, off, s[48:51], 0 offset:292 ; 4-byte Folded Spill
	buffer_load_dword v1, off, s[48:51], 0  ; 4-byte Folded Reload
	s_lshl_b64 s[4:5], s[26:27], 2
	s_add_u32 s4, s24, s4
	s_addc_u32 s14, s25, s5
	s_waitcnt vmcnt(0)
	v_lshl_or_b32 v2, v1, 5, v0
	v_lshlrev_b32_e32 v0, 2, v0
	v_lshl_or_b32 v0, v1, 7, v0
	v_add_u32_e32 v0, 0x100, v0
	buffer_store_dword v0, off, s[48:51], 0 offset:12 ; 4-byte Folded Spill
	buffer_load_dword v0, off, s[48:51], 0 offset:300 ; 4-byte Folded Reload
	v_mov_b32_e32 v5, v1
	buffer_store_dword v2, off, s[48:51], 0 offset:8 ; 4-byte Folded Spill
	s_waitcnt vmcnt(1)
	v_and_b32_e32 v0, 60, v0
	v_add_co_u32_e64 v2, s[4:5], s4, v0
	v_mov_b32_e32 v0, s14
	v_addc_co_u32_e64 v3, s[4:5], 0, v0, s[4:5]
	v_mov_b32_e32 v0, 0xff7fffff
	buffer_store_dword v0, off, s[48:51], 0 offset:36 ; 4-byte Folded Spill
	v_mov_b32_e32 v0, v2
	s_mov_b64 s[14:15], 0
	v_mov_b32_e32 v1, v3
	s_branch .LBB325_9
.LBB325_8:                              ;   in Loop: Header=BB325_9 Depth=1
	s_or_b64 exec, exec, s[16:17]
	buffer_load_dword v0, off, s[48:51], 0 offset:8 ; 4-byte Folded Reload
	s_waitcnt vmcnt(1)
	v_add_u32_e32 v5, 2, v5
	v_cmp_le_i32_e64 s[4:5], s21, v5
	s_or_b64 s[14:15], s[4:5], s[14:15]
	s_waitcnt vmcnt(0)
	v_add_u32_e32 v0, 64, v0
	buffer_store_dword v0, off, s[48:51], 0 offset:8 ; 4-byte Folded Spill
	buffer_load_dword v0, off, s[48:51], 0 offset:12 ; 4-byte Folded Reload
	s_waitcnt vmcnt(0)
	v_add_u32_e32 v0, 0x100, v0
	buffer_store_dword v0, off, s[48:51], 0 offset:12 ; 4-byte Folded Spill
	buffer_load_dword v0, off, s[48:51], 0 offset:16 ; 4-byte Folded Reload
	s_waitcnt lgkmcnt(0)
	buffer_load_dword v1, off, s[48:51], 0 offset:20 ; 4-byte Folded Reload
	s_waitcnt vmcnt(1)
	v_add_co_u32_e64 v0, s[4:5], 8, v0
	s_waitcnt vmcnt(0)
	v_addc_co_u32_e64 v1, s[4:5], 0, v1, s[4:5]
	s_andn2_b64 exec, exec, s[14:15]
	s_cbranch_execz .LBB325_371
.LBB325_9:                              ; =>This Inner Loop Header: Depth=1
	buffer_store_dword v5, off, s[48:51], 0 offset:24 ; 4-byte Folded Spill
	buffer_store_dword v0, off, s[48:51], 0 offset:16 ; 4-byte Folded Spill
	s_nop 0
	buffer_store_dword v1, off, s[48:51], 0 offset:20 ; 4-byte Folded Spill
	v_mov_b32_e32 v24, 0
	global_load_dword v0, v[0:1], off
	s_nop 0
	buffer_load_dword v1, off, s[48:51], 0 offset:288 ; 4-byte Folded Reload
	buffer_load_dword v2, off, s[48:51], 0 offset:292 ; 4-byte Folded Reload
	s_waitcnt vmcnt(0)
	v_mad_i64_i32 v[5:6], s[4:5], v0, s38, v[1:2]
	v_mov_b32_e32 v0, 0
	global_load_dword v7, v[5:6], off
	s_waitcnt vmcnt(0)
	v_cmp_ne_u16_sdwa s[4:5], v7, v0 src0_sel:BYTE_0 src1_sel:DWORD
	s_and_saveexec_b64 s[16:17], s[4:5]
	s_cbranch_execz .LBB325_15
; %bb.10:                               ;   in Loop: Header=BB325_9 Depth=1
	v_cmp_ne_u16_sdwa s[4:5], v7, s41 src0_sel:BYTE_0 src1_sel:DWORD
	v_bfrev_b32_e32 v24, 1
	s_and_saveexec_b64 s[34:35], s[4:5]
	s_cbranch_execz .LBB325_14
; %bb.11:                               ;   in Loop: Header=BB325_9 Depth=1
	v_and_b32_e32 v0, 0x7f, v7
	v_cmp_ne_u32_e64 s[4:5], s42, v0
	v_mov_b32_e32 v24, 0x7f800001
	s_and_saveexec_b64 s[36:37], s[4:5]
	s_cbranch_execz .LBB325_13
; %bb.12:                               ;   in Loop: Header=BB325_9 Depth=1
	v_and_b32_e32 v2, 7, v7
	v_lshrrev_b32_e32 v8, 3, v0
	v_cmp_gt_u32_e64 s[4:5], 8, v0
	v_ffbh_u32_e32 v0, v2
	v_min_u32_e32 v9, 32, v0
	v_subrev_u32_e32 v0, 28, v9
	v_lshlrev_b64 v[0:1], v0, v[7:8]
	v_sub_u32_e32 v1, 29, v9
	v_and_b32_e32 v0, 7, v0
	v_cndmask_b32_e64 v1, v8, v1, s[4:5]
	v_cndmask_b32_e64 v0, v2, v0, s[4:5]
	v_lshlrev_b32_e32 v2, 24, v7
	v_bfrev_b32_e32 v3, 60
	v_lshlrev_b32_e32 v0, 20, v0
	v_and_b32_e32 v2, 0x80000000, v2
	v_lshl_add_u32 v1, v1, 23, v3
	v_or3_b32 v24, v2, v1, v0
.LBB325_13:                             ;   in Loop: Header=BB325_9 Depth=1
	s_or_b64 exec, exec, s[36:37]
.LBB325_14:                             ;   in Loop: Header=BB325_9 Depth=1
	s_or_b64 exec, exec, s[34:35]
.LBB325_15:                             ;   in Loop: Header=BB325_9 Depth=1
	s_or_b64 exec, exec, s[16:17]
	v_lshrrev_b16_e32 v8, 8, v7
	v_cmp_ne_u16_e64 s[4:5], 0, v8
	v_mov_b32_e32 v23, 0
	v_mov_b32_e32 v22, 0
	s_and_saveexec_b64 s[16:17], s[4:5]
	s_cbranch_execz .LBB325_21
; %bb.16:                               ;   in Loop: Header=BB325_9 Depth=1
	v_cmp_ne_u16_e64 s[4:5], s41, v8
	v_bfrev_b32_e32 v22, 1
	s_and_saveexec_b64 s[34:35], s[4:5]
	s_cbranch_execz .LBB325_20
; %bb.17:                               ;   in Loop: Header=BB325_9 Depth=1
	v_and_b32_e32 v0, 0x7f, v8
	v_cmp_ne_u32_e64 s[4:5], s42, v0
	v_mov_b32_e32 v22, 0x7f800001
	s_and_saveexec_b64 s[36:37], s[4:5]
	s_cbranch_execz .LBB325_19
; %bb.18:                               ;   in Loop: Header=BB325_9 Depth=1
	v_and_b32_e32 v2, 7, v8
	v_lshrrev_b32_e32 v9, 3, v0
	v_cmp_gt_u32_e64 s[4:5], 8, v0
	v_ffbh_u32_e32 v0, v2
	v_min_u32_e32 v11, 32, v0
	v_subrev_u32_e32 v0, 28, v11
	v_lshlrev_b64 v[0:1], v0, v[8:9]
	v_sub_u32_e32 v1, 29, v11
	v_and_b32_e32 v0, 7, v0
	v_cndmask_b32_e64 v1, v9, v1, s[4:5]
	v_cndmask_b32_e64 v0, v2, v0, s[4:5]
	v_lshlrev_b32_e32 v2, 16, v7
	v_bfrev_b32_e32 v3, 60
	v_lshlrev_b32_e32 v0, 20, v0
	v_and_b32_e32 v2, 0x80000000, v2
	v_lshl_add_u32 v1, v1, 23, v3
	v_or3_b32 v22, v2, v1, v0
.LBB325_19:                             ;   in Loop: Header=BB325_9 Depth=1
	s_or_b64 exec, exec, s[36:37]
.LBB325_20:                             ;   in Loop: Header=BB325_9 Depth=1
	s_or_b64 exec, exec, s[34:35]
.LBB325_21:                             ;   in Loop: Header=BB325_9 Depth=1
	s_or_b64 exec, exec, s[16:17]
	v_lshrrev_b32_e32 v8, 16, v7
	v_mov_b32_e32 v0, 0
	v_cmp_ne_u16_sdwa s[4:5], v8, v0 src0_sel:BYTE_0 src1_sel:DWORD
	s_and_saveexec_b64 s[16:17], s[4:5]
	s_cbranch_execz .LBB325_27
; %bb.22:                               ;   in Loop: Header=BB325_9 Depth=1
	v_cmp_ne_u16_sdwa s[4:5], v8, s41 src0_sel:BYTE_0 src1_sel:DWORD
	v_bfrev_b32_e32 v23, 1
	s_and_saveexec_b64 s[34:35], s[4:5]
	s_cbranch_execz .LBB325_26
; %bb.23:                               ;   in Loop: Header=BB325_9 Depth=1
	v_bfe_u32 v0, v7, 16, 7
	v_cmp_ne_u32_e64 s[4:5], s42, v0
	v_mov_b32_e32 v23, 0x7f800001
	s_and_saveexec_b64 s[36:37], s[4:5]
	s_cbranch_execz .LBB325_25
; %bb.24:                               ;   in Loop: Header=BB325_9 Depth=1
	v_and_b32_e32 v2, 7, v8
	v_lshrrev_b32_e32 v9, 3, v0
	v_cmp_gt_u32_e64 s[4:5], 8, v0
	v_ffbh_u32_e32 v0, v2
	v_min_u32_e32 v11, 32, v0
	v_subrev_u32_e32 v0, 28, v11
	v_lshlrev_b64 v[0:1], v0, v[8:9]
	v_sub_u32_e32 v1, 29, v11
	v_and_b32_e32 v0, 7, v0
	v_cndmask_b32_e64 v1, v9, v1, s[4:5]
	v_cndmask_b32_e64 v0, v2, v0, s[4:5]
	v_lshlrev_b32_e32 v2, 24, v8
	v_bfrev_b32_e32 v3, 60
	v_lshlrev_b32_e32 v0, 20, v0
	v_and_b32_e32 v2, 0x80000000, v2
	v_lshl_add_u32 v1, v1, 23, v3
	v_or3_b32 v23, v2, v1, v0
.LBB325_25:                             ;   in Loop: Header=BB325_9 Depth=1
	s_or_b64 exec, exec, s[36:37]
.LBB325_26:                             ;   in Loop: Header=BB325_9 Depth=1
	s_or_b64 exec, exec, s[34:35]
.LBB325_27:                             ;   in Loop: Header=BB325_9 Depth=1
	s_or_b64 exec, exec, s[16:17]
	v_cmp_lt_u32_e64 s[4:5], s43, v7
	v_mov_b32_e32 v0, 0
	v_mov_b32_e32 v4, 0
	buffer_store_dword v0, off, s[48:51], 0 offset:4 ; 4-byte Folded Spill
	s_and_saveexec_b64 s[16:17], s[4:5]
	s_cbranch_execz .LBB325_33
; %bb.28:                               ;   in Loop: Header=BB325_9 Depth=1
	v_lshrrev_b32_e32 v8, 24, v7
	v_cmp_ne_u32_e64 s[4:5], s41, v8
	v_bfrev_b32_e32 v4, 1
	s_and_saveexec_b64 s[34:35], s[4:5]
	s_cbranch_execz .LBB325_32
; %bb.29:                               ;   in Loop: Header=BB325_9 Depth=1
	v_bfe_u32 v0, v7, 24, 7
	v_cmp_ne_u32_e64 s[4:5], s42, v0
	v_mov_b32_e32 v4, 0x7f800001
	s_and_saveexec_b64 s[36:37], s[4:5]
	s_cbranch_execz .LBB325_31
; %bb.30:                               ;   in Loop: Header=BB325_9 Depth=1
	v_and_b32_e32 v2, 7, v8
	v_lshrrev_b32_e32 v7, 3, v0
	v_cmp_gt_u32_e64 s[4:5], 8, v0
	v_ffbh_u32_e32 v0, v2
	v_min_u32_e32 v9, 32, v0
	v_subrev_u32_e32 v0, 28, v9
	v_lshlrev_b64 v[0:1], v0, v[8:9]
	v_sub_u32_e32 v1, 29, v9
	v_and_b32_e32 v0, 7, v0
	v_cndmask_b32_e64 v1, v7, v1, s[4:5]
	v_cndmask_b32_e64 v0, v2, v0, s[4:5]
	v_lshlrev_b32_e32 v2, 24, v8
	v_bfrev_b32_e32 v3, 60
	v_lshlrev_b32_e32 v0, 20, v0
	v_and_b32_e32 v2, 0x80000000, v2
	v_lshl_add_u32 v1, v1, 23, v3
	v_or3_b32 v4, v2, v1, v0
.LBB325_31:                             ;   in Loop: Header=BB325_9 Depth=1
	s_or_b64 exec, exec, s[36:37]
.LBB325_32:                             ;   in Loop: Header=BB325_9 Depth=1
	s_or_b64 exec, exec, s[34:35]
.LBB325_33:                             ;   in Loop: Header=BB325_9 Depth=1
	s_or_b64 exec, exec, s[16:17]
	global_load_dword v7, v[5:6], off offset:8
	v_mov_b32_e32 v0, 0
	s_waitcnt vmcnt(0)
	v_cmp_ne_u16_sdwa s[4:5], v7, v0 src0_sel:BYTE_0 src1_sel:DWORD
	s_and_saveexec_b64 s[16:17], s[4:5]
	s_cbranch_execz .LBB325_39
; %bb.34:                               ;   in Loop: Header=BB325_9 Depth=1
	v_cmp_ne_u16_sdwa s[4:5], v7, s41 src0_sel:BYTE_0 src1_sel:DWORD
	v_bfrev_b32_e32 v0, 1
	buffer_store_dword v0, off, s[48:51], 0 offset:4 ; 4-byte Folded Spill
	s_and_saveexec_b64 s[34:35], s[4:5]
	s_cbranch_execz .LBB325_38
; %bb.35:                               ;   in Loop: Header=BB325_9 Depth=1
	v_and_b32_e32 v0, 0x7f, v7
	v_cmp_ne_u32_e64 s[4:5], s42, v0
	v_mov_b32_e32 v1, 0x7f800001
	buffer_store_dword v1, off, s[48:51], 0 offset:4 ; 4-byte Folded Spill
	s_and_saveexec_b64 s[36:37], s[4:5]
	s_cbranch_execz .LBB325_37
; %bb.36:                               ;   in Loop: Header=BB325_9 Depth=1
	v_and_b32_e32 v2, 7, v7
	v_lshrrev_b32_e32 v8, 3, v0
	v_cmp_gt_u32_e64 s[4:5], 8, v0
	v_ffbh_u32_e32 v0, v2
	v_min_u32_e32 v9, 32, v0
	v_subrev_u32_e32 v0, 28, v9
	v_lshlrev_b64 v[0:1], v0, v[7:8]
	v_sub_u32_e32 v1, 29, v9
	v_and_b32_e32 v0, 7, v0
	v_cndmask_b32_e64 v1, v8, v1, s[4:5]
	v_cndmask_b32_e64 v0, v2, v0, s[4:5]
	v_lshlrev_b32_e32 v2, 24, v7
	v_bfrev_b32_e32 v3, 60
	v_lshlrev_b32_e32 v0, 20, v0
	v_and_b32_e32 v2, 0x80000000, v2
	v_lshl_add_u32 v1, v1, 23, v3
	v_or3_b32 v0, v2, v1, v0
	buffer_store_dword v0, off, s[48:51], 0 offset:4 ; 4-byte Folded Spill
.LBB325_37:                             ;   in Loop: Header=BB325_9 Depth=1
	s_or_b64 exec, exec, s[36:37]
.LBB325_38:                             ;   in Loop: Header=BB325_9 Depth=1
	s_or_b64 exec, exec, s[34:35]
.LBB325_39:                             ;   in Loop: Header=BB325_9 Depth=1
	s_or_b64 exec, exec, s[16:17]
	v_lshrrev_b16_e32 v8, 8, v7
	v_cmp_ne_u16_e64 s[4:5], 0, v8
	v_mov_b32_e32 v34, 0
	v_mov_b32_e32 v10, 0
	s_and_saveexec_b64 s[16:17], s[4:5]
	s_cbranch_execz .LBB325_45
; %bb.40:                               ;   in Loop: Header=BB325_9 Depth=1
	v_cmp_ne_u16_e64 s[4:5], s41, v8
	v_bfrev_b32_e32 v10, 1
	s_and_saveexec_b64 s[34:35], s[4:5]
	s_cbranch_execz .LBB325_44
; %bb.41:                               ;   in Loop: Header=BB325_9 Depth=1
	v_and_b32_e32 v0, 0x7f, v8
	v_cmp_ne_u32_e64 s[4:5], s42, v0
	v_mov_b32_e32 v10, 0x7f800001
	s_and_saveexec_b64 s[36:37], s[4:5]
	s_cbranch_execz .LBB325_43
; %bb.42:                               ;   in Loop: Header=BB325_9 Depth=1
	v_and_b32_e32 v2, 7, v8
	v_lshrrev_b32_e32 v9, 3, v0
	v_cmp_gt_u32_e64 s[4:5], 8, v0
	v_ffbh_u32_e32 v0, v2
	v_min_u32_e32 v11, 32, v0
	v_subrev_u32_e32 v0, 28, v11
	v_lshlrev_b64 v[0:1], v0, v[8:9]
	v_sub_u32_e32 v1, 29, v11
	v_and_b32_e32 v0, 7, v0
	v_cndmask_b32_e64 v1, v9, v1, s[4:5]
	v_cndmask_b32_e64 v0, v2, v0, s[4:5]
	v_lshlrev_b32_e32 v2, 16, v7
	v_bfrev_b32_e32 v3, 60
	v_lshlrev_b32_e32 v0, 20, v0
	v_and_b32_e32 v2, 0x80000000, v2
	v_lshl_add_u32 v1, v1, 23, v3
	v_or3_b32 v10, v2, v1, v0
.LBB325_43:                             ;   in Loop: Header=BB325_9 Depth=1
	s_or_b64 exec, exec, s[36:37]
.LBB325_44:                             ;   in Loop: Header=BB325_9 Depth=1
	s_or_b64 exec, exec, s[34:35]
.LBB325_45:                             ;   in Loop: Header=BB325_9 Depth=1
	s_or_b64 exec, exec, s[16:17]
	v_lshrrev_b32_e32 v8, 16, v7
	v_mov_b32_e32 v0, 0
	v_cmp_ne_u16_sdwa s[4:5], v8, v0 src0_sel:BYTE_0 src1_sel:DWORD
	s_and_saveexec_b64 s[16:17], s[4:5]
	s_cbranch_execz .LBB325_51
; %bb.46:                               ;   in Loop: Header=BB325_9 Depth=1
	v_cmp_ne_u16_sdwa s[4:5], v8, s41 src0_sel:BYTE_0 src1_sel:DWORD
	v_bfrev_b32_e32 v34, 1
	s_and_saveexec_b64 s[34:35], s[4:5]
	s_cbranch_execz .LBB325_50
; %bb.47:                               ;   in Loop: Header=BB325_9 Depth=1
	v_bfe_u32 v0, v7, 16, 7
	v_cmp_ne_u32_e64 s[4:5], s42, v0
	v_mov_b32_e32 v34, 0x7f800001
	s_and_saveexec_b64 s[36:37], s[4:5]
	s_cbranch_execz .LBB325_49
; %bb.48:                               ;   in Loop: Header=BB325_9 Depth=1
	v_and_b32_e32 v2, 7, v8
	v_lshrrev_b32_e32 v9, 3, v0
	v_cmp_gt_u32_e64 s[4:5], 8, v0
	v_ffbh_u32_e32 v0, v2
	v_min_u32_e32 v11, 32, v0
	v_subrev_u32_e32 v0, 28, v11
	v_lshlrev_b64 v[0:1], v0, v[8:9]
	v_sub_u32_e32 v1, 29, v11
	v_and_b32_e32 v0, 7, v0
	v_cndmask_b32_e64 v1, v9, v1, s[4:5]
	v_cndmask_b32_e64 v0, v2, v0, s[4:5]
	v_lshlrev_b32_e32 v2, 24, v8
	v_bfrev_b32_e32 v3, 60
	v_lshlrev_b32_e32 v0, 20, v0
	v_and_b32_e32 v2, 0x80000000, v2
	v_lshl_add_u32 v1, v1, 23, v3
	v_or3_b32 v34, v2, v1, v0
.LBB325_49:                             ;   in Loop: Header=BB325_9 Depth=1
	s_or_b64 exec, exec, s[36:37]
.LBB325_50:                             ;   in Loop: Header=BB325_9 Depth=1
	s_or_b64 exec, exec, s[34:35]
.LBB325_51:                             ;   in Loop: Header=BB325_9 Depth=1
	s_or_b64 exec, exec, s[16:17]
	v_cmp_lt_u32_e64 s[4:5], s43, v7
	v_mov_b32_e32 v35, 0
	v_mov_b32_e32 v21, 0
	s_and_saveexec_b64 s[16:17], s[4:5]
	s_cbranch_execz .LBB325_57
; %bb.52:                               ;   in Loop: Header=BB325_9 Depth=1
	v_lshrrev_b32_e32 v8, 24, v7
	v_cmp_ne_u32_e64 s[4:5], s41, v8
	v_bfrev_b32_e32 v21, 1
	s_and_saveexec_b64 s[34:35], s[4:5]
	s_cbranch_execz .LBB325_56
; %bb.53:                               ;   in Loop: Header=BB325_9 Depth=1
	v_bfe_u32 v0, v7, 24, 7
	v_cmp_ne_u32_e64 s[4:5], s42, v0
	v_mov_b32_e32 v21, 0x7f800001
	s_and_saveexec_b64 s[36:37], s[4:5]
	s_cbranch_execz .LBB325_55
; %bb.54:                               ;   in Loop: Header=BB325_9 Depth=1
	v_and_b32_e32 v2, 7, v8
	v_lshrrev_b32_e32 v7, 3, v0
	v_cmp_gt_u32_e64 s[4:5], 8, v0
	v_ffbh_u32_e32 v0, v2
	v_min_u32_e32 v9, 32, v0
	v_subrev_u32_e32 v0, 28, v9
	v_lshlrev_b64 v[0:1], v0, v[8:9]
	v_sub_u32_e32 v1, 29, v9
	v_and_b32_e32 v0, 7, v0
	v_cndmask_b32_e64 v1, v7, v1, s[4:5]
	v_cndmask_b32_e64 v0, v2, v0, s[4:5]
	v_lshlrev_b32_e32 v2, 24, v8
	v_bfrev_b32_e32 v3, 60
	v_lshlrev_b32_e32 v0, 20, v0
	v_and_b32_e32 v2, 0x80000000, v2
	v_lshl_add_u32 v1, v1, 23, v3
	v_or3_b32 v21, v2, v1, v0
.LBB325_55:                             ;   in Loop: Header=BB325_9 Depth=1
	s_or_b64 exec, exec, s[36:37]
.LBB325_56:                             ;   in Loop: Header=BB325_9 Depth=1
	s_or_b64 exec, exec, s[34:35]
.LBB325_57:                             ;   in Loop: Header=BB325_9 Depth=1
	s_or_b64 exec, exec, s[16:17]
	global_load_dword v7, v[5:6], off offset:512
	v_mov_b32_e32 v0, 0
	s_waitcnt vmcnt(0)
	v_cmp_ne_u16_sdwa s[4:5], v7, v0 src0_sel:BYTE_0 src1_sel:DWORD
	s_and_saveexec_b64 s[16:17], s[4:5]
	s_cbranch_execz .LBB325_63
; %bb.58:                               ;   in Loop: Header=BB325_9 Depth=1
	v_cmp_ne_u16_sdwa s[4:5], v7, s41 src0_sel:BYTE_0 src1_sel:DWORD
	v_bfrev_b32_e32 v35, 1
	s_and_saveexec_b64 s[34:35], s[4:5]
	s_cbranch_execz .LBB325_62
; %bb.59:                               ;   in Loop: Header=BB325_9 Depth=1
	v_and_b32_e32 v0, 0x7f, v7
	v_cmp_ne_u32_e64 s[4:5], s42, v0
	v_mov_b32_e32 v35, 0x7f800001
	s_and_saveexec_b64 s[36:37], s[4:5]
	s_cbranch_execz .LBB325_61
; %bb.60:                               ;   in Loop: Header=BB325_9 Depth=1
	v_and_b32_e32 v2, 7, v7
	v_lshrrev_b32_e32 v8, 3, v0
	v_cmp_gt_u32_e64 s[4:5], 8, v0
	v_ffbh_u32_e32 v0, v2
	v_min_u32_e32 v9, 32, v0
	v_subrev_u32_e32 v0, 28, v9
	v_lshlrev_b64 v[0:1], v0, v[7:8]
	v_sub_u32_e32 v1, 29, v9
	v_and_b32_e32 v0, 7, v0
	v_cndmask_b32_e64 v1, v8, v1, s[4:5]
	v_cndmask_b32_e64 v0, v2, v0, s[4:5]
	v_lshlrev_b32_e32 v2, 24, v7
	v_bfrev_b32_e32 v3, 60
	v_lshlrev_b32_e32 v0, 20, v0
	v_and_b32_e32 v2, 0x80000000, v2
	v_lshl_add_u32 v1, v1, 23, v3
	v_or3_b32 v35, v2, v1, v0
.LBB325_61:                             ;   in Loop: Header=BB325_9 Depth=1
	s_or_b64 exec, exec, s[36:37]
.LBB325_62:                             ;   in Loop: Header=BB325_9 Depth=1
	s_or_b64 exec, exec, s[34:35]
.LBB325_63:                             ;   in Loop: Header=BB325_9 Depth=1
	s_or_b64 exec, exec, s[16:17]
	v_lshrrev_b16_e32 v8, 8, v7
	v_cmp_ne_u16_e64 s[4:5], 0, v8
	v_mov_b32_e32 v37, 0
	v_mov_b32_e32 v36, 0
	s_and_saveexec_b64 s[16:17], s[4:5]
	s_cbranch_execz .LBB325_69
; %bb.64:                               ;   in Loop: Header=BB325_9 Depth=1
	v_cmp_ne_u16_e64 s[4:5], s41, v8
	v_bfrev_b32_e32 v36, 1
	s_and_saveexec_b64 s[34:35], s[4:5]
	s_cbranch_execz .LBB325_68
; %bb.65:                               ;   in Loop: Header=BB325_9 Depth=1
	v_and_b32_e32 v0, 0x7f, v8
	v_cmp_ne_u32_e64 s[4:5], s42, v0
	v_mov_b32_e32 v36, 0x7f800001
	s_and_saveexec_b64 s[36:37], s[4:5]
	s_cbranch_execz .LBB325_67
; %bb.66:                               ;   in Loop: Header=BB325_9 Depth=1
	v_and_b32_e32 v2, 7, v8
	v_lshrrev_b32_e32 v9, 3, v0
	v_cmp_gt_u32_e64 s[4:5], 8, v0
	v_ffbh_u32_e32 v0, v2
	v_min_u32_e32 v11, 32, v0
	v_subrev_u32_e32 v0, 28, v11
	v_lshlrev_b64 v[0:1], v0, v[8:9]
	v_sub_u32_e32 v1, 29, v11
	v_and_b32_e32 v0, 7, v0
	v_cndmask_b32_e64 v1, v9, v1, s[4:5]
	v_cndmask_b32_e64 v0, v2, v0, s[4:5]
	v_lshlrev_b32_e32 v2, 16, v7
	v_bfrev_b32_e32 v3, 60
	v_lshlrev_b32_e32 v0, 20, v0
	v_and_b32_e32 v2, 0x80000000, v2
	v_lshl_add_u32 v1, v1, 23, v3
	v_or3_b32 v36, v2, v1, v0
.LBB325_67:                             ;   in Loop: Header=BB325_9 Depth=1
	s_or_b64 exec, exec, s[36:37]
.LBB325_68:                             ;   in Loop: Header=BB325_9 Depth=1
	s_or_b64 exec, exec, s[34:35]
.LBB325_69:                             ;   in Loop: Header=BB325_9 Depth=1
	s_or_b64 exec, exec, s[16:17]
	v_lshrrev_b32_e32 v8, 16, v7
	v_mov_b32_e32 v0, 0
	v_cmp_ne_u16_sdwa s[4:5], v8, v0 src0_sel:BYTE_0 src1_sel:DWORD
	s_and_saveexec_b64 s[16:17], s[4:5]
	s_cbranch_execz .LBB325_75
; %bb.70:                               ;   in Loop: Header=BB325_9 Depth=1
	v_cmp_ne_u16_sdwa s[4:5], v8, s41 src0_sel:BYTE_0 src1_sel:DWORD
	v_bfrev_b32_e32 v37, 1
	s_and_saveexec_b64 s[34:35], s[4:5]
	s_cbranch_execz .LBB325_74
; %bb.71:                               ;   in Loop: Header=BB325_9 Depth=1
	v_bfe_u32 v0, v7, 16, 7
	v_cmp_ne_u32_e64 s[4:5], s42, v0
	v_mov_b32_e32 v37, 0x7f800001
	s_and_saveexec_b64 s[36:37], s[4:5]
	s_cbranch_execz .LBB325_73
; %bb.72:                               ;   in Loop: Header=BB325_9 Depth=1
	v_and_b32_e32 v2, 7, v8
	v_lshrrev_b32_e32 v9, 3, v0
	v_cmp_gt_u32_e64 s[4:5], 8, v0
	v_ffbh_u32_e32 v0, v2
	v_min_u32_e32 v11, 32, v0
	v_subrev_u32_e32 v0, 28, v11
	v_lshlrev_b64 v[0:1], v0, v[8:9]
	v_sub_u32_e32 v1, 29, v11
	v_and_b32_e32 v0, 7, v0
	v_cndmask_b32_e64 v1, v9, v1, s[4:5]
	v_cndmask_b32_e64 v0, v2, v0, s[4:5]
	v_lshlrev_b32_e32 v2, 24, v8
	v_bfrev_b32_e32 v3, 60
	v_lshlrev_b32_e32 v0, 20, v0
	v_and_b32_e32 v2, 0x80000000, v2
	v_lshl_add_u32 v1, v1, 23, v3
	v_or3_b32 v37, v2, v1, v0
.LBB325_73:                             ;   in Loop: Header=BB325_9 Depth=1
	s_or_b64 exec, exec, s[36:37]
.LBB325_74:                             ;   in Loop: Header=BB325_9 Depth=1
	s_or_b64 exec, exec, s[34:35]
.LBB325_75:                             ;   in Loop: Header=BB325_9 Depth=1
	s_or_b64 exec, exec, s[16:17]
	v_cmp_lt_u32_e64 s[4:5], s43, v7
	v_mov_b32_e32 v40, 0
	v_mov_b32_e32 v39, 0
	s_and_saveexec_b64 s[16:17], s[4:5]
	s_cbranch_execz .LBB325_81
; %bb.76:                               ;   in Loop: Header=BB325_9 Depth=1
	v_lshrrev_b32_e32 v8, 24, v7
	v_cmp_ne_u32_e64 s[4:5], s41, v8
	v_bfrev_b32_e32 v39, 1
	s_and_saveexec_b64 s[34:35], s[4:5]
	s_cbranch_execz .LBB325_80
; %bb.77:                               ;   in Loop: Header=BB325_9 Depth=1
	v_bfe_u32 v0, v7, 24, 7
	v_cmp_ne_u32_e64 s[4:5], s42, v0
	v_mov_b32_e32 v39, 0x7f800001
	s_and_saveexec_b64 s[36:37], s[4:5]
	s_cbranch_execz .LBB325_79
; %bb.78:                               ;   in Loop: Header=BB325_9 Depth=1
	v_and_b32_e32 v2, 7, v8
	v_lshrrev_b32_e32 v7, 3, v0
	v_cmp_gt_u32_e64 s[4:5], 8, v0
	v_ffbh_u32_e32 v0, v2
	v_min_u32_e32 v9, 32, v0
	v_subrev_u32_e32 v0, 28, v9
	v_lshlrev_b64 v[0:1], v0, v[8:9]
	v_sub_u32_e32 v1, 29, v9
	v_and_b32_e32 v0, 7, v0
	v_cndmask_b32_e64 v1, v7, v1, s[4:5]
	v_cndmask_b32_e64 v0, v2, v0, s[4:5]
	v_lshlrev_b32_e32 v2, 24, v8
	v_bfrev_b32_e32 v3, 60
	v_lshlrev_b32_e32 v0, 20, v0
	v_and_b32_e32 v2, 0x80000000, v2
	v_lshl_add_u32 v1, v1, 23, v3
	v_or3_b32 v39, v2, v1, v0
.LBB325_79:                             ;   in Loop: Header=BB325_9 Depth=1
	s_or_b64 exec, exec, s[36:37]
.LBB325_80:                             ;   in Loop: Header=BB325_9 Depth=1
	s_or_b64 exec, exec, s[34:35]
.LBB325_81:                             ;   in Loop: Header=BB325_9 Depth=1
	s_or_b64 exec, exec, s[16:17]
	global_load_dword v7, v[5:6], off offset:520
	v_mov_b32_e32 v0, 0
	s_waitcnt vmcnt(0)
	v_cmp_ne_u16_sdwa s[4:5], v7, v0 src0_sel:BYTE_0 src1_sel:DWORD
	s_and_saveexec_b64 s[16:17], s[4:5]
	s_cbranch_execz .LBB325_87
; %bb.82:                               ;   in Loop: Header=BB325_9 Depth=1
	v_cmp_ne_u16_sdwa s[4:5], v7, s41 src0_sel:BYTE_0 src1_sel:DWORD
	v_bfrev_b32_e32 v40, 1
	s_and_saveexec_b64 s[34:35], s[4:5]
	s_cbranch_execz .LBB325_86
; %bb.83:                               ;   in Loop: Header=BB325_9 Depth=1
	v_and_b32_e32 v0, 0x7f, v7
	v_cmp_ne_u32_e64 s[4:5], s42, v0
	v_mov_b32_e32 v40, 0x7f800001
	s_and_saveexec_b64 s[36:37], s[4:5]
	s_cbranch_execz .LBB325_85
; %bb.84:                               ;   in Loop: Header=BB325_9 Depth=1
	v_and_b32_e32 v2, 7, v7
	v_lshrrev_b32_e32 v8, 3, v0
	v_cmp_gt_u32_e64 s[4:5], 8, v0
	v_ffbh_u32_e32 v0, v2
	v_min_u32_e32 v9, 32, v0
	v_subrev_u32_e32 v0, 28, v9
	v_lshlrev_b64 v[0:1], v0, v[7:8]
	v_sub_u32_e32 v1, 29, v9
	v_and_b32_e32 v0, 7, v0
	v_cndmask_b32_e64 v1, v8, v1, s[4:5]
	v_cndmask_b32_e64 v0, v2, v0, s[4:5]
	v_lshlrev_b32_e32 v2, 24, v7
	v_bfrev_b32_e32 v3, 60
	v_lshlrev_b32_e32 v0, 20, v0
	v_and_b32_e32 v2, 0x80000000, v2
	v_lshl_add_u32 v1, v1, 23, v3
	v_or3_b32 v40, v2, v1, v0
.LBB325_85:                             ;   in Loop: Header=BB325_9 Depth=1
	s_or_b64 exec, exec, s[36:37]
.LBB325_86:                             ;   in Loop: Header=BB325_9 Depth=1
	s_or_b64 exec, exec, s[34:35]
.LBB325_87:                             ;   in Loop: Header=BB325_9 Depth=1
	s_or_b64 exec, exec, s[16:17]
	v_lshrrev_b16_e32 v8, 8, v7
	v_cmp_ne_u16_e64 s[4:5], 0, v8
	v_mov_b32_e32 v42, 0
	v_mov_b32_e32 v41, 0
	s_and_saveexec_b64 s[16:17], s[4:5]
	s_cbranch_execz .LBB325_93
; %bb.88:                               ;   in Loop: Header=BB325_9 Depth=1
	v_cmp_ne_u16_e64 s[4:5], s41, v8
	v_bfrev_b32_e32 v41, 1
	s_and_saveexec_b64 s[34:35], s[4:5]
	s_cbranch_execz .LBB325_92
; %bb.89:                               ;   in Loop: Header=BB325_9 Depth=1
	v_and_b32_e32 v0, 0x7f, v8
	v_cmp_ne_u32_e64 s[4:5], s42, v0
	v_mov_b32_e32 v41, 0x7f800001
	s_and_saveexec_b64 s[36:37], s[4:5]
	s_cbranch_execz .LBB325_91
; %bb.90:                               ;   in Loop: Header=BB325_9 Depth=1
	v_and_b32_e32 v2, 7, v8
	v_lshrrev_b32_e32 v9, 3, v0
	v_cmp_gt_u32_e64 s[4:5], 8, v0
	v_ffbh_u32_e32 v0, v2
	v_min_u32_e32 v11, 32, v0
	v_subrev_u32_e32 v0, 28, v11
	v_lshlrev_b64 v[0:1], v0, v[8:9]
	v_sub_u32_e32 v1, 29, v11
	v_and_b32_e32 v0, 7, v0
	v_cndmask_b32_e64 v1, v9, v1, s[4:5]
	v_cndmask_b32_e64 v0, v2, v0, s[4:5]
	v_lshlrev_b32_e32 v2, 16, v7
	v_bfrev_b32_e32 v3, 60
	v_lshlrev_b32_e32 v0, 20, v0
	v_and_b32_e32 v2, 0x80000000, v2
	v_lshl_add_u32 v1, v1, 23, v3
	v_or3_b32 v41, v2, v1, v0
.LBB325_91:                             ;   in Loop: Header=BB325_9 Depth=1
	s_or_b64 exec, exec, s[36:37]
.LBB325_92:                             ;   in Loop: Header=BB325_9 Depth=1
	s_or_b64 exec, exec, s[34:35]
.LBB325_93:                             ;   in Loop: Header=BB325_9 Depth=1
	s_or_b64 exec, exec, s[16:17]
	v_lshrrev_b32_e32 v8, 16, v7
	v_mov_b32_e32 v0, 0
	v_cmp_ne_u16_sdwa s[4:5], v8, v0 src0_sel:BYTE_0 src1_sel:DWORD
	s_and_saveexec_b64 s[16:17], s[4:5]
	s_cbranch_execz .LBB325_99
; %bb.94:                               ;   in Loop: Header=BB325_9 Depth=1
	v_cmp_ne_u16_sdwa s[4:5], v8, s41 src0_sel:BYTE_0 src1_sel:DWORD
	v_bfrev_b32_e32 v42, 1
	s_and_saveexec_b64 s[34:35], s[4:5]
	s_cbranch_execz .LBB325_98
; %bb.95:                               ;   in Loop: Header=BB325_9 Depth=1
	v_bfe_u32 v0, v7, 16, 7
	v_cmp_ne_u32_e64 s[4:5], s42, v0
	v_mov_b32_e32 v42, 0x7f800001
	s_and_saveexec_b64 s[36:37], s[4:5]
	s_cbranch_execz .LBB325_97
; %bb.96:                               ;   in Loop: Header=BB325_9 Depth=1
	v_and_b32_e32 v2, 7, v8
	v_lshrrev_b32_e32 v9, 3, v0
	v_cmp_gt_u32_e64 s[4:5], 8, v0
	v_ffbh_u32_e32 v0, v2
	v_min_u32_e32 v11, 32, v0
	v_subrev_u32_e32 v0, 28, v11
	v_lshlrev_b64 v[0:1], v0, v[8:9]
	v_sub_u32_e32 v1, 29, v11
	v_and_b32_e32 v0, 7, v0
	v_cndmask_b32_e64 v1, v9, v1, s[4:5]
	v_cndmask_b32_e64 v0, v2, v0, s[4:5]
	v_lshlrev_b32_e32 v2, 24, v8
	v_bfrev_b32_e32 v3, 60
	v_lshlrev_b32_e32 v0, 20, v0
	v_and_b32_e32 v2, 0x80000000, v2
	v_lshl_add_u32 v1, v1, 23, v3
	v_or3_b32 v42, v2, v1, v0
.LBB325_97:                             ;   in Loop: Header=BB325_9 Depth=1
	s_or_b64 exec, exec, s[36:37]
.LBB325_98:                             ;   in Loop: Header=BB325_9 Depth=1
	s_or_b64 exec, exec, s[34:35]
.LBB325_99:                             ;   in Loop: Header=BB325_9 Depth=1
	s_or_b64 exec, exec, s[16:17]
	v_cmp_lt_u32_e64 s[4:5], s43, v7
	v_mov_b32_e32 v44, 0
	v_mov_b32_e32 v43, 0
	s_and_saveexec_b64 s[16:17], s[4:5]
	s_cbranch_execz .LBB325_105
; %bb.100:                              ;   in Loop: Header=BB325_9 Depth=1
	v_lshrrev_b32_e32 v8, 24, v7
	v_cmp_ne_u32_e64 s[4:5], s41, v8
	v_bfrev_b32_e32 v43, 1
	s_and_saveexec_b64 s[34:35], s[4:5]
	s_cbranch_execz .LBB325_104
; %bb.101:                              ;   in Loop: Header=BB325_9 Depth=1
	v_bfe_u32 v0, v7, 24, 7
	v_cmp_ne_u32_e64 s[4:5], s42, v0
	v_mov_b32_e32 v43, 0x7f800001
	s_and_saveexec_b64 s[36:37], s[4:5]
	s_cbranch_execz .LBB325_103
; %bb.102:                              ;   in Loop: Header=BB325_9 Depth=1
	v_and_b32_e32 v2, 7, v8
	v_lshrrev_b32_e32 v7, 3, v0
	v_cmp_gt_u32_e64 s[4:5], 8, v0
	v_ffbh_u32_e32 v0, v2
	v_min_u32_e32 v9, 32, v0
	v_subrev_u32_e32 v0, 28, v9
	v_lshlrev_b64 v[0:1], v0, v[8:9]
	v_sub_u32_e32 v1, 29, v9
	v_and_b32_e32 v0, 7, v0
	v_cndmask_b32_e64 v1, v7, v1, s[4:5]
	v_cndmask_b32_e64 v0, v2, v0, s[4:5]
	v_lshlrev_b32_e32 v2, 24, v8
	v_bfrev_b32_e32 v3, 60
	v_lshlrev_b32_e32 v0, 20, v0
	v_and_b32_e32 v2, 0x80000000, v2
	v_lshl_add_u32 v1, v1, 23, v3
	v_or3_b32 v43, v2, v1, v0
.LBB325_103:                            ;   in Loop: Header=BB325_9 Depth=1
	s_or_b64 exec, exec, s[36:37]
.LBB325_104:                            ;   in Loop: Header=BB325_9 Depth=1
	s_or_b64 exec, exec, s[34:35]
.LBB325_105:                            ;   in Loop: Header=BB325_9 Depth=1
	s_or_b64 exec, exec, s[16:17]
	global_load_dword v7, v[5:6], off offset:1024
	v_mov_b32_e32 v0, 0
	s_waitcnt vmcnt(0)
	v_cmp_ne_u16_sdwa s[4:5], v7, v0 src0_sel:BYTE_0 src1_sel:DWORD
	s_and_saveexec_b64 s[16:17], s[4:5]
	s_cbranch_execz .LBB325_111
; %bb.106:                              ;   in Loop: Header=BB325_9 Depth=1
	v_cmp_ne_u16_sdwa s[4:5], v7, s41 src0_sel:BYTE_0 src1_sel:DWORD
	v_bfrev_b32_e32 v44, 1
	s_and_saveexec_b64 s[34:35], s[4:5]
	s_cbranch_execz .LBB325_110
; %bb.107:                              ;   in Loop: Header=BB325_9 Depth=1
	v_and_b32_e32 v0, 0x7f, v7
	v_cmp_ne_u32_e64 s[4:5], s42, v0
	v_mov_b32_e32 v44, 0x7f800001
	s_and_saveexec_b64 s[36:37], s[4:5]
	s_cbranch_execz .LBB325_109
; %bb.108:                              ;   in Loop: Header=BB325_9 Depth=1
	v_and_b32_e32 v2, 7, v7
	v_lshrrev_b32_e32 v8, 3, v0
	v_cmp_gt_u32_e64 s[4:5], 8, v0
	v_ffbh_u32_e32 v0, v2
	v_min_u32_e32 v9, 32, v0
	v_subrev_u32_e32 v0, 28, v9
	v_lshlrev_b64 v[0:1], v0, v[7:8]
	v_sub_u32_e32 v1, 29, v9
	v_and_b32_e32 v0, 7, v0
	v_cndmask_b32_e64 v1, v8, v1, s[4:5]
	v_cndmask_b32_e64 v0, v2, v0, s[4:5]
	v_lshlrev_b32_e32 v2, 24, v7
	v_bfrev_b32_e32 v3, 60
	v_lshlrev_b32_e32 v0, 20, v0
	v_and_b32_e32 v2, 0x80000000, v2
	v_lshl_add_u32 v1, v1, 23, v3
	v_or3_b32 v44, v2, v1, v0
.LBB325_109:                            ;   in Loop: Header=BB325_9 Depth=1
	s_or_b64 exec, exec, s[36:37]
.LBB325_110:                            ;   in Loop: Header=BB325_9 Depth=1
	s_or_b64 exec, exec, s[34:35]
.LBB325_111:                            ;   in Loop: Header=BB325_9 Depth=1
	s_or_b64 exec, exec, s[16:17]
	v_lshrrev_b16_e32 v8, 8, v7
	v_cmp_ne_u16_e64 s[4:5], 0, v8
	v_mov_b32_e32 v46, 0
	v_mov_b32_e32 v45, 0
	s_and_saveexec_b64 s[16:17], s[4:5]
	s_cbranch_execz .LBB325_117
; %bb.112:                              ;   in Loop: Header=BB325_9 Depth=1
	v_cmp_ne_u16_e64 s[4:5], s41, v8
	v_bfrev_b32_e32 v45, 1
	s_and_saveexec_b64 s[34:35], s[4:5]
	s_cbranch_execz .LBB325_116
; %bb.113:                              ;   in Loop: Header=BB325_9 Depth=1
	v_and_b32_e32 v0, 0x7f, v8
	v_cmp_ne_u32_e64 s[4:5], s42, v0
	v_mov_b32_e32 v45, 0x7f800001
	s_and_saveexec_b64 s[36:37], s[4:5]
	s_cbranch_execz .LBB325_115
; %bb.114:                              ;   in Loop: Header=BB325_9 Depth=1
	v_and_b32_e32 v2, 7, v8
	v_lshrrev_b32_e32 v9, 3, v0
	v_cmp_gt_u32_e64 s[4:5], 8, v0
	v_ffbh_u32_e32 v0, v2
	v_min_u32_e32 v11, 32, v0
	v_subrev_u32_e32 v0, 28, v11
	v_lshlrev_b64 v[0:1], v0, v[8:9]
	v_sub_u32_e32 v1, 29, v11
	v_and_b32_e32 v0, 7, v0
	v_cndmask_b32_e64 v1, v9, v1, s[4:5]
	v_cndmask_b32_e64 v0, v2, v0, s[4:5]
	v_lshlrev_b32_e32 v2, 16, v7
	v_bfrev_b32_e32 v3, 60
	v_lshlrev_b32_e32 v0, 20, v0
	v_and_b32_e32 v2, 0x80000000, v2
	v_lshl_add_u32 v1, v1, 23, v3
	v_or3_b32 v45, v2, v1, v0
.LBB325_115:                            ;   in Loop: Header=BB325_9 Depth=1
	s_or_b64 exec, exec, s[36:37]
.LBB325_116:                            ;   in Loop: Header=BB325_9 Depth=1
	s_or_b64 exec, exec, s[34:35]
.LBB325_117:                            ;   in Loop: Header=BB325_9 Depth=1
	s_or_b64 exec, exec, s[16:17]
	v_lshrrev_b32_e32 v8, 16, v7
	v_mov_b32_e32 v0, 0
	v_cmp_ne_u16_sdwa s[4:5], v8, v0 src0_sel:BYTE_0 src1_sel:DWORD
	s_and_saveexec_b64 s[16:17], s[4:5]
	s_cbranch_execz .LBB325_123
; %bb.118:                              ;   in Loop: Header=BB325_9 Depth=1
	v_cmp_ne_u16_sdwa s[4:5], v8, s41 src0_sel:BYTE_0 src1_sel:DWORD
	v_bfrev_b32_e32 v46, 1
	s_and_saveexec_b64 s[34:35], s[4:5]
	s_cbranch_execz .LBB325_122
; %bb.119:                              ;   in Loop: Header=BB325_9 Depth=1
	v_bfe_u32 v0, v7, 16, 7
	v_cmp_ne_u32_e64 s[4:5], s42, v0
	v_mov_b32_e32 v46, 0x7f800001
	s_and_saveexec_b64 s[36:37], s[4:5]
	s_cbranch_execz .LBB325_121
; %bb.120:                              ;   in Loop: Header=BB325_9 Depth=1
	v_and_b32_e32 v2, 7, v8
	v_lshrrev_b32_e32 v9, 3, v0
	v_cmp_gt_u32_e64 s[4:5], 8, v0
	v_ffbh_u32_e32 v0, v2
	v_min_u32_e32 v11, 32, v0
	v_subrev_u32_e32 v0, 28, v11
	v_lshlrev_b64 v[0:1], v0, v[8:9]
	v_sub_u32_e32 v1, 29, v11
	v_and_b32_e32 v0, 7, v0
	v_cndmask_b32_e64 v1, v9, v1, s[4:5]
	v_cndmask_b32_e64 v0, v2, v0, s[4:5]
	v_lshlrev_b32_e32 v2, 24, v8
	v_bfrev_b32_e32 v3, 60
	v_lshlrev_b32_e32 v0, 20, v0
	v_and_b32_e32 v2, 0x80000000, v2
	v_lshl_add_u32 v1, v1, 23, v3
	v_or3_b32 v46, v2, v1, v0
.LBB325_121:                            ;   in Loop: Header=BB325_9 Depth=1
	s_or_b64 exec, exec, s[36:37]
.LBB325_122:                            ;   in Loop: Header=BB325_9 Depth=1
	s_or_b64 exec, exec, s[34:35]
.LBB325_123:                            ;   in Loop: Header=BB325_9 Depth=1
	s_or_b64 exec, exec, s[16:17]
	v_cmp_lt_u32_e64 s[4:5], s43, v7
	v_mov_b32_e32 v48, 0
	v_mov_b32_e32 v47, 0
	s_and_saveexec_b64 s[16:17], s[4:5]
	s_cbranch_execz .LBB325_129
; %bb.124:                              ;   in Loop: Header=BB325_9 Depth=1
	v_lshrrev_b32_e32 v8, 24, v7
	v_cmp_ne_u32_e64 s[4:5], s41, v8
	v_bfrev_b32_e32 v47, 1
	s_and_saveexec_b64 s[34:35], s[4:5]
	s_cbranch_execz .LBB325_128
; %bb.125:                              ;   in Loop: Header=BB325_9 Depth=1
	v_bfe_u32 v0, v7, 24, 7
	v_cmp_ne_u32_e64 s[4:5], s42, v0
	v_mov_b32_e32 v47, 0x7f800001
	s_and_saveexec_b64 s[36:37], s[4:5]
	s_cbranch_execz .LBB325_127
; %bb.126:                              ;   in Loop: Header=BB325_9 Depth=1
	v_and_b32_e32 v2, 7, v8
	v_lshrrev_b32_e32 v7, 3, v0
	v_cmp_gt_u32_e64 s[4:5], 8, v0
	v_ffbh_u32_e32 v0, v2
	v_min_u32_e32 v9, 32, v0
	v_subrev_u32_e32 v0, 28, v9
	v_lshlrev_b64 v[0:1], v0, v[8:9]
	v_sub_u32_e32 v1, 29, v9
	v_and_b32_e32 v0, 7, v0
	v_cndmask_b32_e64 v1, v7, v1, s[4:5]
	v_cndmask_b32_e64 v0, v2, v0, s[4:5]
	v_lshlrev_b32_e32 v2, 24, v8
	v_bfrev_b32_e32 v3, 60
	v_lshlrev_b32_e32 v0, 20, v0
	v_and_b32_e32 v2, 0x80000000, v2
	v_lshl_add_u32 v1, v1, 23, v3
	v_or3_b32 v47, v2, v1, v0
.LBB325_127:                            ;   in Loop: Header=BB325_9 Depth=1
	s_or_b64 exec, exec, s[36:37]
.LBB325_128:                            ;   in Loop: Header=BB325_9 Depth=1
	s_or_b64 exec, exec, s[34:35]
.LBB325_129:                            ;   in Loop: Header=BB325_9 Depth=1
	s_or_b64 exec, exec, s[16:17]
	global_load_dword v7, v[5:6], off offset:1032
	v_mov_b32_e32 v0, 0
	s_waitcnt vmcnt(0)
	v_cmp_ne_u16_sdwa s[4:5], v7, v0 src0_sel:BYTE_0 src1_sel:DWORD
	s_and_saveexec_b64 s[16:17], s[4:5]
	s_cbranch_execz .LBB325_135
; %bb.130:                              ;   in Loop: Header=BB325_9 Depth=1
	v_cmp_ne_u16_sdwa s[4:5], v7, s41 src0_sel:BYTE_0 src1_sel:DWORD
	v_bfrev_b32_e32 v48, 1
	s_and_saveexec_b64 s[34:35], s[4:5]
	s_cbranch_execz .LBB325_134
; %bb.131:                              ;   in Loop: Header=BB325_9 Depth=1
	v_and_b32_e32 v0, 0x7f, v7
	v_cmp_ne_u32_e64 s[4:5], s42, v0
	v_mov_b32_e32 v48, 0x7f800001
	s_and_saveexec_b64 s[36:37], s[4:5]
	s_cbranch_execz .LBB325_133
; %bb.132:                              ;   in Loop: Header=BB325_9 Depth=1
	v_and_b32_e32 v2, 7, v7
	v_lshrrev_b32_e32 v8, 3, v0
	v_cmp_gt_u32_e64 s[4:5], 8, v0
	v_ffbh_u32_e32 v0, v2
	v_min_u32_e32 v9, 32, v0
	v_subrev_u32_e32 v0, 28, v9
	v_lshlrev_b64 v[0:1], v0, v[7:8]
	v_sub_u32_e32 v1, 29, v9
	v_and_b32_e32 v0, 7, v0
	v_cndmask_b32_e64 v1, v8, v1, s[4:5]
	v_cndmask_b32_e64 v0, v2, v0, s[4:5]
	v_lshlrev_b32_e32 v2, 24, v7
	v_bfrev_b32_e32 v3, 60
	v_lshlrev_b32_e32 v0, 20, v0
	v_and_b32_e32 v2, 0x80000000, v2
	v_lshl_add_u32 v1, v1, 23, v3
	v_or3_b32 v48, v2, v1, v0
.LBB325_133:                            ;   in Loop: Header=BB325_9 Depth=1
	s_or_b64 exec, exec, s[36:37]
.LBB325_134:                            ;   in Loop: Header=BB325_9 Depth=1
	s_or_b64 exec, exec, s[34:35]
.LBB325_135:                            ;   in Loop: Header=BB325_9 Depth=1
	s_or_b64 exec, exec, s[16:17]
	v_lshrrev_b16_e32 v8, 8, v7
	v_cmp_ne_u16_e64 s[4:5], 0, v8
	v_mov_b32_e32 v50, 0
	v_mov_b32_e32 v49, 0
	s_and_saveexec_b64 s[16:17], s[4:5]
	s_cbranch_execz .LBB325_141
; %bb.136:                              ;   in Loop: Header=BB325_9 Depth=1
	v_cmp_ne_u16_e64 s[4:5], s41, v8
	v_bfrev_b32_e32 v49, 1
	s_and_saveexec_b64 s[34:35], s[4:5]
	s_cbranch_execz .LBB325_140
; %bb.137:                              ;   in Loop: Header=BB325_9 Depth=1
	v_and_b32_e32 v0, 0x7f, v8
	v_cmp_ne_u32_e64 s[4:5], s42, v0
	v_mov_b32_e32 v49, 0x7f800001
	s_and_saveexec_b64 s[36:37], s[4:5]
	s_cbranch_execz .LBB325_139
; %bb.138:                              ;   in Loop: Header=BB325_9 Depth=1
	v_and_b32_e32 v2, 7, v8
	v_lshrrev_b32_e32 v9, 3, v0
	v_cmp_gt_u32_e64 s[4:5], 8, v0
	v_ffbh_u32_e32 v0, v2
	v_min_u32_e32 v11, 32, v0
	v_subrev_u32_e32 v0, 28, v11
	v_lshlrev_b64 v[0:1], v0, v[8:9]
	v_sub_u32_e32 v1, 29, v11
	v_and_b32_e32 v0, 7, v0
	v_cndmask_b32_e64 v1, v9, v1, s[4:5]
	v_cndmask_b32_e64 v0, v2, v0, s[4:5]
	v_lshlrev_b32_e32 v2, 16, v7
	v_bfrev_b32_e32 v3, 60
	v_lshlrev_b32_e32 v0, 20, v0
	v_and_b32_e32 v2, 0x80000000, v2
	v_lshl_add_u32 v1, v1, 23, v3
	v_or3_b32 v49, v2, v1, v0
.LBB325_139:                            ;   in Loop: Header=BB325_9 Depth=1
	s_or_b64 exec, exec, s[36:37]
.LBB325_140:                            ;   in Loop: Header=BB325_9 Depth=1
	s_or_b64 exec, exec, s[34:35]
.LBB325_141:                            ;   in Loop: Header=BB325_9 Depth=1
	s_or_b64 exec, exec, s[16:17]
	v_lshrrev_b32_e32 v8, 16, v7
	v_mov_b32_e32 v0, 0
	v_cmp_ne_u16_sdwa s[4:5], v8, v0 src0_sel:BYTE_0 src1_sel:DWORD
	s_and_saveexec_b64 s[16:17], s[4:5]
	s_cbranch_execz .LBB325_147
; %bb.142:                              ;   in Loop: Header=BB325_9 Depth=1
	v_cmp_ne_u16_sdwa s[4:5], v8, s41 src0_sel:BYTE_0 src1_sel:DWORD
	v_bfrev_b32_e32 v50, 1
	s_and_saveexec_b64 s[34:35], s[4:5]
	s_cbranch_execz .LBB325_146
; %bb.143:                              ;   in Loop: Header=BB325_9 Depth=1
	v_bfe_u32 v0, v7, 16, 7
	v_cmp_ne_u32_e64 s[4:5], s42, v0
	v_mov_b32_e32 v50, 0x7f800001
	s_and_saveexec_b64 s[36:37], s[4:5]
	s_cbranch_execz .LBB325_145
; %bb.144:                              ;   in Loop: Header=BB325_9 Depth=1
	v_and_b32_e32 v2, 7, v8
	v_lshrrev_b32_e32 v9, 3, v0
	v_cmp_gt_u32_e64 s[4:5], 8, v0
	v_ffbh_u32_e32 v0, v2
	v_min_u32_e32 v11, 32, v0
	v_subrev_u32_e32 v0, 28, v11
	v_lshlrev_b64 v[0:1], v0, v[8:9]
	v_sub_u32_e32 v1, 29, v11
	v_and_b32_e32 v0, 7, v0
	v_cndmask_b32_e64 v1, v9, v1, s[4:5]
	v_cndmask_b32_e64 v0, v2, v0, s[4:5]
	v_lshlrev_b32_e32 v2, 24, v8
	v_bfrev_b32_e32 v3, 60
	v_lshlrev_b32_e32 v0, 20, v0
	v_and_b32_e32 v2, 0x80000000, v2
	v_lshl_add_u32 v1, v1, 23, v3
	v_or3_b32 v50, v2, v1, v0
.LBB325_145:                            ;   in Loop: Header=BB325_9 Depth=1
	s_or_b64 exec, exec, s[36:37]
.LBB325_146:                            ;   in Loop: Header=BB325_9 Depth=1
	s_or_b64 exec, exec, s[34:35]
.LBB325_147:                            ;   in Loop: Header=BB325_9 Depth=1
	s_or_b64 exec, exec, s[16:17]
	v_cmp_lt_u32_e64 s[4:5], s43, v7
	v_mov_b32_e32 v52, 0
	v_mov_b32_e32 v51, 0
	s_and_saveexec_b64 s[16:17], s[4:5]
	s_cbranch_execz .LBB325_153
; %bb.148:                              ;   in Loop: Header=BB325_9 Depth=1
	v_lshrrev_b32_e32 v8, 24, v7
	v_cmp_ne_u32_e64 s[4:5], s41, v8
	v_bfrev_b32_e32 v51, 1
	s_and_saveexec_b64 s[34:35], s[4:5]
	s_cbranch_execz .LBB325_152
; %bb.149:                              ;   in Loop: Header=BB325_9 Depth=1
	v_bfe_u32 v0, v7, 24, 7
	v_cmp_ne_u32_e64 s[4:5], s42, v0
	v_mov_b32_e32 v51, 0x7f800001
	s_and_saveexec_b64 s[36:37], s[4:5]
	s_cbranch_execz .LBB325_151
; %bb.150:                              ;   in Loop: Header=BB325_9 Depth=1
	v_and_b32_e32 v2, 7, v8
	v_lshrrev_b32_e32 v7, 3, v0
	v_cmp_gt_u32_e64 s[4:5], 8, v0
	v_ffbh_u32_e32 v0, v2
	v_min_u32_e32 v9, 32, v0
	v_subrev_u32_e32 v0, 28, v9
	v_lshlrev_b64 v[0:1], v0, v[8:9]
	v_sub_u32_e32 v1, 29, v9
	v_and_b32_e32 v0, 7, v0
	v_cndmask_b32_e64 v1, v7, v1, s[4:5]
	v_cndmask_b32_e64 v0, v2, v0, s[4:5]
	v_lshlrev_b32_e32 v2, 24, v8
	v_bfrev_b32_e32 v3, 60
	v_lshlrev_b32_e32 v0, 20, v0
	v_and_b32_e32 v2, 0x80000000, v2
	v_lshl_add_u32 v1, v1, 23, v3
	v_or3_b32 v51, v2, v1, v0
.LBB325_151:                            ;   in Loop: Header=BB325_9 Depth=1
	s_or_b64 exec, exec, s[36:37]
.LBB325_152:                            ;   in Loop: Header=BB325_9 Depth=1
	s_or_b64 exec, exec, s[34:35]
.LBB325_153:                            ;   in Loop: Header=BB325_9 Depth=1
	s_or_b64 exec, exec, s[16:17]
	global_load_dword v7, v[5:6], off offset:1536
	v_mov_b32_e32 v0, 0
	s_waitcnt vmcnt(0)
	v_cmp_ne_u16_sdwa s[4:5], v7, v0 src0_sel:BYTE_0 src1_sel:DWORD
	s_and_saveexec_b64 s[16:17], s[4:5]
	s_cbranch_execz .LBB325_159
; %bb.154:                              ;   in Loop: Header=BB325_9 Depth=1
	v_cmp_ne_u16_sdwa s[4:5], v7, s41 src0_sel:BYTE_0 src1_sel:DWORD
	v_bfrev_b32_e32 v52, 1
	s_and_saveexec_b64 s[34:35], s[4:5]
	s_cbranch_execz .LBB325_158
; %bb.155:                              ;   in Loop: Header=BB325_9 Depth=1
	v_and_b32_e32 v0, 0x7f, v7
	v_cmp_ne_u32_e64 s[4:5], s42, v0
	v_mov_b32_e32 v52, 0x7f800001
	s_and_saveexec_b64 s[36:37], s[4:5]
	s_cbranch_execz .LBB325_157
; %bb.156:                              ;   in Loop: Header=BB325_9 Depth=1
	v_and_b32_e32 v2, 7, v7
	v_lshrrev_b32_e32 v8, 3, v0
	v_cmp_gt_u32_e64 s[4:5], 8, v0
	v_ffbh_u32_e32 v0, v2
	v_min_u32_e32 v9, 32, v0
	v_subrev_u32_e32 v0, 28, v9
	v_lshlrev_b64 v[0:1], v0, v[7:8]
	v_sub_u32_e32 v1, 29, v9
	v_and_b32_e32 v0, 7, v0
	v_cndmask_b32_e64 v1, v8, v1, s[4:5]
	v_cndmask_b32_e64 v0, v2, v0, s[4:5]
	v_lshlrev_b32_e32 v2, 24, v7
	v_bfrev_b32_e32 v3, 60
	v_lshlrev_b32_e32 v0, 20, v0
	v_and_b32_e32 v2, 0x80000000, v2
	v_lshl_add_u32 v1, v1, 23, v3
	v_or3_b32 v52, v2, v1, v0
.LBB325_157:                            ;   in Loop: Header=BB325_9 Depth=1
	s_or_b64 exec, exec, s[36:37]
.LBB325_158:                            ;   in Loop: Header=BB325_9 Depth=1
	s_or_b64 exec, exec, s[34:35]
.LBB325_159:                            ;   in Loop: Header=BB325_9 Depth=1
	s_or_b64 exec, exec, s[16:17]
	v_lshrrev_b16_e32 v8, 8, v7
	v_cmp_ne_u16_e64 s[4:5], 0, v8
	v_mov_b32_e32 v54, 0
	v_mov_b32_e32 v53, 0
	s_and_saveexec_b64 s[16:17], s[4:5]
	s_cbranch_execz .LBB325_165
; %bb.160:                              ;   in Loop: Header=BB325_9 Depth=1
	v_cmp_ne_u16_e64 s[4:5], s41, v8
	v_bfrev_b32_e32 v53, 1
	s_and_saveexec_b64 s[34:35], s[4:5]
	s_cbranch_execz .LBB325_164
; %bb.161:                              ;   in Loop: Header=BB325_9 Depth=1
	v_and_b32_e32 v0, 0x7f, v8
	v_cmp_ne_u32_e64 s[4:5], s42, v0
	v_mov_b32_e32 v53, 0x7f800001
	s_and_saveexec_b64 s[36:37], s[4:5]
	s_cbranch_execz .LBB325_163
; %bb.162:                              ;   in Loop: Header=BB325_9 Depth=1
	v_and_b32_e32 v2, 7, v8
	v_lshrrev_b32_e32 v9, 3, v0
	v_cmp_gt_u32_e64 s[4:5], 8, v0
	v_ffbh_u32_e32 v0, v2
	v_min_u32_e32 v11, 32, v0
	v_subrev_u32_e32 v0, 28, v11
	v_lshlrev_b64 v[0:1], v0, v[8:9]
	v_sub_u32_e32 v1, 29, v11
	v_and_b32_e32 v0, 7, v0
	v_cndmask_b32_e64 v1, v9, v1, s[4:5]
	v_cndmask_b32_e64 v0, v2, v0, s[4:5]
	v_lshlrev_b32_e32 v2, 16, v7
	v_bfrev_b32_e32 v3, 60
	v_lshlrev_b32_e32 v0, 20, v0
	v_and_b32_e32 v2, 0x80000000, v2
	v_lshl_add_u32 v1, v1, 23, v3
	v_or3_b32 v53, v2, v1, v0
.LBB325_163:                            ;   in Loop: Header=BB325_9 Depth=1
	s_or_b64 exec, exec, s[36:37]
.LBB325_164:                            ;   in Loop: Header=BB325_9 Depth=1
	s_or_b64 exec, exec, s[34:35]
.LBB325_165:                            ;   in Loop: Header=BB325_9 Depth=1
	s_or_b64 exec, exec, s[16:17]
	v_lshrrev_b32_e32 v8, 16, v7
	v_mov_b32_e32 v0, 0
	v_cmp_ne_u16_sdwa s[4:5], v8, v0 src0_sel:BYTE_0 src1_sel:DWORD
	s_and_saveexec_b64 s[16:17], s[4:5]
	s_cbranch_execz .LBB325_171
; %bb.166:                              ;   in Loop: Header=BB325_9 Depth=1
	v_cmp_ne_u16_sdwa s[4:5], v8, s41 src0_sel:BYTE_0 src1_sel:DWORD
	v_bfrev_b32_e32 v54, 1
	s_and_saveexec_b64 s[34:35], s[4:5]
	s_cbranch_execz .LBB325_170
; %bb.167:                              ;   in Loop: Header=BB325_9 Depth=1
	v_bfe_u32 v0, v7, 16, 7
	v_cmp_ne_u32_e64 s[4:5], s42, v0
	v_mov_b32_e32 v54, 0x7f800001
	s_and_saveexec_b64 s[36:37], s[4:5]
	s_cbranch_execz .LBB325_169
; %bb.168:                              ;   in Loop: Header=BB325_9 Depth=1
	v_and_b32_e32 v2, 7, v8
	v_lshrrev_b32_e32 v9, 3, v0
	v_cmp_gt_u32_e64 s[4:5], 8, v0
	v_ffbh_u32_e32 v0, v2
	v_min_u32_e32 v11, 32, v0
	v_subrev_u32_e32 v0, 28, v11
	v_lshlrev_b64 v[0:1], v0, v[8:9]
	v_sub_u32_e32 v1, 29, v11
	v_and_b32_e32 v0, 7, v0
	v_cndmask_b32_e64 v1, v9, v1, s[4:5]
	v_cndmask_b32_e64 v0, v2, v0, s[4:5]
	v_lshlrev_b32_e32 v2, 24, v8
	v_bfrev_b32_e32 v3, 60
	v_lshlrev_b32_e32 v0, 20, v0
	v_and_b32_e32 v2, 0x80000000, v2
	v_lshl_add_u32 v1, v1, 23, v3
	v_or3_b32 v54, v2, v1, v0
.LBB325_169:                            ;   in Loop: Header=BB325_9 Depth=1
	s_or_b64 exec, exec, s[36:37]
.LBB325_170:                            ;   in Loop: Header=BB325_9 Depth=1
	s_or_b64 exec, exec, s[34:35]
.LBB325_171:                            ;   in Loop: Header=BB325_9 Depth=1
	s_or_b64 exec, exec, s[16:17]
	v_cmp_lt_u32_e64 s[4:5], s43, v7
	v_mov_b32_e32 v56, 0
	v_mov_b32_e32 v55, 0
	s_and_saveexec_b64 s[16:17], s[4:5]
	s_cbranch_execz .LBB325_177
; %bb.172:                              ;   in Loop: Header=BB325_9 Depth=1
	v_lshrrev_b32_e32 v8, 24, v7
	v_cmp_ne_u32_e64 s[4:5], s41, v8
	v_bfrev_b32_e32 v55, 1
	s_and_saveexec_b64 s[34:35], s[4:5]
	s_cbranch_execz .LBB325_176
; %bb.173:                              ;   in Loop: Header=BB325_9 Depth=1
	v_bfe_u32 v0, v7, 24, 7
	v_cmp_ne_u32_e64 s[4:5], s42, v0
	v_mov_b32_e32 v55, 0x7f800001
	s_and_saveexec_b64 s[36:37], s[4:5]
	s_cbranch_execz .LBB325_175
; %bb.174:                              ;   in Loop: Header=BB325_9 Depth=1
	v_and_b32_e32 v2, 7, v8
	v_lshrrev_b32_e32 v7, 3, v0
	v_cmp_gt_u32_e64 s[4:5], 8, v0
	v_ffbh_u32_e32 v0, v2
	v_min_u32_e32 v9, 32, v0
	v_subrev_u32_e32 v0, 28, v9
	v_lshlrev_b64 v[0:1], v0, v[8:9]
	v_sub_u32_e32 v1, 29, v9
	v_and_b32_e32 v0, 7, v0
	v_cndmask_b32_e64 v1, v7, v1, s[4:5]
	v_cndmask_b32_e64 v0, v2, v0, s[4:5]
	v_lshlrev_b32_e32 v2, 24, v8
	v_bfrev_b32_e32 v3, 60
	v_lshlrev_b32_e32 v0, 20, v0
	v_and_b32_e32 v2, 0x80000000, v2
	v_lshl_add_u32 v1, v1, 23, v3
	v_or3_b32 v55, v2, v1, v0
.LBB325_175:                            ;   in Loop: Header=BB325_9 Depth=1
	s_or_b64 exec, exec, s[36:37]
.LBB325_176:                            ;   in Loop: Header=BB325_9 Depth=1
	s_or_b64 exec, exec, s[34:35]
.LBB325_177:                            ;   in Loop: Header=BB325_9 Depth=1
	s_or_b64 exec, exec, s[16:17]
	global_load_dword v7, v[5:6], off offset:1544
	v_mov_b32_e32 v0, 0
	s_waitcnt vmcnt(0)
	v_cmp_ne_u16_sdwa s[4:5], v7, v0 src0_sel:BYTE_0 src1_sel:DWORD
	s_and_saveexec_b64 s[16:17], s[4:5]
	s_cbranch_execz .LBB325_183
; %bb.178:                              ;   in Loop: Header=BB325_9 Depth=1
	v_cmp_ne_u16_sdwa s[4:5], v7, s41 src0_sel:BYTE_0 src1_sel:DWORD
	v_bfrev_b32_e32 v56, 1
	s_and_saveexec_b64 s[34:35], s[4:5]
	s_cbranch_execz .LBB325_182
; %bb.179:                              ;   in Loop: Header=BB325_9 Depth=1
	v_and_b32_e32 v0, 0x7f, v7
	v_cmp_ne_u32_e64 s[4:5], s42, v0
	v_mov_b32_e32 v56, 0x7f800001
	s_and_saveexec_b64 s[36:37], s[4:5]
	s_cbranch_execz .LBB325_181
; %bb.180:                              ;   in Loop: Header=BB325_9 Depth=1
	v_and_b32_e32 v2, 7, v7
	v_lshrrev_b32_e32 v8, 3, v0
	v_cmp_gt_u32_e64 s[4:5], 8, v0
	v_ffbh_u32_e32 v0, v2
	v_min_u32_e32 v9, 32, v0
	v_subrev_u32_e32 v0, 28, v9
	v_lshlrev_b64 v[0:1], v0, v[7:8]
	v_sub_u32_e32 v1, 29, v9
	v_and_b32_e32 v0, 7, v0
	v_cndmask_b32_e64 v1, v8, v1, s[4:5]
	v_cndmask_b32_e64 v0, v2, v0, s[4:5]
	v_lshlrev_b32_e32 v2, 24, v7
	v_bfrev_b32_e32 v3, 60
	v_lshlrev_b32_e32 v0, 20, v0
	v_and_b32_e32 v2, 0x80000000, v2
	v_lshl_add_u32 v1, v1, 23, v3
	v_or3_b32 v56, v2, v1, v0
.LBB325_181:                            ;   in Loop: Header=BB325_9 Depth=1
	s_or_b64 exec, exec, s[36:37]
.LBB325_182:                            ;   in Loop: Header=BB325_9 Depth=1
	s_or_b64 exec, exec, s[34:35]
.LBB325_183:                            ;   in Loop: Header=BB325_9 Depth=1
	s_or_b64 exec, exec, s[16:17]
	v_lshrrev_b16_e32 v8, 8, v7
	v_cmp_ne_u16_e64 s[4:5], 0, v8
	v_mov_b32_e32 v58, 0
	v_mov_b32_e32 v57, 0
	s_and_saveexec_b64 s[16:17], s[4:5]
	s_cbranch_execz .LBB325_189
; %bb.184:                              ;   in Loop: Header=BB325_9 Depth=1
	v_cmp_ne_u16_e64 s[4:5], s41, v8
	v_bfrev_b32_e32 v57, 1
	s_and_saveexec_b64 s[34:35], s[4:5]
	s_cbranch_execz .LBB325_188
; %bb.185:                              ;   in Loop: Header=BB325_9 Depth=1
	v_and_b32_e32 v0, 0x7f, v8
	v_cmp_ne_u32_e64 s[4:5], s42, v0
	v_mov_b32_e32 v57, 0x7f800001
	s_and_saveexec_b64 s[36:37], s[4:5]
	s_cbranch_execz .LBB325_187
; %bb.186:                              ;   in Loop: Header=BB325_9 Depth=1
	v_and_b32_e32 v2, 7, v8
	v_lshrrev_b32_e32 v9, 3, v0
	v_cmp_gt_u32_e64 s[4:5], 8, v0
	v_ffbh_u32_e32 v0, v2
	v_min_u32_e32 v11, 32, v0
	v_subrev_u32_e32 v0, 28, v11
	v_lshlrev_b64 v[0:1], v0, v[8:9]
	v_sub_u32_e32 v1, 29, v11
	v_and_b32_e32 v0, 7, v0
	v_cndmask_b32_e64 v1, v9, v1, s[4:5]
	v_cndmask_b32_e64 v0, v2, v0, s[4:5]
	v_lshlrev_b32_e32 v2, 16, v7
	v_bfrev_b32_e32 v3, 60
	v_lshlrev_b32_e32 v0, 20, v0
	v_and_b32_e32 v2, 0x80000000, v2
	v_lshl_add_u32 v1, v1, 23, v3
	v_or3_b32 v57, v2, v1, v0
.LBB325_187:                            ;   in Loop: Header=BB325_9 Depth=1
	s_or_b64 exec, exec, s[36:37]
.LBB325_188:                            ;   in Loop: Header=BB325_9 Depth=1
	s_or_b64 exec, exec, s[34:35]
.LBB325_189:                            ;   in Loop: Header=BB325_9 Depth=1
	s_or_b64 exec, exec, s[16:17]
	v_lshrrev_b32_e32 v8, 16, v7
	v_mov_b32_e32 v0, 0
	v_cmp_ne_u16_sdwa s[4:5], v8, v0 src0_sel:BYTE_0 src1_sel:DWORD
	s_and_saveexec_b64 s[16:17], s[4:5]
	s_cbranch_execz .LBB325_195
; %bb.190:                              ;   in Loop: Header=BB325_9 Depth=1
	v_cmp_ne_u16_sdwa s[4:5], v8, s41 src0_sel:BYTE_0 src1_sel:DWORD
	v_bfrev_b32_e32 v58, 1
	s_and_saveexec_b64 s[34:35], s[4:5]
	s_cbranch_execz .LBB325_194
; %bb.191:                              ;   in Loop: Header=BB325_9 Depth=1
	v_bfe_u32 v0, v7, 16, 7
	v_cmp_ne_u32_e64 s[4:5], s42, v0
	v_mov_b32_e32 v58, 0x7f800001
	s_and_saveexec_b64 s[36:37], s[4:5]
	s_cbranch_execz .LBB325_193
; %bb.192:                              ;   in Loop: Header=BB325_9 Depth=1
	v_and_b32_e32 v2, 7, v8
	v_lshrrev_b32_e32 v9, 3, v0
	v_cmp_gt_u32_e64 s[4:5], 8, v0
	v_ffbh_u32_e32 v0, v2
	v_min_u32_e32 v11, 32, v0
	v_subrev_u32_e32 v0, 28, v11
	v_lshlrev_b64 v[0:1], v0, v[8:9]
	v_sub_u32_e32 v1, 29, v11
	v_and_b32_e32 v0, 7, v0
	v_cndmask_b32_e64 v1, v9, v1, s[4:5]
	v_cndmask_b32_e64 v0, v2, v0, s[4:5]
	v_lshlrev_b32_e32 v2, 24, v8
	v_bfrev_b32_e32 v3, 60
	v_lshlrev_b32_e32 v0, 20, v0
	v_and_b32_e32 v2, 0x80000000, v2
	v_lshl_add_u32 v1, v1, 23, v3
	v_or3_b32 v58, v2, v1, v0
.LBB325_193:                            ;   in Loop: Header=BB325_9 Depth=1
	s_or_b64 exec, exec, s[36:37]
.LBB325_194:                            ;   in Loop: Header=BB325_9 Depth=1
	s_or_b64 exec, exec, s[34:35]
.LBB325_195:                            ;   in Loop: Header=BB325_9 Depth=1
	s_or_b64 exec, exec, s[16:17]
	v_cmp_lt_u32_e64 s[4:5], s43, v7
	v_mov_b32_e32 v60, 0
	v_mov_b32_e32 v59, 0
	s_and_saveexec_b64 s[16:17], s[4:5]
	s_cbranch_execz .LBB325_201
; %bb.196:                              ;   in Loop: Header=BB325_9 Depth=1
	v_lshrrev_b32_e32 v8, 24, v7
	v_cmp_ne_u32_e64 s[4:5], s41, v8
	v_bfrev_b32_e32 v59, 1
	s_and_saveexec_b64 s[34:35], s[4:5]
	s_cbranch_execz .LBB325_200
; %bb.197:                              ;   in Loop: Header=BB325_9 Depth=1
	v_bfe_u32 v0, v7, 24, 7
	v_cmp_ne_u32_e64 s[4:5], s42, v0
	v_mov_b32_e32 v59, 0x7f800001
	s_and_saveexec_b64 s[36:37], s[4:5]
	s_cbranch_execz .LBB325_199
; %bb.198:                              ;   in Loop: Header=BB325_9 Depth=1
	v_and_b32_e32 v2, 7, v8
	v_lshrrev_b32_e32 v7, 3, v0
	v_cmp_gt_u32_e64 s[4:5], 8, v0
	v_ffbh_u32_e32 v0, v2
	v_min_u32_e32 v9, 32, v0
	v_subrev_u32_e32 v0, 28, v9
	v_lshlrev_b64 v[0:1], v0, v[8:9]
	v_sub_u32_e32 v1, 29, v9
	v_and_b32_e32 v0, 7, v0
	v_cndmask_b32_e64 v1, v7, v1, s[4:5]
	v_cndmask_b32_e64 v0, v2, v0, s[4:5]
	v_lshlrev_b32_e32 v2, 24, v8
	v_bfrev_b32_e32 v3, 60
	v_lshlrev_b32_e32 v0, 20, v0
	v_and_b32_e32 v2, 0x80000000, v2
	v_lshl_add_u32 v1, v1, 23, v3
	v_or3_b32 v59, v2, v1, v0
.LBB325_199:                            ;   in Loop: Header=BB325_9 Depth=1
	s_or_b64 exec, exec, s[36:37]
.LBB325_200:                            ;   in Loop: Header=BB325_9 Depth=1
	s_or_b64 exec, exec, s[34:35]
.LBB325_201:                            ;   in Loop: Header=BB325_9 Depth=1
	s_or_b64 exec, exec, s[16:17]
	global_load_dword v7, v[5:6], off offset:2048
	v_mov_b32_e32 v0, 0
	s_waitcnt vmcnt(0)
	v_cmp_ne_u16_sdwa s[4:5], v7, v0 src0_sel:BYTE_0 src1_sel:DWORD
	s_and_saveexec_b64 s[16:17], s[4:5]
	s_cbranch_execz .LBB325_207
; %bb.202:                              ;   in Loop: Header=BB325_9 Depth=1
	v_cmp_ne_u16_sdwa s[4:5], v7, s41 src0_sel:BYTE_0 src1_sel:DWORD
	v_bfrev_b32_e32 v60, 1
	s_and_saveexec_b64 s[34:35], s[4:5]
	s_cbranch_execz .LBB325_206
; %bb.203:                              ;   in Loop: Header=BB325_9 Depth=1
	v_and_b32_e32 v0, 0x7f, v7
	v_cmp_ne_u32_e64 s[4:5], s42, v0
	v_mov_b32_e32 v60, 0x7f800001
	s_and_saveexec_b64 s[36:37], s[4:5]
	s_cbranch_execz .LBB325_205
; %bb.204:                              ;   in Loop: Header=BB325_9 Depth=1
	v_and_b32_e32 v2, 7, v7
	v_lshrrev_b32_e32 v8, 3, v0
	v_cmp_gt_u32_e64 s[4:5], 8, v0
	v_ffbh_u32_e32 v0, v2
	v_min_u32_e32 v9, 32, v0
	v_subrev_u32_e32 v0, 28, v9
	v_lshlrev_b64 v[0:1], v0, v[7:8]
	v_sub_u32_e32 v1, 29, v9
	v_and_b32_e32 v0, 7, v0
	v_cndmask_b32_e64 v1, v8, v1, s[4:5]
	v_cndmask_b32_e64 v0, v2, v0, s[4:5]
	v_lshlrev_b32_e32 v2, 24, v7
	v_bfrev_b32_e32 v3, 60
	v_lshlrev_b32_e32 v0, 20, v0
	v_and_b32_e32 v2, 0x80000000, v2
	v_lshl_add_u32 v1, v1, 23, v3
	v_or3_b32 v60, v2, v1, v0
.LBB325_205:                            ;   in Loop: Header=BB325_9 Depth=1
	s_or_b64 exec, exec, s[36:37]
.LBB325_206:                            ;   in Loop: Header=BB325_9 Depth=1
	s_or_b64 exec, exec, s[34:35]
.LBB325_207:                            ;   in Loop: Header=BB325_9 Depth=1
	s_or_b64 exec, exec, s[16:17]
	v_lshrrev_b16_e32 v8, 8, v7
	v_cmp_ne_u16_e64 s[4:5], 0, v8
	v_mov_b32_e32 v62, 0
	v_mov_b32_e32 v61, 0
	s_and_saveexec_b64 s[16:17], s[4:5]
	s_cbranch_execz .LBB325_213
; %bb.208:                              ;   in Loop: Header=BB325_9 Depth=1
	v_cmp_ne_u16_e64 s[4:5], s41, v8
	v_bfrev_b32_e32 v61, 1
	s_and_saveexec_b64 s[34:35], s[4:5]
	s_cbranch_execz .LBB325_212
; %bb.209:                              ;   in Loop: Header=BB325_9 Depth=1
	v_and_b32_e32 v0, 0x7f, v8
	v_cmp_ne_u32_e64 s[4:5], s42, v0
	v_mov_b32_e32 v61, 0x7f800001
	s_and_saveexec_b64 s[36:37], s[4:5]
	s_cbranch_execz .LBB325_211
; %bb.210:                              ;   in Loop: Header=BB325_9 Depth=1
	v_and_b32_e32 v2, 7, v8
	v_lshrrev_b32_e32 v9, 3, v0
	v_cmp_gt_u32_e64 s[4:5], 8, v0
	v_ffbh_u32_e32 v0, v2
	v_min_u32_e32 v11, 32, v0
	v_subrev_u32_e32 v0, 28, v11
	v_lshlrev_b64 v[0:1], v0, v[8:9]
	v_sub_u32_e32 v1, 29, v11
	v_and_b32_e32 v0, 7, v0
	v_cndmask_b32_e64 v1, v9, v1, s[4:5]
	v_cndmask_b32_e64 v0, v2, v0, s[4:5]
	v_lshlrev_b32_e32 v2, 16, v7
	v_bfrev_b32_e32 v3, 60
	v_lshlrev_b32_e32 v0, 20, v0
	v_and_b32_e32 v2, 0x80000000, v2
	v_lshl_add_u32 v1, v1, 23, v3
	v_or3_b32 v61, v2, v1, v0
.LBB325_211:                            ;   in Loop: Header=BB325_9 Depth=1
	s_or_b64 exec, exec, s[36:37]
.LBB325_212:                            ;   in Loop: Header=BB325_9 Depth=1
	s_or_b64 exec, exec, s[34:35]
.LBB325_213:                            ;   in Loop: Header=BB325_9 Depth=1
	s_or_b64 exec, exec, s[16:17]
	v_lshrrev_b32_e32 v8, 16, v7
	v_mov_b32_e32 v0, 0
	v_cmp_ne_u16_sdwa s[4:5], v8, v0 src0_sel:BYTE_0 src1_sel:DWORD
	s_and_saveexec_b64 s[16:17], s[4:5]
	s_cbranch_execz .LBB325_219
; %bb.214:                              ;   in Loop: Header=BB325_9 Depth=1
	v_cmp_ne_u16_sdwa s[4:5], v8, s41 src0_sel:BYTE_0 src1_sel:DWORD
	v_bfrev_b32_e32 v62, 1
	s_and_saveexec_b64 s[34:35], s[4:5]
	s_cbranch_execz .LBB325_218
; %bb.215:                              ;   in Loop: Header=BB325_9 Depth=1
	v_bfe_u32 v0, v7, 16, 7
	v_cmp_ne_u32_e64 s[4:5], s42, v0
	v_mov_b32_e32 v62, 0x7f800001
	s_and_saveexec_b64 s[36:37], s[4:5]
	s_cbranch_execz .LBB325_217
; %bb.216:                              ;   in Loop: Header=BB325_9 Depth=1
	v_and_b32_e32 v2, 7, v8
	v_lshrrev_b32_e32 v9, 3, v0
	v_cmp_gt_u32_e64 s[4:5], 8, v0
	v_ffbh_u32_e32 v0, v2
	v_min_u32_e32 v11, 32, v0
	v_subrev_u32_e32 v0, 28, v11
	v_lshlrev_b64 v[0:1], v0, v[8:9]
	v_sub_u32_e32 v1, 29, v11
	v_and_b32_e32 v0, 7, v0
	v_cndmask_b32_e64 v1, v9, v1, s[4:5]
	v_cndmask_b32_e64 v0, v2, v0, s[4:5]
	v_lshlrev_b32_e32 v2, 24, v8
	v_bfrev_b32_e32 v3, 60
	v_lshlrev_b32_e32 v0, 20, v0
	v_and_b32_e32 v2, 0x80000000, v2
	v_lshl_add_u32 v1, v1, 23, v3
	v_or3_b32 v62, v2, v1, v0
.LBB325_217:                            ;   in Loop: Header=BB325_9 Depth=1
	s_or_b64 exec, exec, s[36:37]
.LBB325_218:                            ;   in Loop: Header=BB325_9 Depth=1
	s_or_b64 exec, exec, s[34:35]
.LBB325_219:                            ;   in Loop: Header=BB325_9 Depth=1
	s_or_b64 exec, exec, s[16:17]
	v_cmp_lt_u32_e64 s[4:5], s43, v7
	v_mov_b32_e32 v9, 0
	v_mov_b32_e32 v63, 0
	s_and_saveexec_b64 s[16:17], s[4:5]
	s_cbranch_execz .LBB325_225
; %bb.220:                              ;   in Loop: Header=BB325_9 Depth=1
	v_lshrrev_b32_e32 v8, 24, v7
	v_cmp_ne_u32_e64 s[4:5], s41, v8
	v_bfrev_b32_e32 v63, 1
	s_and_saveexec_b64 s[34:35], s[4:5]
	s_cbranch_execz .LBB325_224
; %bb.221:                              ;   in Loop: Header=BB325_9 Depth=1
	v_bfe_u32 v0, v7, 24, 7
	v_cmp_ne_u32_e64 s[4:5], s42, v0
	v_mov_b32_e32 v63, 0x7f800001
	s_and_saveexec_b64 s[36:37], s[4:5]
	s_cbranch_execz .LBB325_223
; %bb.222:                              ;   in Loop: Header=BB325_9 Depth=1
	v_and_b32_e32 v2, 7, v8
	v_lshrrev_b32_e32 v7, 3, v0
	v_cmp_gt_u32_e64 s[4:5], 8, v0
	v_ffbh_u32_e32 v0, v2
	v_min_u32_e32 v11, 32, v0
	v_subrev_u32_e32 v0, 28, v11
	v_lshlrev_b64 v[0:1], v0, v[8:9]
	v_sub_u32_e32 v1, 29, v11
	v_and_b32_e32 v0, 7, v0
	v_cndmask_b32_e64 v1, v7, v1, s[4:5]
	v_cndmask_b32_e64 v0, v2, v0, s[4:5]
	v_lshlrev_b32_e32 v2, 24, v8
	v_bfrev_b32_e32 v3, 60
	v_lshlrev_b32_e32 v0, 20, v0
	v_and_b32_e32 v2, 0x80000000, v2
	v_lshl_add_u32 v1, v1, 23, v3
	v_or3_b32 v63, v2, v1, v0
.LBB325_223:                            ;   in Loop: Header=BB325_9 Depth=1
	s_or_b64 exec, exec, s[36:37]
.LBB325_224:                            ;   in Loop: Header=BB325_9 Depth=1
	s_or_b64 exec, exec, s[34:35]
.LBB325_225:                            ;   in Loop: Header=BB325_9 Depth=1
	s_or_b64 exec, exec, s[16:17]
	global_load_dword v7, v[5:6], off offset:2056
	v_mov_b32_e32 v0, 0
	s_waitcnt vmcnt(0)
	v_cmp_ne_u16_sdwa s[4:5], v7, v0 src0_sel:BYTE_0 src1_sel:DWORD
	s_and_saveexec_b64 s[16:17], s[4:5]
	s_cbranch_execz .LBB325_231
; %bb.226:                              ;   in Loop: Header=BB325_9 Depth=1
	v_cmp_ne_u16_sdwa s[4:5], v7, s41 src0_sel:BYTE_0 src1_sel:DWORD
	v_bfrev_b32_e32 v9, 1
	s_and_saveexec_b64 s[34:35], s[4:5]
	s_cbranch_execz .LBB325_230
; %bb.227:                              ;   in Loop: Header=BB325_9 Depth=1
	v_and_b32_e32 v0, 0x7f, v7
	v_cmp_ne_u32_e64 s[4:5], s42, v0
	v_mov_b32_e32 v9, 0x7f800001
	s_and_saveexec_b64 s[36:37], s[4:5]
	s_cbranch_execz .LBB325_229
; %bb.228:                              ;   in Loop: Header=BB325_9 Depth=1
	v_and_b32_e32 v2, 7, v7
	v_lshrrev_b32_e32 v8, 3, v0
	v_cmp_gt_u32_e64 s[4:5], 8, v0
	v_ffbh_u32_e32 v0, v2
	v_min_u32_e32 v9, 32, v0
	v_subrev_u32_e32 v0, 28, v9
	v_lshlrev_b64 v[0:1], v0, v[7:8]
	v_sub_u32_e32 v1, 29, v9
	v_and_b32_e32 v0, 7, v0
	v_cndmask_b32_e64 v1, v8, v1, s[4:5]
	v_cndmask_b32_e64 v0, v2, v0, s[4:5]
	v_lshlrev_b32_e32 v2, 24, v7
	v_bfrev_b32_e32 v3, 60
	v_lshlrev_b32_e32 v0, 20, v0
	v_and_b32_e32 v2, 0x80000000, v2
	v_lshl_add_u32 v1, v1, 23, v3
	v_or3_b32 v9, v2, v1, v0
.LBB325_229:                            ;   in Loop: Header=BB325_9 Depth=1
	s_or_b64 exec, exec, s[36:37]
.LBB325_230:                            ;   in Loop: Header=BB325_9 Depth=1
	s_or_b64 exec, exec, s[34:35]
.LBB325_231:                            ;   in Loop: Header=BB325_9 Depth=1
	s_or_b64 exec, exec, s[16:17]
	v_lshrrev_b16_e32 v8, 8, v7
	v_cmp_ne_u16_e64 s[4:5], 0, v8
	v_mov_b32_e32 v30, 0
	v_mov_b32_e32 v11, 0
	s_and_saveexec_b64 s[16:17], s[4:5]
	s_cbranch_execz .LBB325_237
; %bb.232:                              ;   in Loop: Header=BB325_9 Depth=1
	v_cmp_ne_u16_e64 s[4:5], s41, v8
	v_bfrev_b32_e32 v11, 1
	s_and_saveexec_b64 s[34:35], s[4:5]
	s_cbranch_execz .LBB325_236
; %bb.233:                              ;   in Loop: Header=BB325_9 Depth=1
	v_and_b32_e32 v0, 0x7f, v8
	v_cmp_ne_u32_e64 s[4:5], s42, v0
	v_mov_b32_e32 v11, 0x7f800001
	s_and_saveexec_b64 s[36:37], s[4:5]
	s_cbranch_execz .LBB325_235
; %bb.234:                              ;   in Loop: Header=BB325_9 Depth=1
	v_and_b32_e32 v2, 7, v8
	v_lshrrev_b32_e32 v11, 3, v0
	v_cmp_gt_u32_e64 s[4:5], 8, v0
	v_ffbh_u32_e32 v0, v2
	v_min_u32_e32 v12, 32, v0
	v_subrev_u32_e32 v0, 28, v12
	v_lshlrev_b64 v[0:1], v0, v[8:9]
	v_sub_u32_e32 v1, 29, v12
	v_and_b32_e32 v0, 7, v0
	v_cndmask_b32_e64 v1, v11, v1, s[4:5]
	v_cndmask_b32_e64 v0, v2, v0, s[4:5]
	v_lshlrev_b32_e32 v2, 16, v7
	v_bfrev_b32_e32 v3, 60
	v_lshlrev_b32_e32 v0, 20, v0
	v_and_b32_e32 v2, 0x80000000, v2
	v_lshl_add_u32 v1, v1, 23, v3
	v_or3_b32 v11, v2, v1, v0
.LBB325_235:                            ;   in Loop: Header=BB325_9 Depth=1
	s_or_b64 exec, exec, s[36:37]
.LBB325_236:                            ;   in Loop: Header=BB325_9 Depth=1
	s_or_b64 exec, exec, s[34:35]
.LBB325_237:                            ;   in Loop: Header=BB325_9 Depth=1
	s_or_b64 exec, exec, s[16:17]
	v_lshrrev_b32_e32 v8, 16, v7
	v_mov_b32_e32 v0, 0
	v_cmp_ne_u16_sdwa s[4:5], v8, v0 src0_sel:BYTE_0 src1_sel:DWORD
	s_and_saveexec_b64 s[16:17], s[4:5]
	s_cbranch_execz .LBB325_243
; %bb.238:                              ;   in Loop: Header=BB325_9 Depth=1
	v_cmp_ne_u16_sdwa s[4:5], v8, s41 src0_sel:BYTE_0 src1_sel:DWORD
	v_bfrev_b32_e32 v30, 1
	s_and_saveexec_b64 s[34:35], s[4:5]
	s_cbranch_execz .LBB325_242
; %bb.239:                              ;   in Loop: Header=BB325_9 Depth=1
	v_bfe_u32 v0, v7, 16, 7
	v_cmp_ne_u32_e64 s[4:5], s42, v0
	v_mov_b32_e32 v30, 0x7f800001
	s_and_saveexec_b64 s[36:37], s[4:5]
	s_cbranch_execz .LBB325_241
; %bb.240:                              ;   in Loop: Header=BB325_9 Depth=1
	v_and_b32_e32 v2, 7, v8
	v_lshrrev_b32_e32 v12, 3, v0
	v_cmp_gt_u32_e64 s[4:5], 8, v0
	v_ffbh_u32_e32 v0, v2
	v_min_u32_e32 v13, 32, v0
	v_subrev_u32_e32 v0, 28, v13
	v_lshlrev_b64 v[0:1], v0, v[8:9]
	v_sub_u32_e32 v1, 29, v13
	v_and_b32_e32 v0, 7, v0
	v_cndmask_b32_e64 v1, v12, v1, s[4:5]
	v_cndmask_b32_e64 v0, v2, v0, s[4:5]
	v_lshlrev_b32_e32 v2, 24, v8
	v_bfrev_b32_e32 v3, 60
	v_lshlrev_b32_e32 v0, 20, v0
	v_and_b32_e32 v2, 0x80000000, v2
	v_lshl_add_u32 v1, v1, 23, v3
	v_or3_b32 v30, v2, v1, v0
.LBB325_241:                            ;   in Loop: Header=BB325_9 Depth=1
	s_or_b64 exec, exec, s[36:37]
.LBB325_242:                            ;   in Loop: Header=BB325_9 Depth=1
	s_or_b64 exec, exec, s[34:35]
.LBB325_243:                            ;   in Loop: Header=BB325_9 Depth=1
	s_or_b64 exec, exec, s[16:17]
	v_cmp_lt_u32_e64 s[4:5], s43, v7
	v_mov_b32_e32 v0, 0
	v_mov_b32_e32 v38, 0
	s_and_saveexec_b64 s[16:17], s[4:5]
	s_cbranch_execz .LBB325_249
; %bb.244:                              ;   in Loop: Header=BB325_9 Depth=1
	v_lshrrev_b32_e32 v8, 24, v7
	v_cmp_ne_u32_e64 s[4:5], s41, v8
	v_bfrev_b32_e32 v38, 1
	s_and_saveexec_b64 s[34:35], s[4:5]
	s_cbranch_execz .LBB325_248
; %bb.245:                              ;   in Loop: Header=BB325_9 Depth=1
	v_bfe_u32 v1, v7, 24, 7
	v_cmp_ne_u32_e64 s[4:5], s42, v1
	v_mov_b32_e32 v38, 0x7f800001
	s_and_saveexec_b64 s[36:37], s[4:5]
	s_cbranch_execz .LBB325_247
; %bb.246:                              ;   in Loop: Header=BB325_9 Depth=1
	v_and_b32_e32 v7, 7, v8
	v_lshrrev_b32_e32 v12, 3, v1
	v_cmp_gt_u32_e64 s[4:5], 8, v1
	v_ffbh_u32_e32 v1, v7
	v_min_u32_e32 v13, 32, v1
	v_subrev_u32_e32 v1, 28, v13
	v_lshlrev_b64 v[1:2], v1, v[8:9]
	v_sub_u32_e32 v2, 29, v13
	v_and_b32_e32 v1, 7, v1
	v_cndmask_b32_e64 v2, v12, v2, s[4:5]
	v_cndmask_b32_e64 v1, v7, v1, s[4:5]
	v_lshlrev_b32_e32 v7, 24, v8
	v_bfrev_b32_e32 v3, 60
	v_lshlrev_b32_e32 v1, 20, v1
	v_and_b32_e32 v7, 0x80000000, v7
	v_lshl_add_u32 v2, v2, 23, v3
	v_or3_b32 v38, v7, v2, v1
.LBB325_247:                            ;   in Loop: Header=BB325_9 Depth=1
	s_or_b64 exec, exec, s[36:37]
.LBB325_248:                            ;   in Loop: Header=BB325_9 Depth=1
	s_or_b64 exec, exec, s[34:35]
.LBB325_249:                            ;   in Loop: Header=BB325_9 Depth=1
	s_or_b64 exec, exec, s[16:17]
	global_load_dword v7, v[5:6], off offset:2560
	v_mov_b32_e32 v1, 0
	s_waitcnt vmcnt(0)
	v_cmp_ne_u16_sdwa s[4:5], v7, v1 src0_sel:BYTE_0 src1_sel:DWORD
	s_and_saveexec_b64 s[16:17], s[4:5]
	s_cbranch_execz .LBB325_255
; %bb.250:                              ;   in Loop: Header=BB325_9 Depth=1
	v_cmp_ne_u16_sdwa s[4:5], v7, s41 src0_sel:BYTE_0 src1_sel:DWORD
	v_bfrev_b32_e32 v0, 1
	s_and_saveexec_b64 s[34:35], s[4:5]
	s_cbranch_execz .LBB325_254
; %bb.251:                              ;   in Loop: Header=BB325_9 Depth=1
	v_and_b32_e32 v1, 0x7f, v7
	v_cmp_ne_u32_e64 s[4:5], s42, v1
	v_mov_b32_e32 v0, 0x7f800001
	s_and_saveexec_b64 s[36:37], s[4:5]
	s_cbranch_execz .LBB325_253
; %bb.252:                              ;   in Loop: Header=BB325_9 Depth=1
	v_and_b32_e32 v2, 7, v7
	v_ffbh_u32_e32 v0, v2
	v_min_u32_e32 v12, 32, v0
	v_lshrrev_b32_e32 v8, 3, v1
	v_subrev_u32_e32 v0, 28, v12
	v_cmp_gt_u32_e64 s[4:5], 8, v1
	v_lshlrev_b64 v[0:1], v0, v[7:8]
	v_sub_u32_e32 v1, 29, v12
	v_and_b32_e32 v0, 7, v0
	v_cndmask_b32_e64 v1, v8, v1, s[4:5]
	v_cndmask_b32_e64 v0, v2, v0, s[4:5]
	v_lshlrev_b32_e32 v2, 24, v7
	v_bfrev_b32_e32 v3, 60
	v_lshlrev_b32_e32 v0, 20, v0
	v_and_b32_e32 v2, 0x80000000, v2
	v_lshl_add_u32 v1, v1, 23, v3
	v_or3_b32 v0, v2, v1, v0
.LBB325_253:                            ;   in Loop: Header=BB325_9 Depth=1
	s_or_b64 exec, exec, s[36:37]
.LBB325_254:                            ;   in Loop: Header=BB325_9 Depth=1
	s_or_b64 exec, exec, s[34:35]
.LBB325_255:                            ;   in Loop: Header=BB325_9 Depth=1
	s_or_b64 exec, exec, s[16:17]
	v_lshrrev_b16_e32 v8, 8, v7
	v_cmp_ne_u16_e64 s[4:5], 0, v8
	v_mov_b32_e32 v13, 0
	v_mov_b32_e32 v12, 0
	s_and_saveexec_b64 s[16:17], s[4:5]
	s_cbranch_execz .LBB325_261
; %bb.256:                              ;   in Loop: Header=BB325_9 Depth=1
	v_cmp_ne_u16_e64 s[4:5], s41, v8
	v_bfrev_b32_e32 v12, 1
	s_and_saveexec_b64 s[34:35], s[4:5]
	s_cbranch_execz .LBB325_260
; %bb.257:                              ;   in Loop: Header=BB325_9 Depth=1
	v_and_b32_e32 v1, 0x7f, v8
	v_cmp_ne_u32_e64 s[4:5], s42, v1
	v_mov_b32_e32 v12, 0x7f800001
	s_and_saveexec_b64 s[36:37], s[4:5]
	s_cbranch_execz .LBB325_259
; %bb.258:                              ;   in Loop: Header=BB325_9 Depth=1
	v_and_b32_e32 v12, 7, v8
	v_lshrrev_b32_e32 v14, 3, v1
	v_cmp_gt_u32_e64 s[4:5], 8, v1
	v_ffbh_u32_e32 v1, v12
	v_min_u32_e32 v15, 32, v1
	v_subrev_u32_e32 v1, 28, v15
	v_lshlrev_b64 v[1:2], v1, v[8:9]
	v_sub_u32_e32 v2, 29, v15
	v_and_b32_e32 v1, 7, v1
	v_cndmask_b32_e64 v2, v14, v2, s[4:5]
	v_cndmask_b32_e64 v1, v12, v1, s[4:5]
	v_lshlrev_b32_e32 v8, 16, v7
	v_bfrev_b32_e32 v3, 60
	v_lshlrev_b32_e32 v1, 20, v1
	v_and_b32_e32 v8, 0x80000000, v8
	v_lshl_add_u32 v2, v2, 23, v3
	v_or3_b32 v12, v8, v2, v1
.LBB325_259:                            ;   in Loop: Header=BB325_9 Depth=1
	s_or_b64 exec, exec, s[36:37]
.LBB325_260:                            ;   in Loop: Header=BB325_9 Depth=1
	s_or_b64 exec, exec, s[34:35]
.LBB325_261:                            ;   in Loop: Header=BB325_9 Depth=1
	s_or_b64 exec, exec, s[16:17]
	v_lshrrev_b32_e32 v8, 16, v7
	v_mov_b32_e32 v1, 0
	v_cmp_ne_u16_sdwa s[4:5], v8, v1 src0_sel:BYTE_0 src1_sel:DWORD
	s_and_saveexec_b64 s[16:17], s[4:5]
	s_cbranch_execz .LBB325_267
; %bb.262:                              ;   in Loop: Header=BB325_9 Depth=1
	v_cmp_ne_u16_sdwa s[4:5], v8, s41 src0_sel:BYTE_0 src1_sel:DWORD
	v_bfrev_b32_e32 v13, 1
	s_and_saveexec_b64 s[34:35], s[4:5]
	s_cbranch_execz .LBB325_266
; %bb.263:                              ;   in Loop: Header=BB325_9 Depth=1
	v_bfe_u32 v1, v7, 16, 7
	v_cmp_ne_u32_e64 s[4:5], s42, v1
	v_mov_b32_e32 v13, 0x7f800001
	s_and_saveexec_b64 s[36:37], s[4:5]
	s_cbranch_execz .LBB325_265
; %bb.264:                              ;   in Loop: Header=BB325_9 Depth=1
	v_and_b32_e32 v13, 7, v8
	v_lshrrev_b32_e32 v14, 3, v1
	v_cmp_gt_u32_e64 s[4:5], 8, v1
	v_ffbh_u32_e32 v1, v13
	v_min_u32_e32 v15, 32, v1
	v_subrev_u32_e32 v1, 28, v15
	v_lshlrev_b64 v[1:2], v1, v[8:9]
	v_sub_u32_e32 v2, 29, v15
	v_and_b32_e32 v1, 7, v1
	v_cndmask_b32_e64 v2, v14, v2, s[4:5]
	v_cndmask_b32_e64 v1, v13, v1, s[4:5]
	v_lshlrev_b32_e32 v8, 24, v8
	v_bfrev_b32_e32 v3, 60
	v_lshlrev_b32_e32 v1, 20, v1
	v_and_b32_e32 v8, 0x80000000, v8
	v_lshl_add_u32 v2, v2, 23, v3
	v_or3_b32 v13, v8, v2, v1
.LBB325_265:                            ;   in Loop: Header=BB325_9 Depth=1
	s_or_b64 exec, exec, s[36:37]
.LBB325_266:                            ;   in Loop: Header=BB325_9 Depth=1
	s_or_b64 exec, exec, s[34:35]
.LBB325_267:                            ;   in Loop: Header=BB325_9 Depth=1
	s_or_b64 exec, exec, s[16:17]
	v_cmp_lt_u32_e64 s[4:5], s43, v7
	v_mov_b32_e32 v15, 0
	v_mov_b32_e32 v14, 0
	s_and_saveexec_b64 s[16:17], s[4:5]
	s_cbranch_execz .LBB325_273
; %bb.268:                              ;   in Loop: Header=BB325_9 Depth=1
	v_lshrrev_b32_e32 v8, 24, v7
	v_cmp_ne_u32_e64 s[4:5], s41, v8
	v_bfrev_b32_e32 v14, 1
	s_and_saveexec_b64 s[34:35], s[4:5]
	s_cbranch_execz .LBB325_272
; %bb.269:                              ;   in Loop: Header=BB325_9 Depth=1
	v_bfe_u32 v1, v7, 24, 7
	v_cmp_ne_u32_e64 s[4:5], s42, v1
	v_mov_b32_e32 v14, 0x7f800001
	s_and_saveexec_b64 s[36:37], s[4:5]
	s_cbranch_execz .LBB325_271
; %bb.270:                              ;   in Loop: Header=BB325_9 Depth=1
	v_and_b32_e32 v7, 7, v8
	v_lshrrev_b32_e32 v14, 3, v1
	v_cmp_gt_u32_e64 s[4:5], 8, v1
	v_ffbh_u32_e32 v1, v7
	v_min_u32_e32 v16, 32, v1
	v_subrev_u32_e32 v1, 28, v16
	v_lshlrev_b64 v[1:2], v1, v[8:9]
	v_sub_u32_e32 v2, 29, v16
	v_and_b32_e32 v1, 7, v1
	v_cndmask_b32_e64 v2, v14, v2, s[4:5]
	v_cndmask_b32_e64 v1, v7, v1, s[4:5]
	v_lshlrev_b32_e32 v7, 24, v8
	v_bfrev_b32_e32 v3, 60
	v_lshlrev_b32_e32 v1, 20, v1
	v_and_b32_e32 v7, 0x80000000, v7
	v_lshl_add_u32 v2, v2, 23, v3
	v_or3_b32 v14, v7, v2, v1
.LBB325_271:                            ;   in Loop: Header=BB325_9 Depth=1
	s_or_b64 exec, exec, s[36:37]
.LBB325_272:                            ;   in Loop: Header=BB325_9 Depth=1
	s_or_b64 exec, exec, s[34:35]
.LBB325_273:                            ;   in Loop: Header=BB325_9 Depth=1
	s_or_b64 exec, exec, s[16:17]
	global_load_dword v7, v[5:6], off offset:2568
	v_mov_b32_e32 v1, 0
	s_waitcnt vmcnt(0)
	v_cmp_ne_u16_sdwa s[4:5], v7, v1 src0_sel:BYTE_0 src1_sel:DWORD
	s_and_saveexec_b64 s[16:17], s[4:5]
	s_cbranch_execz .LBB325_279
; %bb.274:                              ;   in Loop: Header=BB325_9 Depth=1
	v_cmp_ne_u16_sdwa s[4:5], v7, s41 src0_sel:BYTE_0 src1_sel:DWORD
	v_bfrev_b32_e32 v15, 1
	s_and_saveexec_b64 s[34:35], s[4:5]
	s_cbranch_execz .LBB325_278
; %bb.275:                              ;   in Loop: Header=BB325_9 Depth=1
	v_and_b32_e32 v1, 0x7f, v7
	v_cmp_ne_u32_e64 s[4:5], s42, v1
	v_mov_b32_e32 v15, 0x7f800001
	s_and_saveexec_b64 s[36:37], s[4:5]
	s_cbranch_execz .LBB325_277
; %bb.276:                              ;   in Loop: Header=BB325_9 Depth=1
	v_and_b32_e32 v8, 7, v7
	v_lshrrev_b32_e32 v15, 3, v1
	v_cmp_gt_u32_e64 s[4:5], 8, v1
	v_ffbh_u32_e32 v1, v8
	v_min_u32_e32 v16, 32, v1
	v_subrev_u32_e32 v1, 28, v16
	v_lshlrev_b64 v[1:2], v1, v[7:8]
	v_sub_u32_e32 v2, 29, v16
	v_and_b32_e32 v1, 7, v1
	v_cndmask_b32_e64 v2, v15, v2, s[4:5]
	v_cndmask_b32_e64 v1, v8, v1, s[4:5]
	v_lshlrev_b32_e32 v8, 24, v7
	v_bfrev_b32_e32 v3, 60
	v_lshlrev_b32_e32 v1, 20, v1
	v_and_b32_e32 v8, 0x80000000, v8
	v_lshl_add_u32 v2, v2, 23, v3
	v_or3_b32 v15, v8, v2, v1
.LBB325_277:                            ;   in Loop: Header=BB325_9 Depth=1
	s_or_b64 exec, exec, s[36:37]
.LBB325_278:                            ;   in Loop: Header=BB325_9 Depth=1
	s_or_b64 exec, exec, s[34:35]
.LBB325_279:                            ;   in Loop: Header=BB325_9 Depth=1
	s_or_b64 exec, exec, s[16:17]
	v_lshrrev_b16_e32 v8, 8, v7
	v_cmp_ne_u16_e64 s[4:5], 0, v8
	v_mov_b32_e32 v17, 0
	v_mov_b32_e32 v16, 0
	s_and_saveexec_b64 s[16:17], s[4:5]
	s_cbranch_execz .LBB325_285
; %bb.280:                              ;   in Loop: Header=BB325_9 Depth=1
	v_cmp_ne_u16_e64 s[4:5], s41, v8
	v_bfrev_b32_e32 v16, 1
	s_and_saveexec_b64 s[34:35], s[4:5]
	s_cbranch_execz .LBB325_284
; %bb.281:                              ;   in Loop: Header=BB325_9 Depth=1
	v_and_b32_e32 v1, 0x7f, v8
	v_cmp_ne_u32_e64 s[4:5], s42, v1
	v_mov_b32_e32 v16, 0x7f800001
	s_and_saveexec_b64 s[36:37], s[4:5]
	s_cbranch_execz .LBB325_283
; %bb.282:                              ;   in Loop: Header=BB325_9 Depth=1
	v_and_b32_e32 v16, 7, v8
	v_lshrrev_b32_e32 v18, 3, v1
	v_cmp_gt_u32_e64 s[4:5], 8, v1
	v_ffbh_u32_e32 v1, v16
	v_min_u32_e32 v19, 32, v1
	v_subrev_u32_e32 v1, 28, v19
	v_lshlrev_b64 v[1:2], v1, v[8:9]
	v_sub_u32_e32 v2, 29, v19
	v_and_b32_e32 v1, 7, v1
	v_cndmask_b32_e64 v2, v18, v2, s[4:5]
	v_cndmask_b32_e64 v1, v16, v1, s[4:5]
	v_lshlrev_b32_e32 v8, 16, v7
	v_bfrev_b32_e32 v3, 60
	v_lshlrev_b32_e32 v1, 20, v1
	v_and_b32_e32 v8, 0x80000000, v8
	v_lshl_add_u32 v2, v2, 23, v3
	v_or3_b32 v16, v8, v2, v1
.LBB325_283:                            ;   in Loop: Header=BB325_9 Depth=1
	s_or_b64 exec, exec, s[36:37]
.LBB325_284:                            ;   in Loop: Header=BB325_9 Depth=1
	s_or_b64 exec, exec, s[34:35]
.LBB325_285:                            ;   in Loop: Header=BB325_9 Depth=1
	s_or_b64 exec, exec, s[16:17]
	v_lshrrev_b32_e32 v8, 16, v7
	v_mov_b32_e32 v1, 0
	v_cmp_ne_u16_sdwa s[4:5], v8, v1 src0_sel:BYTE_0 src1_sel:DWORD
	s_and_saveexec_b64 s[16:17], s[4:5]
	s_cbranch_execz .LBB325_291
; %bb.286:                              ;   in Loop: Header=BB325_9 Depth=1
	v_cmp_ne_u16_sdwa s[4:5], v8, s41 src0_sel:BYTE_0 src1_sel:DWORD
	v_bfrev_b32_e32 v17, 1
	s_and_saveexec_b64 s[34:35], s[4:5]
	s_cbranch_execz .LBB325_290
; %bb.287:                              ;   in Loop: Header=BB325_9 Depth=1
	v_bfe_u32 v1, v7, 16, 7
	v_cmp_ne_u32_e64 s[4:5], s42, v1
	v_mov_b32_e32 v17, 0x7f800001
	s_and_saveexec_b64 s[36:37], s[4:5]
	s_cbranch_execz .LBB325_289
; %bb.288:                              ;   in Loop: Header=BB325_9 Depth=1
	v_and_b32_e32 v17, 7, v8
	v_lshrrev_b32_e32 v18, 3, v1
	v_cmp_gt_u32_e64 s[4:5], 8, v1
	v_ffbh_u32_e32 v1, v17
	v_min_u32_e32 v19, 32, v1
	v_subrev_u32_e32 v1, 28, v19
	v_lshlrev_b64 v[1:2], v1, v[8:9]
	v_sub_u32_e32 v2, 29, v19
	v_and_b32_e32 v1, 7, v1
	v_cndmask_b32_e64 v2, v18, v2, s[4:5]
	v_cndmask_b32_e64 v1, v17, v1, s[4:5]
	v_lshlrev_b32_e32 v8, 24, v8
	v_bfrev_b32_e32 v3, 60
	v_lshlrev_b32_e32 v1, 20, v1
	v_and_b32_e32 v8, 0x80000000, v8
	v_lshl_add_u32 v2, v2, 23, v3
	v_or3_b32 v17, v8, v2, v1
.LBB325_289:                            ;   in Loop: Header=BB325_9 Depth=1
	s_or_b64 exec, exec, s[36:37]
.LBB325_290:                            ;   in Loop: Header=BB325_9 Depth=1
	s_or_b64 exec, exec, s[34:35]
.LBB325_291:                            ;   in Loop: Header=BB325_9 Depth=1
	s_or_b64 exec, exec, s[16:17]
	v_cmp_lt_u32_e64 s[4:5], s43, v7
	v_mov_b32_e32 v19, 0
	v_mov_b32_e32 v18, 0
	s_and_saveexec_b64 s[16:17], s[4:5]
	s_cbranch_execz .LBB325_297
; %bb.292:                              ;   in Loop: Header=BB325_9 Depth=1
	v_lshrrev_b32_e32 v8, 24, v7
	v_cmp_ne_u32_e64 s[4:5], s41, v8
	v_bfrev_b32_e32 v18, 1
	s_and_saveexec_b64 s[34:35], s[4:5]
	s_cbranch_execz .LBB325_296
; %bb.293:                              ;   in Loop: Header=BB325_9 Depth=1
	v_bfe_u32 v1, v7, 24, 7
	v_cmp_ne_u32_e64 s[4:5], s42, v1
	v_mov_b32_e32 v18, 0x7f800001
	s_and_saveexec_b64 s[36:37], s[4:5]
	s_cbranch_execz .LBB325_295
; %bb.294:                              ;   in Loop: Header=BB325_9 Depth=1
	v_and_b32_e32 v7, 7, v8
	v_lshrrev_b32_e32 v18, 3, v1
	v_cmp_gt_u32_e64 s[4:5], 8, v1
	v_ffbh_u32_e32 v1, v7
	v_min_u32_e32 v20, 32, v1
	v_subrev_u32_e32 v1, 28, v20
	v_lshlrev_b64 v[1:2], v1, v[8:9]
	v_sub_u32_e32 v2, 29, v20
	v_and_b32_e32 v1, 7, v1
	v_cndmask_b32_e64 v2, v18, v2, s[4:5]
	v_cndmask_b32_e64 v1, v7, v1, s[4:5]
	v_lshlrev_b32_e32 v7, 24, v8
	v_bfrev_b32_e32 v3, 60
	v_lshlrev_b32_e32 v1, 20, v1
	v_and_b32_e32 v7, 0x80000000, v7
	v_lshl_add_u32 v2, v2, 23, v3
	v_or3_b32 v18, v7, v2, v1
.LBB325_295:                            ;   in Loop: Header=BB325_9 Depth=1
	s_or_b64 exec, exec, s[36:37]
.LBB325_296:                            ;   in Loop: Header=BB325_9 Depth=1
	s_or_b64 exec, exec, s[34:35]
.LBB325_297:                            ;   in Loop: Header=BB325_9 Depth=1
	s_or_b64 exec, exec, s[16:17]
	global_load_dword v7, v[5:6], off offset:3072
	v_mov_b32_e32 v1, 0
	s_waitcnt vmcnt(0)
	v_cmp_ne_u16_sdwa s[4:5], v7, v1 src0_sel:BYTE_0 src1_sel:DWORD
	s_and_saveexec_b64 s[16:17], s[4:5]
	s_cbranch_execz .LBB325_303
; %bb.298:                              ;   in Loop: Header=BB325_9 Depth=1
	v_cmp_ne_u16_sdwa s[4:5], v7, s41 src0_sel:BYTE_0 src1_sel:DWORD
	v_bfrev_b32_e32 v19, 1
	s_and_saveexec_b64 s[34:35], s[4:5]
	s_cbranch_execz .LBB325_302
; %bb.299:                              ;   in Loop: Header=BB325_9 Depth=1
	v_and_b32_e32 v1, 0x7f, v7
	v_cmp_ne_u32_e64 s[4:5], s42, v1
	v_mov_b32_e32 v19, 0x7f800001
	s_and_saveexec_b64 s[36:37], s[4:5]
	s_cbranch_execz .LBB325_301
; %bb.300:                              ;   in Loop: Header=BB325_9 Depth=1
	v_and_b32_e32 v8, 7, v7
	v_lshrrev_b32_e32 v19, 3, v1
	v_cmp_gt_u32_e64 s[4:5], 8, v1
	v_ffbh_u32_e32 v1, v8
	v_min_u32_e32 v20, 32, v1
	v_subrev_u32_e32 v1, 28, v20
	v_lshlrev_b64 v[1:2], v1, v[7:8]
	v_sub_u32_e32 v2, 29, v20
	v_and_b32_e32 v1, 7, v1
	v_cndmask_b32_e64 v2, v19, v2, s[4:5]
	v_cndmask_b32_e64 v1, v8, v1, s[4:5]
	v_lshlrev_b32_e32 v8, 24, v7
	v_bfrev_b32_e32 v3, 60
	v_lshlrev_b32_e32 v1, 20, v1
	v_and_b32_e32 v8, 0x80000000, v8
	v_lshl_add_u32 v2, v2, 23, v3
	v_or3_b32 v19, v8, v2, v1
.LBB325_301:                            ;   in Loop: Header=BB325_9 Depth=1
	s_or_b64 exec, exec, s[36:37]
.LBB325_302:                            ;   in Loop: Header=BB325_9 Depth=1
	s_or_b64 exec, exec, s[34:35]
.LBB325_303:                            ;   in Loop: Header=BB325_9 Depth=1
	s_or_b64 exec, exec, s[16:17]
	v_lshrrev_b16_e32 v8, 8, v7
	v_cmp_ne_u16_e64 s[4:5], 0, v8
	v_mov_b32_e32 v2, 0
	v_mov_b32_e32 v1, 0
	s_and_saveexec_b64 s[16:17], s[4:5]
	s_cbranch_execz .LBB325_309
; %bb.304:                              ;   in Loop: Header=BB325_9 Depth=1
	v_cmp_ne_u16_e64 s[4:5], s41, v8
	v_bfrev_b32_e32 v1, 1
	s_and_saveexec_b64 s[34:35], s[4:5]
	s_cbranch_execz .LBB325_308
; %bb.305:                              ;   in Loop: Header=BB325_9 Depth=1
	v_and_b32_e32 v20, 0x7f, v8
	v_cmp_ne_u32_e64 s[4:5], s42, v20
	v_mov_b32_e32 v1, 0x7f800001
	s_and_saveexec_b64 s[36:37], s[4:5]
	s_cbranch_execz .LBB325_307
; %bb.306:                              ;   in Loop: Header=BB325_9 Depth=1
	v_and_b32_e32 v1, 7, v8
	v_lshrrev_b32_e32 v27, 3, v20
	v_cmp_gt_u32_e64 s[4:5], 8, v20
	v_ffbh_u32_e32 v20, v1
	v_min_u32_e32 v20, 32, v20
	v_subrev_u32_e32 v25, 28, v20
	v_lshlrev_b64 v[25:26], v25, v[8:9]
	v_sub_u32_e32 v8, 29, v20
	v_and_b32_e32 v20, 7, v25
	v_cndmask_b32_e64 v8, v27, v8, s[4:5]
	v_cndmask_b32_e64 v1, v1, v20, s[4:5]
	v_lshlrev_b32_e32 v20, 16, v7
	v_bfrev_b32_e32 v3, 60
	v_lshlrev_b32_e32 v1, 20, v1
	v_and_b32_e32 v20, 0x80000000, v20
	v_lshl_add_u32 v8, v8, 23, v3
	v_or3_b32 v1, v20, v8, v1
.LBB325_307:                            ;   in Loop: Header=BB325_9 Depth=1
	s_or_b64 exec, exec, s[36:37]
.LBB325_308:                            ;   in Loop: Header=BB325_9 Depth=1
	s_or_b64 exec, exec, s[34:35]
.LBB325_309:                            ;   in Loop: Header=BB325_9 Depth=1
	s_or_b64 exec, exec, s[16:17]
	v_lshrrev_b32_e32 v8, 16, v7
	v_mov_b32_e32 v3, 0
	v_cmp_ne_u16_sdwa s[4:5], v8, v3 src0_sel:BYTE_0 src1_sel:DWORD
	s_and_saveexec_b64 s[16:17], s[4:5]
	s_cbranch_execz .LBB325_315
; %bb.310:                              ;   in Loop: Header=BB325_9 Depth=1
	v_cmp_ne_u16_sdwa s[4:5], v8, s41 src0_sel:BYTE_0 src1_sel:DWORD
	v_bfrev_b32_e32 v2, 1
	s_and_saveexec_b64 s[34:35], s[4:5]
	s_cbranch_execz .LBB325_314
; %bb.311:                              ;   in Loop: Header=BB325_9 Depth=1
	v_bfe_u32 v20, v7, 16, 7
	v_cmp_ne_u32_e64 s[4:5], s42, v20
	v_mov_b32_e32 v2, 0x7f800001
	s_and_saveexec_b64 s[36:37], s[4:5]
	s_cbranch_execz .LBB325_313
; %bb.312:                              ;   in Loop: Header=BB325_9 Depth=1
	v_and_b32_e32 v2, 7, v8
	v_lshrrev_b32_e32 v27, 3, v20
	v_cmp_gt_u32_e64 s[4:5], 8, v20
	v_ffbh_u32_e32 v20, v2
	v_min_u32_e32 v20, 32, v20
	v_subrev_u32_e32 v25, 28, v20
	v_lshlrev_b64 v[25:26], v25, v[8:9]
	v_sub_u32_e32 v20, 29, v20
	v_and_b32_e32 v25, 7, v25
	v_cndmask_b32_e64 v20, v27, v20, s[4:5]
	v_cndmask_b32_e64 v2, v2, v25, s[4:5]
	v_lshlrev_b32_e32 v8, 24, v8
	v_bfrev_b32_e32 v3, 60
	v_lshlrev_b32_e32 v2, 20, v2
	v_and_b32_e32 v8, 0x80000000, v8
	v_lshl_add_u32 v20, v20, 23, v3
	v_or3_b32 v2, v8, v20, v2
.LBB325_313:                            ;   in Loop: Header=BB325_9 Depth=1
	s_or_b64 exec, exec, s[36:37]
.LBB325_314:                            ;   in Loop: Header=BB325_9 Depth=1
	s_or_b64 exec, exec, s[34:35]
.LBB325_315:                            ;   in Loop: Header=BB325_9 Depth=1
	s_or_b64 exec, exec, s[16:17]
	v_cmp_lt_u32_e64 s[4:5], s43, v7
	v_mov_b32_e32 v27, 0
	v_mov_b32_e32 v28, 0
	s_and_saveexec_b64 s[16:17], s[4:5]
	s_cbranch_execz .LBB325_321
; %bb.316:                              ;   in Loop: Header=BB325_9 Depth=1
	v_lshrrev_b32_e32 v8, 24, v7
	v_cmp_ne_u32_e64 s[4:5], s41, v8
	v_bfrev_b32_e32 v28, 1
	s_and_saveexec_b64 s[34:35], s[4:5]
	s_cbranch_execz .LBB325_320
; %bb.317:                              ;   in Loop: Header=BB325_9 Depth=1
	v_bfe_u32 v7, v7, 24, 7
	v_cmp_ne_u32_e64 s[4:5], s42, v7
	v_mov_b32_e32 v28, 0x7f800001
	s_and_saveexec_b64 s[36:37], s[4:5]
	s_cbranch_execz .LBB325_319
; %bb.318:                              ;   in Loop: Header=BB325_9 Depth=1
	v_and_b32_e32 v20, 7, v8
	v_lshrrev_b32_e32 v28, 3, v7
	v_cmp_gt_u32_e64 s[4:5], 8, v7
	v_ffbh_u32_e32 v7, v20
	v_min_u32_e32 v7, 32, v7
	v_subrev_u32_e32 v25, 28, v7
	v_lshlrev_b64 v[25:26], v25, v[8:9]
	v_sub_u32_e32 v7, 29, v7
	v_and_b32_e32 v25, 7, v25
	v_cndmask_b32_e64 v7, v28, v7, s[4:5]
	v_cndmask_b32_e64 v20, v20, v25, s[4:5]
	v_lshlrev_b32_e32 v8, 24, v8
	v_bfrev_b32_e32 v3, 60
	v_lshlrev_b32_e32 v20, 20, v20
	v_and_b32_e32 v8, 0x80000000, v8
	v_lshl_add_u32 v7, v7, 23, v3
	v_or3_b32 v28, v8, v7, v20
.LBB325_319:                            ;   in Loop: Header=BB325_9 Depth=1
	s_or_b64 exec, exec, s[36:37]
.LBB325_320:                            ;   in Loop: Header=BB325_9 Depth=1
	s_or_b64 exec, exec, s[34:35]
.LBB325_321:                            ;   in Loop: Header=BB325_9 Depth=1
	s_or_b64 exec, exec, s[16:17]
	global_load_dword v7, v[5:6], off offset:3080
	v_mov_b32_e32 v3, 0
	s_waitcnt vmcnt(0)
	v_cmp_ne_u16_sdwa s[4:5], v7, v3 src0_sel:BYTE_0 src1_sel:DWORD
	s_and_saveexec_b64 s[16:17], s[4:5]
	s_cbranch_execz .LBB325_327
; %bb.322:                              ;   in Loop: Header=BB325_9 Depth=1
	v_cmp_ne_u16_sdwa s[4:5], v7, s41 src0_sel:BYTE_0 src1_sel:DWORD
	v_bfrev_b32_e32 v27, 1
	s_and_saveexec_b64 s[34:35], s[4:5]
	s_cbranch_execz .LBB325_326
; %bb.323:                              ;   in Loop: Header=BB325_9 Depth=1
	v_and_b32_e32 v8, 0x7f, v7
	v_cmp_ne_u32_e64 s[4:5], s42, v8
	v_mov_b32_e32 v27, 0x7f800001
	s_and_saveexec_b64 s[36:37], s[4:5]
	s_cbranch_execz .LBB325_325
; %bb.324:                              ;   in Loop: Header=BB325_9 Depth=1
	v_and_b32_e32 v20, 7, v7
	v_lshrrev_b32_e32 v27, 3, v8
	v_cmp_gt_u32_e64 s[4:5], 8, v8
	v_ffbh_u32_e32 v8, v20
	v_min_u32_e32 v8, 32, v8
	v_subrev_u32_e32 v25, 28, v8
	v_lshlrev_b64 v[25:26], v25, v[7:8]
	v_sub_u32_e32 v8, 29, v8
	v_and_b32_e32 v25, 7, v25
	v_cndmask_b32_e64 v8, v27, v8, s[4:5]
	v_cndmask_b32_e64 v20, v20, v25, s[4:5]
	v_lshlrev_b32_e32 v25, 24, v7
	v_bfrev_b32_e32 v3, 60
	v_lshlrev_b32_e32 v20, 20, v20
	v_and_b32_e32 v25, 0x80000000, v25
	v_lshl_add_u32 v8, v8, 23, v3
	v_or3_b32 v27, v25, v8, v20
.LBB325_325:                            ;   in Loop: Header=BB325_9 Depth=1
	s_or_b64 exec, exec, s[36:37]
.LBB325_326:                            ;   in Loop: Header=BB325_9 Depth=1
	s_or_b64 exec, exec, s[34:35]
.LBB325_327:                            ;   in Loop: Header=BB325_9 Depth=1
	s_or_b64 exec, exec, s[16:17]
	v_lshrrev_b16_e32 v8, 8, v7
	v_cmp_ne_u16_e64 s[4:5], 0, v8
	v_mov_b32_e32 v31, 0
	v_mov_b32_e32 v20, 0
	s_and_saveexec_b64 s[16:17], s[4:5]
	s_cbranch_execz .LBB325_333
; %bb.328:                              ;   in Loop: Header=BB325_9 Depth=1
	v_cmp_ne_u16_e64 s[4:5], s41, v8
	v_bfrev_b32_e32 v20, 1
	s_and_saveexec_b64 s[34:35], s[4:5]
	s_cbranch_execz .LBB325_332
; %bb.329:                              ;   in Loop: Header=BB325_9 Depth=1
	v_and_b32_e32 v25, 0x7f, v8
	v_cmp_ne_u32_e64 s[4:5], s42, v25
	v_mov_b32_e32 v20, 0x7f800001
	s_and_saveexec_b64 s[36:37], s[4:5]
	s_cbranch_execz .LBB325_331
; %bb.330:                              ;   in Loop: Header=BB325_9 Depth=1
	v_and_b32_e32 v20, 7, v8
	v_lshrrev_b32_e32 v29, 3, v25
	v_cmp_gt_u32_e64 s[4:5], 8, v25
	v_ffbh_u32_e32 v25, v20
	v_min_u32_e32 v32, 32, v25
	v_subrev_u32_e32 v25, 28, v32
	v_lshlrev_b64 v[25:26], v25, v[8:9]
	v_sub_u32_e32 v8, 29, v32
	v_and_b32_e32 v25, 7, v25
	v_cndmask_b32_e64 v8, v29, v8, s[4:5]
	v_cndmask_b32_e64 v20, v20, v25, s[4:5]
	v_lshlrev_b32_e32 v25, 16, v7
	v_bfrev_b32_e32 v3, 60
	v_lshlrev_b32_e32 v20, 20, v20
	v_and_b32_e32 v25, 0x80000000, v25
	v_lshl_add_u32 v8, v8, 23, v3
	v_or3_b32 v20, v25, v8, v20
.LBB325_331:                            ;   in Loop: Header=BB325_9 Depth=1
	s_or_b64 exec, exec, s[36:37]
.LBB325_332:                            ;   in Loop: Header=BB325_9 Depth=1
	s_or_b64 exec, exec, s[34:35]
.LBB325_333:                            ;   in Loop: Header=BB325_9 Depth=1
	s_or_b64 exec, exec, s[16:17]
	v_lshrrev_b32_e32 v8, 16, v7
	v_mov_b32_e32 v3, 0
	v_cmp_ne_u16_sdwa s[4:5], v8, v3 src0_sel:BYTE_0 src1_sel:DWORD
	s_and_saveexec_b64 s[16:17], s[4:5]
	s_cbranch_execz .LBB325_339
; %bb.334:                              ;   in Loop: Header=BB325_9 Depth=1
	v_cmp_ne_u16_sdwa s[4:5], v8, s41 src0_sel:BYTE_0 src1_sel:DWORD
	v_bfrev_b32_e32 v31, 1
	s_and_saveexec_b64 s[34:35], s[4:5]
	s_cbranch_execz .LBB325_338
; %bb.335:                              ;   in Loop: Header=BB325_9 Depth=1
	v_bfe_u32 v25, v7, 16, 7
	v_cmp_ne_u32_e64 s[4:5], s42, v25
	v_mov_b32_e32 v31, 0x7f800001
	s_and_saveexec_b64 s[36:37], s[4:5]
	s_cbranch_execz .LBB325_337
; %bb.336:                              ;   in Loop: Header=BB325_9 Depth=1
	v_and_b32_e32 v29, 7, v8
	v_lshrrev_b32_e32 v31, 3, v25
	v_cmp_gt_u32_e64 s[4:5], 8, v25
	v_ffbh_u32_e32 v25, v29
	v_min_u32_e32 v32, 32, v25
	v_subrev_u32_e32 v25, 28, v32
	v_lshlrev_b64 v[25:26], v25, v[8:9]
	v_sub_u32_e32 v26, 29, v32
	v_and_b32_e32 v25, 7, v25
	v_cndmask_b32_e64 v26, v31, v26, s[4:5]
	v_cndmask_b32_e64 v25, v29, v25, s[4:5]
	v_lshlrev_b32_e32 v8, 24, v8
	v_bfrev_b32_e32 v3, 60
	v_lshlrev_b32_e32 v25, 20, v25
	v_and_b32_e32 v8, 0x80000000, v8
	v_lshl_add_u32 v26, v26, 23, v3
	v_or3_b32 v31, v8, v26, v25
.LBB325_337:                            ;   in Loop: Header=BB325_9 Depth=1
	s_or_b64 exec, exec, s[36:37]
.LBB325_338:                            ;   in Loop: Header=BB325_9 Depth=1
	s_or_b64 exec, exec, s[34:35]
.LBB325_339:                            ;   in Loop: Header=BB325_9 Depth=1
	s_or_b64 exec, exec, s[16:17]
	v_mov_b32_e32 v32, 0
	v_mov_b32_e32 v25, 0
	v_cmp_lt_u32_e64 s[4:5], s43, v7
	s_mov_b64 s[16:17], exec
	s_and_b64 s[4:5], s[16:17], s[4:5]
	buffer_store_dword v22, off, s[48:51], 0 offset:32 ; 4-byte Folded Spill
	s_mov_b64 exec, s[4:5]
	s_cbranch_execz .LBB325_345
; %bb.340:                              ;   in Loop: Header=BB325_9 Depth=1
	v_lshrrev_b32_e32 v8, 24, v7
	v_cmp_ne_u32_e64 s[4:5], s41, v8
	v_bfrev_b32_e32 v25, 1
	s_and_saveexec_b64 s[34:35], s[4:5]
	s_cbranch_execz .LBB325_344
; %bb.341:                              ;   in Loop: Header=BB325_9 Depth=1
	v_bfe_u32 v7, v7, 24, 7
	v_cmp_ne_u32_e64 s[4:5], s42, v7
	v_mov_b32_e32 v25, 0x7f800001
	s_and_saveexec_b64 s[36:37], s[4:5]
	s_cbranch_execz .LBB325_343
; %bb.342:                              ;   in Loop: Header=BB325_9 Depth=1
	v_and_b32_e32 v29, 7, v8
	v_lshrrev_b32_e32 v33, 3, v7
	v_cmp_gt_u32_e64 s[4:5], 8, v7
	v_ffbh_u32_e32 v7, v29
	v_min_u32_e32 v7, 32, v7
	v_subrev_u32_e32 v25, 28, v7
	v_lshlrev_b64 v[25:26], v25, v[8:9]
	v_sub_u32_e32 v7, 29, v7
	v_and_b32_e32 v25, 7, v25
	v_cndmask_b32_e64 v7, v33, v7, s[4:5]
	v_cndmask_b32_e64 v25, v29, v25, s[4:5]
	v_lshlrev_b32_e32 v8, 24, v8
	v_bfrev_b32_e32 v3, 60
	v_lshlrev_b32_e32 v25, 20, v25
	v_and_b32_e32 v8, 0x80000000, v8
	v_lshl_add_u32 v7, v7, 23, v3
	v_or3_b32 v25, v8, v7, v25
.LBB325_343:                            ;   in Loop: Header=BB325_9 Depth=1
	s_or_b64 exec, exec, s[36:37]
.LBB325_344:                            ;   in Loop: Header=BB325_9 Depth=1
	s_or_b64 exec, exec, s[34:35]
.LBB325_345:                            ;   in Loop: Header=BB325_9 Depth=1
	s_or_b64 exec, exec, s[16:17]
	global_load_dword v5, v[5:6], off offset:3584
	v_mov_b32_e32 v3, 0
	s_waitcnt vmcnt(0)
	v_cmp_ne_u16_sdwa s[4:5], v5, v3 src0_sel:BYTE_0 src1_sel:DWORD
	s_and_saveexec_b64 s[16:17], s[4:5]
	s_cbranch_execz .LBB325_351
; %bb.346:                              ;   in Loop: Header=BB325_9 Depth=1
	v_cmp_ne_u16_sdwa s[4:5], v5, s41 src0_sel:BYTE_0 src1_sel:DWORD
	v_bfrev_b32_e32 v32, 1
	s_and_saveexec_b64 s[34:35], s[4:5]
	s_cbranch_execz .LBB325_350
; %bb.347:                              ;   in Loop: Header=BB325_9 Depth=1
	v_and_b32_e32 v6, 0x7f, v5
	v_cmp_ne_u32_e64 s[4:5], s42, v6
	v_mov_b32_e32 v32, 0x7f800001
	s_and_saveexec_b64 s[36:37], s[4:5]
	s_cbranch_execz .LBB325_349
; %bb.348:                              ;   in Loop: Header=BB325_9 Depth=1
	v_and_b32_e32 v8, 7, v5
	v_lshrrev_b32_e32 v26, 3, v6
	v_cmp_gt_u32_e64 s[4:5], 8, v6
	v_ffbh_u32_e32 v6, v8
	v_min_u32_e32 v29, 32, v6
	v_subrev_u32_e32 v6, 28, v29
	v_lshlrev_b64 v[6:7], v6, v[5:6]
	v_sub_u32_e32 v7, 29, v29
	v_and_b32_e32 v6, 7, v6
	v_cndmask_b32_e64 v7, v26, v7, s[4:5]
	v_cndmask_b32_e64 v6, v8, v6, s[4:5]
	v_lshlrev_b32_e32 v8, 24, v5
	v_bfrev_b32_e32 v3, 60
	v_lshlrev_b32_e32 v6, 20, v6
	v_and_b32_e32 v8, 0x80000000, v8
	v_lshl_add_u32 v7, v7, 23, v3
	v_or3_b32 v32, v8, v7, v6
.LBB325_349:                            ;   in Loop: Header=BB325_9 Depth=1
	s_or_b64 exec, exec, s[36:37]
.LBB325_350:                            ;   in Loop: Header=BB325_9 Depth=1
	s_or_b64 exec, exec, s[34:35]
.LBB325_351:                            ;   in Loop: Header=BB325_9 Depth=1
	s_or_b64 exec, exec, s[16:17]
	v_lshrrev_b16_e32 v6, 8, v5
	v_cmp_ne_u16_e64 s[4:5], 0, v6
	v_mov_b32_e32 v26, 0
	v_mov_b32_e32 v7, 0
	s_and_saveexec_b64 s[16:17], s[4:5]
	s_cbranch_execz .LBB325_357
; %bb.352:                              ;   in Loop: Header=BB325_9 Depth=1
	v_cmp_ne_u16_e64 s[4:5], s41, v6
	v_bfrev_b32_e32 v7, 1
	s_and_saveexec_b64 s[34:35], s[4:5]
	s_cbranch_execz .LBB325_356
; %bb.353:                              ;   in Loop: Header=BB325_9 Depth=1
	v_and_b32_e32 v8, 0x7f, v6
	v_cmp_ne_u32_e64 s[4:5], s42, v8
	v_mov_b32_e32 v7, 0x7f800001
	s_and_saveexec_b64 s[36:37], s[4:5]
	s_cbranch_execz .LBB325_355
; %bb.354:                              ;   in Loop: Header=BB325_9 Depth=1
	v_and_b32_e32 v29, 7, v6
	v_ffbh_u32_e32 v7, v29
	v_lshrrev_b32_e32 v33, 3, v8
	v_cmp_gt_u32_e64 s[4:5], 8, v8
	v_min_u32_e32 v8, 32, v7
	v_subrev_u32_e32 v7, 28, v8
	v_lshlrev_b64 v[6:7], v7, v[6:7]
	v_sub_u32_e32 v7, 29, v8
	v_and_b32_e32 v6, 7, v6
	v_cndmask_b32_e64 v7, v33, v7, s[4:5]
	v_cndmask_b32_e64 v6, v29, v6, s[4:5]
	v_lshlrev_b32_e32 v8, 16, v5
	v_bfrev_b32_e32 v3, 60
	v_lshlrev_b32_e32 v6, 20, v6
	v_and_b32_e32 v8, 0x80000000, v8
	v_lshl_add_u32 v7, v7, 23, v3
	v_or3_b32 v7, v8, v7, v6
.LBB325_355:                            ;   in Loop: Header=BB325_9 Depth=1
	s_or_b64 exec, exec, s[36:37]
.LBB325_356:                            ;   in Loop: Header=BB325_9 Depth=1
	s_or_b64 exec, exec, s[34:35]
.LBB325_357:                            ;   in Loop: Header=BB325_9 Depth=1
	s_or_b64 exec, exec, s[16:17]
	v_lshrrev_b32_e32 v6, 16, v5
	v_mov_b32_e32 v3, 0
	v_cmp_ne_u16_sdwa s[4:5], v6, v3 src0_sel:BYTE_0 src1_sel:DWORD
	s_and_saveexec_b64 s[16:17], s[4:5]
	s_cbranch_execz .LBB325_363
; %bb.358:                              ;   in Loop: Header=BB325_9 Depth=1
	v_cmp_ne_u16_sdwa s[4:5], v6, s41 src0_sel:BYTE_0 src1_sel:DWORD
	v_bfrev_b32_e32 v26, 1
	s_and_saveexec_b64 s[34:35], s[4:5]
	s_cbranch_execz .LBB325_362
; %bb.359:                              ;   in Loop: Header=BB325_9 Depth=1
	v_bfe_u32 v8, v5, 16, 7
	v_cmp_ne_u32_e64 s[4:5], s42, v8
	v_mov_b32_e32 v26, 0x7f800001
	s_and_saveexec_b64 s[36:37], s[4:5]
	s_cbranch_execz .LBB325_361
; %bb.360:                              ;   in Loop: Header=BB325_9 Depth=1
	v_and_b32_e32 v26, 7, v6
	v_lshrrev_b32_e32 v29, 3, v8
	v_cmp_gt_u32_e64 s[4:5], 8, v8
	v_ffbh_u32_e32 v8, v26
	v_min_u32_e32 v8, 32, v8
	v_subrev_u32_e32 v33, 28, v8
	v_mov_b32_e32 v3, v34
	v_lshlrev_b64 v[33:34], v33, v[6:7]
	v_sub_u32_e32 v8, 29, v8
	v_and_b32_e32 v33, 7, v33
	v_mov_b32_e32 v34, v3
	v_cndmask_b32_e64 v8, v29, v8, s[4:5]
	v_cndmask_b32_e64 v26, v26, v33, s[4:5]
	v_lshlrev_b32_e32 v6, 24, v6
	v_bfrev_b32_e32 v3, 60
	v_lshlrev_b32_e32 v26, 20, v26
	v_and_b32_e32 v6, 0x80000000, v6
	v_lshl_add_u32 v8, v8, 23, v3
	v_or3_b32 v26, v6, v8, v26
.LBB325_361:                            ;   in Loop: Header=BB325_9 Depth=1
	s_or_b64 exec, exec, s[36:37]
.LBB325_362:                            ;   in Loop: Header=BB325_9 Depth=1
	s_or_b64 exec, exec, s[34:35]
.LBB325_363:                            ;   in Loop: Header=BB325_9 Depth=1
	s_or_b64 exec, exec, s[16:17]
	v_mov_b32_e32 v22, v34
	v_cmp_lt_u32_e64 s[4:5], s43, v5
	v_mov_b32_e32 v29, 0
	buffer_store_dword v24, off, s[48:51], 0 offset:28 ; 4-byte Folded Spill
	s_and_saveexec_b64 s[16:17], s[4:5]
	s_cbranch_execz .LBB325_369
; %bb.364:                              ;   in Loop: Header=BB325_9 Depth=1
	v_lshrrev_b32_e32 v6, 24, v5
	v_cmp_ne_u32_e64 s[4:5], s41, v6
	v_bfrev_b32_e32 v29, 1
	s_and_saveexec_b64 s[34:35], s[4:5]
	s_cbranch_execz .LBB325_368
; %bb.365:                              ;   in Loop: Header=BB325_9 Depth=1
	v_bfe_u32 v5, v5, 24, 7
	v_cmp_ne_u32_e64 s[4:5], s42, v5
	v_mov_b32_e32 v29, 0x7f800001
	s_and_saveexec_b64 s[36:37], s[4:5]
	s_cbranch_execz .LBB325_367
; %bb.366:                              ;   in Loop: Header=BB325_9 Depth=1
	v_and_b32_e32 v8, 7, v6
	v_lshrrev_b32_e32 v29, 3, v5
	v_cmp_gt_u32_e64 s[4:5], 8, v5
	v_ffbh_u32_e32 v5, v8
	v_min_u32_e32 v5, 32, v5
	v_subrev_u32_e32 v33, 28, v5
	v_lshlrev_b64 v[33:34], v33, v[6:7]
	v_sub_u32_e32 v5, 29, v5
	v_and_b32_e32 v33, 7, v33
	v_cndmask_b32_e64 v5, v29, v5, s[4:5]
	v_cndmask_b32_e64 v8, v8, v33, s[4:5]
	v_lshlrev_b32_e32 v6, 24, v6
	v_bfrev_b32_e32 v3, 60
	v_lshlrev_b32_e32 v8, 20, v8
	v_and_b32_e32 v6, 0x80000000, v6
	v_lshl_add_u32 v5, v5, 23, v3
	v_or3_b32 v29, v6, v5, v8
.LBB325_367:                            ;   in Loop: Header=BB325_9 Depth=1
	s_or_b64 exec, exec, s[36:37]
.LBB325_368:                            ;   in Loop: Header=BB325_9 Depth=1
	s_or_b64 exec, exec, s[34:35]
.LBB325_369:                            ;   in Loop: Header=BB325_9 Depth=1
	s_or_b64 exec, exec, s[16:17]
	v_mul_f32_e32 v5, s39, v7
	v_bfe_u32 v6, v5, 16, 1
	v_add3_u32 v6, v6, v5, s44
	v_or_b32_e32 v7, 0x400000, v5
	v_cmp_u_f32_e64 s[4:5], v5, v5
	v_cndmask_b32_e64 v5, v6, v7, s[4:5]
	v_mul_f32_e32 v6, s39, v32
	v_bfe_u32 v7, v6, 16, 1
	v_add3_u32 v7, v7, v6, s44
	v_or_b32_e32 v8, 0x400000, v6
	v_cmp_u_f32_e64 s[4:5], v6, v6
	v_cndmask_b32_e64 v6, v7, v8, s[4:5]
	;; [unrolled: 6-line block ×3, first 2 shown]
	v_mul_f32_e32 v8, s39, v25
	v_bfe_u32 v25, v8, 16, 1
	v_add3_u32 v25, v25, v8, s44
	v_or_b32_e32 v31, 0x400000, v8
	v_cmp_u_f32_e64 s[4:5], v8, v8
	v_mul_f32_e32 v20, s39, v20
	v_cndmask_b32_e64 v8, v25, v31, s[4:5]
	v_bfe_u32 v25, v20, 16, 1
	v_add3_u32 v25, v25, v20, s44
	v_or_b32_e32 v31, 0x400000, v20
	v_cmp_u_f32_e64 s[4:5], v20, v20
	v_cndmask_b32_e64 v20, v25, v31, s[4:5]
	v_mul_f32_e32 v25, s39, v27
	v_bfe_u32 v27, v25, 16, 1
	v_mul_f32_e32 v2, s39, v2
	v_add3_u32 v27, v27, v25, s44
	v_or_b32_e32 v31, 0x400000, v25
	v_cmp_u_f32_e64 s[4:5], v25, v25
	v_bfe_u32 v25, v2, 16, 1
	v_cndmask_b32_e64 v27, v27, v31, s[4:5]
	v_add3_u32 v25, v25, v2, s44
	v_or_b32_e32 v31, 0x400000, v2
	v_cmp_u_f32_e64 s[4:5], v2, v2
	v_cndmask_b32_e64 v2, v25, v31, s[4:5]
	v_mul_f32_e32 v25, s39, v28
	v_bfe_u32 v28, v25, 16, 1
	v_mul_f32_e32 v1, s39, v1
	v_add3_u32 v28, v28, v25, s44
	v_or_b32_e32 v31, 0x400000, v25
	v_cmp_u_f32_e64 s[4:5], v25, v25
	v_bfe_u32 v25, v1, 16, 1
	v_cndmask_b32_e64 v28, v28, v31, s[4:5]
	v_add3_u32 v25, v25, v1, s44
	v_or_b32_e32 v31, 0x400000, v1
	v_cmp_u_f32_e64 s[4:5], v1, v1
	v_mul_f32_e32 v19, s39, v19
	v_cndmask_b32_e64 v1, v25, v31, s[4:5]
	v_bfe_u32 v25, v19, 16, 1
	v_add3_u32 v25, v25, v19, s44
	v_or_b32_e32 v31, 0x400000, v19
	v_cmp_u_f32_e64 s[4:5], v19, v19
	v_mul_f32_e32 v17, s39, v17
	v_cndmask_b32_e64 v19, v25, v31, s[4:5]
	v_bfe_u32 v25, v17, 16, 1
	;; [unrolled: 6-line block ×6, first 2 shown]
	buffer_load_dword v3, off, s[48:51], 0 offset:4 ; 4-byte Folded Reload
	v_add3_u32 v25, v25, v13, s44
	v_or_b32_e32 v31, 0x400000, v13
	v_cmp_u_f32_e64 s[4:5], v13, v13
	v_mul_f32_e32 v14, s39, v14
	v_cndmask_b32_e64 v13, v25, v31, s[4:5]
	v_bfe_u32 v25, v14, 16, 1
	v_add3_u32 v25, v25, v14, s44
	v_or_b32_e32 v31, 0x400000, v14
	v_cmp_u_f32_e64 s[4:5], v14, v14
	v_mul_f32_e32 v12, s39, v12
	v_cndmask_b32_e64 v14, v25, v31, s[4:5]
	v_bfe_u32 v25, v12, 16, 1
	;; [unrolled: 6-line block ×3, first 2 shown]
	v_add3_u32 v25, v25, v0, s44
	v_or_b32_e32 v31, 0x400000, v0
	v_cmp_u_f32_e64 s[4:5], v0, v0
	v_cndmask_b32_e64 v0, v25, v31, s[4:5]
	v_mul_f32_e32 v25, s39, v30
	v_bfe_u32 v30, v25, 16, 1
	v_add3_u32 v30, v30, v25, s44
	v_or_b32_e32 v31, 0x400000, v25
	v_cmp_u_f32_e64 s[4:5], v25, v25
	v_mul_f32_e32 v25, s39, v38
	v_cndmask_b32_e64 v30, v30, v31, s[4:5]
	v_bfe_u32 v31, v25, 16, 1
	v_mul_f32_e32 v11, s39, v11
	v_add3_u32 v31, v31, v25, s44
	v_or_b32_e32 v32, 0x400000, v25
	v_cmp_u_f32_e64 s[4:5], v25, v25
	v_bfe_u32 v25, v11, 16, 1
	v_cndmask_b32_e64 v38, v31, v32, s[4:5]
	v_add3_u32 v25, v25, v11, s44
	v_or_b32_e32 v31, 0x400000, v11
	v_cmp_u_f32_e64 s[4:5], v11, v11
	v_mul_f32_e32 v9, s39, v9
	v_cndmask_b32_e64 v11, v25, v31, s[4:5]
	v_bfe_u32 v25, v9, 16, 1
	v_add3_u32 v25, v25, v9, s44
	v_or_b32_e32 v31, 0x400000, v9
	v_cmp_u_f32_e64 s[4:5], v9, v9
	v_cndmask_b32_e64 v9, v25, v31, s[4:5]
	v_mul_f32_e32 v25, s39, v62
	v_bfe_u32 v31, v25, 16, 1
	v_add3_u32 v31, v31, v25, s44
	v_or_b32_e32 v32, 0x400000, v25
	v_cmp_u_f32_e64 s[4:5], v25, v25
	v_mul_f32_e32 v25, s39, v63
	v_cndmask_b32_e64 v31, v31, v32, s[4:5]
	v_bfe_u32 v32, v25, 16, 1
	v_add3_u32 v32, v32, v25, s44
	v_or_b32_e32 v33, 0x400000, v25
	v_cmp_u_f32_e64 s[4:5], v25, v25
	v_mul_f32_e32 v25, s39, v61
	v_cndmask_b32_e64 v62, v32, v33, s[4:5]
	;; [unrolled: 6-line block ×6, first 2 shown]
	v_bfe_u32 v32, v25, 16, 1
	v_add3_u32 v32, v32, v25, s44
	v_or_b32_e32 v33, 0x400000, v25
	v_cmp_u_f32_e64 s[4:5], v25, v25
	v_cndmask_b32_e64 v25, v32, v33, s[4:5]
	v_mul_f32_e32 v32, s39, v56
	v_bfe_u32 v33, v32, 16, 1
	v_add3_u32 v33, v33, v32, s44
	v_or_b32_e32 v34, 0x400000, v32
	v_cmp_u_f32_e64 s[4:5], v32, v32
	v_mul_f32_e32 v32, s39, v54
	v_cndmask_b32_e64 v56, v33, v34, s[4:5]
	v_bfe_u32 v33, v32, 16, 1
	v_add3_u32 v33, v33, v32, s44
	v_or_b32_e32 v34, 0x400000, v32
	v_cmp_u_f32_e64 s[4:5], v32, v32
	v_mul_f32_e32 v32, s39, v55
	v_cndmask_b32_e64 v54, v33, v34, s[4:5]
	;; [unrolled: 6-line block ×5, first 2 shown]
	v_bfe_u32 v33, v32, 16, 1
	v_add3_u32 v33, v33, v32, s44
	v_or_b32_e32 v34, 0x400000, v32
	v_cmp_u_f32_e64 s[4:5], v32, v32
	v_cndmask_b32_e64 v32, v33, v34, s[4:5]
	v_mul_f32_e32 v33, s39, v51
	v_bfe_u32 v34, v33, 16, 1
	v_add3_u32 v34, v34, v33, s44
	v_or_b32_e32 v50, 0x400000, v33
	v_cmp_u_f32_e64 s[4:5], v33, v33
	v_mul_f32_e32 v33, s39, v49
	v_cndmask_b32_e64 v50, v34, v50, s[4:5]
	v_bfe_u32 v34, v33, 16, 1
	v_add3_u32 v34, v34, v33, s44
	v_or_b32_e32 v49, 0x400000, v33
	v_cmp_u_f32_e64 s[4:5], v33, v33
	v_mul_f32_e32 v33, s39, v48
	v_cndmask_b32_e64 v49, v34, v49, s[4:5]
	;; [unrolled: 6-line block ×17, first 2 shown]
	v_bfe_u32 v34, v33, 16, 1
	v_add3_u32 v34, v34, v33, s44
	v_or_b32_e32 v63, 0x400000, v33
	v_cmp_u_f32_e64 s[4:5], v33, v33
	s_waitcnt vmcnt(0)
	v_mul_f32_e32 v33, s39, v3
	buffer_load_dword v3, off, s[48:51], 0 offset:32 ; 4-byte Folded Reload
	v_cndmask_b32_e64 v34, v34, v63, s[4:5]
	v_bfe_u32 v63, v33, 16, 1
	v_add3_u32 v63, v63, v33, s44
	v_or_b32_e32 v24, 0x400000, v33
	v_cmp_u_f32_e64 s[4:5], v33, v33
	v_mul_f32_e32 v33, s39, v23
	v_cndmask_b32_e64 v24, v63, v24, s[4:5]
	v_bfe_u32 v63, v33, 16, 1
	v_add3_u32 v63, v63, v33, s44
	v_or_b32_e32 v23, 0x400000, v33
	v_cmp_u_f32_e64 s[4:5], v33, v33
	v_mul_f32_e32 v33, s39, v4
	v_cndmask_b32_e64 v23, v63, v23, s[4:5]
	v_bfe_u32 v63, v33, 16, 1
	v_add3_u32 v63, v63, v33, s44
	v_or_b32_e32 v21, 0x400000, v33
	v_cmp_u_f32_e64 s[4:5], v33, v33
	v_cndmask_b32_e64 v21, v63, v21, s[4:5]
	v_mul_f32_e32 v4, s39, v26
	v_bfe_u32 v26, v4, 16, 1
	v_add3_u32 v26, v26, v4, s44
	v_and_b32_e32 v0, 0xffff0000, v0
	s_waitcnt vmcnt(0)
	v_mul_f32_e32 v33, s39, v3
	buffer_load_dword v3, off, s[48:51], 0 offset:28 ; 4-byte Folded Reload
	v_bfe_u32 v63, v33, 16, 1
	v_add3_u32 v63, v63, v33, s44
	v_or_b32_e32 v22, 0x400000, v33
	v_cmp_u_f32_e64 s[4:5], v33, v33
	v_cndmask_b32_e64 v22, v63, v22, s[4:5]
	s_waitcnt vmcnt(0)
	v_mul_f32_e32 v33, s39, v3
	v_bfe_u32 v63, v33, 16, 1
	v_add3_u32 v63, v63, v33, s44
	v_or_b32_e32 v3, 0x400000, v33
	v_cmp_u_f32_e64 s[4:5], v33, v33
	v_cndmask_b32_e64 v3, v63, v3, s[4:5]
	v_or_b32_e32 v33, 0x400000, v4
	v_cmp_u_f32_e64 s[4:5], v4, v4
	v_mul_f32_e32 v4, s39, v29
	v_bfe_u32 v29, v4, 16, 1
	v_cndmask_b32_e64 v26, v26, v33, s[4:5]
	v_add3_u32 v29, v29, v4, s44
	v_or_b32_e32 v33, 0x400000, v4
	v_cmp_u_f32_e64 s[4:5], v4, v4
	v_and_b32_e32 v4, 0xffff0000, v24
	buffer_load_dword v24, off, s[48:51], 0 offset:56 ; 4-byte Folded Reload
	v_cndmask_b32_e64 v29, v29, v33, s[4:5]
	v_and_b32_e32 v3, 0xffff0000, v3
	s_waitcnt vmcnt(0)
	v_mul_f32_e32 v33, v24, v4
	buffer_load_dword v4, off, s[48:51], 0 offset:40 ; 4-byte Folded Reload
	s_waitcnt vmcnt(0)
	v_fmac_f32_e32 v33, v4, v3
	v_and_b32_e32 v3, 0xffff0000, v22
	buffer_load_dword v22, off, s[48:51], 0 offset:60 ; 4-byte Folded Reload
	v_and_b32_e32 v4, 0xffff0000, v34
	s_waitcnt vmcnt(0)
	v_mul_f32_e32 v34, v22, v4
	buffer_load_dword v4, off, s[48:51], 0 offset:44 ; 4-byte Folded Reload
	buffer_load_dword v22, off, s[48:51], 0 offset:64 ; 4-byte Folded Reload
	s_waitcnt vmcnt(1)
	v_fmac_f32_e32 v34, v4, v3
	v_and_b32_e32 v4, 0xffff0000, v35
	s_waitcnt vmcnt(0)
	v_mul_f32_e32 v35, v22, v4
	buffer_load_dword v4, off, s[48:51], 0 offset:48 ; 4-byte Folded Reload
	v_and_b32_e32 v3, 0xffff0000, v23
	s_waitcnt vmcnt(0)
	v_fmac_f32_e32 v35, v4, v3
	v_and_b32_e32 v3, 0xffff0000, v21
	buffer_load_dword v21, off, s[48:51], 0 offset:68 ; 4-byte Folded Reload
	v_and_b32_e32 v4, 0xffff0000, v36
	s_waitcnt vmcnt(0)
	v_mul_f32_e32 v36, v21, v4
	buffer_load_dword v4, off, s[48:51], 0 offset:52 ; 4-byte Folded Reload
	s_waitcnt vmcnt(0)
	v_fmac_f32_e32 v36, v4, v3
	buffer_load_dword v4, off, s[48:51], 0 offset:72 ; 4-byte Folded Reload
	v_and_b32_e32 v3, 0xffff0000, v57
	s_waitcnt vmcnt(0)
	v_fmac_f32_e32 v33, v4, v3
	buffer_load_dword v4, off, s[48:51], 0 offset:76 ; 4-byte Folded Reload
	v_and_b32_e32 v3, 0xffff0000, v51
	;; [unrolled: 4-line block ×32, first 2 shown]
	s_waitcnt vmcnt(0)
	v_fmac_f32_e32 v36, v4, v3
	buffer_load_dword v3, off, s[48:51], 0 offset:204 ; 4-byte Folded Reload
	s_waitcnt vmcnt(0)
	v_fmac_f32_e32 v33, v3, v0
	buffer_load_dword v3, off, s[48:51], 0 offset:208 ; 4-byte Folded Reload
	v_and_b32_e32 v0, 0xffff0000, v12
	s_waitcnt vmcnt(0)
	v_fmac_f32_e32 v34, v3, v0
	buffer_load_dword v3, off, s[48:51], 0 offset:212 ; 4-byte Folded Reload
	v_and_b32_e32 v0, 0xffff0000, v13
	s_waitcnt vmcnt(0)
	v_fmac_f32_e32 v35, v3, v0
	buffer_load_dword v3, off, s[48:51], 0 offset:216 ; 4-byte Folded Reload
	v_and_b32_e32 v0, 0xffff0000, v14
	s_waitcnt vmcnt(0)
	v_fmac_f32_e32 v36, v3, v0
	buffer_load_dword v3, off, s[48:51], 0 offset:220 ; 4-byte Folded Reload
	v_and_b32_e32 v0, 0xffff0000, v15
	s_waitcnt vmcnt(0)
	v_fmac_f32_e32 v33, v3, v0
	buffer_load_dword v3, off, s[48:51], 0 offset:224 ; 4-byte Folded Reload
	v_and_b32_e32 v0, 0xffff0000, v16
	s_waitcnt vmcnt(0)
	v_fmac_f32_e32 v34, v3, v0
	buffer_load_dword v3, off, s[48:51], 0 offset:228 ; 4-byte Folded Reload
	v_and_b32_e32 v0, 0xffff0000, v17
	s_waitcnt vmcnt(0)
	v_fmac_f32_e32 v35, v3, v0
	buffer_load_dword v3, off, s[48:51], 0 offset:232 ; 4-byte Folded Reload
	v_and_b32_e32 v0, 0xffff0000, v18
	s_waitcnt vmcnt(0)
	v_fmac_f32_e32 v36, v3, v0
	buffer_load_dword v3, off, s[48:51], 0 offset:236 ; 4-byte Folded Reload
	v_and_b32_e32 v0, 0xffff0000, v19
	s_waitcnt vmcnt(0)
	v_fmac_f32_e32 v33, v3, v0
	v_and_b32_e32 v0, 0xffff0000, v1
	buffer_load_dword v1, off, s[48:51], 0 offset:240 ; 4-byte Folded Reload
	s_waitcnt vmcnt(0)
	v_fmac_f32_e32 v34, v1, v0
	buffer_load_dword v1, off, s[48:51], 0 offset:244 ; 4-byte Folded Reload
	v_and_b32_e32 v0, 0xffff0000, v2
	s_waitcnt vmcnt(0)
	v_fmac_f32_e32 v35, v1, v0
	buffer_load_dword v1, off, s[48:51], 0 offset:252 ; 4-byte Folded Reload
	v_and_b32_e32 v0, 0xffff0000, v28
	;; [unrolled: 4-line block ×10, first 2 shown]
	s_waitcnt vmcnt(0)
	v_fmac_f32_e32 v36, v1, v0
	buffer_load_dword v1, off, s[48:51], 0 offset:248 ; 4-byte Folded Reload
	v_add_f32_e32 v0, v33, v34
	v_add_f32_e32 v0, v0, v35
	;; [unrolled: 1-line block ×3, first 2 shown]
	s_waitcnt vmcnt(0)
	ds_bpermute_b32 v1, v1, v0
	s_mov_b64 s[16:17], exec
	buffer_load_dword v5, off, s[48:51], 0 offset:24 ; 4-byte Folded Reload
	s_and_b64 s[4:5], s[16:17], vcc
	s_mov_b64 exec, s[4:5]
	s_cbranch_execz .LBB325_8
; %bb.370:                              ;   in Loop: Header=BB325_9 Depth=1
	buffer_load_dword v4, off, s[48:51], 0 offset:8 ; 4-byte Folded Reload
	buffer_load_dword v3, off, s[48:51], 0 offset:36 ; 4-byte Folded Reload
	s_waitcnt lgkmcnt(0)
	v_add_f32_e32 v0, v0, v1
	s_waitcnt vmcnt(1)
	v_add_u32_e32 v2, s40, v4
	v_cmp_gt_i32_e64 s[4:5], s30, v4
	buffer_load_dword v4, off, s[48:51], 0 offset:12 ; 4-byte Folded Reload
	v_cvt_f32_i32_e32 v2, v2
	s_waitcnt vmcnt(1)
	v_max_f32_e32 v1, v3, v3
	v_mul_f32_e32 v2, s33, v2
	v_cndmask_b32_e64 v2, 0, v2, s[2:3]
	v_fmac_f32_e32 v2, s31, v0
	v_cndmask_b32_e64 v0, 0, v2, s[4:5]
	s_waitcnt vmcnt(0)
	ds_write_b32 v4, v0
	v_max_f32_e32 v0, v1, v2
	v_cndmask_b32_e64 v3, v3, v0, s[4:5]
	buffer_store_dword v3, off, s[48:51], 0 offset:36 ; 4-byte Folded Spill
	s_branch .LBB325_8
.LBB325_371:
	s_or_b64 exec, exec, s[14:15]
	buffer_load_dword v12, off, s[48:51], 0 offset:296 ; 4-byte Folded Reload
	buffer_load_dword v9, off, s[48:51], 0 offset:308 ; 4-byte Folded Reload
	;; [unrolled: 1-line block ×4, first 2 shown]
.LBB325_372:
	s_or_b64 exec, exec, s[6:7]
	buffer_load_dword v2, off, s[48:51], 0 offset:36 ; 4-byte Folded Reload
	s_waitcnt vmcnt(3)
	v_xor_b32_e32 v0, 32, v9
	s_waitcnt vmcnt(1)
	v_cmp_lt_i32_e32 vcc, v0, v11
	v_cndmask_b32_e32 v0, v9, v0, vcc
	v_lshlrev_b32_e32 v1, 2, v0
	v_xor_b32_e32 v3, 16, v9
	v_cmp_lt_i32_e32 vcc, v3, v11
	v_xor_b32_e32 v4, 8, v9
	v_xor_b32_e32 v5, 4, v9
	;; [unrolled: 1-line block ×3, first 2 shown]
	s_waitcnt vmcnt(0)
	ds_bpermute_b32 v0, v1, v2
	v_max_f32_e32 v2, v2, v2
	s_waitcnt lgkmcnt(0)
	v_max_f32_e32 v0, v0, v0
	v_max_f32_e32 v0, v2, v0
	v_cndmask_b32_e32 v2, v9, v3, vcc
	v_lshlrev_b32_e32 v2, 2, v2
	ds_bpermute_b32 v3, v2, v0
	v_cmp_lt_i32_e32 vcc, v4, v11
	s_waitcnt lgkmcnt(0)
	v_max_f32_e32 v3, v3, v3
	v_max_f32_e32 v0, v0, v3
	v_cndmask_b32_e32 v3, v9, v4, vcc
	v_lshlrev_b32_e32 v3, 2, v3
	ds_bpermute_b32 v4, v3, v0
	v_cmp_lt_i32_e32 vcc, v5, v11
	;; [unrolled: 7-line block ×3, first 2 shown]
	s_waitcnt lgkmcnt(0)
	v_max_f32_e32 v5, v5, v5
	v_max_f32_e32 v6, v0, v5
	buffer_load_dword v5, off, s[48:51], 0  ; 4-byte Folded Reload
	v_cndmask_b32_e32 v0, v9, v7, vcc
	v_lshlrev_b32_e32 v13, 2, v0
	ds_bpermute_b32 v7, v13, v6
	v_and_b32_e32 v0, 63, v12
	v_cmp_eq_u32_e32 vcc, 0, v0
	s_waitcnt vmcnt(0)
	v_lshlrev_b32_e32 v5, 2, v5
	s_and_saveexec_b64 s[2:3], vcc
	s_cbranch_execz .LBB325_374
; %bb.373:
	s_waitcnt lgkmcnt(0)
	v_max_f32_e32 v7, v7, v7
	v_max_f32_e32 v6, v6, v6
	;; [unrolled: 1-line block ×3, first 2 shown]
	ds_write_b32 v5, v6 offset:240
.LBB325_374:
	s_or_b64 exec, exec, s[2:3]
	v_cmp_gt_u32_e64 s[2:3], 2, v0
	s_waitcnt lgkmcnt(0)
	v_mov_b32_e32 v7, 0xff7fffff
	v_lshlrev_b32_e32 v6, 2, v0
	s_barrier
	s_and_saveexec_b64 s[4:5], s[2:3]
; %bb.375:
	ds_read_b32 v7, v6 offset:240
; %bb.376:
	s_or_b64 exec, exec, s[4:5]
	v_xor_b32_e32 v8, 1, v9
	v_cmp_lt_i32_e64 s[4:5], v8, v11
	v_cndmask_b32_e64 v8, v9, v8, s[4:5]
	v_lshlrev_b32_e32 v14, 2, v8
	s_waitcnt lgkmcnt(0)
	ds_bpermute_b32 v8, v14, v7
	v_max_f32_e32 v7, v7, v7
	s_lshl_b32 s4, s21, 5
	s_min_i32 s31, s4, s30
	v_cmp_gt_i32_e64 s[4:5], s31, v12
	s_waitcnt lgkmcnt(0)
	v_max_f32_e32 v8, v8, v8
	v_max_f32_e32 v7, v7, v8
	v_lshlrev_b32_e32 v8, 2, v10
	ds_bpermute_b32 v8, v8, v7
	v_mov_b32_e32 v7, 0
	s_and_saveexec_b64 s[14:15], s[4:5]
	s_cbranch_execz .LBB325_380
; %bb.377:
	v_mov_b32_e32 v7, 0x100
	v_mov_b32_e32 v15, v9
	v_lshl_add_u32 v9, v12, 2, v7
	v_mov_b32_e32 v7, 0
	s_mov_b64 s[16:17], 0
	v_mov_b32_e32 v10, v12
.LBB325_378:                            ; =>This Inner Loop Header: Depth=1
	ds_read_b32 v11, v9
	v_add_u32_e32 v10, 0x80, v10
	v_cmp_le_i32_e64 s[6:7], s31, v10
	s_or_b64 s[16:17], s[6:7], s[16:17]
	s_waitcnt lgkmcnt(0)
	v_sub_f32_e32 v11, v11, v8
	v_mul_f32_e32 v11, 0x3fb8aa3b, v11
	v_exp_f32_e32 v11, v11
	ds_write_b32 v9, v11
	v_add_f32_e32 v7, v7, v11
	v_add_u32_e32 v9, 0x200, v9
	s_andn2_b64 exec, exec, s[16:17]
	s_cbranch_execnz .LBB325_378
; %bb.379:
	s_or_b64 exec, exec, s[16:17]
	v_mov_b32_e32 v9, v15
.LBB325_380:
	s_or_b64 exec, exec, s[14:15]
	ds_bpermute_b32 v1, v1, v7
	s_waitcnt lgkmcnt(0)
	v_add_f32_e32 v1, v7, v1
	ds_bpermute_b32 v2, v2, v1
	s_waitcnt lgkmcnt(0)
	v_add_f32_e32 v1, v1, v2
	;; [unrolled: 3-line block ×6, first 2 shown]
	s_and_saveexec_b64 s[6:7], vcc
; %bb.381:
	ds_write_b32 v5, v1 offset:248
; %bb.382:
	s_or_b64 exec, exec, s[6:7]
	s_waitcnt lgkmcnt(0)
	s_barrier
	s_and_saveexec_b64 s[6:7], s[2:3]
; %bb.383:
	ds_read_b32 v1, v6 offset:248
; %bb.384:
	s_or_b64 exec, exec, s[6:7]
	s_waitcnt lgkmcnt(0)
	ds_bpermute_b32 v2, v14, v1
	v_lshlrev_b32_e32 v3, 2, v9
	s_waitcnt lgkmcnt(0)
	v_add_f32_e32 v1, v1, v2
	v_and_b32_e32 v2, 0xffffff00, v3
	ds_bpermute_b32 v1, v2, v1
	s_and_saveexec_b64 s[2:3], s[4:5]
	s_cbranch_execz .LBB325_387
; %bb.385:
	s_waitcnt lgkmcnt(0)
	v_add_f32_e32 v2, 0x358637bd, v1
	v_div_scale_f32 v1, s[4:5], v2, v2, 1.0
	v_div_scale_f32 v3, vcc, 1.0, v2, 1.0
	s_mov_b64 s[4:5], 0
	v_rcp_f32_e32 v4, v1
	v_fma_f32 v5, -v1, v4, 1.0
	v_fmac_f32_e32 v4, v5, v4
	v_mul_f32_e32 v5, v3, v4
	v_fma_f32 v6, -v1, v5, v3
	v_fmac_f32_e32 v5, v6, v4
	v_fma_f32 v1, -v1, v5, v3
	v_div_fmas_f32 v3, v1, v4, v5
	v_mov_b32_e32 v1, 0x100
	v_lshl_add_u32 v1, v12, 2, v1
	v_div_fixup_f32 v2, v3, v2, 1.0
	v_mov_b32_e32 v3, v12
.LBB325_386:                            ; =>This Inner Loop Header: Depth=1
	ds_read_b32 v4, v1
	v_add_u32_e32 v3, 0x80, v3
	v_cmp_le_i32_e32 vcc, s31, v3
	s_or_b64 s[4:5], vcc, s[4:5]
	s_waitcnt lgkmcnt(0)
	v_mul_f32_e32 v4, v2, v4
	ds_write_b32 v1, v4
	v_add_u32_e32 v1, 0x200, v1
	s_andn2_b64 exec, exec, s[4:5]
	s_cbranch_execnz .LBB325_386
.LBB325_387:
	s_or_b64 exec, exec, s[2:3]
	v_lshrrev_b32_e32 v15, 2, v0
	s_waitcnt lgkmcnt(0)
	s_barrier
	s_and_saveexec_b64 s[2:3], s[0:1]
	s_xor_b64 s[0:1], exec, s[2:3]
; %bb.388:
	v_lshrrev_b32_e32 v15, 2, v0
                                        ; implicit-def: $vgpr0
                                        ; kill: killed $vgpr0
                                        ; implicit-def: $vgpr0
                                        ; kill: killed $vgpr0
	;; [unrolled: 2-line block ×3, first 2 shown]
; %bb.389:
	s_or_saveexec_b64 s[4:5], s[0:1]
	v_mov_b32_e32 v33, 0
	v_and_b32_e32 v16, 3, v12
	v_mov_b32_e32 v34, 0
	v_mov_b32_e32 v32, 0
	;; [unrolled: 1-line block ×7, first 2 shown]
	s_xor_b64 exec, exec, s[4:5]
	s_cbranch_execz .LBB325_795
; %bb.390:
	buffer_store_dword v14, off, s[48:51], 0 offset:124 ; 4-byte Folded Spill
	buffer_store_dword v13, off, s[48:51], 0 offset:120 ; 4-byte Folded Spill
	buffer_load_dword v0, off, s[48:51], 0 offset:304 ; 4-byte Folded Reload
	buffer_load_dword v2, off, s[48:51], 0  ; 4-byte Folded Reload
	s_ashr_i32 s0, s12, 31
	s_add_u32 s2, s28, s12
	s_addc_u32 s3, s29, s0
	v_or_b32_e32 v1, 0x70, v15
	s_movk_i32 s0, 0x78
	v_cmp_gt_u32_e32 vcc, s0, v1
	s_add_i32 s28, s21, -1
	s_lshl_b64 s[0:1], s[26:27], 2
	s_load_dword s29, s[18:19], 0x0
	s_add_u32 s0, s24, s0
	s_addc_u32 s1, s25, s1
	s_mov_b32 s6, -1
	s_mov_b32 s31, s13
	s_mov_b32 s7, 0xffffff
	v_mov_b32_e32 v10, 0
	s_mov_b64 s[12:13], 0
	s_movk_i32 s26, 0x80
	s_movk_i32 s27, 0x7f
	s_movk_i32 s33, 0x7fff
	s_mov_b32 s34, 0x7060302
	v_bfrev_b32_e32 v60, 60
	v_mov_b32_e32 v62, 0
	v_mov_b32_e32 v27, 0
	;; [unrolled: 1-line block ×8, first 2 shown]
	buffer_store_dword v15, off, s[48:51], 0 offset:128 ; 4-byte Folded Spill
	buffer_store_dword v16, off, s[48:51], 0 offset:132 ; 4-byte Folded Spill
	s_waitcnt vmcnt(3)
	v_and_b32_e32 v0, 24, v0
	v_lshl_or_b32 v61, v1, 5, v0
	s_waitcnt vmcnt(2)
	v_lshlrev_b32_e32 v1, 5, v2
	v_lshl_or_b32 v63, v15, 5, v0
	v_or3_b32 v37, v1, v0, 7
	v_lshlrev_b32_e32 v0, 5, v16
	v_lshl_or_b32 v0, v2, 7, v0
	v_add_u32_e32 v38, 0x100, v0
	buffer_load_dword v0, off, s[48:51], 0 offset:300 ; 4-byte Folded Reload
	v_mov_b32_e32 v1, s1
	s_waitcnt vmcnt(0)
	v_and_b32_e32 v0, 60, v0
	v_add_co_u32_e64 v11, s[0:1], s0, v0
	v_addc_co_u32_e64 v12, s[0:1], 0, v1, s[0:1]
	v_mov_b32_e32 v0, s2
	v_mov_b32_e32 v1, s3
	buffer_store_dword v0, off, s[48:51], 0 offset:108 ; 4-byte Folded Spill
	s_nop 0
	buffer_store_dword v1, off, s[48:51], 0 offset:112 ; 4-byte Folded Spill
	buffer_store_dword v61, off, s[48:51], 0 offset:116 ; 4-byte Folded Spill
	s_branch .LBB325_393
.LBB325_391:                            ;   in Loop: Header=BB325_393 Depth=1
	s_or_b64 exec, exec, s[2:3]
	v_lshlrev_b32_e32 v9, 16, v7
	v_lshlrev_b32_e32 v56, 16, v56
	v_mul_f32_e32 v9, v9, v56
	v_bfe_u32 v56, v9, 16, 1
	v_add3_u32 v56, v56, v9, s33
	v_or_b32_e32 v57, 0x400000, v9
	v_cmp_u_f32_e64 s[0:1], v9, v9
	v_cndmask_b32_e64 v9, v56, v57, s[0:1]
	v_and_b32_e32 v56, 0xffff0000, v7
	v_lshlrev_b32_e32 v25, 16, v25
	v_mul_f32_e32 v25, v56, v25
	v_bfe_u32 v56, v25, 16, 1
	v_add3_u32 v56, v56, v25, s33
	v_or_b32_e32 v57, 0x400000, v25
	v_cmp_u_f32_e64 s[0:1], v25, v25
	v_cndmask_b32_e64 v25, v56, v57, s[0:1]
	v_lshlrev_b32_e32 v56, 16, v6
	v_lshlrev_b32_e32 v16, 16, v16
	v_mul_f32_e32 v16, v56, v16
	v_bfe_u32 v56, v16, 16, 1
	v_add3_u32 v56, v56, v16, s33
	v_or_b32_e32 v57, 0x400000, v16
	v_cmp_u_f32_e64 s[0:1], v16, v16
	v_cndmask_b32_e64 v16, v56, v57, s[0:1]
	v_and_b32_e32 v56, 0xffff0000, v6
	v_lshlrev_b32_e32 v3, 16, v3
	v_mul_f32_e32 v3, v56, v3
	v_bfe_u32 v56, v3, 16, 1
	v_add3_u32 v56, v56, v3, s33
	v_or_b32_e32 v57, 0x400000, v3
	v_cmp_u_f32_e64 s[0:1], v3, v3
	v_cndmask_b32_e64 v3, v56, v57, s[0:1]
	;; [unrolled: 16-line block ×3, first 2 shown]
	v_lshlrev_b32_e32 v56, 16, v4
	v_lshlrev_b32_e32 v15, 16, v15
	v_mul_f32_e32 v15, v56, v15
	v_bfe_u32 v56, v15, 16, 1
	v_add3_u32 v56, v56, v15, s33
	v_or_b32_e32 v57, 0x400000, v15
	v_cmp_u_f32_e64 s[0:1], v15, v15
	v_cndmask_b32_e64 v15, v56, v57, s[0:1]
	v_and_b32_e32 v56, 0xffff0000, v4
	v_lshlrev_b32_e32 v8, 16, v8
	v_mul_f32_e32 v8, v56, v8
	v_bfe_u32 v56, v8, 16, 1
	v_and_b32_e32 v25, 0xffff0000, v25
	v_and_b32_e32 v9, 0xffff0000, v9
	;; [unrolled: 1-line block ×4, first 2 shown]
	v_add3_u32 v56, v56, v8, s33
	v_or_b32_e32 v57, 0x400000, v8
	v_cmp_u_f32_e64 s[0:1], v8, v8
	v_add_f32_e32 v9, v9, v25
	v_add_f32_e32 v3, v16, v3
	v_and_b32_e32 v1, 0xffff0000, v1
	v_and_b32_e32 v2, 0xffff0000, v2
	v_cndmask_b32_e64 v8, v56, v57, s[0:1]
	v_add_f32_e32 v3, v3, v9
	v_add_f32_e32 v1, v2, v1
	;; [unrolled: 1-line block ×3, first 2 shown]
	v_and_b32_e32 v2, 0xffff0000, v8
	v_and_b32_e32 v3, 0xffff0000, v15
	v_add_f32_e32 v2, v3, v2
	v_add_f32_e32 v1, v2, v1
	;; [unrolled: 1-line block ×3, first 2 shown]
.LBB325_392:                            ;   in Loop: Header=BB325_393 Depth=1
	s_or_b64 exec, exec, s[14:15]
	v_lshlrev_b32_e32 v2, 16, v55
	v_and_b32_e32 v1, 0xffff0000, v7
	v_mul_f32_e32 v2, v1, v2
	v_bfe_u32 v3, v2, 16, 1
	v_add3_u32 v3, v3, v2, s33
	v_or_b32_e32 v8, 0x400000, v2
	v_cmp_u_f32_e64 s[0:1], v2, v2
	v_cndmask_b32_e64 v9, v3, v8, s[0:1]
	v_lshlrev_b32_e32 v2, 16, v7
	v_lshlrev_b32_e32 v3, 16, v54
	v_mul_f32_e32 v3, v2, v3
	v_bfe_u32 v7, v3, 16, 1
	v_add3_u32 v7, v7, v3, s33
	v_or_b32_e32 v8, 0x400000, v3
	v_cmp_u_f32_e64 s[0:1], v3, v3
	v_cndmask_b32_e64 v15, v7, v8, s[0:1]
	v_lshlrev_b32_e32 v7, 16, v53
	v_and_b32_e32 v3, 0xffff0000, v6
	v_mul_f32_e32 v7, v3, v7
	v_bfe_u32 v8, v7, 16, 1
	v_add3_u32 v8, v8, v7, s33
	v_or_b32_e32 v16, 0x400000, v7
	v_cmp_u_f32_e64 s[0:1], v7, v7
	v_lshlrev_b32_e32 v6, 16, v6
	v_lshlrev_b32_e32 v7, 16, v51
	v_mul_f32_e32 v7, v6, v7
	v_cndmask_b32_e64 v16, v8, v16, s[0:1]
	v_bfe_u32 v8, v7, 16, 1
	v_add3_u32 v8, v8, v7, s33
	v_or_b32_e32 v25, 0x400000, v7
	v_cmp_u_f32_e64 s[0:1], v7, v7
	v_cndmask_b32_e64 v25, v8, v25, s[0:1]
	v_lshlrev_b32_e32 v8, 16, v18
	v_and_b32_e32 v7, 0xffff0000, v5
	v_mul_f32_e32 v8, v7, v8
	v_bfe_u32 v18, v8, 16, 1
	v_add3_u32 v18, v18, v8, s33
	v_or_b32_e32 v51, 0x400000, v8
	v_cmp_u_f32_e64 s[0:1], v8, v8
	v_lshlrev_b32_e32 v5, 16, v5
	v_lshlrev_b32_e32 v8, 16, v17
	v_mul_f32_e32 v8, v5, v8
	v_bfe_u32 v17, v8, 16, 1
	v_cndmask_b32_e64 v18, v18, v51, s[0:1]
	v_add3_u32 v17, v17, v8, s33
	v_or_b32_e32 v51, 0x400000, v8
	v_cmp_u_f32_e64 s[0:1], v8, v8
	v_cndmask_b32_e64 v17, v17, v51, s[0:1]
	v_lshlrev_b32_e32 v51, 16, v52
	v_and_b32_e32 v8, 0xffff0000, v4
	v_mul_f32_e32 v51, v8, v51
	v_bfe_u32 v52, v51, 16, 1
	v_lshlrev_b32_e32 v4, 16, v4
	v_lshlrev_b32_e32 v19, 16, v19
	v_and_b32_e32 v15, 0xffff0000, v15
	v_and_b32_e32 v9, 0xffff0000, v9
	v_add3_u32 v52, v52, v51, s33
	v_or_b32_e32 v53, 0x400000, v51
	v_cmp_u_f32_e64 s[0:1], v51, v51
	v_mul_f32_e32 v19, v4, v19
	v_add_f32_e32 v9, v15, v9
	v_and_b32_e32 v15, 0xffff0000, v25
	v_and_b32_e32 v16, 0xffff0000, v16
	v_cndmask_b32_e64 v51, v52, v53, s[0:1]
	v_bfe_u32 v52, v19, 16, 1
	v_add_f32_e32 v15, v15, v16
	v_add3_u32 v52, v52, v19, s33
	v_or_b32_e32 v53, 0x400000, v19
	v_cmp_u_f32_e64 s[0:1], v19, v19
	v_add_f32_e32 v9, v15, v9
	v_and_b32_e32 v15, 0xffff0000, v17
	v_and_b32_e32 v16, 0xffff0000, v18
	v_cndmask_b32_e64 v19, v52, v53, s[0:1]
	v_add_f32_e32 v15, v15, v16
	v_add_f32_e32 v9, v15, v9
	v_and_b32_e32 v15, 0xffff0000, v19
	v_and_b32_e32 v16, 0xffff0000, v51
	v_add_f32_e32 v15, v15, v16
	v_add_f32_e32 v9, v15, v9
	;; [unrolled: 1-line block ×3, first 2 shown]
	v_lshlrev_b32_e32 v9, 16, v50
	v_mul_f32_e32 v9, v1, v9
	v_bfe_u32 v15, v9, 16, 1
	v_add3_u32 v15, v15, v9, s33
	v_or_b32_e32 v16, 0x400000, v9
	v_cmp_u_f32_e64 s[0:1], v9, v9
	v_cndmask_b32_e64 v9, v15, v16, s[0:1]
	v_lshlrev_b32_e32 v15, 16, v49
	buffer_load_dword v0, off, s[48:51], 0 offset:104 ; 4-byte Folded Reload
	v_mul_f32_e32 v15, v2, v15
	v_bfe_u32 v16, v15, 16, 1
	v_add3_u32 v16, v16, v15, s33
	v_or_b32_e32 v17, 0x400000, v15
	v_cmp_u_f32_e64 s[0:1], v15, v15
	v_cndmask_b32_e64 v15, v16, v17, s[0:1]
	v_lshlrev_b32_e32 v16, 16, v39
	v_mul_f32_e32 v16, v3, v16
	v_bfe_u32 v17, v16, 16, 1
	v_add3_u32 v17, v17, v16, s33
	v_or_b32_e32 v18, 0x400000, v16
	v_cmp_u_f32_e64 s[0:1], v16, v16
	v_cndmask_b32_e64 v16, v17, v18, s[0:1]
	v_lshlrev_b32_e32 v17, 16, v47
	;; [unrolled: 7-line block ×6, first 2 shown]
	v_and_b32_e32 v15, 0xffff0000, v15
	v_and_b32_e32 v9, 0xffff0000, v9
	v_mul_f32_e32 v21, v4, v21
	v_add_f32_e32 v9, v15, v9
	v_and_b32_e32 v15, 0xffff0000, v17
	v_and_b32_e32 v16, 0xffff0000, v16
	v_bfe_u32 v25, v21, 16, 1
	v_add_f32_e32 v15, v15, v16
	v_add3_u32 v25, v25, v21, s33
	v_or_b32_e32 v39, 0x400000, v21
	v_cmp_u_f32_e64 s[0:1], v21, v21
	v_add_f32_e32 v9, v15, v9
	v_and_b32_e32 v15, 0xffff0000, v19
	v_and_b32_e32 v16, 0xffff0000, v18
	v_cndmask_b32_e64 v21, v25, v39, s[0:1]
	v_add_f32_e32 v15, v15, v16
	v_add_f32_e32 v9, v15, v9
	v_and_b32_e32 v15, 0xffff0000, v21
	v_and_b32_e32 v16, 0xffff0000, v20
	v_add_f32_e32 v15, v15, v16
	v_add_f32_e32 v9, v15, v9
	v_add_f32_e32 v29, v29, v9
	v_lshlrev_b32_e32 v9, 16, v45
	v_mul_f32_e32 v9, v1, v9
	v_bfe_u32 v15, v9, 16, 1
	v_add3_u32 v15, v15, v9, s33
	v_or_b32_e32 v16, 0x400000, v9
	v_cmp_u_f32_e64 s[0:1], v9, v9
	v_cndmask_b32_e64 v9, v15, v16, s[0:1]
	v_lshlrev_b32_e32 v15, 16, v44
	v_mul_f32_e32 v15, v2, v15
	v_bfe_u32 v16, v15, 16, 1
	v_add3_u32 v16, v16, v15, s33
	v_or_b32_e32 v17, 0x400000, v15
	v_cmp_u_f32_e64 s[0:1], v15, v15
	v_cndmask_b32_e64 v15, v16, v17, s[0:1]
	;; [unrolled: 7-line block ×7, first 2 shown]
	v_lshlrev_b32_e32 v21, 16, v40
	v_and_b32_e32 v15, 0xffff0000, v15
	v_and_b32_e32 v9, 0xffff0000, v9
	v_mul_f32_e32 v21, v4, v21
	v_add_f32_e32 v9, v15, v9
	v_and_b32_e32 v15, 0xffff0000, v17
	v_and_b32_e32 v16, 0xffff0000, v16
	v_bfe_u32 v22, v21, 16, 1
	v_add_f32_e32 v15, v15, v16
	v_add3_u32 v22, v22, v21, s33
	v_or_b32_e32 v25, 0x400000, v21
	v_cmp_u_f32_e64 s[0:1], v21, v21
	v_add_f32_e32 v9, v15, v9
	v_and_b32_e32 v15, 0xffff0000, v19
	v_and_b32_e32 v16, 0xffff0000, v18
	v_cndmask_b32_e64 v21, v22, v25, s[0:1]
	v_add_f32_e32 v15, v15, v16
	v_add_f32_e32 v9, v15, v9
	v_and_b32_e32 v15, 0xffff0000, v21
	v_and_b32_e32 v16, 0xffff0000, v20
	v_add_f32_e32 v15, v15, v16
	v_add_f32_e32 v9, v15, v9
	;; [unrolled: 1-line block ×3, first 2 shown]
	v_lshlrev_b32_e32 v9, 16, v14
	v_mul_f32_e32 v9, v1, v9
	v_bfe_u32 v14, v9, 16, 1
	v_lshlrev_b32_e32 v13, 16, v13
	v_add3_u32 v14, v14, v9, s33
	v_or_b32_e32 v15, 0x400000, v9
	v_cmp_u_f32_e64 s[0:1], v9, v9
	v_mul_f32_e32 v13, v2, v13
	v_cndmask_b32_e64 v9, v14, v15, s[0:1]
	v_bfe_u32 v14, v13, 16, 1
	v_add3_u32 v14, v14, v13, s33
	v_or_b32_e32 v15, 0x400000, v13
	v_cmp_u_f32_e64 s[0:1], v13, v13
	v_cndmask_b32_e64 v13, v14, v15, s[0:1]
	v_lshlrev_b32_e32 v14, 16, v24
	v_mul_f32_e32 v14, v3, v14
	v_bfe_u32 v15, v14, 16, 1
	v_add3_u32 v15, v15, v14, s33
	v_or_b32_e32 v16, 0x400000, v14
	v_cmp_u_f32_e64 s[0:1], v14, v14
	v_cndmask_b32_e64 v14, v15, v16, s[0:1]
	v_lshlrev_b32_e32 v15, 16, v23
	v_mul_f32_e32 v15, v6, v15
	v_bfe_u32 v16, v15, 16, 1
	s_waitcnt vmcnt(0)
	v_lshlrev_b32_e32 v0, 16, v0
	v_add3_u32 v16, v16, v15, s33
	v_or_b32_e32 v17, 0x400000, v15
	v_cmp_u_f32_e64 s[0:1], v15, v15
	v_mul_f32_e32 v0, v7, v0
	v_cndmask_b32_e64 v15, v16, v17, s[0:1]
	v_bfe_u32 v16, v0, 16, 1
	v_add3_u32 v16, v16, v0, s33
	v_or_b32_e32 v17, 0x400000, v0
	v_cmp_u_f32_e64 s[0:1], v0, v0
	v_cndmask_b32_e64 v0, v16, v17, s[0:1]
	buffer_load_dword v16, off, s[48:51], 0 offset:100 ; 4-byte Folded Reload
	v_and_b32_e32 v13, 0xffff0000, v13
	v_and_b32_e32 v9, 0xffff0000, v9
	v_add_f32_e32 v9, v13, v9
	v_and_b32_e32 v13, 0xffff0000, v15
	v_and_b32_e32 v14, 0xffff0000, v14
	v_add_f32_e32 v13, v13, v14
	v_add_f32_e32 v9, v13, v9
	v_and_b32_e32 v0, 0xffff0000, v0
	v_add_u32_e32 v37, 64, v37
	v_add_u32_e32 v38, 0x100, v38
	s_waitcnt vmcnt(0)
	v_lshlrev_b32_e32 v16, 16, v16
	v_mul_f32_e32 v16, v5, v16
	v_bfe_u32 v17, v16, 16, 1
	v_add3_u32 v17, v17, v16, s33
	v_or_b32_e32 v18, 0x400000, v16
	v_cmp_u_f32_e64 s[0:1], v16, v16
	v_cndmask_b32_e64 v16, v17, v18, s[0:1]
	v_lshlrev_b32_e32 v17, 16, v35
	v_mul_f32_e32 v17, v8, v17
	v_bfe_u32 v18, v17, 16, 1
	v_add3_u32 v18, v18, v17, s33
	v_or_b32_e32 v19, 0x400000, v17
	v_cmp_u_f32_e64 s[0:1], v17, v17
	v_cndmask_b32_e64 v17, v18, v19, s[0:1]
	v_lshlrev_b32_e32 v18, 16, v36
	v_mul_f32_e32 v18, v4, v18
	v_bfe_u32 v19, v18, 16, 1
	v_add3_u32 v19, v19, v18, s33
	v_or_b32_e32 v20, 0x400000, v18
	v_cmp_u_f32_e64 s[0:1], v18, v18
	v_and_b32_e32 v13, 0xffff0000, v16
	v_cndmask_b32_e64 v18, v19, v20, s[0:1]
	v_add_f32_e32 v0, v13, v0
	v_add_f32_e32 v0, v0, v9
	v_and_b32_e32 v9, 0xffff0000, v18
	v_and_b32_e32 v13, 0xffff0000, v17
	v_add_f32_e32 v9, v9, v13
	v_add_f32_e32 v0, v9, v0
	;; [unrolled: 1-line block ×3, first 2 shown]
	buffer_load_dword v0, off, s[48:51], 0 offset:92 ; 4-byte Folded Reload
	s_waitcnt vmcnt(0)
	v_lshlrev_b32_e32 v0, 16, v0
	v_mul_f32_e32 v0, v1, v0
	v_bfe_u32 v9, v0, 16, 1
	v_add3_u32 v9, v9, v0, s33
	v_or_b32_e32 v13, 0x400000, v0
	v_cmp_u_f32_e64 s[0:1], v0, v0
	v_cndmask_b32_e64 v0, v9, v13, s[0:1]
	buffer_load_dword v9, off, s[48:51], 0 offset:96 ; 4-byte Folded Reload
	v_and_b32_e32 v0, 0xffff0000, v0
	s_waitcnt vmcnt(0)
	v_lshlrev_b32_e32 v9, 16, v9
	v_mul_f32_e32 v9, v2, v9
	v_bfe_u32 v13, v9, 16, 1
	v_add3_u32 v13, v13, v9, s33
	v_or_b32_e32 v14, 0x400000, v9
	v_cmp_u_f32_e64 s[0:1], v9, v9
	v_cndmask_b32_e64 v9, v13, v14, s[0:1]
	buffer_load_dword v13, off, s[48:51], 0 offset:80 ; 4-byte Folded Reload
	v_and_b32_e32 v9, 0xffff0000, v9
	v_add_f32_e32 v0, v9, v0
	s_waitcnt vmcnt(0)
	v_lshlrev_b32_e32 v13, 16, v13
	v_mul_f32_e32 v13, v3, v13
	v_bfe_u32 v14, v13, 16, 1
	v_add3_u32 v14, v14, v13, s33
	v_or_b32_e32 v15, 0x400000, v13
	v_cmp_u_f32_e64 s[0:1], v13, v13
	v_cndmask_b32_e64 v13, v14, v15, s[0:1]
	buffer_load_dword v14, off, s[48:51], 0 offset:84 ; 4-byte Folded Reload
	v_and_b32_e32 v13, 0xffff0000, v13
	s_waitcnt vmcnt(0)
	v_lshlrev_b32_e32 v14, 16, v14
	v_mul_f32_e32 v14, v6, v14
	v_bfe_u32 v15, v14, 16, 1
	v_add3_u32 v15, v15, v14, s33
	v_or_b32_e32 v16, 0x400000, v14
	v_cmp_u_f32_e64 s[0:1], v14, v14
	v_cndmask_b32_e64 v14, v15, v16, s[0:1]
	buffer_load_dword v15, off, s[48:51], 0 offset:68 ; 4-byte Folded Reload
	v_and_b32_e32 v9, 0xffff0000, v14
	v_add_f32_e32 v9, v9, v13
	v_add_f32_e32 v0, v9, v0
	s_waitcnt vmcnt(0)
	v_lshlrev_b32_e32 v15, 16, v15
	v_mul_f32_e32 v15, v7, v15
	v_bfe_u32 v16, v15, 16, 1
	v_add3_u32 v16, v16, v15, s33
	v_or_b32_e32 v17, 0x400000, v15
	v_cmp_u_f32_e64 s[0:1], v15, v15
	v_cndmask_b32_e64 v15, v16, v17, s[0:1]
	buffer_load_dword v16, off, s[48:51], 0 offset:72 ; 4-byte Folded Reload
	v_and_b32_e32 v13, 0xffff0000, v15
	s_waitcnt vmcnt(0)
	v_lshlrev_b32_e32 v16, 16, v16
	v_mul_f32_e32 v16, v5, v16
	v_bfe_u32 v17, v16, 16, 1
	v_add3_u32 v17, v17, v16, s33
	v_or_b32_e32 v18, 0x400000, v16
	v_cmp_u_f32_e64 s[0:1], v16, v16
	v_cndmask_b32_e64 v16, v17, v18, s[0:1]
	buffer_load_dword v17, off, s[48:51], 0 offset:88 ; 4-byte Folded Reload
	v_and_b32_e32 v9, 0xffff0000, v16
	v_add_f32_e32 v9, v9, v13
	v_add_f32_e32 v0, v9, v0
	s_waitcnt vmcnt(0)
	v_lshlrev_b32_e32 v17, 16, v17
	v_mul_f32_e32 v17, v8, v17
	v_bfe_u32 v18, v17, 16, 1
	v_add3_u32 v18, v18, v17, s33
	v_or_b32_e32 v19, 0x400000, v17
	v_cmp_u_f32_e64 s[0:1], v17, v17
	v_cndmask_b32_e64 v17, v18, v19, s[0:1]
	buffer_load_dword v18, off, s[48:51], 0 offset:76 ; 4-byte Folded Reload
	v_and_b32_e32 v13, 0xffff0000, v17
	s_waitcnt vmcnt(0)
	v_lshlrev_b32_e32 v18, 16, v18
	v_mul_f32_e32 v18, v4, v18
	v_bfe_u32 v19, v18, 16, 1
	v_add3_u32 v19, v19, v18, s33
	v_or_b32_e32 v20, 0x400000, v18
	v_cmp_u_f32_e64 s[0:1], v18, v18
	v_cndmask_b32_e64 v18, v19, v20, s[0:1]
	v_and_b32_e32 v9, 0xffff0000, v18
	v_add_f32_e32 v9, v9, v13
	v_add_f32_e32 v0, v9, v0
	;; [unrolled: 1-line block ×3, first 2 shown]
	buffer_load_dword v0, off, s[48:51], 0 offset:60 ; 4-byte Folded Reload
	s_waitcnt vmcnt(0)
	v_lshlrev_b32_e32 v0, 16, v0
	v_mul_f32_e32 v0, v1, v0
	v_bfe_u32 v9, v0, 16, 1
	v_add3_u32 v9, v9, v0, s33
	v_or_b32_e32 v13, 0x400000, v0
	v_cmp_u_f32_e64 s[0:1], v0, v0
	v_cndmask_b32_e64 v0, v9, v13, s[0:1]
	buffer_load_dword v9, off, s[48:51], 0 offset:64 ; 4-byte Folded Reload
	v_and_b32_e32 v0, 0xffff0000, v0
	s_waitcnt vmcnt(0)
	v_lshlrev_b32_e32 v9, 16, v9
	v_mul_f32_e32 v9, v2, v9
	v_bfe_u32 v13, v9, 16, 1
	v_add3_u32 v13, v13, v9, s33
	v_or_b32_e32 v14, 0x400000, v9
	v_cmp_u_f32_e64 s[0:1], v9, v9
	v_cndmask_b32_e64 v9, v13, v14, s[0:1]
	buffer_load_dword v13, off, s[48:51], 0 offset:48 ; 4-byte Folded Reload
	v_and_b32_e32 v9, 0xffff0000, v9
	v_add_f32_e32 v0, v9, v0
	s_waitcnt vmcnt(0)
	v_lshlrev_b32_e32 v13, 16, v13
	v_mul_f32_e32 v13, v3, v13
	v_bfe_u32 v14, v13, 16, 1
	v_add3_u32 v14, v14, v13, s33
	v_or_b32_e32 v15, 0x400000, v13
	v_cmp_u_f32_e64 s[0:1], v13, v13
	v_cndmask_b32_e64 v13, v14, v15, s[0:1]
	buffer_load_dword v14, off, s[48:51], 0 offset:52 ; 4-byte Folded Reload
	v_and_b32_e32 v13, 0xffff0000, v13
	s_waitcnt vmcnt(0)
	v_lshlrev_b32_e32 v14, 16, v14
	v_mul_f32_e32 v14, v6, v14
	v_bfe_u32 v15, v14, 16, 1
	v_add3_u32 v15, v15, v14, s33
	v_or_b32_e32 v16, 0x400000, v14
	v_cmp_u_f32_e64 s[0:1], v14, v14
	v_cndmask_b32_e64 v14, v15, v16, s[0:1]
	buffer_load_dword v15, off, s[48:51], 0 offset:36 ; 4-byte Folded Reload
	v_and_b32_e32 v9, 0xffff0000, v14
	v_add_f32_e32 v9, v9, v13
	v_add_f32_e32 v0, v9, v0
	s_waitcnt vmcnt(0)
	v_lshlrev_b32_e32 v15, 16, v15
	v_mul_f32_e32 v15, v7, v15
	v_bfe_u32 v16, v15, 16, 1
	v_add3_u32 v16, v16, v15, s33
	v_or_b32_e32 v17, 0x400000, v15
	v_cmp_u_f32_e64 s[0:1], v15, v15
	v_cndmask_b32_e64 v15, v16, v17, s[0:1]
	buffer_load_dword v16, off, s[48:51], 0 offset:40 ; 4-byte Folded Reload
	v_and_b32_e32 v13, 0xffff0000, v15
	s_waitcnt vmcnt(0)
	v_lshlrev_b32_e32 v16, 16, v16
	v_mul_f32_e32 v16, v5, v16
	v_bfe_u32 v17, v16, 16, 1
	v_add3_u32 v17, v17, v16, s33
	v_or_b32_e32 v18, 0x400000, v16
	v_cmp_u_f32_e64 s[0:1], v16, v16
	v_cndmask_b32_e64 v16, v17, v18, s[0:1]
	buffer_load_dword v17, off, s[48:51], 0 offset:56 ; 4-byte Folded Reload
	v_and_b32_e32 v9, 0xffff0000, v16
	v_add_f32_e32 v9, v9, v13
	v_add_f32_e32 v0, v9, v0
	s_waitcnt vmcnt(0)
	v_lshlrev_b32_e32 v17, 16, v17
	v_mul_f32_e32 v17, v8, v17
	v_bfe_u32 v18, v17, 16, 1
	v_add3_u32 v18, v18, v17, s33
	v_or_b32_e32 v19, 0x400000, v17
	v_cmp_u_f32_e64 s[0:1], v17, v17
	v_cndmask_b32_e64 v17, v18, v19, s[0:1]
	buffer_load_dword v18, off, s[48:51], 0 offset:44 ; 4-byte Folded Reload
	v_and_b32_e32 v13, 0xffff0000, v17
	s_waitcnt vmcnt(0)
	v_lshlrev_b32_e32 v18, 16, v18
	v_mul_f32_e32 v18, v4, v18
	v_bfe_u32 v19, v18, 16, 1
	v_add3_u32 v19, v19, v18, s33
	v_or_b32_e32 v20, 0x400000, v18
	v_cmp_u_f32_e64 s[0:1], v18, v18
	v_cndmask_b32_e64 v18, v19, v20, s[0:1]
	v_and_b32_e32 v9, 0xffff0000, v18
	v_add_f32_e32 v9, v9, v13
	v_add_f32_e32 v0, v9, v0
	;; [unrolled: 1-line block ×3, first 2 shown]
	buffer_load_dword v0, off, s[48:51], 0 offset:28 ; 4-byte Folded Reload
	s_waitcnt vmcnt(0)
	v_lshlrev_b32_e32 v0, 16, v0
	v_mul_f32_e32 v0, v1, v0
	v_bfe_u32 v1, v0, 16, 1
	v_add3_u32 v1, v1, v0, s33
	v_or_b32_e32 v9, 0x400000, v0
	v_cmp_u_f32_e64 s[0:1], v0, v0
	v_cndmask_b32_e64 v0, v1, v9, s[0:1]
	buffer_load_dword v1, off, s[48:51], 0 offset:32 ; 4-byte Folded Reload
	v_and_b32_e32 v0, 0xffff0000, v0
	s_waitcnt vmcnt(0)
	v_lshlrev_b32_e32 v1, 16, v1
	v_mul_f32_e32 v1, v2, v1
	v_bfe_u32 v2, v1, 16, 1
	v_add3_u32 v2, v2, v1, s33
	v_or_b32_e32 v9, 0x400000, v1
	v_cmp_u_f32_e64 s[0:1], v1, v1
	v_cndmask_b32_e64 v1, v2, v9, s[0:1]
	buffer_load_dword v2, off, s[48:51], 0 offset:12 ; 4-byte Folded Reload
	v_and_b32_e32 v1, 0xffff0000, v1
	v_add_f32_e32 v0, v1, v0
	s_waitcnt vmcnt(0)
	v_lshlrev_b32_e32 v2, 16, v2
	v_mul_f32_e32 v2, v3, v2
	v_bfe_u32 v3, v2, 16, 1
	v_add3_u32 v3, v3, v2, s33
	v_or_b32_e32 v9, 0x400000, v2
	v_cmp_u_f32_e64 s[0:1], v2, v2
	v_cndmask_b32_e64 v2, v3, v9, s[0:1]
	buffer_load_dword v3, off, s[48:51], 0 offset:16 ; 4-byte Folded Reload
	v_and_b32_e32 v2, 0xffff0000, v2
	s_waitcnt vmcnt(0)
	v_lshlrev_b32_e32 v3, 16, v3
	v_mul_f32_e32 v3, v6, v3
	v_bfe_u32 v6, v3, 16, 1
	v_add3_u32 v6, v6, v3, s33
	v_or_b32_e32 v9, 0x400000, v3
	v_cmp_u_f32_e64 s[0:1], v3, v3
	v_cndmask_b32_e64 v3, v6, v9, s[0:1]
	v_lshlrev_b32_e32 v6, 16, v59
	v_mul_f32_e32 v6, v7, v6
	v_bfe_u32 v7, v6, 16, 1
	v_add3_u32 v7, v7, v6, s33
	v_or_b32_e32 v9, 0x400000, v6
	v_cmp_u_f32_e64 s[0:1], v6, v6
	v_cndmask_b32_e64 v6, v7, v9, s[0:1]
	buffer_load_dword v7, off, s[48:51], 0 offset:4 ; 4-byte Folded Reload
	v_and_b32_e32 v1, 0xffff0000, v3
	v_add_f32_e32 v1, v1, v2
	v_add_f32_e32 v0, v1, v0
	v_and_b32_e32 v2, 0xffff0000, v6
	s_waitcnt vmcnt(0)
	v_lshlrev_b32_e32 v7, 16, v7
	v_mul_f32_e32 v5, v5, v7
	v_bfe_u32 v7, v5, 16, 1
	v_add3_u32 v7, v7, v5, s33
	v_or_b32_e32 v9, 0x400000, v5
	v_cmp_u_f32_e64 s[0:1], v5, v5
	v_cndmask_b32_e64 v5, v7, v9, s[0:1]
	buffer_load_dword v7, off, s[48:51], 0 offset:24 ; 4-byte Folded Reload
	v_and_b32_e32 v1, 0xffff0000, v5
	v_add_f32_e32 v1, v1, v2
	v_add_f32_e32 v0, v1, v0
	s_waitcnt vmcnt(0)
	v_lshlrev_b32_e32 v7, 16, v7
	v_mul_f32_e32 v7, v8, v7
	v_bfe_u32 v8, v7, 16, 1
	v_add3_u32 v8, v8, v7, s33
	v_or_b32_e32 v9, 0x400000, v7
	v_cmp_u_f32_e64 s[0:1], v7, v7
	v_cndmask_b32_e64 v7, v8, v9, s[0:1]
	buffer_load_dword v8, off, s[48:51], 0 offset:8 ; 4-byte Folded Reload
	v_and_b32_e32 v2, 0xffff0000, v7
	s_waitcnt vmcnt(0)
	v_lshlrev_b32_e32 v8, 16, v8
	v_mul_f32_e32 v4, v4, v8
	v_bfe_u32 v8, v4, 16, 1
	v_add3_u32 v8, v8, v4, s33
	v_or_b32_e32 v9, 0x400000, v4
	v_cmp_u_f32_e64 s[0:1], v4, v4
	v_cndmask_b32_e64 v4, v8, v9, s[0:1]
	v_and_b32_e32 v1, 0xffff0000, v4
	v_add_f32_e32 v1, v1, v2
	v_add_f32_e32 v0, v1, v0
	;; [unrolled: 1-line block ×3, first 2 shown]
	buffer_load_dword v0, off, s[48:51], 0  ; 4-byte Folded Reload
	s_waitcnt vmcnt(0)
	v_add_u32_e32 v0, 2, v0
	v_cmp_le_i32_e64 s[0:1], s21, v0
	s_or_b64 s[12:13], s[0:1], s[12:13]
	v_add_co_u32_e64 v11, s[0:1], 8, v11
	v_addc_co_u32_e64 v12, s[0:1], 0, v12, s[0:1]
	buffer_store_dword v0, off, s[48:51], 0 ; 4-byte Folded Spill
	s_andn2_b64 exec, exec, s[12:13]
	s_cbranch_execz .LBB325_794
.LBB325_393:                            ; =>This Inner Loop Header: Depth=1
	global_load_dword v0, v[11:12], off
	buffer_load_dword v1, off, s[48:51], 0 offset:108 ; 4-byte Folded Reload
	buffer_load_dword v2, off, s[48:51], 0 offset:112 ; 4-byte Folded Reload
	s_waitcnt vmcnt(0)
	v_mad_i64_i32 v[15:16], s[0:1], v0, s31, v[1:2]
	v_mov_b32_e32 v0, 0
	v_add_co_u32_e64 v17, s[0:1], v15, v63
	v_addc_co_u32_e64 v18, s[0:1], 0, v16, s[0:1]
	global_load_dwordx2 v[19:20], v[17:18], off
	ds_read2_b64 v[5:8], v38 offset1:1
	ds_read2_b64 v[1:4], v38 offset0:2 offset1:3
	s_waitcnt vmcnt(0)
	v_cmp_ne_u16_sdwa s[0:1], v19, v10 src0_sel:BYTE_0 src1_sel:DWORD
	s_and_saveexec_b64 s[2:3], s[0:1]
	s_cbranch_execz .LBB325_399
; %bb.394:                              ;   in Loop: Header=BB325_393 Depth=1
	v_cmp_ne_u16_sdwa s[0:1], v19, s26 src0_sel:BYTE_0 src1_sel:DWORD
	v_bfrev_b32_e32 v0, 1
	s_and_saveexec_b64 s[14:15], s[0:1]
	s_cbranch_execz .LBB325_398
; %bb.395:                              ;   in Loop: Header=BB325_393 Depth=1
	v_and_b32_e32 v9, 0x7f, v19
	v_cmp_ne_u32_e64 s[0:1], s27, v9
	v_mov_b32_e32 v0, 0x7f800001
	s_and_saveexec_b64 s[16:17], s[0:1]
	s_cbranch_execz .LBB325_397
; %bb.396:                              ;   in Loop: Header=BB325_393 Depth=1
	v_and_b32_e32 v0, 7, v19
	v_ffbh_u32_e32 v0, v0
	v_min_u32_e32 v0, 32, v0
	v_subrev_u32_e32 v14, 28, v0
	v_cmp_gt_u32_e64 s[0:1], 8, v9
	v_lshrrev_b32_e32 v13, 3, v9
	v_sub_u32_e32 v0, 29, v0
	v_cndmask_b32_e64 v9, 0, v14, s[0:1]
	v_cndmask_b32_e64 v0, v13, v0, s[0:1]
	v_lshlrev_b64 v[13:14], v9, v[19:20]
	v_lshl_add_u32 v0, v0, 23, v60
	v_lshlrev_b32_e32 v9, 20, v13
	v_lshlrev_b32_e32 v13, 24, v19
	v_and_b32_e32 v9, 0x700000, v9
	v_and_b32_e32 v13, 0x80000000, v13
	v_or3_b32 v0, v13, v0, v9
.LBB325_397:                            ;   in Loop: Header=BB325_393 Depth=1
	s_or_b64 exec, exec, s[16:17]
.LBB325_398:                            ;   in Loop: Header=BB325_393 Depth=1
	s_or_b64 exec, exec, s[14:15]
.LBB325_399:                            ;   in Loop: Header=BB325_393 Depth=1
	s_or_b64 exec, exec, s[2:3]
	v_lshrrev_b16_e32 v9, 8, v19
	v_cmp_ne_u16_e64 s[0:1], 0, v9
	v_mov_b32_e32 v14, 0
	v_mov_b32_e32 v13, 0
	s_and_saveexec_b64 s[2:3], s[0:1]
	s_cbranch_execz .LBB325_405
; %bb.400:                              ;   in Loop: Header=BB325_393 Depth=1
	v_cmp_ne_u16_e64 s[0:1], s26, v9
	v_bfrev_b32_e32 v13, 1
	s_and_saveexec_b64 s[14:15], s[0:1]
	s_cbranch_execz .LBB325_404
; %bb.401:                              ;   in Loop: Header=BB325_393 Depth=1
	v_and_b32_e32 v21, 0x7f, v9
	v_cmp_ne_u32_e64 s[0:1], s27, v21
	v_mov_b32_e32 v13, 0x7f800001
	s_and_saveexec_b64 s[16:17], s[0:1]
	s_cbranch_execz .LBB325_403
; %bb.402:                              ;   in Loop: Header=BB325_393 Depth=1
	v_and_b32_e32 v13, 7, v9
	v_ffbh_u32_e32 v22, v13
	v_min_u32_e32 v25, 32, v22
	v_subrev_u32_e32 v22, 28, v25
	v_lshlrev_b64 v[22:23], v22, v[9:10]
	v_lshrrev_b32_e32 v24, 3, v21
	v_sub_u32_e32 v9, 29, v25
	v_and_b32_e32 v22, 7, v22
	v_cmp_gt_u32_e64 s[0:1], 8, v21
	v_cndmask_b32_e64 v9, v24, v9, s[0:1]
	v_cndmask_b32_e64 v13, v13, v22, s[0:1]
	v_lshlrev_b32_e32 v21, 16, v19
	v_lshlrev_b32_e32 v13, 20, v13
	v_and_b32_e32 v21, 0x80000000, v21
	v_lshl_add_u32 v9, v9, 23, v60
	v_or3_b32 v13, v21, v9, v13
.LBB325_403:                            ;   in Loop: Header=BB325_393 Depth=1
	s_or_b64 exec, exec, s[16:17]
.LBB325_404:                            ;   in Loop: Header=BB325_393 Depth=1
	s_or_b64 exec, exec, s[14:15]
.LBB325_405:                            ;   in Loop: Header=BB325_393 Depth=1
	s_or_b64 exec, exec, s[2:3]
	v_lshrrev_b32_e32 v9, 16, v19
	v_cmp_ne_u16_sdwa s[0:1], v9, v10 src0_sel:BYTE_0 src1_sel:DWORD
	s_and_saveexec_b64 s[2:3], s[0:1]
	s_cbranch_execz .LBB325_411
; %bb.406:                              ;   in Loop: Header=BB325_393 Depth=1
	v_cmp_ne_u16_sdwa s[0:1], v9, s26 src0_sel:BYTE_0 src1_sel:DWORD
	v_bfrev_b32_e32 v14, 1
	s_and_saveexec_b64 s[14:15], s[0:1]
	s_cbranch_execz .LBB325_410
; %bb.407:                              ;   in Loop: Header=BB325_393 Depth=1
	v_bfe_u32 v21, v19, 16, 7
	v_cmp_ne_u32_e64 s[0:1], s27, v21
	v_mov_b32_e32 v14, 0x7f800001
	s_and_saveexec_b64 s[16:17], s[0:1]
	s_cbranch_execz .LBB325_409
; %bb.408:                              ;   in Loop: Header=BB325_393 Depth=1
	v_and_b32_e32 v14, 7, v9
	v_ffbh_u32_e32 v22, v14
	v_min_u32_e32 v25, 32, v22
	v_subrev_u32_e32 v22, 28, v25
	v_lshlrev_b64 v[22:23], v22, v[9:10]
	v_lshrrev_b32_e32 v24, 3, v21
	v_sub_u32_e32 v23, 29, v25
	v_and_b32_e32 v22, 7, v22
	v_cmp_gt_u32_e64 s[0:1], 8, v21
	v_cndmask_b32_e64 v21, v24, v23, s[0:1]
	v_cndmask_b32_e64 v14, v14, v22, s[0:1]
	v_lshlrev_b32_e32 v9, 24, v9
	v_lshlrev_b32_e32 v14, 20, v14
	v_and_b32_e32 v9, 0x80000000, v9
	v_lshl_add_u32 v21, v21, 23, v60
	v_or3_b32 v14, v9, v21, v14
.LBB325_409:                            ;   in Loop: Header=BB325_393 Depth=1
	s_or_b64 exec, exec, s[16:17]
.LBB325_410:                            ;   in Loop: Header=BB325_393 Depth=1
	s_or_b64 exec, exec, s[14:15]
.LBB325_411:                            ;   in Loop: Header=BB325_393 Depth=1
	s_or_b64 exec, exec, s[2:3]
	v_cmp_lt_u32_e64 s[0:1], s7, v19
	v_mov_b32_e32 v23, 0
	v_mov_b32_e32 v22, 0
	s_and_saveexec_b64 s[2:3], s[0:1]
	s_cbranch_execz .LBB325_417
; %bb.412:                              ;   in Loop: Header=BB325_393 Depth=1
	v_lshrrev_b32_e32 v9, 24, v19
	v_cmp_ne_u32_e64 s[0:1], s26, v9
	v_bfrev_b32_e32 v22, 1
	s_and_saveexec_b64 s[14:15], s[0:1]
	s_cbranch_execz .LBB325_416
; %bb.413:                              ;   in Loop: Header=BB325_393 Depth=1
	v_bfe_u32 v21, v19, 24, 7
	v_cmp_ne_u32_e64 s[0:1], s27, v21
	v_mov_b32_e32 v22, 0x7f800001
	s_and_saveexec_b64 s[16:17], s[0:1]
	s_cbranch_execz .LBB325_415
; %bb.414:                              ;   in Loop: Header=BB325_393 Depth=1
	v_and_b32_e32 v22, 7, v9
	v_ffbh_u32_e32 v24, v22
	v_min_u32_e32 v28, 32, v24
	v_subrev_u32_e32 v24, 28, v28
	v_lshlrev_b64 v[24:25], v24, v[9:10]
	v_lshrrev_b32_e32 v26, 3, v21
	v_sub_u32_e32 v25, 29, v28
	v_and_b32_e32 v24, 7, v24
	v_cmp_gt_u32_e64 s[0:1], 8, v21
	v_cndmask_b32_e64 v21, v26, v25, s[0:1]
	v_cndmask_b32_e64 v22, v22, v24, s[0:1]
	v_lshlrev_b32_e32 v9, 24, v9
	v_lshlrev_b32_e32 v22, 20, v22
	v_and_b32_e32 v9, 0x80000000, v9
	v_lshl_add_u32 v21, v21, 23, v60
	v_or3_b32 v22, v9, v21, v22
.LBB325_415:                            ;   in Loop: Header=BB325_393 Depth=1
	s_or_b64 exec, exec, s[16:17]
.LBB325_416:                            ;   in Loop: Header=BB325_393 Depth=1
	s_or_b64 exec, exec, s[14:15]
.LBB325_417:                            ;   in Loop: Header=BB325_393 Depth=1
	s_or_b64 exec, exec, s[2:3]
	v_mov_b32_e32 v9, v20
	v_cmp_ne_u16_sdwa s[0:1], v20, v10 src0_sel:BYTE_0 src1_sel:DWORD
	s_and_saveexec_b64 s[2:3], s[0:1]
	s_cbranch_execz .LBB325_423
; %bb.418:                              ;   in Loop: Header=BB325_393 Depth=1
	v_cmp_ne_u16_sdwa s[0:1], v20, s26 src0_sel:BYTE_0 src1_sel:DWORD
	v_bfrev_b32_e32 v23, 1
	s_and_saveexec_b64 s[14:15], s[0:1]
	s_cbranch_execz .LBB325_422
; %bb.419:                              ;   in Loop: Header=BB325_393 Depth=1
	v_and_b32_e32 v21, 0x7f, v20
	v_cmp_ne_u32_e64 s[0:1], s27, v21
	v_mov_b32_e32 v23, 0x7f800001
	s_and_saveexec_b64 s[16:17], s[0:1]
	s_cbranch_execz .LBB325_421
; %bb.420:                              ;   in Loop: Header=BB325_393 Depth=1
	v_and_b32_e32 v23, 7, v20
	v_ffbh_u32_e32 v23, v23
	v_min_u32_e32 v23, 32, v23
	v_lshrrev_b32_e32 v24, 3, v21
	v_subrev_u32_e32 v25, 28, v23
	v_sub_u32_e32 v23, 29, v23
	v_cmp_gt_u32_e64 s[0:1], 8, v21
	v_cndmask_b32_e64 v21, v24, v23, s[0:1]
	v_cndmask_b32_e64 v23, 0, v25, s[0:1]
	v_lshlrev_b64 v[23:24], v23, v[9:10]
	v_lshlrev_b32_e32 v24, 24, v9
	v_lshlrev_b32_e32 v23, 20, v23
	v_and_b32_e32 v23, 0x700000, v23
	v_and_b32_e32 v24, 0x80000000, v24
	v_lshl_add_u32 v21, v21, 23, v60
	v_or3_b32 v23, v24, v21, v23
.LBB325_421:                            ;   in Loop: Header=BB325_393 Depth=1
	s_or_b64 exec, exec, s[16:17]
.LBB325_422:                            ;   in Loop: Header=BB325_393 Depth=1
	s_or_b64 exec, exec, s[14:15]
.LBB325_423:                            ;   in Loop: Header=BB325_393 Depth=1
	s_or_b64 exec, exec, s[2:3]
	v_lshrrev_b16_e32 v21, 8, v9
	v_cmp_ne_u16_e64 s[0:1], 0, v21
	v_mov_b32_e32 v24, 0
	v_mov_b32_e32 v25, 0
	s_and_saveexec_b64 s[2:3], s[0:1]
	s_cbranch_execz .LBB325_429
; %bb.424:                              ;   in Loop: Header=BB325_393 Depth=1
	v_cmp_ne_u16_e64 s[0:1], s26, v21
	v_bfrev_b32_e32 v25, 1
	s_and_saveexec_b64 s[14:15], s[0:1]
	s_cbranch_execz .LBB325_428
; %bb.425:                              ;   in Loop: Header=BB325_393 Depth=1
	v_and_b32_e32 v26, 0x7f, v21
	v_cmp_ne_u32_e64 s[0:1], s27, v26
	v_mov_b32_e32 v25, 0x7f800001
	s_and_saveexec_b64 s[16:17], s[0:1]
	s_cbranch_execz .LBB325_427
; %bb.426:                              ;   in Loop: Header=BB325_393 Depth=1
	v_and_b32_e32 v25, 7, v21
	v_ffbh_u32_e32 v35, v25
	v_min_u32_e32 v39, 32, v35
	v_subrev_u32_e32 v35, 28, v39
	v_lshlrev_b64 v[35:36], v35, v[21:22]
	v_lshrrev_b32_e32 v28, 3, v26
	v_sub_u32_e32 v21, 29, v39
	v_and_b32_e32 v35, 7, v35
	v_cmp_gt_u32_e64 s[0:1], 8, v26
	v_cndmask_b32_e64 v21, v28, v21, s[0:1]
	v_cndmask_b32_e64 v25, v25, v35, s[0:1]
	v_lshlrev_b32_e32 v9, 16, v9
	v_lshlrev_b32_e32 v25, 20, v25
	v_and_b32_e32 v9, 0x80000000, v9
	v_lshl_add_u32 v21, v21, 23, v60
	v_or3_b32 v25, v9, v21, v25
.LBB325_427:                            ;   in Loop: Header=BB325_393 Depth=1
	s_or_b64 exec, exec, s[16:17]
.LBB325_428:                            ;   in Loop: Header=BB325_393 Depth=1
	s_or_b64 exec, exec, s[14:15]
.LBB325_429:                            ;   in Loop: Header=BB325_393 Depth=1
	s_or_b64 exec, exec, s[2:3]
	v_lshrrev_b32_e32 v9, 16, v20
	v_cmp_ne_u16_sdwa s[0:1], v9, v10 src0_sel:BYTE_0 src1_sel:DWORD
	s_and_saveexec_b64 s[2:3], s[0:1]
	s_cbranch_execz .LBB325_435
; %bb.430:                              ;   in Loop: Header=BB325_393 Depth=1
	v_cmp_ne_u16_sdwa s[0:1], v9, s26 src0_sel:BYTE_0 src1_sel:DWORD
	v_bfrev_b32_e32 v24, 1
	s_and_saveexec_b64 s[14:15], s[0:1]
	s_cbranch_execz .LBB325_434
; %bb.431:                              ;   in Loop: Header=BB325_393 Depth=1
	v_bfe_u32 v21, v20, 16, 7
	v_cmp_ne_u32_e64 s[0:1], s27, v21
	v_mov_b32_e32 v24, 0x7f800001
	s_and_saveexec_b64 s[16:17], s[0:1]
	s_cbranch_execz .LBB325_433
; %bb.432:                              ;   in Loop: Header=BB325_393 Depth=1
	v_and_b32_e32 v24, 7, v9
	v_ffbh_u32_e32 v28, v24
	v_min_u32_e32 v28, 32, v28
	v_subrev_u32_e32 v35, 28, v28
	v_lshlrev_b64 v[35:36], v35, v[9:10]
	v_lshrrev_b32_e32 v26, 3, v21
	v_sub_u32_e32 v28, 29, v28
	v_and_b32_e32 v35, 7, v35
	v_cmp_gt_u32_e64 s[0:1], 8, v21
	v_cndmask_b32_e64 v21, v26, v28, s[0:1]
	v_cndmask_b32_e64 v24, v24, v35, s[0:1]
	v_lshlrev_b32_e32 v9, 24, v9
	v_lshlrev_b32_e32 v24, 20, v24
	v_and_b32_e32 v9, 0x80000000, v9
	v_lshl_add_u32 v21, v21, 23, v60
	v_or3_b32 v24, v9, v21, v24
.LBB325_433:                            ;   in Loop: Header=BB325_393 Depth=1
	s_or_b64 exec, exec, s[16:17]
.LBB325_434:                            ;   in Loop: Header=BB325_393 Depth=1
	s_or_b64 exec, exec, s[14:15]
.LBB325_435:                            ;   in Loop: Header=BB325_393 Depth=1
	s_or_b64 exec, exec, s[2:3]
	v_cmp_lt_u64_e64 s[0:1], s[6:7], v[19:20]
	v_mov_b32_e32 v19, 0
	s_and_saveexec_b64 s[2:3], s[0:1]
	s_cbranch_execz .LBB325_441
; %bb.436:                              ;   in Loop: Header=BB325_393 Depth=1
	v_lshrrev_b32_e32 v9, 24, v20
	v_cmp_ne_u32_e64 s[0:1], s26, v9
	v_bfrev_b32_e32 v19, 1
	s_and_saveexec_b64 s[14:15], s[0:1]
	s_cbranch_execz .LBB325_440
; %bb.437:                              ;   in Loop: Header=BB325_393 Depth=1
	v_bfe_u32 v20, v20, 24, 7
	v_cmp_ne_u32_e64 s[0:1], s27, v20
	v_mov_b32_e32 v19, 0x7f800001
	s_and_saveexec_b64 s[16:17], s[0:1]
	s_cbranch_execz .LBB325_439
; %bb.438:                              ;   in Loop: Header=BB325_393 Depth=1
	v_and_b32_e32 v19, 7, v9
	v_ffbh_u32_e32 v26, v19
	v_min_u32_e32 v26, 32, v26
	v_subrev_u32_e32 v28, 28, v26
	v_lshlrev_b64 v[35:36], v28, v[9:10]
	v_lshrrev_b32_e32 v21, 3, v20
	v_sub_u32_e32 v26, 29, v26
	v_and_b32_e32 v28, 7, v35
	v_cmp_gt_u32_e64 s[0:1], 8, v20
	v_cndmask_b32_e64 v20, v21, v26, s[0:1]
	v_cndmask_b32_e64 v19, v19, v28, s[0:1]
	v_lshlrev_b32_e32 v9, 24, v9
	v_lshlrev_b32_e32 v19, 20, v19
	v_and_b32_e32 v9, 0x80000000, v9
	v_lshl_add_u32 v20, v20, 23, v60
	v_or3_b32 v19, v9, v20, v19
.LBB325_439:                            ;   in Loop: Header=BB325_393 Depth=1
	s_or_b64 exec, exec, s[16:17]
.LBB325_440:                            ;   in Loop: Header=BB325_393 Depth=1
	s_or_b64 exec, exec, s[14:15]
.LBB325_441:                            ;   in Loop: Header=BB325_393 Depth=1
	s_or_b64 exec, exec, s[2:3]
	buffer_load_dword v9, off, s[48:51], 0  ; 4-byte Folded Reload
	s_waitcnt lgkmcnt(0)
	v_mul_f32_e32 v0, s29, v0
	v_add_u32_e32 v26, -7, v37
	s_waitcnt vmcnt(0)
	v_cmp_eq_u32_e64 s[0:1], s28, v9
	v_mul_f32_e32 v9, s29, v25
	v_bfe_u32 v20, v9, 16, 1
	v_add3_u32 v20, v20, v9, s33
	v_or_b32_e32 v21, 0x400000, v9
	v_cmp_u_f32_e64 s[2:3], v9, v9
	v_cndmask_b32_e64 v9, v20, v21, s[2:3]
	v_lshrrev_b32_e32 v59, 16, v9
	v_mul_f32_e32 v9, s29, v23
	v_bfe_u32 v20, v9, 16, 1
	v_add3_u32 v20, v20, v9, s33
	v_or_b32_e32 v21, 0x400000, v9
	v_cmp_u_f32_e64 s[2:3], v9, v9
	v_cndmask_b32_e64 v9, v20, v21, s[2:3]
	v_lshrrev_b32_e32 v9, 16, v9
	buffer_store_dword v9, off, s[48:51], 0 offset:4 ; 4-byte Folded Spill
	v_mul_f32_e32 v9, s29, v22
	v_bfe_u32 v20, v9, 16, 1
	v_add3_u32 v20, v20, v9, s33
	v_or_b32_e32 v21, 0x400000, v9
	v_cmp_u_f32_e64 s[2:3], v9, v9
	v_cndmask_b32_e64 v9, v20, v21, s[2:3]
	v_lshrrev_b32_e32 v9, 16, v9
	buffer_store_dword v9, off, s[48:51], 0 offset:12 ; 4-byte Folded Spill
	;; [unrolled: 8-line block ×4, first 2 shown]
	v_bfe_u32 v9, v0, 16, 1
	v_add3_u32 v9, v9, v0, s33
	v_or_b32_e32 v13, 0x400000, v0
	v_cmp_u_f32_e64 s[2:3], v0, v0
	v_cndmask_b32_e64 v0, v9, v13, s[2:3]
	v_lshrrev_b32_e32 v0, 16, v0
	buffer_store_dword v0, off, s[48:51], 0 offset:32 ; 4-byte Folded Spill
	v_mul_f32_e32 v0, s29, v24
	v_bfe_u32 v9, v0, 16, 1
	v_add3_u32 v9, v9, v0, s33
	v_or_b32_e32 v13, 0x400000, v0
	v_cmp_u_f32_e64 s[2:3], v0, v0
	v_cndmask_b32_e64 v0, v9, v13, s[2:3]
	v_lshrrev_b32_e32 v0, 16, v0
	buffer_store_dword v0, off, s[48:51], 0 offset:8 ; 4-byte Folded Spill
	v_mul_f32_e32 v0, s29, v19
	v_bfe_u32 v9, v0, 16, 1
	v_add3_u32 v9, v9, v0, s33
	v_or_b32_e32 v13, 0x400000, v0
	v_cmp_u_f32_e64 s[2:3], v0, v0
	v_cndmask_b32_e64 v0, v9, v13, s[2:3]
	v_lshrrev_b32_e32 v0, 16, v0
	buffer_store_dword v0, off, s[48:51], 0 offset:24 ; 4-byte Folded Spill
	s_and_saveexec_b64 s[14:15], s[0:1]
	s_cbranch_execz .LBB325_443
; %bb.442:                              ;   in Loop: Header=BB325_393 Depth=1
	buffer_load_dword v0, off, s[48:51], 0 offset:32 ; 4-byte Folded Reload
	v_cmp_gt_i32_e64 s[2:3], s30, v26
	s_waitcnt vmcnt(0)
	v_cndmask_b32_e64 v0, 0, v0, s[2:3]
	buffer_store_dword v0, off, s[48:51], 0 offset:32 ; 4-byte Folded Spill
	v_add_u32_e32 v0, -6, v37
	v_cmp_gt_i32_e64 s[2:3], s30, v0
	buffer_load_dword v0, off, s[48:51], 0 offset:28 ; 4-byte Folded Reload
	s_waitcnt vmcnt(0)
	v_cndmask_b32_e64 v0, 0, v0, s[2:3]
	buffer_store_dword v0, off, s[48:51], 0 offset:28 ; 4-byte Folded Spill
	v_add_u32_e32 v0, -5, v37
	v_cmp_gt_i32_e64 s[2:3], s30, v0
	buffer_load_dword v0, off, s[48:51], 0 offset:16 ; 4-byte Folded Reload
	;; [unrolled: 6-line block ×4, first 2 shown]
	s_waitcnt vmcnt(0)
	v_cndmask_b32_e64 v0, 0, v0, s[2:3]
	buffer_store_dword v0, off, s[48:51], 0 offset:4 ; 4-byte Folded Spill
	v_add_u32_e32 v0, -2, v37
	v_cmp_gt_i32_e64 s[2:3], s30, v0
	v_add_u32_e32 v0, -1, v37
	v_cndmask_b32_e64 v59, 0, v59, s[2:3]
	v_cmp_gt_i32_e64 s[2:3], s30, v0
	buffer_load_dword v0, off, s[48:51], 0 offset:8 ; 4-byte Folded Reload
	s_waitcnt vmcnt(0)
	v_cndmask_b32_e64 v0, 0, v0, s[2:3]
	buffer_store_dword v0, off, s[48:51], 0 offset:8 ; 4-byte Folded Spill
	buffer_load_dword v0, off, s[48:51], 0 offset:24 ; 4-byte Folded Reload
	v_cmp_gt_i32_e64 s[2:3], s30, v37
	s_waitcnt vmcnt(0)
	v_cndmask_b32_e64 v0, 0, v0, s[2:3]
	buffer_store_dword v0, off, s[48:51], 0 offset:24 ; 4-byte Folded Spill
.LBB325_443:                            ;   in Loop: Header=BB325_393 Depth=1
	s_or_b64 exec, exec, s[14:15]
	global_load_dwordx2 v[19:20], v[17:18], off offset:512
	v_mov_b32_e32 v13, 0
	v_mov_b32_e32 v0, 0
	s_waitcnt vmcnt(0)
	v_cmp_ne_u16_sdwa s[2:3], v19, v10 src0_sel:BYTE_0 src1_sel:DWORD
	s_and_saveexec_b64 s[14:15], s[2:3]
	s_cbranch_execz .LBB325_449
; %bb.444:                              ;   in Loop: Header=BB325_393 Depth=1
	v_cmp_ne_u16_sdwa s[2:3], v19, s26 src0_sel:BYTE_0 src1_sel:DWORD
	v_bfrev_b32_e32 v0, 1
	s_and_saveexec_b64 s[16:17], s[2:3]
	s_cbranch_execz .LBB325_448
; %bb.445:                              ;   in Loop: Header=BB325_393 Depth=1
	v_and_b32_e32 v9, 0x7f, v19
	v_cmp_ne_u32_e64 s[2:3], s27, v9
	v_mov_b32_e32 v0, 0x7f800001
	s_and_saveexec_b64 s[18:19], s[2:3]
	s_cbranch_execz .LBB325_447
; %bb.446:                              ;   in Loop: Header=BB325_393 Depth=1
	v_and_b32_e32 v0, 7, v19
	v_ffbh_u32_e32 v0, v0
	v_min_u32_e32 v0, 32, v0
	v_subrev_u32_e32 v21, 28, v0
	v_cmp_gt_u32_e64 s[2:3], 8, v9
	v_lshrrev_b32_e32 v14, 3, v9
	v_cndmask_b32_e64 v9, 0, v21, s[2:3]
	v_lshlrev_b64 v[21:22], v9, v[19:20]
	v_sub_u32_e32 v0, 29, v0
	v_cndmask_b32_e64 v0, v14, v0, s[2:3]
	v_lshlrev_b32_e32 v9, 20, v21
	v_lshlrev_b32_e32 v14, 24, v19
	v_and_b32_e32 v9, 0x700000, v9
	v_and_b32_e32 v14, 0x80000000, v14
	v_lshl_add_u32 v0, v0, 23, v60
	v_or3_b32 v0, v14, v0, v9
.LBB325_447:                            ;   in Loop: Header=BB325_393 Depth=1
	s_or_b64 exec, exec, s[18:19]
.LBB325_448:                            ;   in Loop: Header=BB325_393 Depth=1
	s_or_b64 exec, exec, s[16:17]
.LBB325_449:                            ;   in Loop: Header=BB325_393 Depth=1
	s_or_b64 exec, exec, s[14:15]
	v_lshrrev_b16_e32 v9, 8, v19
	v_cmp_ne_u16_e64 s[2:3], 0, v9
	s_and_saveexec_b64 s[14:15], s[2:3]
	s_cbranch_execz .LBB325_455
; %bb.450:                              ;   in Loop: Header=BB325_393 Depth=1
	v_cmp_ne_u16_e64 s[2:3], s26, v9
	v_bfrev_b32_e32 v13, 1
	s_and_saveexec_b64 s[16:17], s[2:3]
	s_cbranch_execz .LBB325_454
; %bb.451:                              ;   in Loop: Header=BB325_393 Depth=1
	v_and_b32_e32 v14, 0x7f, v9
	v_cmp_ne_u32_e64 s[2:3], s27, v14
	v_mov_b32_e32 v13, 0x7f800001
	s_and_saveexec_b64 s[18:19], s[2:3]
	s_cbranch_execz .LBB325_453
; %bb.452:                              ;   in Loop: Header=BB325_393 Depth=1
	v_and_b32_e32 v13, 7, v9
	v_ffbh_u32_e32 v21, v13
	v_min_u32_e32 v24, 32, v21
	v_subrev_u32_e32 v21, 28, v24
	v_lshlrev_b64 v[21:22], v21, v[9:10]
	v_lshrrev_b32_e32 v23, 3, v14
	v_sub_u32_e32 v9, 29, v24
	v_and_b32_e32 v21, 7, v21
	v_cmp_gt_u32_e64 s[2:3], 8, v14
	v_cndmask_b32_e64 v9, v23, v9, s[2:3]
	v_cndmask_b32_e64 v13, v13, v21, s[2:3]
	v_lshlrev_b32_e32 v14, 16, v19
	v_lshlrev_b32_e32 v13, 20, v13
	v_and_b32_e32 v14, 0x80000000, v14
	v_lshl_add_u32 v9, v9, 23, v60
	v_or3_b32 v13, v14, v9, v13
.LBB325_453:                            ;   in Loop: Header=BB325_393 Depth=1
	s_or_b64 exec, exec, s[18:19]
.LBB325_454:                            ;   in Loop: Header=BB325_393 Depth=1
	s_or_b64 exec, exec, s[16:17]
.LBB325_455:                            ;   in Loop: Header=BB325_393 Depth=1
	s_or_b64 exec, exec, s[14:15]
	v_lshrrev_b32_e32 v9, 16, v19
	v_cmp_ne_u16_sdwa s[2:3], v9, v10 src0_sel:BYTE_0 src1_sel:DWORD
	v_mov_b32_e32 v22, 0
	v_mov_b32_e32 v14, 0
	s_and_saveexec_b64 s[14:15], s[2:3]
	s_cbranch_execz .LBB325_461
; %bb.456:                              ;   in Loop: Header=BB325_393 Depth=1
	v_cmp_ne_u16_sdwa s[2:3], v9, s26 src0_sel:BYTE_0 src1_sel:DWORD
	v_bfrev_b32_e32 v14, 1
	s_and_saveexec_b64 s[16:17], s[2:3]
	s_cbranch_execz .LBB325_460
; %bb.457:                              ;   in Loop: Header=BB325_393 Depth=1
	v_bfe_u32 v21, v19, 16, 7
	v_cmp_ne_u32_e64 s[2:3], s27, v21
	v_mov_b32_e32 v14, 0x7f800001
	s_and_saveexec_b64 s[18:19], s[2:3]
	s_cbranch_execz .LBB325_459
; %bb.458:                              ;   in Loop: Header=BB325_393 Depth=1
	v_and_b32_e32 v14, 7, v9
	v_ffbh_u32_e32 v23, v14
	v_min_u32_e32 v26, 32, v23
	v_subrev_u32_e32 v23, 28, v26
	v_lshlrev_b64 v[23:24], v23, v[9:10]
	v_lshrrev_b32_e32 v25, 3, v21
	v_sub_u32_e32 v24, 29, v26
	v_and_b32_e32 v23, 7, v23
	v_cmp_gt_u32_e64 s[2:3], 8, v21
	v_cndmask_b32_e64 v21, v25, v24, s[2:3]
	v_cndmask_b32_e64 v14, v14, v23, s[2:3]
	v_lshlrev_b32_e32 v9, 24, v9
	v_lshlrev_b32_e32 v14, 20, v14
	v_and_b32_e32 v9, 0x80000000, v9
	v_lshl_add_u32 v21, v21, 23, v60
	v_add_u32_e32 v26, -7, v37
	v_or3_b32 v14, v9, v21, v14
.LBB325_459:                            ;   in Loop: Header=BB325_393 Depth=1
	s_or_b64 exec, exec, s[18:19]
.LBB325_460:                            ;   in Loop: Header=BB325_393 Depth=1
	s_or_b64 exec, exec, s[16:17]
.LBB325_461:                            ;   in Loop: Header=BB325_393 Depth=1
	s_or_b64 exec, exec, s[14:15]
	v_cmp_lt_u32_e64 s[2:3], s7, v19
	s_and_saveexec_b64 s[14:15], s[2:3]
	s_cbranch_execz .LBB325_467
; %bb.462:                              ;   in Loop: Header=BB325_393 Depth=1
	v_lshrrev_b32_e32 v9, 24, v19
	v_cmp_ne_u32_e64 s[2:3], s26, v9
	v_bfrev_b32_e32 v22, 1
	s_and_saveexec_b64 s[16:17], s[2:3]
	s_cbranch_execz .LBB325_466
; %bb.463:                              ;   in Loop: Header=BB325_393 Depth=1
	v_bfe_u32 v21, v19, 24, 7
	v_cmp_ne_u32_e64 s[2:3], s27, v21
	v_mov_b32_e32 v22, 0x7f800001
	s_and_saveexec_b64 s[18:19], s[2:3]
	s_cbranch_execz .LBB325_465
; %bb.464:                              ;   in Loop: Header=BB325_393 Depth=1
	v_and_b32_e32 v24, 7, v9
	v_ffbh_u32_e32 v22, v24
	v_min_u32_e32 v26, 32, v22
	v_subrev_u32_e32 v22, 28, v26
	v_lshlrev_b64 v[22:23], v22, v[9:10]
	v_lshrrev_b32_e32 v25, 3, v21
	v_sub_u32_e32 v23, 29, v26
	v_and_b32_e32 v22, 7, v22
	v_cmp_gt_u32_e64 s[2:3], 8, v21
	v_cndmask_b32_e64 v21, v25, v23, s[2:3]
	v_cndmask_b32_e64 v22, v24, v22, s[2:3]
	v_lshlrev_b32_e32 v9, 24, v9
	v_lshlrev_b32_e32 v22, 20, v22
	v_and_b32_e32 v9, 0x80000000, v9
	v_lshl_add_u32 v21, v21, 23, v60
	v_add_u32_e32 v26, -7, v37
	v_or3_b32 v22, v9, v21, v22
.LBB325_465:                            ;   in Loop: Header=BB325_393 Depth=1
	s_or_b64 exec, exec, s[18:19]
.LBB325_466:                            ;   in Loop: Header=BB325_393 Depth=1
	s_or_b64 exec, exec, s[16:17]
.LBB325_467:                            ;   in Loop: Header=BB325_393 Depth=1
	s_or_b64 exec, exec, s[14:15]
	v_mov_b32_e32 v9, v20
	v_cmp_ne_u16_sdwa s[2:3], v20, v10 src0_sel:BYTE_0 src1_sel:DWORD
	v_mov_b32_e32 v24, 0
	v_mov_b32_e32 v23, 0
	s_and_saveexec_b64 s[14:15], s[2:3]
	s_cbranch_execz .LBB325_473
; %bb.468:                              ;   in Loop: Header=BB325_393 Depth=1
	v_cmp_ne_u16_sdwa s[2:3], v20, s26 src0_sel:BYTE_0 src1_sel:DWORD
	v_bfrev_b32_e32 v23, 1
	s_and_saveexec_b64 s[16:17], s[2:3]
	s_cbranch_execz .LBB325_472
; %bb.469:                              ;   in Loop: Header=BB325_393 Depth=1
	v_and_b32_e32 v21, 0x7f, v20
	v_cmp_ne_u32_e64 s[2:3], s27, v21
	v_mov_b32_e32 v23, 0x7f800001
	s_and_saveexec_b64 s[18:19], s[2:3]
	s_cbranch_execz .LBB325_471
; %bb.470:                              ;   in Loop: Header=BB325_393 Depth=1
	v_and_b32_e32 v23, 7, v20
	v_ffbh_u32_e32 v23, v23
	v_min_u32_e32 v23, 32, v23
	v_lshrrev_b32_e32 v25, 3, v21
	v_subrev_u32_e32 v26, 28, v23
	v_sub_u32_e32 v23, 29, v23
	v_cmp_gt_u32_e64 s[2:3], 8, v21
	v_cndmask_b32_e64 v21, v25, v23, s[2:3]
	v_cndmask_b32_e64 v23, 0, v26, s[2:3]
	v_lshlrev_b64 v[25:26], v23, v[9:10]
	v_lshl_add_u32 v21, v21, 23, v60
	v_lshlrev_b32_e32 v23, 20, v25
	v_lshlrev_b32_e32 v25, 24, v9
	v_and_b32_e32 v23, 0x700000, v23
	v_and_b32_e32 v25, 0x80000000, v25
	v_add_u32_e32 v26, -7, v37
	v_or3_b32 v23, v25, v21, v23
.LBB325_471:                            ;   in Loop: Header=BB325_393 Depth=1
	s_or_b64 exec, exec, s[18:19]
.LBB325_472:                            ;   in Loop: Header=BB325_393 Depth=1
	s_or_b64 exec, exec, s[16:17]
.LBB325_473:                            ;   in Loop: Header=BB325_393 Depth=1
	s_or_b64 exec, exec, s[14:15]
	v_lshrrev_b16_e32 v21, 8, v9
	v_cmp_ne_u16_e64 s[2:3], 0, v21
	s_and_saveexec_b64 s[14:15], s[2:3]
	s_cbranch_execz .LBB325_479
; %bb.474:                              ;   in Loop: Header=BB325_393 Depth=1
	v_cmp_ne_u16_e64 s[2:3], s26, v21
	v_bfrev_b32_e32 v24, 1
	s_and_saveexec_b64 s[16:17], s[2:3]
	s_cbranch_execz .LBB325_478
; %bb.475:                              ;   in Loop: Header=BB325_393 Depth=1
	v_and_b32_e32 v25, 0x7f, v21
	v_cmp_ne_u32_e64 s[2:3], s27, v25
	v_mov_b32_e32 v24, 0x7f800001
	s_and_saveexec_b64 s[18:19], s[2:3]
	s_cbranch_execz .LBB325_477
; %bb.476:                              ;   in Loop: Header=BB325_393 Depth=1
	v_and_b32_e32 v24, 7, v21
	v_ffbh_u32_e32 v28, v24
	v_min_u32_e32 v28, 32, v28
	v_subrev_u32_e32 v35, 28, v28
	v_lshlrev_b64 v[35:36], v35, v[21:22]
	v_lshrrev_b32_e32 v26, 3, v25
	v_sub_u32_e32 v21, 29, v28
	v_and_b32_e32 v28, 7, v35
	v_cmp_gt_u32_e64 s[2:3], 8, v25
	v_cndmask_b32_e64 v21, v26, v21, s[2:3]
	v_cndmask_b32_e64 v24, v24, v28, s[2:3]
	v_lshlrev_b32_e32 v9, 16, v9
	v_lshlrev_b32_e32 v24, 20, v24
	v_and_b32_e32 v9, 0x80000000, v9
	v_lshl_add_u32 v21, v21, 23, v60
	v_add_u32_e32 v26, -7, v37
	v_or3_b32 v24, v9, v21, v24
.LBB325_477:                            ;   in Loop: Header=BB325_393 Depth=1
	s_or_b64 exec, exec, s[18:19]
.LBB325_478:                            ;   in Loop: Header=BB325_393 Depth=1
	s_or_b64 exec, exec, s[16:17]
.LBB325_479:                            ;   in Loop: Header=BB325_393 Depth=1
	s_or_b64 exec, exec, s[14:15]
	v_lshrrev_b32_e32 v9, 16, v20
	v_cmp_ne_u16_sdwa s[2:3], v9, v10 src0_sel:BYTE_0 src1_sel:DWORD
	v_mov_b32_e32 v21, 0
	v_mov_b32_e32 v25, 0
	s_and_saveexec_b64 s[14:15], s[2:3]
	s_cbranch_execz .LBB325_485
; %bb.480:                              ;   in Loop: Header=BB325_393 Depth=1
	v_cmp_ne_u16_sdwa s[2:3], v9, s26 src0_sel:BYTE_0 src1_sel:DWORD
	v_bfrev_b32_e32 v25, 1
	s_and_saveexec_b64 s[16:17], s[2:3]
	s_cbranch_execz .LBB325_484
; %bb.481:                              ;   in Loop: Header=BB325_393 Depth=1
	v_bfe_u32 v26, v20, 16, 7
	v_cmp_ne_u32_e64 s[2:3], s27, v26
	v_mov_b32_e32 v25, 0x7f800001
	s_and_saveexec_b64 s[18:19], s[2:3]
	s_cbranch_execz .LBB325_483
; %bb.482:                              ;   in Loop: Header=BB325_393 Depth=1
	v_and_b32_e32 v25, 7, v9
	v_ffbh_u32_e32 v35, v25
	v_min_u32_e32 v39, 32, v35
	v_subrev_u32_e32 v35, 28, v39
	v_lshlrev_b64 v[35:36], v35, v[9:10]
	v_lshrrev_b32_e32 v28, 3, v26
	v_sub_u32_e32 v36, 29, v39
	v_and_b32_e32 v35, 7, v35
	v_cmp_gt_u32_e64 s[2:3], 8, v26
	v_cndmask_b32_e64 v26, v28, v36, s[2:3]
	v_cndmask_b32_e64 v25, v25, v35, s[2:3]
	v_lshlrev_b32_e32 v9, 24, v9
	v_lshlrev_b32_e32 v25, 20, v25
	v_and_b32_e32 v9, 0x80000000, v9
	v_lshl_add_u32 v26, v26, 23, v60
	v_or3_b32 v25, v9, v26, v25
.LBB325_483:                            ;   in Loop: Header=BB325_393 Depth=1
	s_or_b64 exec, exec, s[18:19]
	v_add_u32_e32 v26, -7, v37
.LBB325_484:                            ;   in Loop: Header=BB325_393 Depth=1
	s_or_b64 exec, exec, s[16:17]
.LBB325_485:                            ;   in Loop: Header=BB325_393 Depth=1
	s_or_b64 exec, exec, s[14:15]
	v_cmp_lt_u64_e64 s[2:3], s[6:7], v[19:20]
	s_and_saveexec_b64 s[14:15], s[2:3]
	s_cbranch_execz .LBB325_491
; %bb.486:                              ;   in Loop: Header=BB325_393 Depth=1
	v_lshrrev_b32_e32 v9, 24, v20
	v_cmp_ne_u32_e64 s[2:3], s26, v9
	v_bfrev_b32_e32 v21, 1
	s_and_saveexec_b64 s[16:17], s[2:3]
	s_cbranch_execz .LBB325_490
; %bb.487:                              ;   in Loop: Header=BB325_393 Depth=1
	v_bfe_u32 v19, v20, 24, 7
	v_cmp_ne_u32_e64 s[2:3], s27, v19
	v_mov_b32_e32 v21, 0x7f800001
	s_and_saveexec_b64 s[18:19], s[2:3]
	s_cbranch_execz .LBB325_489
; %bb.488:                              ;   in Loop: Header=BB325_393 Depth=1
	v_and_b32_e32 v26, 7, v9
	v_ffbh_u32_e32 v20, v26
	v_min_u32_e32 v35, 32, v20
	v_subrev_u32_e32 v20, 28, v35
	v_lshlrev_b64 v[20:21], v20, v[9:10]
	v_lshrrev_b32_e32 v28, 3, v19
	v_sub_u32_e32 v21, 29, v35
	v_and_b32_e32 v20, 7, v20
	v_cmp_gt_u32_e64 s[2:3], 8, v19
	v_cndmask_b32_e64 v19, v28, v21, s[2:3]
	v_cndmask_b32_e64 v20, v26, v20, s[2:3]
	v_lshlrev_b32_e32 v9, 24, v9
	v_lshlrev_b32_e32 v20, 20, v20
	v_and_b32_e32 v9, 0x80000000, v9
	v_lshl_add_u32 v19, v19, 23, v60
	v_add_u32_e32 v26, -7, v37
	v_or3_b32 v21, v9, v19, v20
.LBB325_489:                            ;   in Loop: Header=BB325_393 Depth=1
	s_or_b64 exec, exec, s[18:19]
.LBB325_490:                            ;   in Loop: Header=BB325_393 Depth=1
	s_or_b64 exec, exec, s[16:17]
.LBB325_491:                            ;   in Loop: Header=BB325_393 Depth=1
	s_or_b64 exec, exec, s[14:15]
	v_mul_f32_e32 v9, s29, v24
	v_bfe_u32 v19, v9, 16, 1
	v_add3_u32 v19, v19, v9, s33
	v_or_b32_e32 v20, 0x400000, v9
	v_cmp_u_f32_e64 s[2:3], v9, v9
	v_cndmask_b32_e64 v9, v19, v20, s[2:3]
	v_lshrrev_b32_e32 v9, 16, v9
	buffer_store_dword v9, off, s[48:51], 0 offset:36 ; 4-byte Folded Spill
	v_mul_f32_e32 v9, s29, v23
	v_bfe_u32 v19, v9, 16, 1
	v_add3_u32 v19, v19, v9, s33
	v_or_b32_e32 v20, 0x400000, v9
	v_cmp_u_f32_e64 s[2:3], v9, v9
	v_cndmask_b32_e64 v9, v19, v20, s[2:3]
	v_lshrrev_b32_e32 v9, 16, v9
	buffer_store_dword v9, off, s[48:51], 0 offset:40 ; 4-byte Folded Spill
	;; [unrolled: 8-line block ×4, first 2 shown]
	v_mul_f32_e32 v9, s29, v13
	v_bfe_u32 v13, v9, 16, 1
	v_add3_u32 v13, v13, v9, s33
	v_or_b32_e32 v14, 0x400000, v9
	v_cmp_u_f32_e64 s[2:3], v9, v9
	v_cndmask_b32_e64 v9, v13, v14, s[2:3]
	v_lshrrev_b32_e32 v9, 16, v9
	v_mul_f32_e32 v0, s29, v0
	buffer_store_dword v9, off, s[48:51], 0 offset:60 ; 4-byte Folded Spill
	v_bfe_u32 v9, v0, 16, 1
	v_add3_u32 v9, v9, v0, s33
	v_or_b32_e32 v13, 0x400000, v0
	v_cmp_u_f32_e64 s[2:3], v0, v0
	v_cndmask_b32_e64 v0, v9, v13, s[2:3]
	v_lshrrev_b32_e32 v0, 16, v0
	buffer_store_dword v0, off, s[48:51], 0 offset:64 ; 4-byte Folded Spill
	v_mul_f32_e32 v0, s29, v25
	v_bfe_u32 v9, v0, 16, 1
	v_add3_u32 v9, v9, v0, s33
	v_or_b32_e32 v13, 0x400000, v0
	v_cmp_u_f32_e64 s[2:3], v0, v0
	v_cndmask_b32_e64 v0, v9, v13, s[2:3]
	v_lshrrev_b32_e32 v0, 16, v0
	buffer_store_dword v0, off, s[48:51], 0 offset:44 ; 4-byte Folded Spill
	v_mul_f32_e32 v0, s29, v21
	v_bfe_u32 v9, v0, 16, 1
	v_add3_u32 v9, v9, v0, s33
	v_or_b32_e32 v13, 0x400000, v0
	v_cmp_u_f32_e64 s[2:3], v0, v0
	v_cndmask_b32_e64 v0, v9, v13, s[2:3]
	v_lshrrev_b32_e32 v0, 16, v0
	buffer_store_dword v0, off, s[48:51], 0 offset:56 ; 4-byte Folded Spill
	s_and_saveexec_b64 s[14:15], s[0:1]
	s_cbranch_execz .LBB325_493
; %bb.492:                              ;   in Loop: Header=BB325_393 Depth=1
	buffer_load_dword v0, off, s[48:51], 0 offset:64 ; 4-byte Folded Reload
	v_cmp_gt_i32_e64 s[2:3], s30, v26
	s_waitcnt vmcnt(0)
	v_cndmask_b32_e64 v0, 0, v0, s[2:3]
	buffer_store_dword v0, off, s[48:51], 0 offset:64 ; 4-byte Folded Spill
	v_add_u32_e32 v0, -6, v37
	v_cmp_gt_i32_e64 s[2:3], s30, v0
	buffer_load_dword v0, off, s[48:51], 0 offset:60 ; 4-byte Folded Reload
	s_waitcnt vmcnt(0)
	v_cndmask_b32_e64 v0, 0, v0, s[2:3]
	buffer_store_dword v0, off, s[48:51], 0 offset:60 ; 4-byte Folded Spill
	v_add_u32_e32 v0, -5, v37
	v_cmp_gt_i32_e64 s[2:3], s30, v0
	buffer_load_dword v0, off, s[48:51], 0 offset:52 ; 4-byte Folded Reload
	;; [unrolled: 6-line block ×6, first 2 shown]
	s_waitcnt vmcnt(0)
	v_cndmask_b32_e64 v0, 0, v0, s[2:3]
	buffer_store_dword v0, off, s[48:51], 0 offset:44 ; 4-byte Folded Spill
	buffer_load_dword v0, off, s[48:51], 0 offset:56 ; 4-byte Folded Reload
	v_cmp_gt_i32_e64 s[2:3], s30, v37
	s_waitcnt vmcnt(0)
	v_cndmask_b32_e64 v0, 0, v0, s[2:3]
	buffer_store_dword v0, off, s[48:51], 0 offset:56 ; 4-byte Folded Spill
.LBB325_493:                            ;   in Loop: Header=BB325_393 Depth=1
	s_or_b64 exec, exec, s[14:15]
	global_load_dwordx2 v[19:20], v[17:18], off offset:1024
	v_mov_b32_e32 v13, 0
	v_mov_b32_e32 v0, 0
	s_waitcnt vmcnt(0)
	v_cmp_ne_u16_sdwa s[2:3], v19, v10 src0_sel:BYTE_0 src1_sel:DWORD
	s_and_saveexec_b64 s[14:15], s[2:3]
	s_cbranch_execz .LBB325_499
; %bb.494:                              ;   in Loop: Header=BB325_393 Depth=1
	v_cmp_ne_u16_sdwa s[2:3], v19, s26 src0_sel:BYTE_0 src1_sel:DWORD
	v_bfrev_b32_e32 v0, 1
	s_and_saveexec_b64 s[16:17], s[2:3]
	s_cbranch_execz .LBB325_498
; %bb.495:                              ;   in Loop: Header=BB325_393 Depth=1
	v_and_b32_e32 v9, 0x7f, v19
	v_cmp_ne_u32_e64 s[2:3], s27, v9
	v_mov_b32_e32 v0, 0x7f800001
	s_and_saveexec_b64 s[18:19], s[2:3]
	s_cbranch_execz .LBB325_497
; %bb.496:                              ;   in Loop: Header=BB325_393 Depth=1
	v_and_b32_e32 v0, 7, v19
	v_ffbh_u32_e32 v0, v0
	v_min_u32_e32 v0, 32, v0
	v_subrev_u32_e32 v21, 28, v0
	v_cmp_gt_u32_e64 s[2:3], 8, v9
	v_lshrrev_b32_e32 v14, 3, v9
	v_cndmask_b32_e64 v9, 0, v21, s[2:3]
	v_lshlrev_b64 v[21:22], v9, v[19:20]
	v_sub_u32_e32 v0, 29, v0
	v_cndmask_b32_e64 v0, v14, v0, s[2:3]
	v_lshlrev_b32_e32 v9, 20, v21
	v_lshlrev_b32_e32 v14, 24, v19
	v_and_b32_e32 v9, 0x700000, v9
	v_and_b32_e32 v14, 0x80000000, v14
	v_lshl_add_u32 v0, v0, 23, v60
	v_or3_b32 v0, v14, v0, v9
.LBB325_497:                            ;   in Loop: Header=BB325_393 Depth=1
	s_or_b64 exec, exec, s[18:19]
.LBB325_498:                            ;   in Loop: Header=BB325_393 Depth=1
	s_or_b64 exec, exec, s[16:17]
.LBB325_499:                            ;   in Loop: Header=BB325_393 Depth=1
	s_or_b64 exec, exec, s[14:15]
	v_lshrrev_b16_e32 v9, 8, v19
	v_cmp_ne_u16_e64 s[2:3], 0, v9
	s_and_saveexec_b64 s[14:15], s[2:3]
	s_cbranch_execz .LBB325_505
; %bb.500:                              ;   in Loop: Header=BB325_393 Depth=1
	v_cmp_ne_u16_e64 s[2:3], s26, v9
	v_bfrev_b32_e32 v13, 1
	s_and_saveexec_b64 s[16:17], s[2:3]
	s_cbranch_execz .LBB325_504
; %bb.501:                              ;   in Loop: Header=BB325_393 Depth=1
	v_and_b32_e32 v14, 0x7f, v9
	v_cmp_ne_u32_e64 s[2:3], s27, v14
	v_mov_b32_e32 v13, 0x7f800001
	s_and_saveexec_b64 s[18:19], s[2:3]
	s_cbranch_execz .LBB325_503
; %bb.502:                              ;   in Loop: Header=BB325_393 Depth=1
	v_and_b32_e32 v13, 7, v9
	v_ffbh_u32_e32 v21, v13
	v_min_u32_e32 v24, 32, v21
	v_subrev_u32_e32 v21, 28, v24
	v_lshlrev_b64 v[21:22], v21, v[9:10]
	v_lshrrev_b32_e32 v23, 3, v14
	v_sub_u32_e32 v9, 29, v24
	v_and_b32_e32 v21, 7, v21
	v_cmp_gt_u32_e64 s[2:3], 8, v14
	v_cndmask_b32_e64 v9, v23, v9, s[2:3]
	v_cndmask_b32_e64 v13, v13, v21, s[2:3]
	v_lshlrev_b32_e32 v14, 16, v19
	v_lshlrev_b32_e32 v13, 20, v13
	v_and_b32_e32 v14, 0x80000000, v14
	v_lshl_add_u32 v9, v9, 23, v60
	v_or3_b32 v13, v14, v9, v13
.LBB325_503:                            ;   in Loop: Header=BB325_393 Depth=1
	s_or_b64 exec, exec, s[18:19]
.LBB325_504:                            ;   in Loop: Header=BB325_393 Depth=1
	s_or_b64 exec, exec, s[16:17]
.LBB325_505:                            ;   in Loop: Header=BB325_393 Depth=1
	s_or_b64 exec, exec, s[14:15]
	v_lshrrev_b32_e32 v9, 16, v19
	v_cmp_ne_u16_sdwa s[2:3], v9, v10 src0_sel:BYTE_0 src1_sel:DWORD
	v_mov_b32_e32 v22, 0
	v_mov_b32_e32 v14, 0
	s_and_saveexec_b64 s[14:15], s[2:3]
	s_cbranch_execz .LBB325_511
; %bb.506:                              ;   in Loop: Header=BB325_393 Depth=1
	v_cmp_ne_u16_sdwa s[2:3], v9, s26 src0_sel:BYTE_0 src1_sel:DWORD
	v_bfrev_b32_e32 v14, 1
	s_and_saveexec_b64 s[16:17], s[2:3]
	s_cbranch_execz .LBB325_510
; %bb.507:                              ;   in Loop: Header=BB325_393 Depth=1
	v_bfe_u32 v21, v19, 16, 7
	v_cmp_ne_u32_e64 s[2:3], s27, v21
	v_mov_b32_e32 v14, 0x7f800001
	s_and_saveexec_b64 s[18:19], s[2:3]
	s_cbranch_execz .LBB325_509
; %bb.508:                              ;   in Loop: Header=BB325_393 Depth=1
	v_and_b32_e32 v14, 7, v9
	v_lshrrev_b32_e32 v25, 3, v21
	v_cmp_gt_u32_e64 s[2:3], 8, v21
	v_ffbh_u32_e32 v21, v14
	v_min_u32_e32 v21, 32, v21
	v_subrev_u32_e32 v23, 28, v21
	v_lshlrev_b64 v[23:24], v23, v[9:10]
	v_sub_u32_e32 v21, 29, v21
	v_and_b32_e32 v23, 7, v23
	v_cndmask_b32_e64 v21, v25, v21, s[2:3]
	v_cndmask_b32_e64 v14, v14, v23, s[2:3]
	v_lshlrev_b32_e32 v9, 24, v9
	v_lshlrev_b32_e32 v14, 20, v14
	v_and_b32_e32 v9, 0x80000000, v9
	v_lshl_add_u32 v21, v21, 23, v60
	v_or3_b32 v14, v9, v21, v14
.LBB325_509:                            ;   in Loop: Header=BB325_393 Depth=1
	s_or_b64 exec, exec, s[18:19]
.LBB325_510:                            ;   in Loop: Header=BB325_393 Depth=1
	s_or_b64 exec, exec, s[16:17]
.LBB325_511:                            ;   in Loop: Header=BB325_393 Depth=1
	s_or_b64 exec, exec, s[14:15]
	v_cmp_lt_u32_e64 s[2:3], s7, v19
	s_and_saveexec_b64 s[14:15], s[2:3]
	s_cbranch_execz .LBB325_517
; %bb.512:                              ;   in Loop: Header=BB325_393 Depth=1
	v_lshrrev_b32_e32 v9, 24, v19
	v_cmp_ne_u32_e64 s[2:3], s26, v9
	v_bfrev_b32_e32 v22, 1
	s_and_saveexec_b64 s[16:17], s[2:3]
	s_cbranch_execz .LBB325_516
; %bb.513:                              ;   in Loop: Header=BB325_393 Depth=1
	v_bfe_u32 v21, v19, 24, 7
	v_cmp_ne_u32_e64 s[2:3], s27, v21
	v_mov_b32_e32 v22, 0x7f800001
	s_and_saveexec_b64 s[18:19], s[2:3]
	s_cbranch_execz .LBB325_515
; %bb.514:                              ;   in Loop: Header=BB325_393 Depth=1
	v_and_b32_e32 v23, 7, v9
	v_lshrrev_b32_e32 v24, 3, v21
	v_cmp_gt_u32_e64 s[2:3], 8, v21
	v_ffbh_u32_e32 v21, v23
	v_min_u32_e32 v25, 32, v21
	v_subrev_u32_e32 v21, 28, v25
	v_lshlrev_b64 v[21:22], v21, v[9:10]
	v_sub_u32_e32 v22, 29, v25
	v_and_b32_e32 v21, 7, v21
	v_cndmask_b32_e64 v22, v24, v22, s[2:3]
	v_cndmask_b32_e64 v21, v23, v21, s[2:3]
	v_lshlrev_b32_e32 v9, 24, v9
	v_lshlrev_b32_e32 v21, 20, v21
	v_and_b32_e32 v9, 0x80000000, v9
	v_lshl_add_u32 v22, v22, 23, v60
	v_or3_b32 v22, v9, v22, v21
.LBB325_515:                            ;   in Loop: Header=BB325_393 Depth=1
	s_or_b64 exec, exec, s[18:19]
.LBB325_516:                            ;   in Loop: Header=BB325_393 Depth=1
	s_or_b64 exec, exec, s[16:17]
.LBB325_517:                            ;   in Loop: Header=BB325_393 Depth=1
	s_or_b64 exec, exec, s[14:15]
	v_mov_b32_e32 v9, v20
	v_cmp_ne_u16_sdwa s[2:3], v20, v10 src0_sel:BYTE_0 src1_sel:DWORD
	v_mov_b32_e32 v24, 0
	v_mov_b32_e32 v23, 0
	s_and_saveexec_b64 s[14:15], s[2:3]
	s_cbranch_execz .LBB325_523
; %bb.518:                              ;   in Loop: Header=BB325_393 Depth=1
	v_cmp_ne_u16_sdwa s[2:3], v20, s26 src0_sel:BYTE_0 src1_sel:DWORD
	v_bfrev_b32_e32 v23, 1
	s_and_saveexec_b64 s[16:17], s[2:3]
	s_cbranch_execz .LBB325_522
; %bb.519:                              ;   in Loop: Header=BB325_393 Depth=1
	v_and_b32_e32 v21, 0x7f, v20
	v_cmp_ne_u32_e64 s[2:3], s27, v21
	v_mov_b32_e32 v23, 0x7f800001
	s_and_saveexec_b64 s[18:19], s[2:3]
	s_cbranch_execz .LBB325_521
; %bb.520:                              ;   in Loop: Header=BB325_393 Depth=1
	v_and_b32_e32 v23, 7, v20
	v_lshrrev_b32_e32 v25, 3, v21
	v_cmp_gt_u32_e64 s[2:3], 8, v21
	v_ffbh_u32_e32 v21, v23
	v_min_u32_e32 v21, 32, v21
	v_subrev_u32_e32 v23, 28, v21
	v_sub_u32_e32 v21, 29, v21
	v_cndmask_b32_e64 v23, 0, v23, s[2:3]
	v_cndmask_b32_e64 v21, v25, v21, s[2:3]
	v_lshlrev_b64 v[25:26], v23, v[9:10]
	v_lshl_add_u32 v21, v21, 23, v60
	v_lshlrev_b32_e32 v23, 20, v25
	v_lshlrev_b32_e32 v25, 24, v9
	v_and_b32_e32 v23, 0x700000, v23
	v_and_b32_e32 v25, 0x80000000, v25
	v_add_u32_e32 v26, -7, v37
	v_or3_b32 v23, v25, v21, v23
.LBB325_521:                            ;   in Loop: Header=BB325_393 Depth=1
	s_or_b64 exec, exec, s[18:19]
.LBB325_522:                            ;   in Loop: Header=BB325_393 Depth=1
	s_or_b64 exec, exec, s[16:17]
.LBB325_523:                            ;   in Loop: Header=BB325_393 Depth=1
	s_or_b64 exec, exec, s[14:15]
	v_lshrrev_b16_e32 v21, 8, v9
	v_cmp_ne_u16_e64 s[2:3], 0, v21
	s_and_saveexec_b64 s[14:15], s[2:3]
	s_cbranch_execz .LBB325_529
; %bb.524:                              ;   in Loop: Header=BB325_393 Depth=1
	v_cmp_ne_u16_e64 s[2:3], s26, v21
	v_bfrev_b32_e32 v24, 1
	s_and_saveexec_b64 s[16:17], s[2:3]
	s_cbranch_execz .LBB325_528
; %bb.525:                              ;   in Loop: Header=BB325_393 Depth=1
	v_and_b32_e32 v25, 0x7f, v21
	v_cmp_ne_u32_e64 s[2:3], s27, v25
	v_mov_b32_e32 v24, 0x7f800001
	s_and_saveexec_b64 s[18:19], s[2:3]
	s_cbranch_execz .LBB325_527
; %bb.526:                              ;   in Loop: Header=BB325_393 Depth=1
	v_and_b32_e32 v26, 7, v21
	v_ffbh_u32_e32 v24, v26
	v_min_u32_e32 v35, 32, v24
	v_subrev_u32_e32 v24, 28, v35
	v_lshrrev_b32_e32 v28, 3, v25
	v_cmp_gt_u32_e64 s[2:3], 8, v25
	v_lshlrev_b64 v[24:25], v24, v[21:22]
	v_sub_u32_e32 v21, 29, v35
	v_and_b32_e32 v24, 7, v24
	v_cndmask_b32_e64 v21, v28, v21, s[2:3]
	v_cndmask_b32_e64 v24, v26, v24, s[2:3]
	v_lshlrev_b32_e32 v9, 16, v9
	v_lshlrev_b32_e32 v24, 20, v24
	v_and_b32_e32 v9, 0x80000000, v9
	v_lshl_add_u32 v21, v21, 23, v60
	v_add_u32_e32 v26, -7, v37
	v_or3_b32 v24, v9, v21, v24
.LBB325_527:                            ;   in Loop: Header=BB325_393 Depth=1
	s_or_b64 exec, exec, s[18:19]
.LBB325_528:                            ;   in Loop: Header=BB325_393 Depth=1
	s_or_b64 exec, exec, s[16:17]
.LBB325_529:                            ;   in Loop: Header=BB325_393 Depth=1
	s_or_b64 exec, exec, s[14:15]
	v_lshrrev_b32_e32 v9, 16, v20
	v_cmp_ne_u16_sdwa s[2:3], v9, v10 src0_sel:BYTE_0 src1_sel:DWORD
	v_mov_b32_e32 v21, 0
	v_mov_b32_e32 v25, 0
	s_and_saveexec_b64 s[14:15], s[2:3]
	s_cbranch_execz .LBB325_535
; %bb.530:                              ;   in Loop: Header=BB325_393 Depth=1
	v_cmp_ne_u16_sdwa s[2:3], v9, s26 src0_sel:BYTE_0 src1_sel:DWORD
	v_bfrev_b32_e32 v25, 1
	s_and_saveexec_b64 s[16:17], s[2:3]
	s_cbranch_execz .LBB325_534
; %bb.531:                              ;   in Loop: Header=BB325_393 Depth=1
	v_bfe_u32 v26, v20, 16, 7
	v_cmp_ne_u32_e64 s[2:3], s27, v26
	v_mov_b32_e32 v25, 0x7f800001
	s_and_saveexec_b64 s[18:19], s[2:3]
	s_cbranch_execz .LBB325_533
; %bb.532:                              ;   in Loop: Header=BB325_393 Depth=1
	v_and_b32_e32 v28, 7, v9
	v_ffbh_u32_e32 v25, v28
	v_min_u32_e32 v36, 32, v25
	v_subrev_u32_e32 v25, 28, v36
	v_lshrrev_b32_e32 v35, 3, v26
	v_cmp_gt_u32_e64 s[2:3], 8, v26
	v_lshlrev_b64 v[25:26], v25, v[9:10]
	v_sub_u32_e32 v26, 29, v36
	v_and_b32_e32 v25, 7, v25
	v_cndmask_b32_e64 v26, v35, v26, s[2:3]
	v_cndmask_b32_e64 v25, v28, v25, s[2:3]
	v_lshlrev_b32_e32 v9, 24, v9
	v_lshlrev_b32_e32 v25, 20, v25
	v_and_b32_e32 v9, 0x80000000, v9
	v_lshl_add_u32 v26, v26, 23, v60
	v_or3_b32 v25, v9, v26, v25
.LBB325_533:                            ;   in Loop: Header=BB325_393 Depth=1
	s_or_b64 exec, exec, s[18:19]
	v_add_u32_e32 v26, -7, v37
.LBB325_534:                            ;   in Loop: Header=BB325_393 Depth=1
	s_or_b64 exec, exec, s[16:17]
.LBB325_535:                            ;   in Loop: Header=BB325_393 Depth=1
	s_or_b64 exec, exec, s[14:15]
	v_cmp_lt_u64_e64 s[2:3], s[6:7], v[19:20]
	s_and_saveexec_b64 s[14:15], s[2:3]
	s_cbranch_execz .LBB325_541
; %bb.536:                              ;   in Loop: Header=BB325_393 Depth=1
	v_lshrrev_b32_e32 v9, 24, v20
	v_cmp_ne_u32_e64 s[2:3], s26, v9
	v_bfrev_b32_e32 v21, 1
	s_and_saveexec_b64 s[16:17], s[2:3]
	s_cbranch_execz .LBB325_540
; %bb.537:                              ;   in Loop: Header=BB325_393 Depth=1
	v_bfe_u32 v19, v20, 24, 7
	v_cmp_ne_u32_e64 s[2:3], s27, v19
	v_mov_b32_e32 v21, 0x7f800001
	s_and_saveexec_b64 s[18:19], s[2:3]
	s_cbranch_execz .LBB325_539
; %bb.538:                              ;   in Loop: Header=BB325_393 Depth=1
	v_and_b32_e32 v21, 7, v9
	v_lshrrev_b32_e32 v26, 3, v19
	v_cmp_gt_u32_e64 s[2:3], 8, v19
	v_ffbh_u32_e32 v19, v21
	v_min_u32_e32 v28, 32, v19
	v_subrev_u32_e32 v19, 28, v28
	v_lshlrev_b64 v[19:20], v19, v[9:10]
	v_sub_u32_e32 v20, 29, v28
	v_and_b32_e32 v19, 7, v19
	v_cndmask_b32_e64 v20, v26, v20, s[2:3]
	v_cndmask_b32_e64 v19, v21, v19, s[2:3]
	v_lshlrev_b32_e32 v9, 24, v9
	v_lshlrev_b32_e32 v19, 20, v19
	v_and_b32_e32 v9, 0x80000000, v9
	v_lshl_add_u32 v20, v20, 23, v60
	v_add_u32_e32 v26, -7, v37
	v_or3_b32 v21, v9, v20, v19
.LBB325_539:                            ;   in Loop: Header=BB325_393 Depth=1
	s_or_b64 exec, exec, s[18:19]
.LBB325_540:                            ;   in Loop: Header=BB325_393 Depth=1
	s_or_b64 exec, exec, s[16:17]
.LBB325_541:                            ;   in Loop: Header=BB325_393 Depth=1
	s_or_b64 exec, exec, s[14:15]
	v_mul_f32_e32 v9, s29, v24
	v_bfe_u32 v19, v9, 16, 1
	v_add3_u32 v19, v19, v9, s33
	v_or_b32_e32 v20, 0x400000, v9
	v_cmp_u_f32_e64 s[2:3], v9, v9
	v_cndmask_b32_e64 v9, v19, v20, s[2:3]
	v_lshrrev_b32_e32 v9, 16, v9
	buffer_store_dword v9, off, s[48:51], 0 offset:68 ; 4-byte Folded Spill
	v_mul_f32_e32 v9, s29, v23
	v_bfe_u32 v19, v9, 16, 1
	v_add3_u32 v19, v19, v9, s33
	v_or_b32_e32 v20, 0x400000, v9
	v_cmp_u_f32_e64 s[2:3], v9, v9
	v_cndmask_b32_e64 v9, v19, v20, s[2:3]
	v_lshrrev_b32_e32 v9, 16, v9
	buffer_store_dword v9, off, s[48:51], 0 offset:72 ; 4-byte Folded Spill
	;; [unrolled: 8-line block ×4, first 2 shown]
	v_mul_f32_e32 v9, s29, v13
	v_bfe_u32 v13, v9, 16, 1
	v_add3_u32 v13, v13, v9, s33
	v_or_b32_e32 v14, 0x400000, v9
	v_cmp_u_f32_e64 s[2:3], v9, v9
	v_cndmask_b32_e64 v9, v13, v14, s[2:3]
	v_lshrrev_b32_e32 v9, 16, v9
	v_mul_f32_e32 v0, s29, v0
	buffer_store_dword v9, off, s[48:51], 0 offset:92 ; 4-byte Folded Spill
	v_bfe_u32 v9, v0, 16, 1
	v_add3_u32 v9, v9, v0, s33
	v_or_b32_e32 v13, 0x400000, v0
	v_cmp_u_f32_e64 s[2:3], v0, v0
	v_cndmask_b32_e64 v0, v9, v13, s[2:3]
	v_lshrrev_b32_e32 v0, 16, v0
	buffer_store_dword v0, off, s[48:51], 0 offset:96 ; 4-byte Folded Spill
	v_mul_f32_e32 v0, s29, v25
	v_bfe_u32 v9, v0, 16, 1
	v_add3_u32 v9, v9, v0, s33
	v_or_b32_e32 v13, 0x400000, v0
	v_cmp_u_f32_e64 s[2:3], v0, v0
	v_cndmask_b32_e64 v0, v9, v13, s[2:3]
	v_lshrrev_b32_e32 v0, 16, v0
	buffer_store_dword v0, off, s[48:51], 0 offset:76 ; 4-byte Folded Spill
	v_mul_f32_e32 v0, s29, v21
	v_bfe_u32 v9, v0, 16, 1
	v_add3_u32 v9, v9, v0, s33
	v_or_b32_e32 v13, 0x400000, v0
	v_cmp_u_f32_e64 s[2:3], v0, v0
	v_cndmask_b32_e64 v0, v9, v13, s[2:3]
	v_lshrrev_b32_e32 v0, 16, v0
	buffer_store_dword v0, off, s[48:51], 0 offset:88 ; 4-byte Folded Spill
	s_and_saveexec_b64 s[14:15], s[0:1]
	s_cbranch_execz .LBB325_543
; %bb.542:                              ;   in Loop: Header=BB325_393 Depth=1
	buffer_load_dword v0, off, s[48:51], 0 offset:96 ; 4-byte Folded Reload
	v_cmp_gt_i32_e64 s[2:3], s30, v26
	s_waitcnt vmcnt(0)
	v_cndmask_b32_e64 v0, 0, v0, s[2:3]
	buffer_store_dword v0, off, s[48:51], 0 offset:96 ; 4-byte Folded Spill
	v_add_u32_e32 v0, -6, v37
	v_cmp_gt_i32_e64 s[2:3], s30, v0
	buffer_load_dword v0, off, s[48:51], 0 offset:92 ; 4-byte Folded Reload
	s_waitcnt vmcnt(0)
	v_cndmask_b32_e64 v0, 0, v0, s[2:3]
	buffer_store_dword v0, off, s[48:51], 0 offset:92 ; 4-byte Folded Spill
	v_add_u32_e32 v0, -5, v37
	v_cmp_gt_i32_e64 s[2:3], s30, v0
	buffer_load_dword v0, off, s[48:51], 0 offset:84 ; 4-byte Folded Reload
	;; [unrolled: 6-line block ×6, first 2 shown]
	s_waitcnt vmcnt(0)
	v_cndmask_b32_e64 v0, 0, v0, s[2:3]
	buffer_store_dword v0, off, s[48:51], 0 offset:76 ; 4-byte Folded Spill
	buffer_load_dword v0, off, s[48:51], 0 offset:88 ; 4-byte Folded Reload
	v_cmp_gt_i32_e64 s[2:3], s30, v37
	s_waitcnt vmcnt(0)
	v_cndmask_b32_e64 v0, 0, v0, s[2:3]
	buffer_store_dword v0, off, s[48:51], 0 offset:88 ; 4-byte Folded Spill
.LBB325_543:                            ;   in Loop: Header=BB325_393 Depth=1
	s_or_b64 exec, exec, s[14:15]
	global_load_dwordx2 v[19:20], v[17:18], off offset:1536
	v_mov_b32_e32 v14, 0
	v_mov_b32_e32 v13, 0
	s_waitcnt vmcnt(0)
	v_cmp_ne_u16_sdwa s[2:3], v19, v10 src0_sel:BYTE_0 src1_sel:DWORD
	s_and_saveexec_b64 s[14:15], s[2:3]
	s_cbranch_execz .LBB325_549
; %bb.544:                              ;   in Loop: Header=BB325_393 Depth=1
	v_cmp_ne_u16_sdwa s[2:3], v19, s26 src0_sel:BYTE_0 src1_sel:DWORD
	v_bfrev_b32_e32 v13, 1
	s_and_saveexec_b64 s[16:17], s[2:3]
	s_cbranch_execz .LBB325_548
; %bb.545:                              ;   in Loop: Header=BB325_393 Depth=1
	v_and_b32_e32 v0, 0x7f, v19
	v_cmp_ne_u32_e64 s[2:3], s27, v0
	v_mov_b32_e32 v13, 0x7f800001
	s_and_saveexec_b64 s[18:19], s[2:3]
	s_cbranch_execz .LBB325_547
; %bb.546:                              ;   in Loop: Header=BB325_393 Depth=1
	v_and_b32_e32 v9, 7, v19
	v_lshrrev_b32_e32 v13, 3, v0
	v_cmp_gt_u32_e64 s[2:3], 8, v0
	v_ffbh_u32_e32 v0, v9
	v_min_u32_e32 v0, 32, v0
	v_subrev_u32_e32 v9, 28, v0
	v_cndmask_b32_e64 v9, 0, v9, s[2:3]
	v_lshlrev_b64 v[21:22], v9, v[19:20]
	v_sub_u32_e32 v0, 29, v0
	v_cndmask_b32_e64 v0, v13, v0, s[2:3]
	v_lshlrev_b32_e32 v9, 20, v21
	v_lshlrev_b32_e32 v13, 24, v19
	v_and_b32_e32 v9, 0x700000, v9
	v_and_b32_e32 v13, 0x80000000, v13
	v_lshl_add_u32 v0, v0, 23, v60
	v_or3_b32 v13, v13, v0, v9
.LBB325_547:                            ;   in Loop: Header=BB325_393 Depth=1
	s_or_b64 exec, exec, s[18:19]
.LBB325_548:                            ;   in Loop: Header=BB325_393 Depth=1
	s_or_b64 exec, exec, s[16:17]
.LBB325_549:                            ;   in Loop: Header=BB325_393 Depth=1
	s_or_b64 exec, exec, s[14:15]
	v_lshrrev_b16_e32 v9, 8, v19
	v_cmp_ne_u16_e64 s[2:3], 0, v9
	s_and_saveexec_b64 s[14:15], s[2:3]
	s_cbranch_execz .LBB325_555
; %bb.550:                              ;   in Loop: Header=BB325_393 Depth=1
	v_cmp_ne_u16_e64 s[2:3], s26, v9
	v_bfrev_b32_e32 v14, 1
	s_and_saveexec_b64 s[16:17], s[2:3]
	s_cbranch_execz .LBB325_554
; %bb.551:                              ;   in Loop: Header=BB325_393 Depth=1
	v_and_b32_e32 v0, 0x7f, v9
	v_cmp_ne_u32_e64 s[2:3], s27, v0
	v_mov_b32_e32 v14, 0x7f800001
	s_and_saveexec_b64 s[18:19], s[2:3]
	s_cbranch_execz .LBB325_553
; %bb.552:                              ;   in Loop: Header=BB325_393 Depth=1
	v_and_b32_e32 v14, 7, v9
	v_lshrrev_b32_e32 v23, 3, v0
	v_cmp_gt_u32_e64 s[2:3], 8, v0
	v_ffbh_u32_e32 v0, v14
	v_min_u32_e32 v0, 32, v0
	v_subrev_u32_e32 v21, 28, v0
	v_lshlrev_b64 v[21:22], v21, v[9:10]
	v_sub_u32_e32 v0, 29, v0
	v_and_b32_e32 v9, 7, v21
	v_cndmask_b32_e64 v0, v23, v0, s[2:3]
	v_cndmask_b32_e64 v9, v14, v9, s[2:3]
	v_lshlrev_b32_e32 v14, 16, v19
	v_lshlrev_b32_e32 v9, 20, v9
	v_and_b32_e32 v14, 0x80000000, v14
	v_lshl_add_u32 v0, v0, 23, v60
	v_or3_b32 v14, v14, v0, v9
.LBB325_553:                            ;   in Loop: Header=BB325_393 Depth=1
	s_or_b64 exec, exec, s[18:19]
.LBB325_554:                            ;   in Loop: Header=BB325_393 Depth=1
	s_or_b64 exec, exec, s[16:17]
.LBB325_555:                            ;   in Loop: Header=BB325_393 Depth=1
	s_or_b64 exec, exec, s[14:15]
	v_lshrrev_b32_e32 v9, 16, v19
	v_cmp_ne_u16_sdwa s[2:3], v9, v10 src0_sel:BYTE_0 src1_sel:DWORD
	v_mov_b32_e32 v23, 0
	v_mov_b32_e32 v22, 0
	s_and_saveexec_b64 s[14:15], s[2:3]
	s_cbranch_execz .LBB325_561
; %bb.556:                              ;   in Loop: Header=BB325_393 Depth=1
	v_cmp_ne_u16_sdwa s[2:3], v9, s26 src0_sel:BYTE_0 src1_sel:DWORD
	v_bfrev_b32_e32 v22, 1
	s_and_saveexec_b64 s[16:17], s[2:3]
	s_cbranch_execz .LBB325_560
; %bb.557:                              ;   in Loop: Header=BB325_393 Depth=1
	v_bfe_u32 v0, v19, 16, 7
	v_cmp_ne_u32_e64 s[2:3], s27, v0
	v_mov_b32_e32 v22, 0x7f800001
	s_and_saveexec_b64 s[18:19], s[2:3]
	s_cbranch_execz .LBB325_559
; %bb.558:                              ;   in Loop: Header=BB325_393 Depth=1
	v_and_b32_e32 v24, 7, v9
	v_lshrrev_b32_e32 v25, 3, v0
	v_cmp_gt_u32_e64 s[2:3], 8, v0
	v_ffbh_u32_e32 v0, v24
	v_min_u32_e32 v0, 32, v0
	v_subrev_u32_e32 v21, 28, v0
	v_lshlrev_b64 v[21:22], v21, v[9:10]
	v_sub_u32_e32 v0, 29, v0
	v_and_b32_e32 v21, 7, v21
	v_cndmask_b32_e64 v0, v25, v0, s[2:3]
	v_cndmask_b32_e64 v21, v24, v21, s[2:3]
	v_lshlrev_b32_e32 v9, 24, v9
	v_lshlrev_b32_e32 v21, 20, v21
	v_and_b32_e32 v9, 0x80000000, v9
	v_lshl_add_u32 v0, v0, 23, v60
	v_or3_b32 v22, v9, v0, v21
.LBB325_559:                            ;   in Loop: Header=BB325_393 Depth=1
	s_or_b64 exec, exec, s[18:19]
.LBB325_560:                            ;   in Loop: Header=BB325_393 Depth=1
	s_or_b64 exec, exec, s[16:17]
.LBB325_561:                            ;   in Loop: Header=BB325_393 Depth=1
	s_or_b64 exec, exec, s[14:15]
	v_cmp_lt_u32_e64 s[2:3], s7, v19
	s_and_saveexec_b64 s[14:15], s[2:3]
	s_cbranch_execz .LBB325_567
; %bb.562:                              ;   in Loop: Header=BB325_393 Depth=1
	v_lshrrev_b32_e32 v9, 24, v19
	v_cmp_ne_u32_e64 s[2:3], s26, v9
	v_bfrev_b32_e32 v23, 1
	s_and_saveexec_b64 s[16:17], s[2:3]
	s_cbranch_execz .LBB325_566
; %bb.563:                              ;   in Loop: Header=BB325_393 Depth=1
	v_bfe_u32 v0, v19, 24, 7
	v_cmp_ne_u32_e64 s[2:3], s27, v0
	v_mov_b32_e32 v23, 0x7f800001
	s_and_saveexec_b64 s[18:19], s[2:3]
	s_cbranch_execz .LBB325_565
; %bb.564:                              ;   in Loop: Header=BB325_393 Depth=1
	v_and_b32_e32 v21, 7, v9
	v_lshrrev_b32_e32 v25, 3, v0
	v_cmp_gt_u32_e64 s[2:3], 8, v0
	v_ffbh_u32_e32 v0, v21
	v_min_u32_e32 v0, 32, v0
	v_subrev_u32_e32 v23, 28, v0
	v_lshlrev_b64 v[23:24], v23, v[9:10]
	v_sub_u32_e32 v0, 29, v0
	v_and_b32_e32 v23, 7, v23
	v_cndmask_b32_e64 v0, v25, v0, s[2:3]
	v_cndmask_b32_e64 v21, v21, v23, s[2:3]
	v_lshlrev_b32_e32 v9, 24, v9
	v_lshlrev_b32_e32 v21, 20, v21
	v_and_b32_e32 v9, 0x80000000, v9
	v_lshl_add_u32 v0, v0, 23, v60
	v_or3_b32 v23, v9, v0, v21
.LBB325_565:                            ;   in Loop: Header=BB325_393 Depth=1
	s_or_b64 exec, exec, s[18:19]
.LBB325_566:                            ;   in Loop: Header=BB325_393 Depth=1
	s_or_b64 exec, exec, s[16:17]
.LBB325_567:                            ;   in Loop: Header=BB325_393 Depth=1
	s_or_b64 exec, exec, s[14:15]
	v_mov_b32_e32 v9, v20
	v_cmp_ne_u16_sdwa s[2:3], v20, v10 src0_sel:BYTE_0 src1_sel:DWORD
	v_mov_b32_e32 v0, 0
	v_mov_b32_e32 v24, 0
	s_and_saveexec_b64 s[14:15], s[2:3]
	s_cbranch_execz .LBB325_573
; %bb.568:                              ;   in Loop: Header=BB325_393 Depth=1
	v_cmp_ne_u16_sdwa s[2:3], v20, s26 src0_sel:BYTE_0 src1_sel:DWORD
	v_bfrev_b32_e32 v24, 1
	s_and_saveexec_b64 s[16:17], s[2:3]
	s_cbranch_execz .LBB325_572
; %bb.569:                              ;   in Loop: Header=BB325_393 Depth=1
	v_and_b32_e32 v21, 0x7f, v20
	v_cmp_ne_u32_e64 s[2:3], s27, v21
	v_mov_b32_e32 v24, 0x7f800001
	s_and_saveexec_b64 s[18:19], s[2:3]
	s_cbranch_execz .LBB325_571
; %bb.570:                              ;   in Loop: Header=BB325_393 Depth=1
	v_and_b32_e32 v24, 7, v20
	v_lshrrev_b32_e32 v25, 3, v21
	v_cmp_gt_u32_e64 s[2:3], 8, v21
	v_ffbh_u32_e32 v21, v24
	v_min_u32_e32 v21, 32, v21
	v_subrev_u32_e32 v24, 28, v21
	v_sub_u32_e32 v21, 29, v21
	v_cndmask_b32_e64 v24, 0, v24, s[2:3]
	v_cndmask_b32_e64 v21, v25, v21, s[2:3]
	v_lshlrev_b64 v[24:25], v24, v[9:10]
	v_lshlrev_b32_e32 v25, 24, v9
	v_lshlrev_b32_e32 v24, 20, v24
	v_and_b32_e32 v24, 0x700000, v24
	v_and_b32_e32 v25, 0x80000000, v25
	v_lshl_add_u32 v21, v21, 23, v60
	v_or3_b32 v24, v25, v21, v24
.LBB325_571:                            ;   in Loop: Header=BB325_393 Depth=1
	s_or_b64 exec, exec, s[18:19]
.LBB325_572:                            ;   in Loop: Header=BB325_393 Depth=1
	s_or_b64 exec, exec, s[16:17]
.LBB325_573:                            ;   in Loop: Header=BB325_393 Depth=1
	s_or_b64 exec, exec, s[14:15]
	v_lshrrev_b16_e32 v21, 8, v9
	v_cmp_ne_u16_e64 s[2:3], 0, v21
	s_and_saveexec_b64 s[14:15], s[2:3]
	s_cbranch_execz .LBB325_579
; %bb.574:                              ;   in Loop: Header=BB325_393 Depth=1
	v_cmp_ne_u16_e64 s[2:3], s26, v21
	v_bfrev_b32_e32 v0, 1
	s_and_saveexec_b64 s[16:17], s[2:3]
	s_cbranch_execz .LBB325_578
; %bb.575:                              ;   in Loop: Header=BB325_393 Depth=1
	v_and_b32_e32 v25, 0x7f, v21
	v_cmp_ne_u32_e64 s[2:3], s27, v25
	v_mov_b32_e32 v0, 0x7f800001
	s_and_saveexec_b64 s[18:19], s[2:3]
	s_cbranch_execz .LBB325_577
; %bb.576:                              ;   in Loop: Header=BB325_393 Depth=1
	v_and_b32_e32 v0, 7, v21
	v_lshrrev_b32_e32 v28, 3, v25
	v_cmp_gt_u32_e64 s[2:3], 8, v25
	v_ffbh_u32_e32 v25, v0
	v_min_u32_e32 v35, 32, v25
	v_subrev_u32_e32 v25, 28, v35
	v_lshlrev_b64 v[25:26], v25, v[21:22]
	v_sub_u32_e32 v21, 29, v35
	v_and_b32_e32 v25, 7, v25
	v_cndmask_b32_e64 v21, v28, v21, s[2:3]
	v_cndmask_b32_e64 v0, v0, v25, s[2:3]
	v_lshlrev_b32_e32 v9, 16, v9
	v_lshlrev_b32_e32 v0, 20, v0
	v_and_b32_e32 v9, 0x80000000, v9
	v_lshl_add_u32 v21, v21, 23, v60
	v_add_u32_e32 v26, -7, v37
	v_or3_b32 v0, v9, v21, v0
.LBB325_577:                            ;   in Loop: Header=BB325_393 Depth=1
	s_or_b64 exec, exec, s[18:19]
.LBB325_578:                            ;   in Loop: Header=BB325_393 Depth=1
	s_or_b64 exec, exec, s[16:17]
.LBB325_579:                            ;   in Loop: Header=BB325_393 Depth=1
	s_or_b64 exec, exec, s[14:15]
	v_lshrrev_b32_e32 v9, 16, v20
	v_cmp_ne_u16_sdwa s[2:3], v9, v10 src0_sel:BYTE_0 src1_sel:DWORD
	v_mov_b32_e32 v21, 0
	v_mov_b32_e32 v25, 0
	s_and_saveexec_b64 s[14:15], s[2:3]
	s_cbranch_execz .LBB325_585
; %bb.580:                              ;   in Loop: Header=BB325_393 Depth=1
	v_cmp_ne_u16_sdwa s[2:3], v9, s26 src0_sel:BYTE_0 src1_sel:DWORD
	v_bfrev_b32_e32 v25, 1
	s_and_saveexec_b64 s[16:17], s[2:3]
	s_cbranch_execz .LBB325_584
; %bb.581:                              ;   in Loop: Header=BB325_393 Depth=1
	v_bfe_u32 v26, v20, 16, 7
	v_cmp_ne_u32_e64 s[2:3], s27, v26
	v_mov_b32_e32 v25, 0x7f800001
	s_and_saveexec_b64 s[18:19], s[2:3]
	s_cbranch_execz .LBB325_583
; %bb.582:                              ;   in Loop: Header=BB325_393 Depth=1
	v_and_b32_e32 v28, 7, v9
	v_ffbh_u32_e32 v25, v28
	v_min_u32_e32 v36, 32, v25
	v_subrev_u32_e32 v25, 28, v36
	v_lshrrev_b32_e32 v35, 3, v26
	v_cmp_gt_u32_e64 s[2:3], 8, v26
	v_lshlrev_b64 v[25:26], v25, v[9:10]
	v_sub_u32_e32 v26, 29, v36
	v_and_b32_e32 v25, 7, v25
	v_cndmask_b32_e64 v26, v35, v26, s[2:3]
	v_cndmask_b32_e64 v25, v28, v25, s[2:3]
	v_lshlrev_b32_e32 v9, 24, v9
	v_lshlrev_b32_e32 v25, 20, v25
	v_and_b32_e32 v9, 0x80000000, v9
	v_lshl_add_u32 v26, v26, 23, v60
	v_or3_b32 v25, v9, v26, v25
.LBB325_583:                            ;   in Loop: Header=BB325_393 Depth=1
	s_or_b64 exec, exec, s[18:19]
	v_add_u32_e32 v26, -7, v37
.LBB325_584:                            ;   in Loop: Header=BB325_393 Depth=1
	s_or_b64 exec, exec, s[16:17]
.LBB325_585:                            ;   in Loop: Header=BB325_393 Depth=1
	s_or_b64 exec, exec, s[14:15]
	v_cmp_lt_u64_e64 s[2:3], s[6:7], v[19:20]
	s_and_saveexec_b64 s[14:15], s[2:3]
	s_cbranch_execz .LBB325_591
; %bb.586:                              ;   in Loop: Header=BB325_393 Depth=1
	v_lshrrev_b32_e32 v9, 24, v20
	v_cmp_ne_u32_e64 s[2:3], s26, v9
	v_bfrev_b32_e32 v21, 1
	s_and_saveexec_b64 s[16:17], s[2:3]
	s_cbranch_execz .LBB325_590
; %bb.587:                              ;   in Loop: Header=BB325_393 Depth=1
	v_bfe_u32 v19, v20, 24, 7
	v_cmp_ne_u32_e64 s[2:3], s27, v19
	v_mov_b32_e32 v21, 0x7f800001
	s_and_saveexec_b64 s[18:19], s[2:3]
	s_cbranch_execz .LBB325_589
; %bb.588:                              ;   in Loop: Header=BB325_393 Depth=1
	v_and_b32_e32 v21, 7, v9
	v_lshrrev_b32_e32 v26, 3, v19
	v_cmp_gt_u32_e64 s[2:3], 8, v19
	v_ffbh_u32_e32 v19, v21
	v_min_u32_e32 v28, 32, v19
	v_subrev_u32_e32 v19, 28, v28
	v_lshlrev_b64 v[19:20], v19, v[9:10]
	v_sub_u32_e32 v20, 29, v28
	v_and_b32_e32 v19, 7, v19
	v_cndmask_b32_e64 v20, v26, v20, s[2:3]
	v_cndmask_b32_e64 v19, v21, v19, s[2:3]
	v_lshlrev_b32_e32 v9, 24, v9
	v_lshlrev_b32_e32 v19, 20, v19
	v_and_b32_e32 v9, 0x80000000, v9
	v_lshl_add_u32 v20, v20, 23, v60
	v_add_u32_e32 v26, -7, v37
	v_or3_b32 v21, v9, v20, v19
.LBB325_589:                            ;   in Loop: Header=BB325_393 Depth=1
	s_or_b64 exec, exec, s[18:19]
.LBB325_590:                            ;   in Loop: Header=BB325_393 Depth=1
	s_or_b64 exec, exec, s[16:17]
.LBB325_591:                            ;   in Loop: Header=BB325_393 Depth=1
	s_or_b64 exec, exec, s[14:15]
	v_mul_f32_e32 v0, s29, v0
	v_bfe_u32 v9, v0, 16, 1
	v_add3_u32 v9, v9, v0, s33
	v_or_b32_e32 v19, 0x400000, v0
	v_cmp_u_f32_e64 s[2:3], v0, v0
	v_cndmask_b32_e64 v0, v9, v19, s[2:3]
	v_mul_f32_e32 v9, s29, v24
	v_bfe_u32 v19, v9, 16, 1
	v_add3_u32 v19, v19, v9, s33
	v_or_b32_e32 v20, 0x400000, v9
	v_cmp_u_f32_e64 s[2:3], v9, v9
	v_lshrrev_b32_e32 v0, 16, v0
	v_cndmask_b32_e64 v9, v19, v20, s[2:3]
	buffer_store_dword v0, off, s[48:51], 0 offset:104 ; 4-byte Folded Spill
	v_lshrrev_b32_e32 v0, 16, v9
	v_mul_f32_e32 v9, s29, v23
	v_bfe_u32 v19, v9, 16, 1
	v_add3_u32 v19, v19, v9, s33
	v_or_b32_e32 v20, 0x400000, v9
	v_cmp_u_f32_e64 s[2:3], v9, v9
	v_cndmask_b32_e64 v9, v19, v20, s[2:3]
	v_lshrrev_b32_e32 v24, 16, v9
	v_mul_f32_e32 v9, s29, v22
	v_bfe_u32 v19, v9, 16, 1
	v_add3_u32 v19, v19, v9, s33
	v_or_b32_e32 v20, 0x400000, v9
	v_cmp_u_f32_e64 s[2:3], v9, v9
	v_cndmask_b32_e64 v9, v19, v20, s[2:3]
	;; [unrolled: 7-line block ×6, first 2 shown]
	v_lshrrev_b32_e32 v35, 16, v9
	buffer_store_dword v0, off, s[48:51], 0 offset:100 ; 4-byte Folded Spill
	s_and_saveexec_b64 s[14:15], s[0:1]
	s_cbranch_execz .LBB325_593
; %bb.592:                              ;   in Loop: Header=BB325_393 Depth=1
	buffer_load_dword v0, off, s[48:51], 0 offset:100 ; 4-byte Folded Reload
	v_cmp_gt_i32_e64 s[2:3], s30, v26
	v_add_u32_e32 v9, -6, v37
	v_cndmask_b32_e64 v13, 0, v13, s[2:3]
	v_cmp_gt_i32_e64 s[2:3], s30, v9
	v_add_u32_e32 v9, -5, v37
	v_cndmask_b32_e64 v14, 0, v14, s[2:3]
	;; [unrolled: 3-line block ×4, first 2 shown]
	v_cmp_gt_i32_e64 s[2:3], s30, v9
	v_add_u32_e32 v9, -2, v37
	s_waitcnt vmcnt(0)
	v_cndmask_b32_e64 v0, 0, v0, s[2:3]
	buffer_store_dword v0, off, s[48:51], 0 offset:100 ; 4-byte Folded Spill
	buffer_load_dword v0, off, s[48:51], 0 offset:104 ; 4-byte Folded Reload
	v_cmp_gt_i32_e64 s[2:3], s30, v9
	v_add_u32_e32 v9, -1, v37
	s_waitcnt vmcnt(0)
	v_cndmask_b32_e64 v0, 0, v0, s[2:3]
	v_cmp_gt_i32_e64 s[2:3], s30, v9
	v_cndmask_b32_e64 v36, 0, v36, s[2:3]
	v_cmp_gt_i32_e64 s[2:3], s30, v37
	v_cndmask_b32_e64 v35, 0, v35, s[2:3]
	buffer_store_dword v0, off, s[48:51], 0 offset:104 ; 4-byte Folded Spill
.LBB325_593:                            ;   in Loop: Header=BB325_393 Depth=1
	s_or_b64 exec, exec, s[14:15]
	global_load_dwordx2 v[19:20], v[17:18], off offset:2048
	v_mov_b32_e32 v40, 0
	v_mov_b32_e32 v39, 0
	s_waitcnt vmcnt(0)
	v_cmp_ne_u16_sdwa s[2:3], v19, v10 src0_sel:BYTE_0 src1_sel:DWORD
	s_and_saveexec_b64 s[14:15], s[2:3]
	s_cbranch_execz .LBB325_599
; %bb.594:                              ;   in Loop: Header=BB325_393 Depth=1
	v_cmp_ne_u16_sdwa s[2:3], v19, s26 src0_sel:BYTE_0 src1_sel:DWORD
	v_bfrev_b32_e32 v39, 1
	s_and_saveexec_b64 s[16:17], s[2:3]
	s_cbranch_execz .LBB325_598
; %bb.595:                              ;   in Loop: Header=BB325_393 Depth=1
	v_and_b32_e32 v9, 0x7f, v19
	v_cmp_ne_u32_e64 s[2:3], s27, v9
	v_mov_b32_e32 v39, 0x7f800001
	s_and_saveexec_b64 s[18:19], s[2:3]
	s_cbranch_execz .LBB325_597
; %bb.596:                              ;   in Loop: Header=BB325_393 Depth=1
	v_and_b32_e32 v21, 7, v19
	v_lshrrev_b32_e32 v22, 3, v9
	v_cmp_gt_u32_e64 s[2:3], 8, v9
	v_ffbh_u32_e32 v9, v21
	v_min_u32_e32 v9, 32, v9
	v_subrev_u32_e32 v21, 28, v9
	v_sub_u32_e32 v9, 29, v9
	v_cndmask_b32_e64 v21, 0, v21, s[2:3]
	v_cndmask_b32_e64 v9, v22, v9, s[2:3]
	v_lshlrev_b64 v[21:22], v21, v[19:20]
	v_lshlrev_b32_e32 v22, 24, v19
	v_lshlrev_b32_e32 v21, 20, v21
	v_and_b32_e32 v21, 0x700000, v21
	v_and_b32_e32 v22, 0x80000000, v22
	v_lshl_add_u32 v9, v9, 23, v60
	v_or3_b32 v39, v22, v9, v21
.LBB325_597:                            ;   in Loop: Header=BB325_393 Depth=1
	s_or_b64 exec, exec, s[18:19]
.LBB325_598:                            ;   in Loop: Header=BB325_393 Depth=1
	s_or_b64 exec, exec, s[16:17]
.LBB325_599:                            ;   in Loop: Header=BB325_393 Depth=1
	s_or_b64 exec, exec, s[14:15]
	v_lshrrev_b16_e32 v9, 8, v19
	v_cmp_ne_u16_e64 s[2:3], 0, v9
	s_and_saveexec_b64 s[14:15], s[2:3]
	s_cbranch_execz .LBB325_605
; %bb.600:                              ;   in Loop: Header=BB325_393 Depth=1
	v_cmp_ne_u16_e64 s[2:3], s26, v9
	v_bfrev_b32_e32 v40, 1
	s_and_saveexec_b64 s[16:17], s[2:3]
	s_cbranch_execz .LBB325_604
; %bb.601:                              ;   in Loop: Header=BB325_393 Depth=1
	v_and_b32_e32 v21, 0x7f, v9
	v_cmp_ne_u32_e64 s[2:3], s27, v21
	v_mov_b32_e32 v40, 0x7f800001
	s_and_saveexec_b64 s[18:19], s[2:3]
	s_cbranch_execz .LBB325_603
; %bb.602:                              ;   in Loop: Header=BB325_393 Depth=1
	v_and_b32_e32 v25, 7, v9
	v_lshrrev_b32_e32 v28, 3, v21
	v_cmp_gt_u32_e64 s[2:3], 8, v21
	v_ffbh_u32_e32 v21, v25
	v_min_u32_e32 v40, 32, v21
	v_subrev_u32_e32 v21, 28, v40
	v_lshlrev_b64 v[21:22], v21, v[9:10]
	v_sub_u32_e32 v9, 29, v40
	v_and_b32_e32 v21, 7, v21
	v_cndmask_b32_e64 v9, v28, v9, s[2:3]
	v_cndmask_b32_e64 v21, v25, v21, s[2:3]
	v_lshlrev_b32_e32 v22, 16, v19
	v_lshlrev_b32_e32 v21, 20, v21
	v_and_b32_e32 v22, 0x80000000, v22
	v_lshl_add_u32 v9, v9, 23, v60
	v_or3_b32 v40, v22, v9, v21
.LBB325_603:                            ;   in Loop: Header=BB325_393 Depth=1
	s_or_b64 exec, exec, s[18:19]
.LBB325_604:                            ;   in Loop: Header=BB325_393 Depth=1
	s_or_b64 exec, exec, s[16:17]
.LBB325_605:                            ;   in Loop: Header=BB325_393 Depth=1
	s_or_b64 exec, exec, s[14:15]
	v_lshrrev_b32_e32 v9, 16, v19
	v_cmp_ne_u16_sdwa s[2:3], v9, v10 src0_sel:BYTE_0 src1_sel:DWORD
	v_mov_b32_e32 v42, 0
	v_mov_b32_e32 v41, 0
	s_and_saveexec_b64 s[14:15], s[2:3]
	s_cbranch_execz .LBB325_611
; %bb.606:                              ;   in Loop: Header=BB325_393 Depth=1
	v_cmp_ne_u16_sdwa s[2:3], v9, s26 src0_sel:BYTE_0 src1_sel:DWORD
	v_bfrev_b32_e32 v41, 1
	s_and_saveexec_b64 s[16:17], s[2:3]
	s_cbranch_execz .LBB325_610
; %bb.607:                              ;   in Loop: Header=BB325_393 Depth=1
	v_bfe_u32 v21, v19, 16, 7
	v_cmp_ne_u32_e64 s[2:3], s27, v21
	v_mov_b32_e32 v41, 0x7f800001
	s_and_saveexec_b64 s[18:19], s[2:3]
	s_cbranch_execz .LBB325_609
; %bb.608:                              ;   in Loop: Header=BB325_393 Depth=1
	v_and_b32_e32 v25, 7, v9
	v_lshrrev_b32_e32 v28, 3, v21
	v_cmp_gt_u32_e64 s[2:3], 8, v21
	v_ffbh_u32_e32 v21, v25
	v_min_u32_e32 v41, 32, v21
	v_subrev_u32_e32 v21, 28, v41
	v_lshlrev_b64 v[21:22], v21, v[9:10]
	v_sub_u32_e32 v22, 29, v41
	v_and_b32_e32 v21, 7, v21
	v_cndmask_b32_e64 v22, v28, v22, s[2:3]
	v_cndmask_b32_e64 v21, v25, v21, s[2:3]
	v_lshlrev_b32_e32 v9, 24, v9
	v_lshlrev_b32_e32 v21, 20, v21
	v_and_b32_e32 v9, 0x80000000, v9
	v_lshl_add_u32 v22, v22, 23, v60
	v_or3_b32 v41, v9, v22, v21
.LBB325_609:                            ;   in Loop: Header=BB325_393 Depth=1
	s_or_b64 exec, exec, s[18:19]
.LBB325_610:                            ;   in Loop: Header=BB325_393 Depth=1
	s_or_b64 exec, exec, s[16:17]
.LBB325_611:                            ;   in Loop: Header=BB325_393 Depth=1
	s_or_b64 exec, exec, s[14:15]
	v_cmp_lt_u32_e64 s[2:3], s7, v19
	s_and_saveexec_b64 s[14:15], s[2:3]
	s_cbranch_execz .LBB325_617
; %bb.612:                              ;   in Loop: Header=BB325_393 Depth=1
	v_lshrrev_b32_e32 v9, 24, v19
	v_cmp_ne_u32_e64 s[2:3], s26, v9
	v_bfrev_b32_e32 v42, 1
	s_and_saveexec_b64 s[16:17], s[2:3]
	s_cbranch_execz .LBB325_616
; %bb.613:                              ;   in Loop: Header=BB325_393 Depth=1
	v_bfe_u32 v21, v19, 24, 7
	v_cmp_ne_u32_e64 s[2:3], s27, v21
	v_mov_b32_e32 v42, 0x7f800001
	s_and_saveexec_b64 s[18:19], s[2:3]
	s_cbranch_execz .LBB325_615
; %bb.614:                              ;   in Loop: Header=BB325_393 Depth=1
	v_and_b32_e32 v25, 7, v9
	v_lshrrev_b32_e32 v28, 3, v21
	v_cmp_gt_u32_e64 s[2:3], 8, v21
	v_ffbh_u32_e32 v21, v25
	v_min_u32_e32 v42, 32, v21
	v_subrev_u32_e32 v21, 28, v42
	v_lshlrev_b64 v[21:22], v21, v[9:10]
	v_sub_u32_e32 v22, 29, v42
	v_and_b32_e32 v21, 7, v21
	v_cndmask_b32_e64 v22, v28, v22, s[2:3]
	v_cndmask_b32_e64 v21, v25, v21, s[2:3]
	v_lshlrev_b32_e32 v9, 24, v9
	v_lshlrev_b32_e32 v21, 20, v21
	v_and_b32_e32 v9, 0x80000000, v9
	v_lshl_add_u32 v22, v22, 23, v60
	v_or3_b32 v42, v9, v22, v21
.LBB325_615:                            ;   in Loop: Header=BB325_393 Depth=1
	s_or_b64 exec, exec, s[18:19]
.LBB325_616:                            ;   in Loop: Header=BB325_393 Depth=1
	s_or_b64 exec, exec, s[16:17]
.LBB325_617:                            ;   in Loop: Header=BB325_393 Depth=1
	s_or_b64 exec, exec, s[14:15]
	v_mov_b32_e32 v9, v20
	v_cmp_ne_u16_sdwa s[2:3], v20, v10 src0_sel:BYTE_0 src1_sel:DWORD
	v_mov_b32_e32 v22, 0
	v_mov_b32_e32 v25, 0
	s_and_saveexec_b64 s[14:15], s[2:3]
	s_cbranch_execz .LBB325_623
; %bb.618:                              ;   in Loop: Header=BB325_393 Depth=1
	v_cmp_ne_u16_sdwa s[2:3], v20, s26 src0_sel:BYTE_0 src1_sel:DWORD
	v_bfrev_b32_e32 v25, 1
	s_and_saveexec_b64 s[16:17], s[2:3]
	s_cbranch_execz .LBB325_622
; %bb.619:                              ;   in Loop: Header=BB325_393 Depth=1
	v_and_b32_e32 v21, 0x7f, v20
	v_cmp_ne_u32_e64 s[2:3], s27, v21
	v_mov_b32_e32 v25, 0x7f800001
	s_and_saveexec_b64 s[18:19], s[2:3]
	s_cbranch_execz .LBB325_621
; %bb.620:                              ;   in Loop: Header=BB325_393 Depth=1
	v_and_b32_e32 v25, 7, v20
	v_lshrrev_b32_e32 v28, 3, v21
	v_cmp_gt_u32_e64 s[2:3], 8, v21
	v_ffbh_u32_e32 v21, v25
	v_min_u32_e32 v21, 32, v21
	v_subrev_u32_e32 v25, 28, v21
	v_cndmask_b32_e64 v25, 0, v25, s[2:3]
	v_lshlrev_b64 v[43:44], v25, v[9:10]
	v_sub_u32_e32 v21, 29, v21
	v_cndmask_b32_e64 v21, v28, v21, s[2:3]
	v_lshlrev_b32_e32 v25, 20, v43
	v_lshlrev_b32_e32 v28, 24, v9
	v_and_b32_e32 v25, 0x700000, v25
	v_and_b32_e32 v28, 0x80000000, v28
	v_lshl_add_u32 v21, v21, 23, v60
	v_or3_b32 v25, v28, v21, v25
.LBB325_621:                            ;   in Loop: Header=BB325_393 Depth=1
	s_or_b64 exec, exec, s[18:19]
.LBB325_622:                            ;   in Loop: Header=BB325_393 Depth=1
	s_or_b64 exec, exec, s[16:17]
.LBB325_623:                            ;   in Loop: Header=BB325_393 Depth=1
	s_or_b64 exec, exec, s[14:15]
	v_lshrrev_b16_e32 v21, 8, v9
	v_cmp_ne_u16_e64 s[2:3], 0, v21
	s_and_saveexec_b64 s[14:15], s[2:3]
	s_cbranch_execz .LBB325_629
; %bb.624:                              ;   in Loop: Header=BB325_393 Depth=1
	v_cmp_ne_u16_e64 s[2:3], s26, v21
	v_bfrev_b32_e32 v22, 1
	s_and_saveexec_b64 s[16:17], s[2:3]
	s_cbranch_execz .LBB325_628
; %bb.625:                              ;   in Loop: Header=BB325_393 Depth=1
	v_and_b32_e32 v28, 0x7f, v21
	v_cmp_ne_u32_e64 s[2:3], s27, v28
	v_mov_b32_e32 v22, 0x7f800001
	s_and_saveexec_b64 s[18:19], s[2:3]
	s_cbranch_execz .LBB325_627
; %bb.626:                              ;   in Loop: Header=BB325_393 Depth=1
	v_and_b32_e32 v43, 7, v21
	v_ffbh_u32_e32 v22, v43
	v_lshrrev_b32_e32 v44, 3, v28
	v_cmp_gt_u32_e64 s[2:3], 8, v28
	v_min_u32_e32 v28, 32, v22
	v_subrev_u32_e32 v22, 28, v28
	v_lshlrev_b64 v[21:22], v22, v[21:22]
	v_sub_u32_e32 v22, 29, v28
	v_and_b32_e32 v21, 7, v21
	v_cndmask_b32_e64 v22, v44, v22, s[2:3]
	v_cndmask_b32_e64 v21, v43, v21, s[2:3]
	v_lshlrev_b32_e32 v9, 16, v9
	v_lshlrev_b32_e32 v21, 20, v21
	v_and_b32_e32 v9, 0x80000000, v9
	v_lshl_add_u32 v22, v22, 23, v60
	v_or3_b32 v22, v9, v22, v21
.LBB325_627:                            ;   in Loop: Header=BB325_393 Depth=1
	s_or_b64 exec, exec, s[18:19]
.LBB325_628:                            ;   in Loop: Header=BB325_393 Depth=1
	s_or_b64 exec, exec, s[16:17]
.LBB325_629:                            ;   in Loop: Header=BB325_393 Depth=1
	s_or_b64 exec, exec, s[14:15]
	v_lshrrev_b32_e32 v9, 16, v20
	v_cmp_ne_u16_sdwa s[2:3], v9, v10 src0_sel:BYTE_0 src1_sel:DWORD
	v_mov_b32_e32 v21, 0
	v_mov_b32_e32 v43, 0
	s_and_saveexec_b64 s[14:15], s[2:3]
	s_cbranch_execz .LBB325_635
; %bb.630:                              ;   in Loop: Header=BB325_393 Depth=1
	v_cmp_ne_u16_sdwa s[2:3], v9, s26 src0_sel:BYTE_0 src1_sel:DWORD
	v_bfrev_b32_e32 v43, 1
	s_and_saveexec_b64 s[16:17], s[2:3]
	s_cbranch_execz .LBB325_634
; %bb.631:                              ;   in Loop: Header=BB325_393 Depth=1
	v_bfe_u32 v28, v20, 16, 7
	v_cmp_ne_u32_e64 s[2:3], s27, v28
	v_mov_b32_e32 v43, 0x7f800001
	s_and_saveexec_b64 s[18:19], s[2:3]
	s_cbranch_execz .LBB325_633
; %bb.632:                              ;   in Loop: Header=BB325_393 Depth=1
	v_and_b32_e32 v45, 7, v9
	v_lshrrev_b32_e32 v46, 3, v28
	v_cmp_gt_u32_e64 s[2:3], 8, v28
	v_ffbh_u32_e32 v28, v45
	v_min_u32_e32 v28, 32, v28
	v_subrev_u32_e32 v43, 28, v28
	v_lshlrev_b64 v[43:44], v43, v[9:10]
	v_sub_u32_e32 v28, 29, v28
	v_and_b32_e32 v43, 7, v43
	v_cndmask_b32_e64 v28, v46, v28, s[2:3]
	v_cndmask_b32_e64 v43, v45, v43, s[2:3]
	v_lshlrev_b32_e32 v9, 24, v9
	v_lshlrev_b32_e32 v43, 20, v43
	v_and_b32_e32 v9, 0x80000000, v9
	v_lshl_add_u32 v28, v28, 23, v60
	v_or3_b32 v43, v9, v28, v43
.LBB325_633:                            ;   in Loop: Header=BB325_393 Depth=1
	s_or_b64 exec, exec, s[18:19]
.LBB325_634:                            ;   in Loop: Header=BB325_393 Depth=1
	s_or_b64 exec, exec, s[16:17]
.LBB325_635:                            ;   in Loop: Header=BB325_393 Depth=1
	s_or_b64 exec, exec, s[14:15]
	v_cmp_lt_u64_e64 s[2:3], s[6:7], v[19:20]
	s_and_saveexec_b64 s[14:15], s[2:3]
	s_cbranch_execz .LBB325_641
; %bb.636:                              ;   in Loop: Header=BB325_393 Depth=1
	v_lshrrev_b32_e32 v9, 24, v20
	v_cmp_ne_u32_e64 s[2:3], s26, v9
	v_bfrev_b32_e32 v21, 1
	s_and_saveexec_b64 s[16:17], s[2:3]
	s_cbranch_execz .LBB325_640
; %bb.637:                              ;   in Loop: Header=BB325_393 Depth=1
	v_bfe_u32 v19, v20, 24, 7
	v_cmp_ne_u32_e64 s[2:3], s27, v19
	v_mov_b32_e32 v21, 0x7f800001
	s_and_saveexec_b64 s[18:19], s[2:3]
	s_cbranch_execz .LBB325_639
; %bb.638:                              ;   in Loop: Header=BB325_393 Depth=1
	v_and_b32_e32 v21, 7, v9
	v_lshrrev_b32_e32 v28, 3, v19
	v_cmp_gt_u32_e64 s[2:3], 8, v19
	v_ffbh_u32_e32 v19, v21
	v_min_u32_e32 v44, 32, v19
	v_subrev_u32_e32 v19, 28, v44
	v_lshlrev_b64 v[19:20], v19, v[9:10]
	v_sub_u32_e32 v20, 29, v44
	v_and_b32_e32 v19, 7, v19
	v_cndmask_b32_e64 v20, v28, v20, s[2:3]
	v_cndmask_b32_e64 v19, v21, v19, s[2:3]
	v_lshlrev_b32_e32 v9, 24, v9
	v_lshlrev_b32_e32 v19, 20, v19
	v_and_b32_e32 v9, 0x80000000, v9
	v_lshl_add_u32 v20, v20, 23, v60
	v_or3_b32 v21, v9, v20, v19
.LBB325_639:                            ;   in Loop: Header=BB325_393 Depth=1
	s_or_b64 exec, exec, s[18:19]
.LBB325_640:                            ;   in Loop: Header=BB325_393 Depth=1
	s_or_b64 exec, exec, s[16:17]
.LBB325_641:                            ;   in Loop: Header=BB325_393 Depth=1
	s_or_b64 exec, exec, s[14:15]
	v_mul_f32_e32 v9, s29, v22
	v_bfe_u32 v19, v9, 16, 1
	v_add3_u32 v19, v19, v9, s33
	v_or_b32_e32 v20, 0x400000, v9
	v_cmp_u_f32_e64 s[2:3], v9, v9
	v_cndmask_b32_e64 v9, v19, v20, s[2:3]
	v_lshrrev_b32_e32 v22, 16, v9
	v_mul_f32_e32 v9, s29, v25
	v_bfe_u32 v19, v9, 16, 1
	v_add3_u32 v19, v19, v9, s33
	v_or_b32_e32 v20, 0x400000, v9
	v_cmp_u_f32_e64 s[2:3], v9, v9
	v_cndmask_b32_e64 v9, v19, v20, s[2:3]
	v_lshrrev_b32_e32 v28, 16, v9
	;; [unrolled: 7-line block ×8, first 2 shown]
	s_and_saveexec_b64 s[14:15], s[0:1]
	s_cbranch_execz .LBB325_643
; %bb.642:                              ;   in Loop: Header=BB325_393 Depth=1
	v_cmp_gt_i32_e64 s[2:3], s30, v26
	v_add_u32_e32 v9, -6, v37
	v_cndmask_b32_e64 v44, 0, v44, s[2:3]
	v_cmp_gt_i32_e64 s[2:3], s30, v9
	v_add_u32_e32 v9, -5, v37
	v_cndmask_b32_e64 v45, 0, v45, s[2:3]
	v_cmp_gt_i32_e64 s[2:3], s30, v9
	v_add_u32_e32 v9, -4, v37
	v_cndmask_b32_e64 v41, 0, v41, s[2:3]
	v_cmp_gt_i32_e64 s[2:3], s30, v9
	v_add_u32_e32 v9, -3, v37
	v_cndmask_b32_e64 v42, 0, v42, s[2:3]
	v_cmp_gt_i32_e64 s[2:3], s30, v9
	v_add_u32_e32 v9, -2, v37
	v_cndmask_b32_e64 v28, 0, v28, s[2:3]
	v_cmp_gt_i32_e64 s[2:3], s30, v9
	v_add_u32_e32 v9, -1, v37
	v_cndmask_b32_e64 v22, 0, v22, s[2:3]
	v_cmp_gt_i32_e64 s[2:3], s30, v9
	v_cndmask_b32_e64 v40, 0, v40, s[2:3]
	v_cmp_gt_i32_e64 s[2:3], s30, v37
	v_cndmask_b32_e64 v43, 0, v43, s[2:3]
.LBB325_643:                            ;   in Loop: Header=BB325_393 Depth=1
	s_or_b64 exec, exec, s[14:15]
	global_load_dwordx2 v[19:20], v[17:18], off offset:2560
	v_mov_b32_e32 v48, 0
	v_mov_b32_e32 v46, 0
	s_waitcnt vmcnt(0)
	v_cmp_ne_u16_sdwa s[2:3], v19, v10 src0_sel:BYTE_0 src1_sel:DWORD
	s_and_saveexec_b64 s[14:15], s[2:3]
	s_cbranch_execz .LBB325_649
; %bb.644:                              ;   in Loop: Header=BB325_393 Depth=1
	v_cmp_ne_u16_sdwa s[2:3], v19, s26 src0_sel:BYTE_0 src1_sel:DWORD
	v_bfrev_b32_e32 v46, 1
	s_and_saveexec_b64 s[16:17], s[2:3]
	s_cbranch_execz .LBB325_648
; %bb.645:                              ;   in Loop: Header=BB325_393 Depth=1
	v_and_b32_e32 v9, 0x7f, v19
	v_cmp_ne_u32_e64 s[2:3], s27, v9
	v_mov_b32_e32 v46, 0x7f800001
	s_and_saveexec_b64 s[18:19], s[2:3]
	s_cbranch_execz .LBB325_647
; %bb.646:                              ;   in Loop: Header=BB325_393 Depth=1
	v_and_b32_e32 v21, 7, v19
	v_lshrrev_b32_e32 v25, 3, v9
	v_cmp_gt_u32_e64 s[2:3], 8, v9
	v_ffbh_u32_e32 v9, v21
	v_min_u32_e32 v9, 32, v9
	v_subrev_u32_e32 v21, 28, v9
	v_cndmask_b32_e64 v21, 0, v21, s[2:3]
	v_lshlrev_b64 v[46:47], v21, v[19:20]
	v_sub_u32_e32 v9, 29, v9
	v_cndmask_b32_e64 v9, v25, v9, s[2:3]
	v_lshlrev_b32_e32 v21, 20, v46
	v_lshlrev_b32_e32 v25, 24, v19
	v_and_b32_e32 v21, 0x700000, v21
	v_and_b32_e32 v25, 0x80000000, v25
	v_lshl_add_u32 v9, v9, 23, v60
	v_or3_b32 v46, v25, v9, v21
.LBB325_647:                            ;   in Loop: Header=BB325_393 Depth=1
	s_or_b64 exec, exec, s[18:19]
.LBB325_648:                            ;   in Loop: Header=BB325_393 Depth=1
	s_or_b64 exec, exec, s[16:17]
.LBB325_649:                            ;   in Loop: Header=BB325_393 Depth=1
	s_or_b64 exec, exec, s[14:15]
	v_lshrrev_b16_e32 v9, 8, v19
	v_cmp_ne_u16_e64 s[2:3], 0, v9
	s_and_saveexec_b64 s[14:15], s[2:3]
	s_cbranch_execz .LBB325_655
; %bb.650:                              ;   in Loop: Header=BB325_393 Depth=1
	v_cmp_ne_u16_e64 s[2:3], s26, v9
	v_bfrev_b32_e32 v48, 1
	s_and_saveexec_b64 s[16:17], s[2:3]
	s_cbranch_execz .LBB325_654
; %bb.651:                              ;   in Loop: Header=BB325_393 Depth=1
	v_and_b32_e32 v21, 0x7f, v9
	v_cmp_ne_u32_e64 s[2:3], s27, v21
	v_mov_b32_e32 v48, 0x7f800001
	s_and_saveexec_b64 s[18:19], s[2:3]
	s_cbranch_execz .LBB325_653
; %bb.652:                              ;   in Loop: Header=BB325_393 Depth=1
	v_and_b32_e32 v25, 7, v9
	v_lshrrev_b32_e32 v39, 3, v21
	v_cmp_gt_u32_e64 s[2:3], 8, v21
	v_ffbh_u32_e32 v21, v25
	v_min_u32_e32 v21, 32, v21
	v_subrev_u32_e32 v47, 28, v21
	v_lshlrev_b64 v[47:48], v47, v[9:10]
	v_sub_u32_e32 v9, 29, v21
	v_and_b32_e32 v21, 7, v47
	v_cndmask_b32_e64 v9, v39, v9, s[2:3]
	v_cndmask_b32_e64 v21, v25, v21, s[2:3]
	v_lshlrev_b32_e32 v25, 16, v19
	v_lshlrev_b32_e32 v21, 20, v21
	v_and_b32_e32 v25, 0x80000000, v25
	v_lshl_add_u32 v9, v9, 23, v60
	v_or3_b32 v48, v25, v9, v21
.LBB325_653:                            ;   in Loop: Header=BB325_393 Depth=1
	s_or_b64 exec, exec, s[18:19]
.LBB325_654:                            ;   in Loop: Header=BB325_393 Depth=1
	s_or_b64 exec, exec, s[16:17]
.LBB325_655:                            ;   in Loop: Header=BB325_393 Depth=1
	s_or_b64 exec, exec, s[14:15]
	v_lshrrev_b32_e32 v9, 16, v19
	v_cmp_ne_u16_sdwa s[2:3], v9, v10 src0_sel:BYTE_0 src1_sel:DWORD
	v_mov_b32_e32 v39, 0
	v_mov_b32_e32 v47, 0
	s_and_saveexec_b64 s[14:15], s[2:3]
	s_cbranch_execz .LBB325_661
; %bb.656:                              ;   in Loop: Header=BB325_393 Depth=1
	v_cmp_ne_u16_sdwa s[2:3], v9, s26 src0_sel:BYTE_0 src1_sel:DWORD
	v_bfrev_b32_e32 v47, 1
	s_and_saveexec_b64 s[16:17], s[2:3]
	s_cbranch_execz .LBB325_660
; %bb.657:                              ;   in Loop: Header=BB325_393 Depth=1
	v_bfe_u32 v21, v19, 16, 7
	v_cmp_ne_u32_e64 s[2:3], s27, v21
	v_mov_b32_e32 v47, 0x7f800001
	s_and_saveexec_b64 s[18:19], s[2:3]
	s_cbranch_execz .LBB325_659
; %bb.658:                              ;   in Loop: Header=BB325_393 Depth=1
	v_and_b32_e32 v25, 7, v9
	v_lshrrev_b32_e32 v47, 3, v21
	v_cmp_gt_u32_e64 s[2:3], 8, v21
	v_ffbh_u32_e32 v21, v25
	v_min_u32_e32 v21, 32, v21
	v_subrev_u32_e32 v49, 28, v21
	v_lshlrev_b64 v[49:50], v49, v[9:10]
	v_sub_u32_e32 v21, 29, v21
	v_and_b32_e32 v49, 7, v49
	v_cndmask_b32_e64 v21, v47, v21, s[2:3]
	v_cndmask_b32_e64 v25, v25, v49, s[2:3]
	v_lshlrev_b32_e32 v9, 24, v9
	v_lshlrev_b32_e32 v25, 20, v25
	v_and_b32_e32 v9, 0x80000000, v9
	v_lshl_add_u32 v21, v21, 23, v60
	v_or3_b32 v47, v9, v21, v25
.LBB325_659:                            ;   in Loop: Header=BB325_393 Depth=1
	s_or_b64 exec, exec, s[18:19]
.LBB325_660:                            ;   in Loop: Header=BB325_393 Depth=1
	s_or_b64 exec, exec, s[16:17]
.LBB325_661:                            ;   in Loop: Header=BB325_393 Depth=1
	s_or_b64 exec, exec, s[14:15]
	v_cmp_lt_u32_e64 s[2:3], s7, v19
	s_and_saveexec_b64 s[14:15], s[2:3]
	s_cbranch_execz .LBB325_667
; %bb.662:                              ;   in Loop: Header=BB325_393 Depth=1
	v_lshrrev_b32_e32 v9, 24, v19
	v_cmp_ne_u32_e64 s[2:3], s26, v9
	v_bfrev_b32_e32 v39, 1
	s_and_saveexec_b64 s[16:17], s[2:3]
	s_cbranch_execz .LBB325_666
; %bb.663:                              ;   in Loop: Header=BB325_393 Depth=1
	v_bfe_u32 v21, v19, 24, 7
	v_cmp_ne_u32_e64 s[2:3], s27, v21
	v_mov_b32_e32 v39, 0x7f800001
	s_and_saveexec_b64 s[18:19], s[2:3]
	s_cbranch_execz .LBB325_665
; %bb.664:                              ;   in Loop: Header=BB325_393 Depth=1
	v_and_b32_e32 v25, 7, v9
	v_lshrrev_b32_e32 v39, 3, v21
	v_cmp_gt_u32_e64 s[2:3], 8, v21
	v_ffbh_u32_e32 v21, v25
	v_min_u32_e32 v21, 32, v21
	v_subrev_u32_e32 v49, 28, v21
	v_lshlrev_b64 v[49:50], v49, v[9:10]
	v_sub_u32_e32 v21, 29, v21
	v_and_b32_e32 v49, 7, v49
	v_cndmask_b32_e64 v21, v39, v21, s[2:3]
	v_cndmask_b32_e64 v25, v25, v49, s[2:3]
	v_lshlrev_b32_e32 v9, 24, v9
	v_lshlrev_b32_e32 v25, 20, v25
	v_and_b32_e32 v9, 0x80000000, v9
	v_lshl_add_u32 v21, v21, 23, v60
	v_or3_b32 v39, v9, v21, v25
.LBB325_665:                            ;   in Loop: Header=BB325_393 Depth=1
	s_or_b64 exec, exec, s[18:19]
.LBB325_666:                            ;   in Loop: Header=BB325_393 Depth=1
	s_or_b64 exec, exec, s[16:17]
.LBB325_667:                            ;   in Loop: Header=BB325_393 Depth=1
	s_or_b64 exec, exec, s[14:15]
	v_mov_b32_e32 v9, v20
	v_cmp_ne_u16_sdwa s[2:3], v20, v10 src0_sel:BYTE_0 src1_sel:DWORD
	v_mov_b32_e32 v49, 0
	v_mov_b32_e32 v25, 0
	s_and_saveexec_b64 s[14:15], s[2:3]
	s_cbranch_execz .LBB325_673
; %bb.668:                              ;   in Loop: Header=BB325_393 Depth=1
	v_cmp_ne_u16_sdwa s[2:3], v20, s26 src0_sel:BYTE_0 src1_sel:DWORD
	v_bfrev_b32_e32 v25, 1
	s_and_saveexec_b64 s[16:17], s[2:3]
	s_cbranch_execz .LBB325_672
; %bb.669:                              ;   in Loop: Header=BB325_393 Depth=1
	v_and_b32_e32 v21, 0x7f, v20
	v_cmp_ne_u32_e64 s[2:3], s27, v21
	v_mov_b32_e32 v25, 0x7f800001
	s_and_saveexec_b64 s[18:19], s[2:3]
	s_cbranch_execz .LBB325_671
; %bb.670:                              ;   in Loop: Header=BB325_393 Depth=1
	v_and_b32_e32 v25, 7, v20
	v_lshrrev_b32_e32 v50, 3, v21
	v_cmp_gt_u32_e64 s[2:3], 8, v21
	v_ffbh_u32_e32 v21, v25
	v_min_u32_e32 v21, 32, v21
	v_subrev_u32_e32 v25, 28, v21
	v_sub_u32_e32 v21, 29, v21
	v_cndmask_b32_e64 v25, 0, v25, s[2:3]
	v_cndmask_b32_e64 v21, v50, v21, s[2:3]
	v_lshlrev_b64 v[50:51], v25, v[9:10]
	v_lshl_add_u32 v21, v21, 23, v60
	v_lshlrev_b32_e32 v25, 20, v50
	v_lshlrev_b32_e32 v50, 24, v9
	v_and_b32_e32 v25, 0x700000, v25
	v_and_b32_e32 v50, 0x80000000, v50
	v_or3_b32 v25, v50, v21, v25
.LBB325_671:                            ;   in Loop: Header=BB325_393 Depth=1
	s_or_b64 exec, exec, s[18:19]
.LBB325_672:                            ;   in Loop: Header=BB325_393 Depth=1
	s_or_b64 exec, exec, s[16:17]
.LBB325_673:                            ;   in Loop: Header=BB325_393 Depth=1
	s_or_b64 exec, exec, s[14:15]
	v_lshrrev_b16_e32 v21, 8, v9
	v_cmp_ne_u16_e64 s[2:3], 0, v21
	s_and_saveexec_b64 s[14:15], s[2:3]
	s_cbranch_execz .LBB325_679
; %bb.674:                              ;   in Loop: Header=BB325_393 Depth=1
	v_cmp_ne_u16_e64 s[2:3], s26, v21
	v_bfrev_b32_e32 v49, 1
	s_and_saveexec_b64 s[16:17], s[2:3]
	s_cbranch_execz .LBB325_678
; %bb.675:                              ;   in Loop: Header=BB325_393 Depth=1
	v_and_b32_e32 v50, 0x7f, v21
	v_cmp_ne_u32_e64 s[2:3], s27, v50
	v_mov_b32_e32 v49, 0x7f800001
	s_and_saveexec_b64 s[18:19], s[2:3]
	s_cbranch_execz .LBB325_677
; %bb.676:                              ;   in Loop: Header=BB325_393 Depth=1
	v_and_b32_e32 v51, 7, v21
	v_ffbh_u32_e32 v49, v51
	v_min_u32_e32 v53, 32, v49
	v_subrev_u32_e32 v49, 28, v53
	v_lshrrev_b32_e32 v52, 3, v50
	v_cmp_gt_u32_e64 s[2:3], 8, v50
	v_lshlrev_b64 v[49:50], v49, v[21:22]
	v_sub_u32_e32 v21, 29, v53
	v_and_b32_e32 v49, 7, v49
	v_cndmask_b32_e64 v21, v52, v21, s[2:3]
	v_cndmask_b32_e64 v49, v51, v49, s[2:3]
	v_lshlrev_b32_e32 v9, 16, v9
	v_lshlrev_b32_e32 v49, 20, v49
	v_and_b32_e32 v9, 0x80000000, v9
	v_lshl_add_u32 v21, v21, 23, v60
	v_or3_b32 v49, v9, v21, v49
.LBB325_677:                            ;   in Loop: Header=BB325_393 Depth=1
	s_or_b64 exec, exec, s[18:19]
.LBB325_678:                            ;   in Loop: Header=BB325_393 Depth=1
	s_or_b64 exec, exec, s[16:17]
.LBB325_679:                            ;   in Loop: Header=BB325_393 Depth=1
	s_or_b64 exec, exec, s[14:15]
	v_lshrrev_b32_e32 v9, 16, v20
	v_cmp_ne_u16_sdwa s[2:3], v9, v10 src0_sel:BYTE_0 src1_sel:DWORD
	v_mov_b32_e32 v51, 0
	v_mov_b32_e32 v52, 0
	s_and_saveexec_b64 s[14:15], s[2:3]
	s_cbranch_execz .LBB325_685
; %bb.680:                              ;   in Loop: Header=BB325_393 Depth=1
	v_cmp_ne_u16_sdwa s[2:3], v9, s26 src0_sel:BYTE_0 src1_sel:DWORD
	v_bfrev_b32_e32 v52, 1
	s_and_saveexec_b64 s[16:17], s[2:3]
	s_cbranch_execz .LBB325_684
; %bb.681:                              ;   in Loop: Header=BB325_393 Depth=1
	v_bfe_u32 v21, v20, 16, 7
	v_cmp_ne_u32_e64 s[2:3], s27, v21
	v_mov_b32_e32 v52, 0x7f800001
	s_and_saveexec_b64 s[18:19], s[2:3]
	s_cbranch_execz .LBB325_683
; %bb.682:                              ;   in Loop: Header=BB325_393 Depth=1
	v_and_b32_e32 v50, 7, v9
	v_lshrrev_b32_e32 v54, 3, v21
	v_cmp_gt_u32_e64 s[2:3], 8, v21
	v_ffbh_u32_e32 v21, v50
	v_min_u32_e32 v21, 32, v21
	v_subrev_u32_e32 v52, 28, v21
	v_lshlrev_b64 v[52:53], v52, v[9:10]
	v_sub_u32_e32 v21, 29, v21
	v_and_b32_e32 v52, 7, v52
	v_cndmask_b32_e64 v21, v54, v21, s[2:3]
	v_cndmask_b32_e64 v50, v50, v52, s[2:3]
	v_lshlrev_b32_e32 v9, 24, v9
	v_lshlrev_b32_e32 v50, 20, v50
	v_and_b32_e32 v9, 0x80000000, v9
	v_lshl_add_u32 v21, v21, 23, v60
	v_or3_b32 v52, v9, v21, v50
.LBB325_683:                            ;   in Loop: Header=BB325_393 Depth=1
	s_or_b64 exec, exec, s[18:19]
.LBB325_684:                            ;   in Loop: Header=BB325_393 Depth=1
	s_or_b64 exec, exec, s[16:17]
.LBB325_685:                            ;   in Loop: Header=BB325_393 Depth=1
	s_or_b64 exec, exec, s[14:15]
	v_cmp_lt_u64_e64 s[2:3], s[6:7], v[19:20]
	s_and_saveexec_b64 s[14:15], s[2:3]
	s_cbranch_execz .LBB325_691
; %bb.686:                              ;   in Loop: Header=BB325_393 Depth=1
	v_lshrrev_b32_e32 v9, 24, v20
	v_cmp_ne_u32_e64 s[2:3], s26, v9
	v_bfrev_b32_e32 v51, 1
	s_and_saveexec_b64 s[16:17], s[2:3]
	s_cbranch_execz .LBB325_690
; %bb.687:                              ;   in Loop: Header=BB325_393 Depth=1
	v_bfe_u32 v19, v20, 24, 7
	v_cmp_ne_u32_e64 s[2:3], s27, v19
	v_mov_b32_e32 v51, 0x7f800001
	s_and_saveexec_b64 s[18:19], s[2:3]
	s_cbranch_execz .LBB325_689
; %bb.688:                              ;   in Loop: Header=BB325_393 Depth=1
	v_and_b32_e32 v21, 7, v9
	v_lshrrev_b32_e32 v50, 3, v19
	v_cmp_gt_u32_e64 s[2:3], 8, v19
	v_ffbh_u32_e32 v19, v21
	v_min_u32_e32 v51, 32, v19
	v_subrev_u32_e32 v19, 28, v51
	v_lshlrev_b64 v[19:20], v19, v[9:10]
	v_sub_u32_e32 v20, 29, v51
	v_and_b32_e32 v19, 7, v19
	v_cndmask_b32_e64 v20, v50, v20, s[2:3]
	v_cndmask_b32_e64 v19, v21, v19, s[2:3]
	v_lshlrev_b32_e32 v9, 24, v9
	v_lshlrev_b32_e32 v19, 20, v19
	v_and_b32_e32 v9, 0x80000000, v9
	v_lshl_add_u32 v20, v20, 23, v60
	v_or3_b32 v51, v9, v20, v19
.LBB325_689:                            ;   in Loop: Header=BB325_393 Depth=1
	s_or_b64 exec, exec, s[18:19]
.LBB325_690:                            ;   in Loop: Header=BB325_393 Depth=1
	s_or_b64 exec, exec, s[16:17]
.LBB325_691:                            ;   in Loop: Header=BB325_393 Depth=1
	s_or_b64 exec, exec, s[14:15]
	v_mul_f32_e32 v9, s29, v49
	v_bfe_u32 v19, v9, 16, 1
	v_add3_u32 v19, v19, v9, s33
	v_or_b32_e32 v20, 0x400000, v9
	v_cmp_u_f32_e64 s[2:3], v9, v9
	v_cndmask_b32_e64 v9, v19, v20, s[2:3]
	v_lshrrev_b32_e32 v21, 16, v9
	v_mul_f32_e32 v9, s29, v25
	v_bfe_u32 v19, v9, 16, 1
	v_add3_u32 v19, v19, v9, s33
	v_or_b32_e32 v20, 0x400000, v9
	v_cmp_u_f32_e64 s[2:3], v9, v9
	v_cndmask_b32_e64 v9, v19, v20, s[2:3]
	v_lshrrev_b32_e32 v20, 16, v9
	;; [unrolled: 7-line block ×8, first 2 shown]
	s_and_saveexec_b64 s[14:15], s[0:1]
	s_cbranch_execz .LBB325_693
; %bb.692:                              ;   in Loop: Header=BB325_393 Depth=1
	v_cmp_gt_i32_e64 s[2:3], s30, v26
	v_add_u32_e32 v9, -6, v37
	v_cndmask_b32_e64 v49, 0, v49, s[2:3]
	v_cmp_gt_i32_e64 s[2:3], s30, v9
	v_add_u32_e32 v9, -5, v37
	v_cndmask_b32_e64 v50, 0, v50, s[2:3]
	v_cmp_gt_i32_e64 s[2:3], s30, v9
	v_add_u32_e32 v9, -4, v37
	v_cndmask_b32_e64 v47, 0, v47, s[2:3]
	v_cmp_gt_i32_e64 s[2:3], s30, v9
	v_add_u32_e32 v9, -3, v37
	v_cndmask_b32_e64 v39, 0, v39, s[2:3]
	v_cmp_gt_i32_e64 s[2:3], s30, v9
	v_add_u32_e32 v9, -2, v37
	v_cndmask_b32_e64 v20, 0, v20, s[2:3]
	v_cmp_gt_i32_e64 s[2:3], s30, v9
	v_add_u32_e32 v9, -1, v37
	v_cndmask_b32_e64 v21, 0, v21, s[2:3]
	v_cmp_gt_i32_e64 s[2:3], s30, v9
	v_cndmask_b32_e64 v46, 0, v46, s[2:3]
	v_cmp_gt_i32_e64 s[2:3], s30, v37
	v_cndmask_b32_e64 v48, 0, v48, s[2:3]
.LBB325_693:                            ;   in Loop: Header=BB325_393 Depth=1
	s_or_b64 exec, exec, s[14:15]
	global_load_dwordx2 v[17:18], v[17:18], off offset:3072
	v_mov_b32_e32 v54, 0
	v_mov_b32_e32 v52, 0
	s_waitcnt vmcnt(0)
	v_cmp_ne_u16_sdwa s[2:3], v17, v10 src0_sel:BYTE_0 src1_sel:DWORD
	s_and_saveexec_b64 s[14:15], s[2:3]
	s_cbranch_execz .LBB325_699
; %bb.694:                              ;   in Loop: Header=BB325_393 Depth=1
	v_cmp_ne_u16_sdwa s[2:3], v17, s26 src0_sel:BYTE_0 src1_sel:DWORD
	v_bfrev_b32_e32 v52, 1
	s_and_saveexec_b64 s[16:17], s[2:3]
	s_cbranch_execz .LBB325_698
; %bb.695:                              ;   in Loop: Header=BB325_393 Depth=1
	v_and_b32_e32 v9, 0x7f, v17
	v_cmp_ne_u32_e64 s[2:3], s27, v9
	v_mov_b32_e32 v52, 0x7f800001
	s_and_saveexec_b64 s[18:19], s[2:3]
	s_cbranch_execz .LBB325_697
; %bb.696:                              ;   in Loop: Header=BB325_393 Depth=1
	v_and_b32_e32 v19, 7, v17
	v_lshrrev_b32_e32 v25, 3, v9
	v_cmp_gt_u32_e64 s[2:3], 8, v9
	v_ffbh_u32_e32 v9, v19
	v_min_u32_e32 v9, 32, v9
	v_subrev_u32_e32 v19, 28, v9
	v_cndmask_b32_e64 v19, 0, v19, s[2:3]
	v_lshlrev_b64 v[51:52], v19, v[17:18]
	v_sub_u32_e32 v9, 29, v9
	v_cndmask_b32_e64 v9, v25, v9, s[2:3]
	v_lshlrev_b32_e32 v19, 20, v51
	v_lshlrev_b32_e32 v25, 24, v17
	v_and_b32_e32 v19, 0x700000, v19
	v_and_b32_e32 v25, 0x80000000, v25
	v_lshl_add_u32 v9, v9, 23, v60
	v_or3_b32 v52, v25, v9, v19
.LBB325_697:                            ;   in Loop: Header=BB325_393 Depth=1
	s_or_b64 exec, exec, s[18:19]
.LBB325_698:                            ;   in Loop: Header=BB325_393 Depth=1
	s_or_b64 exec, exec, s[16:17]
.LBB325_699:                            ;   in Loop: Header=BB325_393 Depth=1
	s_or_b64 exec, exec, s[14:15]
	v_lshrrev_b16_e32 v9, 8, v17
	v_cmp_ne_u16_e64 s[2:3], 0, v9
	s_and_saveexec_b64 s[14:15], s[2:3]
	s_cbranch_execz .LBB325_705
; %bb.700:                              ;   in Loop: Header=BB325_393 Depth=1
	v_cmp_ne_u16_e64 s[2:3], s26, v9
	v_bfrev_b32_e32 v54, 1
	s_and_saveexec_b64 s[16:17], s[2:3]
	s_cbranch_execz .LBB325_704
; %bb.701:                              ;   in Loop: Header=BB325_393 Depth=1
	v_and_b32_e32 v19, 0x7f, v9
	v_cmp_ne_u32_e64 s[2:3], s27, v19
	v_mov_b32_e32 v54, 0x7f800001
	s_and_saveexec_b64 s[18:19], s[2:3]
	s_cbranch_execz .LBB325_703
; %bb.702:                              ;   in Loop: Header=BB325_393 Depth=1
	v_and_b32_e32 v25, 7, v9
	v_lshrrev_b32_e32 v51, 3, v19
	v_cmp_gt_u32_e64 s[2:3], 8, v19
	v_ffbh_u32_e32 v19, v25
	v_min_u32_e32 v19, 32, v19
	v_subrev_u32_e32 v53, 28, v19
	v_lshlrev_b64 v[53:54], v53, v[9:10]
	v_sub_u32_e32 v9, 29, v19
	v_and_b32_e32 v19, 7, v53
	v_cndmask_b32_e64 v9, v51, v9, s[2:3]
	v_cndmask_b32_e64 v19, v25, v19, s[2:3]
	v_lshlrev_b32_e32 v25, 16, v17
	v_lshlrev_b32_e32 v19, 20, v19
	v_and_b32_e32 v25, 0x80000000, v25
	v_lshl_add_u32 v9, v9, 23, v60
	v_or3_b32 v54, v25, v9, v19
.LBB325_703:                            ;   in Loop: Header=BB325_393 Depth=1
	s_or_b64 exec, exec, s[18:19]
.LBB325_704:                            ;   in Loop: Header=BB325_393 Depth=1
	s_or_b64 exec, exec, s[16:17]
.LBB325_705:                            ;   in Loop: Header=BB325_393 Depth=1
	s_or_b64 exec, exec, s[14:15]
	v_lshrrev_b32_e32 v9, 16, v17
	v_cmp_ne_u16_sdwa s[2:3], v9, v10 src0_sel:BYTE_0 src1_sel:DWORD
	v_mov_b32_e32 v53, 0
	v_mov_b32_e32 v51, 0
	s_and_saveexec_b64 s[14:15], s[2:3]
	s_cbranch_execz .LBB325_711
; %bb.706:                              ;   in Loop: Header=BB325_393 Depth=1
	v_cmp_ne_u16_sdwa s[2:3], v9, s26 src0_sel:BYTE_0 src1_sel:DWORD
	v_bfrev_b32_e32 v51, 1
	s_and_saveexec_b64 s[16:17], s[2:3]
	s_cbranch_execz .LBB325_710
; %bb.707:                              ;   in Loop: Header=BB325_393 Depth=1
	v_bfe_u32 v19, v17, 16, 7
	v_cmp_ne_u32_e64 s[2:3], s27, v19
	v_mov_b32_e32 v51, 0x7f800001
	s_and_saveexec_b64 s[18:19], s[2:3]
	s_cbranch_execz .LBB325_709
; %bb.708:                              ;   in Loop: Header=BB325_393 Depth=1
	v_and_b32_e32 v25, 7, v9
	v_lshrrev_b32_e32 v51, 3, v19
	v_cmp_gt_u32_e64 s[2:3], 8, v19
	v_ffbh_u32_e32 v19, v25
	v_min_u32_e32 v19, 32, v19
	v_subrev_u32_e32 v55, 28, v19
	v_lshlrev_b64 v[55:56], v55, v[9:10]
	v_sub_u32_e32 v19, 29, v19
	v_and_b32_e32 v55, 7, v55
	v_cndmask_b32_e64 v19, v51, v19, s[2:3]
	v_cndmask_b32_e64 v25, v25, v55, s[2:3]
	v_lshlrev_b32_e32 v9, 24, v9
	v_lshlrev_b32_e32 v25, 20, v25
	v_and_b32_e32 v9, 0x80000000, v9
	v_lshl_add_u32 v19, v19, 23, v60
	v_or3_b32 v51, v9, v19, v25
.LBB325_709:                            ;   in Loop: Header=BB325_393 Depth=1
	s_or_b64 exec, exec, s[18:19]
.LBB325_710:                            ;   in Loop: Header=BB325_393 Depth=1
	s_or_b64 exec, exec, s[16:17]
.LBB325_711:                            ;   in Loop: Header=BB325_393 Depth=1
	s_or_b64 exec, exec, s[14:15]
	v_cmp_lt_u32_e64 s[2:3], s7, v17
	s_and_saveexec_b64 s[14:15], s[2:3]
	s_cbranch_execz .LBB325_717
; %bb.712:                              ;   in Loop: Header=BB325_393 Depth=1
	v_lshrrev_b32_e32 v9, 24, v17
	v_cmp_ne_u32_e64 s[2:3], s26, v9
	v_bfrev_b32_e32 v53, 1
	s_and_saveexec_b64 s[16:17], s[2:3]
	s_cbranch_execz .LBB325_716
; %bb.713:                              ;   in Loop: Header=BB325_393 Depth=1
	v_bfe_u32 v19, v17, 24, 7
	v_cmp_ne_u32_e64 s[2:3], s27, v19
	v_mov_b32_e32 v53, 0x7f800001
	s_and_saveexec_b64 s[18:19], s[2:3]
	s_cbranch_execz .LBB325_715
; %bb.714:                              ;   in Loop: Header=BB325_393 Depth=1
	v_and_b32_e32 v25, 7, v9
	v_lshrrev_b32_e32 v53, 3, v19
	v_cmp_gt_u32_e64 s[2:3], 8, v19
	v_ffbh_u32_e32 v19, v25
	v_min_u32_e32 v19, 32, v19
	v_subrev_u32_e32 v55, 28, v19
	v_lshlrev_b64 v[55:56], v55, v[9:10]
	v_sub_u32_e32 v19, 29, v19
	v_and_b32_e32 v55, 7, v55
	v_cndmask_b32_e64 v19, v53, v19, s[2:3]
	v_cndmask_b32_e64 v25, v25, v55, s[2:3]
	v_lshlrev_b32_e32 v9, 24, v9
	v_lshlrev_b32_e32 v25, 20, v25
	v_and_b32_e32 v9, 0x80000000, v9
	v_lshl_add_u32 v19, v19, 23, v60
	v_or3_b32 v53, v9, v19, v25
.LBB325_715:                            ;   in Loop: Header=BB325_393 Depth=1
	s_or_b64 exec, exec, s[18:19]
.LBB325_716:                            ;   in Loop: Header=BB325_393 Depth=1
	s_or_b64 exec, exec, s[16:17]
.LBB325_717:                            ;   in Loop: Header=BB325_393 Depth=1
	s_or_b64 exec, exec, s[14:15]
	v_mov_b32_e32 v9, v18
	v_cmp_ne_u16_sdwa s[2:3], v18, v10 src0_sel:BYTE_0 src1_sel:DWORD
	v_mov_b32_e32 v55, 0
	v_mov_b32_e32 v25, 0
	s_and_saveexec_b64 s[14:15], s[2:3]
	s_cbranch_execz .LBB325_723
; %bb.718:                              ;   in Loop: Header=BB325_393 Depth=1
	v_cmp_ne_u16_sdwa s[2:3], v18, s26 src0_sel:BYTE_0 src1_sel:DWORD
	v_bfrev_b32_e32 v25, 1
	s_and_saveexec_b64 s[16:17], s[2:3]
	s_cbranch_execz .LBB325_722
; %bb.719:                              ;   in Loop: Header=BB325_393 Depth=1
	v_and_b32_e32 v19, 0x7f, v18
	v_cmp_ne_u32_e64 s[2:3], s27, v19
	v_mov_b32_e32 v25, 0x7f800001
	s_and_saveexec_b64 s[18:19], s[2:3]
	s_cbranch_execz .LBB325_721
; %bb.720:                              ;   in Loop: Header=BB325_393 Depth=1
	v_and_b32_e32 v25, 7, v18
	v_lshrrev_b32_e32 v56, 3, v19
	v_cmp_gt_u32_e64 s[2:3], 8, v19
	v_ffbh_u32_e32 v19, v25
	v_min_u32_e32 v19, 32, v19
	v_subrev_u32_e32 v25, 28, v19
	v_sub_u32_e32 v19, 29, v19
	v_cndmask_b32_e64 v25, 0, v25, s[2:3]
	v_cndmask_b32_e64 v19, v56, v19, s[2:3]
	v_lshlrev_b64 v[56:57], v25, v[9:10]
	v_lshl_add_u32 v19, v19, 23, v60
	v_lshlrev_b32_e32 v25, 20, v56
	v_lshlrev_b32_e32 v56, 24, v9
	v_and_b32_e32 v25, 0x700000, v25
	v_and_b32_e32 v56, 0x80000000, v56
	v_or3_b32 v25, v56, v19, v25
.LBB325_721:                            ;   in Loop: Header=BB325_393 Depth=1
	s_or_b64 exec, exec, s[18:19]
.LBB325_722:                            ;   in Loop: Header=BB325_393 Depth=1
	s_or_b64 exec, exec, s[16:17]
.LBB325_723:                            ;   in Loop: Header=BB325_393 Depth=1
	s_or_b64 exec, exec, s[14:15]
	v_lshrrev_b16_e32 v19, 8, v9
	v_cmp_ne_u16_e64 s[2:3], 0, v19
	s_and_saveexec_b64 s[14:15], s[2:3]
	s_cbranch_execz .LBB325_729
; %bb.724:                              ;   in Loop: Header=BB325_393 Depth=1
	v_cmp_ne_u16_e64 s[2:3], s26, v19
	v_bfrev_b32_e32 v55, 1
	s_and_saveexec_b64 s[16:17], s[2:3]
	s_cbranch_execz .LBB325_728
; %bb.725:                              ;   in Loop: Header=BB325_393 Depth=1
	v_and_b32_e32 v56, 0x7f, v19
	v_cmp_ne_u32_e64 s[2:3], s27, v56
	v_mov_b32_e32 v55, 0x7f800001
	s_and_saveexec_b64 s[18:19], s[2:3]
	s_cbranch_execz .LBB325_727
; %bb.726:                              ;   in Loop: Header=BB325_393 Depth=1
	v_and_b32_e32 v57, 7, v19
	v_ffbh_u32_e32 v55, v57
	v_mov_b32_e32 v0, v59
	v_min_u32_e32 v59, 32, v55
	v_subrev_u32_e32 v55, 28, v59
	v_lshrrev_b32_e32 v58, 3, v56
	v_cmp_gt_u32_e64 s[2:3], 8, v56
	v_lshlrev_b64 v[55:56], v55, v[19:20]
	v_sub_u32_e32 v19, 29, v59
	v_and_b32_e32 v55, 7, v55
	v_cndmask_b32_e64 v19, v58, v19, s[2:3]
	v_cndmask_b32_e64 v55, v57, v55, s[2:3]
	v_lshlrev_b32_e32 v9, 16, v9
	v_lshlrev_b32_e32 v55, 20, v55
	v_and_b32_e32 v9, 0x80000000, v9
	v_lshl_add_u32 v19, v19, 23, v60
	v_mov_b32_e32 v59, v0
	v_or3_b32 v55, v9, v19, v55
.LBB325_727:                            ;   in Loop: Header=BB325_393 Depth=1
	s_or_b64 exec, exec, s[18:19]
.LBB325_728:                            ;   in Loop: Header=BB325_393 Depth=1
	s_or_b64 exec, exec, s[16:17]
.LBB325_729:                            ;   in Loop: Header=BB325_393 Depth=1
	s_or_b64 exec, exec, s[14:15]
	v_lshrrev_b32_e32 v9, 16, v18
	v_cmp_ne_u16_sdwa s[2:3], v9, v10 src0_sel:BYTE_0 src1_sel:DWORD
	v_mov_b32_e32 v56, 0
	v_mov_b32_e32 v19, 0
	s_and_saveexec_b64 s[14:15], s[2:3]
	s_cbranch_execz .LBB325_735
; %bb.730:                              ;   in Loop: Header=BB325_393 Depth=1
	v_cmp_ne_u16_sdwa s[2:3], v9, s26 src0_sel:BYTE_0 src1_sel:DWORD
	v_bfrev_b32_e32 v19, 1
	s_and_saveexec_b64 s[16:17], s[2:3]
	s_cbranch_execz .LBB325_734
; %bb.731:                              ;   in Loop: Header=BB325_393 Depth=1
	v_bfe_u32 v57, v18, 16, 7
	v_cmp_ne_u32_e64 s[2:3], s27, v57
	v_mov_b32_e32 v19, 0x7f800001
	s_and_saveexec_b64 s[18:19], s[2:3]
	s_cbranch_execz .LBB325_733
; %bb.732:                              ;   in Loop: Header=BB325_393 Depth=1
	v_and_b32_e32 v19, 7, v9
	v_mov_b32_e32 v0, v59
	v_lshrrev_b32_e32 v59, 3, v57
	v_cmp_gt_u32_e64 s[2:3], 8, v57
	v_ffbh_u32_e32 v57, v19
	v_min_u32_e32 v60, 32, v57
	v_subrev_u32_e32 v57, 28, v60
	v_lshlrev_b64 v[57:58], v57, v[9:10]
	v_sub_u32_e32 v58, 29, v60
	v_and_b32_e32 v57, 7, v57
	v_bfrev_b32_e32 v60, 60
	v_cndmask_b32_e64 v58, v59, v58, s[2:3]
	v_cndmask_b32_e64 v19, v19, v57, s[2:3]
	v_lshlrev_b32_e32 v9, 24, v9
	v_lshlrev_b32_e32 v19, 20, v19
	v_and_b32_e32 v9, 0x80000000, v9
	v_lshl_add_u32 v57, v58, 23, v60
	v_mov_b32_e32 v59, v0
	v_or3_b32 v19, v9, v57, v19
.LBB325_733:                            ;   in Loop: Header=BB325_393 Depth=1
	s_or_b64 exec, exec, s[18:19]
.LBB325_734:                            ;   in Loop: Header=BB325_393 Depth=1
	s_or_b64 exec, exec, s[16:17]
.LBB325_735:                            ;   in Loop: Header=BB325_393 Depth=1
	s_or_b64 exec, exec, s[14:15]
	v_cmp_lt_u64_e64 s[2:3], s[6:7], v[17:18]
	s_and_saveexec_b64 s[14:15], s[2:3]
	s_cbranch_execz .LBB325_741
; %bb.736:                              ;   in Loop: Header=BB325_393 Depth=1
	v_lshrrev_b32_e32 v9, 24, v18
	v_cmp_ne_u32_e64 s[2:3], s26, v9
	v_bfrev_b32_e32 v56, 1
	s_and_saveexec_b64 s[16:17], s[2:3]
	s_cbranch_execz .LBB325_740
; %bb.737:                              ;   in Loop: Header=BB325_393 Depth=1
	v_bfe_u32 v17, v18, 24, 7
	v_cmp_ne_u32_e64 s[2:3], s27, v17
	v_mov_b32_e32 v56, 0x7f800001
	s_and_saveexec_b64 s[18:19], s[2:3]
	s_cbranch_execz .LBB325_739
; %bb.738:                              ;   in Loop: Header=BB325_393 Depth=1
	v_and_b32_e32 v56, 7, v9
	v_lshrrev_b32_e32 v57, 3, v17
	v_cmp_gt_u32_e64 s[2:3], 8, v17
	v_ffbh_u32_e32 v17, v56
	v_min_u32_e32 v58, 32, v17
	v_subrev_u32_e32 v17, 28, v58
	v_lshlrev_b64 v[17:18], v17, v[9:10]
	v_sub_u32_e32 v18, 29, v58
	v_and_b32_e32 v17, 7, v17
	v_cndmask_b32_e64 v18, v57, v18, s[2:3]
	v_cndmask_b32_e64 v17, v56, v17, s[2:3]
	v_lshlrev_b32_e32 v9, 24, v9
	v_lshlrev_b32_e32 v17, 20, v17
	v_and_b32_e32 v9, 0x80000000, v9
	v_lshl_add_u32 v18, v18, 23, v60
	v_or3_b32 v56, v9, v18, v17
.LBB325_739:                            ;   in Loop: Header=BB325_393 Depth=1
	s_or_b64 exec, exec, s[18:19]
.LBB325_740:                            ;   in Loop: Header=BB325_393 Depth=1
	s_or_b64 exec, exec, s[16:17]
.LBB325_741:                            ;   in Loop: Header=BB325_393 Depth=1
	s_or_b64 exec, exec, s[14:15]
	v_mul_f32_e32 v9, s29, v55
	v_bfe_u32 v17, v9, 16, 1
	v_add3_u32 v17, v17, v9, s33
	v_or_b32_e32 v18, 0x400000, v9
	v_cmp_u_f32_e64 s[2:3], v9, v9
	v_cndmask_b32_e64 v9, v17, v18, s[2:3]
	v_lshrrev_b32_e32 v18, 16, v9
	v_mul_f32_e32 v9, s29, v25
	v_bfe_u32 v17, v9, 16, 1
	v_add3_u32 v17, v17, v9, s33
	v_or_b32_e32 v25, 0x400000, v9
	v_cmp_u_f32_e64 s[2:3], v9, v9
	v_cndmask_b32_e64 v9, v17, v25, s[2:3]
	v_lshrrev_b32_e32 v17, 16, v9
	v_mul_f32_e32 v9, s29, v53
	v_bfe_u32 v25, v9, 16, 1
	v_add3_u32 v25, v25, v9, s33
	v_or_b32_e32 v53, 0x400000, v9
	v_cmp_u_f32_e64 s[2:3], v9, v9
	v_cndmask_b32_e64 v9, v25, v53, s[2:3]
	v_lshrrev_b32_e32 v53, 16, v9
	v_mul_f32_e32 v9, s29, v51
	v_bfe_u32 v25, v9, 16, 1
	v_add3_u32 v25, v25, v9, s33
	v_or_b32_e32 v51, 0x400000, v9
	v_cmp_u_f32_e64 s[2:3], v9, v9
	v_cndmask_b32_e64 v9, v25, v51, s[2:3]
	v_lshrrev_b32_e32 v51, 16, v9
	v_mul_f32_e32 v9, s29, v54
	v_bfe_u32 v25, v9, 16, 1
	v_add3_u32 v25, v25, v9, s33
	v_or_b32_e32 v54, 0x400000, v9
	v_cmp_u_f32_e64 s[2:3], v9, v9
	v_cndmask_b32_e64 v9, v25, v54, s[2:3]
	v_lshrrev_b32_e32 v55, 16, v9
	v_mul_f32_e32 v9, s29, v52
	v_bfe_u32 v25, v9, 16, 1
	v_add3_u32 v25, v25, v9, s33
	v_or_b32_e32 v52, 0x400000, v9
	v_cmp_u_f32_e64 s[2:3], v9, v9
	v_cndmask_b32_e64 v9, v25, v52, s[2:3]
	v_lshrrev_b32_e32 v54, 16, v9
	v_mul_f32_e32 v9, s29, v19
	v_bfe_u32 v19, v9, 16, 1
	v_add3_u32 v19, v19, v9, s33
	v_or_b32_e32 v25, 0x400000, v9
	v_cmp_u_f32_e64 s[2:3], v9, v9
	v_cndmask_b32_e64 v9, v19, v25, s[2:3]
	v_lshrrev_b32_e32 v19, 16, v9
	v_mul_f32_e32 v9, s29, v56
	v_bfe_u32 v25, v9, 16, 1
	v_add3_u32 v25, v25, v9, s33
	v_or_b32_e32 v52, 0x400000, v9
	v_cmp_u_f32_e64 s[2:3], v9, v9
	v_cndmask_b32_e64 v9, v25, v52, s[2:3]
	v_lshrrev_b32_e32 v52, 16, v9
	s_and_saveexec_b64 s[14:15], s[0:1]
	s_cbranch_execz .LBB325_743
; %bb.742:                              ;   in Loop: Header=BB325_393 Depth=1
	v_cmp_gt_i32_e64 s[2:3], s30, v26
	v_add_u32_e32 v9, -6, v37
	v_cndmask_b32_e64 v54, 0, v54, s[2:3]
	v_cmp_gt_i32_e64 s[2:3], s30, v9
	v_add_u32_e32 v9, -5, v37
	v_cndmask_b32_e64 v55, 0, v55, s[2:3]
	;; [unrolled: 3-line block ×6, first 2 shown]
	v_cmp_gt_i32_e64 s[2:3], s30, v9
	v_cndmask_b32_e64 v19, 0, v19, s[2:3]
	v_cmp_gt_i32_e64 s[2:3], s30, v37
	v_cndmask_b32_e64 v52, 0, v52, s[2:3]
.LBB325_743:                            ;   in Loop: Header=BB325_393 Depth=1
	s_or_b64 exec, exec, s[14:15]
	v_bfe_u32 v9, v5, 16, 1
	v_add3_u32 v9, v9, v5, s33
	v_or_b32_e32 v25, 0x400000, v5
	v_cmp_u_f32_e64 s[2:3], v5, v5
	v_cndmask_b32_e64 v5, v9, v25, s[2:3]
	v_bfe_u32 v9, v6, 16, 1
	v_add3_u32 v9, v9, v6, s33
	v_or_b32_e32 v25, 0x400000, v6
	v_cmp_u_f32_e64 s[2:3], v6, v6
	v_cndmask_b32_e64 v6, v9, v25, s[2:3]
	v_bfe_u32 v9, v7, 16, 1
	v_add3_u32 v9, v9, v7, s33
	v_or_b32_e32 v25, 0x400000, v7
	v_cmp_u_f32_e64 s[2:3], v7, v7
	v_bfe_u32 v7, v8, 16, 1
	v_cndmask_b32_e64 v9, v9, v25, s[2:3]
	v_add3_u32 v7, v7, v8, s33
	v_or_b32_e32 v25, 0x400000, v8
	v_cmp_u_f32_e64 s[2:3], v8, v8
	v_cndmask_b32_e64 v8, v7, v25, s[2:3]
	v_bfe_u32 v7, v1, 16, 1
	v_add3_u32 v7, v7, v1, s33
	v_or_b32_e32 v25, 0x400000, v1
	v_cmp_u_f32_e64 s[2:3], v1, v1
	v_cndmask_b32_e64 v1, v7, v25, s[2:3]
	v_bfe_u32 v7, v2, 16, 1
	;; [unrolled: 5-line block ×4, first 2 shown]
	v_add3_u32 v7, v7, v4, s33
	v_or_b32_e32 v25, 0x400000, v4
	v_cmp_u_f32_e64 s[2:3], v4, v4
	v_cndmask_b32_e64 v4, v7, v25, s[2:3]
	v_perm_b32 v7, v6, v5, s34
	v_perm_b32 v6, v8, v9, s34
	;; [unrolled: 1-line block ×4, first 2 shown]
	s_and_saveexec_b64 s[14:15], vcc
	s_cbranch_execz .LBB325_392
; %bb.744:                              ;   in Loop: Header=BB325_393 Depth=1
	v_add_co_u32_e64 v1, s[2:3], v15, v61
	v_addc_co_u32_e64 v2, s[2:3], 0, v16, s[2:3]
	global_load_dwordx2 v[1:2], v[1:2], off
	v_mov_b32_e32 v15, 0
	v_mov_b32_e32 v8, 0
	s_waitcnt vmcnt(0)
	v_cmp_ne_u16_sdwa s[2:3], v1, v10 src0_sel:BYTE_0 src1_sel:DWORD
	s_and_saveexec_b64 s[16:17], s[2:3]
	s_cbranch_execz .LBB325_750
; %bb.745:                              ;   in Loop: Header=BB325_393 Depth=1
	v_cmp_ne_u16_sdwa s[2:3], v1, s26 src0_sel:BYTE_0 src1_sel:DWORD
	v_bfrev_b32_e32 v8, 1
	s_and_saveexec_b64 s[18:19], s[2:3]
	s_cbranch_execz .LBB325_749
; %bb.746:                              ;   in Loop: Header=BB325_393 Depth=1
	v_and_b32_e32 v3, 0x7f, v1
	v_cmp_ne_u32_e64 s[2:3], s27, v3
	v_mov_b32_e32 v8, 0x7f800001
	s_and_saveexec_b64 s[24:25], s[2:3]
	s_cbranch_execz .LBB325_748
; %bb.747:                              ;   in Loop: Header=BB325_393 Depth=1
	v_and_b32_e32 v8, 7, v1
	v_lshrrev_b32_e32 v9, 3, v3
	v_cmp_gt_u32_e64 s[2:3], 8, v3
	v_ffbh_u32_e32 v3, v8
	v_min_u32_e32 v3, 32, v3
	v_subrev_u32_e32 v8, 28, v3
	v_sub_u32_e32 v3, 29, v3
	v_cndmask_b32_e64 v8, 0, v8, s[2:3]
	v_cndmask_b32_e64 v3, v9, v3, s[2:3]
	v_lshlrev_b64 v[8:9], v8, v[1:2]
	v_lshlrev_b32_e32 v9, 24, v1
	v_lshlrev_b32_e32 v8, 20, v8
	v_and_b32_e32 v8, 0x700000, v8
	v_and_b32_e32 v9, 0x80000000, v9
	v_lshl_add_u32 v3, v3, 23, v60
	v_or3_b32 v8, v9, v3, v8
.LBB325_748:                            ;   in Loop: Header=BB325_393 Depth=1
	s_or_b64 exec, exec, s[24:25]
.LBB325_749:                            ;   in Loop: Header=BB325_393 Depth=1
	s_or_b64 exec, exec, s[18:19]
.LBB325_750:                            ;   in Loop: Header=BB325_393 Depth=1
	s_or_b64 exec, exec, s[16:17]
	v_lshrrev_b16_e32 v3, 8, v1
	v_cmp_ne_u16_e64 s[2:3], 0, v3
	s_and_saveexec_b64 s[16:17], s[2:3]
	s_cbranch_execz .LBB325_756
; %bb.751:                              ;   in Loop: Header=BB325_393 Depth=1
	v_cmp_ne_u16_e64 s[2:3], s26, v3
	v_bfrev_b32_e32 v15, 1
	s_and_saveexec_b64 s[18:19], s[2:3]
	s_cbranch_execz .LBB325_755
; %bb.752:                              ;   in Loop: Header=BB325_393 Depth=1
	v_and_b32_e32 v9, 0x7f, v3
	v_cmp_ne_u32_e64 s[2:3], s27, v9
	v_mov_b32_e32 v15, 0x7f800001
	s_and_saveexec_b64 s[24:25], s[2:3]
	s_cbranch_execz .LBB325_754
; %bb.753:                              ;   in Loop: Header=BB325_393 Depth=1
	v_and_b32_e32 v25, 7, v3
	v_lshrrev_b32_e32 v56, 3, v9
	v_cmp_gt_u32_e64 s[2:3], 8, v9
	v_ffbh_u32_e32 v9, v25
	v_min_u32_e32 v9, 32, v9
	v_subrev_u32_e32 v15, 28, v9
	v_lshlrev_b64 v[15:16], v15, v[3:4]
	v_sub_u32_e32 v3, 29, v9
	v_and_b32_e32 v9, 7, v15
	v_cndmask_b32_e64 v3, v56, v3, s[2:3]
	v_cndmask_b32_e64 v9, v25, v9, s[2:3]
	v_lshlrev_b32_e32 v15, 16, v1
	v_lshlrev_b32_e32 v9, 20, v9
	v_and_b32_e32 v15, 0x80000000, v15
	v_lshl_add_u32 v3, v3, 23, v60
	v_or3_b32 v15, v15, v3, v9
.LBB325_754:                            ;   in Loop: Header=BB325_393 Depth=1
	s_or_b64 exec, exec, s[24:25]
.LBB325_755:                            ;   in Loop: Header=BB325_393 Depth=1
	s_or_b64 exec, exec, s[18:19]
.LBB325_756:                            ;   in Loop: Header=BB325_393 Depth=1
	s_or_b64 exec, exec, s[16:17]
	v_lshrrev_b32_e32 v3, 16, v1
	v_cmp_ne_u16_sdwa s[2:3], v3, v10 src0_sel:BYTE_0 src1_sel:DWORD
	v_mov_b32_e32 v25, 0
	v_mov_b32_e32 v16, 0
	s_and_saveexec_b64 s[16:17], s[2:3]
	s_cbranch_execz .LBB325_762
; %bb.757:                              ;   in Loop: Header=BB325_393 Depth=1
	v_cmp_ne_u16_sdwa s[2:3], v3, s26 src0_sel:BYTE_0 src1_sel:DWORD
	v_bfrev_b32_e32 v16, 1
	s_and_saveexec_b64 s[18:19], s[2:3]
	s_cbranch_execz .LBB325_761
; %bb.758:                              ;   in Loop: Header=BB325_393 Depth=1
	v_bfe_u32 v9, v1, 16, 7
	v_cmp_ne_u32_e64 s[2:3], s27, v9
	v_mov_b32_e32 v16, 0x7f800001
	s_and_saveexec_b64 s[24:25], s[2:3]
	s_cbranch_execz .LBB325_760
; %bb.759:                              ;   in Loop: Header=BB325_393 Depth=1
	v_and_b32_e32 v16, 7, v3
	v_lshrrev_b32_e32 v58, 3, v9
	v_cmp_gt_u32_e64 s[2:3], 8, v9
	v_ffbh_u32_e32 v9, v16
	v_min_u32_e32 v9, 32, v9
	v_subrev_u32_e32 v56, 28, v9
	v_lshlrev_b64 v[56:57], v56, v[3:4]
	v_sub_u32_e32 v9, 29, v9
	v_and_b32_e32 v56, 7, v56
	v_cndmask_b32_e64 v9, v58, v9, s[2:3]
	v_cndmask_b32_e64 v16, v16, v56, s[2:3]
	v_lshlrev_b32_e32 v3, 24, v3
	v_lshlrev_b32_e32 v16, 20, v16
	v_and_b32_e32 v3, 0x80000000, v3
	v_lshl_add_u32 v9, v9, 23, v60
	v_or3_b32 v16, v3, v9, v16
.LBB325_760:                            ;   in Loop: Header=BB325_393 Depth=1
	s_or_b64 exec, exec, s[24:25]
.LBB325_761:                            ;   in Loop: Header=BB325_393 Depth=1
	s_or_b64 exec, exec, s[18:19]
.LBB325_762:                            ;   in Loop: Header=BB325_393 Depth=1
	s_or_b64 exec, exec, s[16:17]
	v_cmp_lt_u32_e64 s[2:3], s7, v1
	s_and_saveexec_b64 s[16:17], s[2:3]
	s_cbranch_execz .LBB325_768
; %bb.763:                              ;   in Loop: Header=BB325_393 Depth=1
	v_lshrrev_b32_e32 v3, 24, v1
	v_cmp_ne_u32_e64 s[2:3], s26, v3
	v_bfrev_b32_e32 v25, 1
	s_and_saveexec_b64 s[18:19], s[2:3]
	s_cbranch_execz .LBB325_767
; %bb.764:                              ;   in Loop: Header=BB325_393 Depth=1
	v_bfe_u32 v9, v1, 24, 7
	v_cmp_ne_u32_e64 s[2:3], s27, v9
	v_mov_b32_e32 v25, 0x7f800001
	s_and_saveexec_b64 s[24:25], s[2:3]
	s_cbranch_execz .LBB325_766
; %bb.765:                              ;   in Loop: Header=BB325_393 Depth=1
	v_and_b32_e32 v25, 7, v3
	v_lshrrev_b32_e32 v58, 3, v9
	v_cmp_gt_u32_e64 s[2:3], 8, v9
	v_ffbh_u32_e32 v9, v25
	v_min_u32_e32 v9, 32, v9
	v_subrev_u32_e32 v56, 28, v9
	v_lshlrev_b64 v[56:57], v56, v[3:4]
	v_sub_u32_e32 v9, 29, v9
	v_and_b32_e32 v56, 7, v56
	v_cndmask_b32_e64 v9, v58, v9, s[2:3]
	v_cndmask_b32_e64 v25, v25, v56, s[2:3]
	v_lshlrev_b32_e32 v3, 24, v3
	v_lshlrev_b32_e32 v25, 20, v25
	v_and_b32_e32 v3, 0x80000000, v3
	v_lshl_add_u32 v9, v9, 23, v60
	v_or3_b32 v25, v3, v9, v25
.LBB325_766:                            ;   in Loop: Header=BB325_393 Depth=1
	s_or_b64 exec, exec, s[24:25]
.LBB325_767:                            ;   in Loop: Header=BB325_393 Depth=1
	s_or_b64 exec, exec, s[18:19]
.LBB325_768:                            ;   in Loop: Header=BB325_393 Depth=1
	s_or_b64 exec, exec, s[16:17]
	v_mov_b32_e32 v9, v2
	v_cmp_ne_u16_sdwa s[2:3], v2, v10 src0_sel:BYTE_0 src1_sel:DWORD
	v_mov_b32_e32 v57, 0
	v_mov_b32_e32 v56, 0
	s_and_saveexec_b64 s[16:17], s[2:3]
	s_cbranch_execz .LBB325_774
; %bb.769:                              ;   in Loop: Header=BB325_393 Depth=1
	v_cmp_ne_u16_sdwa s[2:3], v2, s26 src0_sel:BYTE_0 src1_sel:DWORD
	v_bfrev_b32_e32 v56, 1
	s_and_saveexec_b64 s[18:19], s[2:3]
	s_cbranch_execz .LBB325_773
; %bb.770:                              ;   in Loop: Header=BB325_393 Depth=1
	v_and_b32_e32 v3, 0x7f, v2
	v_cmp_ne_u32_e64 s[2:3], s27, v3
	v_mov_b32_e32 v56, 0x7f800001
	s_and_saveexec_b64 s[24:25], s[2:3]
	s_cbranch_execz .LBB325_772
; %bb.771:                              ;   in Loop: Header=BB325_393 Depth=1
	v_and_b32_e32 v56, 7, v2
	v_lshrrev_b32_e32 v58, 3, v3
	v_cmp_gt_u32_e64 s[2:3], 8, v3
	v_ffbh_u32_e32 v3, v56
	v_min_u32_e32 v3, 32, v3
	v_subrev_u32_e32 v56, 28, v3
	v_sub_u32_e32 v3, 29, v3
	v_cndmask_b32_e64 v56, 0, v56, s[2:3]
	v_cndmask_b32_e64 v3, v58, v3, s[2:3]
	v_mov_b32_e32 v0, v59
	v_lshlrev_b64 v[58:59], v56, v[9:10]
	v_lshl_add_u32 v3, v3, 23, v60
	v_lshlrev_b32_e32 v56, 20, v58
	v_lshlrev_b32_e32 v58, 24, v9
	v_and_b32_e32 v56, 0x700000, v56
	v_and_b32_e32 v58, 0x80000000, v58
	v_mov_b32_e32 v59, v0
	v_or3_b32 v56, v58, v3, v56
.LBB325_772:                            ;   in Loop: Header=BB325_393 Depth=1
	s_or_b64 exec, exec, s[24:25]
.LBB325_773:                            ;   in Loop: Header=BB325_393 Depth=1
	s_or_b64 exec, exec, s[18:19]
.LBB325_774:                            ;   in Loop: Header=BB325_393 Depth=1
	s_or_b64 exec, exec, s[16:17]
	v_lshrrev_b16_e32 v3, 8, v9
	v_cmp_ne_u16_e64 s[2:3], 0, v3
	s_and_saveexec_b64 s[16:17], s[2:3]
	s_cbranch_execz .LBB325_780
; %bb.775:                              ;   in Loop: Header=BB325_393 Depth=1
	v_cmp_ne_u16_e64 s[2:3], s26, v3
	v_bfrev_b32_e32 v57, 1
	s_and_saveexec_b64 s[18:19], s[2:3]
	s_cbranch_execz .LBB325_779
; %bb.776:                              ;   in Loop: Header=BB325_393 Depth=1
	v_and_b32_e32 v58, 0x7f, v3
	v_cmp_ne_u32_e64 s[2:3], s27, v58
	v_mov_b32_e32 v57, 0x7f800001
	s_and_saveexec_b64 s[24:25], s[2:3]
	s_cbranch_execz .LBB325_778
; %bb.777:                              ;   in Loop: Header=BB325_393 Depth=1
	v_mov_b32_e32 v0, v59
	v_and_b32_e32 v59, 7, v3
	v_ffbh_u32_e32 v57, v59
	v_min_u32_e32 v61, 32, v57
	v_subrev_u32_e32 v57, 28, v61
	v_lshrrev_b32_e32 v60, 3, v58
	v_cmp_gt_u32_e64 s[2:3], 8, v58
	v_lshlrev_b64 v[57:58], v57, v[3:4]
	v_sub_u32_e32 v3, 29, v61
	buffer_load_dword v61, off, s[48:51], 0 offset:116 ; 4-byte Folded Reload
	v_and_b32_e32 v57, 7, v57
	v_cndmask_b32_e64 v3, v60, v3, s[2:3]
	v_bfrev_b32_e32 v60, 60
	v_cndmask_b32_e64 v57, v59, v57, s[2:3]
	v_lshlrev_b32_e32 v9, 16, v9
	v_lshlrev_b32_e32 v57, 20, v57
	v_and_b32_e32 v9, 0x80000000, v9
	v_lshl_add_u32 v3, v3, 23, v60
	v_mov_b32_e32 v59, v0
	v_or3_b32 v57, v9, v3, v57
.LBB325_778:                            ;   in Loop: Header=BB325_393 Depth=1
	s_or_b64 exec, exec, s[24:25]
.LBB325_779:                            ;   in Loop: Header=BB325_393 Depth=1
	s_or_b64 exec, exec, s[18:19]
.LBB325_780:                            ;   in Loop: Header=BB325_393 Depth=1
	s_or_b64 exec, exec, s[16:17]
	v_lshrrev_b32_e32 v3, 16, v2
	v_cmp_ne_u16_sdwa s[2:3], v3, v10 src0_sel:BYTE_0 src1_sel:DWORD
	v_mov_b32_e32 v9, 0
	v_mov_b32_e32 v58, 0
	s_and_saveexec_b64 s[16:17], s[2:3]
	s_cbranch_execz .LBB325_786
; %bb.781:                              ;   in Loop: Header=BB325_393 Depth=1
	v_cmp_ne_u16_sdwa s[2:3], v3, s26 src0_sel:BYTE_0 src1_sel:DWORD
	v_bfrev_b32_e32 v58, 1
	s_and_saveexec_b64 s[18:19], s[2:3]
	s_cbranch_execz .LBB325_785
; %bb.782:                              ;   in Loop: Header=BB325_393 Depth=1
	v_mov_b32_e32 v0, v59
	v_bfe_u32 v59, v2, 16, 7
	v_cmp_ne_u32_e64 s[2:3], s27, v59
	v_mov_b32_e32 v58, 0x7f800001
	s_and_saveexec_b64 s[24:25], s[2:3]
	s_cbranch_execz .LBB325_784
; %bb.783:                              ;   in Loop: Header=BB325_393 Depth=1
	v_and_b32_e32 v60, 7, v3
	v_ffbh_u32_e32 v58, v60
	v_mov_b32_e32 v26, v63
	v_mov_b32_e32 v63, v62
	v_min_u32_e32 v62, 32, v58
	v_subrev_u32_e32 v58, 28, v62
	s_waitcnt vmcnt(0)
	v_lshrrev_b32_e32 v61, 3, v59
	v_cmp_gt_u32_e64 s[2:3], 8, v59
	v_lshlrev_b64 v[58:59], v58, v[3:4]
	v_sub_u32_e32 v59, 29, v62
	v_cndmask_b32_e64 v59, v61, v59, s[2:3]
	buffer_load_dword v61, off, s[48:51], 0 offset:116 ; 4-byte Folded Reload
	v_and_b32_e32 v58, 7, v58
	v_cndmask_b32_e64 v58, v60, v58, s[2:3]
	v_bfrev_b32_e32 v60, 60
	v_lshlrev_b32_e32 v3, 24, v3
	v_lshlrev_b32_e32 v58, 20, v58
	v_and_b32_e32 v3, 0x80000000, v3
	v_lshl_add_u32 v59, v59, 23, v60
	v_mov_b32_e32 v62, v63
	v_mov_b32_e32 v63, v26
	v_add_u32_e32 v26, -7, v37
	v_or3_b32 v58, v3, v59, v58
.LBB325_784:                            ;   in Loop: Header=BB325_393 Depth=1
	s_or_b64 exec, exec, s[24:25]
	v_mov_b32_e32 v59, v0
.LBB325_785:                            ;   in Loop: Header=BB325_393 Depth=1
	s_or_b64 exec, exec, s[18:19]
.LBB325_786:                            ;   in Loop: Header=BB325_393 Depth=1
	s_or_b64 exec, exec, s[16:17]
	v_cmp_lt_u64_e64 s[2:3], s[6:7], v[1:2]
	s_and_saveexec_b64 s[16:17], s[2:3]
	s_cbranch_execz .LBB325_792
; %bb.787:                              ;   in Loop: Header=BB325_393 Depth=1
	v_lshrrev_b32_e32 v1, 24, v2
	v_cmp_ne_u32_e64 s[2:3], s26, v1
	v_bfrev_b32_e32 v9, 1
	s_and_saveexec_b64 s[18:19], s[2:3]
	s_cbranch_execz .LBB325_791
; %bb.788:                              ;   in Loop: Header=BB325_393 Depth=1
	v_bfe_u32 v2, v2, 24, 7
	v_cmp_ne_u32_e64 s[2:3], s27, v2
	v_mov_b32_e32 v9, 0x7f800001
	s_and_saveexec_b64 s[24:25], s[2:3]
	s_cbranch_execz .LBB325_790
; %bb.789:                              ;   in Loop: Header=BB325_393 Depth=1
	v_and_b32_e32 v9, 7, v1
	v_mov_b32_e32 v0, v59
	v_lshrrev_b32_e32 v59, 3, v2
	v_cmp_gt_u32_e64 s[2:3], 8, v2
	v_ffbh_u32_e32 v2, v9
	v_min_u32_e32 v60, 32, v2
	v_subrev_u32_e32 v2, 28, v60
	v_lshlrev_b64 v[2:3], v2, v[1:2]
	v_sub_u32_e32 v3, 29, v60
	v_and_b32_e32 v2, 7, v2
	v_bfrev_b32_e32 v60, 60
	v_cndmask_b32_e64 v3, v59, v3, s[2:3]
	v_cndmask_b32_e64 v2, v9, v2, s[2:3]
	v_lshlrev_b32_e32 v1, 24, v1
	v_lshlrev_b32_e32 v2, 20, v2
	v_and_b32_e32 v1, 0x80000000, v1
	v_lshl_add_u32 v3, v3, 23, v60
	v_mov_b32_e32 v59, v0
	v_or3_b32 v9, v1, v3, v2
.LBB325_790:                            ;   in Loop: Header=BB325_393 Depth=1
	s_or_b64 exec, exec, s[24:25]
.LBB325_791:                            ;   in Loop: Header=BB325_393 Depth=1
	s_or_b64 exec, exec, s[18:19]
.LBB325_792:                            ;   in Loop: Header=BB325_393 Depth=1
	s_or_b64 exec, exec, s[16:17]
	v_mul_f32_e32 v1, s29, v57
	v_bfe_u32 v2, v1, 16, 1
	v_add3_u32 v2, v2, v1, s33
	v_or_b32_e32 v3, 0x400000, v1
	v_cmp_u_f32_e64 s[2:3], v1, v1
	v_cndmask_b32_e64 v1, v2, v3, s[2:3]
	v_mul_f32_e32 v2, s29, v56
	v_bfe_u32 v3, v2, 16, 1
	v_add3_u32 v3, v3, v2, s33
	v_or_b32_e32 v56, 0x400000, v2
	v_cmp_u_f32_e64 s[2:3], v2, v2
	v_cndmask_b32_e64 v2, v3, v56, s[2:3]
	v_mul_f32_e32 v3, s29, v25
	v_bfe_u32 v25, v3, 16, 1
	v_add3_u32 v25, v25, v3, s33
	v_or_b32_e32 v56, 0x400000, v3
	v_cmp_u_f32_e64 s[2:3], v3, v3
	v_mul_f32_e32 v16, s29, v16
	v_cndmask_b32_e64 v3, v25, v56, s[2:3]
	v_bfe_u32 v25, v16, 16, 1
	v_add3_u32 v25, v25, v16, s33
	v_or_b32_e32 v56, 0x400000, v16
	v_cmp_u_f32_e64 s[2:3], v16, v16
	v_mul_f32_e32 v15, s29, v15
	v_cndmask_b32_e64 v16, v25, v56, s[2:3]
	v_bfe_u32 v25, v15, 16, 1
	v_add3_u32 v25, v25, v15, s33
	v_or_b32_e32 v56, 0x400000, v15
	v_cmp_u_f32_e64 s[2:3], v15, v15
	v_cndmask_b32_e64 v15, v25, v56, s[2:3]
	v_mul_f32_e32 v8, s29, v8
	v_lshrrev_b32_e32 v25, 16, v15
	v_bfe_u32 v15, v8, 16, 1
	v_add3_u32 v15, v15, v8, s33
	v_or_b32_e32 v56, 0x400000, v8
	v_cmp_u_f32_e64 s[2:3], v8, v8
	v_cndmask_b32_e64 v8, v15, v56, s[2:3]
	v_lshrrev_b32_e32 v56, 16, v8
	v_mul_f32_e32 v8, s29, v58
	v_bfe_u32 v15, v8, 16, 1
	v_add3_u32 v15, v15, v8, s33
	v_or_b32_e32 v57, 0x400000, v8
	v_cmp_u_f32_e64 s[2:3], v8, v8
	v_cndmask_b32_e64 v8, v15, v57, s[2:3]
	v_lshrrev_b32_e32 v15, 16, v8
	v_mul_f32_e32 v8, s29, v9
	v_bfe_u32 v9, v8, 16, 1
	v_add3_u32 v9, v9, v8, s33
	v_or_b32_e32 v57, 0x400000, v8
	v_cmp_u_f32_e64 s[2:3], v8, v8
	v_cndmask_b32_e64 v8, v9, v57, s[2:3]
	v_lshrrev_b32_e32 v1, 16, v1
	v_lshrrev_b32_e32 v2, 16, v2
	;; [unrolled: 1-line block ×5, first 2 shown]
	s_and_saveexec_b64 s[2:3], s[0:1]
	s_cbranch_execz .LBB325_391
; %bb.793:                              ;   in Loop: Header=BB325_393 Depth=1
	v_cmp_gt_i32_e64 s[0:1], s30, v26
	v_add_u32_e32 v9, -6, v37
	v_cndmask_b32_e64 v56, 0, v56, s[0:1]
	v_cmp_gt_i32_e64 s[0:1], s30, v9
	v_add_u32_e32 v9, -5, v37
	v_cndmask_b32_e64 v25, 0, v25, s[0:1]
	;; [unrolled: 3-line block ×6, first 2 shown]
	v_cmp_gt_i32_e64 s[0:1], s30, v9
	v_cndmask_b32_e64 v15, 0, v15, s[0:1]
	v_cmp_gt_i32_e64 s[0:1], s30, v37
	v_cndmask_b32_e64 v8, 0, v8, s[0:1]
	s_branch .LBB325_391
.LBB325_794:
	s_or_b64 exec, exec, s[12:13]
	buffer_load_dword v13, off, s[48:51], 0 offset:120 ; 4-byte Folded Reload
	buffer_load_dword v14, off, s[48:51], 0 offset:124 ; 4-byte Folded Reload
	;; [unrolled: 1-line block ×4, first 2 shown]
.LBB325_795:
	s_or_b64 exec, exec, s[4:5]
	s_waitcnt vmcnt(3)
	ds_bpermute_b32 v0, v13, v33
	s_waitcnt vmcnt(0) lgkmcnt(0)
	s_barrier
	ds_bpermute_b32 v1, v13, v34
	v_add_f32_e32 v0, v33, v0
	ds_bpermute_b32 v3, v14, v0
	ds_bpermute_b32 v2, v13, v32
	;; [unrolled: 1-line block ×3, first 2 shown]
	s_waitcnt lgkmcnt(3)
	v_add_f32_e32 v1, v34, v1
	ds_bpermute_b32 v4, v14, v1
	s_waitcnt lgkmcnt(3)
	v_add_f32_e32 v8, v0, v3
	ds_bpermute_b32 v0, v13, v30
	ds_bpermute_b32 v3, v13, v29
	s_waitcnt lgkmcnt(4)
	v_add_f32_e32 v2, v32, v2
	s_waitcnt lgkmcnt(2)
	v_add_f32_e32 v7, v1, v4
	ds_bpermute_b32 v4, v13, v27
	s_waitcnt lgkmcnt(2)
	v_add_f32_e32 v0, v30, v0
	ds_bpermute_b32 v9, v14, v0
	;; [unrolled: 3-line block ×3, first 2 shown]
	v_add_f32_e32 v1, v31, v6
	ds_bpermute_b32 v6, v13, v62
	s_waitcnt lgkmcnt(2)
	v_add_f32_e32 v3, v0, v9
	buffer_load_dword v9, off, s[48:51], 0 offset:296 ; 4-byte Folded Reload
	v_add_f32_e32 v4, v27, v4
	s_waitcnt lgkmcnt(1)
	v_add_f32_e32 v5, v2, v5
	ds_bpermute_b32 v2, v14, v1
	ds_bpermute_b32 v12, v14, v4
	s_waitcnt lgkmcnt(2)
	v_add_f32_e32 v13, v62, v6
	ds_bpermute_b32 v11, v14, v10
	ds_bpermute_b32 v14, v14, v13
	s_waitcnt lgkmcnt(3)
	v_add_f32_e32 v6, v1, v2
	s_waitcnt lgkmcnt(2)
	v_add_f32_e32 v1, v4, v12
	v_cmp_eq_u32_e32 vcc, 0, v16
	s_waitcnt lgkmcnt(1)
	v_add_f32_e32 v2, v10, v11
	s_waitcnt lgkmcnt(0)
	v_add_f32_e32 v0, v13, v14
	s_waitcnt vmcnt(0)
	v_and_b32_e32 v4, 0x3c0, v9
	v_cmp_eq_u32_e64 s[0:1], 64, v4
	s_and_saveexec_b64 s[2:3], s[0:1]
	s_cbranch_execz .LBB325_800
; %bb.796:
	s_and_saveexec_b64 s[0:1], vcc
	s_cbranch_execz .LBB325_798
; %bb.797:
	v_mov_b32_e32 v4, 0x100
	v_lshl_add_u32 v4, v15, 2, v4
	ds_write2_b32 v4, v8, v7 offset1:16
	ds_write2_b32 v4, v5, v6 offset0:32 offset1:48
	ds_write2_b32 v4, v3, v2 offset0:64 offset1:80
	ds_write_b32 v4, v1 offset:384
.LBB325_798:
	s_or_b64 exec, exec, s[0:1]
	v_or_b32_e32 v4, 0x70, v15
	s_movk_i32 s0, 0x78
	v_cmp_gt_u32_e64 s[0:1], s0, v4
	s_and_b64 s[0:1], vcc, s[0:1]
	s_and_b64 exec, exec, s[0:1]
; %bb.799:
	v_mov_b32_e32 v4, 0x100
	v_lshl_add_u32 v4, v15, 2, v4
	ds_write_b32 v4, v0 offset:448
.LBB325_800:
	s_or_b64 exec, exec, s[2:3]
	v_cmp_gt_u32_e64 s[0:1], 64, v9
	v_lshrrev_b32_e32 v4, 2, v9
	s_waitcnt lgkmcnt(0)
	s_barrier
	s_and_saveexec_b64 s[4:5], s[0:1]
	s_cbranch_execz .LBB325_818
; %bb.801:
	s_and_saveexec_b64 s[2:3], vcc
	s_cbranch_execz .LBB325_803
; %bb.802:
	v_mov_b32_e32 v9, 0x100
	v_lshl_add_u32 v9, v4, 2, v9
	ds_read_b32 v9, v9
	s_waitcnt lgkmcnt(0)
	v_add_f32_e32 v8, v8, v9
.LBB325_803:
	s_or_b64 exec, exec, s[2:3]
	v_or_b32_e32 v9, 16, v4
	s_movk_i32 s6, 0x78
	v_cmp_gt_u32_e64 s[2:3], s6, v9
	s_and_b64 s[12:13], vcc, s[2:3]
	s_and_saveexec_b64 s[2:3], s[12:13]
	s_cbranch_execz .LBB325_805
; %bb.804:
	v_mov_b32_e32 v9, 0x100
	v_lshl_add_u32 v9, v4, 2, v9
	ds_read_b32 v9, v9 offset:64
	s_waitcnt lgkmcnt(0)
	v_add_f32_e32 v7, v7, v9
.LBB325_805:
	s_or_b64 exec, exec, s[2:3]
	v_or_b32_e32 v9, 32, v4
	v_cmp_gt_u32_e64 s[2:3], s6, v9
	s_and_b64 s[6:7], vcc, s[2:3]
	s_and_saveexec_b64 s[2:3], s[6:7]
	s_cbranch_execz .LBB325_807
; %bb.806:
	v_mov_b32_e32 v9, 0x100
	v_lshl_add_u32 v9, v4, 2, v9
	ds_read_b32 v9, v9 offset:128
	s_waitcnt lgkmcnt(0)
	v_add_f32_e32 v5, v5, v9
.LBB325_807:
	s_or_b64 exec, exec, s[2:3]
	v_or_b32_e32 v9, 48, v4
	s_movk_i32 s6, 0x78
	v_cmp_gt_u32_e64 s[2:3], s6, v9
	s_and_b64 s[12:13], vcc, s[2:3]
	s_and_saveexec_b64 s[2:3], s[12:13]
	s_cbranch_execz .LBB325_809
; %bb.808:
	v_mov_b32_e32 v9, 0x100
	v_lshl_add_u32 v9, v4, 2, v9
	ds_read_b32 v9, v9 offset:192
	s_waitcnt lgkmcnt(0)
	v_add_f32_e32 v6, v6, v9
.LBB325_809:
	s_or_b64 exec, exec, s[2:3]
	v_or_b32_e32 v9, 64, v4
	v_cmp_gt_u32_e64 s[2:3], s6, v9
	s_and_b64 s[6:7], vcc, s[2:3]
	s_and_saveexec_b64 s[2:3], s[6:7]
	s_cbranch_execz .LBB325_811
; %bb.810:
	v_mov_b32_e32 v9, 0x100
	v_lshl_add_u32 v9, v4, 2, v9
	ds_read_b32 v9, v9 offset:256
	s_waitcnt lgkmcnt(0)
	v_add_f32_e32 v3, v3, v9
.LBB325_811:
	;; [unrolled: 27-line block ×3, first 2 shown]
	s_or_b64 exec, exec, s[2:3]
	v_or_b32_e32 v9, 0x70, v4
	s_movk_i32 s2, 0x78
	v_cmp_gt_u32_e64 s[2:3], s2, v9
	s_and_b64 s[6:7], vcc, s[2:3]
	s_and_saveexec_b64 s[2:3], s[6:7]
	s_cbranch_execz .LBB325_817
; %bb.816:
	v_mov_b32_e32 v9, 0x100
	v_lshl_add_u32 v9, v4, 2, v9
	ds_read_b32 v9, v9 offset:448
	s_waitcnt lgkmcnt(0)
	v_add_f32_e32 v0, v0, v9
.LBB325_817:
	s_or_b64 exec, exec, s[2:3]
.LBB325_818:
	s_or_b64 exec, exec, s[4:5]
	s_barrier
	s_and_saveexec_b64 s[2:3], s[0:1]
	s_cbranch_execz .LBB325_835
; %bb.819:
	s_mul_i32 s0, s10, s11
	s_mul_i32 s0, s0, s9
	s_mulk_i32 s0, 0x78
	s_ashr_i32 s1, s0, 31
	s_lshl_b64 s[0:1], s[0:1], 1
	s_add_u32 s2, s22, s0
	s_mul_i32 s0, s11, s20
	s_addc_u32 s3, s23, s1
	s_ashr_i32 s1, s0, 31
	s_lshl_b64 s[0:1], s[0:1], 1
	s_add_u32 s2, s2, s0
	s_mul_i32 s0, s8, 0x78
	s_addc_u32 s3, s3, s1
	s_ashr_i32 s1, s0, 31
	s_lshl_b64 s[0:1], s[0:1], 1
	s_add_u32 s2, s2, s0
	s_movk_i32 s6, 0x78
	s_addc_u32 s3, s3, s1
	v_lshlrev_b32_e32 v9, 1, v4
	s_and_saveexec_b64 s[4:5], vcc
	s_cbranch_execz .LBB325_821
; %bb.820:
	v_bfe_u32 v10, v8, 16, 1
	s_movk_i32 s0, 0x7fff
	v_add3_u32 v10, v10, v8, s0
	v_or_b32_e32 v11, 0x400000, v8
	v_cmp_u_f32_e64 s[0:1], v8, v8
	v_cndmask_b32_e64 v8, v10, v11, s[0:1]
	global_store_short_d16_hi v9, v8, s[2:3]
.LBB325_821:
	s_or_b64 exec, exec, s[4:5]
	v_or_b32_e32 v8, 16, v4
	v_cmp_gt_u32_e64 s[0:1], s6, v8
	s_and_b64 s[0:1], vcc, s[0:1]
	s_and_saveexec_b64 s[4:5], s[0:1]
	s_cbranch_execz .LBB325_823
; %bb.822:
	v_bfe_u32 v8, v7, 16, 1
	s_movk_i32 s0, 0x7fff
	v_add3_u32 v8, v8, v7, s0
	v_or_b32_e32 v10, 0x400000, v7
	v_cmp_u_f32_e64 s[0:1], v7, v7
	v_cndmask_b32_e64 v7, v8, v10, s[0:1]
	global_store_short_d16_hi v9, v7, s[2:3] offset:32
.LBB325_823:
	s_or_b64 exec, exec, s[4:5]
	v_or_b32_e32 v7, 32, v4
	v_cmp_gt_u32_e64 s[0:1], s6, v7
	s_and_b64 s[0:1], vcc, s[0:1]
	s_and_saveexec_b64 s[4:5], s[0:1]
	s_cbranch_execz .LBB325_825
; %bb.824:
	v_bfe_u32 v7, v5, 16, 1
	s_movk_i32 s0, 0x7fff
	v_add3_u32 v7, v7, v5, s0
	v_or_b32_e32 v8, 0x400000, v5
	v_cmp_u_f32_e64 s[0:1], v5, v5
	v_cndmask_b32_e64 v5, v7, v8, s[0:1]
	global_store_short_d16_hi v9, v5, s[2:3] offset:64
.LBB325_825:
	;; [unrolled: 15-line block ×6, first 2 shown]
	s_or_b64 exec, exec, s[4:5]
	v_or_b32_e32 v1, 0x70, v4
	v_cmp_gt_u32_e64 s[0:1], s6, v1
	s_and_b64 s[0:1], vcc, s[0:1]
	s_and_b64 exec, exec, s[0:1]
	s_cbranch_execz .LBB325_835
; %bb.834:
	v_bfe_u32 v1, v0, 16, 1
	s_movk_i32 s0, 0x7fff
	v_add3_u32 v1, v1, v0, s0
	v_or_b32_e32 v2, 0x400000, v0
	v_cmp_u_f32_e32 vcc, v0, v0
	v_cndmask_b32_e32 v0, v1, v2, vcc
	global_store_short_d16_hi v9, v0, s[2:3] offset:224
.LBB325_835:
	s_endpgm
	.section	.rodata,"a",@progbits
	.p2align	6, 0x0
	.amdhsa_kernel _ZN4vllm25paged_attention_v1_kernelI14__hip_bfloat16hLi120ELi32ELi128ELNS_18Fp8KVCacheDataTypeE1ELb0EEEvPT_PKS3_PKT0_S9_ifPKiSB_iPKfiiiSD_SD_iiiii
		.amdhsa_group_segment_fixed_size 256
		.amdhsa_private_segment_fixed_size 324
		.amdhsa_kernarg_size 384
		.amdhsa_user_sgpr_count 6
		.amdhsa_user_sgpr_private_segment_buffer 1
		.amdhsa_user_sgpr_dispatch_ptr 0
		.amdhsa_user_sgpr_queue_ptr 0
		.amdhsa_user_sgpr_kernarg_segment_ptr 1
		.amdhsa_user_sgpr_dispatch_id 0
		.amdhsa_user_sgpr_flat_scratch_init 0
		.amdhsa_user_sgpr_private_segment_size 0
		.amdhsa_uses_dynamic_stack 0
		.amdhsa_system_sgpr_private_segment_wavefront_offset 1
		.amdhsa_system_sgpr_workgroup_id_x 1
		.amdhsa_system_sgpr_workgroup_id_y 1
		.amdhsa_system_sgpr_workgroup_id_z 1
		.amdhsa_system_sgpr_workgroup_info 0
		.amdhsa_system_vgpr_workitem_id 0
		.amdhsa_next_free_vgpr 64
		.amdhsa_next_free_sgpr 52
		.amdhsa_reserve_vcc 1
		.amdhsa_reserve_flat_scratch 0
		.amdhsa_float_round_mode_32 0
		.amdhsa_float_round_mode_16_64 0
		.amdhsa_float_denorm_mode_32 3
		.amdhsa_float_denorm_mode_16_64 3
		.amdhsa_dx10_clamp 1
		.amdhsa_ieee_mode 1
		.amdhsa_fp16_overflow 0
		.amdhsa_exception_fp_ieee_invalid_op 0
		.amdhsa_exception_fp_denorm_src 0
		.amdhsa_exception_fp_ieee_div_zero 0
		.amdhsa_exception_fp_ieee_overflow 0
		.amdhsa_exception_fp_ieee_underflow 0
		.amdhsa_exception_fp_ieee_inexact 0
		.amdhsa_exception_int_div_zero 0
	.end_amdhsa_kernel
	.section	.text._ZN4vllm25paged_attention_v1_kernelI14__hip_bfloat16hLi120ELi32ELi128ELNS_18Fp8KVCacheDataTypeE1ELb0EEEvPT_PKS3_PKT0_S9_ifPKiSB_iPKfiiiSD_SD_iiiii,"axG",@progbits,_ZN4vllm25paged_attention_v1_kernelI14__hip_bfloat16hLi120ELi32ELi128ELNS_18Fp8KVCacheDataTypeE1ELb0EEEvPT_PKS3_PKT0_S9_ifPKiSB_iPKfiiiSD_SD_iiiii,comdat
.Lfunc_end325:
	.size	_ZN4vllm25paged_attention_v1_kernelI14__hip_bfloat16hLi120ELi32ELi128ELNS_18Fp8KVCacheDataTypeE1ELb0EEEvPT_PKS3_PKT0_S9_ifPKiSB_iPKfiiiSD_SD_iiiii, .Lfunc_end325-_ZN4vllm25paged_attention_v1_kernelI14__hip_bfloat16hLi120ELi32ELi128ELNS_18Fp8KVCacheDataTypeE1ELb0EEEvPT_PKS3_PKT0_S9_ifPKiSB_iPKfiiiSD_SD_iiiii
                                        ; -- End function
	.set _ZN4vllm25paged_attention_v1_kernelI14__hip_bfloat16hLi120ELi32ELi128ELNS_18Fp8KVCacheDataTypeE1ELb0EEEvPT_PKS3_PKT0_S9_ifPKiSB_iPKfiiiSD_SD_iiiii.num_vgpr, 64
	.set _ZN4vllm25paged_attention_v1_kernelI14__hip_bfloat16hLi120ELi32ELi128ELNS_18Fp8KVCacheDataTypeE1ELb0EEEvPT_PKS3_PKT0_S9_ifPKiSB_iPKfiiiSD_SD_iiiii.num_agpr, 0
	.set _ZN4vllm25paged_attention_v1_kernelI14__hip_bfloat16hLi120ELi32ELi128ELNS_18Fp8KVCacheDataTypeE1ELb0EEEvPT_PKS3_PKT0_S9_ifPKiSB_iPKfiiiSD_SD_iiiii.numbered_sgpr, 52
	.set _ZN4vllm25paged_attention_v1_kernelI14__hip_bfloat16hLi120ELi32ELi128ELNS_18Fp8KVCacheDataTypeE1ELb0EEEvPT_PKS3_PKT0_S9_ifPKiSB_iPKfiiiSD_SD_iiiii.num_named_barrier, 0
	.set _ZN4vllm25paged_attention_v1_kernelI14__hip_bfloat16hLi120ELi32ELi128ELNS_18Fp8KVCacheDataTypeE1ELb0EEEvPT_PKS3_PKT0_S9_ifPKiSB_iPKfiiiSD_SD_iiiii.private_seg_size, 324
	.set _ZN4vllm25paged_attention_v1_kernelI14__hip_bfloat16hLi120ELi32ELi128ELNS_18Fp8KVCacheDataTypeE1ELb0EEEvPT_PKS3_PKT0_S9_ifPKiSB_iPKfiiiSD_SD_iiiii.uses_vcc, 1
	.set _ZN4vllm25paged_attention_v1_kernelI14__hip_bfloat16hLi120ELi32ELi128ELNS_18Fp8KVCacheDataTypeE1ELb0EEEvPT_PKS3_PKT0_S9_ifPKiSB_iPKfiiiSD_SD_iiiii.uses_flat_scratch, 0
	.set _ZN4vllm25paged_attention_v1_kernelI14__hip_bfloat16hLi120ELi32ELi128ELNS_18Fp8KVCacheDataTypeE1ELb0EEEvPT_PKS3_PKT0_S9_ifPKiSB_iPKfiiiSD_SD_iiiii.has_dyn_sized_stack, 0
	.set _ZN4vllm25paged_attention_v1_kernelI14__hip_bfloat16hLi120ELi32ELi128ELNS_18Fp8KVCacheDataTypeE1ELb0EEEvPT_PKS3_PKT0_S9_ifPKiSB_iPKfiiiSD_SD_iiiii.has_recursion, 0
	.set _ZN4vllm25paged_attention_v1_kernelI14__hip_bfloat16hLi120ELi32ELi128ELNS_18Fp8KVCacheDataTypeE1ELb0EEEvPT_PKS3_PKT0_S9_ifPKiSB_iPKfiiiSD_SD_iiiii.has_indirect_call, 0
	.section	.AMDGPU.csdata,"",@progbits
; Kernel info:
; codeLenInByte = 42460
; TotalNumSgprs: 56
; NumVgprs: 64
; ScratchSize: 324
; MemoryBound: 0
; FloatMode: 240
; IeeeMode: 1
; LDSByteSize: 256 bytes/workgroup (compile time only)
; SGPRBlocks: 6
; VGPRBlocks: 15
; NumSGPRsForWavesPerEU: 56
; NumVGPRsForWavesPerEU: 64
; Occupancy: 4
; WaveLimiterHint : 1
; COMPUTE_PGM_RSRC2:SCRATCH_EN: 1
; COMPUTE_PGM_RSRC2:USER_SGPR: 6
; COMPUTE_PGM_RSRC2:TRAP_HANDLER: 0
; COMPUTE_PGM_RSRC2:TGID_X_EN: 1
; COMPUTE_PGM_RSRC2:TGID_Y_EN: 1
; COMPUTE_PGM_RSRC2:TGID_Z_EN: 1
; COMPUTE_PGM_RSRC2:TIDIG_COMP_CNT: 0
	.section	.text._ZN4vllm25paged_attention_v1_kernelI14__hip_bfloat16hLi128ELi32ELi128ELNS_18Fp8KVCacheDataTypeE1ELb0EEEvPT_PKS3_PKT0_S9_ifPKiSB_iPKfiiiSD_SD_iiiii,"axG",@progbits,_ZN4vllm25paged_attention_v1_kernelI14__hip_bfloat16hLi128ELi32ELi128ELNS_18Fp8KVCacheDataTypeE1ELb0EEEvPT_PKS3_PKT0_S9_ifPKiSB_iPKfiiiSD_SD_iiiii,comdat
	.protected	_ZN4vllm25paged_attention_v1_kernelI14__hip_bfloat16hLi128ELi32ELi128ELNS_18Fp8KVCacheDataTypeE1ELb0EEEvPT_PKS3_PKT0_S9_ifPKiSB_iPKfiiiSD_SD_iiiii ; -- Begin function _ZN4vllm25paged_attention_v1_kernelI14__hip_bfloat16hLi128ELi32ELi128ELNS_18Fp8KVCacheDataTypeE1ELb0EEEvPT_PKS3_PKT0_S9_ifPKiSB_iPKfiiiSD_SD_iiiii
	.globl	_ZN4vllm25paged_attention_v1_kernelI14__hip_bfloat16hLi128ELi32ELi128ELNS_18Fp8KVCacheDataTypeE1ELb0EEEvPT_PKS3_PKT0_S9_ifPKiSB_iPKfiiiSD_SD_iiiii
	.p2align	8
	.type	_ZN4vllm25paged_attention_v1_kernelI14__hip_bfloat16hLi128ELi32ELi128ELNS_18Fp8KVCacheDataTypeE1ELb0EEEvPT_PKS3_PKT0_S9_ifPKiSB_iPKfiiiSD_SD_iiiii,@function
_ZN4vllm25paged_attention_v1_kernelI14__hip_bfloat16hLi128ELi32ELi128ELNS_18Fp8KVCacheDataTypeE1ELb0EEEvPT_PKS3_PKT0_S9_ifPKiSB_iPKfiiiSD_SD_iiiii: ; @_ZN4vllm25paged_attention_v1_kernelI14__hip_bfloat16hLi128ELi32ELi128ELNS_18Fp8KVCacheDataTypeE1ELb0EEEvPT_PKS3_PKT0_S9_ifPKiSB_iPKfiiiSD_SD_iiiii
; %bb.0:
	s_mov_b64 s[50:51], s[2:3]
	s_mov_b64 s[48:49], s[0:1]
	s_add_u32 s48, s48, s9
	s_load_dword s9, s[4:5], 0x80
	s_load_dwordx2 s[0:1], s[4:5], 0x30
	s_load_dwordx2 s[30:31], s[4:5], 0x20
	s_addc_u32 s49, s49, 0
	s_mov_b32 s10, s7
	s_ashr_i32 s11, s7, 31
	s_lshl_b64 s[2:3], s[10:11], 2
	s_waitcnt lgkmcnt(0)
	s_add_u32 s0, s0, s2
	s_addc_u32 s1, s1, s3
	s_abs_i32 s2, s30
	v_cvt_f32_u32_e32 v1, s2
	s_sub_i32 s11, 0, s2
	s_abs_i32 s7, s9
	s_xor_b32 s3, s9, s30
	v_rcp_iflag_f32_e32 v1, v1
	s_ashr_i32 s3, s3, 31
	s_mov_b32 s33, 0
	v_mul_f32_e32 v1, 0x4f7ffffe, v1
	v_cvt_u32_f32_e32 v1, v1
	v_readfirstlane_b32 s12, v1
	s_mul_i32 s11, s11, s12
	s_mul_hi_u32 s11, s12, s11
	s_add_i32 s12, s12, s11
	s_mul_hi_u32 s11, s7, s12
	s_mul_i32 s12, s11, s2
	s_sub_i32 s7, s7, s12
	s_add_i32 s12, s11, 1
	s_sub_i32 s13, s7, s2
	s_cmp_ge_u32 s7, s2
	s_cselect_b32 s11, s12, s11
	s_cselect_b32 s7, s13, s7
	s_add_i32 s12, s11, 1
	s_cmp_ge_u32 s7, s2
	s_cselect_b32 s2, s12, s11
	s_xor_b32 s2, s2, s3
	s_sub_i32 s12, s2, s3
	s_abs_i32 s11, s12
	v_cvt_f32_u32_e32 v1, s11
	s_load_dwordx2 s[2:3], s[4:5], 0x40
	s_sub_i32 s7, 0, s11
	s_abs_i32 s16, s6
	v_rcp_iflag_f32_e32 v1, v1
	v_mul_f32_e32 v1, 0x4f7ffffe, v1
	v_cvt_u32_f32_e32 v1, v1
	v_readfirstlane_b32 s13, v1
	s_mul_i32 s7, s7, s13
	s_mul_hi_u32 s7, s13, s7
	s_add_i32 s13, s13, s7
	s_waitcnt lgkmcnt(0)
	s_cmp_eq_u64 s[2:3], 0
	s_mul_hi_u32 s17, s16, s13
	s_cbranch_scc1 .LBB326_2
; %bb.1:
	s_ashr_i32 s7, s6, 31
	s_lshl_b64 s[14:15], s[6:7], 2
	s_add_u32 s2, s2, s14
	s_addc_u32 s3, s3, s15
	s_load_dword s33, s[2:3], 0x0
.LBB326_2:
	s_load_dword s30, s[0:1], 0x0
	s_ashr_i32 s3, s12, 31
	s_load_dwordx4 s[12:15], s[4:5], 0x48
	s_ashr_i32 s2, s6, 31
	v_and_b32_e32 v11, 1, v0
	s_lshl_b32 s20, s6, 7
	v_lshlrev_b32_e32 v1, 3, v0
	v_cmp_gt_u32_e32 vcc, 32, v0
	buffer_store_dword v1, off, s[48:51], 0 offset:356 ; 4-byte Folded Spill
	s_mov_b64 s[0:1], exec
	s_and_b64 s[6:7], s[0:1], vcc
	buffer_store_dword v0, off, s[48:51], 0 offset:344 ; 4-byte Folded Spill
	s_mov_b64 exec, s[6:7]
	s_cbranch_execz .LBB326_4
; %bb.3:
	buffer_load_dword v0, off, s[48:51], 0 offset:356 ; 4-byte Folded Reload
	s_load_dwordx2 s[6:7], s[4:5], 0x8
	s_waitcnt lgkmcnt(0)
	s_mul_i32 s18, s12, s10
	s_ashr_i32 s19, s18, 31
	s_lshl_b64 s[18:19], s[18:19], 1
	s_add_u32 s12, s6, s18
	s_addc_u32 s15, s7, s19
	s_ashr_i32 s21, s20, 31
	s_lshl_b64 s[6:7], s[20:21], 1
	s_add_u32 s6, s12, s6
	s_addc_u32 s7, s15, s7
	s_waitcnt vmcnt(0)
	global_load_dwordx2 v[1:2], v0, s[6:7]
	s_nop 0
	buffer_load_dword v0, off, s[48:51], 0 offset:344 ; 4-byte Folded Reload
	s_waitcnt vmcnt(0)
	v_lshlrev_b32_e32 v3, 2, v0
	buffer_load_dword v0, off, s[48:51], 0 offset:344 ; 4-byte Folded Reload
	v_and_b32_e32 v3, 0xff8, v3
	v_lshl_add_u32 v3, v11, 7, v3
	ds_write_b64 v3, v[1:2]
.LBB326_4:
	s_or_b64 exec, exec, s[0:1]
	s_waitcnt lgkmcnt(0)
	s_add_i32 s1, s30, 31
	s_ashr_i32 s6, s1, 31
	s_lshr_b32 s6, s6, 27
	s_add_i32 s1, s1, s6
	s_ashr_i32 s21, s1, 5
	s_xor_b32 s1, s2, s3
	s_mul_i32 s2, s17, s11
	s_sub_i32 s2, s16, s2
	s_add_i32 s3, s17, 1
	s_sub_i32 s6, s2, s11
	s_load_dwordx2 s[24:25], s[4:5], 0x28
	s_load_dword s0, s[4:5], 0x38
	s_cmp_ge_u32 s2, s11
	s_cselect_b32 s3, s3, s17
	s_cselect_b32 s2, s6, s2
	s_add_i32 s6, s3, 1
	s_cmp_ge_u32 s2, s11
	s_cselect_b32 s2, s6, s3
	s_waitcnt vmcnt(0)
	v_lshrrev_b32_e32 v1, 6, v0
	s_xor_b32 s2, s2, s1
	s_waitcnt lgkmcnt(0)
	s_mul_i32 s26, s0, s10
                                        ; implicit-def: $vgpr2
	s_sub_i32 s12, s2, s1
	s_barrier
	s_ashr_i32 s27, s26, 31
	v_cmp_gt_i32_e64 s[0:1], s21, v1
	buffer_store_dword v1, off, s[48:51], 0 ; 4-byte Folded Spill
	v_cmp_le_i32_e32 vcc, s21, v1
	v_mbcnt_lo_u32_b32 v1, -1, 0
                                        ; kill: killed $vgpr2
                                        ; implicit-def: $vgpr2
                                        ; kill: killed $vgpr2
                                        ; implicit-def: $vgpr2
                                        ; kill: killed $vgpr2
	s_and_saveexec_b64 s[2:3], vcc
	s_xor_b64 s[2:3], exec, s[2:3]
	s_cbranch_execz .LBB326_6
; %bb.5:
	v_mbcnt_hi_u32_b32 v1, -1, v1
	buffer_store_dword v1, off, s[48:51], 0 offset:348 ; 4-byte Folded Spill
	v_and_b32_e32 v1, 64, v1
	buffer_store_dword v1, off, s[48:51], 0 offset:364 ; 4-byte Folded Spill
	v_add_u32_e32 v1, 64, v1
	buffer_store_dword v1, off, s[48:51], 0 offset:352 ; 4-byte Folded Spill
                                        ; implicit-def: $vgpr11
                                        ; implicit-def: $vgpr1
.LBB326_6:
	s_or_saveexec_b64 s[6:7], s[2:3]
	s_load_dwordx2 s[22:23], s[4:5], 0x0
	s_load_dwordx2 s[28:29], s[4:5], 0x18
	s_load_dword s11, s[4:5], 0x88
	s_load_dwordx4 s[16:19], s[4:5], 0x58
	v_mov_b32_e32 v2, 0xff7fffff
	buffer_store_dword v2, off, s[48:51], 0 offset:68 ; 4-byte Folded Spill
	s_mul_i32 s12, s12, s14
	v_lshrrev_b32_e32 v2, 4, v0
	buffer_store_dword v2, off, s[48:51], 0 offset:360 ; 4-byte Folded Spill
	s_xor_b64 exec, exec, s[6:7]
	s_cbranch_execz .LBB326_396
; %bb.7:
	v_lshlrev_b32_e32 v10, 7, v11
	ds_read_b128 v[2:5], v10
	ds_read_b128 v[6:9], v10 offset:16
	s_load_dwordx2 s[2:3], s[4:5], 0x10
	s_ashr_i32 s4, s12, 31
	v_mbcnt_hi_u32_b32 v1, -1, v1
	s_waitcnt lgkmcnt(0)
	v_lshlrev_b32_e32 v12, 16, v2
	v_and_b32_e32 v2, 0xffff0000, v2
	buffer_store_dword v2, off, s[48:51], 0 offset:76 ; 4-byte Folded Spill
	v_lshlrev_b32_e32 v2, 16, v3
	buffer_store_dword v2, off, s[48:51], 0 offset:80 ; 4-byte Folded Spill
	v_and_b32_e32 v2, 0xffff0000, v3
	buffer_store_dword v2, off, s[48:51], 0 offset:84 ; 4-byte Folded Spill
	v_lshlrev_b32_e32 v2, 16, v4
	buffer_store_dword v2, off, s[48:51], 0 offset:88 ; 4-byte Folded Spill
	;; [unrolled: 4-line block ×6, first 2 shown]
	ds_read_b128 v[2:5], v10 offset:32
	v_and_b32_e32 v6, 0xffff0000, v8
	buffer_store_dword v6, off, s[48:51], 0 offset:128 ; 4-byte Folded Spill
	v_lshlrev_b32_e32 v6, 16, v9
	buffer_store_dword v6, off, s[48:51], 0 offset:132 ; 4-byte Folded Spill
	v_and_b32_e32 v6, 0xffff0000, v9
	buffer_store_dword v12, off, s[48:51], 0 offset:72 ; 4-byte Folded Spill
	buffer_store_dword v6, off, s[48:51], 0 offset:136 ; 4-byte Folded Spill
	ds_read_b128 v[6:9], v10 offset:48
	s_waitcnt lgkmcnt(1)
	v_lshlrev_b32_e32 v12, 16, v2
	v_and_b32_e32 v2, 0xffff0000, v2
	buffer_store_dword v2, off, s[48:51], 0 offset:144 ; 4-byte Folded Spill
	v_lshlrev_b32_e32 v2, 16, v3
	buffer_store_dword v2, off, s[48:51], 0 offset:148 ; 4-byte Folded Spill
	v_and_b32_e32 v2, 0xffff0000, v3
	buffer_store_dword v2, off, s[48:51], 0 offset:152 ; 4-byte Folded Spill
	v_lshlrev_b32_e32 v2, 16, v4
	buffer_store_dword v2, off, s[48:51], 0 offset:156 ; 4-byte Folded Spill
	;; [unrolled: 4-line block ×3, first 2 shown]
	v_and_b32_e32 v2, 0xffff0000, v5
	buffer_store_dword v2, off, s[48:51], 0 offset:168 ; 4-byte Folded Spill
	s_waitcnt lgkmcnt(0)
	v_lshlrev_b32_e32 v2, 16, v6
	buffer_store_dword v2, off, s[48:51], 0 offset:172 ; 4-byte Folded Spill
	v_and_b32_e32 v2, 0xffff0000, v6
	buffer_store_dword v2, off, s[48:51], 0 offset:176 ; 4-byte Folded Spill
	v_lshlrev_b32_e32 v2, 16, v7
	buffer_store_dword v2, off, s[48:51], 0 offset:180 ; 4-byte Folded Spill
	v_and_b32_e32 v2, 0xffff0000, v7
	buffer_store_dword v2, off, s[48:51], 0 offset:184 ; 4-byte Folded Spill
	v_lshlrev_b32_e32 v2, 16, v8
	buffer_store_dword v2, off, s[48:51], 0 offset:188 ; 4-byte Folded Spill
	ds_read_b128 v[2:5], v10 offset:64
	v_and_b32_e32 v6, 0xffff0000, v8
	buffer_store_dword v6, off, s[48:51], 0 offset:192 ; 4-byte Folded Spill
	v_lshlrev_b32_e32 v6, 16, v9
	buffer_store_dword v6, off, s[48:51], 0 offset:196 ; 4-byte Folded Spill
	v_and_b32_e32 v6, 0xffff0000, v9
	buffer_store_dword v12, off, s[48:51], 0 offset:140 ; 4-byte Folded Spill
	buffer_store_dword v6, off, s[48:51], 0 offset:200 ; 4-byte Folded Spill
	ds_read_b128 v[6:9], v10 offset:80
	s_waitcnt lgkmcnt(1)
	v_lshlrev_b32_e32 v12, 16, v2
	v_and_b32_e32 v2, 0xffff0000, v2
	buffer_store_dword v2, off, s[48:51], 0 offset:208 ; 4-byte Folded Spill
	v_lshlrev_b32_e32 v2, 16, v3
	buffer_store_dword v2, off, s[48:51], 0 offset:212 ; 4-byte Folded Spill
	v_and_b32_e32 v2, 0xffff0000, v3
	buffer_store_dword v2, off, s[48:51], 0 offset:216 ; 4-byte Folded Spill
	v_lshlrev_b32_e32 v2, 16, v4
	buffer_store_dword v2, off, s[48:51], 0 offset:220 ; 4-byte Folded Spill
	;; [unrolled: 4-line block ×3, first 2 shown]
	v_and_b32_e32 v2, 0xffff0000, v5
	buffer_store_dword v2, off, s[48:51], 0 offset:232 ; 4-byte Folded Spill
	s_waitcnt lgkmcnt(0)
	v_lshlrev_b32_e32 v2, 16, v6
	buffer_store_dword v2, off, s[48:51], 0 offset:236 ; 4-byte Folded Spill
	v_and_b32_e32 v2, 0xffff0000, v6
	buffer_store_dword v2, off, s[48:51], 0 offset:240 ; 4-byte Folded Spill
	v_lshlrev_b32_e32 v2, 16, v7
	buffer_store_dword v2, off, s[48:51], 0 offset:244 ; 4-byte Folded Spill
	v_and_b32_e32 v2, 0xffff0000, v7
	buffer_store_dword v2, off, s[48:51], 0 offset:248 ; 4-byte Folded Spill
	;; [unrolled: 4-line block ×4, first 2 shown]
	buffer_store_dword v2, off, s[48:51], 0 offset:264 ; 4-byte Folded Spill
	ds_read_b128 v[2:5], v10 offset:96
	ds_read_b128 v[6:9], v10 offset:112
	s_add_u32 s2, s2, s12
	s_addc_u32 s3, s3, s4
	s_sub_i32 s38, 1, s30
	s_waitcnt lgkmcnt(1)
	v_lshlrev_b32_e32 v10, 16, v2
	v_and_b32_e32 v2, 0xffff0000, v2
	buffer_store_dword v2, off, s[48:51], 0 offset:272 ; 4-byte Folded Spill
	v_lshlrev_b32_e32 v2, 16, v3
	buffer_store_dword v2, off, s[48:51], 0 offset:276 ; 4-byte Folded Spill
	v_and_b32_e32 v2, 0xffff0000, v3
	buffer_store_dword v2, off, s[48:51], 0 offset:280 ; 4-byte Folded Spill
	v_lshlrev_b32_e32 v2, 16, v4
	buffer_store_dword v2, off, s[48:51], 0 offset:284 ; 4-byte Folded Spill
	;; [unrolled: 4-line block ×3, first 2 shown]
	v_and_b32_e32 v2, 0xffff0000, v5
	buffer_store_dword v2, off, s[48:51], 0 offset:296 ; 4-byte Folded Spill
	s_waitcnt lgkmcnt(0)
	v_lshlrev_b32_e32 v2, 16, v6
	buffer_store_dword v2, off, s[48:51], 0 offset:300 ; 4-byte Folded Spill
	v_and_b32_e32 v2, 0xffff0000, v6
	buffer_store_dword v2, off, s[48:51], 0 offset:304 ; 4-byte Folded Spill
	v_lshlrev_b32_e32 v2, 16, v7
	buffer_store_dword v2, off, s[48:51], 0 offset:308 ; 4-byte Folded Spill
	v_and_b32_e32 v2, 0xffff0000, v7
	buffer_store_dword v2, off, s[48:51], 0 offset:312 ; 4-byte Folded Spill
	;; [unrolled: 4-line block ×4, first 2 shown]
	v_bfe_u32 v2, v0, 1, 5
	v_lshlrev_b32_e32 v3, 4, v2
	v_mov_b32_e32 v4, s3
	v_add_co_u32_e32 v3, vcc, s2, v3
	v_lshlrev_b32_e32 v0, 2, v11
	v_addc_co_u32_e32 v4, vcc, 0, v4, vcc
	v_add_co_u32_e64 v3, s[2:3], v3, v0
	v_addc_co_u32_e64 v4, s[2:3], 0, v4, s[2:3]
	buffer_store_dword v10, off, s[48:51], 0 offset:268 ; 4-byte Folded Spill
	buffer_store_dword v3, off, s[48:51], 0 offset:332 ; 4-byte Folded Spill
	s_nop 0
	buffer_store_dword v4, off, s[48:51], 0 offset:336 ; 4-byte Folded Spill
	buffer_load_dword v0, off, s[48:51], 0 offset:360 ; 4-byte Folded Reload
	s_lshl_b64 s[2:3], s[26:27], 2
	s_add_u32 s2, s24, s2
	s_addc_u32 s3, s25, s3
	v_mov_b32_e32 v4, s3
	v_and_b32_e32 v3, 64, v1
	buffer_store_dword v3, off, s[48:51], 0 offset:364 ; 4-byte Folded Spill
	v_add_u32_e32 v3, 64, v3
	buffer_store_dword v1, off, s[48:51], 0 offset:348 ; 4-byte Folded Spill
	s_load_dword s40, s[16:17], 0x0
	v_cmp_eq_u32_e32 vcc, 0, v11
	s_mov_b32 s39, s13
	s_mov_b64 s[14:15], 0
	s_movk_i32 s41, 0x80
	s_movk_i32 s42, 0x7f
	s_mov_b32 s43, 0xffffff
	s_movk_i32 s44, 0x7fff
	buffer_store_dword v3, off, s[48:51], 0 offset:352 ; 4-byte Folded Spill
	s_waitcnt vmcnt(3)
	v_and_b32_e32 v0, 60, v0
	v_add_co_u32_e64 v5, s[2:3], s2, v0
	v_addc_co_u32_e64 v6, s[2:3], 0, v4, s[2:3]
	v_xor_b32_e32 v0, 1, v1
	v_cmp_lt_i32_e64 s[2:3], v0, v3
	v_cndmask_b32_e64 v0, v1, v0, s[2:3]
	buffer_load_dword v1, off, s[48:51], 0  ; 4-byte Folded Reload
	v_lshlrev_b32_e32 v0, 2, v0
	buffer_store_dword v0, off, s[48:51], 0 offset:340 ; 4-byte Folded Spill
	v_cmp_neq_f32_e64 s[2:3], s33, 0
	s_waitcnt vmcnt(1)
	v_lshl_or_b32 v0, v1, 5, v2
	buffer_store_dword v0, off, s[48:51], 0 offset:28 ; 4-byte Folded Spill
	v_lshlrev_b32_e32 v0, 2, v2
	v_lshl_or_b32 v0, v1, 7, v0
	v_add_u32_e32 v0, 0x110, v0
	buffer_store_dword v0, off, s[48:51], 0 offset:32 ; 4-byte Folded Spill
	v_mov_b32_e32 v0, 0xff7fffff
	v_mov_b32_e32 v7, v1
	buffer_store_dword v0, off, s[48:51], 0 offset:68 ; 4-byte Folded Spill
	s_branch .LBB326_9
.LBB326_8:                              ;   in Loop: Header=BB326_9 Depth=1
	s_or_b64 exec, exec, s[16:17]
	buffer_load_dword v0, off, s[48:51], 0 offset:28 ; 4-byte Folded Reload
	s_waitcnt vmcnt(1)
	v_add_u32_e32 v7, 2, v7
	v_cmp_le_i32_e64 s[4:5], s21, v7
	s_or_b64 s[14:15], s[4:5], s[14:15]
	s_waitcnt vmcnt(0)
	v_add_u32_e32 v0, 64, v0
	buffer_store_dword v0, off, s[48:51], 0 offset:28 ; 4-byte Folded Spill
	buffer_load_dword v0, off, s[48:51], 0 offset:32 ; 4-byte Folded Reload
	s_waitcnt vmcnt(0)
	v_add_u32_e32 v0, 0x100, v0
	buffer_store_dword v0, off, s[48:51], 0 offset:32 ; 4-byte Folded Spill
	buffer_load_dword v5, off, s[48:51], 0 offset:36 ; 4-byte Folded Reload
	buffer_load_dword v6, off, s[48:51], 0 offset:40 ; 4-byte Folded Reload
	s_waitcnt vmcnt(1)
	v_add_co_u32_e64 v5, s[4:5], 8, v5
	s_waitcnt vmcnt(0)
	v_addc_co_u32_e64 v6, s[4:5], 0, v6, s[4:5]
	s_andn2_b64 exec, exec, s[14:15]
	s_cbranch_execz .LBB326_395
.LBB326_9:                              ; =>This Inner Loop Header: Depth=1
	buffer_store_dword v7, off, s[48:51], 0 offset:44 ; 4-byte Folded Spill
	buffer_store_dword v5, off, s[48:51], 0 offset:36 ; 4-byte Folded Spill
	s_nop 0
	buffer_store_dword v6, off, s[48:51], 0 offset:40 ; 4-byte Folded Spill
	v_mov_b32_e32 v37, 0
	global_load_dword v0, v[5:6], off
	s_waitcnt lgkmcnt(0)
	buffer_load_dword v1, off, s[48:51], 0 offset:332 ; 4-byte Folded Reload
	buffer_load_dword v2, off, s[48:51], 0 offset:336 ; 4-byte Folded Reload
	s_waitcnt vmcnt(0)
	v_mad_i64_i32 v[5:6], s[4:5], v0, s39, v[1:2]
	v_mov_b32_e32 v0, 0
	global_load_dword v7, v[5:6], off
	s_waitcnt vmcnt(0)
	v_cmp_ne_u16_sdwa s[4:5], v7, v0 src0_sel:BYTE_0 src1_sel:DWORD
	s_and_saveexec_b64 s[16:17], s[4:5]
	s_cbranch_execz .LBB326_15
; %bb.10:                               ;   in Loop: Header=BB326_9 Depth=1
	v_cmp_ne_u16_sdwa s[4:5], v7, s41 src0_sel:BYTE_0 src1_sel:DWORD
	v_bfrev_b32_e32 v37, 1
	s_and_saveexec_b64 s[34:35], s[4:5]
	s_cbranch_execz .LBB326_14
; %bb.11:                               ;   in Loop: Header=BB326_9 Depth=1
	v_and_b32_e32 v0, 0x7f, v7
	v_cmp_ne_u32_e64 s[4:5], s42, v0
	v_mov_b32_e32 v37, 0x7f800001
	s_and_saveexec_b64 s[36:37], s[4:5]
	s_cbranch_execz .LBB326_13
; %bb.12:                               ;   in Loop: Header=BB326_9 Depth=1
	v_and_b32_e32 v2, 7, v7
	v_lshrrev_b32_e32 v8, 3, v0
	v_cmp_gt_u32_e64 s[4:5], 8, v0
	v_ffbh_u32_e32 v0, v2
	v_min_u32_e32 v9, 32, v0
	v_subrev_u32_e32 v0, 28, v9
	v_lshlrev_b64 v[0:1], v0, v[7:8]
	v_sub_u32_e32 v1, 29, v9
	v_and_b32_e32 v0, 7, v0
	v_cndmask_b32_e64 v1, v8, v1, s[4:5]
	v_cndmask_b32_e64 v0, v2, v0, s[4:5]
	v_lshlrev_b32_e32 v2, 24, v7
	v_bfrev_b32_e32 v3, 60
	v_lshlrev_b32_e32 v0, 20, v0
	v_and_b32_e32 v2, 0x80000000, v2
	v_lshl_add_u32 v1, v1, 23, v3
	v_or3_b32 v37, v2, v1, v0
.LBB326_13:                             ;   in Loop: Header=BB326_9 Depth=1
	s_or_b64 exec, exec, s[36:37]
.LBB326_14:                             ;   in Loop: Header=BB326_9 Depth=1
	s_or_b64 exec, exec, s[34:35]
.LBB326_15:                             ;   in Loop: Header=BB326_9 Depth=1
	s_or_b64 exec, exec, s[16:17]
	v_lshrrev_b16_e32 v8, 8, v7
	v_cmp_ne_u16_e64 s[4:5], 0, v8
	v_mov_b32_e32 v42, 0
	v_mov_b32_e32 v26, 0
	s_and_saveexec_b64 s[16:17], s[4:5]
	s_cbranch_execz .LBB326_21
; %bb.16:                               ;   in Loop: Header=BB326_9 Depth=1
	v_cmp_ne_u16_e64 s[4:5], s41, v8
	v_bfrev_b32_e32 v26, 1
	s_and_saveexec_b64 s[34:35], s[4:5]
	s_cbranch_execz .LBB326_20
; %bb.17:                               ;   in Loop: Header=BB326_9 Depth=1
	v_and_b32_e32 v0, 0x7f, v8
	v_cmp_ne_u32_e64 s[4:5], s42, v0
	v_mov_b32_e32 v26, 0x7f800001
	s_and_saveexec_b64 s[36:37], s[4:5]
	s_cbranch_execz .LBB326_19
; %bb.18:                               ;   in Loop: Header=BB326_9 Depth=1
	v_and_b32_e32 v2, 7, v8
	v_lshrrev_b32_e32 v9, 3, v0
	v_cmp_gt_u32_e64 s[4:5], 8, v0
	v_ffbh_u32_e32 v0, v2
	v_min_u32_e32 v10, 32, v0
	v_subrev_u32_e32 v0, 28, v10
	v_lshlrev_b64 v[0:1], v0, v[8:9]
	v_sub_u32_e32 v1, 29, v10
	v_and_b32_e32 v0, 7, v0
	v_cndmask_b32_e64 v1, v9, v1, s[4:5]
	v_cndmask_b32_e64 v0, v2, v0, s[4:5]
	v_lshlrev_b32_e32 v2, 16, v7
	v_bfrev_b32_e32 v3, 60
	v_lshlrev_b32_e32 v0, 20, v0
	v_and_b32_e32 v2, 0x80000000, v2
	v_lshl_add_u32 v1, v1, 23, v3
	v_or3_b32 v26, v2, v1, v0
.LBB326_19:                             ;   in Loop: Header=BB326_9 Depth=1
	s_or_b64 exec, exec, s[36:37]
.LBB326_20:                             ;   in Loop: Header=BB326_9 Depth=1
	s_or_b64 exec, exec, s[34:35]
.LBB326_21:                             ;   in Loop: Header=BB326_9 Depth=1
	s_or_b64 exec, exec, s[16:17]
	v_lshrrev_b32_e32 v8, 16, v7
	v_mov_b32_e32 v0, 0
	v_cmp_ne_u16_sdwa s[4:5], v8, v0 src0_sel:BYTE_0 src1_sel:DWORD
	s_and_saveexec_b64 s[16:17], s[4:5]
	s_cbranch_execz .LBB326_27
; %bb.22:                               ;   in Loop: Header=BB326_9 Depth=1
	v_cmp_ne_u16_sdwa s[4:5], v8, s41 src0_sel:BYTE_0 src1_sel:DWORD
	v_bfrev_b32_e32 v42, 1
	s_and_saveexec_b64 s[34:35], s[4:5]
	s_cbranch_execz .LBB326_26
; %bb.23:                               ;   in Loop: Header=BB326_9 Depth=1
	v_bfe_u32 v0, v7, 16, 7
	v_cmp_ne_u32_e64 s[4:5], s42, v0
	v_mov_b32_e32 v42, 0x7f800001
	s_and_saveexec_b64 s[36:37], s[4:5]
	s_cbranch_execz .LBB326_25
; %bb.24:                               ;   in Loop: Header=BB326_9 Depth=1
	v_and_b32_e32 v2, 7, v8
	v_lshrrev_b32_e32 v9, 3, v0
	v_cmp_gt_u32_e64 s[4:5], 8, v0
	v_ffbh_u32_e32 v0, v2
	v_min_u32_e32 v10, 32, v0
	v_subrev_u32_e32 v0, 28, v10
	v_lshlrev_b64 v[0:1], v0, v[8:9]
	v_sub_u32_e32 v1, 29, v10
	v_and_b32_e32 v0, 7, v0
	v_cndmask_b32_e64 v1, v9, v1, s[4:5]
	v_cndmask_b32_e64 v0, v2, v0, s[4:5]
	v_lshlrev_b32_e32 v2, 24, v8
	v_bfrev_b32_e32 v3, 60
	v_lshlrev_b32_e32 v0, 20, v0
	v_and_b32_e32 v2, 0x80000000, v2
	v_lshl_add_u32 v1, v1, 23, v3
	v_or3_b32 v42, v2, v1, v0
.LBB326_25:                             ;   in Loop: Header=BB326_9 Depth=1
	s_or_b64 exec, exec, s[36:37]
.LBB326_26:                             ;   in Loop: Header=BB326_9 Depth=1
	s_or_b64 exec, exec, s[34:35]
.LBB326_27:                             ;   in Loop: Header=BB326_9 Depth=1
	s_or_b64 exec, exec, s[16:17]
	v_cmp_lt_u32_e64 s[4:5], s43, v7
	v_mov_b32_e32 v28, 0
	v_mov_b32_e32 v44, 0
	s_and_saveexec_b64 s[16:17], s[4:5]
	s_cbranch_execz .LBB326_33
; %bb.28:                               ;   in Loop: Header=BB326_9 Depth=1
	v_lshrrev_b32_e32 v8, 24, v7
	v_cmp_ne_u32_e64 s[4:5], s41, v8
	v_bfrev_b32_e32 v44, 1
	s_and_saveexec_b64 s[34:35], s[4:5]
	s_cbranch_execz .LBB326_32
; %bb.29:                               ;   in Loop: Header=BB326_9 Depth=1
	v_bfe_u32 v0, v7, 24, 7
	v_cmp_ne_u32_e64 s[4:5], s42, v0
	v_mov_b32_e32 v44, 0x7f800001
	s_and_saveexec_b64 s[36:37], s[4:5]
	s_cbranch_execz .LBB326_31
; %bb.30:                               ;   in Loop: Header=BB326_9 Depth=1
	v_and_b32_e32 v2, 7, v8
	v_lshrrev_b32_e32 v7, 3, v0
	v_cmp_gt_u32_e64 s[4:5], 8, v0
	v_ffbh_u32_e32 v0, v2
	v_min_u32_e32 v9, 32, v0
	v_subrev_u32_e32 v0, 28, v9
	v_lshlrev_b64 v[0:1], v0, v[8:9]
	v_sub_u32_e32 v1, 29, v9
	v_and_b32_e32 v0, 7, v0
	v_cndmask_b32_e64 v1, v7, v1, s[4:5]
	v_cndmask_b32_e64 v0, v2, v0, s[4:5]
	v_lshlrev_b32_e32 v2, 24, v8
	v_bfrev_b32_e32 v3, 60
	v_lshlrev_b32_e32 v0, 20, v0
	v_and_b32_e32 v2, 0x80000000, v2
	v_lshl_add_u32 v1, v1, 23, v3
	v_or3_b32 v44, v2, v1, v0
.LBB326_31:                             ;   in Loop: Header=BB326_9 Depth=1
	s_or_b64 exec, exec, s[36:37]
.LBB326_32:                             ;   in Loop: Header=BB326_9 Depth=1
	s_or_b64 exec, exec, s[34:35]
.LBB326_33:                             ;   in Loop: Header=BB326_9 Depth=1
	s_or_b64 exec, exec, s[16:17]
	global_load_dword v7, v[5:6], off offset:8
	v_mov_b32_e32 v0, 0
	s_waitcnt vmcnt(0)
	v_cmp_ne_u16_sdwa s[4:5], v7, v0 src0_sel:BYTE_0 src1_sel:DWORD
	s_and_saveexec_b64 s[16:17], s[4:5]
	s_cbranch_execz .LBB326_39
; %bb.34:                               ;   in Loop: Header=BB326_9 Depth=1
	v_cmp_ne_u16_sdwa s[4:5], v7, s41 src0_sel:BYTE_0 src1_sel:DWORD
	v_bfrev_b32_e32 v28, 1
	s_and_saveexec_b64 s[34:35], s[4:5]
	s_cbranch_execz .LBB326_38
; %bb.35:                               ;   in Loop: Header=BB326_9 Depth=1
	v_and_b32_e32 v0, 0x7f, v7
	v_cmp_ne_u32_e64 s[4:5], s42, v0
	v_mov_b32_e32 v28, 0x7f800001
	s_and_saveexec_b64 s[36:37], s[4:5]
	s_cbranch_execz .LBB326_37
; %bb.36:                               ;   in Loop: Header=BB326_9 Depth=1
	v_and_b32_e32 v2, 7, v7
	v_lshrrev_b32_e32 v8, 3, v0
	v_cmp_gt_u32_e64 s[4:5], 8, v0
	v_ffbh_u32_e32 v0, v2
	v_min_u32_e32 v9, 32, v0
	v_subrev_u32_e32 v0, 28, v9
	v_lshlrev_b64 v[0:1], v0, v[7:8]
	v_sub_u32_e32 v1, 29, v9
	v_and_b32_e32 v0, 7, v0
	v_cndmask_b32_e64 v1, v8, v1, s[4:5]
	v_cndmask_b32_e64 v0, v2, v0, s[4:5]
	v_lshlrev_b32_e32 v2, 24, v7
	v_bfrev_b32_e32 v3, 60
	v_lshlrev_b32_e32 v0, 20, v0
	v_and_b32_e32 v2, 0x80000000, v2
	v_lshl_add_u32 v1, v1, 23, v3
	v_or3_b32 v28, v2, v1, v0
.LBB326_37:                             ;   in Loop: Header=BB326_9 Depth=1
	s_or_b64 exec, exec, s[36:37]
.LBB326_38:                             ;   in Loop: Header=BB326_9 Depth=1
	s_or_b64 exec, exec, s[34:35]
.LBB326_39:                             ;   in Loop: Header=BB326_9 Depth=1
	s_or_b64 exec, exec, s[16:17]
	v_lshrrev_b16_e32 v8, 8, v7
	v_mov_b32_e32 v0, 0
	v_cmp_ne_u16_e64 s[4:5], 0, v8
	buffer_store_dword v0, off, s[48:51], 0 offset:8 ; 4-byte Folded Spill
	v_mov_b32_e32 v0, 0
	buffer_store_dword v0, off, s[48:51], 0 offset:4 ; 4-byte Folded Spill
	s_and_saveexec_b64 s[16:17], s[4:5]
	s_cbranch_execz .LBB326_45
; %bb.40:                               ;   in Loop: Header=BB326_9 Depth=1
	v_cmp_ne_u16_e64 s[4:5], s41, v8
	v_bfrev_b32_e32 v0, 1
	buffer_store_dword v0, off, s[48:51], 0 offset:4 ; 4-byte Folded Spill
	s_and_saveexec_b64 s[34:35], s[4:5]
	s_cbranch_execz .LBB326_44
; %bb.41:                               ;   in Loop: Header=BB326_9 Depth=1
	v_and_b32_e32 v0, 0x7f, v8
	v_cmp_ne_u32_e64 s[4:5], s42, v0
	v_mov_b32_e32 v1, 0x7f800001
	buffer_store_dword v1, off, s[48:51], 0 offset:4 ; 4-byte Folded Spill
	s_and_saveexec_b64 s[36:37], s[4:5]
	s_cbranch_execz .LBB326_43
; %bb.42:                               ;   in Loop: Header=BB326_9 Depth=1
	v_and_b32_e32 v2, 7, v8
	v_lshrrev_b32_e32 v9, 3, v0
	v_cmp_gt_u32_e64 s[4:5], 8, v0
	v_ffbh_u32_e32 v0, v2
	v_min_u32_e32 v10, 32, v0
	v_subrev_u32_e32 v0, 28, v10
	v_lshlrev_b64 v[0:1], v0, v[8:9]
	v_sub_u32_e32 v1, 29, v10
	v_and_b32_e32 v0, 7, v0
	v_cndmask_b32_e64 v1, v9, v1, s[4:5]
	v_cndmask_b32_e64 v0, v2, v0, s[4:5]
	v_lshlrev_b32_e32 v2, 16, v7
	v_bfrev_b32_e32 v3, 60
	v_lshlrev_b32_e32 v0, 20, v0
	v_and_b32_e32 v2, 0x80000000, v2
	v_lshl_add_u32 v1, v1, 23, v3
	v_or3_b32 v0, v2, v1, v0
	buffer_store_dword v0, off, s[48:51], 0 offset:4 ; 4-byte Folded Spill
.LBB326_43:                             ;   in Loop: Header=BB326_9 Depth=1
	s_or_b64 exec, exec, s[36:37]
.LBB326_44:                             ;   in Loop: Header=BB326_9 Depth=1
	s_or_b64 exec, exec, s[34:35]
.LBB326_45:                             ;   in Loop: Header=BB326_9 Depth=1
	s_or_b64 exec, exec, s[16:17]
	v_lshrrev_b32_e32 v8, 16, v7
	v_mov_b32_e32 v0, 0
	v_cmp_ne_u16_sdwa s[4:5], v8, v0 src0_sel:BYTE_0 src1_sel:DWORD
	s_and_saveexec_b64 s[16:17], s[4:5]
	s_cbranch_execz .LBB326_51
; %bb.46:                               ;   in Loop: Header=BB326_9 Depth=1
	v_cmp_ne_u16_sdwa s[4:5], v8, s41 src0_sel:BYTE_0 src1_sel:DWORD
	v_bfrev_b32_e32 v0, 1
	buffer_store_dword v0, off, s[48:51], 0 offset:8 ; 4-byte Folded Spill
	s_and_saveexec_b64 s[34:35], s[4:5]
	s_cbranch_execz .LBB326_50
; %bb.47:                               ;   in Loop: Header=BB326_9 Depth=1
	v_bfe_u32 v0, v7, 16, 7
	v_cmp_ne_u32_e64 s[4:5], s42, v0
	v_mov_b32_e32 v1, 0x7f800001
	buffer_store_dword v1, off, s[48:51], 0 offset:8 ; 4-byte Folded Spill
	s_and_saveexec_b64 s[36:37], s[4:5]
	s_cbranch_execz .LBB326_49
; %bb.48:                               ;   in Loop: Header=BB326_9 Depth=1
	v_and_b32_e32 v2, 7, v8
	v_lshrrev_b32_e32 v9, 3, v0
	v_cmp_gt_u32_e64 s[4:5], 8, v0
	v_ffbh_u32_e32 v0, v2
	v_min_u32_e32 v10, 32, v0
	v_subrev_u32_e32 v0, 28, v10
	v_lshlrev_b64 v[0:1], v0, v[8:9]
	v_sub_u32_e32 v1, 29, v10
	v_and_b32_e32 v0, 7, v0
	v_cndmask_b32_e64 v1, v9, v1, s[4:5]
	v_cndmask_b32_e64 v0, v2, v0, s[4:5]
	v_lshlrev_b32_e32 v2, 24, v8
	v_bfrev_b32_e32 v3, 60
	v_lshlrev_b32_e32 v0, 20, v0
	v_and_b32_e32 v2, 0x80000000, v2
	v_lshl_add_u32 v1, v1, 23, v3
	v_or3_b32 v0, v2, v1, v0
	buffer_store_dword v0, off, s[48:51], 0 offset:8 ; 4-byte Folded Spill
.LBB326_49:                             ;   in Loop: Header=BB326_9 Depth=1
	s_or_b64 exec, exec, s[36:37]
.LBB326_50:                             ;   in Loop: Header=BB326_9 Depth=1
	s_or_b64 exec, exec, s[34:35]
.LBB326_51:                             ;   in Loop: Header=BB326_9 Depth=1
	s_or_b64 exec, exec, s[16:17]
	v_mov_b32_e32 v0, 0
	v_cmp_lt_u32_e64 s[4:5], s43, v7
	buffer_store_dword v0, off, s[48:51], 0 offset:12 ; 4-byte Folded Spill
	v_mov_b32_e32 v0, 0
	buffer_store_dword v0, off, s[48:51], 0 offset:24 ; 4-byte Folded Spill
	s_and_saveexec_b64 s[16:17], s[4:5]
	s_cbranch_execz .LBB326_57
; %bb.52:                               ;   in Loop: Header=BB326_9 Depth=1
	v_lshrrev_b32_e32 v8, 24, v7
	v_cmp_ne_u32_e64 s[4:5], s41, v8
	v_bfrev_b32_e32 v0, 1
	buffer_store_dword v0, off, s[48:51], 0 offset:24 ; 4-byte Folded Spill
	s_and_saveexec_b64 s[34:35], s[4:5]
	s_cbranch_execz .LBB326_56
; %bb.53:                               ;   in Loop: Header=BB326_9 Depth=1
	v_bfe_u32 v0, v7, 24, 7
	v_cmp_ne_u32_e64 s[4:5], s42, v0
	v_mov_b32_e32 v1, 0x7f800001
	s_and_saveexec_b64 s[36:37], s[4:5]
	s_cbranch_execz .LBB326_55
; %bb.54:                               ;   in Loop: Header=BB326_9 Depth=1
	v_and_b32_e32 v2, 7, v8
	v_lshrrev_b32_e32 v7, 3, v0
	v_cmp_gt_u32_e64 s[4:5], 8, v0
	v_ffbh_u32_e32 v0, v2
	v_min_u32_e32 v9, 32, v0
	v_subrev_u32_e32 v0, 28, v9
	v_lshlrev_b64 v[0:1], v0, v[8:9]
	v_sub_u32_e32 v1, 29, v9
	v_and_b32_e32 v0, 7, v0
	v_cndmask_b32_e64 v1, v7, v1, s[4:5]
	v_cndmask_b32_e64 v0, v2, v0, s[4:5]
	v_lshlrev_b32_e32 v2, 24, v8
	v_bfrev_b32_e32 v3, 60
	v_lshlrev_b32_e32 v0, 20, v0
	v_and_b32_e32 v2, 0x80000000, v2
	v_lshl_add_u32 v1, v1, 23, v3
	v_or3_b32 v1, v2, v1, v0
.LBB326_55:                             ;   in Loop: Header=BB326_9 Depth=1
	s_or_b64 exec, exec, s[36:37]
	buffer_store_dword v1, off, s[48:51], 0 offset:24 ; 4-byte Folded Spill
.LBB326_56:                             ;   in Loop: Header=BB326_9 Depth=1
	s_or_b64 exec, exec, s[34:35]
.LBB326_57:                             ;   in Loop: Header=BB326_9 Depth=1
	s_or_b64 exec, exec, s[16:17]
	global_load_dword v7, v[5:6], off offset:512
	v_mov_b32_e32 v0, 0
	s_waitcnt vmcnt(0)
	v_cmp_ne_u16_sdwa s[4:5], v7, v0 src0_sel:BYTE_0 src1_sel:DWORD
	s_and_saveexec_b64 s[16:17], s[4:5]
	s_cbranch_execz .LBB326_63
; %bb.58:                               ;   in Loop: Header=BB326_9 Depth=1
	v_cmp_ne_u16_sdwa s[4:5], v7, s41 src0_sel:BYTE_0 src1_sel:DWORD
	v_bfrev_b32_e32 v0, 1
	buffer_store_dword v0, off, s[48:51], 0 offset:12 ; 4-byte Folded Spill
	s_and_saveexec_b64 s[34:35], s[4:5]
	s_cbranch_execz .LBB326_62
; %bb.59:                               ;   in Loop: Header=BB326_9 Depth=1
	v_and_b32_e32 v0, 0x7f, v7
	v_cmp_ne_u32_e64 s[4:5], s42, v0
	v_mov_b32_e32 v1, 0x7f800001
	buffer_store_dword v1, off, s[48:51], 0 offset:12 ; 4-byte Folded Spill
	s_and_saveexec_b64 s[36:37], s[4:5]
	s_cbranch_execz .LBB326_61
; %bb.60:                               ;   in Loop: Header=BB326_9 Depth=1
	v_and_b32_e32 v2, 7, v7
	v_lshrrev_b32_e32 v8, 3, v0
	v_cmp_gt_u32_e64 s[4:5], 8, v0
	v_ffbh_u32_e32 v0, v2
	v_min_u32_e32 v9, 32, v0
	v_subrev_u32_e32 v0, 28, v9
	v_lshlrev_b64 v[0:1], v0, v[7:8]
	v_sub_u32_e32 v1, 29, v9
	v_and_b32_e32 v0, 7, v0
	v_cndmask_b32_e64 v1, v8, v1, s[4:5]
	v_cndmask_b32_e64 v0, v2, v0, s[4:5]
	v_lshlrev_b32_e32 v2, 24, v7
	v_bfrev_b32_e32 v3, 60
	v_lshlrev_b32_e32 v0, 20, v0
	v_and_b32_e32 v2, 0x80000000, v2
	v_lshl_add_u32 v1, v1, 23, v3
	v_or3_b32 v0, v2, v1, v0
	buffer_store_dword v0, off, s[48:51], 0 offset:12 ; 4-byte Folded Spill
.LBB326_61:                             ;   in Loop: Header=BB326_9 Depth=1
	s_or_b64 exec, exec, s[36:37]
.LBB326_62:                             ;   in Loop: Header=BB326_9 Depth=1
	s_or_b64 exec, exec, s[34:35]
.LBB326_63:                             ;   in Loop: Header=BB326_9 Depth=1
	s_or_b64 exec, exec, s[16:17]
	v_lshrrev_b16_e32 v8, 8, v7
	v_mov_b32_e32 v0, 0
	v_cmp_ne_u16_e64 s[4:5], 0, v8
	buffer_store_dword v0, off, s[48:51], 0 offset:20 ; 4-byte Folded Spill
	v_mov_b32_e32 v0, 0
	buffer_store_dword v0, off, s[48:51], 0 offset:16 ; 4-byte Folded Spill
	s_and_saveexec_b64 s[16:17], s[4:5]
	s_cbranch_execz .LBB326_69
; %bb.64:                               ;   in Loop: Header=BB326_9 Depth=1
	v_cmp_ne_u16_e64 s[4:5], s41, v8
	v_bfrev_b32_e32 v0, 1
	buffer_store_dword v0, off, s[48:51], 0 offset:16 ; 4-byte Folded Spill
	s_and_saveexec_b64 s[34:35], s[4:5]
	s_cbranch_execz .LBB326_68
; %bb.65:                               ;   in Loop: Header=BB326_9 Depth=1
	v_and_b32_e32 v0, 0x7f, v8
	v_cmp_ne_u32_e64 s[4:5], s42, v0
	v_mov_b32_e32 v1, 0x7f800001
	buffer_store_dword v1, off, s[48:51], 0 offset:16 ; 4-byte Folded Spill
	s_and_saveexec_b64 s[36:37], s[4:5]
	s_cbranch_execz .LBB326_67
; %bb.66:                               ;   in Loop: Header=BB326_9 Depth=1
	v_and_b32_e32 v2, 7, v8
	v_lshrrev_b32_e32 v9, 3, v0
	v_cmp_gt_u32_e64 s[4:5], 8, v0
	v_ffbh_u32_e32 v0, v2
	v_min_u32_e32 v10, 32, v0
	v_subrev_u32_e32 v0, 28, v10
	v_lshlrev_b64 v[0:1], v0, v[8:9]
	v_sub_u32_e32 v1, 29, v10
	v_and_b32_e32 v0, 7, v0
	v_cndmask_b32_e64 v1, v9, v1, s[4:5]
	v_cndmask_b32_e64 v0, v2, v0, s[4:5]
	v_lshlrev_b32_e32 v2, 16, v7
	v_bfrev_b32_e32 v3, 60
	v_lshlrev_b32_e32 v0, 20, v0
	v_and_b32_e32 v2, 0x80000000, v2
	v_lshl_add_u32 v1, v1, 23, v3
	v_or3_b32 v0, v2, v1, v0
	buffer_store_dword v0, off, s[48:51], 0 offset:16 ; 4-byte Folded Spill
.LBB326_67:                             ;   in Loop: Header=BB326_9 Depth=1
	s_or_b64 exec, exec, s[36:37]
.LBB326_68:                             ;   in Loop: Header=BB326_9 Depth=1
	s_or_b64 exec, exec, s[34:35]
.LBB326_69:                             ;   in Loop: Header=BB326_9 Depth=1
	s_or_b64 exec, exec, s[16:17]
	v_lshrrev_b32_e32 v8, 16, v7
	v_mov_b32_e32 v0, 0
	v_cmp_ne_u16_sdwa s[4:5], v8, v0 src0_sel:BYTE_0 src1_sel:DWORD
	s_and_saveexec_b64 s[16:17], s[4:5]
	s_cbranch_execz .LBB326_75
; %bb.70:                               ;   in Loop: Header=BB326_9 Depth=1
	v_cmp_ne_u16_sdwa s[4:5], v8, s41 src0_sel:BYTE_0 src1_sel:DWORD
	v_bfrev_b32_e32 v0, 1
	buffer_store_dword v0, off, s[48:51], 0 offset:20 ; 4-byte Folded Spill
	s_and_saveexec_b64 s[34:35], s[4:5]
	s_cbranch_execz .LBB326_74
; %bb.71:                               ;   in Loop: Header=BB326_9 Depth=1
	v_bfe_u32 v0, v7, 16, 7
	v_cmp_ne_u32_e64 s[4:5], s42, v0
	v_mov_b32_e32 v1, 0x7f800001
	buffer_store_dword v1, off, s[48:51], 0 offset:20 ; 4-byte Folded Spill
	s_and_saveexec_b64 s[36:37], s[4:5]
	s_cbranch_execz .LBB326_73
; %bb.72:                               ;   in Loop: Header=BB326_9 Depth=1
	v_and_b32_e32 v2, 7, v8
	v_lshrrev_b32_e32 v9, 3, v0
	v_cmp_gt_u32_e64 s[4:5], 8, v0
	v_ffbh_u32_e32 v0, v2
	v_min_u32_e32 v10, 32, v0
	v_subrev_u32_e32 v0, 28, v10
	v_lshlrev_b64 v[0:1], v0, v[8:9]
	v_sub_u32_e32 v1, 29, v10
	v_and_b32_e32 v0, 7, v0
	v_cndmask_b32_e64 v1, v9, v1, s[4:5]
	v_cndmask_b32_e64 v0, v2, v0, s[4:5]
	v_lshlrev_b32_e32 v2, 24, v8
	v_bfrev_b32_e32 v3, 60
	v_lshlrev_b32_e32 v0, 20, v0
	v_and_b32_e32 v2, 0x80000000, v2
	v_lshl_add_u32 v1, v1, 23, v3
	v_or3_b32 v0, v2, v1, v0
	buffer_store_dword v0, off, s[48:51], 0 offset:20 ; 4-byte Folded Spill
.LBB326_73:                             ;   in Loop: Header=BB326_9 Depth=1
	s_or_b64 exec, exec, s[36:37]
.LBB326_74:                             ;   in Loop: Header=BB326_9 Depth=1
	s_or_b64 exec, exec, s[34:35]
.LBB326_75:                             ;   in Loop: Header=BB326_9 Depth=1
	s_or_b64 exec, exec, s[16:17]
	v_cmp_lt_u32_e64 s[4:5], s43, v7
	v_mov_b32_e32 v43, 0
	v_mov_b32_e32 v20, 0
	s_and_saveexec_b64 s[16:17], s[4:5]
	s_cbranch_execz .LBB326_81
; %bb.76:                               ;   in Loop: Header=BB326_9 Depth=1
	v_lshrrev_b32_e32 v8, 24, v7
	v_cmp_ne_u32_e64 s[4:5], s41, v8
	v_bfrev_b32_e32 v20, 1
	s_and_saveexec_b64 s[34:35], s[4:5]
	s_cbranch_execz .LBB326_80
; %bb.77:                               ;   in Loop: Header=BB326_9 Depth=1
	v_bfe_u32 v0, v7, 24, 7
	v_cmp_ne_u32_e64 s[4:5], s42, v0
	v_mov_b32_e32 v20, 0x7f800001
	s_and_saveexec_b64 s[36:37], s[4:5]
	s_cbranch_execz .LBB326_79
; %bb.78:                               ;   in Loop: Header=BB326_9 Depth=1
	v_and_b32_e32 v2, 7, v8
	v_lshrrev_b32_e32 v7, 3, v0
	v_cmp_gt_u32_e64 s[4:5], 8, v0
	v_ffbh_u32_e32 v0, v2
	v_min_u32_e32 v9, 32, v0
	v_subrev_u32_e32 v0, 28, v9
	v_lshlrev_b64 v[0:1], v0, v[8:9]
	v_sub_u32_e32 v1, 29, v9
	v_and_b32_e32 v0, 7, v0
	v_cndmask_b32_e64 v1, v7, v1, s[4:5]
	v_cndmask_b32_e64 v0, v2, v0, s[4:5]
	v_lshlrev_b32_e32 v2, 24, v8
	v_bfrev_b32_e32 v3, 60
	v_lshlrev_b32_e32 v0, 20, v0
	v_and_b32_e32 v2, 0x80000000, v2
	v_lshl_add_u32 v1, v1, 23, v3
	v_or3_b32 v20, v2, v1, v0
.LBB326_79:                             ;   in Loop: Header=BB326_9 Depth=1
	s_or_b64 exec, exec, s[36:37]
.LBB326_80:                             ;   in Loop: Header=BB326_9 Depth=1
	s_or_b64 exec, exec, s[34:35]
.LBB326_81:                             ;   in Loop: Header=BB326_9 Depth=1
	s_or_b64 exec, exec, s[16:17]
	global_load_dword v7, v[5:6], off offset:520
	v_mov_b32_e32 v0, 0
	s_waitcnt vmcnt(0)
	v_cmp_ne_u16_sdwa s[4:5], v7, v0 src0_sel:BYTE_0 src1_sel:DWORD
	s_and_saveexec_b64 s[16:17], s[4:5]
	s_cbranch_execz .LBB326_87
; %bb.82:                               ;   in Loop: Header=BB326_9 Depth=1
	v_cmp_ne_u16_sdwa s[4:5], v7, s41 src0_sel:BYTE_0 src1_sel:DWORD
	v_bfrev_b32_e32 v43, 1
	s_and_saveexec_b64 s[34:35], s[4:5]
	s_cbranch_execz .LBB326_86
; %bb.83:                               ;   in Loop: Header=BB326_9 Depth=1
	v_and_b32_e32 v0, 0x7f, v7
	v_cmp_ne_u32_e64 s[4:5], s42, v0
	v_mov_b32_e32 v43, 0x7f800001
	s_and_saveexec_b64 s[36:37], s[4:5]
	s_cbranch_execz .LBB326_85
; %bb.84:                               ;   in Loop: Header=BB326_9 Depth=1
	v_and_b32_e32 v2, 7, v7
	v_lshrrev_b32_e32 v8, 3, v0
	v_cmp_gt_u32_e64 s[4:5], 8, v0
	v_ffbh_u32_e32 v0, v2
	v_min_u32_e32 v9, 32, v0
	v_subrev_u32_e32 v0, 28, v9
	v_lshlrev_b64 v[0:1], v0, v[7:8]
	v_sub_u32_e32 v1, 29, v9
	v_and_b32_e32 v0, 7, v0
	v_cndmask_b32_e64 v1, v8, v1, s[4:5]
	v_cndmask_b32_e64 v0, v2, v0, s[4:5]
	v_lshlrev_b32_e32 v2, 24, v7
	v_bfrev_b32_e32 v3, 60
	v_lshlrev_b32_e32 v0, 20, v0
	v_and_b32_e32 v2, 0x80000000, v2
	v_lshl_add_u32 v1, v1, 23, v3
	v_or3_b32 v43, v2, v1, v0
.LBB326_85:                             ;   in Loop: Header=BB326_9 Depth=1
	s_or_b64 exec, exec, s[36:37]
.LBB326_86:                             ;   in Loop: Header=BB326_9 Depth=1
	s_or_b64 exec, exec, s[34:35]
.LBB326_87:                             ;   in Loop: Header=BB326_9 Depth=1
	s_or_b64 exec, exec, s[16:17]
	v_lshrrev_b16_e32 v8, 8, v7
	v_cmp_ne_u16_e64 s[4:5], 0, v8
	v_mov_b32_e32 v45, 0
	v_mov_b32_e32 v30, 0
	s_and_saveexec_b64 s[16:17], s[4:5]
	s_cbranch_execz .LBB326_93
; %bb.88:                               ;   in Loop: Header=BB326_9 Depth=1
	v_cmp_ne_u16_e64 s[4:5], s41, v8
	v_bfrev_b32_e32 v30, 1
	s_and_saveexec_b64 s[34:35], s[4:5]
	s_cbranch_execz .LBB326_92
; %bb.89:                               ;   in Loop: Header=BB326_9 Depth=1
	v_and_b32_e32 v0, 0x7f, v8
	v_cmp_ne_u32_e64 s[4:5], s42, v0
	v_mov_b32_e32 v30, 0x7f800001
	s_and_saveexec_b64 s[36:37], s[4:5]
	s_cbranch_execz .LBB326_91
; %bb.90:                               ;   in Loop: Header=BB326_9 Depth=1
	v_and_b32_e32 v2, 7, v8
	v_lshrrev_b32_e32 v9, 3, v0
	v_cmp_gt_u32_e64 s[4:5], 8, v0
	v_ffbh_u32_e32 v0, v2
	v_min_u32_e32 v10, 32, v0
	v_subrev_u32_e32 v0, 28, v10
	v_lshlrev_b64 v[0:1], v0, v[8:9]
	v_sub_u32_e32 v1, 29, v10
	v_and_b32_e32 v0, 7, v0
	v_cndmask_b32_e64 v1, v9, v1, s[4:5]
	v_cndmask_b32_e64 v0, v2, v0, s[4:5]
	v_lshlrev_b32_e32 v2, 16, v7
	v_bfrev_b32_e32 v3, 60
	v_lshlrev_b32_e32 v0, 20, v0
	v_and_b32_e32 v2, 0x80000000, v2
	v_lshl_add_u32 v1, v1, 23, v3
	v_or3_b32 v30, v2, v1, v0
.LBB326_91:                             ;   in Loop: Header=BB326_9 Depth=1
	s_or_b64 exec, exec, s[36:37]
.LBB326_92:                             ;   in Loop: Header=BB326_9 Depth=1
	s_or_b64 exec, exec, s[34:35]
.LBB326_93:                             ;   in Loop: Header=BB326_9 Depth=1
	s_or_b64 exec, exec, s[16:17]
	v_lshrrev_b32_e32 v8, 16, v7
	v_mov_b32_e32 v0, 0
	v_cmp_ne_u16_sdwa s[4:5], v8, v0 src0_sel:BYTE_0 src1_sel:DWORD
	s_and_saveexec_b64 s[16:17], s[4:5]
	s_cbranch_execz .LBB326_99
; %bb.94:                               ;   in Loop: Header=BB326_9 Depth=1
	v_cmp_ne_u16_sdwa s[4:5], v8, s41 src0_sel:BYTE_0 src1_sel:DWORD
	v_bfrev_b32_e32 v45, 1
	s_and_saveexec_b64 s[34:35], s[4:5]
	s_cbranch_execz .LBB326_98
; %bb.95:                               ;   in Loop: Header=BB326_9 Depth=1
	v_bfe_u32 v0, v7, 16, 7
	v_cmp_ne_u32_e64 s[4:5], s42, v0
	v_mov_b32_e32 v45, 0x7f800001
	s_and_saveexec_b64 s[36:37], s[4:5]
	s_cbranch_execz .LBB326_97
; %bb.96:                               ;   in Loop: Header=BB326_9 Depth=1
	v_and_b32_e32 v2, 7, v8
	v_lshrrev_b32_e32 v9, 3, v0
	v_cmp_gt_u32_e64 s[4:5], 8, v0
	v_ffbh_u32_e32 v0, v2
	v_min_u32_e32 v10, 32, v0
	v_subrev_u32_e32 v0, 28, v10
	v_lshlrev_b64 v[0:1], v0, v[8:9]
	v_sub_u32_e32 v1, 29, v10
	v_and_b32_e32 v0, 7, v0
	v_cndmask_b32_e64 v1, v9, v1, s[4:5]
	v_cndmask_b32_e64 v0, v2, v0, s[4:5]
	v_lshlrev_b32_e32 v2, 24, v8
	v_bfrev_b32_e32 v3, 60
	v_lshlrev_b32_e32 v0, 20, v0
	v_and_b32_e32 v2, 0x80000000, v2
	v_lshl_add_u32 v1, v1, 23, v3
	v_or3_b32 v45, v2, v1, v0
.LBB326_97:                             ;   in Loop: Header=BB326_9 Depth=1
	s_or_b64 exec, exec, s[36:37]
.LBB326_98:                             ;   in Loop: Header=BB326_9 Depth=1
	s_or_b64 exec, exec, s[34:35]
.LBB326_99:                             ;   in Loop: Header=BB326_9 Depth=1
	s_or_b64 exec, exec, s[16:17]
	v_cmp_lt_u32_e64 s[4:5], s43, v7
	v_mov_b32_e32 v47, 0
	v_mov_b32_e32 v46, 0
	s_and_saveexec_b64 s[16:17], s[4:5]
	s_cbranch_execz .LBB326_105
; %bb.100:                              ;   in Loop: Header=BB326_9 Depth=1
	v_lshrrev_b32_e32 v8, 24, v7
	v_cmp_ne_u32_e64 s[4:5], s41, v8
	v_bfrev_b32_e32 v46, 1
	s_and_saveexec_b64 s[34:35], s[4:5]
	s_cbranch_execz .LBB326_104
; %bb.101:                              ;   in Loop: Header=BB326_9 Depth=1
	v_bfe_u32 v0, v7, 24, 7
	v_cmp_ne_u32_e64 s[4:5], s42, v0
	v_mov_b32_e32 v46, 0x7f800001
	s_and_saveexec_b64 s[36:37], s[4:5]
	s_cbranch_execz .LBB326_103
; %bb.102:                              ;   in Loop: Header=BB326_9 Depth=1
	v_and_b32_e32 v2, 7, v8
	v_lshrrev_b32_e32 v7, 3, v0
	v_cmp_gt_u32_e64 s[4:5], 8, v0
	v_ffbh_u32_e32 v0, v2
	v_min_u32_e32 v9, 32, v0
	v_subrev_u32_e32 v0, 28, v9
	v_lshlrev_b64 v[0:1], v0, v[8:9]
	v_sub_u32_e32 v1, 29, v9
	v_and_b32_e32 v0, 7, v0
	v_cndmask_b32_e64 v1, v7, v1, s[4:5]
	v_cndmask_b32_e64 v0, v2, v0, s[4:5]
	v_lshlrev_b32_e32 v2, 24, v8
	v_bfrev_b32_e32 v3, 60
	v_lshlrev_b32_e32 v0, 20, v0
	v_and_b32_e32 v2, 0x80000000, v2
	v_lshl_add_u32 v1, v1, 23, v3
	v_or3_b32 v46, v2, v1, v0
.LBB326_103:                            ;   in Loop: Header=BB326_9 Depth=1
	s_or_b64 exec, exec, s[36:37]
.LBB326_104:                            ;   in Loop: Header=BB326_9 Depth=1
	s_or_b64 exec, exec, s[34:35]
.LBB326_105:                            ;   in Loop: Header=BB326_9 Depth=1
	s_or_b64 exec, exec, s[16:17]
	global_load_dword v7, v[5:6], off offset:1024
	v_mov_b32_e32 v0, 0
	s_waitcnt vmcnt(0)
	v_cmp_ne_u16_sdwa s[4:5], v7, v0 src0_sel:BYTE_0 src1_sel:DWORD
	s_and_saveexec_b64 s[16:17], s[4:5]
	s_cbranch_execz .LBB326_111
; %bb.106:                              ;   in Loop: Header=BB326_9 Depth=1
	v_cmp_ne_u16_sdwa s[4:5], v7, s41 src0_sel:BYTE_0 src1_sel:DWORD
	v_bfrev_b32_e32 v47, 1
	s_and_saveexec_b64 s[34:35], s[4:5]
	s_cbranch_execz .LBB326_110
; %bb.107:                              ;   in Loop: Header=BB326_9 Depth=1
	v_and_b32_e32 v0, 0x7f, v7
	v_cmp_ne_u32_e64 s[4:5], s42, v0
	v_mov_b32_e32 v47, 0x7f800001
	s_and_saveexec_b64 s[36:37], s[4:5]
	s_cbranch_execz .LBB326_109
; %bb.108:                              ;   in Loop: Header=BB326_9 Depth=1
	v_and_b32_e32 v2, 7, v7
	v_lshrrev_b32_e32 v8, 3, v0
	v_cmp_gt_u32_e64 s[4:5], 8, v0
	v_ffbh_u32_e32 v0, v2
	v_min_u32_e32 v9, 32, v0
	v_subrev_u32_e32 v0, 28, v9
	v_lshlrev_b64 v[0:1], v0, v[7:8]
	v_sub_u32_e32 v1, 29, v9
	v_and_b32_e32 v0, 7, v0
	v_cndmask_b32_e64 v1, v8, v1, s[4:5]
	v_cndmask_b32_e64 v0, v2, v0, s[4:5]
	v_lshlrev_b32_e32 v2, 24, v7
	v_bfrev_b32_e32 v3, 60
	v_lshlrev_b32_e32 v0, 20, v0
	v_and_b32_e32 v2, 0x80000000, v2
	v_lshl_add_u32 v1, v1, 23, v3
	v_or3_b32 v47, v2, v1, v0
.LBB326_109:                            ;   in Loop: Header=BB326_9 Depth=1
	s_or_b64 exec, exec, s[36:37]
.LBB326_110:                            ;   in Loop: Header=BB326_9 Depth=1
	s_or_b64 exec, exec, s[34:35]
.LBB326_111:                            ;   in Loop: Header=BB326_9 Depth=1
	s_or_b64 exec, exec, s[16:17]
	v_lshrrev_b16_e32 v8, 8, v7
	v_cmp_ne_u16_e64 s[4:5], 0, v8
	v_mov_b32_e32 v49, 0
	v_mov_b32_e32 v48, 0
	s_and_saveexec_b64 s[16:17], s[4:5]
	s_cbranch_execz .LBB326_117
; %bb.112:                              ;   in Loop: Header=BB326_9 Depth=1
	v_cmp_ne_u16_e64 s[4:5], s41, v8
	v_bfrev_b32_e32 v48, 1
	s_and_saveexec_b64 s[34:35], s[4:5]
	s_cbranch_execz .LBB326_116
; %bb.113:                              ;   in Loop: Header=BB326_9 Depth=1
	v_and_b32_e32 v0, 0x7f, v8
	v_cmp_ne_u32_e64 s[4:5], s42, v0
	v_mov_b32_e32 v48, 0x7f800001
	s_and_saveexec_b64 s[36:37], s[4:5]
	s_cbranch_execz .LBB326_115
; %bb.114:                              ;   in Loop: Header=BB326_9 Depth=1
	v_and_b32_e32 v2, 7, v8
	v_lshrrev_b32_e32 v9, 3, v0
	v_cmp_gt_u32_e64 s[4:5], 8, v0
	v_ffbh_u32_e32 v0, v2
	v_min_u32_e32 v10, 32, v0
	v_subrev_u32_e32 v0, 28, v10
	v_lshlrev_b64 v[0:1], v0, v[8:9]
	v_sub_u32_e32 v1, 29, v10
	v_and_b32_e32 v0, 7, v0
	v_cndmask_b32_e64 v1, v9, v1, s[4:5]
	v_cndmask_b32_e64 v0, v2, v0, s[4:5]
	v_lshlrev_b32_e32 v2, 16, v7
	v_bfrev_b32_e32 v3, 60
	v_lshlrev_b32_e32 v0, 20, v0
	v_and_b32_e32 v2, 0x80000000, v2
	v_lshl_add_u32 v1, v1, 23, v3
	v_or3_b32 v48, v2, v1, v0
.LBB326_115:                            ;   in Loop: Header=BB326_9 Depth=1
	s_or_b64 exec, exec, s[36:37]
.LBB326_116:                            ;   in Loop: Header=BB326_9 Depth=1
	s_or_b64 exec, exec, s[34:35]
.LBB326_117:                            ;   in Loop: Header=BB326_9 Depth=1
	s_or_b64 exec, exec, s[16:17]
	v_lshrrev_b32_e32 v8, 16, v7
	v_mov_b32_e32 v0, 0
	v_cmp_ne_u16_sdwa s[4:5], v8, v0 src0_sel:BYTE_0 src1_sel:DWORD
	s_and_saveexec_b64 s[16:17], s[4:5]
	s_cbranch_execz .LBB326_123
; %bb.118:                              ;   in Loop: Header=BB326_9 Depth=1
	v_cmp_ne_u16_sdwa s[4:5], v8, s41 src0_sel:BYTE_0 src1_sel:DWORD
	v_bfrev_b32_e32 v49, 1
	s_and_saveexec_b64 s[34:35], s[4:5]
	s_cbranch_execz .LBB326_122
; %bb.119:                              ;   in Loop: Header=BB326_9 Depth=1
	v_bfe_u32 v0, v7, 16, 7
	v_cmp_ne_u32_e64 s[4:5], s42, v0
	v_mov_b32_e32 v49, 0x7f800001
	s_and_saveexec_b64 s[36:37], s[4:5]
	s_cbranch_execz .LBB326_121
; %bb.120:                              ;   in Loop: Header=BB326_9 Depth=1
	v_and_b32_e32 v2, 7, v8
	v_lshrrev_b32_e32 v9, 3, v0
	v_cmp_gt_u32_e64 s[4:5], 8, v0
	v_ffbh_u32_e32 v0, v2
	v_min_u32_e32 v10, 32, v0
	v_subrev_u32_e32 v0, 28, v10
	v_lshlrev_b64 v[0:1], v0, v[8:9]
	v_sub_u32_e32 v1, 29, v10
	v_and_b32_e32 v0, 7, v0
	v_cndmask_b32_e64 v1, v9, v1, s[4:5]
	v_cndmask_b32_e64 v0, v2, v0, s[4:5]
	v_lshlrev_b32_e32 v2, 24, v8
	v_bfrev_b32_e32 v3, 60
	v_lshlrev_b32_e32 v0, 20, v0
	v_and_b32_e32 v2, 0x80000000, v2
	v_lshl_add_u32 v1, v1, 23, v3
	v_or3_b32 v49, v2, v1, v0
.LBB326_121:                            ;   in Loop: Header=BB326_9 Depth=1
	s_or_b64 exec, exec, s[36:37]
.LBB326_122:                            ;   in Loop: Header=BB326_9 Depth=1
	s_or_b64 exec, exec, s[34:35]
.LBB326_123:                            ;   in Loop: Header=BB326_9 Depth=1
	s_or_b64 exec, exec, s[16:17]
	v_cmp_lt_u32_e64 s[4:5], s43, v7
	v_mov_b32_e32 v51, 0
	v_mov_b32_e32 v50, 0
	s_and_saveexec_b64 s[16:17], s[4:5]
	s_cbranch_execz .LBB326_129
; %bb.124:                              ;   in Loop: Header=BB326_9 Depth=1
	v_lshrrev_b32_e32 v8, 24, v7
	v_cmp_ne_u32_e64 s[4:5], s41, v8
	v_bfrev_b32_e32 v50, 1
	s_and_saveexec_b64 s[34:35], s[4:5]
	s_cbranch_execz .LBB326_128
; %bb.125:                              ;   in Loop: Header=BB326_9 Depth=1
	v_bfe_u32 v0, v7, 24, 7
	v_cmp_ne_u32_e64 s[4:5], s42, v0
	v_mov_b32_e32 v50, 0x7f800001
	s_and_saveexec_b64 s[36:37], s[4:5]
	s_cbranch_execz .LBB326_127
; %bb.126:                              ;   in Loop: Header=BB326_9 Depth=1
	v_and_b32_e32 v2, 7, v8
	v_lshrrev_b32_e32 v7, 3, v0
	v_cmp_gt_u32_e64 s[4:5], 8, v0
	v_ffbh_u32_e32 v0, v2
	v_min_u32_e32 v9, 32, v0
	v_subrev_u32_e32 v0, 28, v9
	v_lshlrev_b64 v[0:1], v0, v[8:9]
	v_sub_u32_e32 v1, 29, v9
	v_and_b32_e32 v0, 7, v0
	v_cndmask_b32_e64 v1, v7, v1, s[4:5]
	v_cndmask_b32_e64 v0, v2, v0, s[4:5]
	v_lshlrev_b32_e32 v2, 24, v8
	v_bfrev_b32_e32 v3, 60
	v_lshlrev_b32_e32 v0, 20, v0
	v_and_b32_e32 v2, 0x80000000, v2
	v_lshl_add_u32 v1, v1, 23, v3
	v_or3_b32 v50, v2, v1, v0
.LBB326_127:                            ;   in Loop: Header=BB326_9 Depth=1
	s_or_b64 exec, exec, s[36:37]
.LBB326_128:                            ;   in Loop: Header=BB326_9 Depth=1
	s_or_b64 exec, exec, s[34:35]
.LBB326_129:                            ;   in Loop: Header=BB326_9 Depth=1
	s_or_b64 exec, exec, s[16:17]
	global_load_dword v7, v[5:6], off offset:1032
	v_mov_b32_e32 v0, 0
	s_waitcnt vmcnt(0)
	v_cmp_ne_u16_sdwa s[4:5], v7, v0 src0_sel:BYTE_0 src1_sel:DWORD
	s_and_saveexec_b64 s[16:17], s[4:5]
	s_cbranch_execz .LBB326_135
; %bb.130:                              ;   in Loop: Header=BB326_9 Depth=1
	v_cmp_ne_u16_sdwa s[4:5], v7, s41 src0_sel:BYTE_0 src1_sel:DWORD
	v_bfrev_b32_e32 v51, 1
	s_and_saveexec_b64 s[34:35], s[4:5]
	s_cbranch_execz .LBB326_134
; %bb.131:                              ;   in Loop: Header=BB326_9 Depth=1
	v_and_b32_e32 v0, 0x7f, v7
	v_cmp_ne_u32_e64 s[4:5], s42, v0
	v_mov_b32_e32 v51, 0x7f800001
	s_and_saveexec_b64 s[36:37], s[4:5]
	s_cbranch_execz .LBB326_133
; %bb.132:                              ;   in Loop: Header=BB326_9 Depth=1
	v_and_b32_e32 v2, 7, v7
	v_lshrrev_b32_e32 v8, 3, v0
	v_cmp_gt_u32_e64 s[4:5], 8, v0
	v_ffbh_u32_e32 v0, v2
	v_min_u32_e32 v9, 32, v0
	v_subrev_u32_e32 v0, 28, v9
	v_lshlrev_b64 v[0:1], v0, v[7:8]
	v_sub_u32_e32 v1, 29, v9
	v_and_b32_e32 v0, 7, v0
	v_cndmask_b32_e64 v1, v8, v1, s[4:5]
	v_cndmask_b32_e64 v0, v2, v0, s[4:5]
	v_lshlrev_b32_e32 v2, 24, v7
	v_bfrev_b32_e32 v3, 60
	v_lshlrev_b32_e32 v0, 20, v0
	v_and_b32_e32 v2, 0x80000000, v2
	v_lshl_add_u32 v1, v1, 23, v3
	v_or3_b32 v51, v2, v1, v0
.LBB326_133:                            ;   in Loop: Header=BB326_9 Depth=1
	s_or_b64 exec, exec, s[36:37]
.LBB326_134:                            ;   in Loop: Header=BB326_9 Depth=1
	s_or_b64 exec, exec, s[34:35]
.LBB326_135:                            ;   in Loop: Header=BB326_9 Depth=1
	s_or_b64 exec, exec, s[16:17]
	v_lshrrev_b16_e32 v8, 8, v7
	v_cmp_ne_u16_e64 s[4:5], 0, v8
	v_mov_b32_e32 v53, 0
	v_mov_b32_e32 v52, 0
	s_and_saveexec_b64 s[16:17], s[4:5]
	s_cbranch_execz .LBB326_141
; %bb.136:                              ;   in Loop: Header=BB326_9 Depth=1
	v_cmp_ne_u16_e64 s[4:5], s41, v8
	v_bfrev_b32_e32 v52, 1
	s_and_saveexec_b64 s[34:35], s[4:5]
	s_cbranch_execz .LBB326_140
; %bb.137:                              ;   in Loop: Header=BB326_9 Depth=1
	v_and_b32_e32 v0, 0x7f, v8
	v_cmp_ne_u32_e64 s[4:5], s42, v0
	v_mov_b32_e32 v52, 0x7f800001
	s_and_saveexec_b64 s[36:37], s[4:5]
	s_cbranch_execz .LBB326_139
; %bb.138:                              ;   in Loop: Header=BB326_9 Depth=1
	v_and_b32_e32 v2, 7, v8
	v_lshrrev_b32_e32 v9, 3, v0
	v_cmp_gt_u32_e64 s[4:5], 8, v0
	v_ffbh_u32_e32 v0, v2
	v_min_u32_e32 v10, 32, v0
	v_subrev_u32_e32 v0, 28, v10
	v_lshlrev_b64 v[0:1], v0, v[8:9]
	v_sub_u32_e32 v1, 29, v10
	v_and_b32_e32 v0, 7, v0
	v_cndmask_b32_e64 v1, v9, v1, s[4:5]
	v_cndmask_b32_e64 v0, v2, v0, s[4:5]
	v_lshlrev_b32_e32 v2, 16, v7
	v_bfrev_b32_e32 v3, 60
	v_lshlrev_b32_e32 v0, 20, v0
	v_and_b32_e32 v2, 0x80000000, v2
	v_lshl_add_u32 v1, v1, 23, v3
	v_or3_b32 v52, v2, v1, v0
.LBB326_139:                            ;   in Loop: Header=BB326_9 Depth=1
	s_or_b64 exec, exec, s[36:37]
.LBB326_140:                            ;   in Loop: Header=BB326_9 Depth=1
	s_or_b64 exec, exec, s[34:35]
.LBB326_141:                            ;   in Loop: Header=BB326_9 Depth=1
	s_or_b64 exec, exec, s[16:17]
	v_lshrrev_b32_e32 v8, 16, v7
	v_mov_b32_e32 v0, 0
	v_cmp_ne_u16_sdwa s[4:5], v8, v0 src0_sel:BYTE_0 src1_sel:DWORD
	s_and_saveexec_b64 s[16:17], s[4:5]
	s_cbranch_execz .LBB326_147
; %bb.142:                              ;   in Loop: Header=BB326_9 Depth=1
	v_cmp_ne_u16_sdwa s[4:5], v8, s41 src0_sel:BYTE_0 src1_sel:DWORD
	v_bfrev_b32_e32 v53, 1
	s_and_saveexec_b64 s[34:35], s[4:5]
	s_cbranch_execz .LBB326_146
; %bb.143:                              ;   in Loop: Header=BB326_9 Depth=1
	v_bfe_u32 v0, v7, 16, 7
	v_cmp_ne_u32_e64 s[4:5], s42, v0
	v_mov_b32_e32 v53, 0x7f800001
	s_and_saveexec_b64 s[36:37], s[4:5]
	s_cbranch_execz .LBB326_145
; %bb.144:                              ;   in Loop: Header=BB326_9 Depth=1
	v_and_b32_e32 v2, 7, v8
	v_lshrrev_b32_e32 v9, 3, v0
	v_cmp_gt_u32_e64 s[4:5], 8, v0
	v_ffbh_u32_e32 v0, v2
	v_min_u32_e32 v10, 32, v0
	v_subrev_u32_e32 v0, 28, v10
	v_lshlrev_b64 v[0:1], v0, v[8:9]
	v_sub_u32_e32 v1, 29, v10
	v_and_b32_e32 v0, 7, v0
	v_cndmask_b32_e64 v1, v9, v1, s[4:5]
	v_cndmask_b32_e64 v0, v2, v0, s[4:5]
	v_lshlrev_b32_e32 v2, 24, v8
	v_bfrev_b32_e32 v3, 60
	v_lshlrev_b32_e32 v0, 20, v0
	v_and_b32_e32 v2, 0x80000000, v2
	v_lshl_add_u32 v1, v1, 23, v3
	v_or3_b32 v53, v2, v1, v0
.LBB326_145:                            ;   in Loop: Header=BB326_9 Depth=1
	s_or_b64 exec, exec, s[36:37]
.LBB326_146:                            ;   in Loop: Header=BB326_9 Depth=1
	s_or_b64 exec, exec, s[34:35]
.LBB326_147:                            ;   in Loop: Header=BB326_9 Depth=1
	s_or_b64 exec, exec, s[16:17]
	v_cmp_lt_u32_e64 s[4:5], s43, v7
	v_mov_b32_e32 v55, 0
	v_mov_b32_e32 v54, 0
	s_and_saveexec_b64 s[16:17], s[4:5]
	s_cbranch_execz .LBB326_153
; %bb.148:                              ;   in Loop: Header=BB326_9 Depth=1
	v_lshrrev_b32_e32 v8, 24, v7
	v_cmp_ne_u32_e64 s[4:5], s41, v8
	v_bfrev_b32_e32 v54, 1
	s_and_saveexec_b64 s[34:35], s[4:5]
	s_cbranch_execz .LBB326_152
; %bb.149:                              ;   in Loop: Header=BB326_9 Depth=1
	v_bfe_u32 v0, v7, 24, 7
	v_cmp_ne_u32_e64 s[4:5], s42, v0
	v_mov_b32_e32 v54, 0x7f800001
	s_and_saveexec_b64 s[36:37], s[4:5]
	s_cbranch_execz .LBB326_151
; %bb.150:                              ;   in Loop: Header=BB326_9 Depth=1
	v_and_b32_e32 v2, 7, v8
	v_lshrrev_b32_e32 v7, 3, v0
	v_cmp_gt_u32_e64 s[4:5], 8, v0
	v_ffbh_u32_e32 v0, v2
	v_min_u32_e32 v9, 32, v0
	v_subrev_u32_e32 v0, 28, v9
	v_lshlrev_b64 v[0:1], v0, v[8:9]
	v_sub_u32_e32 v1, 29, v9
	v_and_b32_e32 v0, 7, v0
	v_cndmask_b32_e64 v1, v7, v1, s[4:5]
	v_cndmask_b32_e64 v0, v2, v0, s[4:5]
	v_lshlrev_b32_e32 v2, 24, v8
	v_bfrev_b32_e32 v3, 60
	v_lshlrev_b32_e32 v0, 20, v0
	v_and_b32_e32 v2, 0x80000000, v2
	v_lshl_add_u32 v1, v1, 23, v3
	v_or3_b32 v54, v2, v1, v0
.LBB326_151:                            ;   in Loop: Header=BB326_9 Depth=1
	s_or_b64 exec, exec, s[36:37]
.LBB326_152:                            ;   in Loop: Header=BB326_9 Depth=1
	s_or_b64 exec, exec, s[34:35]
.LBB326_153:                            ;   in Loop: Header=BB326_9 Depth=1
	s_or_b64 exec, exec, s[16:17]
	global_load_dword v7, v[5:6], off offset:1536
	v_mov_b32_e32 v0, 0
	s_waitcnt vmcnt(0)
	v_cmp_ne_u16_sdwa s[4:5], v7, v0 src0_sel:BYTE_0 src1_sel:DWORD
	s_and_saveexec_b64 s[16:17], s[4:5]
	s_cbranch_execz .LBB326_159
; %bb.154:                              ;   in Loop: Header=BB326_9 Depth=1
	v_cmp_ne_u16_sdwa s[4:5], v7, s41 src0_sel:BYTE_0 src1_sel:DWORD
	v_bfrev_b32_e32 v55, 1
	s_and_saveexec_b64 s[34:35], s[4:5]
	s_cbranch_execz .LBB326_158
; %bb.155:                              ;   in Loop: Header=BB326_9 Depth=1
	v_and_b32_e32 v0, 0x7f, v7
	v_cmp_ne_u32_e64 s[4:5], s42, v0
	v_mov_b32_e32 v55, 0x7f800001
	s_and_saveexec_b64 s[36:37], s[4:5]
	s_cbranch_execz .LBB326_157
; %bb.156:                              ;   in Loop: Header=BB326_9 Depth=1
	v_and_b32_e32 v2, 7, v7
	v_lshrrev_b32_e32 v8, 3, v0
	v_cmp_gt_u32_e64 s[4:5], 8, v0
	v_ffbh_u32_e32 v0, v2
	v_min_u32_e32 v9, 32, v0
	v_subrev_u32_e32 v0, 28, v9
	v_lshlrev_b64 v[0:1], v0, v[7:8]
	v_sub_u32_e32 v1, 29, v9
	v_and_b32_e32 v0, 7, v0
	v_cndmask_b32_e64 v1, v8, v1, s[4:5]
	v_cndmask_b32_e64 v0, v2, v0, s[4:5]
	v_lshlrev_b32_e32 v2, 24, v7
	v_bfrev_b32_e32 v3, 60
	v_lshlrev_b32_e32 v0, 20, v0
	v_and_b32_e32 v2, 0x80000000, v2
	v_lshl_add_u32 v1, v1, 23, v3
	v_or3_b32 v55, v2, v1, v0
.LBB326_157:                            ;   in Loop: Header=BB326_9 Depth=1
	s_or_b64 exec, exec, s[36:37]
.LBB326_158:                            ;   in Loop: Header=BB326_9 Depth=1
	s_or_b64 exec, exec, s[34:35]
.LBB326_159:                            ;   in Loop: Header=BB326_9 Depth=1
	s_or_b64 exec, exec, s[16:17]
	v_lshrrev_b16_e32 v8, 8, v7
	v_cmp_ne_u16_e64 s[4:5], 0, v8
	v_mov_b32_e32 v57, 0
	v_mov_b32_e32 v56, 0
	s_and_saveexec_b64 s[16:17], s[4:5]
	s_cbranch_execz .LBB326_165
; %bb.160:                              ;   in Loop: Header=BB326_9 Depth=1
	v_cmp_ne_u16_e64 s[4:5], s41, v8
	v_bfrev_b32_e32 v56, 1
	s_and_saveexec_b64 s[34:35], s[4:5]
	s_cbranch_execz .LBB326_164
; %bb.161:                              ;   in Loop: Header=BB326_9 Depth=1
	v_and_b32_e32 v0, 0x7f, v8
	v_cmp_ne_u32_e64 s[4:5], s42, v0
	v_mov_b32_e32 v56, 0x7f800001
	s_and_saveexec_b64 s[36:37], s[4:5]
	s_cbranch_execz .LBB326_163
; %bb.162:                              ;   in Loop: Header=BB326_9 Depth=1
	v_and_b32_e32 v2, 7, v8
	v_lshrrev_b32_e32 v9, 3, v0
	v_cmp_gt_u32_e64 s[4:5], 8, v0
	v_ffbh_u32_e32 v0, v2
	v_min_u32_e32 v10, 32, v0
	v_subrev_u32_e32 v0, 28, v10
	v_lshlrev_b64 v[0:1], v0, v[8:9]
	v_sub_u32_e32 v1, 29, v10
	v_and_b32_e32 v0, 7, v0
	v_cndmask_b32_e64 v1, v9, v1, s[4:5]
	v_cndmask_b32_e64 v0, v2, v0, s[4:5]
	v_lshlrev_b32_e32 v2, 16, v7
	v_bfrev_b32_e32 v3, 60
	v_lshlrev_b32_e32 v0, 20, v0
	v_and_b32_e32 v2, 0x80000000, v2
	v_lshl_add_u32 v1, v1, 23, v3
	v_or3_b32 v56, v2, v1, v0
.LBB326_163:                            ;   in Loop: Header=BB326_9 Depth=1
	s_or_b64 exec, exec, s[36:37]
.LBB326_164:                            ;   in Loop: Header=BB326_9 Depth=1
	s_or_b64 exec, exec, s[34:35]
.LBB326_165:                            ;   in Loop: Header=BB326_9 Depth=1
	s_or_b64 exec, exec, s[16:17]
	v_lshrrev_b32_e32 v8, 16, v7
	v_mov_b32_e32 v0, 0
	v_cmp_ne_u16_sdwa s[4:5], v8, v0 src0_sel:BYTE_0 src1_sel:DWORD
	s_and_saveexec_b64 s[16:17], s[4:5]
	s_cbranch_execz .LBB326_171
; %bb.166:                              ;   in Loop: Header=BB326_9 Depth=1
	v_cmp_ne_u16_sdwa s[4:5], v8, s41 src0_sel:BYTE_0 src1_sel:DWORD
	v_bfrev_b32_e32 v57, 1
	s_and_saveexec_b64 s[34:35], s[4:5]
	s_cbranch_execz .LBB326_170
; %bb.167:                              ;   in Loop: Header=BB326_9 Depth=1
	v_bfe_u32 v0, v7, 16, 7
	v_cmp_ne_u32_e64 s[4:5], s42, v0
	v_mov_b32_e32 v57, 0x7f800001
	s_and_saveexec_b64 s[36:37], s[4:5]
	s_cbranch_execz .LBB326_169
; %bb.168:                              ;   in Loop: Header=BB326_9 Depth=1
	v_and_b32_e32 v2, 7, v8
	v_lshrrev_b32_e32 v9, 3, v0
	v_cmp_gt_u32_e64 s[4:5], 8, v0
	v_ffbh_u32_e32 v0, v2
	v_min_u32_e32 v10, 32, v0
	v_subrev_u32_e32 v0, 28, v10
	v_lshlrev_b64 v[0:1], v0, v[8:9]
	v_sub_u32_e32 v1, 29, v10
	v_and_b32_e32 v0, 7, v0
	v_cndmask_b32_e64 v1, v9, v1, s[4:5]
	v_cndmask_b32_e64 v0, v2, v0, s[4:5]
	v_lshlrev_b32_e32 v2, 24, v8
	v_bfrev_b32_e32 v3, 60
	v_lshlrev_b32_e32 v0, 20, v0
	v_and_b32_e32 v2, 0x80000000, v2
	v_lshl_add_u32 v1, v1, 23, v3
	v_or3_b32 v57, v2, v1, v0
.LBB326_169:                            ;   in Loop: Header=BB326_9 Depth=1
	s_or_b64 exec, exec, s[36:37]
.LBB326_170:                            ;   in Loop: Header=BB326_9 Depth=1
	s_or_b64 exec, exec, s[34:35]
.LBB326_171:                            ;   in Loop: Header=BB326_9 Depth=1
	s_or_b64 exec, exec, s[16:17]
	v_cmp_lt_u32_e64 s[4:5], s43, v7
	v_mov_b32_e32 v59, 0
	v_mov_b32_e32 v58, 0
	s_and_saveexec_b64 s[16:17], s[4:5]
	s_cbranch_execz .LBB326_177
; %bb.172:                              ;   in Loop: Header=BB326_9 Depth=1
	v_lshrrev_b32_e32 v8, 24, v7
	v_cmp_ne_u32_e64 s[4:5], s41, v8
	v_bfrev_b32_e32 v58, 1
	s_and_saveexec_b64 s[34:35], s[4:5]
	s_cbranch_execz .LBB326_176
; %bb.173:                              ;   in Loop: Header=BB326_9 Depth=1
	v_bfe_u32 v0, v7, 24, 7
	v_cmp_ne_u32_e64 s[4:5], s42, v0
	v_mov_b32_e32 v58, 0x7f800001
	s_and_saveexec_b64 s[36:37], s[4:5]
	s_cbranch_execz .LBB326_175
; %bb.174:                              ;   in Loop: Header=BB326_9 Depth=1
	v_and_b32_e32 v2, 7, v8
	v_lshrrev_b32_e32 v7, 3, v0
	v_cmp_gt_u32_e64 s[4:5], 8, v0
	v_ffbh_u32_e32 v0, v2
	v_min_u32_e32 v9, 32, v0
	v_subrev_u32_e32 v0, 28, v9
	v_lshlrev_b64 v[0:1], v0, v[8:9]
	v_sub_u32_e32 v1, 29, v9
	v_and_b32_e32 v0, 7, v0
	v_cndmask_b32_e64 v1, v7, v1, s[4:5]
	v_cndmask_b32_e64 v0, v2, v0, s[4:5]
	v_lshlrev_b32_e32 v2, 24, v8
	v_bfrev_b32_e32 v3, 60
	v_lshlrev_b32_e32 v0, 20, v0
	v_and_b32_e32 v2, 0x80000000, v2
	v_lshl_add_u32 v1, v1, 23, v3
	v_or3_b32 v58, v2, v1, v0
.LBB326_175:                            ;   in Loop: Header=BB326_9 Depth=1
	s_or_b64 exec, exec, s[36:37]
.LBB326_176:                            ;   in Loop: Header=BB326_9 Depth=1
	s_or_b64 exec, exec, s[34:35]
.LBB326_177:                            ;   in Loop: Header=BB326_9 Depth=1
	s_or_b64 exec, exec, s[16:17]
	global_load_dword v7, v[5:6], off offset:1544
	v_mov_b32_e32 v0, 0
	s_waitcnt vmcnt(0)
	v_cmp_ne_u16_sdwa s[4:5], v7, v0 src0_sel:BYTE_0 src1_sel:DWORD
	s_and_saveexec_b64 s[16:17], s[4:5]
	s_cbranch_execz .LBB326_183
; %bb.178:                              ;   in Loop: Header=BB326_9 Depth=1
	v_cmp_ne_u16_sdwa s[4:5], v7, s41 src0_sel:BYTE_0 src1_sel:DWORD
	v_bfrev_b32_e32 v59, 1
	s_and_saveexec_b64 s[34:35], s[4:5]
	s_cbranch_execz .LBB326_182
; %bb.179:                              ;   in Loop: Header=BB326_9 Depth=1
	v_and_b32_e32 v0, 0x7f, v7
	v_cmp_ne_u32_e64 s[4:5], s42, v0
	v_mov_b32_e32 v59, 0x7f800001
	s_and_saveexec_b64 s[36:37], s[4:5]
	s_cbranch_execz .LBB326_181
; %bb.180:                              ;   in Loop: Header=BB326_9 Depth=1
	v_and_b32_e32 v2, 7, v7
	v_lshrrev_b32_e32 v8, 3, v0
	v_cmp_gt_u32_e64 s[4:5], 8, v0
	v_ffbh_u32_e32 v0, v2
	v_min_u32_e32 v9, 32, v0
	v_subrev_u32_e32 v0, 28, v9
	v_lshlrev_b64 v[0:1], v0, v[7:8]
	v_sub_u32_e32 v1, 29, v9
	v_and_b32_e32 v0, 7, v0
	v_cndmask_b32_e64 v1, v8, v1, s[4:5]
	v_cndmask_b32_e64 v0, v2, v0, s[4:5]
	v_lshlrev_b32_e32 v2, 24, v7
	v_bfrev_b32_e32 v3, 60
	v_lshlrev_b32_e32 v0, 20, v0
	v_and_b32_e32 v2, 0x80000000, v2
	v_lshl_add_u32 v1, v1, 23, v3
	v_or3_b32 v59, v2, v1, v0
.LBB326_181:                            ;   in Loop: Header=BB326_9 Depth=1
	s_or_b64 exec, exec, s[36:37]
.LBB326_182:                            ;   in Loop: Header=BB326_9 Depth=1
	s_or_b64 exec, exec, s[34:35]
.LBB326_183:                            ;   in Loop: Header=BB326_9 Depth=1
	s_or_b64 exec, exec, s[16:17]
	v_lshrrev_b16_e32 v8, 8, v7
	v_cmp_ne_u16_e64 s[4:5], 0, v8
	v_mov_b32_e32 v61, 0
	v_mov_b32_e32 v60, 0
	s_and_saveexec_b64 s[16:17], s[4:5]
	s_cbranch_execz .LBB326_189
; %bb.184:                              ;   in Loop: Header=BB326_9 Depth=1
	v_cmp_ne_u16_e64 s[4:5], s41, v8
	v_bfrev_b32_e32 v60, 1
	s_and_saveexec_b64 s[34:35], s[4:5]
	s_cbranch_execz .LBB326_188
; %bb.185:                              ;   in Loop: Header=BB326_9 Depth=1
	v_and_b32_e32 v0, 0x7f, v8
	v_cmp_ne_u32_e64 s[4:5], s42, v0
	v_mov_b32_e32 v60, 0x7f800001
	s_and_saveexec_b64 s[36:37], s[4:5]
	s_cbranch_execz .LBB326_187
; %bb.186:                              ;   in Loop: Header=BB326_9 Depth=1
	v_and_b32_e32 v2, 7, v8
	v_lshrrev_b32_e32 v9, 3, v0
	v_cmp_gt_u32_e64 s[4:5], 8, v0
	v_ffbh_u32_e32 v0, v2
	v_min_u32_e32 v10, 32, v0
	v_subrev_u32_e32 v0, 28, v10
	v_lshlrev_b64 v[0:1], v0, v[8:9]
	v_sub_u32_e32 v1, 29, v10
	v_and_b32_e32 v0, 7, v0
	v_cndmask_b32_e64 v1, v9, v1, s[4:5]
	v_cndmask_b32_e64 v0, v2, v0, s[4:5]
	v_lshlrev_b32_e32 v2, 16, v7
	v_bfrev_b32_e32 v3, 60
	v_lshlrev_b32_e32 v0, 20, v0
	v_and_b32_e32 v2, 0x80000000, v2
	v_lshl_add_u32 v1, v1, 23, v3
	v_or3_b32 v60, v2, v1, v0
.LBB326_187:                            ;   in Loop: Header=BB326_9 Depth=1
	s_or_b64 exec, exec, s[36:37]
.LBB326_188:                            ;   in Loop: Header=BB326_9 Depth=1
	s_or_b64 exec, exec, s[34:35]
.LBB326_189:                            ;   in Loop: Header=BB326_9 Depth=1
	s_or_b64 exec, exec, s[16:17]
	v_lshrrev_b32_e32 v8, 16, v7
	v_mov_b32_e32 v0, 0
	v_cmp_ne_u16_sdwa s[4:5], v8, v0 src0_sel:BYTE_0 src1_sel:DWORD
	s_and_saveexec_b64 s[16:17], s[4:5]
	s_cbranch_execz .LBB326_195
; %bb.190:                              ;   in Loop: Header=BB326_9 Depth=1
	v_cmp_ne_u16_sdwa s[4:5], v8, s41 src0_sel:BYTE_0 src1_sel:DWORD
	v_bfrev_b32_e32 v61, 1
	s_and_saveexec_b64 s[34:35], s[4:5]
	s_cbranch_execz .LBB326_194
; %bb.191:                              ;   in Loop: Header=BB326_9 Depth=1
	v_bfe_u32 v0, v7, 16, 7
	v_cmp_ne_u32_e64 s[4:5], s42, v0
	v_mov_b32_e32 v61, 0x7f800001
	s_and_saveexec_b64 s[36:37], s[4:5]
	s_cbranch_execz .LBB326_193
; %bb.192:                              ;   in Loop: Header=BB326_9 Depth=1
	v_and_b32_e32 v2, 7, v8
	v_lshrrev_b32_e32 v9, 3, v0
	v_cmp_gt_u32_e64 s[4:5], 8, v0
	v_ffbh_u32_e32 v0, v2
	v_min_u32_e32 v10, 32, v0
	v_subrev_u32_e32 v0, 28, v10
	v_lshlrev_b64 v[0:1], v0, v[8:9]
	v_sub_u32_e32 v1, 29, v10
	v_and_b32_e32 v0, 7, v0
	v_cndmask_b32_e64 v1, v9, v1, s[4:5]
	v_cndmask_b32_e64 v0, v2, v0, s[4:5]
	v_lshlrev_b32_e32 v2, 24, v8
	v_bfrev_b32_e32 v3, 60
	v_lshlrev_b32_e32 v0, 20, v0
	v_and_b32_e32 v2, 0x80000000, v2
	v_lshl_add_u32 v1, v1, 23, v3
	v_or3_b32 v61, v2, v1, v0
.LBB326_193:                            ;   in Loop: Header=BB326_9 Depth=1
	s_or_b64 exec, exec, s[36:37]
.LBB326_194:                            ;   in Loop: Header=BB326_9 Depth=1
	s_or_b64 exec, exec, s[34:35]
.LBB326_195:                            ;   in Loop: Header=BB326_9 Depth=1
	s_or_b64 exec, exec, s[16:17]
	v_cmp_lt_u32_e64 s[4:5], s43, v7
	v_mov_b32_e32 v63, 0
	v_mov_b32_e32 v62, 0
	s_and_saveexec_b64 s[16:17], s[4:5]
	s_cbranch_execz .LBB326_201
; %bb.196:                              ;   in Loop: Header=BB326_9 Depth=1
	v_lshrrev_b32_e32 v8, 24, v7
	v_cmp_ne_u32_e64 s[4:5], s41, v8
	v_bfrev_b32_e32 v62, 1
	s_and_saveexec_b64 s[34:35], s[4:5]
	s_cbranch_execz .LBB326_200
; %bb.197:                              ;   in Loop: Header=BB326_9 Depth=1
	v_bfe_u32 v0, v7, 24, 7
	v_cmp_ne_u32_e64 s[4:5], s42, v0
	v_mov_b32_e32 v62, 0x7f800001
	s_and_saveexec_b64 s[36:37], s[4:5]
	s_cbranch_execz .LBB326_199
; %bb.198:                              ;   in Loop: Header=BB326_9 Depth=1
	v_and_b32_e32 v2, 7, v8
	v_lshrrev_b32_e32 v7, 3, v0
	v_cmp_gt_u32_e64 s[4:5], 8, v0
	v_ffbh_u32_e32 v0, v2
	v_min_u32_e32 v9, 32, v0
	v_subrev_u32_e32 v0, 28, v9
	v_lshlrev_b64 v[0:1], v0, v[8:9]
	v_sub_u32_e32 v1, 29, v9
	v_and_b32_e32 v0, 7, v0
	v_cndmask_b32_e64 v1, v7, v1, s[4:5]
	v_cndmask_b32_e64 v0, v2, v0, s[4:5]
	v_lshlrev_b32_e32 v2, 24, v8
	v_bfrev_b32_e32 v3, 60
	v_lshlrev_b32_e32 v0, 20, v0
	v_and_b32_e32 v2, 0x80000000, v2
	v_lshl_add_u32 v1, v1, 23, v3
	v_or3_b32 v62, v2, v1, v0
.LBB326_199:                            ;   in Loop: Header=BB326_9 Depth=1
	s_or_b64 exec, exec, s[36:37]
.LBB326_200:                            ;   in Loop: Header=BB326_9 Depth=1
	s_or_b64 exec, exec, s[34:35]
.LBB326_201:                            ;   in Loop: Header=BB326_9 Depth=1
	s_or_b64 exec, exec, s[16:17]
	global_load_dword v7, v[5:6], off offset:2048
	v_mov_b32_e32 v0, 0
	s_waitcnt vmcnt(0)
	v_cmp_ne_u16_sdwa s[4:5], v7, v0 src0_sel:BYTE_0 src1_sel:DWORD
	s_and_saveexec_b64 s[16:17], s[4:5]
	s_cbranch_execz .LBB326_207
; %bb.202:                              ;   in Loop: Header=BB326_9 Depth=1
	v_cmp_ne_u16_sdwa s[4:5], v7, s41 src0_sel:BYTE_0 src1_sel:DWORD
	v_bfrev_b32_e32 v63, 1
	s_and_saveexec_b64 s[34:35], s[4:5]
	s_cbranch_execz .LBB326_206
; %bb.203:                              ;   in Loop: Header=BB326_9 Depth=1
	v_and_b32_e32 v0, 0x7f, v7
	v_cmp_ne_u32_e64 s[4:5], s42, v0
	v_mov_b32_e32 v63, 0x7f800001
	s_and_saveexec_b64 s[36:37], s[4:5]
	s_cbranch_execz .LBB326_205
; %bb.204:                              ;   in Loop: Header=BB326_9 Depth=1
	v_and_b32_e32 v2, 7, v7
	v_lshrrev_b32_e32 v8, 3, v0
	v_cmp_gt_u32_e64 s[4:5], 8, v0
	v_ffbh_u32_e32 v0, v2
	v_min_u32_e32 v9, 32, v0
	v_subrev_u32_e32 v0, 28, v9
	v_lshlrev_b64 v[0:1], v0, v[7:8]
	v_sub_u32_e32 v1, 29, v9
	v_and_b32_e32 v0, 7, v0
	v_cndmask_b32_e64 v1, v8, v1, s[4:5]
	v_cndmask_b32_e64 v0, v2, v0, s[4:5]
	v_lshlrev_b32_e32 v2, 24, v7
	v_bfrev_b32_e32 v3, 60
	v_lshlrev_b32_e32 v0, 20, v0
	v_and_b32_e32 v2, 0x80000000, v2
	v_lshl_add_u32 v1, v1, 23, v3
	v_or3_b32 v63, v2, v1, v0
.LBB326_205:                            ;   in Loop: Header=BB326_9 Depth=1
	s_or_b64 exec, exec, s[36:37]
.LBB326_206:                            ;   in Loop: Header=BB326_9 Depth=1
	s_or_b64 exec, exec, s[34:35]
.LBB326_207:                            ;   in Loop: Header=BB326_9 Depth=1
	s_or_b64 exec, exec, s[16:17]
	v_lshrrev_b16_e32 v8, 8, v7
	v_cmp_ne_u16_e64 s[4:5], 0, v8
	v_mov_b32_e32 v9, 0
	v_mov_b32_e32 v13, 0
	s_and_saveexec_b64 s[16:17], s[4:5]
	s_cbranch_execz .LBB326_213
; %bb.208:                              ;   in Loop: Header=BB326_9 Depth=1
	v_cmp_ne_u16_e64 s[4:5], s41, v8
	v_bfrev_b32_e32 v13, 1
	s_and_saveexec_b64 s[34:35], s[4:5]
	s_cbranch_execz .LBB326_212
; %bb.209:                              ;   in Loop: Header=BB326_9 Depth=1
	v_and_b32_e32 v0, 0x7f, v8
	v_cmp_ne_u32_e64 s[4:5], s42, v0
	v_mov_b32_e32 v13, 0x7f800001
	s_and_saveexec_b64 s[36:37], s[4:5]
	s_cbranch_execz .LBB326_211
; %bb.210:                              ;   in Loop: Header=BB326_9 Depth=1
	v_and_b32_e32 v2, 7, v8
	v_lshrrev_b32_e32 v10, 3, v0
	v_cmp_gt_u32_e64 s[4:5], 8, v0
	v_ffbh_u32_e32 v0, v2
	v_min_u32_e32 v11, 32, v0
	v_subrev_u32_e32 v0, 28, v11
	v_lshlrev_b64 v[0:1], v0, v[8:9]
	v_sub_u32_e32 v1, 29, v11
	v_and_b32_e32 v0, 7, v0
	v_cndmask_b32_e64 v1, v10, v1, s[4:5]
	v_cndmask_b32_e64 v0, v2, v0, s[4:5]
	v_lshlrev_b32_e32 v2, 16, v7
	v_bfrev_b32_e32 v3, 60
	v_lshlrev_b32_e32 v0, 20, v0
	v_and_b32_e32 v2, 0x80000000, v2
	v_lshl_add_u32 v1, v1, 23, v3
	v_or3_b32 v13, v2, v1, v0
.LBB326_211:                            ;   in Loop: Header=BB326_9 Depth=1
	s_or_b64 exec, exec, s[36:37]
.LBB326_212:                            ;   in Loop: Header=BB326_9 Depth=1
	s_or_b64 exec, exec, s[34:35]
.LBB326_213:                            ;   in Loop: Header=BB326_9 Depth=1
	s_or_b64 exec, exec, s[16:17]
	v_lshrrev_b32_e32 v8, 16, v7
	v_mov_b32_e32 v0, 0
	v_cmp_ne_u16_sdwa s[4:5], v8, v0 src0_sel:BYTE_0 src1_sel:DWORD
	s_and_saveexec_b64 s[16:17], s[4:5]
	s_cbranch_execz .LBB326_219
; %bb.214:                              ;   in Loop: Header=BB326_9 Depth=1
	v_cmp_ne_u16_sdwa s[4:5], v8, s41 src0_sel:BYTE_0 src1_sel:DWORD
	v_bfrev_b32_e32 v9, 1
	s_and_saveexec_b64 s[34:35], s[4:5]
	s_cbranch_execz .LBB326_218
; %bb.215:                              ;   in Loop: Header=BB326_9 Depth=1
	v_bfe_u32 v0, v7, 16, 7
	v_cmp_ne_u32_e64 s[4:5], s42, v0
	v_mov_b32_e32 v9, 0x7f800001
	s_and_saveexec_b64 s[36:37], s[4:5]
	s_cbranch_execz .LBB326_217
; %bb.216:                              ;   in Loop: Header=BB326_9 Depth=1
	v_and_b32_e32 v2, 7, v8
	v_lshrrev_b32_e32 v9, 3, v0
	v_cmp_gt_u32_e64 s[4:5], 8, v0
	v_ffbh_u32_e32 v0, v2
	v_min_u32_e32 v10, 32, v0
	v_subrev_u32_e32 v0, 28, v10
	v_lshlrev_b64 v[0:1], v0, v[8:9]
	v_sub_u32_e32 v1, 29, v10
	v_and_b32_e32 v0, 7, v0
	v_cndmask_b32_e64 v1, v9, v1, s[4:5]
	v_cndmask_b32_e64 v0, v2, v0, s[4:5]
	v_lshlrev_b32_e32 v2, 24, v8
	v_bfrev_b32_e32 v3, 60
	v_lshlrev_b32_e32 v0, 20, v0
	v_and_b32_e32 v2, 0x80000000, v2
	v_lshl_add_u32 v1, v1, 23, v3
	v_or3_b32 v9, v2, v1, v0
.LBB326_217:                            ;   in Loop: Header=BB326_9 Depth=1
	s_or_b64 exec, exec, s[36:37]
.LBB326_218:                            ;   in Loop: Header=BB326_9 Depth=1
	s_or_b64 exec, exec, s[34:35]
.LBB326_219:                            ;   in Loop: Header=BB326_9 Depth=1
	s_or_b64 exec, exec, s[16:17]
	v_cmp_lt_u32_e64 s[4:5], s43, v7
	v_mov_b32_e32 v27, 0
	v_mov_b32_e32 v16, 0
	s_and_saveexec_b64 s[16:17], s[4:5]
	s_cbranch_execz .LBB326_225
; %bb.220:                              ;   in Loop: Header=BB326_9 Depth=1
	v_lshrrev_b32_e32 v8, 24, v7
	v_cmp_ne_u32_e64 s[4:5], s41, v8
	v_bfrev_b32_e32 v16, 1
	s_and_saveexec_b64 s[34:35], s[4:5]
	s_cbranch_execz .LBB326_224
; %bb.221:                              ;   in Loop: Header=BB326_9 Depth=1
	v_bfe_u32 v0, v7, 24, 7
	v_cmp_ne_u32_e64 s[4:5], s42, v0
	v_mov_b32_e32 v16, 0x7f800001
	s_and_saveexec_b64 s[36:37], s[4:5]
	s_cbranch_execz .LBB326_223
; %bb.222:                              ;   in Loop: Header=BB326_9 Depth=1
	v_and_b32_e32 v2, 7, v8
	v_lshrrev_b32_e32 v7, 3, v0
	v_cmp_gt_u32_e64 s[4:5], 8, v0
	v_ffbh_u32_e32 v0, v2
	v_min_u32_e32 v10, 32, v0
	v_subrev_u32_e32 v0, 28, v10
	v_lshlrev_b64 v[0:1], v0, v[8:9]
	v_sub_u32_e32 v1, 29, v10
	v_and_b32_e32 v0, 7, v0
	v_cndmask_b32_e64 v1, v7, v1, s[4:5]
	v_cndmask_b32_e64 v0, v2, v0, s[4:5]
	v_lshlrev_b32_e32 v2, 24, v8
	v_bfrev_b32_e32 v3, 60
	v_lshlrev_b32_e32 v0, 20, v0
	v_and_b32_e32 v2, 0x80000000, v2
	v_lshl_add_u32 v1, v1, 23, v3
	v_or3_b32 v16, v2, v1, v0
.LBB326_223:                            ;   in Loop: Header=BB326_9 Depth=1
	s_or_b64 exec, exec, s[36:37]
.LBB326_224:                            ;   in Loop: Header=BB326_9 Depth=1
	s_or_b64 exec, exec, s[34:35]
.LBB326_225:                            ;   in Loop: Header=BB326_9 Depth=1
	s_or_b64 exec, exec, s[16:17]
	global_load_dword v7, v[5:6], off offset:2056
	v_mov_b32_e32 v0, 0
	s_waitcnt vmcnt(0)
	v_cmp_ne_u16_sdwa s[4:5], v7, v0 src0_sel:BYTE_0 src1_sel:DWORD
	s_and_saveexec_b64 s[16:17], s[4:5]
	s_cbranch_execz .LBB326_231
; %bb.226:                              ;   in Loop: Header=BB326_9 Depth=1
	v_cmp_ne_u16_sdwa s[4:5], v7, s41 src0_sel:BYTE_0 src1_sel:DWORD
	v_bfrev_b32_e32 v27, 1
	s_and_saveexec_b64 s[34:35], s[4:5]
	s_cbranch_execz .LBB326_230
; %bb.227:                              ;   in Loop: Header=BB326_9 Depth=1
	v_and_b32_e32 v0, 0x7f, v7
	v_cmp_ne_u32_e64 s[4:5], s42, v0
	v_mov_b32_e32 v27, 0x7f800001
	s_and_saveexec_b64 s[36:37], s[4:5]
	s_cbranch_execz .LBB326_229
; %bb.228:                              ;   in Loop: Header=BB326_9 Depth=1
	v_and_b32_e32 v2, 7, v7
	v_lshrrev_b32_e32 v8, 3, v0
	v_cmp_gt_u32_e64 s[4:5], 8, v0
	v_ffbh_u32_e32 v0, v2
	v_min_u32_e32 v10, 32, v0
	v_subrev_u32_e32 v0, 28, v10
	v_lshlrev_b64 v[0:1], v0, v[7:8]
	v_sub_u32_e32 v1, 29, v10
	v_and_b32_e32 v0, 7, v0
	v_cndmask_b32_e64 v1, v8, v1, s[4:5]
	v_cndmask_b32_e64 v0, v2, v0, s[4:5]
	v_lshlrev_b32_e32 v2, 24, v7
	v_bfrev_b32_e32 v3, 60
	v_lshlrev_b32_e32 v0, 20, v0
	v_and_b32_e32 v2, 0x80000000, v2
	v_lshl_add_u32 v1, v1, 23, v3
	v_or3_b32 v27, v2, v1, v0
.LBB326_229:                            ;   in Loop: Header=BB326_9 Depth=1
	s_or_b64 exec, exec, s[36:37]
.LBB326_230:                            ;   in Loop: Header=BB326_9 Depth=1
	s_or_b64 exec, exec, s[34:35]
.LBB326_231:                            ;   in Loop: Header=BB326_9 Depth=1
	s_or_b64 exec, exec, s[16:17]
	v_lshrrev_b16_e32 v8, 8, v7
	v_cmp_ne_u16_e64 s[4:5], 0, v8
	v_mov_b32_e32 v10, 0
	v_mov_b32_e32 v0, 0
	s_and_saveexec_b64 s[16:17], s[4:5]
	s_cbranch_execz .LBB326_237
; %bb.232:                              ;   in Loop: Header=BB326_9 Depth=1
	v_cmp_ne_u16_e64 s[4:5], s41, v8
	v_bfrev_b32_e32 v0, 1
	s_and_saveexec_b64 s[34:35], s[4:5]
	s_cbranch_execz .LBB326_236
; %bb.233:                              ;   in Loop: Header=BB326_9 Depth=1
	v_and_b32_e32 v1, 0x7f, v8
	v_cmp_ne_u32_e64 s[4:5], s42, v1
	v_mov_b32_e32 v0, 0x7f800001
	s_and_saveexec_b64 s[36:37], s[4:5]
	s_cbranch_execz .LBB326_235
; %bb.234:                              ;   in Loop: Header=BB326_9 Depth=1
	v_and_b32_e32 v2, 7, v8
	v_ffbh_u32_e32 v0, v2
	v_min_u32_e32 v12, 32, v0
	v_subrev_u32_e32 v0, 28, v12
	v_lshrrev_b32_e32 v11, 3, v1
	v_cmp_gt_u32_e64 s[4:5], 8, v1
	v_lshlrev_b64 v[0:1], v0, v[8:9]
	v_sub_u32_e32 v1, 29, v12
	v_and_b32_e32 v0, 7, v0
	v_cndmask_b32_e64 v1, v11, v1, s[4:5]
	v_cndmask_b32_e64 v0, v2, v0, s[4:5]
	v_lshlrev_b32_e32 v2, 16, v7
	v_bfrev_b32_e32 v3, 60
	v_lshlrev_b32_e32 v0, 20, v0
	v_and_b32_e32 v2, 0x80000000, v2
	v_lshl_add_u32 v1, v1, 23, v3
	v_or3_b32 v0, v2, v1, v0
.LBB326_235:                            ;   in Loop: Header=BB326_9 Depth=1
	s_or_b64 exec, exec, s[36:37]
.LBB326_236:                            ;   in Loop: Header=BB326_9 Depth=1
	s_or_b64 exec, exec, s[34:35]
.LBB326_237:                            ;   in Loop: Header=BB326_9 Depth=1
	s_or_b64 exec, exec, s[16:17]
	v_lshrrev_b32_e32 v8, 16, v7
	v_mov_b32_e32 v1, 0
	v_cmp_ne_u16_sdwa s[4:5], v8, v1 src0_sel:BYTE_0 src1_sel:DWORD
	s_and_saveexec_b64 s[16:17], s[4:5]
	s_cbranch_execz .LBB326_243
; %bb.238:                              ;   in Loop: Header=BB326_9 Depth=1
	v_cmp_ne_u16_sdwa s[4:5], v8, s41 src0_sel:BYTE_0 src1_sel:DWORD
	v_bfrev_b32_e32 v10, 1
	s_and_saveexec_b64 s[34:35], s[4:5]
	s_cbranch_execz .LBB326_242
; %bb.239:                              ;   in Loop: Header=BB326_9 Depth=1
	v_bfe_u32 v1, v7, 16, 7
	v_cmp_ne_u32_e64 s[4:5], s42, v1
	v_mov_b32_e32 v10, 0x7f800001
	s_and_saveexec_b64 s[36:37], s[4:5]
	s_cbranch_execz .LBB326_241
; %bb.240:                              ;   in Loop: Header=BB326_9 Depth=1
	v_and_b32_e32 v10, 7, v8
	v_lshrrev_b32_e32 v11, 3, v1
	v_cmp_gt_u32_e64 s[4:5], 8, v1
	v_ffbh_u32_e32 v1, v10
	v_min_u32_e32 v12, 32, v1
	v_subrev_u32_e32 v1, 28, v12
	v_lshlrev_b64 v[1:2], v1, v[8:9]
	v_sub_u32_e32 v2, 29, v12
	v_and_b32_e32 v1, 7, v1
	v_cndmask_b32_e64 v2, v11, v2, s[4:5]
	v_cndmask_b32_e64 v1, v10, v1, s[4:5]
	v_lshlrev_b32_e32 v8, 24, v8
	v_bfrev_b32_e32 v3, 60
	v_lshlrev_b32_e32 v1, 20, v1
	v_and_b32_e32 v8, 0x80000000, v8
	v_lshl_add_u32 v2, v2, 23, v3
	v_or3_b32 v10, v8, v2, v1
.LBB326_241:                            ;   in Loop: Header=BB326_9 Depth=1
	s_or_b64 exec, exec, s[36:37]
.LBB326_242:                            ;   in Loop: Header=BB326_9 Depth=1
	s_or_b64 exec, exec, s[34:35]
.LBB326_243:                            ;   in Loop: Header=BB326_9 Depth=1
	s_or_b64 exec, exec, s[16:17]
	v_cmp_lt_u32_e64 s[4:5], s43, v7
	v_mov_b32_e32 v12, 0
	v_mov_b32_e32 v11, 0
	s_and_saveexec_b64 s[16:17], s[4:5]
	s_cbranch_execz .LBB326_249
; %bb.244:                              ;   in Loop: Header=BB326_9 Depth=1
	v_lshrrev_b32_e32 v8, 24, v7
	v_cmp_ne_u32_e64 s[4:5], s41, v8
	v_bfrev_b32_e32 v11, 1
	s_and_saveexec_b64 s[34:35], s[4:5]
	s_cbranch_execz .LBB326_248
; %bb.245:                              ;   in Loop: Header=BB326_9 Depth=1
	v_bfe_u32 v1, v7, 24, 7
	v_cmp_ne_u32_e64 s[4:5], s42, v1
	v_mov_b32_e32 v11, 0x7f800001
	s_and_saveexec_b64 s[36:37], s[4:5]
	s_cbranch_execz .LBB326_247
; %bb.246:                              ;   in Loop: Header=BB326_9 Depth=1
	v_and_b32_e32 v7, 7, v8
	v_lshrrev_b32_e32 v11, 3, v1
	v_cmp_gt_u32_e64 s[4:5], 8, v1
	v_ffbh_u32_e32 v1, v7
	v_min_u32_e32 v14, 32, v1
	v_subrev_u32_e32 v1, 28, v14
	v_lshlrev_b64 v[1:2], v1, v[8:9]
	v_sub_u32_e32 v2, 29, v14
	v_and_b32_e32 v1, 7, v1
	v_cndmask_b32_e64 v2, v11, v2, s[4:5]
	v_cndmask_b32_e64 v1, v7, v1, s[4:5]
	v_lshlrev_b32_e32 v7, 24, v8
	v_bfrev_b32_e32 v3, 60
	v_lshlrev_b32_e32 v1, 20, v1
	v_and_b32_e32 v7, 0x80000000, v7
	v_lshl_add_u32 v2, v2, 23, v3
	v_or3_b32 v11, v7, v2, v1
.LBB326_247:                            ;   in Loop: Header=BB326_9 Depth=1
	s_or_b64 exec, exec, s[36:37]
.LBB326_248:                            ;   in Loop: Header=BB326_9 Depth=1
	s_or_b64 exec, exec, s[34:35]
.LBB326_249:                            ;   in Loop: Header=BB326_9 Depth=1
	s_or_b64 exec, exec, s[16:17]
	global_load_dword v7, v[5:6], off offset:2560
	v_mov_b32_e32 v1, 0
	s_waitcnt vmcnt(0)
	v_cmp_ne_u16_sdwa s[4:5], v7, v1 src0_sel:BYTE_0 src1_sel:DWORD
	s_and_saveexec_b64 s[16:17], s[4:5]
	s_cbranch_execz .LBB326_255
; %bb.250:                              ;   in Loop: Header=BB326_9 Depth=1
	v_cmp_ne_u16_sdwa s[4:5], v7, s41 src0_sel:BYTE_0 src1_sel:DWORD
	v_bfrev_b32_e32 v12, 1
	s_and_saveexec_b64 s[34:35], s[4:5]
	s_cbranch_execz .LBB326_254
; %bb.251:                              ;   in Loop: Header=BB326_9 Depth=1
	v_and_b32_e32 v1, 0x7f, v7
	v_cmp_ne_u32_e64 s[4:5], s42, v1
	v_mov_b32_e32 v12, 0x7f800001
	s_and_saveexec_b64 s[36:37], s[4:5]
	s_cbranch_execz .LBB326_253
; %bb.252:                              ;   in Loop: Header=BB326_9 Depth=1
	v_and_b32_e32 v8, 7, v7
	v_lshrrev_b32_e32 v12, 3, v1
	v_cmp_gt_u32_e64 s[4:5], 8, v1
	v_ffbh_u32_e32 v1, v8
	v_min_u32_e32 v14, 32, v1
	v_subrev_u32_e32 v1, 28, v14
	v_lshlrev_b64 v[1:2], v1, v[7:8]
	v_sub_u32_e32 v2, 29, v14
	v_and_b32_e32 v1, 7, v1
	v_cndmask_b32_e64 v2, v12, v2, s[4:5]
	v_cndmask_b32_e64 v1, v8, v1, s[4:5]
	v_lshlrev_b32_e32 v8, 24, v7
	v_bfrev_b32_e32 v3, 60
	v_lshlrev_b32_e32 v1, 20, v1
	v_and_b32_e32 v8, 0x80000000, v8
	v_lshl_add_u32 v2, v2, 23, v3
	v_or3_b32 v12, v8, v2, v1
.LBB326_253:                            ;   in Loop: Header=BB326_9 Depth=1
	s_or_b64 exec, exec, s[36:37]
.LBB326_254:                            ;   in Loop: Header=BB326_9 Depth=1
	s_or_b64 exec, exec, s[34:35]
.LBB326_255:                            ;   in Loop: Header=BB326_9 Depth=1
	s_or_b64 exec, exec, s[16:17]
	v_lshrrev_b16_e32 v8, 8, v7
	v_cmp_ne_u16_e64 s[4:5], 0, v8
	v_mov_b32_e32 v15, 0
	v_mov_b32_e32 v14, 0
	s_and_saveexec_b64 s[16:17], s[4:5]
	s_cbranch_execz .LBB326_261
; %bb.256:                              ;   in Loop: Header=BB326_9 Depth=1
	v_cmp_ne_u16_e64 s[4:5], s41, v8
	v_bfrev_b32_e32 v14, 1
	s_and_saveexec_b64 s[34:35], s[4:5]
	s_cbranch_execz .LBB326_260
; %bb.257:                              ;   in Loop: Header=BB326_9 Depth=1
	v_and_b32_e32 v1, 0x7f, v8
	v_cmp_ne_u32_e64 s[4:5], s42, v1
	v_mov_b32_e32 v14, 0x7f800001
	s_and_saveexec_b64 s[36:37], s[4:5]
	s_cbranch_execz .LBB326_259
; %bb.258:                              ;   in Loop: Header=BB326_9 Depth=1
	v_and_b32_e32 v14, 7, v8
	v_lshrrev_b32_e32 v17, 3, v1
	v_cmp_gt_u32_e64 s[4:5], 8, v1
	v_ffbh_u32_e32 v1, v14
	v_min_u32_e32 v18, 32, v1
	v_subrev_u32_e32 v1, 28, v18
	v_lshlrev_b64 v[1:2], v1, v[8:9]
	v_sub_u32_e32 v2, 29, v18
	v_and_b32_e32 v1, 7, v1
	v_cndmask_b32_e64 v2, v17, v2, s[4:5]
	v_cndmask_b32_e64 v1, v14, v1, s[4:5]
	v_lshlrev_b32_e32 v8, 16, v7
	v_bfrev_b32_e32 v3, 60
	v_lshlrev_b32_e32 v1, 20, v1
	v_and_b32_e32 v8, 0x80000000, v8
	v_lshl_add_u32 v2, v2, 23, v3
	v_or3_b32 v14, v8, v2, v1
.LBB326_259:                            ;   in Loop: Header=BB326_9 Depth=1
	s_or_b64 exec, exec, s[36:37]
.LBB326_260:                            ;   in Loop: Header=BB326_9 Depth=1
	s_or_b64 exec, exec, s[34:35]
.LBB326_261:                            ;   in Loop: Header=BB326_9 Depth=1
	s_or_b64 exec, exec, s[16:17]
	v_lshrrev_b32_e32 v8, 16, v7
	v_mov_b32_e32 v1, 0
	v_cmp_ne_u16_sdwa s[4:5], v8, v1 src0_sel:BYTE_0 src1_sel:DWORD
	s_and_saveexec_b64 s[16:17], s[4:5]
	s_cbranch_execz .LBB326_267
; %bb.262:                              ;   in Loop: Header=BB326_9 Depth=1
	v_cmp_ne_u16_sdwa s[4:5], v8, s41 src0_sel:BYTE_0 src1_sel:DWORD
	v_bfrev_b32_e32 v15, 1
	s_and_saveexec_b64 s[34:35], s[4:5]
	s_cbranch_execz .LBB326_266
; %bb.263:                              ;   in Loop: Header=BB326_9 Depth=1
	v_bfe_u32 v1, v7, 16, 7
	v_cmp_ne_u32_e64 s[4:5], s42, v1
	v_mov_b32_e32 v15, 0x7f800001
	s_and_saveexec_b64 s[36:37], s[4:5]
	s_cbranch_execz .LBB326_265
; %bb.264:                              ;   in Loop: Header=BB326_9 Depth=1
	v_and_b32_e32 v15, 7, v8
	v_lshrrev_b32_e32 v17, 3, v1
	v_cmp_gt_u32_e64 s[4:5], 8, v1
	v_ffbh_u32_e32 v1, v15
	v_min_u32_e32 v18, 32, v1
	v_subrev_u32_e32 v1, 28, v18
	v_lshlrev_b64 v[1:2], v1, v[8:9]
	v_sub_u32_e32 v2, 29, v18
	v_and_b32_e32 v1, 7, v1
	v_cndmask_b32_e64 v2, v17, v2, s[4:5]
	v_cndmask_b32_e64 v1, v15, v1, s[4:5]
	v_lshlrev_b32_e32 v8, 24, v8
	v_bfrev_b32_e32 v3, 60
	v_lshlrev_b32_e32 v1, 20, v1
	v_and_b32_e32 v8, 0x80000000, v8
	v_lshl_add_u32 v2, v2, 23, v3
	v_or3_b32 v15, v8, v2, v1
.LBB326_265:                            ;   in Loop: Header=BB326_9 Depth=1
	s_or_b64 exec, exec, s[36:37]
.LBB326_266:                            ;   in Loop: Header=BB326_9 Depth=1
	s_or_b64 exec, exec, s[34:35]
.LBB326_267:                            ;   in Loop: Header=BB326_9 Depth=1
	s_or_b64 exec, exec, s[16:17]
	v_cmp_lt_u32_e64 s[4:5], s43, v7
	v_mov_b32_e32 v18, 0
	v_mov_b32_e32 v17, 0
	s_and_saveexec_b64 s[16:17], s[4:5]
	s_cbranch_execz .LBB326_273
; %bb.268:                              ;   in Loop: Header=BB326_9 Depth=1
	v_lshrrev_b32_e32 v8, 24, v7
	v_cmp_ne_u32_e64 s[4:5], s41, v8
	v_bfrev_b32_e32 v17, 1
	s_and_saveexec_b64 s[34:35], s[4:5]
	s_cbranch_execz .LBB326_272
; %bb.269:                              ;   in Loop: Header=BB326_9 Depth=1
	v_bfe_u32 v1, v7, 24, 7
	v_cmp_ne_u32_e64 s[4:5], s42, v1
	v_mov_b32_e32 v17, 0x7f800001
	s_and_saveexec_b64 s[36:37], s[4:5]
	s_cbranch_execz .LBB326_271
; %bb.270:                              ;   in Loop: Header=BB326_9 Depth=1
	v_and_b32_e32 v7, 7, v8
	v_lshrrev_b32_e32 v17, 3, v1
	v_cmp_gt_u32_e64 s[4:5], 8, v1
	v_ffbh_u32_e32 v1, v7
	v_min_u32_e32 v19, 32, v1
	v_subrev_u32_e32 v1, 28, v19
	v_lshlrev_b64 v[1:2], v1, v[8:9]
	v_sub_u32_e32 v2, 29, v19
	v_and_b32_e32 v1, 7, v1
	v_cndmask_b32_e64 v2, v17, v2, s[4:5]
	v_cndmask_b32_e64 v1, v7, v1, s[4:5]
	v_lshlrev_b32_e32 v7, 24, v8
	v_bfrev_b32_e32 v3, 60
	v_lshlrev_b32_e32 v1, 20, v1
	v_and_b32_e32 v7, 0x80000000, v7
	v_lshl_add_u32 v2, v2, 23, v3
	v_or3_b32 v17, v7, v2, v1
.LBB326_271:                            ;   in Loop: Header=BB326_9 Depth=1
	s_or_b64 exec, exec, s[36:37]
.LBB326_272:                            ;   in Loop: Header=BB326_9 Depth=1
	s_or_b64 exec, exec, s[34:35]
.LBB326_273:                            ;   in Loop: Header=BB326_9 Depth=1
	s_or_b64 exec, exec, s[16:17]
	global_load_dword v7, v[5:6], off offset:2568
	v_mov_b32_e32 v1, 0
	s_waitcnt vmcnt(0)
	v_cmp_ne_u16_sdwa s[4:5], v7, v1 src0_sel:BYTE_0 src1_sel:DWORD
	s_and_saveexec_b64 s[16:17], s[4:5]
	s_cbranch_execz .LBB326_279
; %bb.274:                              ;   in Loop: Header=BB326_9 Depth=1
	v_cmp_ne_u16_sdwa s[4:5], v7, s41 src0_sel:BYTE_0 src1_sel:DWORD
	v_bfrev_b32_e32 v18, 1
	s_and_saveexec_b64 s[34:35], s[4:5]
	s_cbranch_execz .LBB326_278
; %bb.275:                              ;   in Loop: Header=BB326_9 Depth=1
	v_and_b32_e32 v1, 0x7f, v7
	v_cmp_ne_u32_e64 s[4:5], s42, v1
	v_mov_b32_e32 v18, 0x7f800001
	s_and_saveexec_b64 s[36:37], s[4:5]
	s_cbranch_execz .LBB326_277
; %bb.276:                              ;   in Loop: Header=BB326_9 Depth=1
	v_and_b32_e32 v8, 7, v7
	v_lshrrev_b32_e32 v18, 3, v1
	v_cmp_gt_u32_e64 s[4:5], 8, v1
	v_ffbh_u32_e32 v1, v8
	v_min_u32_e32 v19, 32, v1
	v_subrev_u32_e32 v1, 28, v19
	v_lshlrev_b64 v[1:2], v1, v[7:8]
	v_sub_u32_e32 v2, 29, v19
	v_and_b32_e32 v1, 7, v1
	v_cndmask_b32_e64 v2, v18, v2, s[4:5]
	v_cndmask_b32_e64 v1, v8, v1, s[4:5]
	v_lshlrev_b32_e32 v8, 24, v7
	v_bfrev_b32_e32 v3, 60
	v_lshlrev_b32_e32 v1, 20, v1
	v_and_b32_e32 v8, 0x80000000, v8
	v_lshl_add_u32 v2, v2, 23, v3
	v_or3_b32 v18, v8, v2, v1
.LBB326_277:                            ;   in Loop: Header=BB326_9 Depth=1
	s_or_b64 exec, exec, s[36:37]
.LBB326_278:                            ;   in Loop: Header=BB326_9 Depth=1
	s_or_b64 exec, exec, s[34:35]
.LBB326_279:                            ;   in Loop: Header=BB326_9 Depth=1
	s_or_b64 exec, exec, s[16:17]
	v_lshrrev_b16_e32 v8, 8, v7
	v_cmp_ne_u16_e64 s[4:5], 0, v8
	v_mov_b32_e32 v21, 0
	v_mov_b32_e32 v19, 0
	s_and_saveexec_b64 s[16:17], s[4:5]
	s_cbranch_execz .LBB326_285
; %bb.280:                              ;   in Loop: Header=BB326_9 Depth=1
	v_cmp_ne_u16_e64 s[4:5], s41, v8
	v_bfrev_b32_e32 v19, 1
	s_and_saveexec_b64 s[34:35], s[4:5]
	s_cbranch_execz .LBB326_284
; %bb.281:                              ;   in Loop: Header=BB326_9 Depth=1
	v_and_b32_e32 v1, 0x7f, v8
	v_cmp_ne_u32_e64 s[4:5], s42, v1
	v_mov_b32_e32 v19, 0x7f800001
	s_and_saveexec_b64 s[36:37], s[4:5]
	s_cbranch_execz .LBB326_283
; %bb.282:                              ;   in Loop: Header=BB326_9 Depth=1
	v_and_b32_e32 v19, 7, v8
	v_lshrrev_b32_e32 v22, 3, v1
	v_cmp_gt_u32_e64 s[4:5], 8, v1
	v_ffbh_u32_e32 v1, v19
	v_min_u32_e32 v23, 32, v1
	v_subrev_u32_e32 v1, 28, v23
	v_lshlrev_b64 v[1:2], v1, v[8:9]
	v_sub_u32_e32 v2, 29, v23
	v_and_b32_e32 v1, 7, v1
	v_cndmask_b32_e64 v2, v22, v2, s[4:5]
	v_cndmask_b32_e64 v1, v19, v1, s[4:5]
	v_lshlrev_b32_e32 v8, 16, v7
	v_bfrev_b32_e32 v3, 60
	v_lshlrev_b32_e32 v1, 20, v1
	v_and_b32_e32 v8, 0x80000000, v8
	v_lshl_add_u32 v2, v2, 23, v3
	v_or3_b32 v19, v8, v2, v1
.LBB326_283:                            ;   in Loop: Header=BB326_9 Depth=1
	s_or_b64 exec, exec, s[36:37]
.LBB326_284:                            ;   in Loop: Header=BB326_9 Depth=1
	s_or_b64 exec, exec, s[34:35]
.LBB326_285:                            ;   in Loop: Header=BB326_9 Depth=1
	s_or_b64 exec, exec, s[16:17]
	v_lshrrev_b32_e32 v8, 16, v7
	v_mov_b32_e32 v1, 0
	v_cmp_ne_u16_sdwa s[4:5], v8, v1 src0_sel:BYTE_0 src1_sel:DWORD
	s_and_saveexec_b64 s[16:17], s[4:5]
	s_cbranch_execz .LBB326_291
; %bb.286:                              ;   in Loop: Header=BB326_9 Depth=1
	v_cmp_ne_u16_sdwa s[4:5], v8, s41 src0_sel:BYTE_0 src1_sel:DWORD
	v_bfrev_b32_e32 v21, 1
	s_and_saveexec_b64 s[34:35], s[4:5]
	s_cbranch_execz .LBB326_290
; %bb.287:                              ;   in Loop: Header=BB326_9 Depth=1
	v_bfe_u32 v1, v7, 16, 7
	v_cmp_ne_u32_e64 s[4:5], s42, v1
	v_mov_b32_e32 v21, 0x7f800001
	s_and_saveexec_b64 s[36:37], s[4:5]
	s_cbranch_execz .LBB326_289
; %bb.288:                              ;   in Loop: Header=BB326_9 Depth=1
	v_and_b32_e32 v21, 7, v8
	v_lshrrev_b32_e32 v22, 3, v1
	v_cmp_gt_u32_e64 s[4:5], 8, v1
	v_ffbh_u32_e32 v1, v21
	v_min_u32_e32 v23, 32, v1
	v_subrev_u32_e32 v1, 28, v23
	v_lshlrev_b64 v[1:2], v1, v[8:9]
	v_sub_u32_e32 v2, 29, v23
	v_and_b32_e32 v1, 7, v1
	v_cndmask_b32_e64 v2, v22, v2, s[4:5]
	v_cndmask_b32_e64 v1, v21, v1, s[4:5]
	v_lshlrev_b32_e32 v8, 24, v8
	v_bfrev_b32_e32 v3, 60
	v_lshlrev_b32_e32 v1, 20, v1
	v_and_b32_e32 v8, 0x80000000, v8
	v_lshl_add_u32 v2, v2, 23, v3
	v_or3_b32 v21, v8, v2, v1
.LBB326_289:                            ;   in Loop: Header=BB326_9 Depth=1
	s_or_b64 exec, exec, s[36:37]
.LBB326_290:                            ;   in Loop: Header=BB326_9 Depth=1
	s_or_b64 exec, exec, s[34:35]
.LBB326_291:                            ;   in Loop: Header=BB326_9 Depth=1
	s_or_b64 exec, exec, s[16:17]
	v_cmp_lt_u32_e64 s[4:5], s43, v7
	v_mov_b32_e32 v24, 0
	v_mov_b32_e32 v22, 0
	s_and_saveexec_b64 s[16:17], s[4:5]
	s_cbranch_execz .LBB326_297
; %bb.292:                              ;   in Loop: Header=BB326_9 Depth=1
	v_lshrrev_b32_e32 v8, 24, v7
	v_cmp_ne_u32_e64 s[4:5], s41, v8
	v_bfrev_b32_e32 v22, 1
	s_and_saveexec_b64 s[34:35], s[4:5]
	s_cbranch_execz .LBB326_296
; %bb.293:                              ;   in Loop: Header=BB326_9 Depth=1
	v_bfe_u32 v1, v7, 24, 7
	v_cmp_ne_u32_e64 s[4:5], s42, v1
	v_mov_b32_e32 v22, 0x7f800001
	s_and_saveexec_b64 s[36:37], s[4:5]
	s_cbranch_execz .LBB326_295
; %bb.294:                              ;   in Loop: Header=BB326_9 Depth=1
	v_and_b32_e32 v7, 7, v8
	v_lshrrev_b32_e32 v22, 3, v1
	v_cmp_gt_u32_e64 s[4:5], 8, v1
	v_ffbh_u32_e32 v1, v7
	v_min_u32_e32 v23, 32, v1
	v_subrev_u32_e32 v1, 28, v23
	v_lshlrev_b64 v[1:2], v1, v[8:9]
	v_sub_u32_e32 v2, 29, v23
	v_and_b32_e32 v1, 7, v1
	v_cndmask_b32_e64 v2, v22, v2, s[4:5]
	v_cndmask_b32_e64 v1, v7, v1, s[4:5]
	v_lshlrev_b32_e32 v7, 24, v8
	v_bfrev_b32_e32 v3, 60
	v_lshlrev_b32_e32 v1, 20, v1
	v_and_b32_e32 v7, 0x80000000, v7
	v_lshl_add_u32 v2, v2, 23, v3
	v_or3_b32 v22, v7, v2, v1
.LBB326_295:                            ;   in Loop: Header=BB326_9 Depth=1
	s_or_b64 exec, exec, s[36:37]
.LBB326_296:                            ;   in Loop: Header=BB326_9 Depth=1
	s_or_b64 exec, exec, s[34:35]
.LBB326_297:                            ;   in Loop: Header=BB326_9 Depth=1
	s_or_b64 exec, exec, s[16:17]
	global_load_dword v7, v[5:6], off offset:3072
	v_mov_b32_e32 v1, 0
	s_waitcnt vmcnt(0)
	v_cmp_ne_u16_sdwa s[4:5], v7, v1 src0_sel:BYTE_0 src1_sel:DWORD
	s_and_saveexec_b64 s[16:17], s[4:5]
	s_cbranch_execz .LBB326_303
; %bb.298:                              ;   in Loop: Header=BB326_9 Depth=1
	v_cmp_ne_u16_sdwa s[4:5], v7, s41 src0_sel:BYTE_0 src1_sel:DWORD
	v_bfrev_b32_e32 v24, 1
	s_and_saveexec_b64 s[34:35], s[4:5]
	s_cbranch_execz .LBB326_302
; %bb.299:                              ;   in Loop: Header=BB326_9 Depth=1
	v_and_b32_e32 v1, 0x7f, v7
	v_cmp_ne_u32_e64 s[4:5], s42, v1
	v_mov_b32_e32 v24, 0x7f800001
	s_and_saveexec_b64 s[36:37], s[4:5]
	s_cbranch_execz .LBB326_301
; %bb.300:                              ;   in Loop: Header=BB326_9 Depth=1
	v_and_b32_e32 v8, 7, v7
	v_lshrrev_b32_e32 v23, 3, v1
	v_cmp_gt_u32_e64 s[4:5], 8, v1
	v_ffbh_u32_e32 v1, v8
	v_min_u32_e32 v24, 32, v1
	v_subrev_u32_e32 v1, 28, v24
	v_lshlrev_b64 v[1:2], v1, v[7:8]
	v_sub_u32_e32 v2, 29, v24
	v_and_b32_e32 v1, 7, v1
	v_cndmask_b32_e64 v2, v23, v2, s[4:5]
	v_cndmask_b32_e64 v1, v8, v1, s[4:5]
	v_lshlrev_b32_e32 v8, 24, v7
	v_bfrev_b32_e32 v3, 60
	v_lshlrev_b32_e32 v1, 20, v1
	v_and_b32_e32 v8, 0x80000000, v8
	v_lshl_add_u32 v2, v2, 23, v3
	v_or3_b32 v24, v8, v2, v1
.LBB326_301:                            ;   in Loop: Header=BB326_9 Depth=1
	s_or_b64 exec, exec, s[36:37]
.LBB326_302:                            ;   in Loop: Header=BB326_9 Depth=1
	s_or_b64 exec, exec, s[34:35]
.LBB326_303:                            ;   in Loop: Header=BB326_9 Depth=1
	s_or_b64 exec, exec, s[16:17]
	v_lshrrev_b16_e32 v8, 8, v7
	v_cmp_ne_u16_e64 s[4:5], 0, v8
	v_mov_b32_e32 v2, 0
	v_mov_b32_e32 v1, 0
	s_and_saveexec_b64 s[16:17], s[4:5]
	s_cbranch_execz .LBB326_309
; %bb.304:                              ;   in Loop: Header=BB326_9 Depth=1
	v_cmp_ne_u16_e64 s[4:5], s41, v8
	v_bfrev_b32_e32 v1, 1
	s_and_saveexec_b64 s[34:35], s[4:5]
	s_cbranch_execz .LBB326_308
; %bb.305:                              ;   in Loop: Header=BB326_9 Depth=1
	v_and_b32_e32 v23, 0x7f, v8
	v_cmp_ne_u32_e64 s[4:5], s42, v23
	v_mov_b32_e32 v1, 0x7f800001
	s_and_saveexec_b64 s[36:37], s[4:5]
	s_cbranch_execz .LBB326_307
; %bb.306:                              ;   in Loop: Header=BB326_9 Depth=1
	v_and_b32_e32 v1, 7, v8
	v_lshrrev_b32_e32 v29, 3, v23
	v_cmp_gt_u32_e64 s[4:5], 8, v23
	v_ffbh_u32_e32 v23, v1
	v_min_u32_e32 v23, 32, v23
	v_subrev_u32_e32 v31, 28, v23
	v_lshlrev_b64 v[31:32], v31, v[8:9]
	v_sub_u32_e32 v8, 29, v23
	v_and_b32_e32 v23, 7, v31
	v_cndmask_b32_e64 v8, v29, v8, s[4:5]
	v_cndmask_b32_e64 v1, v1, v23, s[4:5]
	v_lshlrev_b32_e32 v23, 16, v7
	v_bfrev_b32_e32 v3, 60
	v_lshlrev_b32_e32 v1, 20, v1
	v_and_b32_e32 v23, 0x80000000, v23
	v_lshl_add_u32 v8, v8, 23, v3
	v_or3_b32 v1, v23, v8, v1
.LBB326_307:                            ;   in Loop: Header=BB326_9 Depth=1
	s_or_b64 exec, exec, s[36:37]
.LBB326_308:                            ;   in Loop: Header=BB326_9 Depth=1
	s_or_b64 exec, exec, s[34:35]
.LBB326_309:                            ;   in Loop: Header=BB326_9 Depth=1
	s_or_b64 exec, exec, s[16:17]
	v_lshrrev_b32_e32 v8, 16, v7
	v_mov_b32_e32 v3, 0
	v_cmp_ne_u16_sdwa s[4:5], v8, v3 src0_sel:BYTE_0 src1_sel:DWORD
	s_and_saveexec_b64 s[16:17], s[4:5]
	s_cbranch_execz .LBB326_315
; %bb.310:                              ;   in Loop: Header=BB326_9 Depth=1
	v_cmp_ne_u16_sdwa s[4:5], v8, s41 src0_sel:BYTE_0 src1_sel:DWORD
	v_bfrev_b32_e32 v2, 1
	s_and_saveexec_b64 s[34:35], s[4:5]
	s_cbranch_execz .LBB326_314
; %bb.311:                              ;   in Loop: Header=BB326_9 Depth=1
	v_bfe_u32 v23, v7, 16, 7
	v_cmp_ne_u32_e64 s[4:5], s42, v23
	v_mov_b32_e32 v2, 0x7f800001
	s_and_saveexec_b64 s[36:37], s[4:5]
	s_cbranch_execz .LBB326_313
; %bb.312:                              ;   in Loop: Header=BB326_9 Depth=1
	v_and_b32_e32 v2, 7, v8
	v_lshrrev_b32_e32 v29, 3, v23
	v_cmp_gt_u32_e64 s[4:5], 8, v23
	v_ffbh_u32_e32 v23, v2
	v_min_u32_e32 v23, 32, v23
	v_subrev_u32_e32 v31, 28, v23
	v_lshlrev_b64 v[31:32], v31, v[8:9]
	v_sub_u32_e32 v23, 29, v23
	v_and_b32_e32 v31, 7, v31
	v_cndmask_b32_e64 v23, v29, v23, s[4:5]
	v_cndmask_b32_e64 v2, v2, v31, s[4:5]
	v_lshlrev_b32_e32 v8, 24, v8
	v_bfrev_b32_e32 v3, 60
	v_lshlrev_b32_e32 v2, 20, v2
	v_and_b32_e32 v8, 0x80000000, v8
	v_lshl_add_u32 v23, v23, 23, v3
	v_or3_b32 v2, v8, v23, v2
.LBB326_313:                            ;   in Loop: Header=BB326_9 Depth=1
	s_or_b64 exec, exec, s[36:37]
.LBB326_314:                            ;   in Loop: Header=BB326_9 Depth=1
	s_or_b64 exec, exec, s[34:35]
.LBB326_315:                            ;   in Loop: Header=BB326_9 Depth=1
	s_or_b64 exec, exec, s[16:17]
	v_cmp_lt_u32_e64 s[4:5], s43, v7
	v_mov_b32_e32 v3, 0
	v_mov_b32_e32 v23, 0
	s_and_saveexec_b64 s[16:17], s[4:5]
	s_cbranch_execz .LBB326_321
; %bb.316:                              ;   in Loop: Header=BB326_9 Depth=1
	v_lshrrev_b32_e32 v8, 24, v7
	v_cmp_ne_u32_e64 s[4:5], s41, v8
	v_bfrev_b32_e32 v23, 1
	s_and_saveexec_b64 s[34:35], s[4:5]
	s_cbranch_execz .LBB326_320
; %bb.317:                              ;   in Loop: Header=BB326_9 Depth=1
	v_bfe_u32 v7, v7, 24, 7
	v_cmp_ne_u32_e64 s[4:5], s42, v7
	v_mov_b32_e32 v23, 0x7f800001
	s_and_saveexec_b64 s[36:37], s[4:5]
	s_cbranch_execz .LBB326_319
; %bb.318:                              ;   in Loop: Header=BB326_9 Depth=1
	v_and_b32_e32 v23, 7, v8
	v_lshrrev_b32_e32 v29, 3, v7
	v_cmp_gt_u32_e64 s[4:5], 8, v7
	v_ffbh_u32_e32 v7, v23
	v_min_u32_e32 v7, 32, v7
	v_subrev_u32_e32 v31, 28, v7
	v_lshlrev_b64 v[31:32], v31, v[8:9]
	v_sub_u32_e32 v7, 29, v7
	v_and_b32_e32 v31, 7, v31
	v_cndmask_b32_e64 v7, v29, v7, s[4:5]
	v_cndmask_b32_e64 v23, v23, v31, s[4:5]
	v_lshlrev_b32_e32 v8, 24, v8
	v_bfrev_b32_e32 v4, 60
	v_lshlrev_b32_e32 v23, 20, v23
	v_and_b32_e32 v8, 0x80000000, v8
	v_lshl_add_u32 v7, v7, 23, v4
	v_or3_b32 v23, v8, v7, v23
.LBB326_319:                            ;   in Loop: Header=BB326_9 Depth=1
	s_or_b64 exec, exec, s[36:37]
.LBB326_320:                            ;   in Loop: Header=BB326_9 Depth=1
	s_or_b64 exec, exec, s[34:35]
.LBB326_321:                            ;   in Loop: Header=BB326_9 Depth=1
	s_or_b64 exec, exec, s[16:17]
	global_load_dword v7, v[5:6], off offset:3080
	v_mov_b32_e32 v4, 0
	s_waitcnt vmcnt(0)
	v_cmp_ne_u16_sdwa s[4:5], v7, v4 src0_sel:BYTE_0 src1_sel:DWORD
	s_and_saveexec_b64 s[16:17], s[4:5]
	s_cbranch_execz .LBB326_327
; %bb.322:                              ;   in Loop: Header=BB326_9 Depth=1
	v_cmp_ne_u16_sdwa s[4:5], v7, s41 src0_sel:BYTE_0 src1_sel:DWORD
	v_bfrev_b32_e32 v3, 1
	s_and_saveexec_b64 s[34:35], s[4:5]
	s_cbranch_execz .LBB326_326
; %bb.323:                              ;   in Loop: Header=BB326_9 Depth=1
	v_and_b32_e32 v8, 0x7f, v7
	v_cmp_ne_u32_e64 s[4:5], s42, v8
	v_mov_b32_e32 v3, 0x7f800001
	s_and_saveexec_b64 s[36:37], s[4:5]
	s_cbranch_execz .LBB326_325
; %bb.324:                              ;   in Loop: Header=BB326_9 Depth=1
	v_and_b32_e32 v29, 7, v7
	v_lshrrev_b32_e32 v33, 3, v8
	v_cmp_gt_u32_e64 s[4:5], 8, v8
	v_ffbh_u32_e32 v8, v29
	v_min_u32_e32 v8, 32, v8
	v_subrev_u32_e32 v31, 28, v8
	v_lshlrev_b64 v[31:32], v31, v[7:8]
	v_sub_u32_e32 v8, 29, v8
	v_and_b32_e32 v31, 7, v31
	v_cndmask_b32_e64 v8, v33, v8, s[4:5]
	v_cndmask_b32_e64 v29, v29, v31, s[4:5]
	v_lshlrev_b32_e32 v31, 24, v7
	v_bfrev_b32_e32 v3, 60
	v_lshlrev_b32_e32 v29, 20, v29
	v_and_b32_e32 v31, 0x80000000, v31
	v_lshl_add_u32 v8, v8, 23, v3
	v_or3_b32 v3, v31, v8, v29
.LBB326_325:                            ;   in Loop: Header=BB326_9 Depth=1
	s_or_b64 exec, exec, s[36:37]
.LBB326_326:                            ;   in Loop: Header=BB326_9 Depth=1
	s_or_b64 exec, exec, s[34:35]
.LBB326_327:                            ;   in Loop: Header=BB326_9 Depth=1
	s_or_b64 exec, exec, s[16:17]
	v_lshrrev_b16_e32 v8, 8, v7
	v_cmp_ne_u16_e64 s[4:5], 0, v8
	v_mov_b32_e32 v32, 0
	v_mov_b32_e32 v31, 0
	s_and_saveexec_b64 s[16:17], s[4:5]
	s_cbranch_execz .LBB326_333
; %bb.328:                              ;   in Loop: Header=BB326_9 Depth=1
	v_cmp_ne_u16_e64 s[4:5], s41, v8
	v_bfrev_b32_e32 v31, 1
	s_and_saveexec_b64 s[34:35], s[4:5]
	s_cbranch_execz .LBB326_332
; %bb.329:                              ;   in Loop: Header=BB326_9 Depth=1
	v_and_b32_e32 v29, 0x7f, v8
	v_cmp_ne_u32_e64 s[4:5], s42, v29
	v_mov_b32_e32 v31, 0x7f800001
	s_and_saveexec_b64 s[36:37], s[4:5]
	s_cbranch_execz .LBB326_331
; %bb.330:                              ;   in Loop: Header=BB326_9 Depth=1
	v_and_b32_e32 v31, 7, v8
	v_lshrrev_b32_e32 v35, 3, v29
	v_cmp_gt_u32_e64 s[4:5], 8, v29
	v_ffbh_u32_e32 v29, v31
	v_min_u32_e32 v29, 32, v29
	v_subrev_u32_e32 v33, 28, v29
	v_lshlrev_b64 v[33:34], v33, v[8:9]
	v_sub_u32_e32 v8, 29, v29
	v_and_b32_e32 v29, 7, v33
	v_cndmask_b32_e64 v8, v35, v8, s[4:5]
	v_cndmask_b32_e64 v29, v31, v29, s[4:5]
	v_lshlrev_b32_e32 v31, 16, v7
	v_bfrev_b32_e32 v4, 60
	v_lshlrev_b32_e32 v29, 20, v29
	v_and_b32_e32 v31, 0x80000000, v31
	v_lshl_add_u32 v8, v8, 23, v4
	v_or3_b32 v31, v31, v8, v29
.LBB326_331:                            ;   in Loop: Header=BB326_9 Depth=1
	s_or_b64 exec, exec, s[36:37]
.LBB326_332:                            ;   in Loop: Header=BB326_9 Depth=1
	s_or_b64 exec, exec, s[34:35]
.LBB326_333:                            ;   in Loop: Header=BB326_9 Depth=1
	s_or_b64 exec, exec, s[16:17]
	v_lshrrev_b32_e32 v8, 16, v7
	v_mov_b32_e32 v4, 0
	v_cmp_ne_u16_sdwa s[4:5], v8, v4 src0_sel:BYTE_0 src1_sel:DWORD
	s_and_saveexec_b64 s[16:17], s[4:5]
	s_cbranch_execz .LBB326_339
; %bb.334:                              ;   in Loop: Header=BB326_9 Depth=1
	v_cmp_ne_u16_sdwa s[4:5], v8, s41 src0_sel:BYTE_0 src1_sel:DWORD
	v_bfrev_b32_e32 v32, 1
	s_and_saveexec_b64 s[34:35], s[4:5]
	s_cbranch_execz .LBB326_338
; %bb.335:                              ;   in Loop: Header=BB326_9 Depth=1
	v_bfe_u32 v29, v7, 16, 7
	v_cmp_ne_u32_e64 s[4:5], s42, v29
	v_mov_b32_e32 v32, 0x7f800001
	s_and_saveexec_b64 s[36:37], s[4:5]
	s_cbranch_execz .LBB326_337
; %bb.336:                              ;   in Loop: Header=BB326_9 Depth=1
	v_and_b32_e32 v34, 7, v8
	v_lshrrev_b32_e32 v35, 3, v29
	v_cmp_gt_u32_e64 s[4:5], 8, v29
	v_ffbh_u32_e32 v29, v34
	v_min_u32_e32 v29, 32, v29
	v_subrev_u32_e32 v32, 28, v29
	v_lshlrev_b64 v[32:33], v32, v[8:9]
	v_sub_u32_e32 v29, 29, v29
	v_and_b32_e32 v32, 7, v32
	v_cndmask_b32_e64 v29, v35, v29, s[4:5]
	v_cndmask_b32_e64 v32, v34, v32, s[4:5]
	v_lshlrev_b32_e32 v8, 24, v8
	v_bfrev_b32_e32 v4, 60
	v_lshlrev_b32_e32 v32, 20, v32
	v_and_b32_e32 v8, 0x80000000, v8
	v_lshl_add_u32 v29, v29, 23, v4
	v_or3_b32 v32, v8, v29, v32
.LBB326_337:                            ;   in Loop: Header=BB326_9 Depth=1
	s_or_b64 exec, exec, s[36:37]
.LBB326_338:                            ;   in Loop: Header=BB326_9 Depth=1
	s_or_b64 exec, exec, s[34:35]
.LBB326_339:                            ;   in Loop: Header=BB326_9 Depth=1
	s_or_b64 exec, exec, s[16:17]
	v_cmp_lt_u32_e64 s[4:5], s43, v7
	v_mov_b32_e32 v34, 0
	v_mov_b32_e32 v36, 0
	s_and_saveexec_b64 s[16:17], s[4:5]
	s_cbranch_execz .LBB326_345
; %bb.340:                              ;   in Loop: Header=BB326_9 Depth=1
	v_lshrrev_b32_e32 v8, 24, v7
	v_cmp_ne_u32_e64 s[4:5], s41, v8
	v_bfrev_b32_e32 v36, 1
	s_and_saveexec_b64 s[34:35], s[4:5]
	s_cbranch_execz .LBB326_344
; %bb.341:                              ;   in Loop: Header=BB326_9 Depth=1
	v_bfe_u32 v7, v7, 24, 7
	v_cmp_ne_u32_e64 s[4:5], s42, v7
	v_mov_b32_e32 v36, 0x7f800001
	s_and_saveexec_b64 s[36:37], s[4:5]
	s_cbranch_execz .LBB326_343
; %bb.342:                              ;   in Loop: Header=BB326_9 Depth=1
	v_and_b32_e32 v29, 7, v8
	v_lshrrev_b32_e32 v33, 3, v7
	v_cmp_gt_u32_e64 s[4:5], 8, v7
	v_ffbh_u32_e32 v7, v29
	v_min_u32_e32 v7, 32, v7
	v_subrev_u32_e32 v35, 28, v7
	v_lshlrev_b64 v[35:36], v35, v[8:9]
	v_sub_u32_e32 v7, 29, v7
	v_and_b32_e32 v35, 7, v35
	v_cndmask_b32_e64 v7, v33, v7, s[4:5]
	v_cndmask_b32_e64 v29, v29, v35, s[4:5]
	v_lshlrev_b32_e32 v8, 24, v8
	v_bfrev_b32_e32 v4, 60
	v_lshlrev_b32_e32 v29, 20, v29
	v_and_b32_e32 v8, 0x80000000, v8
	v_lshl_add_u32 v7, v7, 23, v4
	v_or3_b32 v36, v8, v7, v29
.LBB326_343:                            ;   in Loop: Header=BB326_9 Depth=1
	s_or_b64 exec, exec, s[36:37]
.LBB326_344:                            ;   in Loop: Header=BB326_9 Depth=1
	s_or_b64 exec, exec, s[34:35]
.LBB326_345:                            ;   in Loop: Header=BB326_9 Depth=1
	s_or_b64 exec, exec, s[16:17]
	global_load_dword v7, v[5:6], off offset:3584
	v_mov_b32_e32 v4, 0
	s_waitcnt vmcnt(0)
	v_cmp_ne_u16_sdwa s[4:5], v7, v4 src0_sel:BYTE_0 src1_sel:DWORD
	s_and_saveexec_b64 s[16:17], s[4:5]
	s_cbranch_execz .LBB326_351
; %bb.346:                              ;   in Loop: Header=BB326_9 Depth=1
	v_cmp_ne_u16_sdwa s[4:5], v7, s41 src0_sel:BYTE_0 src1_sel:DWORD
	v_bfrev_b32_e32 v34, 1
	s_and_saveexec_b64 s[34:35], s[4:5]
	s_cbranch_execz .LBB326_350
; %bb.347:                              ;   in Loop: Header=BB326_9 Depth=1
	v_and_b32_e32 v8, 0x7f, v7
	v_cmp_ne_u32_e64 s[4:5], s42, v8
	v_mov_b32_e32 v34, 0x7f800001
	s_and_saveexec_b64 s[36:37], s[4:5]
	s_cbranch_execz .LBB326_349
; %bb.348:                              ;   in Loop: Header=BB326_9 Depth=1
	v_and_b32_e32 v29, 7, v7
	v_lshrrev_b32_e32 v35, 3, v8
	v_cmp_gt_u32_e64 s[4:5], 8, v8
	v_ffbh_u32_e32 v8, v29
	v_min_u32_e32 v8, 32, v8
	v_subrev_u32_e32 v33, 28, v8
	v_lshlrev_b64 v[33:34], v33, v[7:8]
	v_sub_u32_e32 v8, 29, v8
	v_and_b32_e32 v33, 7, v33
	v_cndmask_b32_e64 v8, v35, v8, s[4:5]
	v_cndmask_b32_e64 v29, v29, v33, s[4:5]
	v_lshlrev_b32_e32 v33, 24, v7
	v_bfrev_b32_e32 v4, 60
	v_lshlrev_b32_e32 v29, 20, v29
	v_and_b32_e32 v33, 0x80000000, v33
	v_lshl_add_u32 v8, v8, 23, v4
	v_or3_b32 v34, v33, v8, v29
.LBB326_349:                            ;   in Loop: Header=BB326_9 Depth=1
	s_or_b64 exec, exec, s[36:37]
.LBB326_350:                            ;   in Loop: Header=BB326_9 Depth=1
	s_or_b64 exec, exec, s[34:35]
.LBB326_351:                            ;   in Loop: Header=BB326_9 Depth=1
	s_or_b64 exec, exec, s[16:17]
	v_lshrrev_b16_e32 v8, 8, v7
	v_cmp_ne_u16_e64 s[4:5], 0, v8
	v_mov_b32_e32 v38, 0
	v_mov_b32_e32 v33, 0
	s_and_saveexec_b64 s[16:17], s[4:5]
	s_cbranch_execz .LBB326_357
; %bb.352:                              ;   in Loop: Header=BB326_9 Depth=1
	v_cmp_ne_u16_e64 s[4:5], s41, v8
	v_bfrev_b32_e32 v33, 1
	s_and_saveexec_b64 s[34:35], s[4:5]
	s_cbranch_execz .LBB326_356
; %bb.353:                              ;   in Loop: Header=BB326_9 Depth=1
	v_and_b32_e32 v29, 0x7f, v8
	v_cmp_ne_u32_e64 s[4:5], s42, v29
	v_mov_b32_e32 v33, 0x7f800001
	s_and_saveexec_b64 s[36:37], s[4:5]
	s_cbranch_execz .LBB326_355
; %bb.354:                              ;   in Loop: Header=BB326_9 Depth=1
	v_and_b32_e32 v33, 7, v8
	v_lshrrev_b32_e32 v35, 3, v29
	v_cmp_gt_u32_e64 s[4:5], 8, v29
	v_ffbh_u32_e32 v29, v33
	v_min_u32_e32 v29, 32, v29
	v_mov_b32_e32 v4, v37
	v_subrev_u32_e32 v37, 28, v29
	v_lshlrev_b64 v[39:40], v37, v[8:9]
	v_sub_u32_e32 v8, 29, v29
	v_and_b32_e32 v29, 7, v39
	v_mov_b32_e32 v37, v4
	v_cndmask_b32_e64 v8, v35, v8, s[4:5]
	v_cndmask_b32_e64 v29, v33, v29, s[4:5]
	v_lshlrev_b32_e32 v33, 16, v7
	v_bfrev_b32_e32 v4, 60
	v_lshlrev_b32_e32 v29, 20, v29
	v_and_b32_e32 v33, 0x80000000, v33
	v_lshl_add_u32 v8, v8, 23, v4
	v_or3_b32 v33, v33, v8, v29
.LBB326_355:                            ;   in Loop: Header=BB326_9 Depth=1
	s_or_b64 exec, exec, s[36:37]
.LBB326_356:                            ;   in Loop: Header=BB326_9 Depth=1
	s_or_b64 exec, exec, s[34:35]
.LBB326_357:                            ;   in Loop: Header=BB326_9 Depth=1
	s_or_b64 exec, exec, s[16:17]
	v_lshrrev_b32_e32 v8, 16, v7
	v_mov_b32_e32 v4, 0
	v_cmp_ne_u16_sdwa s[4:5], v8, v4 src0_sel:BYTE_0 src1_sel:DWORD
	s_and_saveexec_b64 s[16:17], s[4:5]
	s_cbranch_execz .LBB326_363
; %bb.358:                              ;   in Loop: Header=BB326_9 Depth=1
	v_cmp_ne_u16_sdwa s[4:5], v8, s41 src0_sel:BYTE_0 src1_sel:DWORD
	v_bfrev_b32_e32 v38, 1
	s_and_saveexec_b64 s[34:35], s[4:5]
	s_cbranch_execz .LBB326_362
; %bb.359:                              ;   in Loop: Header=BB326_9 Depth=1
	v_bfe_u32 v29, v7, 16, 7
	v_cmp_ne_u32_e64 s[4:5], s42, v29
	v_mov_b32_e32 v38, 0x7f800001
	s_and_saveexec_b64 s[36:37], s[4:5]
	s_cbranch_execz .LBB326_361
; %bb.360:                              ;   in Loop: Header=BB326_9 Depth=1
	v_and_b32_e32 v35, 7, v8
	v_lshrrev_b32_e32 v39, 3, v29
	v_cmp_gt_u32_e64 s[4:5], 8, v29
	v_ffbh_u32_e32 v29, v35
	v_min_u32_e32 v29, 32, v29
	v_mov_b32_e32 v4, v37
	v_subrev_u32_e32 v37, 28, v29
	v_lshlrev_b64 v[37:38], v37, v[8:9]
	v_sub_u32_e32 v29, 29, v29
	v_and_b32_e32 v37, 7, v37
	v_cndmask_b32_e64 v29, v39, v29, s[4:5]
	v_cndmask_b32_e64 v35, v35, v37, s[4:5]
	v_mov_b32_e32 v37, v4
	v_lshlrev_b32_e32 v8, 24, v8
	v_bfrev_b32_e32 v4, 60
	v_lshlrev_b32_e32 v35, 20, v35
	v_and_b32_e32 v8, 0x80000000, v8
	v_lshl_add_u32 v29, v29, 23, v4
	v_or3_b32 v38, v8, v29, v35
.LBB326_361:                            ;   in Loop: Header=BB326_9 Depth=1
	s_or_b64 exec, exec, s[36:37]
.LBB326_362:                            ;   in Loop: Header=BB326_9 Depth=1
	s_or_b64 exec, exec, s[34:35]
.LBB326_363:                            ;   in Loop: Header=BB326_9 Depth=1
	s_or_b64 exec, exec, s[16:17]
	v_mov_b32_e32 v40, 0
	v_mov_b32_e32 v39, 0
	v_cmp_lt_u32_e64 s[4:5], s43, v7
	s_mov_b64 s[16:17], exec
	s_and_b64 s[4:5], s[16:17], s[4:5]
	buffer_store_dword v42, off, s[48:51], 0 offset:52 ; 4-byte Folded Spill
	s_mov_b64 exec, s[4:5]
	s_cbranch_execz .LBB326_369
; %bb.364:                              ;   in Loop: Header=BB326_9 Depth=1
	v_lshrrev_b32_e32 v8, 24, v7
	v_cmp_ne_u32_e64 s[4:5], s41, v8
	v_bfrev_b32_e32 v39, 1
	s_and_saveexec_b64 s[34:35], s[4:5]
	s_cbranch_execz .LBB326_368
; %bb.365:                              ;   in Loop: Header=BB326_9 Depth=1
	v_bfe_u32 v7, v7, 24, 7
	v_cmp_ne_u32_e64 s[4:5], s42, v7
	v_mov_b32_e32 v39, 0x7f800001
	s_and_saveexec_b64 s[36:37], s[4:5]
	s_cbranch_execz .LBB326_367
; %bb.366:                              ;   in Loop: Header=BB326_9 Depth=1
	v_and_b32_e32 v29, 7, v8
	v_lshrrev_b32_e32 v35, 3, v7
	v_cmp_gt_u32_e64 s[4:5], 8, v7
	v_ffbh_u32_e32 v7, v29
	v_min_u32_e32 v7, 32, v7
	v_mov_b32_e32 v4, v37
	v_subrev_u32_e32 v37, 28, v7
	v_lshlrev_b64 v[41:42], v37, v[8:9]
	v_sub_u32_e32 v7, 29, v7
	v_and_b32_e32 v37, 7, v41
	v_cndmask_b32_e64 v7, v35, v7, s[4:5]
	v_cndmask_b32_e64 v29, v29, v37, s[4:5]
	v_mov_b32_e32 v37, v4
	v_lshlrev_b32_e32 v8, 24, v8
	v_bfrev_b32_e32 v4, 60
	v_lshlrev_b32_e32 v29, 20, v29
	v_and_b32_e32 v8, 0x80000000, v8
	v_lshl_add_u32 v7, v7, 23, v4
	v_or3_b32 v39, v8, v7, v29
.LBB326_367:                            ;   in Loop: Header=BB326_9 Depth=1
	s_or_b64 exec, exec, s[36:37]
.LBB326_368:                            ;   in Loop: Header=BB326_9 Depth=1
	s_or_b64 exec, exec, s[34:35]
.LBB326_369:                            ;   in Loop: Header=BB326_9 Depth=1
	s_or_b64 exec, exec, s[16:17]
	global_load_dword v5, v[5:6], off offset:3592
	v_mov_b32_e32 v4, 0
	s_waitcnt vmcnt(0)
	v_cmp_ne_u16_sdwa s[4:5], v5, v4 src0_sel:BYTE_0 src1_sel:DWORD
	s_and_saveexec_b64 s[16:17], s[4:5]
	s_cbranch_execz .LBB326_375
; %bb.370:                              ;   in Loop: Header=BB326_9 Depth=1
	v_cmp_ne_u16_sdwa s[4:5], v5, s41 src0_sel:BYTE_0 src1_sel:DWORD
	v_bfrev_b32_e32 v40, 1
	s_and_saveexec_b64 s[34:35], s[4:5]
	s_cbranch_execz .LBB326_374
; %bb.371:                              ;   in Loop: Header=BB326_9 Depth=1
	v_and_b32_e32 v6, 0x7f, v5
	v_cmp_ne_u32_e64 s[4:5], s42, v6
	v_mov_b32_e32 v40, 0x7f800001
	s_and_saveexec_b64 s[36:37], s[4:5]
	s_cbranch_execz .LBB326_373
; %bb.372:                              ;   in Loop: Header=BB326_9 Depth=1
	v_and_b32_e32 v8, 7, v5
	v_lshrrev_b32_e32 v29, 3, v6
	v_cmp_gt_u32_e64 s[4:5], 8, v6
	v_ffbh_u32_e32 v6, v8
	v_min_u32_e32 v35, 32, v6
	v_subrev_u32_e32 v6, 28, v35
	v_lshlrev_b64 v[6:7], v6, v[5:6]
	v_sub_u32_e32 v7, 29, v35
	v_and_b32_e32 v6, 7, v6
	v_cndmask_b32_e64 v7, v29, v7, s[4:5]
	v_cndmask_b32_e64 v6, v8, v6, s[4:5]
	v_lshlrev_b32_e32 v8, 24, v5
	v_bfrev_b32_e32 v4, 60
	v_lshlrev_b32_e32 v6, 20, v6
	v_and_b32_e32 v8, 0x80000000, v8
	v_lshl_add_u32 v7, v7, 23, v4
	v_or3_b32 v40, v8, v7, v6
.LBB326_373:                            ;   in Loop: Header=BB326_9 Depth=1
	s_or_b64 exec, exec, s[36:37]
.LBB326_374:                            ;   in Loop: Header=BB326_9 Depth=1
	s_or_b64 exec, exec, s[34:35]
.LBB326_375:                            ;   in Loop: Header=BB326_9 Depth=1
	s_or_b64 exec, exec, s[16:17]
	v_lshrrev_b16_e32 v6, 8, v5
	v_cmp_ne_u16_e64 s[4:5], 0, v6
	v_mov_b32_e32 v35, 0
	v_mov_b32_e32 v7, 0
	s_and_saveexec_b64 s[16:17], s[4:5]
	s_cbranch_execz .LBB326_381
; %bb.376:                              ;   in Loop: Header=BB326_9 Depth=1
	v_cmp_ne_u16_e64 s[4:5], s41, v6
	v_bfrev_b32_e32 v7, 1
	s_and_saveexec_b64 s[34:35], s[4:5]
	s_cbranch_execz .LBB326_380
; %bb.377:                              ;   in Loop: Header=BB326_9 Depth=1
	v_and_b32_e32 v8, 0x7f, v6
	v_cmp_ne_u32_e64 s[4:5], s42, v8
	v_mov_b32_e32 v7, 0x7f800001
	s_and_saveexec_b64 s[36:37], s[4:5]
	s_cbranch_execz .LBB326_379
; %bb.378:                              ;   in Loop: Header=BB326_9 Depth=1
	v_and_b32_e32 v29, 7, v6
	v_ffbh_u32_e32 v7, v29
	v_mov_b32_e32 v4, v37
	v_lshrrev_b32_e32 v37, 3, v8
	v_cmp_gt_u32_e64 s[4:5], 8, v8
	v_min_u32_e32 v8, 32, v7
	v_subrev_u32_e32 v7, 28, v8
	v_lshlrev_b64 v[6:7], v7, v[6:7]
	v_sub_u32_e32 v7, 29, v8
	v_and_b32_e32 v6, 7, v6
	v_cndmask_b32_e64 v7, v37, v7, s[4:5]
	v_mov_b32_e32 v37, v4
	v_cndmask_b32_e64 v6, v29, v6, s[4:5]
	v_lshlrev_b32_e32 v8, 16, v5
	v_bfrev_b32_e32 v4, 60
	v_lshlrev_b32_e32 v6, 20, v6
	v_and_b32_e32 v8, 0x80000000, v8
	v_lshl_add_u32 v7, v7, 23, v4
	v_or3_b32 v7, v8, v7, v6
.LBB326_379:                            ;   in Loop: Header=BB326_9 Depth=1
	s_or_b64 exec, exec, s[36:37]
.LBB326_380:                            ;   in Loop: Header=BB326_9 Depth=1
	s_or_b64 exec, exec, s[34:35]
.LBB326_381:                            ;   in Loop: Header=BB326_9 Depth=1
	s_or_b64 exec, exec, s[16:17]
	v_lshrrev_b32_e32 v6, 16, v5
	v_mov_b32_e32 v4, 0
	v_cmp_ne_u16_sdwa s[4:5], v6, v4 src0_sel:BYTE_0 src1_sel:DWORD
	s_and_saveexec_b64 s[16:17], s[4:5]
	s_cbranch_execz .LBB326_387
; %bb.382:                              ;   in Loop: Header=BB326_9 Depth=1
	v_cmp_ne_u16_sdwa s[4:5], v6, s41 src0_sel:BYTE_0 src1_sel:DWORD
	v_bfrev_b32_e32 v35, 1
	s_and_saveexec_b64 s[34:35], s[4:5]
	s_cbranch_execz .LBB326_386
; %bb.383:                              ;   in Loop: Header=BB326_9 Depth=1
	v_bfe_u32 v8, v5, 16, 7
	v_cmp_ne_u32_e64 s[4:5], s42, v8
	v_mov_b32_e32 v35, 0x7f800001
	s_and_saveexec_b64 s[36:37], s[4:5]
	s_cbranch_execz .LBB326_385
; %bb.384:                              ;   in Loop: Header=BB326_9 Depth=1
	v_and_b32_e32 v29, 7, v6
	v_lshrrev_b32_e32 v35, 3, v8
	v_cmp_gt_u32_e64 s[4:5], 8, v8
	v_ffbh_u32_e32 v8, v29
	v_min_u32_e32 v8, 32, v8
	v_mov_b32_e32 v4, v37
	v_subrev_u32_e32 v37, 28, v8
	v_lshlrev_b64 v[41:42], v37, v[6:7]
	v_sub_u32_e32 v8, 29, v8
	v_and_b32_e32 v37, 7, v41
	v_cndmask_b32_e64 v8, v35, v8, s[4:5]
	v_cndmask_b32_e64 v29, v29, v37, s[4:5]
	v_mov_b32_e32 v37, v4
	v_lshlrev_b32_e32 v6, 24, v6
	v_bfrev_b32_e32 v4, 60
	v_lshlrev_b32_e32 v29, 20, v29
	v_and_b32_e32 v6, 0x80000000, v6
	v_lshl_add_u32 v8, v8, 23, v4
	v_or3_b32 v35, v6, v8, v29
.LBB326_385:                            ;   in Loop: Header=BB326_9 Depth=1
	s_or_b64 exec, exec, s[36:37]
.LBB326_386:                            ;   in Loop: Header=BB326_9 Depth=1
	s_or_b64 exec, exec, s[34:35]
.LBB326_387:                            ;   in Loop: Header=BB326_9 Depth=1
	s_or_b64 exec, exec, s[16:17]
	buffer_store_dword v35, off, s[48:51], 0 offset:64 ; 4-byte Folded Spill
	v_mov_b32_e32 v35, v26
	buffer_store_dword v37, off, s[48:51], 0 offset:48 ; 4-byte Folded Spill
	v_cmp_lt_u32_e64 s[4:5], s43, v5
	v_mov_b32_e32 v37, 0
	s_and_saveexec_b64 s[16:17], s[4:5]
	s_cbranch_execz .LBB326_393
; %bb.388:                              ;   in Loop: Header=BB326_9 Depth=1
	v_lshrrev_b32_e32 v6, 24, v5
	v_cmp_ne_u32_e64 s[4:5], s41, v6
	v_bfrev_b32_e32 v37, 1
	s_and_saveexec_b64 s[34:35], s[4:5]
	s_cbranch_execz .LBB326_392
; %bb.389:                              ;   in Loop: Header=BB326_9 Depth=1
	v_bfe_u32 v5, v5, 24, 7
	v_cmp_ne_u32_e64 s[4:5], s42, v5
	v_mov_b32_e32 v37, 0x7f800001
	s_and_saveexec_b64 s[36:37], s[4:5]
	s_cbranch_execz .LBB326_391
; %bb.390:                              ;   in Loop: Header=BB326_9 Depth=1
	v_and_b32_e32 v8, 7, v6
	v_lshrrev_b32_e32 v29, 3, v5
	v_cmp_gt_u32_e64 s[4:5], 8, v5
	v_ffbh_u32_e32 v5, v8
	v_min_u32_e32 v5, 32, v5
	v_subrev_u32_e32 v37, 28, v5
	v_lshlrev_b64 v[41:42], v37, v[6:7]
	v_sub_u32_e32 v5, 29, v5
	v_and_b32_e32 v37, 7, v41
	v_cndmask_b32_e64 v5, v29, v5, s[4:5]
	v_cndmask_b32_e64 v8, v8, v37, s[4:5]
	v_lshlrev_b32_e32 v6, 24, v6
	v_bfrev_b32_e32 v4, 60
	v_lshlrev_b32_e32 v8, 20, v8
	v_and_b32_e32 v6, 0x80000000, v6
	v_lshl_add_u32 v5, v5, 23, v4
	v_or3_b32 v37, v6, v5, v8
.LBB326_391:                            ;   in Loop: Header=BB326_9 Depth=1
	s_or_b64 exec, exec, s[36:37]
.LBB326_392:                            ;   in Loop: Header=BB326_9 Depth=1
	s_or_b64 exec, exec, s[34:35]
.LBB326_393:                            ;   in Loop: Header=BB326_9 Depth=1
	s_or_b64 exec, exec, s[16:17]
	s_waitcnt lgkmcnt(0)
	v_mul_f32_e32 v5, s40, v7
	v_bfe_u32 v6, v5, 16, 1
	v_add3_u32 v6, v6, v5, s44
	v_or_b32_e32 v7, 0x400000, v5
	v_cmp_u_f32_e64 s[4:5], v5, v5
	v_cndmask_b32_e64 v4, v6, v7, s[4:5]
	v_mul_f32_e32 v6, s40, v40
	v_bfe_u32 v7, v6, 16, 1
	v_add3_u32 v7, v7, v6, s44
	v_or_b32_e32 v8, 0x400000, v6
	v_cmp_u_f32_e64 s[4:5], v6, v6
	buffer_store_dword v4, off, s[48:51], 0 offset:56 ; 4-byte Folded Spill
	v_cndmask_b32_e64 v4, v7, v8, s[4:5]
	v_mul_f32_e32 v7, s40, v38
	v_bfe_u32 v8, v7, 16, 1
	v_add3_u32 v8, v8, v7, s44
	v_or_b32_e32 v29, 0x400000, v7
	v_cmp_u_f32_e64 s[4:5], v7, v7
	v_cndmask_b32_e64 v7, v8, v29, s[4:5]
	v_mul_f32_e32 v8, s40, v39
	v_bfe_u32 v29, v8, 16, 1
	v_add3_u32 v29, v29, v8, s44
	v_or_b32_e32 v38, 0x400000, v8
	v_cmp_u_f32_e64 s[4:5], v8, v8
	;; [unrolled: 6-line block ×3, first 2 shown]
	v_mul_f32_e32 v29, s40, v34
	v_bfe_u32 v34, v29, 16, 1
	v_cndmask_b32_e64 v33, v33, v38, s[4:5]
	v_add3_u32 v34, v34, v29, s44
	v_or_b32_e32 v38, 0x400000, v29
	v_cmp_u_f32_e64 s[4:5], v29, v29
	v_mul_f32_e32 v29, s40, v32
	v_bfe_u32 v32, v29, 16, 1
	v_cndmask_b32_e64 v34, v34, v38, s[4:5]
	v_add3_u32 v32, v32, v29, s44
	v_or_b32_e32 v38, 0x400000, v29
	v_cmp_u_f32_e64 s[4:5], v29, v29
	;; [unrolled: 6-line block ×4, first 2 shown]
	v_mul_f32_e32 v29, s40, v3
	v_cndmask_b32_e64 v31, v31, v38, s[4:5]
	v_bfe_u32 v38, v29, 16, 1
	v_mul_f32_e32 v2, s40, v2
	v_add3_u32 v38, v38, v29, s44
	v_or_b32_e32 v39, 0x400000, v29
	v_cmp_u_f32_e64 s[4:5], v29, v29
	v_bfe_u32 v29, v2, 16, 1
	v_cndmask_b32_e64 v6, v38, v39, s[4:5]
	v_add3_u32 v29, v29, v2, s44
	v_or_b32_e32 v38, 0x400000, v2
	v_cmp_u_f32_e64 s[4:5], v2, v2
	v_mul_f32_e32 v23, s40, v23
	v_cndmask_b32_e64 v5, v29, v38, s[4:5]
	v_bfe_u32 v29, v23, 16, 1
	v_add3_u32 v29, v29, v23, s44
	v_or_b32_e32 v38, 0x400000, v23
	v_cmp_u_f32_e64 s[4:5], v23, v23
	v_mul_f32_e32 v1, s40, v1
	v_cndmask_b32_e64 v23, v29, v38, s[4:5]
	v_bfe_u32 v29, v1, 16, 1
	;; [unrolled: 6-line block ×14, first 2 shown]
	v_add3_u32 v29, v29, v0, s44
	v_or_b32_e32 v38, 0x400000, v0
	v_cmp_u_f32_e64 s[4:5], v0, v0
	buffer_load_dword v0, off, s[48:51], 0 offset:20 ; 4-byte Folded Reload
	v_mul_f32_e32 v27, s40, v27
	v_cndmask_b32_e64 v1, v29, v38, s[4:5]
	v_bfe_u32 v29, v27, 16, 1
	v_add3_u32 v29, v29, v27, s44
	v_or_b32_e32 v38, 0x400000, v27
	v_cmp_u_f32_e64 s[4:5], v27, v27
	v_mul_f32_e32 v9, s40, v9
	v_cndmask_b32_e64 v27, v29, v38, s[4:5]
	v_bfe_u32 v29, v9, 16, 1
	v_add3_u32 v29, v29, v9, s44
	v_or_b32_e32 v38, 0x400000, v9
	v_cmp_u_f32_e64 s[4:5], v9, v9
	;; [unrolled: 6-line block ×4, first 2 shown]
	v_cndmask_b32_e64 v13, v29, v38, s[4:5]
	v_mul_f32_e32 v29, s40, v63
	v_bfe_u32 v38, v29, 16, 1
	v_add3_u32 v38, v38, v29, s44
	v_or_b32_e32 v39, 0x400000, v29
	v_cmp_u_f32_e64 s[4:5], v29, v29
	v_mul_f32_e32 v29, s40, v61
	v_cndmask_b32_e64 v38, v38, v39, s[4:5]
	v_bfe_u32 v39, v29, 16, 1
	v_add3_u32 v39, v39, v29, s44
	v_or_b32_e32 v40, 0x400000, v29
	v_cmp_u_f32_e64 s[4:5], v29, v29
	v_mul_f32_e32 v29, s40, v62
	v_cndmask_b32_e64 v61, v39, v40, s[4:5]
	;; [unrolled: 6-line block ×18, first 2 shown]
	v_bfe_u32 v41, v29, 16, 1
	v_add3_u32 v41, v41, v29, s44
	v_or_b32_e32 v42, 0x400000, v29
	v_cmp_u_f32_e64 s[4:5], v29, v29
	v_mul_f32_e32 v29, s40, v30
	v_bfe_u32 v30, v29, 16, 1
	v_cndmask_b32_e64 v46, v41, v42, s[4:5]
	v_add3_u32 v30, v30, v29, s44
	v_or_b32_e32 v41, 0x400000, v29
	v_cmp_u_f32_e64 s[4:5], v29, v29
	v_mul_f32_e32 v29, s40, v43
	v_cndmask_b32_e64 v54, v30, v41, s[4:5]
	v_bfe_u32 v30, v29, 16, 1
	v_add3_u32 v30, v30, v29, s44
	v_or_b32_e32 v41, 0x400000, v29
	v_cmp_u_f32_e64 s[4:5], v29, v29
	s_waitcnt vmcnt(0)
	v_mul_f32_e32 v29, s40, v0
	buffer_load_dword v0, off, s[48:51], 0 offset:16 ; 4-byte Folded Reload
	v_cndmask_b32_e64 v56, v30, v41, s[4:5]
	v_bfe_u32 v30, v29, 16, 1
	v_add3_u32 v30, v30, v29, s44
	v_or_b32_e32 v41, 0x400000, v29
	v_cmp_u_f32_e64 s[4:5], v29, v29
	v_mul_f32_e32 v29, s40, v20
	v_cndmask_b32_e64 v63, v30, v41, s[4:5]
	v_bfe_u32 v30, v29, 16, 1
	v_add3_u32 v30, v30, v29, s44
	v_or_b32_e32 v41, 0x400000, v29
	v_cmp_u_f32_e64 s[4:5], v29, v29
	v_cndmask_b32_e64 v29, v30, v41, s[4:5]
	buffer_store_dword v4, off, s[48:51], 0 offset:60 ; 4-byte Folded Spill
	s_waitcnt vmcnt(1)
	v_mul_f32_e32 v30, s40, v0
	buffer_load_dword v0, off, s[48:51], 0 offset:12 ; 4-byte Folded Reload
	v_bfe_u32 v41, v30, 16, 1
	v_add3_u32 v41, v41, v30, s44
	v_or_b32_e32 v42, 0x400000, v30
	v_cmp_u_f32_e64 s[4:5], v30, v30
	v_cndmask_b32_e64 v26, v41, v42, s[4:5]
	s_waitcnt vmcnt(0)
	v_mul_f32_e32 v30, s40, v0
	buffer_load_dword v0, off, s[48:51], 0 offset:8 ; 4-byte Folded Reload
	v_bfe_u32 v41, v30, 16, 1
	v_add3_u32 v41, v41, v30, s44
	v_or_b32_e32 v42, 0x400000, v30
	v_cmp_u_f32_e64 s[4:5], v30, v30
	v_cndmask_b32_e64 v25, v41, v42, s[4:5]
	;; [unrolled: 8-line block ×4, first 2 shown]
	s_waitcnt vmcnt(0)
	v_mul_f32_e32 v30, s40, v0
	buffer_load_dword v0, off, s[48:51], 0 offset:52 ; 4-byte Folded Reload
	v_bfe_u32 v41, v30, 16, 1
	v_add3_u32 v41, v41, v30, s44
	v_or_b32_e32 v20, 0x400000, v30
	v_cmp_u_f32_e64 s[4:5], v30, v30
	v_mul_f32_e32 v30, s40, v28
	v_cndmask_b32_e64 v20, v41, v20, s[4:5]
	v_bfe_u32 v41, v30, 16, 1
	v_add3_u32 v41, v41, v30, s44
	v_or_b32_e32 v3, 0x400000, v30
	v_cmp_u_f32_e64 s[4:5], v30, v30
	v_cndmask_b32_e64 v3, v41, v3, s[4:5]
	v_and_b32_e32 v3, 0xffff0000, v3
	s_waitcnt vmcnt(0)
	v_mul_f32_e32 v4, s40, v0
	buffer_load_dword v0, off, s[48:51], 0 offset:48 ; 4-byte Folded Reload
	v_bfe_u32 v30, v4, 16, 1
	v_add3_u32 v30, v30, v4, s44
	v_or_b32_e32 v41, 0x400000, v4
	v_cmp_u_f32_e64 s[4:5], v4, v4
	v_cndmask_b32_e64 v4, v30, v41, s[4:5]
	v_mul_f32_e32 v30, s40, v44
	v_bfe_u32 v41, v30, 16, 1
	v_add3_u32 v41, v41, v30, s44
	v_or_b32_e32 v28, 0x400000, v30
	v_cmp_u_f32_e64 s[4:5], v30, v30
	v_mul_f32_e32 v30, s40, v35
	v_cndmask_b32_e64 v28, v41, v28, s[4:5]
	v_bfe_u32 v41, v30, 16, 1
	v_add3_u32 v41, v41, v30, s44
	v_or_b32_e32 v44, 0x400000, v30
	v_cmp_u_f32_e64 s[4:5], v30, v30
	v_cndmask_b32_e64 v41, v41, v44, s[4:5]
	s_waitcnt vmcnt(0)
	v_mul_f32_e32 v30, s40, v0
	buffer_load_dword v0, off, s[48:51], 0 offset:64 ; 4-byte Folded Reload
	v_bfe_u32 v44, v30, 16, 1
	v_add3_u32 v44, v44, v30, s44
	v_or_b32_e32 v35, 0x400000, v30
	v_cmp_u_f32_e64 s[4:5], v30, v30
	v_cndmask_b32_e64 v44, v44, v35, s[4:5]
	s_waitcnt vmcnt(0)
	v_mul_f32_e32 v30, s40, v0
	v_bfe_u32 v35, v30, 16, 1
	v_add3_u32 v35, v35, v30, s44
	v_or_b32_e32 v0, 0x400000, v30
	v_cmp_u_f32_e64 s[4:5], v30, v30
	v_cndmask_b32_e64 v30, v35, v0, s[4:5]
	v_mul_f32_e32 v0, s40, v37
	v_bfe_u32 v35, v0, 16, 1
	v_add3_u32 v35, v35, v0, s44
	v_or_b32_e32 v37, 0x400000, v0
	v_cmp_u_f32_e64 s[4:5], v0, v0
	v_cndmask_b32_e64 v35, v35, v37, s[4:5]
	buffer_load_dword v37, off, s[48:51], 0 offset:88 ; 4-byte Folded Reload
	v_and_b32_e32 v0, 0xffff0000, v44
	s_waitcnt vmcnt(0)
	v_mul_f32_e32 v37, v37, v3
	buffer_load_dword v3, off, s[48:51], 0 offset:72 ; 4-byte Folded Reload
	s_waitcnt vmcnt(0)
	v_fmac_f32_e32 v37, v3, v0
	v_and_b32_e32 v3, 0xffff0000, v20
	buffer_load_dword v20, off, s[48:51], 0 offset:92 ; 4-byte Folded Reload
	v_and_b32_e32 v0, 0xffff0000, v41
	s_waitcnt vmcnt(0)
	v_mul_f32_e32 v41, v20, v3
	buffer_load_dword v3, off, s[48:51], 0 offset:76 ; 4-byte Folded Reload
	s_waitcnt vmcnt(0)
	v_fmac_f32_e32 v41, v3, v0
	v_and_b32_e32 v0, 0xffff0000, v4
	buffer_load_dword v4, off, s[48:51], 0 offset:96 ; 4-byte Folded Reload
	v_and_b32_e32 v3, 0xffff0000, v42
	s_waitcnt vmcnt(0)
	v_mul_f32_e32 v42, v4, v3
	buffer_load_dword v3, off, s[48:51], 0 offset:80 ; 4-byte Folded Reload
	buffer_load_dword v4, off, s[48:51], 0 offset:100 ; 4-byte Folded Reload
	s_waitcnt vmcnt(1)
	v_fmac_f32_e32 v42, v3, v0
	v_and_b32_e32 v3, 0xffff0000, v43
	s_waitcnt vmcnt(0)
	v_mul_f32_e32 v43, v4, v3
	buffer_load_dword v3, off, s[48:51], 0 offset:84 ; 4-byte Folded Reload
	v_and_b32_e32 v0, 0xffff0000, v28
	s_waitcnt vmcnt(0)
	v_fmac_f32_e32 v43, v3, v0
	buffer_load_dword v3, off, s[48:51], 0 offset:104 ; 4-byte Folded Reload
	v_and_b32_e32 v0, 0xffff0000, v25
	s_waitcnt vmcnt(0)
	v_fmac_f32_e32 v37, v3, v0
	;; [unrolled: 4-line block ×30, first 2 shown]
	v_and_b32_e32 v0, 0xffff0000, v1
	buffer_load_dword v1, off, s[48:51], 0 offset:224 ; 4-byte Folded Reload
	s_waitcnt vmcnt(0)
	v_fmac_f32_e32 v41, v1, v0
	buffer_load_dword v1, off, s[48:51], 0 offset:228 ; 4-byte Folded Reload
	v_and_b32_e32 v0, 0xffff0000, v10
	s_waitcnt vmcnt(0)
	v_fmac_f32_e32 v42, v1, v0
	buffer_load_dword v1, off, s[48:51], 0 offset:232 ; 4-byte Folded Reload
	v_and_b32_e32 v0, 0xffff0000, v11
	;; [unrolled: 4-line block ×22, first 2 shown]
	s_waitcnt vmcnt(0)
	v_fmac_f32_e32 v43, v1, v0
	buffer_load_dword v0, off, s[48:51], 0 offset:60 ; 4-byte Folded Reload
	buffer_load_dword v1, off, s[48:51], 0 offset:316 ; 4-byte Folded Reload
	s_waitcnt vmcnt(1)
	v_and_b32_e32 v0, 0xffff0000, v0
	s_waitcnt vmcnt(0)
	v_fmac_f32_e32 v37, v1, v0
	buffer_load_dword v0, off, s[48:51], 0 offset:56 ; 4-byte Folded Reload
	buffer_load_dword v1, off, s[48:51], 0 offset:320 ; 4-byte Folded Reload
	s_waitcnt vmcnt(1)
	v_and_b32_e32 v0, 0xffff0000, v0
	s_waitcnt vmcnt(0)
	v_fmac_f32_e32 v41, v1, v0
	buffer_load_dword v1, off, s[48:51], 0 offset:324 ; 4-byte Folded Reload
	v_and_b32_e32 v0, 0xffff0000, v30
	s_waitcnt vmcnt(0)
	v_fmac_f32_e32 v42, v1, v0
	buffer_load_dword v1, off, s[48:51], 0 offset:328 ; 4-byte Folded Reload
	v_and_b32_e32 v0, 0xffff0000, v35
	s_waitcnt vmcnt(0)
	v_fmac_f32_e32 v43, v1, v0
	buffer_load_dword v1, off, s[48:51], 0 offset:340 ; 4-byte Folded Reload
	v_add_f32_e32 v0, v37, v41
	v_add_f32_e32 v0, v0, v42
	;; [unrolled: 1-line block ×3, first 2 shown]
	s_waitcnt vmcnt(0)
	ds_bpermute_b32 v1, v1, v0
	s_mov_b64 s[16:17], exec
	buffer_load_dword v7, off, s[48:51], 0 offset:44 ; 4-byte Folded Reload
	s_and_b64 s[4:5], s[16:17], vcc
	s_mov_b64 exec, s[4:5]
	s_cbranch_execz .LBB326_8
; %bb.394:                              ;   in Loop: Header=BB326_9 Depth=1
	buffer_load_dword v4, off, s[48:51], 0 offset:28 ; 4-byte Folded Reload
	buffer_load_dword v3, off, s[48:51], 0 offset:68 ; 4-byte Folded Reload
	s_waitcnt lgkmcnt(0)
	v_add_f32_e32 v0, v0, v1
	s_waitcnt vmcnt(1)
	v_add_u32_e32 v2, s38, v4
	v_cmp_gt_i32_e64 s[4:5], s30, v4
	buffer_load_dword v4, off, s[48:51], 0 offset:32 ; 4-byte Folded Reload
	v_cvt_f32_i32_e32 v2, v2
	s_waitcnt vmcnt(1)
	v_max_f32_e32 v1, v3, v3
	v_mul_f32_e32 v2, s33, v2
	v_cndmask_b32_e64 v2, 0, v2, s[2:3]
	v_fmac_f32_e32 v2, s31, v0
	v_cndmask_b32_e64 v0, 0, v2, s[4:5]
	s_waitcnt vmcnt(0)
	ds_write_b32 v4, v0
	v_max_f32_e32 v0, v1, v2
	v_cndmask_b32_e64 v3, v3, v0, s[4:5]
	buffer_store_dword v3, off, s[48:51], 0 offset:68 ; 4-byte Folded Spill
	s_branch .LBB326_8
.LBB326_395:
	s_or_b64 exec, exec, s[14:15]
.LBB326_396:
	s_or_b64 exec, exec, s[6:7]
	buffer_load_dword v7, off, s[48:51], 0 offset:348 ; 4-byte Folded Reload
	buffer_load_dword v8, off, s[48:51], 0 offset:352 ; 4-byte Folded Reload
	;; [unrolled: 1-line block ×3, first 2 shown]
	s_waitcnt vmcnt(2)
	v_xor_b32_e32 v0, 32, v7
	s_waitcnt vmcnt(1)
	v_cmp_lt_i32_e32 vcc, v0, v8
	v_cndmask_b32_e32 v0, v7, v0, vcc
	v_lshlrev_b32_e32 v0, 2, v0
	s_waitcnt vmcnt(0) lgkmcnt(0)
	ds_bpermute_b32 v1, v0, v2
	v_xor_b32_e32 v3, 16, v7
	v_max_f32_e32 v2, v2, v2
	v_cmp_lt_i32_e32 vcc, v3, v8
	v_xor_b32_e32 v4, 8, v7
	s_waitcnt lgkmcnt(0)
	v_max_f32_e32 v1, v1, v1
	v_max_f32_e32 v2, v2, v1
	v_cndmask_b32_e32 v1, v7, v3, vcc
	v_lshlrev_b32_e32 v1, 2, v1
	ds_bpermute_b32 v3, v1, v2
	v_cmp_lt_i32_e32 vcc, v4, v8
	v_xor_b32_e32 v5, 4, v7
	v_xor_b32_e32 v6, 2, v7
	s_waitcnt lgkmcnt(0)
	v_max_f32_e32 v3, v3, v3
	v_max_f32_e32 v3, v2, v3
	v_cndmask_b32_e32 v2, v7, v4, vcc
	v_lshlrev_b32_e32 v2, 2, v2
	ds_bpermute_b32 v4, v2, v3
	v_cmp_lt_i32_e32 vcc, v5, v8
	s_waitcnt lgkmcnt(0)
	v_max_f32_e32 v4, v4, v4
	v_max_f32_e32 v4, v3, v4
	v_cndmask_b32_e32 v3, v7, v5, vcc
	v_lshlrev_b32_e32 v3, 2, v3
	ds_bpermute_b32 v5, v3, v4
	v_cmp_lt_i32_e32 vcc, v6, v8
	s_waitcnt lgkmcnt(0)
	v_max_f32_e32 v5, v5, v5
	v_max_f32_e32 v5, v4, v5
	v_cndmask_b32_e32 v4, v7, v6, vcc
	v_lshlrev_b32_e32 v11, 2, v4
	buffer_load_dword v4, off, s[48:51], 0 offset:344 ; 4-byte Folded Reload
	ds_bpermute_b32 v6, v11, v5
	s_waitcnt vmcnt(0)
	v_and_b32_e32 v15, 63, v4
	buffer_load_dword v4, off, s[48:51], 0  ; 4-byte Folded Reload
	v_cmp_eq_u32_e32 vcc, 0, v15
	s_waitcnt vmcnt(0)
	v_lshlrev_b32_e32 v4, 2, v4
	s_and_saveexec_b64 s[2:3], vcc
	s_cbranch_execz .LBB326_398
; %bb.397:
	s_waitcnt lgkmcnt(0)
	v_max_f32_e32 v6, v6, v6
	v_max_f32_e32 v5, v5, v5
	;; [unrolled: 1-line block ×3, first 2 shown]
	ds_write_b32 v4, v5 offset:256
.LBB326_398:
	s_or_b64 exec, exec, s[2:3]
	v_cmp_gt_u32_e64 s[2:3], 2, v15
	s_waitcnt lgkmcnt(0)
	v_mov_b32_e32 v6, 0xff7fffff
	v_lshlrev_b32_e32 v5, 2, v15
	s_barrier
	s_and_saveexec_b64 s[4:5], s[2:3]
; %bb.399:
	ds_read_b32 v6, v5 offset:256
; %bb.400:
	s_or_b64 exec, exec, s[4:5]
	buffer_load_dword v8, off, s[48:51], 0 offset:348 ; 4-byte Folded Reload
	buffer_load_dword v9, off, s[48:51], 0 offset:352 ; 4-byte Folded Reload
	s_waitcnt vmcnt(1)
	v_xor_b32_e32 v7, 1, v8
	s_waitcnt vmcnt(0)
	v_cmp_lt_i32_e64 s[4:5], v7, v9
	v_cndmask_b32_e64 v7, v8, v7, s[4:5]
	v_lshlrev_b32_e32 v14, 2, v7
	s_waitcnt lgkmcnt(0)
	ds_bpermute_b32 v7, v14, v6
	v_max_f32_e32 v6, v6, v6
	s_lshl_b32 s4, s21, 5
	s_min_i32 s31, s4, s30
	s_waitcnt lgkmcnt(0)
	v_max_f32_e32 v7, v7, v7
	v_max_f32_e32 v6, v6, v7
	buffer_load_dword v7, off, s[48:51], 0 offset:364 ; 4-byte Folded Reload
	s_waitcnt vmcnt(0)
	v_lshlrev_b32_e32 v7, 2, v7
	ds_bpermute_b32 v7, v7, v6
	buffer_load_dword v6, off, s[48:51], 0 offset:344 ; 4-byte Folded Reload
	s_waitcnt vmcnt(0)
	v_cmp_gt_i32_e64 s[4:5], s31, v6
	v_mov_b32_e32 v6, 0
	s_and_saveexec_b64 s[14:15], s[4:5]
	s_cbranch_execz .LBB326_404
; %bb.401:
	buffer_load_dword v9, off, s[48:51], 0 offset:344 ; 4-byte Folded Reload
	v_mov_b32_e32 v6, 0x110
	s_mov_b64 s[16:17], 0
	s_waitcnt vmcnt(0)
	v_lshl_add_u32 v8, v9, 2, v6
	v_mov_b32_e32 v6, 0
.LBB326_402:                            ; =>This Inner Loop Header: Depth=1
	ds_read_b32 v10, v8
	v_add_u32_e32 v9, 0x80, v9
	v_cmp_le_i32_e64 s[6:7], s31, v9
	s_or_b64 s[16:17], s[6:7], s[16:17]
	s_waitcnt lgkmcnt(0)
	v_sub_f32_e32 v10, v10, v7
	v_mul_f32_e32 v10, 0x3fb8aa3b, v10
	v_exp_f32_e32 v10, v10
	ds_write_b32 v8, v10
	v_add_f32_e32 v6, v6, v10
	v_add_u32_e32 v8, 0x200, v8
	s_andn2_b64 exec, exec, s[16:17]
	s_cbranch_execnz .LBB326_402
; %bb.403:
	s_or_b64 exec, exec, s[16:17]
.LBB326_404:
	s_or_b64 exec, exec, s[14:15]
	ds_bpermute_b32 v0, v0, v6
	s_waitcnt lgkmcnt(0)
	v_add_f32_e32 v0, v6, v0
	ds_bpermute_b32 v1, v1, v0
	s_waitcnt lgkmcnt(0)
	v_add_f32_e32 v0, v0, v1
	;; [unrolled: 3-line block ×6, first 2 shown]
	s_and_saveexec_b64 s[6:7], vcc
; %bb.405:
	ds_write_b32 v4, v0 offset:264
; %bb.406:
	s_or_b64 exec, exec, s[6:7]
	s_waitcnt lgkmcnt(0)
	s_barrier
	s_and_saveexec_b64 s[6:7], s[2:3]
; %bb.407:
	ds_read_b32 v0, v5 offset:264
; %bb.408:
	s_or_b64 exec, exec, s[6:7]
	buffer_load_dword v2, off, s[48:51], 0 offset:348 ; 4-byte Folded Reload
	s_waitcnt lgkmcnt(0)
	ds_bpermute_b32 v1, v14, v0
	s_waitcnt lgkmcnt(0)
	v_add_f32_e32 v0, v0, v1
	s_waitcnt vmcnt(0)
	v_lshlrev_b32_e32 v2, 2, v2
	v_and_b32_e32 v1, 0xffffff00, v2
	ds_bpermute_b32 v0, v1, v0
	s_and_saveexec_b64 s[2:3], s[4:5]
	s_cbranch_execz .LBB326_411
; %bb.409:
	s_waitcnt lgkmcnt(0)
	v_add_f32_e32 v1, 0x358637bd, v0
	v_div_scale_f32 v0, s[4:5], v1, v1, 1.0
	v_div_scale_f32 v2, vcc, 1.0, v1, 1.0
	s_mov_b64 s[4:5], 0
	v_rcp_f32_e32 v3, v0
	v_fma_f32 v4, -v0, v3, 1.0
	v_fmac_f32_e32 v3, v4, v3
	v_mul_f32_e32 v4, v2, v3
	v_fma_f32 v5, -v0, v4, v2
	v_fmac_f32_e32 v4, v5, v3
	v_fma_f32 v0, -v0, v4, v2
	v_div_fmas_f32 v2, v0, v3, v4
	buffer_load_dword v3, off, s[48:51], 0 offset:344 ; 4-byte Folded Reload
	v_mov_b32_e32 v0, 0x110
	v_div_fixup_f32 v1, v2, v1, 1.0
	s_waitcnt vmcnt(0)
	v_lshl_add_u32 v0, v3, 2, v0
	v_mov_b32_e32 v2, v3
.LBB326_410:                            ; =>This Inner Loop Header: Depth=1
	ds_read_b32 v3, v0
	v_add_u32_e32 v2, 0x80, v2
	v_cmp_le_i32_e32 vcc, s31, v2
	s_or_b64 s[4:5], vcc, s[4:5]
	s_waitcnt lgkmcnt(0)
	v_mul_f32_e32 v3, v1, v3
	ds_write_b32 v0, v3
	v_add_u32_e32 v0, 0x200, v0
	s_andn2_b64 exec, exec, s[4:5]
	s_cbranch_execnz .LBB326_410
.LBB326_411:
	s_or_b64 exec, exec, s[2:3]
	s_waitcnt lgkmcnt(0)
	s_barrier
	buffer_load_dword v0, off, s[48:51], 0 offset:344 ; 4-byte Folded Reload
	v_mov_b32_e32 v31, 0
	v_mov_b32_e32 v32, 0
	;; [unrolled: 1-line block ×8, first 2 shown]
	s_waitcnt vmcnt(0)
	v_and_b32_e32 v16, 3, v0
	s_and_saveexec_b64 s[2:3], s[0:1]
	s_cbranch_execz .LBB326_815
; %bb.412:
	buffer_store_dword v14, off, s[48:51], 0 offset:136 ; 4-byte Folded Spill
	buffer_store_dword v11, off, s[48:51], 0 offset:132 ; 4-byte Folded Spill
	;; [unrolled: 1-line block ×3, first 2 shown]
	buffer_load_dword v1, off, s[48:51], 0 offset:356 ; 4-byte Folded Reload
	s_ashr_i32 s0, s12, 31
	s_add_u32 s1, s28, s12
	s_addc_u32 s0, s29, s0
	v_mov_b32_e32 v2, s0
	s_load_dword s18, s[18:19], 0x0
	s_add_i32 s19, s21, -1
	s_mov_b32 s4, -1
	s_mov_b32 s31, s13
	s_mov_b32 s5, 0xffffff
	v_mov_b32_e32 v10, 0
	s_mov_b64 s[6:7], 0
	v_mov_b32_e32 v25, 0
	v_mov_b32_e32 v26, 0
	;; [unrolled: 1-line block ×8, first 2 shown]
	s_waitcnt vmcnt(0)
	v_and_b32_e32 v0, 24, v1
	v_and_b32_e32 v1, 0x1f8, v1
	v_add_co_u32_e32 v1, vcc, s1, v1
	v_addc_co_u32_e32 v2, vcc, 0, v2, vcc
	buffer_store_dword v1, off, s[48:51], 0 offset:120 ; 4-byte Folded Spill
	s_nop 0
	buffer_store_dword v2, off, s[48:51], 0 offset:124 ; 4-byte Folded Spill
	buffer_load_dword v2, off, s[48:51], 0  ; 4-byte Folded Reload
	s_lshl_b64 s[0:1], s[26:27], 2
	s_add_u32 s0, s24, s0
	s_addc_u32 s1, s25, s1
	s_movk_i32 s24, 0x80
	s_movk_i32 s25, 0x7f
	;; [unrolled: 1-line block ×3, first 2 shown]
	buffer_store_dword v16, off, s[48:51], 0 offset:140 ; 4-byte Folded Spill
	s_waitcnt vmcnt(1)
	v_lshlrev_b32_e32 v1, 5, v2
	v_or3_b32 v33, v1, v0, 7
	v_lshlrev_b32_e32 v0, 5, v16
	v_lshl_or_b32 v0, v2, 7, v0
	v_add_u32_e32 v34, 0x110, v0
	buffer_load_dword v0, off, s[48:51], 0 offset:360 ; 4-byte Folded Reload
	v_mov_b32_e32 v1, s1
	s_waitcnt vmcnt(0)
	v_and_b32_e32 v0, 60, v0
	v_add_co_u32_e32 v13, vcc, s0, v0
	v_addc_co_u32_e32 v14, vcc, 0, v1, vcc
	s_branch .LBB326_414
.LBB326_413:                            ;   in Loop: Header=BB326_414 Depth=1
	s_or_b64 exec, exec, s[0:1]
	v_bfe_u32 v11, v5, 16, 1
	v_add3_u32 v11, v11, v5, s26
	v_or_b32_e32 v12, 0x400000, v5
	v_cmp_u_f32_e32 vcc, v5, v5
	v_bfe_u32 v5, v6, 16, 1
	v_cndmask_b32_e32 v24, v11, v12, vcc
	v_add3_u32 v5, v5, v6, s26
	v_or_b32_e32 v11, 0x400000, v6
	v_cmp_u_f32_e32 vcc, v6, v6
	v_cndmask_b32_e32 v63, v5, v11, vcc
	v_bfe_u32 v5, v7, 16, 1
	v_add3_u32 v5, v5, v7, s26
	v_or_b32_e32 v6, 0x400000, v7
	v_cmp_u_f32_e32 vcc, v7, v7
	v_cndmask_b32_e32 v5, v5, v6, vcc
	v_bfe_u32 v6, v8, 16, 1
	;; [unrolled: 5-line block ×3, first 2 shown]
	v_add3_u32 v7, v7, v1, s26
	v_or_b32_e32 v8, 0x400000, v1
	v_cmp_u_f32_e32 vcc, v1, v1
	v_bfe_u32 v1, v2, 16, 1
	v_cndmask_b32_e32 v7, v7, v8, vcc
	v_add3_u32 v1, v1, v2, s26
	v_or_b32_e32 v8, 0x400000, v2
	v_cmp_u_f32_e32 vcc, v2, v2
	v_cndmask_b32_e32 v11, v1, v8, vcc
	v_bfe_u32 v1, v3, 16, 1
	v_add3_u32 v1, v1, v3, s26
	v_or_b32_e32 v2, 0x400000, v3
	v_cmp_u_f32_e32 vcc, v3, v3
	v_cndmask_b32_e32 v8, v1, v2, vcc
	v_bfe_u32 v1, v4, 16, 1
	v_add3_u32 v1, v1, v4, s26
	v_or_b32_e32 v2, 0x400000, v4
	v_cmp_u_f32_e32 vcc, v4, v4
	v_cndmask_b32_e32 v12, v1, v2, vcc
	v_and_b32_e32 v1, 0xffff0000, v63
	v_lshlrev_b32_e32 v2, 16, v60
	v_mul_f32_e32 v2, v1, v2
	v_bfe_u32 v3, v2, 16, 1
	v_add3_u32 v3, v3, v2, s26
	v_or_b32_e32 v4, 0x400000, v2
	v_cmp_u_f32_e32 vcc, v2, v2
	v_cndmask_b32_e32 v21, v3, v4, vcc
	v_and_b32_e32 v4, 0xffff0000, v24
	v_lshlrev_b32_e32 v2, 16, v59
	v_mul_f32_e32 v2, v4, v2
	;; [unrolled: 8-line block ×5, first 2 shown]
	v_bfe_u32 v11, v5, 16, 1
	v_add3_u32 v11, v11, v5, s26
	v_or_b32_e32 v19, 0x400000, v5
	v_cmp_u_f32_e32 vcc, v5, v5
	v_and_b32_e32 v7, 0xffff0000, v7
	v_lshlrev_b32_e32 v5, 16, v18
	v_mul_f32_e32 v5, v7, v5
	v_bfe_u32 v18, v5, 16, 1
	v_cndmask_b32_e32 v11, v11, v19, vcc
	v_add3_u32 v18, v18, v5, s26
	v_or_b32_e32 v19, 0x400000, v5
	v_cmp_u_f32_e32 vcc, v5, v5
	v_and_b32_e32 v5, 0xffff0000, v12
	v_lshlrev_b32_e32 v12, 16, v50
	v_mul_f32_e32 v12, v5, v12
	v_cndmask_b32_e32 v18, v18, v19, vcc
	v_bfe_u32 v19, v12, 16, 1
	v_add3_u32 v19, v19, v12, s26
	v_or_b32_e32 v35, 0x400000, v12
	v_cmp_u_f32_e32 vcc, v12, v12
	v_cndmask_b32_e32 v12, v19, v35, vcc
	v_and_b32_e32 v8, 0xffff0000, v8
	v_lshlrev_b32_e32 v19, 16, v48
	v_mul_f32_e32 v19, v8, v19
	v_bfe_u32 v35, v19, 16, 1
	v_and_b32_e32 v22, 0xffff0000, v22
	v_and_b32_e32 v21, 0xffff0000, v21
	v_add3_u32 v35, v35, v19, s26
	v_or_b32_e32 v48, 0x400000, v19
	v_cmp_u_f32_e32 vcc, v19, v19
	v_add_f32_e32 v21, v22, v21
	v_and_b32_e32 v22, 0xffff0000, v24
	v_and_b32_e32 v23, 0xffff0000, v23
	v_cndmask_b32_e32 v19, v35, v48, vcc
	v_add_f32_e32 v22, v22, v23
	v_and_b32_e32 v18, 0xffff0000, v18
	v_and_b32_e32 v11, 0xffff0000, v11
	v_add_f32_e32 v21, v22, v21
	v_add_f32_e32 v11, v18, v11
	v_and_b32_e32 v18, 0xffff0000, v19
	v_and_b32_e32 v12, 0xffff0000, v12
	v_add_f32_e32 v11, v11, v21
	v_add_f32_e32 v12, v18, v12
	;; [unrolled: 1-line block ×4, first 2 shown]
	v_lshlrev_b32_e32 v11, 16, v47
	v_mul_f32_e32 v11, v1, v11
	v_bfe_u32 v12, v11, 16, 1
	v_add3_u32 v12, v12, v11, s26
	v_or_b32_e32 v18, 0x400000, v11
	v_cmp_u_f32_e32 vcc, v11, v11
	v_cndmask_b32_e32 v11, v12, v18, vcc
	v_lshlrev_b32_e32 v12, 16, v46
	v_mul_f32_e32 v12, v4, v12
	v_bfe_u32 v18, v12, 16, 1
	v_add3_u32 v18, v18, v12, s26
	v_or_b32_e32 v19, 0x400000, v12
	v_cmp_u_f32_e32 vcc, v12, v12
	v_cndmask_b32_e32 v12, v18, v19, vcc
	v_lshlrev_b32_e32 v18, 16, v20
	v_mul_f32_e32 v18, v2, v18
	v_bfe_u32 v19, v18, 16, 1
	v_lshlrev_b32_e32 v0, 16, v0
	v_add3_u32 v19, v19, v18, s26
	v_or_b32_e32 v20, 0x400000, v18
	v_cmp_u_f32_e32 vcc, v18, v18
	v_mul_f32_e32 v0, v6, v0
	v_cndmask_b32_e32 v18, v19, v20, vcc
	v_bfe_u32 v19, v0, 16, 1
	v_add3_u32 v19, v19, v0, s26
	v_or_b32_e32 v20, 0x400000, v0
	v_cmp_u_f32_e32 vcc, v0, v0
	v_cndmask_b32_e32 v0, v19, v20, vcc
	v_lshlrev_b32_e32 v19, 16, v42
	v_mul_f32_e32 v19, v3, v19
	v_bfe_u32 v20, v19, 16, 1
	v_add3_u32 v20, v20, v19, s26
	v_or_b32_e32 v21, 0x400000, v19
	v_cmp_u_f32_e32 vcc, v19, v19
	v_cndmask_b32_e32 v19, v20, v21, vcc
	v_lshlrev_b32_e32 v20, 16, v41
	v_mul_f32_e32 v20, v7, v20
	;; [unrolled: 7-line block ×3, first 2 shown]
	v_bfe_u32 v22, v21, 16, 1
	v_add3_u32 v22, v22, v21, s26
	v_or_b32_e32 v23, 0x400000, v21
	v_cmp_u_f32_e32 vcc, v21, v21
	v_cndmask_b32_e32 v21, v22, v23, vcc
	v_lshlrev_b32_e32 v22, 16, v43
	v_and_b32_e32 v12, 0xffff0000, v12
	v_and_b32_e32 v11, 0xffff0000, v11
	v_mul_f32_e32 v22, v8, v22
	v_add_f32_e32 v11, v12, v11
	v_and_b32_e32 v0, 0xffff0000, v0
	v_and_b32_e32 v12, 0xffff0000, v18
	v_bfe_u32 v23, v22, 16, 1
	v_add_f32_e32 v0, v0, v12
	v_add3_u32 v23, v23, v22, s26
	v_or_b32_e32 v24, 0x400000, v22
	v_cmp_u_f32_e32 vcc, v22, v22
	v_add_f32_e32 v0, v0, v11
	v_and_b32_e32 v11, 0xffff0000, v20
	v_and_b32_e32 v12, 0xffff0000, v19
	v_cndmask_b32_e32 v22, v23, v24, vcc
	v_add_f32_e32 v11, v11, v12
	v_add_f32_e32 v0, v11, v0
	v_and_b32_e32 v11, 0xffff0000, v22
	v_and_b32_e32 v12, 0xffff0000, v21
	v_add_f32_e32 v11, v11, v12
	v_add_f32_e32 v0, v11, v0
	;; [unrolled: 1-line block ×3, first 2 shown]
	v_lshlrev_b32_e32 v0, 16, v40
	v_mul_f32_e32 v0, v1, v0
	v_bfe_u32 v11, v0, 16, 1
	v_add3_u32 v11, v11, v0, s26
	v_or_b32_e32 v12, 0x400000, v0
	v_cmp_u_f32_e32 vcc, v0, v0
	v_cndmask_b32_e32 v0, v11, v12, vcc
	v_lshlrev_b32_e32 v11, 16, v39
	v_mul_f32_e32 v11, v4, v11
	v_bfe_u32 v12, v11, 16, 1
	v_add3_u32 v12, v12, v11, s26
	v_or_b32_e32 v18, 0x400000, v11
	v_cmp_u_f32_e32 vcc, v11, v11
	v_cndmask_b32_e32 v11, v12, v18, vcc
	;; [unrolled: 7-line block ×7, first 2 shown]
	v_lshlrev_b32_e32 v22, 16, v57
	v_and_b32_e32 v11, 0xffff0000, v11
	v_and_b32_e32 v0, 0xffff0000, v0
	v_mul_f32_e32 v22, v8, v22
	v_add_f32_e32 v0, v11, v0
	v_and_b32_e32 v11, 0xffff0000, v18
	v_and_b32_e32 v12, 0xffff0000, v12
	v_bfe_u32 v23, v22, 16, 1
	v_add_f32_e32 v11, v11, v12
	v_add3_u32 v23, v23, v22, s26
	v_or_b32_e32 v24, 0x400000, v22
	v_cmp_u_f32_e32 vcc, v22, v22
	v_add_f32_e32 v0, v11, v0
	v_and_b32_e32 v11, 0xffff0000, v20
	v_and_b32_e32 v12, 0xffff0000, v19
	v_cndmask_b32_e32 v22, v23, v24, vcc
	v_add_f32_e32 v11, v11, v12
	v_add_f32_e32 v0, v11, v0
	v_and_b32_e32 v11, 0xffff0000, v22
	v_and_b32_e32 v12, 0xffff0000, v21
	v_add_f32_e32 v11, v11, v12
	v_add_f32_e32 v0, v11, v0
	;; [unrolled: 1-line block ×3, first 2 shown]
	v_lshlrev_b32_e32 v0, 16, v54
	v_mul_f32_e32 v0, v1, v0
	v_bfe_u32 v11, v0, 16, 1
	v_add3_u32 v11, v11, v0, s26
	v_or_b32_e32 v12, 0x400000, v0
	v_cmp_u_f32_e32 vcc, v0, v0
	v_cndmask_b32_e32 v0, v11, v12, vcc
	v_lshlrev_b32_e32 v11, 16, v53
	v_mul_f32_e32 v11, v4, v11
	v_bfe_u32 v12, v11, 16, 1
	v_add3_u32 v12, v12, v11, s26
	v_or_b32_e32 v18, 0x400000, v11
	v_cmp_u_f32_e32 vcc, v11, v11
	v_cndmask_b32_e32 v11, v12, v18, vcc
	;; [unrolled: 7-line block ×3, first 2 shown]
	buffer_load_dword v18, off, s[48:51], 0 offset:116 ; 4-byte Folded Reload
	v_and_b32_e32 v11, 0xffff0000, v11
	v_and_b32_e32 v0, 0xffff0000, v0
	v_add_f32_e32 v0, v11, v0
	v_and_b32_e32 v12, 0xffff0000, v12
	v_add_u32_e32 v33, 64, v33
	v_add_u32_e32 v34, 0x100, v34
	s_waitcnt vmcnt(0)
	v_lshlrev_b32_e32 v18, 16, v18
	v_mul_f32_e32 v18, v6, v18
	v_bfe_u32 v19, v18, 16, 1
	v_add3_u32 v19, v19, v18, s26
	v_or_b32_e32 v20, 0x400000, v18
	v_cmp_u_f32_e32 vcc, v18, v18
	v_cndmask_b32_e32 v18, v19, v20, vcc
	buffer_load_dword v19, off, s[48:51], 0 offset:108 ; 4-byte Folded Reload
	v_and_b32_e32 v11, 0xffff0000, v18
	v_add_f32_e32 v11, v11, v12
	v_add_f32_e32 v0, v11, v0
	s_waitcnt vmcnt(0)
	v_lshlrev_b32_e32 v19, 16, v19
	v_mul_f32_e32 v19, v3, v19
	v_bfe_u32 v20, v19, 16, 1
	v_add3_u32 v20, v20, v19, s26
	v_or_b32_e32 v21, 0x400000, v19
	v_cmp_u_f32_e32 vcc, v19, v19
	v_cndmask_b32_e32 v19, v20, v21, vcc
	buffer_load_dword v20, off, s[48:51], 0 offset:104 ; 4-byte Folded Reload
	v_and_b32_e32 v12, 0xffff0000, v19
	s_waitcnt vmcnt(0)
	v_lshlrev_b32_e32 v20, 16, v20
	v_mul_f32_e32 v20, v7, v20
	v_bfe_u32 v21, v20, 16, 1
	v_add3_u32 v21, v21, v20, s26
	v_or_b32_e32 v22, 0x400000, v20
	v_cmp_u_f32_e32 vcc, v20, v20
	v_cndmask_b32_e32 v20, v21, v22, vcc
	v_lshlrev_b32_e32 v21, 16, v52
	v_mul_f32_e32 v21, v5, v21
	v_bfe_u32 v22, v21, 16, 1
	v_add3_u32 v22, v22, v21, s26
	v_or_b32_e32 v23, 0x400000, v21
	v_cmp_u_f32_e32 vcc, v21, v21
	v_cndmask_b32_e32 v21, v22, v23, vcc
	buffer_load_dword v22, off, s[48:51], 0 offset:112 ; 4-byte Folded Reload
	v_and_b32_e32 v11, 0xffff0000, v20
	v_add_f32_e32 v11, v11, v12
	v_add_f32_e32 v0, v11, v0
	v_and_b32_e32 v12, 0xffff0000, v21
	s_waitcnt vmcnt(0)
	v_lshlrev_b32_e32 v22, 16, v22
	v_mul_f32_e32 v22, v8, v22
	v_bfe_u32 v23, v22, 16, 1
	v_add3_u32 v23, v23, v22, s26
	v_or_b32_e32 v24, 0x400000, v22
	v_cmp_u_f32_e32 vcc, v22, v22
	v_cndmask_b32_e32 v22, v23, v24, vcc
	v_and_b32_e32 v11, 0xffff0000, v22
	v_add_f32_e32 v11, v11, v12
	v_add_f32_e32 v0, v11, v0
	;; [unrolled: 1-line block ×3, first 2 shown]
	buffer_load_dword v0, off, s[48:51], 0 offset:100 ; 4-byte Folded Reload
	s_waitcnt vmcnt(0)
	v_lshlrev_b32_e32 v0, 16, v0
	v_mul_f32_e32 v0, v1, v0
	v_bfe_u32 v11, v0, 16, 1
	v_add3_u32 v11, v11, v0, s26
	v_or_b32_e32 v12, 0x400000, v0
	v_cmp_u_f32_e32 vcc, v0, v0
	v_cndmask_b32_e32 v0, v11, v12, vcc
	buffer_load_dword v11, off, s[48:51], 0 offset:96 ; 4-byte Folded Reload
	v_and_b32_e32 v0, 0xffff0000, v0
	s_waitcnt vmcnt(0)
	v_lshlrev_b32_e32 v11, 16, v11
	v_mul_f32_e32 v11, v4, v11
	v_bfe_u32 v12, v11, 16, 1
	v_add3_u32 v12, v12, v11, s26
	v_or_b32_e32 v18, 0x400000, v11
	v_cmp_u_f32_e32 vcc, v11, v11
	v_cndmask_b32_e32 v11, v12, v18, vcc
	buffer_load_dword v12, off, s[48:51], 0 offset:88 ; 4-byte Folded Reload
	v_and_b32_e32 v11, 0xffff0000, v11
	v_add_f32_e32 v0, v11, v0
	s_waitcnt vmcnt(0)
	v_lshlrev_b32_e32 v12, 16, v12
	v_mul_f32_e32 v12, v2, v12
	v_bfe_u32 v18, v12, 16, 1
	v_add3_u32 v18, v18, v12, s26
	v_or_b32_e32 v19, 0x400000, v12
	v_cmp_u_f32_e32 vcc, v12, v12
	v_cndmask_b32_e32 v12, v18, v19, vcc
	buffer_load_dword v18, off, s[48:51], 0 offset:84 ; 4-byte Folded Reload
	v_and_b32_e32 v12, 0xffff0000, v12
	s_waitcnt vmcnt(0)
	v_lshlrev_b32_e32 v18, 16, v18
	v_mul_f32_e32 v18, v6, v18
	v_bfe_u32 v19, v18, 16, 1
	v_add3_u32 v19, v19, v18, s26
	v_or_b32_e32 v20, 0x400000, v18
	v_cmp_u_f32_e32 vcc, v18, v18
	v_cndmask_b32_e32 v18, v19, v20, vcc
	buffer_load_dword v19, off, s[48:51], 0 offset:76 ; 4-byte Folded Reload
	v_and_b32_e32 v11, 0xffff0000, v18
	v_add_f32_e32 v11, v11, v12
	v_add_f32_e32 v0, v11, v0
	s_waitcnt vmcnt(0)
	v_lshlrev_b32_e32 v19, 16, v19
	v_mul_f32_e32 v19, v3, v19
	v_bfe_u32 v20, v19, 16, 1
	v_add3_u32 v20, v20, v19, s26
	v_or_b32_e32 v21, 0x400000, v19
	v_cmp_u_f32_e32 vcc, v19, v19
	v_cndmask_b32_e32 v19, v20, v21, vcc
	buffer_load_dword v20, off, s[48:51], 0 offset:72 ; 4-byte Folded Reload
	v_and_b32_e32 v12, 0xffff0000, v19
	s_waitcnt vmcnt(0)
	v_lshlrev_b32_e32 v20, 16, v20
	v_mul_f32_e32 v20, v7, v20
	v_bfe_u32 v21, v20, 16, 1
	v_add3_u32 v21, v21, v20, s26
	v_or_b32_e32 v22, 0x400000, v20
	v_cmp_u_f32_e32 vcc, v20, v20
	v_cndmask_b32_e32 v20, v21, v22, vcc
	buffer_load_dword v21, off, s[48:51], 0 offset:92 ; 4-byte Folded Reload
	v_and_b32_e32 v11, 0xffff0000, v20
	v_add_f32_e32 v11, v11, v12
	v_add_f32_e32 v0, v11, v0
	s_waitcnt vmcnt(0)
	v_lshlrev_b32_e32 v21, 16, v21
	v_mul_f32_e32 v21, v5, v21
	v_bfe_u32 v22, v21, 16, 1
	v_add3_u32 v22, v22, v21, s26
	v_or_b32_e32 v23, 0x400000, v21
	v_cmp_u_f32_e32 vcc, v21, v21
	v_cndmask_b32_e32 v21, v22, v23, vcc
	buffer_load_dword v22, off, s[48:51], 0 offset:80 ; 4-byte Folded Reload
	v_and_b32_e32 v12, 0xffff0000, v21
	s_waitcnt vmcnt(0)
	v_lshlrev_b32_e32 v22, 16, v22
	v_mul_f32_e32 v22, v8, v22
	v_bfe_u32 v23, v22, 16, 1
	v_add3_u32 v23, v23, v22, s26
	v_or_b32_e32 v24, 0x400000, v22
	v_cmp_u_f32_e32 vcc, v22, v22
	v_cndmask_b32_e32 v22, v23, v24, vcc
	v_and_b32_e32 v11, 0xffff0000, v22
	v_add_f32_e32 v11, v11, v12
	v_add_f32_e32 v0, v11, v0
	;; [unrolled: 1-line block ×3, first 2 shown]
	buffer_load_dword v0, off, s[48:51], 0 offset:64 ; 4-byte Folded Reload
	s_waitcnt vmcnt(0)
	v_lshlrev_b32_e32 v0, 16, v0
	v_mul_f32_e32 v0, v1, v0
	v_bfe_u32 v11, v0, 16, 1
	v_add3_u32 v11, v11, v0, s26
	v_or_b32_e32 v12, 0x400000, v0
	v_cmp_u_f32_e32 vcc, v0, v0
	v_cndmask_b32_e32 v0, v11, v12, vcc
	buffer_load_dword v11, off, s[48:51], 0 offset:68 ; 4-byte Folded Reload
	v_and_b32_e32 v0, 0xffff0000, v0
	s_waitcnt vmcnt(0)
	v_lshlrev_b32_e32 v11, 16, v11
	v_mul_f32_e32 v11, v4, v11
	v_bfe_u32 v12, v11, 16, 1
	v_add3_u32 v12, v12, v11, s26
	v_or_b32_e32 v18, 0x400000, v11
	v_cmp_u_f32_e32 vcc, v11, v11
	v_cndmask_b32_e32 v11, v12, v18, vcc
	buffer_load_dword v12, off, s[48:51], 0 offset:52 ; 4-byte Folded Reload
	v_and_b32_e32 v11, 0xffff0000, v11
	v_add_f32_e32 v0, v11, v0
	s_waitcnt vmcnt(0)
	v_lshlrev_b32_e32 v12, 16, v12
	v_mul_f32_e32 v12, v2, v12
	v_bfe_u32 v18, v12, 16, 1
	v_add3_u32 v18, v18, v12, s26
	v_or_b32_e32 v19, 0x400000, v12
	v_cmp_u_f32_e32 vcc, v12, v12
	v_cndmask_b32_e32 v12, v18, v19, vcc
	buffer_load_dword v18, off, s[48:51], 0 offset:56 ; 4-byte Folded Reload
	v_and_b32_e32 v12, 0xffff0000, v12
	s_waitcnt vmcnt(0)
	v_lshlrev_b32_e32 v18, 16, v18
	v_mul_f32_e32 v18, v6, v18
	v_bfe_u32 v19, v18, 16, 1
	v_add3_u32 v19, v19, v18, s26
	v_or_b32_e32 v20, 0x400000, v18
	v_cmp_u_f32_e32 vcc, v18, v18
	v_cndmask_b32_e32 v18, v19, v20, vcc
	buffer_load_dword v19, off, s[48:51], 0 offset:36 ; 4-byte Folded Reload
	v_and_b32_e32 v11, 0xffff0000, v18
	v_add_f32_e32 v11, v11, v12
	v_add_f32_e32 v0, v11, v0
	s_waitcnt vmcnt(0)
	v_lshlrev_b32_e32 v19, 16, v19
	v_mul_f32_e32 v19, v3, v19
	v_bfe_u32 v20, v19, 16, 1
	v_add3_u32 v20, v20, v19, s26
	v_or_b32_e32 v21, 0x400000, v19
	v_cmp_u_f32_e32 vcc, v19, v19
	v_cndmask_b32_e32 v19, v20, v21, vcc
	buffer_load_dword v20, off, s[48:51], 0 offset:44 ; 4-byte Folded Reload
	v_and_b32_e32 v12, 0xffff0000, v19
	s_waitcnt vmcnt(0)
	v_lshlrev_b32_e32 v20, 16, v20
	v_mul_f32_e32 v20, v7, v20
	v_bfe_u32 v21, v20, 16, 1
	v_add3_u32 v21, v21, v20, s26
	v_or_b32_e32 v22, 0x400000, v20
	v_cmp_u_f32_e32 vcc, v20, v20
	v_cndmask_b32_e32 v20, v21, v22, vcc
	buffer_load_dword v21, off, s[48:51], 0 offset:60 ; 4-byte Folded Reload
	v_and_b32_e32 v11, 0xffff0000, v20
	v_add_f32_e32 v11, v11, v12
	v_add_f32_e32 v0, v11, v0
	s_waitcnt vmcnt(0)
	v_lshlrev_b32_e32 v21, 16, v21
	v_mul_f32_e32 v21, v5, v21
	v_bfe_u32 v22, v21, 16, 1
	v_add3_u32 v22, v22, v21, s26
	v_or_b32_e32 v23, 0x400000, v21
	v_cmp_u_f32_e32 vcc, v21, v21
	v_cndmask_b32_e32 v21, v22, v23, vcc
	buffer_load_dword v22, off, s[48:51], 0 offset:48 ; 4-byte Folded Reload
	v_and_b32_e32 v12, 0xffff0000, v21
	s_waitcnt vmcnt(0)
	v_lshlrev_b32_e32 v22, 16, v22
	v_mul_f32_e32 v22, v8, v22
	v_bfe_u32 v23, v22, 16, 1
	v_add3_u32 v23, v23, v22, s26
	v_or_b32_e32 v24, 0x400000, v22
	v_cmp_u_f32_e32 vcc, v22, v22
	v_cndmask_b32_e32 v22, v23, v24, vcc
	v_and_b32_e32 v11, 0xffff0000, v22
	v_add_f32_e32 v11, v11, v12
	v_add_f32_e32 v0, v11, v0
	;; [unrolled: 1-line block ×3, first 2 shown]
	buffer_load_dword v0, off, s[48:51], 0 offset:28 ; 4-byte Folded Reload
	s_waitcnt vmcnt(0)
	v_lshlrev_b32_e32 v0, 16, v0
	v_mul_f32_e32 v0, v1, v0
	v_bfe_u32 v11, v0, 16, 1
	v_add3_u32 v11, v11, v0, s26
	v_or_b32_e32 v12, 0x400000, v0
	v_cmp_u_f32_e32 vcc, v0, v0
	v_cndmask_b32_e32 v0, v11, v12, vcc
	buffer_load_dword v11, off, s[48:51], 0 offset:32 ; 4-byte Folded Reload
	v_and_b32_e32 v0, 0xffff0000, v0
	s_waitcnt vmcnt(0)
	v_lshlrev_b32_e32 v11, 16, v11
	v_mul_f32_e32 v11, v4, v11
	v_bfe_u32 v12, v11, 16, 1
	v_add3_u32 v12, v12, v11, s26
	v_or_b32_e32 v18, 0x400000, v11
	v_cmp_u_f32_e32 vcc, v11, v11
	v_cndmask_b32_e32 v11, v12, v18, vcc
	buffer_load_dword v12, off, s[48:51], 0 offset:16 ; 4-byte Folded Reload
	v_and_b32_e32 v11, 0xffff0000, v11
	v_add_f32_e32 v0, v11, v0
	s_waitcnt vmcnt(0)
	v_lshlrev_b32_e32 v12, 16, v12
	v_mul_f32_e32 v12, v2, v12
	v_bfe_u32 v18, v12, 16, 1
	v_add3_u32 v18, v18, v12, s26
	v_or_b32_e32 v19, 0x400000, v12
	v_cmp_u_f32_e32 vcc, v12, v12
	v_cndmask_b32_e32 v12, v18, v19, vcc
	buffer_load_dword v18, off, s[48:51], 0 offset:20 ; 4-byte Folded Reload
	v_and_b32_e32 v12, 0xffff0000, v12
	s_waitcnt vmcnt(0)
	v_lshlrev_b32_e32 v18, 16, v18
	v_mul_f32_e32 v18, v6, v18
	v_bfe_u32 v19, v18, 16, 1
	v_add3_u32 v19, v19, v18, s26
	v_or_b32_e32 v20, 0x400000, v18
	v_cmp_u_f32_e32 vcc, v18, v18
	v_cndmask_b32_e32 v18, v19, v20, vcc
	buffer_load_dword v19, off, s[48:51], 0 offset:4 ; 4-byte Folded Reload
	v_and_b32_e32 v11, 0xffff0000, v18
	v_add_f32_e32 v11, v11, v12
	v_add_f32_e32 v0, v11, v0
	s_waitcnt vmcnt(0)
	v_lshlrev_b32_e32 v19, 16, v19
	v_mul_f32_e32 v19, v3, v19
	v_bfe_u32 v20, v19, 16, 1
	v_add3_u32 v20, v20, v19, s26
	v_or_b32_e32 v21, 0x400000, v19
	v_cmp_u_f32_e32 vcc, v19, v19
	v_cndmask_b32_e32 v19, v20, v21, vcc
	buffer_load_dword v20, off, s[48:51], 0 offset:8 ; 4-byte Folded Reload
	v_and_b32_e32 v12, 0xffff0000, v19
	s_waitcnt vmcnt(0)
	v_lshlrev_b32_e32 v20, 16, v20
	v_mul_f32_e32 v20, v7, v20
	v_bfe_u32 v21, v20, 16, 1
	v_add3_u32 v21, v21, v20, s26
	v_or_b32_e32 v22, 0x400000, v20
	v_cmp_u_f32_e32 vcc, v20, v20
	v_cndmask_b32_e32 v20, v21, v22, vcc
	buffer_load_dword v21, off, s[48:51], 0 offset:24 ; 4-byte Folded Reload
	v_and_b32_e32 v11, 0xffff0000, v20
	v_add_f32_e32 v11, v11, v12
	v_add_f32_e32 v0, v11, v0
	s_waitcnt vmcnt(0)
	v_lshlrev_b32_e32 v21, 16, v21
	v_mul_f32_e32 v21, v5, v21
	v_bfe_u32 v22, v21, 16, 1
	v_add3_u32 v22, v22, v21, s26
	v_or_b32_e32 v23, 0x400000, v21
	v_cmp_u_f32_e32 vcc, v21, v21
	v_cndmask_b32_e32 v21, v22, v23, vcc
	buffer_load_dword v22, off, s[48:51], 0 offset:12 ; 4-byte Folded Reload
	v_and_b32_e32 v12, 0xffff0000, v21
	s_waitcnt vmcnt(0)
	v_lshlrev_b32_e32 v22, 16, v22
	v_mul_f32_e32 v22, v8, v22
	v_bfe_u32 v23, v22, 16, 1
	v_add3_u32 v23, v23, v22, s26
	v_or_b32_e32 v24, 0x400000, v22
	v_cmp_u_f32_e32 vcc, v22, v22
	v_cndmask_b32_e32 v22, v23, v24, vcc
	v_and_b32_e32 v11, 0xffff0000, v22
	v_add_f32_e32 v11, v11, v12
	v_add_f32_e32 v0, v11, v0
	;; [unrolled: 1-line block ×3, first 2 shown]
	v_lshlrev_b32_e32 v0, 16, v62
	v_mul_f32_e32 v0, v4, v0
	v_bfe_u32 v4, v0, 16, 1
	v_add3_u32 v4, v4, v0, s26
	v_or_b32_e32 v11, 0x400000, v0
	v_cmp_u_f32_e32 vcc, v0, v0
	v_cndmask_b32_e32 v0, v4, v11, vcc
	v_lshlrev_b32_e32 v4, 16, v61
	v_mul_f32_e32 v1, v1, v4
	v_bfe_u32 v4, v1, 16, 1
	v_add3_u32 v4, v4, v1, s26
	v_or_b32_e32 v11, 0x400000, v1
	v_cmp_u_f32_e32 vcc, v1, v1
	v_cndmask_b32_e32 v1, v4, v11, vcc
	;; [unrolled: 7-line block ×7, first 2 shown]
	v_lshlrev_b32_e32 v8, 16, v44
	v_and_b32_e32 v1, 0xffff0000, v1
	v_and_b32_e32 v0, 0xffff0000, v0
	v_mul_f32_e32 v5, v5, v8
	v_add_f32_e32 v0, v0, v1
	v_and_b32_e32 v1, 0xffff0000, v2
	v_and_b32_e32 v2, 0xffff0000, v4
	v_bfe_u32 v8, v5, 16, 1
	v_add_f32_e32 v1, v2, v1
	v_add3_u32 v8, v8, v5, s26
	v_or_b32_e32 v9, 0x400000, v5
	v_cmp_u_f32_e32 vcc, v5, v5
	v_add_f32_e32 v0, v1, v0
	v_and_b32_e32 v1, 0xffff0000, v3
	v_and_b32_e32 v2, 0xffff0000, v6
	v_cndmask_b32_e32 v5, v8, v9, vcc
	v_add_f32_e32 v1, v2, v1
	v_add_f32_e32 v0, v1, v0
	v_and_b32_e32 v1, 0xffff0000, v5
	v_and_b32_e32 v2, 0xffff0000, v7
	v_add_f32_e32 v1, v2, v1
	v_add_f32_e32 v0, v1, v0
	;; [unrolled: 1-line block ×3, first 2 shown]
	buffer_load_dword v0, off, s[48:51], 0  ; 4-byte Folded Reload
	v_add_co_u32_e32 v13, vcc, 8, v13
	v_addc_co_u32_e32 v14, vcc, 0, v14, vcc
	s_waitcnt vmcnt(0)
	v_add_u32_e32 v0, 2, v0
	v_cmp_le_i32_e32 vcc, s21, v0
	s_or_b64 s[6:7], vcc, s[6:7]
	buffer_store_dword v0, off, s[48:51], 0 ; 4-byte Folded Spill
	s_andn2_b64 exec, exec, s[6:7]
	s_cbranch_execz .LBB326_814
.LBB326_414:                            ; =>This Inner Loop Header: Depth=1
	global_load_dword v0, v[13:14], off
	buffer_load_dword v1, off, s[48:51], 0 offset:120 ; 4-byte Folded Reload
	buffer_load_dword v2, off, s[48:51], 0 offset:124 ; 4-byte Folded Reload
	s_waitcnt vmcnt(0)
	v_mad_i64_i32 v[15:16], s[0:1], v0, s31, v[1:2]
	v_mov_b32_e32 v0, 0
	global_load_dwordx2 v[17:18], v[15:16], off
	ds_read2_b64 v[5:8], v34 offset1:1
	ds_read2_b64 v[1:4], v34 offset0:2 offset1:3
	s_waitcnt vmcnt(0)
	v_cmp_ne_u16_sdwa s[12:13], v17, v10 src0_sel:BYTE_0 src1_sel:DWORD
	s_and_saveexec_b64 s[0:1], s[12:13]
	s_cbranch_execz .LBB326_420
; %bb.415:                              ;   in Loop: Header=BB326_414 Depth=1
	v_cmp_ne_u16_sdwa s[14:15], v17, s24 src0_sel:BYTE_0 src1_sel:DWORD
	v_bfrev_b32_e32 v0, 1
	s_and_saveexec_b64 s[12:13], s[14:15]
	s_cbranch_execz .LBB326_419
; %bb.416:                              ;   in Loop: Header=BB326_414 Depth=1
	v_and_b32_e32 v9, 0x7f, v17
	v_cmp_ne_u32_e32 vcc, s25, v9
	v_mov_b32_e32 v0, 0x7f800001
	s_and_saveexec_b64 s[14:15], vcc
	s_cbranch_execz .LBB326_418
; %bb.417:                              ;   in Loop: Header=BB326_414 Depth=1
	v_and_b32_e32 v0, 7, v17
	v_ffbh_u32_e32 v0, v0
	v_min_u32_e32 v0, 32, v0
	v_subrev_u32_e32 v12, 28, v0
	v_cmp_gt_u32_e32 vcc, 8, v9
	v_lshrrev_b32_e32 v11, 3, v9
	v_sub_u32_e32 v0, 29, v0
	v_cndmask_b32_e32 v9, 0, v12, vcc
	v_cndmask_b32_e32 v0, v11, v0, vcc
	v_lshlrev_b64 v[11:12], v9, v[17:18]
	v_bfrev_b32_e32 v12, 60
	v_lshlrev_b32_e32 v9, 20, v11
	v_lshlrev_b32_e32 v11, 24, v17
	v_and_b32_e32 v9, 0x700000, v9
	v_and_b32_e32 v11, 0x80000000, v11
	v_lshl_add_u32 v0, v0, 23, v12
	v_or3_b32 v0, v11, v0, v9
.LBB326_418:                            ;   in Loop: Header=BB326_414 Depth=1
	s_or_b64 exec, exec, s[14:15]
.LBB326_419:                            ;   in Loop: Header=BB326_414 Depth=1
	s_or_b64 exec, exec, s[12:13]
.LBB326_420:                            ;   in Loop: Header=BB326_414 Depth=1
	s_or_b64 exec, exec, s[0:1]
	v_lshrrev_b16_e32 v9, 8, v17
	v_cmp_ne_u16_e32 vcc, 0, v9
	v_mov_b32_e32 v12, 0
	v_mov_b32_e32 v11, 0
	s_and_saveexec_b64 s[0:1], vcc
	s_cbranch_execz .LBB326_426
; %bb.421:                              ;   in Loop: Header=BB326_414 Depth=1
	v_cmp_ne_u16_e32 vcc, s24, v9
	v_bfrev_b32_e32 v11, 1
	s_and_saveexec_b64 s[12:13], vcc
	s_cbranch_execz .LBB326_425
; %bb.422:                              ;   in Loop: Header=BB326_414 Depth=1
	v_and_b32_e32 v19, 0x7f, v9
	v_cmp_ne_u32_e32 vcc, s25, v19
	v_mov_b32_e32 v11, 0x7f800001
	s_and_saveexec_b64 s[14:15], vcc
	s_cbranch_execz .LBB326_424
; %bb.423:                              ;   in Loop: Header=BB326_414 Depth=1
	v_and_b32_e32 v11, 7, v9
	v_ffbh_u32_e32 v20, v11
	v_min_u32_e32 v23, 32, v20
	v_subrev_u32_e32 v20, 28, v23
	v_lshlrev_b64 v[20:21], v20, v[9:10]
	v_lshrrev_b32_e32 v22, 3, v19
	v_sub_u32_e32 v9, 29, v23
	v_and_b32_e32 v20, 7, v20
	v_cmp_gt_u32_e32 vcc, 8, v19
	v_cndmask_b32_e32 v9, v22, v9, vcc
	v_cndmask_b32_e32 v11, v11, v20, vcc
	v_lshlrev_b32_e32 v19, 16, v17
	v_bfrev_b32_e32 v20, 60
	v_lshlrev_b32_e32 v11, 20, v11
	v_and_b32_e32 v19, 0x80000000, v19
	v_lshl_add_u32 v9, v9, 23, v20
	v_or3_b32 v11, v19, v9, v11
.LBB326_424:                            ;   in Loop: Header=BB326_414 Depth=1
	s_or_b64 exec, exec, s[14:15]
.LBB326_425:                            ;   in Loop: Header=BB326_414 Depth=1
	s_or_b64 exec, exec, s[12:13]
.LBB326_426:                            ;   in Loop: Header=BB326_414 Depth=1
	s_or_b64 exec, exec, s[0:1]
	v_lshrrev_b32_e32 v9, 16, v17
	v_cmp_ne_u16_sdwa s[12:13], v9, v10 src0_sel:BYTE_0 src1_sel:DWORD
	s_and_saveexec_b64 s[0:1], s[12:13]
	s_cbranch_execz .LBB326_432
; %bb.427:                              ;   in Loop: Header=BB326_414 Depth=1
	v_cmp_ne_u16_sdwa s[14:15], v9, s24 src0_sel:BYTE_0 src1_sel:DWORD
	v_bfrev_b32_e32 v12, 1
	s_and_saveexec_b64 s[12:13], s[14:15]
	s_cbranch_execz .LBB326_431
; %bb.428:                              ;   in Loop: Header=BB326_414 Depth=1
	v_bfe_u32 v19, v17, 16, 7
	v_cmp_ne_u32_e32 vcc, s25, v19
	v_mov_b32_e32 v12, 0x7f800001
	s_and_saveexec_b64 s[14:15], vcc
	s_cbranch_execz .LBB326_430
; %bb.429:                              ;   in Loop: Header=BB326_414 Depth=1
	v_and_b32_e32 v12, 7, v9
	v_ffbh_u32_e32 v20, v12
	v_min_u32_e32 v23, 32, v20
	v_subrev_u32_e32 v20, 28, v23
	v_lshlrev_b64 v[20:21], v20, v[9:10]
	v_lshrrev_b32_e32 v22, 3, v19
	v_sub_u32_e32 v21, 29, v23
	v_and_b32_e32 v20, 7, v20
	v_cmp_gt_u32_e32 vcc, 8, v19
	v_cndmask_b32_e32 v19, v22, v21, vcc
	v_cndmask_b32_e32 v12, v12, v20, vcc
	v_lshlrev_b32_e32 v9, 24, v9
	v_bfrev_b32_e32 v20, 60
	v_lshlrev_b32_e32 v12, 20, v12
	v_and_b32_e32 v9, 0x80000000, v9
	v_lshl_add_u32 v19, v19, 23, v20
	v_or3_b32 v12, v9, v19, v12
.LBB326_430:                            ;   in Loop: Header=BB326_414 Depth=1
	s_or_b64 exec, exec, s[14:15]
.LBB326_431:                            ;   in Loop: Header=BB326_414 Depth=1
	s_or_b64 exec, exec, s[12:13]
.LBB326_432:                            ;   in Loop: Header=BB326_414 Depth=1
	s_or_b64 exec, exec, s[0:1]
	v_cmp_lt_u32_e32 vcc, s5, v17
	v_mov_b32_e32 v21, 0
	v_mov_b32_e32 v20, 0
	s_and_saveexec_b64 s[0:1], vcc
	s_cbranch_execz .LBB326_438
; %bb.433:                              ;   in Loop: Header=BB326_414 Depth=1
	v_lshrrev_b32_e32 v9, 24, v17
	v_cmp_ne_u32_e32 vcc, s24, v9
	v_bfrev_b32_e32 v20, 1
	s_and_saveexec_b64 s[12:13], vcc
	s_cbranch_execz .LBB326_437
; %bb.434:                              ;   in Loop: Header=BB326_414 Depth=1
	v_bfe_u32 v19, v17, 24, 7
	v_cmp_ne_u32_e32 vcc, s25, v19
	v_mov_b32_e32 v20, 0x7f800001
	s_and_saveexec_b64 s[14:15], vcc
	s_cbranch_execz .LBB326_436
; %bb.435:                              ;   in Loop: Header=BB326_414 Depth=1
	v_and_b32_e32 v20, 7, v9
	v_ffbh_u32_e32 v22, v20
	v_min_u32_e32 v35, 32, v22
	v_subrev_u32_e32 v22, 28, v35
	v_lshlrev_b64 v[22:23], v22, v[9:10]
	v_lshrrev_b32_e32 v24, 3, v19
	v_sub_u32_e32 v23, 29, v35
	v_and_b32_e32 v22, 7, v22
	v_cmp_gt_u32_e32 vcc, 8, v19
	v_cndmask_b32_e32 v19, v24, v23, vcc
	v_cndmask_b32_e32 v20, v20, v22, vcc
	v_lshlrev_b32_e32 v9, 24, v9
	v_bfrev_b32_e32 v22, 60
	v_lshlrev_b32_e32 v20, 20, v20
	v_and_b32_e32 v9, 0x80000000, v9
	v_lshl_add_u32 v19, v19, 23, v22
	v_or3_b32 v20, v9, v19, v20
.LBB326_436:                            ;   in Loop: Header=BB326_414 Depth=1
	s_or_b64 exec, exec, s[14:15]
.LBB326_437:                            ;   in Loop: Header=BB326_414 Depth=1
	s_or_b64 exec, exec, s[12:13]
.LBB326_438:                            ;   in Loop: Header=BB326_414 Depth=1
	s_or_b64 exec, exec, s[0:1]
	v_mov_b32_e32 v9, v18
	v_cmp_ne_u16_sdwa s[12:13], v18, v10 src0_sel:BYTE_0 src1_sel:DWORD
	s_and_saveexec_b64 s[0:1], s[12:13]
	s_cbranch_execz .LBB326_444
; %bb.439:                              ;   in Loop: Header=BB326_414 Depth=1
	v_cmp_ne_u16_sdwa s[14:15], v18, s24 src0_sel:BYTE_0 src1_sel:DWORD
	v_bfrev_b32_e32 v21, 1
	s_and_saveexec_b64 s[12:13], s[14:15]
	s_cbranch_execz .LBB326_443
; %bb.440:                              ;   in Loop: Header=BB326_414 Depth=1
	v_and_b32_e32 v19, 0x7f, v18
	v_cmp_ne_u32_e32 vcc, s25, v19
	v_mov_b32_e32 v21, 0x7f800001
	s_and_saveexec_b64 s[14:15], vcc
	s_cbranch_execz .LBB326_442
; %bb.441:                              ;   in Loop: Header=BB326_414 Depth=1
	v_and_b32_e32 v21, 7, v18
	v_ffbh_u32_e32 v21, v21
	v_min_u32_e32 v21, 32, v21
	v_lshrrev_b32_e32 v22, 3, v19
	v_subrev_u32_e32 v23, 28, v21
	v_sub_u32_e32 v21, 29, v21
	v_cmp_gt_u32_e32 vcc, 8, v19
	v_cndmask_b32_e32 v19, v22, v21, vcc
	v_cndmask_b32_e32 v21, 0, v23, vcc
	v_lshlrev_b64 v[21:22], v21, v[9:10]
	v_lshlrev_b32_e32 v22, 24, v9
	v_lshlrev_b32_e32 v21, 20, v21
	v_bfrev_b32_e32 v23, 60
	v_and_b32_e32 v21, 0x700000, v21
	v_and_b32_e32 v22, 0x80000000, v22
	v_lshl_add_u32 v19, v19, 23, v23
	v_or3_b32 v21, v22, v19, v21
.LBB326_442:                            ;   in Loop: Header=BB326_414 Depth=1
	s_or_b64 exec, exec, s[14:15]
.LBB326_443:                            ;   in Loop: Header=BB326_414 Depth=1
	s_or_b64 exec, exec, s[12:13]
.LBB326_444:                            ;   in Loop: Header=BB326_414 Depth=1
	s_or_b64 exec, exec, s[0:1]
	v_lshrrev_b16_e32 v19, 8, v9
	v_cmp_ne_u16_e32 vcc, 0, v19
	v_mov_b32_e32 v22, 0
	v_mov_b32_e32 v23, 0
	s_and_saveexec_b64 s[0:1], vcc
	s_cbranch_execz .LBB326_450
; %bb.445:                              ;   in Loop: Header=BB326_414 Depth=1
	v_cmp_ne_u16_e32 vcc, s24, v19
	v_bfrev_b32_e32 v23, 1
	s_and_saveexec_b64 s[12:13], vcc
	s_cbranch_execz .LBB326_449
; %bb.446:                              ;   in Loop: Header=BB326_414 Depth=1
	v_and_b32_e32 v24, 0x7f, v19
	v_cmp_ne_u32_e32 vcc, s25, v24
	v_mov_b32_e32 v23, 0x7f800001
	s_and_saveexec_b64 s[14:15], vcc
	s_cbranch_execz .LBB326_448
; %bb.447:                              ;   in Loop: Header=BB326_414 Depth=1
	v_and_b32_e32 v23, 7, v19
	v_ffbh_u32_e32 v35, v23
	v_min_u32_e32 v38, 32, v35
	v_subrev_u32_e32 v35, 28, v38
	v_lshlrev_b64 v[35:36], v35, v[19:20]
	v_lshrrev_b32_e32 v37, 3, v24
	v_sub_u32_e32 v19, 29, v38
	v_and_b32_e32 v35, 7, v35
	v_cmp_gt_u32_e32 vcc, 8, v24
	v_cndmask_b32_e32 v19, v37, v19, vcc
	v_cndmask_b32_e32 v23, v23, v35, vcc
	v_lshlrev_b32_e32 v9, 16, v9
	v_bfrev_b32_e32 v24, 60
	v_lshlrev_b32_e32 v23, 20, v23
	v_and_b32_e32 v9, 0x80000000, v9
	v_lshl_add_u32 v19, v19, 23, v24
	v_or3_b32 v23, v9, v19, v23
.LBB326_448:                            ;   in Loop: Header=BB326_414 Depth=1
	s_or_b64 exec, exec, s[14:15]
.LBB326_449:                            ;   in Loop: Header=BB326_414 Depth=1
	s_or_b64 exec, exec, s[12:13]
.LBB326_450:                            ;   in Loop: Header=BB326_414 Depth=1
	s_or_b64 exec, exec, s[0:1]
	v_lshrrev_b32_e32 v9, 16, v18
	v_cmp_ne_u16_sdwa s[12:13], v9, v10 src0_sel:BYTE_0 src1_sel:DWORD
	s_and_saveexec_b64 s[0:1], s[12:13]
	s_cbranch_execz .LBB326_456
; %bb.451:                              ;   in Loop: Header=BB326_414 Depth=1
	v_cmp_ne_u16_sdwa s[14:15], v9, s24 src0_sel:BYTE_0 src1_sel:DWORD
	v_bfrev_b32_e32 v22, 1
	s_and_saveexec_b64 s[12:13], s[14:15]
	s_cbranch_execz .LBB326_455
; %bb.452:                              ;   in Loop: Header=BB326_414 Depth=1
	v_bfe_u32 v19, v18, 16, 7
	v_cmp_ne_u32_e32 vcc, s25, v19
	v_mov_b32_e32 v22, 0x7f800001
	s_and_saveexec_b64 s[14:15], vcc
	s_cbranch_execz .LBB326_454
; %bb.453:                              ;   in Loop: Header=BB326_414 Depth=1
	v_and_b32_e32 v22, 7, v9
	v_ffbh_u32_e32 v35, v22
	v_min_u32_e32 v37, 32, v35
	v_subrev_u32_e32 v35, 28, v37
	v_lshlrev_b64 v[35:36], v35, v[9:10]
	v_lshrrev_b32_e32 v24, 3, v19
	v_sub_u32_e32 v36, 29, v37
	v_and_b32_e32 v35, 7, v35
	v_cmp_gt_u32_e32 vcc, 8, v19
	v_cndmask_b32_e32 v19, v24, v36, vcc
	v_cndmask_b32_e32 v22, v22, v35, vcc
	v_lshlrev_b32_e32 v9, 24, v9
	v_bfrev_b32_e32 v24, 60
	v_lshlrev_b32_e32 v22, 20, v22
	v_and_b32_e32 v9, 0x80000000, v9
	v_lshl_add_u32 v19, v19, 23, v24
	v_or3_b32 v22, v9, v19, v22
.LBB326_454:                            ;   in Loop: Header=BB326_414 Depth=1
	s_or_b64 exec, exec, s[14:15]
.LBB326_455:                            ;   in Loop: Header=BB326_414 Depth=1
	s_or_b64 exec, exec, s[12:13]
.LBB326_456:                            ;   in Loop: Header=BB326_414 Depth=1
	s_or_b64 exec, exec, s[0:1]
	v_cmp_lt_u64_e32 vcc, s[4:5], v[17:18]
	v_mov_b32_e32 v17, 0
	s_and_saveexec_b64 s[0:1], vcc
	s_cbranch_execz .LBB326_462
; %bb.457:                              ;   in Loop: Header=BB326_414 Depth=1
	v_lshrrev_b32_e32 v9, 24, v18
	v_cmp_ne_u32_e32 vcc, s24, v9
	v_bfrev_b32_e32 v17, 1
	s_and_saveexec_b64 s[12:13], vcc
	s_cbranch_execz .LBB326_461
; %bb.458:                              ;   in Loop: Header=BB326_414 Depth=1
	v_bfe_u32 v18, v18, 24, 7
	v_cmp_ne_u32_e32 vcc, s25, v18
	v_mov_b32_e32 v17, 0x7f800001
	s_and_saveexec_b64 s[14:15], vcc
	s_cbranch_execz .LBB326_460
; %bb.459:                              ;   in Loop: Header=BB326_414 Depth=1
	v_and_b32_e32 v17, 7, v9
	v_ffbh_u32_e32 v24, v17
	v_min_u32_e32 v24, 32, v24
	v_subrev_u32_e32 v35, 28, v24
	v_lshlrev_b64 v[35:36], v35, v[9:10]
	v_lshrrev_b32_e32 v19, 3, v18
	v_sub_u32_e32 v24, 29, v24
	v_and_b32_e32 v35, 7, v35
	v_cmp_gt_u32_e32 vcc, 8, v18
	v_cndmask_b32_e32 v18, v19, v24, vcc
	v_cndmask_b32_e32 v17, v17, v35, vcc
	v_lshlrev_b32_e32 v9, 24, v9
	v_bfrev_b32_e32 v19, 60
	v_lshlrev_b32_e32 v17, 20, v17
	v_and_b32_e32 v9, 0x80000000, v9
	v_lshl_add_u32 v18, v18, 23, v19
	v_or3_b32 v17, v9, v18, v17
.LBB326_460:                            ;   in Loop: Header=BB326_414 Depth=1
	s_or_b64 exec, exec, s[14:15]
.LBB326_461:                            ;   in Loop: Header=BB326_414 Depth=1
	s_or_b64 exec, exec, s[12:13]
.LBB326_462:                            ;   in Loop: Header=BB326_414 Depth=1
	s_or_b64 exec, exec, s[0:1]
	buffer_load_dword v9, off, s[48:51], 0  ; 4-byte Folded Reload
	s_waitcnt lgkmcnt(0)
	v_mul_f32_e32 v0, s18, v0
	s_waitcnt vmcnt(0)
	v_cmp_eq_u32_e32 vcc, s19, v9
	v_mul_f32_e32 v9, s18, v23
	v_bfe_u32 v18, v9, 16, 1
	v_add3_u32 v18, v18, v9, s26
	v_or_b32_e32 v19, 0x400000, v9
	v_cmp_u_f32_e64 s[0:1], v9, v9
	v_cndmask_b32_e64 v9, v18, v19, s[0:1]
	v_lshrrev_b32_e32 v9, 16, v9
	buffer_store_dword v9, off, s[48:51], 0 offset:4 ; 4-byte Folded Spill
	v_mul_f32_e32 v9, s18, v21
	v_bfe_u32 v18, v9, 16, 1
	v_add3_u32 v18, v18, v9, s26
	v_or_b32_e32 v19, 0x400000, v9
	v_cmp_u_f32_e64 s[0:1], v9, v9
	v_cndmask_b32_e64 v9, v18, v19, s[0:1]
	v_lshrrev_b32_e32 v9, 16, v9
	buffer_store_dword v9, off, s[48:51], 0 offset:8 ; 4-byte Folded Spill
	;; [unrolled: 8-line block ×5, first 2 shown]
	v_bfe_u32 v9, v0, 16, 1
	v_add3_u32 v9, v9, v0, s26
	v_or_b32_e32 v11, 0x400000, v0
	v_cmp_u_f32_e64 s[0:1], v0, v0
	v_cndmask_b32_e64 v0, v9, v11, s[0:1]
	v_lshrrev_b32_e32 v0, 16, v0
	buffer_store_dword v0, off, s[48:51], 0 offset:32 ; 4-byte Folded Spill
	v_mul_f32_e32 v0, s18, v22
	v_bfe_u32 v9, v0, 16, 1
	v_add3_u32 v9, v9, v0, s26
	v_or_b32_e32 v11, 0x400000, v0
	v_cmp_u_f32_e64 s[0:1], v0, v0
	v_cndmask_b32_e64 v0, v9, v11, s[0:1]
	v_lshrrev_b32_e32 v0, 16, v0
	buffer_store_dword v0, off, s[48:51], 0 offset:12 ; 4-byte Folded Spill
	v_mul_f32_e32 v0, s18, v17
	v_bfe_u32 v9, v0, 16, 1
	v_add3_u32 v9, v9, v0, s26
	v_or_b32_e32 v11, 0x400000, v0
	v_cmp_u_f32_e64 s[0:1], v0, v0
	v_cndmask_b32_e64 v0, v9, v11, s[0:1]
	v_lshrrev_b32_e32 v0, 16, v0
	buffer_store_dword v0, off, s[48:51], 0 offset:24 ; 4-byte Folded Spill
	s_and_saveexec_b64 s[12:13], vcc
	s_cbranch_execz .LBB326_464
; %bb.463:                              ;   in Loop: Header=BB326_414 Depth=1
	v_add_u32_e32 v0, -7, v33
	v_cmp_gt_i32_e64 s[0:1], s30, v0
	buffer_load_dword v0, off, s[48:51], 0 offset:32 ; 4-byte Folded Reload
	s_waitcnt vmcnt(0)
	v_cndmask_b32_e64 v0, 0, v0, s[0:1]
	buffer_store_dword v0, off, s[48:51], 0 offset:32 ; 4-byte Folded Spill
	v_add_u32_e32 v0, -6, v33
	v_cmp_gt_i32_e64 s[0:1], s30, v0
	buffer_load_dword v0, off, s[48:51], 0 offset:28 ; 4-byte Folded Reload
	s_waitcnt vmcnt(0)
	v_cndmask_b32_e64 v0, 0, v0, s[0:1]
	buffer_store_dword v0, off, s[48:51], 0 offset:28 ; 4-byte Folded Spill
	;; [unrolled: 6-line block ×7, first 2 shown]
	buffer_load_dword v0, off, s[48:51], 0 offset:24 ; 4-byte Folded Reload
	v_cmp_gt_i32_e64 s[0:1], s30, v33
	s_waitcnt vmcnt(0)
	v_cndmask_b32_e64 v0, 0, v0, s[0:1]
	buffer_store_dword v0, off, s[48:51], 0 offset:24 ; 4-byte Folded Spill
.LBB326_464:                            ;   in Loop: Header=BB326_414 Depth=1
	s_or_b64 exec, exec, s[12:13]
	global_load_dwordx2 v[17:18], v[15:16], off offset:512
	v_mov_b32_e32 v11, 0
	v_mov_b32_e32 v0, 0
	s_waitcnt vmcnt(0)
	v_cmp_ne_u16_sdwa s[0:1], v17, v10 src0_sel:BYTE_0 src1_sel:DWORD
	s_and_saveexec_b64 s[12:13], s[0:1]
	s_cbranch_execz .LBB326_470
; %bb.465:                              ;   in Loop: Header=BB326_414 Depth=1
	v_cmp_ne_u16_sdwa s[0:1], v17, s24 src0_sel:BYTE_0 src1_sel:DWORD
	v_bfrev_b32_e32 v0, 1
	s_and_saveexec_b64 s[14:15], s[0:1]
	s_cbranch_execz .LBB326_469
; %bb.466:                              ;   in Loop: Header=BB326_414 Depth=1
	v_and_b32_e32 v9, 0x7f, v17
	v_cmp_ne_u32_e64 s[0:1], s25, v9
	v_mov_b32_e32 v0, 0x7f800001
	s_and_saveexec_b64 s[16:17], s[0:1]
	s_cbranch_execz .LBB326_468
; %bb.467:                              ;   in Loop: Header=BB326_414 Depth=1
	v_and_b32_e32 v0, 7, v17
	v_ffbh_u32_e32 v0, v0
	v_min_u32_e32 v0, 32, v0
	v_subrev_u32_e32 v19, 28, v0
	v_cmp_gt_u32_e64 s[0:1], 8, v9
	v_lshrrev_b32_e32 v12, 3, v9
	v_cndmask_b32_e64 v9, 0, v19, s[0:1]
	v_lshlrev_b64 v[19:20], v9, v[17:18]
	v_sub_u32_e32 v0, 29, v0
	v_cndmask_b32_e64 v0, v12, v0, s[0:1]
	v_lshlrev_b32_e32 v9, 20, v19
	v_lshlrev_b32_e32 v12, 24, v17
	v_bfrev_b32_e32 v19, 60
	v_and_b32_e32 v9, 0x700000, v9
	v_and_b32_e32 v12, 0x80000000, v12
	v_lshl_add_u32 v0, v0, 23, v19
	v_or3_b32 v0, v12, v0, v9
.LBB326_468:                            ;   in Loop: Header=BB326_414 Depth=1
	s_or_b64 exec, exec, s[16:17]
.LBB326_469:                            ;   in Loop: Header=BB326_414 Depth=1
	s_or_b64 exec, exec, s[14:15]
.LBB326_470:                            ;   in Loop: Header=BB326_414 Depth=1
	s_or_b64 exec, exec, s[12:13]
	v_lshrrev_b16_e32 v9, 8, v17
	v_cmp_ne_u16_e64 s[0:1], 0, v9
	s_and_saveexec_b64 s[12:13], s[0:1]
	s_cbranch_execz .LBB326_476
; %bb.471:                              ;   in Loop: Header=BB326_414 Depth=1
	v_cmp_ne_u16_e64 s[0:1], s24, v9
	v_bfrev_b32_e32 v11, 1
	s_and_saveexec_b64 s[14:15], s[0:1]
	s_cbranch_execz .LBB326_475
; %bb.472:                              ;   in Loop: Header=BB326_414 Depth=1
	v_and_b32_e32 v12, 0x7f, v9
	v_cmp_ne_u32_e64 s[0:1], s25, v12
	v_mov_b32_e32 v11, 0x7f800001
	s_and_saveexec_b64 s[16:17], s[0:1]
	s_cbranch_execz .LBB326_474
; %bb.473:                              ;   in Loop: Header=BB326_414 Depth=1
	v_and_b32_e32 v11, 7, v9
	v_ffbh_u32_e32 v19, v11
	v_min_u32_e32 v22, 32, v19
	v_subrev_u32_e32 v19, 28, v22
	v_lshlrev_b64 v[19:20], v19, v[9:10]
	v_lshrrev_b32_e32 v21, 3, v12
	v_sub_u32_e32 v9, 29, v22
	v_and_b32_e32 v19, 7, v19
	v_cmp_gt_u32_e64 s[0:1], 8, v12
	v_cndmask_b32_e64 v9, v21, v9, s[0:1]
	v_cndmask_b32_e64 v11, v11, v19, s[0:1]
	v_lshlrev_b32_e32 v12, 16, v17
	v_bfrev_b32_e32 v19, 60
	v_lshlrev_b32_e32 v11, 20, v11
	v_and_b32_e32 v12, 0x80000000, v12
	v_lshl_add_u32 v9, v9, 23, v19
	v_or3_b32 v11, v12, v9, v11
.LBB326_474:                            ;   in Loop: Header=BB326_414 Depth=1
	s_or_b64 exec, exec, s[16:17]
.LBB326_475:                            ;   in Loop: Header=BB326_414 Depth=1
	s_or_b64 exec, exec, s[14:15]
.LBB326_476:                            ;   in Loop: Header=BB326_414 Depth=1
	s_or_b64 exec, exec, s[12:13]
	v_lshrrev_b32_e32 v9, 16, v17
	v_cmp_ne_u16_sdwa s[0:1], v9, v10 src0_sel:BYTE_0 src1_sel:DWORD
	v_mov_b32_e32 v20, 0
	v_mov_b32_e32 v12, 0
	s_and_saveexec_b64 s[12:13], s[0:1]
	s_cbranch_execz .LBB326_482
; %bb.477:                              ;   in Loop: Header=BB326_414 Depth=1
	v_cmp_ne_u16_sdwa s[0:1], v9, s24 src0_sel:BYTE_0 src1_sel:DWORD
	v_bfrev_b32_e32 v12, 1
	s_and_saveexec_b64 s[14:15], s[0:1]
	s_cbranch_execz .LBB326_481
; %bb.478:                              ;   in Loop: Header=BB326_414 Depth=1
	v_bfe_u32 v19, v17, 16, 7
	v_cmp_ne_u32_e64 s[0:1], s25, v19
	v_mov_b32_e32 v12, 0x7f800001
	s_and_saveexec_b64 s[16:17], s[0:1]
	s_cbranch_execz .LBB326_480
; %bb.479:                              ;   in Loop: Header=BB326_414 Depth=1
	v_and_b32_e32 v12, 7, v9
	v_ffbh_u32_e32 v21, v12
	v_min_u32_e32 v24, 32, v21
	v_subrev_u32_e32 v21, 28, v24
	v_lshlrev_b64 v[21:22], v21, v[9:10]
	v_lshrrev_b32_e32 v23, 3, v19
	v_sub_u32_e32 v22, 29, v24
	v_and_b32_e32 v21, 7, v21
	v_cmp_gt_u32_e64 s[0:1], 8, v19
	v_cndmask_b32_e64 v19, v23, v22, s[0:1]
	v_cndmask_b32_e64 v12, v12, v21, s[0:1]
	v_lshlrev_b32_e32 v9, 24, v9
	v_bfrev_b32_e32 v21, 60
	v_lshlrev_b32_e32 v12, 20, v12
	v_and_b32_e32 v9, 0x80000000, v9
	v_lshl_add_u32 v19, v19, 23, v21
	v_or3_b32 v12, v9, v19, v12
.LBB326_480:                            ;   in Loop: Header=BB326_414 Depth=1
	s_or_b64 exec, exec, s[16:17]
.LBB326_481:                            ;   in Loop: Header=BB326_414 Depth=1
	s_or_b64 exec, exec, s[14:15]
.LBB326_482:                            ;   in Loop: Header=BB326_414 Depth=1
	s_or_b64 exec, exec, s[12:13]
	v_cmp_lt_u32_e64 s[0:1], s5, v17
	s_and_saveexec_b64 s[12:13], s[0:1]
	s_cbranch_execz .LBB326_488
; %bb.483:                              ;   in Loop: Header=BB326_414 Depth=1
	v_lshrrev_b32_e32 v9, 24, v17
	v_cmp_ne_u32_e64 s[0:1], s24, v9
	v_bfrev_b32_e32 v20, 1
	s_and_saveexec_b64 s[14:15], s[0:1]
	s_cbranch_execz .LBB326_487
; %bb.484:                              ;   in Loop: Header=BB326_414 Depth=1
	v_bfe_u32 v19, v17, 24, 7
	v_cmp_ne_u32_e64 s[0:1], s25, v19
	v_mov_b32_e32 v20, 0x7f800001
	s_and_saveexec_b64 s[16:17], s[0:1]
	s_cbranch_execz .LBB326_486
; %bb.485:                              ;   in Loop: Header=BB326_414 Depth=1
	v_and_b32_e32 v22, 7, v9
	v_ffbh_u32_e32 v20, v22
	v_min_u32_e32 v24, 32, v20
	v_subrev_u32_e32 v20, 28, v24
	v_lshlrev_b64 v[20:21], v20, v[9:10]
	v_lshrrev_b32_e32 v23, 3, v19
	v_sub_u32_e32 v21, 29, v24
	v_and_b32_e32 v20, 7, v20
	v_cmp_gt_u32_e64 s[0:1], 8, v19
	v_cndmask_b32_e64 v19, v23, v21, s[0:1]
	v_cndmask_b32_e64 v20, v22, v20, s[0:1]
	v_lshlrev_b32_e32 v9, 24, v9
	v_bfrev_b32_e32 v21, 60
	v_lshlrev_b32_e32 v20, 20, v20
	v_and_b32_e32 v9, 0x80000000, v9
	v_lshl_add_u32 v19, v19, 23, v21
	v_or3_b32 v20, v9, v19, v20
.LBB326_486:                            ;   in Loop: Header=BB326_414 Depth=1
	s_or_b64 exec, exec, s[16:17]
.LBB326_487:                            ;   in Loop: Header=BB326_414 Depth=1
	s_or_b64 exec, exec, s[14:15]
.LBB326_488:                            ;   in Loop: Header=BB326_414 Depth=1
	s_or_b64 exec, exec, s[12:13]
	v_mov_b32_e32 v9, v18
	v_cmp_ne_u16_sdwa s[0:1], v18, v10 src0_sel:BYTE_0 src1_sel:DWORD
	v_mov_b32_e32 v22, 0
	v_mov_b32_e32 v21, 0
	s_and_saveexec_b64 s[12:13], s[0:1]
	s_cbranch_execz .LBB326_494
; %bb.489:                              ;   in Loop: Header=BB326_414 Depth=1
	v_cmp_ne_u16_sdwa s[0:1], v18, s24 src0_sel:BYTE_0 src1_sel:DWORD
	v_bfrev_b32_e32 v21, 1
	s_and_saveexec_b64 s[14:15], s[0:1]
	s_cbranch_execz .LBB326_493
; %bb.490:                              ;   in Loop: Header=BB326_414 Depth=1
	v_and_b32_e32 v19, 0x7f, v18
	v_cmp_ne_u32_e64 s[0:1], s25, v19
	v_mov_b32_e32 v21, 0x7f800001
	s_and_saveexec_b64 s[16:17], s[0:1]
	s_cbranch_execz .LBB326_492
; %bb.491:                              ;   in Loop: Header=BB326_414 Depth=1
	v_and_b32_e32 v21, 7, v18
	v_ffbh_u32_e32 v21, v21
	v_min_u32_e32 v21, 32, v21
	v_lshrrev_b32_e32 v23, 3, v19
	v_subrev_u32_e32 v24, 28, v21
	v_sub_u32_e32 v21, 29, v21
	v_cmp_gt_u32_e64 s[0:1], 8, v19
	v_cndmask_b32_e64 v19, v23, v21, s[0:1]
	v_cndmask_b32_e64 v21, 0, v24, s[0:1]
	v_lshlrev_b64 v[23:24], v21, v[9:10]
	v_bfrev_b32_e32 v24, 60
	v_lshlrev_b32_e32 v21, 20, v23
	v_lshlrev_b32_e32 v23, 24, v9
	v_and_b32_e32 v21, 0x700000, v21
	v_and_b32_e32 v23, 0x80000000, v23
	v_lshl_add_u32 v19, v19, 23, v24
	v_or3_b32 v21, v23, v19, v21
.LBB326_492:                            ;   in Loop: Header=BB326_414 Depth=1
	s_or_b64 exec, exec, s[16:17]
.LBB326_493:                            ;   in Loop: Header=BB326_414 Depth=1
	s_or_b64 exec, exec, s[14:15]
.LBB326_494:                            ;   in Loop: Header=BB326_414 Depth=1
	s_or_b64 exec, exec, s[12:13]
	v_lshrrev_b16_e32 v19, 8, v9
	v_cmp_ne_u16_e64 s[0:1], 0, v19
	s_and_saveexec_b64 s[12:13], s[0:1]
	s_cbranch_execz .LBB326_500
; %bb.495:                              ;   in Loop: Header=BB326_414 Depth=1
	v_cmp_ne_u16_e64 s[0:1], s24, v19
	v_bfrev_b32_e32 v22, 1
	s_and_saveexec_b64 s[14:15], s[0:1]
	s_cbranch_execz .LBB326_499
; %bb.496:                              ;   in Loop: Header=BB326_414 Depth=1
	v_and_b32_e32 v23, 0x7f, v19
	v_cmp_ne_u32_e64 s[0:1], s25, v23
	v_mov_b32_e32 v22, 0x7f800001
	s_and_saveexec_b64 s[16:17], s[0:1]
	s_cbranch_execz .LBB326_498
; %bb.497:                              ;   in Loop: Header=BB326_414 Depth=1
	v_and_b32_e32 v22, 7, v19
	v_ffbh_u32_e32 v35, v22
	v_min_u32_e32 v37, 32, v35
	v_subrev_u32_e32 v35, 28, v37
	v_lshlrev_b64 v[35:36], v35, v[19:20]
	v_lshrrev_b32_e32 v24, 3, v23
	v_sub_u32_e32 v19, 29, v37
	v_and_b32_e32 v35, 7, v35
	v_cmp_gt_u32_e64 s[0:1], 8, v23
	v_cndmask_b32_e64 v19, v24, v19, s[0:1]
	v_cndmask_b32_e64 v22, v22, v35, s[0:1]
	v_lshlrev_b32_e32 v9, 16, v9
	v_bfrev_b32_e32 v23, 60
	v_lshlrev_b32_e32 v22, 20, v22
	v_and_b32_e32 v9, 0x80000000, v9
	v_lshl_add_u32 v19, v19, 23, v23
	v_or3_b32 v22, v9, v19, v22
.LBB326_498:                            ;   in Loop: Header=BB326_414 Depth=1
	s_or_b64 exec, exec, s[16:17]
.LBB326_499:                            ;   in Loop: Header=BB326_414 Depth=1
	s_or_b64 exec, exec, s[14:15]
.LBB326_500:                            ;   in Loop: Header=BB326_414 Depth=1
	s_or_b64 exec, exec, s[12:13]
	v_lshrrev_b32_e32 v9, 16, v18
	v_cmp_ne_u16_sdwa s[0:1], v9, v10 src0_sel:BYTE_0 src1_sel:DWORD
	v_mov_b32_e32 v19, 0
	v_mov_b32_e32 v23, 0
	s_and_saveexec_b64 s[12:13], s[0:1]
	s_cbranch_execz .LBB326_506
; %bb.501:                              ;   in Loop: Header=BB326_414 Depth=1
	v_cmp_ne_u16_sdwa s[0:1], v9, s24 src0_sel:BYTE_0 src1_sel:DWORD
	v_bfrev_b32_e32 v23, 1
	s_and_saveexec_b64 s[14:15], s[0:1]
	s_cbranch_execz .LBB326_505
; %bb.502:                              ;   in Loop: Header=BB326_414 Depth=1
	v_bfe_u32 v24, v18, 16, 7
	v_cmp_ne_u32_e64 s[0:1], s25, v24
	v_mov_b32_e32 v23, 0x7f800001
	s_and_saveexec_b64 s[16:17], s[0:1]
	s_cbranch_execz .LBB326_504
; %bb.503:                              ;   in Loop: Header=BB326_414 Depth=1
	v_and_b32_e32 v23, 7, v9
	v_ffbh_u32_e32 v35, v23
	v_min_u32_e32 v38, 32, v35
	v_subrev_u32_e32 v35, 28, v38
	v_lshlrev_b64 v[35:36], v35, v[9:10]
	v_lshrrev_b32_e32 v37, 3, v24
	v_sub_u32_e32 v36, 29, v38
	v_and_b32_e32 v35, 7, v35
	v_cmp_gt_u32_e64 s[0:1], 8, v24
	v_cndmask_b32_e64 v24, v37, v36, s[0:1]
	v_cndmask_b32_e64 v23, v23, v35, s[0:1]
	v_lshlrev_b32_e32 v9, 24, v9
	v_bfrev_b32_e32 v35, 60
	v_lshlrev_b32_e32 v23, 20, v23
	v_and_b32_e32 v9, 0x80000000, v9
	v_lshl_add_u32 v24, v24, 23, v35
	v_or3_b32 v23, v9, v24, v23
.LBB326_504:                            ;   in Loop: Header=BB326_414 Depth=1
	s_or_b64 exec, exec, s[16:17]
.LBB326_505:                            ;   in Loop: Header=BB326_414 Depth=1
	s_or_b64 exec, exec, s[14:15]
.LBB326_506:                            ;   in Loop: Header=BB326_414 Depth=1
	s_or_b64 exec, exec, s[12:13]
	v_cmp_lt_u64_e64 s[0:1], s[4:5], v[17:18]
	s_and_saveexec_b64 s[12:13], s[0:1]
	s_cbranch_execz .LBB326_512
; %bb.507:                              ;   in Loop: Header=BB326_414 Depth=1
	v_lshrrev_b32_e32 v9, 24, v18
	v_cmp_ne_u32_e64 s[0:1], s24, v9
	v_bfrev_b32_e32 v19, 1
	s_and_saveexec_b64 s[14:15], s[0:1]
	s_cbranch_execz .LBB326_511
; %bb.508:                              ;   in Loop: Header=BB326_414 Depth=1
	v_bfe_u32 v17, v18, 24, 7
	v_cmp_ne_u32_e64 s[0:1], s25, v17
	v_mov_b32_e32 v19, 0x7f800001
	s_and_saveexec_b64 s[16:17], s[0:1]
	s_cbranch_execz .LBB326_510
; %bb.509:                              ;   in Loop: Header=BB326_414 Depth=1
	v_and_b32_e32 v24, 7, v9
	v_ffbh_u32_e32 v18, v24
	v_min_u32_e32 v36, 32, v18
	v_subrev_u32_e32 v18, 28, v36
	v_lshlrev_b64 v[18:19], v18, v[9:10]
	v_lshrrev_b32_e32 v35, 3, v17
	v_sub_u32_e32 v19, 29, v36
	v_and_b32_e32 v18, 7, v18
	v_cmp_gt_u32_e64 s[0:1], 8, v17
	v_cndmask_b32_e64 v17, v35, v19, s[0:1]
	v_cndmask_b32_e64 v18, v24, v18, s[0:1]
	v_lshlrev_b32_e32 v9, 24, v9
	v_bfrev_b32_e32 v19, 60
	v_lshlrev_b32_e32 v18, 20, v18
	v_and_b32_e32 v9, 0x80000000, v9
	v_lshl_add_u32 v17, v17, 23, v19
	v_or3_b32 v19, v9, v17, v18
.LBB326_510:                            ;   in Loop: Header=BB326_414 Depth=1
	s_or_b64 exec, exec, s[16:17]
.LBB326_511:                            ;   in Loop: Header=BB326_414 Depth=1
	s_or_b64 exec, exec, s[14:15]
.LBB326_512:                            ;   in Loop: Header=BB326_414 Depth=1
	s_or_b64 exec, exec, s[12:13]
	v_mul_f32_e32 v9, s18, v22
	v_bfe_u32 v17, v9, 16, 1
	v_add3_u32 v17, v17, v9, s26
	v_or_b32_e32 v18, 0x400000, v9
	v_cmp_u_f32_e64 s[0:1], v9, v9
	v_cndmask_b32_e64 v9, v17, v18, s[0:1]
	v_lshrrev_b32_e32 v9, 16, v9
	buffer_store_dword v9, off, s[48:51], 0 offset:36 ; 4-byte Folded Spill
	v_mul_f32_e32 v9, s18, v21
	v_bfe_u32 v17, v9, 16, 1
	v_add3_u32 v17, v17, v9, s26
	v_or_b32_e32 v18, 0x400000, v9
	v_cmp_u_f32_e64 s[0:1], v9, v9
	v_cndmask_b32_e64 v9, v17, v18, s[0:1]
	v_lshrrev_b32_e32 v9, 16, v9
	buffer_store_dword v9, off, s[48:51], 0 offset:44 ; 4-byte Folded Spill
	;; [unrolled: 8-line block ×4, first 2 shown]
	v_mul_f32_e32 v9, s18, v11
	v_bfe_u32 v11, v9, 16, 1
	v_add3_u32 v11, v11, v9, s26
	v_or_b32_e32 v12, 0x400000, v9
	v_cmp_u_f32_e64 s[0:1], v9, v9
	v_cndmask_b32_e64 v9, v11, v12, s[0:1]
	v_lshrrev_b32_e32 v9, 16, v9
	v_mul_f32_e32 v0, s18, v0
	buffer_store_dword v9, off, s[48:51], 0 offset:64 ; 4-byte Folded Spill
	v_bfe_u32 v9, v0, 16, 1
	v_add3_u32 v9, v9, v0, s26
	v_or_b32_e32 v11, 0x400000, v0
	v_cmp_u_f32_e64 s[0:1], v0, v0
	v_cndmask_b32_e64 v0, v9, v11, s[0:1]
	v_lshrrev_b32_e32 v0, 16, v0
	buffer_store_dword v0, off, s[48:51], 0 offset:68 ; 4-byte Folded Spill
	v_mul_f32_e32 v0, s18, v23
	v_bfe_u32 v9, v0, 16, 1
	v_add3_u32 v9, v9, v0, s26
	v_or_b32_e32 v11, 0x400000, v0
	v_cmp_u_f32_e64 s[0:1], v0, v0
	v_cndmask_b32_e64 v0, v9, v11, s[0:1]
	v_lshrrev_b32_e32 v0, 16, v0
	buffer_store_dword v0, off, s[48:51], 0 offset:48 ; 4-byte Folded Spill
	v_mul_f32_e32 v0, s18, v19
	v_bfe_u32 v9, v0, 16, 1
	v_add3_u32 v9, v9, v0, s26
	v_or_b32_e32 v11, 0x400000, v0
	v_cmp_u_f32_e64 s[0:1], v0, v0
	v_cndmask_b32_e64 v0, v9, v11, s[0:1]
	v_lshrrev_b32_e32 v0, 16, v0
	buffer_store_dword v0, off, s[48:51], 0 offset:60 ; 4-byte Folded Spill
	s_and_saveexec_b64 s[12:13], vcc
	s_cbranch_execz .LBB326_514
; %bb.513:                              ;   in Loop: Header=BB326_414 Depth=1
	v_add_u32_e32 v0, -7, v33
	v_cmp_gt_i32_e64 s[0:1], s30, v0
	buffer_load_dword v0, off, s[48:51], 0 offset:68 ; 4-byte Folded Reload
	s_waitcnt vmcnt(0)
	v_cndmask_b32_e64 v0, 0, v0, s[0:1]
	buffer_store_dword v0, off, s[48:51], 0 offset:68 ; 4-byte Folded Spill
	v_add_u32_e32 v0, -6, v33
	v_cmp_gt_i32_e64 s[0:1], s30, v0
	buffer_load_dword v0, off, s[48:51], 0 offset:64 ; 4-byte Folded Reload
	s_waitcnt vmcnt(0)
	v_cndmask_b32_e64 v0, 0, v0, s[0:1]
	buffer_store_dword v0, off, s[48:51], 0 offset:64 ; 4-byte Folded Spill
	v_add_u32_e32 v0, -5, v33
	v_cmp_gt_i32_e64 s[0:1], s30, v0
	buffer_load_dword v0, off, s[48:51], 0 offset:56 ; 4-byte Folded Reload
	s_waitcnt vmcnt(0)
	v_cndmask_b32_e64 v0, 0, v0, s[0:1]
	buffer_store_dword v0, off, s[48:51], 0 offset:56 ; 4-byte Folded Spill
	v_add_u32_e32 v0, -4, v33
	v_cmp_gt_i32_e64 s[0:1], s30, v0
	buffer_load_dword v0, off, s[48:51], 0 offset:52 ; 4-byte Folded Reload
	s_waitcnt vmcnt(0)
	v_cndmask_b32_e64 v0, 0, v0, s[0:1]
	buffer_store_dword v0, off, s[48:51], 0 offset:52 ; 4-byte Folded Spill
	v_add_u32_e32 v0, -3, v33
	v_cmp_gt_i32_e64 s[0:1], s30, v0
	buffer_load_dword v0, off, s[48:51], 0 offset:44 ; 4-byte Folded Reload
	s_waitcnt vmcnt(0)
	v_cndmask_b32_e64 v0, 0, v0, s[0:1]
	buffer_store_dword v0, off, s[48:51], 0 offset:44 ; 4-byte Folded Spill
	v_add_u32_e32 v0, -2, v33
	v_cmp_gt_i32_e64 s[0:1], s30, v0
	buffer_load_dword v0, off, s[48:51], 0 offset:36 ; 4-byte Folded Reload
	s_waitcnt vmcnt(0)
	v_cndmask_b32_e64 v0, 0, v0, s[0:1]
	buffer_store_dword v0, off, s[48:51], 0 offset:36 ; 4-byte Folded Spill
	v_add_u32_e32 v0, -1, v33
	v_cmp_gt_i32_e64 s[0:1], s30, v0
	buffer_load_dword v0, off, s[48:51], 0 offset:48 ; 4-byte Folded Reload
	s_waitcnt vmcnt(0)
	v_cndmask_b32_e64 v0, 0, v0, s[0:1]
	buffer_store_dword v0, off, s[48:51], 0 offset:48 ; 4-byte Folded Spill
	buffer_load_dword v0, off, s[48:51], 0 offset:60 ; 4-byte Folded Reload
	v_cmp_gt_i32_e64 s[0:1], s30, v33
	s_waitcnt vmcnt(0)
	v_cndmask_b32_e64 v0, 0, v0, s[0:1]
	buffer_store_dword v0, off, s[48:51], 0 offset:60 ; 4-byte Folded Spill
.LBB326_514:                            ;   in Loop: Header=BB326_414 Depth=1
	s_or_b64 exec, exec, s[12:13]
	global_load_dwordx2 v[17:18], v[15:16], off offset:1024
	v_mov_b32_e32 v11, 0
	v_mov_b32_e32 v0, 0
	s_waitcnt vmcnt(0)
	v_cmp_ne_u16_sdwa s[0:1], v17, v10 src0_sel:BYTE_0 src1_sel:DWORD
	s_and_saveexec_b64 s[12:13], s[0:1]
	s_cbranch_execz .LBB326_520
; %bb.515:                              ;   in Loop: Header=BB326_414 Depth=1
	v_cmp_ne_u16_sdwa s[0:1], v17, s24 src0_sel:BYTE_0 src1_sel:DWORD
	v_bfrev_b32_e32 v0, 1
	s_and_saveexec_b64 s[14:15], s[0:1]
	s_cbranch_execz .LBB326_519
; %bb.516:                              ;   in Loop: Header=BB326_414 Depth=1
	v_and_b32_e32 v9, 0x7f, v17
	v_cmp_ne_u32_e64 s[0:1], s25, v9
	v_mov_b32_e32 v0, 0x7f800001
	s_and_saveexec_b64 s[16:17], s[0:1]
	s_cbranch_execz .LBB326_518
; %bb.517:                              ;   in Loop: Header=BB326_414 Depth=1
	v_and_b32_e32 v0, 7, v17
	v_ffbh_u32_e32 v0, v0
	v_min_u32_e32 v0, 32, v0
	v_subrev_u32_e32 v19, 28, v0
	v_cmp_gt_u32_e64 s[0:1], 8, v9
	v_lshrrev_b32_e32 v12, 3, v9
	v_cndmask_b32_e64 v9, 0, v19, s[0:1]
	v_lshlrev_b64 v[19:20], v9, v[17:18]
	v_sub_u32_e32 v0, 29, v0
	v_cndmask_b32_e64 v0, v12, v0, s[0:1]
	v_lshlrev_b32_e32 v9, 20, v19
	v_lshlrev_b32_e32 v12, 24, v17
	v_bfrev_b32_e32 v19, 60
	v_and_b32_e32 v9, 0x700000, v9
	v_and_b32_e32 v12, 0x80000000, v12
	v_lshl_add_u32 v0, v0, 23, v19
	v_or3_b32 v0, v12, v0, v9
.LBB326_518:                            ;   in Loop: Header=BB326_414 Depth=1
	s_or_b64 exec, exec, s[16:17]
.LBB326_519:                            ;   in Loop: Header=BB326_414 Depth=1
	s_or_b64 exec, exec, s[14:15]
.LBB326_520:                            ;   in Loop: Header=BB326_414 Depth=1
	s_or_b64 exec, exec, s[12:13]
	v_lshrrev_b16_e32 v9, 8, v17
	v_cmp_ne_u16_e64 s[0:1], 0, v9
	s_and_saveexec_b64 s[12:13], s[0:1]
	s_cbranch_execz .LBB326_526
; %bb.521:                              ;   in Loop: Header=BB326_414 Depth=1
	v_cmp_ne_u16_e64 s[0:1], s24, v9
	v_bfrev_b32_e32 v11, 1
	s_and_saveexec_b64 s[14:15], s[0:1]
	s_cbranch_execz .LBB326_525
; %bb.522:                              ;   in Loop: Header=BB326_414 Depth=1
	v_and_b32_e32 v12, 0x7f, v9
	v_cmp_ne_u32_e64 s[0:1], s25, v12
	v_mov_b32_e32 v11, 0x7f800001
	s_and_saveexec_b64 s[16:17], s[0:1]
	s_cbranch_execz .LBB326_524
; %bb.523:                              ;   in Loop: Header=BB326_414 Depth=1
	v_and_b32_e32 v19, 7, v9
	v_ffbh_u32_e32 v11, v19
	v_min_u32_e32 v21, 32, v11
	v_subrev_u32_e32 v11, 28, v21
	v_lshrrev_b32_e32 v20, 3, v12
	v_cmp_gt_u32_e64 s[0:1], 8, v12
	v_lshlrev_b64 v[11:12], v11, v[9:10]
	v_sub_u32_e32 v9, 29, v21
	v_and_b32_e32 v11, 7, v11
	v_cndmask_b32_e64 v9, v20, v9, s[0:1]
	v_cndmask_b32_e64 v11, v19, v11, s[0:1]
	v_lshlrev_b32_e32 v12, 16, v17
	v_bfrev_b32_e32 v19, 60
	v_lshlrev_b32_e32 v11, 20, v11
	v_and_b32_e32 v12, 0x80000000, v12
	v_lshl_add_u32 v9, v9, 23, v19
	v_or3_b32 v11, v12, v9, v11
.LBB326_524:                            ;   in Loop: Header=BB326_414 Depth=1
	s_or_b64 exec, exec, s[16:17]
.LBB326_525:                            ;   in Loop: Header=BB326_414 Depth=1
	s_or_b64 exec, exec, s[14:15]
.LBB326_526:                            ;   in Loop: Header=BB326_414 Depth=1
	s_or_b64 exec, exec, s[12:13]
	v_lshrrev_b32_e32 v9, 16, v17
	v_cmp_ne_u16_sdwa s[0:1], v9, v10 src0_sel:BYTE_0 src1_sel:DWORD
	v_mov_b32_e32 v20, 0
	v_mov_b32_e32 v12, 0
	s_and_saveexec_b64 s[12:13], s[0:1]
	s_cbranch_execz .LBB326_532
; %bb.527:                              ;   in Loop: Header=BB326_414 Depth=1
	v_cmp_ne_u16_sdwa s[0:1], v9, s24 src0_sel:BYTE_0 src1_sel:DWORD
	v_bfrev_b32_e32 v12, 1
	s_and_saveexec_b64 s[14:15], s[0:1]
	s_cbranch_execz .LBB326_531
; %bb.528:                              ;   in Loop: Header=BB326_414 Depth=1
	v_bfe_u32 v19, v17, 16, 7
	v_cmp_ne_u32_e64 s[0:1], s25, v19
	v_mov_b32_e32 v12, 0x7f800001
	s_and_saveexec_b64 s[16:17], s[0:1]
	s_cbranch_execz .LBB326_530
; %bb.529:                              ;   in Loop: Header=BB326_414 Depth=1
	v_and_b32_e32 v12, 7, v9
	v_lshrrev_b32_e32 v23, 3, v19
	v_cmp_gt_u32_e64 s[0:1], 8, v19
	v_ffbh_u32_e32 v19, v12
	v_min_u32_e32 v19, 32, v19
	v_subrev_u32_e32 v21, 28, v19
	v_lshlrev_b64 v[21:22], v21, v[9:10]
	v_sub_u32_e32 v19, 29, v19
	v_and_b32_e32 v21, 7, v21
	v_cndmask_b32_e64 v19, v23, v19, s[0:1]
	v_cndmask_b32_e64 v12, v12, v21, s[0:1]
	v_lshlrev_b32_e32 v9, 24, v9
	v_bfrev_b32_e32 v21, 60
	v_lshlrev_b32_e32 v12, 20, v12
	v_and_b32_e32 v9, 0x80000000, v9
	v_lshl_add_u32 v19, v19, 23, v21
	v_or3_b32 v12, v9, v19, v12
.LBB326_530:                            ;   in Loop: Header=BB326_414 Depth=1
	s_or_b64 exec, exec, s[16:17]
.LBB326_531:                            ;   in Loop: Header=BB326_414 Depth=1
	s_or_b64 exec, exec, s[14:15]
.LBB326_532:                            ;   in Loop: Header=BB326_414 Depth=1
	s_or_b64 exec, exec, s[12:13]
	v_cmp_lt_u32_e64 s[0:1], s5, v17
	s_and_saveexec_b64 s[12:13], s[0:1]
	s_cbranch_execz .LBB326_538
; %bb.533:                              ;   in Loop: Header=BB326_414 Depth=1
	v_lshrrev_b32_e32 v9, 24, v17
	v_cmp_ne_u32_e64 s[0:1], s24, v9
	v_bfrev_b32_e32 v20, 1
	s_and_saveexec_b64 s[14:15], s[0:1]
	s_cbranch_execz .LBB326_537
; %bb.534:                              ;   in Loop: Header=BB326_414 Depth=1
	v_bfe_u32 v19, v17, 24, 7
	v_cmp_ne_u32_e64 s[0:1], s25, v19
	v_mov_b32_e32 v20, 0x7f800001
	s_and_saveexec_b64 s[16:17], s[0:1]
	s_cbranch_execz .LBB326_536
; %bb.535:                              ;   in Loop: Header=BB326_414 Depth=1
	v_and_b32_e32 v21, 7, v9
	v_lshrrev_b32_e32 v22, 3, v19
	v_cmp_gt_u32_e64 s[0:1], 8, v19
	v_ffbh_u32_e32 v19, v21
	v_min_u32_e32 v23, 32, v19
	v_subrev_u32_e32 v19, 28, v23
	v_lshlrev_b64 v[19:20], v19, v[9:10]
	v_sub_u32_e32 v20, 29, v23
	v_and_b32_e32 v19, 7, v19
	v_cndmask_b32_e64 v20, v22, v20, s[0:1]
	v_cndmask_b32_e64 v19, v21, v19, s[0:1]
	v_lshlrev_b32_e32 v9, 24, v9
	v_bfrev_b32_e32 v21, 60
	v_lshlrev_b32_e32 v19, 20, v19
	v_and_b32_e32 v9, 0x80000000, v9
	v_lshl_add_u32 v20, v20, 23, v21
	v_or3_b32 v20, v9, v20, v19
.LBB326_536:                            ;   in Loop: Header=BB326_414 Depth=1
	s_or_b64 exec, exec, s[16:17]
.LBB326_537:                            ;   in Loop: Header=BB326_414 Depth=1
	s_or_b64 exec, exec, s[14:15]
.LBB326_538:                            ;   in Loop: Header=BB326_414 Depth=1
	s_or_b64 exec, exec, s[12:13]
	v_mov_b32_e32 v9, v18
	v_cmp_ne_u16_sdwa s[0:1], v18, v10 src0_sel:BYTE_0 src1_sel:DWORD
	v_mov_b32_e32 v22, 0
	v_mov_b32_e32 v21, 0
	s_and_saveexec_b64 s[12:13], s[0:1]
	s_cbranch_execz .LBB326_544
; %bb.539:                              ;   in Loop: Header=BB326_414 Depth=1
	v_cmp_ne_u16_sdwa s[0:1], v18, s24 src0_sel:BYTE_0 src1_sel:DWORD
	v_bfrev_b32_e32 v21, 1
	s_and_saveexec_b64 s[14:15], s[0:1]
	s_cbranch_execz .LBB326_543
; %bb.540:                              ;   in Loop: Header=BB326_414 Depth=1
	v_and_b32_e32 v19, 0x7f, v18
	v_cmp_ne_u32_e64 s[0:1], s25, v19
	v_mov_b32_e32 v21, 0x7f800001
	s_and_saveexec_b64 s[16:17], s[0:1]
	s_cbranch_execz .LBB326_542
; %bb.541:                              ;   in Loop: Header=BB326_414 Depth=1
	v_and_b32_e32 v21, 7, v18
	v_lshrrev_b32_e32 v23, 3, v19
	v_cmp_gt_u32_e64 s[0:1], 8, v19
	v_ffbh_u32_e32 v19, v21
	v_min_u32_e32 v19, 32, v19
	v_subrev_u32_e32 v21, 28, v19
	v_sub_u32_e32 v19, 29, v19
	v_cndmask_b32_e64 v21, 0, v21, s[0:1]
	v_cndmask_b32_e64 v19, v23, v19, s[0:1]
	v_lshlrev_b64 v[23:24], v21, v[9:10]
	v_bfrev_b32_e32 v24, 60
	v_lshlrev_b32_e32 v21, 20, v23
	v_lshlrev_b32_e32 v23, 24, v9
	v_and_b32_e32 v21, 0x700000, v21
	v_and_b32_e32 v23, 0x80000000, v23
	v_lshl_add_u32 v19, v19, 23, v24
	v_or3_b32 v21, v23, v19, v21
.LBB326_542:                            ;   in Loop: Header=BB326_414 Depth=1
	s_or_b64 exec, exec, s[16:17]
.LBB326_543:                            ;   in Loop: Header=BB326_414 Depth=1
	s_or_b64 exec, exec, s[14:15]
.LBB326_544:                            ;   in Loop: Header=BB326_414 Depth=1
	s_or_b64 exec, exec, s[12:13]
	v_lshrrev_b16_e32 v19, 8, v9
	v_cmp_ne_u16_e64 s[0:1], 0, v19
	s_and_saveexec_b64 s[12:13], s[0:1]
	s_cbranch_execz .LBB326_550
; %bb.545:                              ;   in Loop: Header=BB326_414 Depth=1
	v_cmp_ne_u16_e64 s[0:1], s24, v19
	v_bfrev_b32_e32 v22, 1
	s_and_saveexec_b64 s[14:15], s[0:1]
	s_cbranch_execz .LBB326_549
; %bb.546:                              ;   in Loop: Header=BB326_414 Depth=1
	v_and_b32_e32 v23, 0x7f, v19
	v_cmp_ne_u32_e64 s[0:1], s25, v23
	v_mov_b32_e32 v22, 0x7f800001
	s_and_saveexec_b64 s[16:17], s[0:1]
	s_cbranch_execz .LBB326_548
; %bb.547:                              ;   in Loop: Header=BB326_414 Depth=1
	v_and_b32_e32 v24, 7, v19
	v_ffbh_u32_e32 v22, v24
	v_min_u32_e32 v36, 32, v22
	v_subrev_u32_e32 v22, 28, v36
	v_lshrrev_b32_e32 v35, 3, v23
	v_cmp_gt_u32_e64 s[0:1], 8, v23
	v_lshlrev_b64 v[22:23], v22, v[19:20]
	v_sub_u32_e32 v19, 29, v36
	v_and_b32_e32 v22, 7, v22
	v_cndmask_b32_e64 v19, v35, v19, s[0:1]
	v_cndmask_b32_e64 v22, v24, v22, s[0:1]
	v_lshlrev_b32_e32 v9, 16, v9
	v_bfrev_b32_e32 v23, 60
	v_lshlrev_b32_e32 v22, 20, v22
	v_and_b32_e32 v9, 0x80000000, v9
	v_lshl_add_u32 v19, v19, 23, v23
	v_or3_b32 v22, v9, v19, v22
.LBB326_548:                            ;   in Loop: Header=BB326_414 Depth=1
	s_or_b64 exec, exec, s[16:17]
.LBB326_549:                            ;   in Loop: Header=BB326_414 Depth=1
	s_or_b64 exec, exec, s[14:15]
.LBB326_550:                            ;   in Loop: Header=BB326_414 Depth=1
	s_or_b64 exec, exec, s[12:13]
	v_lshrrev_b32_e32 v9, 16, v18
	v_cmp_ne_u16_sdwa s[0:1], v9, v10 src0_sel:BYTE_0 src1_sel:DWORD
	v_mov_b32_e32 v19, 0
	v_mov_b32_e32 v23, 0
	s_and_saveexec_b64 s[12:13], s[0:1]
	s_cbranch_execz .LBB326_556
; %bb.551:                              ;   in Loop: Header=BB326_414 Depth=1
	v_cmp_ne_u16_sdwa s[0:1], v9, s24 src0_sel:BYTE_0 src1_sel:DWORD
	v_bfrev_b32_e32 v23, 1
	s_and_saveexec_b64 s[14:15], s[0:1]
	s_cbranch_execz .LBB326_555
; %bb.552:                              ;   in Loop: Header=BB326_414 Depth=1
	v_bfe_u32 v24, v18, 16, 7
	v_cmp_ne_u32_e64 s[0:1], s25, v24
	v_mov_b32_e32 v23, 0x7f800001
	s_and_saveexec_b64 s[16:17], s[0:1]
	s_cbranch_execz .LBB326_554
; %bb.553:                              ;   in Loop: Header=BB326_414 Depth=1
	v_and_b32_e32 v35, 7, v9
	v_ffbh_u32_e32 v23, v35
	v_min_u32_e32 v37, 32, v23
	v_subrev_u32_e32 v23, 28, v37
	v_lshrrev_b32_e32 v36, 3, v24
	v_cmp_gt_u32_e64 s[0:1], 8, v24
	v_lshlrev_b64 v[23:24], v23, v[9:10]
	v_sub_u32_e32 v24, 29, v37
	v_and_b32_e32 v23, 7, v23
	v_cndmask_b32_e64 v24, v36, v24, s[0:1]
	v_cndmask_b32_e64 v23, v35, v23, s[0:1]
	v_lshlrev_b32_e32 v9, 24, v9
	v_bfrev_b32_e32 v35, 60
	v_lshlrev_b32_e32 v23, 20, v23
	v_and_b32_e32 v9, 0x80000000, v9
	v_lshl_add_u32 v24, v24, 23, v35
	v_or3_b32 v23, v9, v24, v23
.LBB326_554:                            ;   in Loop: Header=BB326_414 Depth=1
	s_or_b64 exec, exec, s[16:17]
.LBB326_555:                            ;   in Loop: Header=BB326_414 Depth=1
	s_or_b64 exec, exec, s[14:15]
.LBB326_556:                            ;   in Loop: Header=BB326_414 Depth=1
	s_or_b64 exec, exec, s[12:13]
	v_cmp_lt_u64_e64 s[0:1], s[4:5], v[17:18]
	s_and_saveexec_b64 s[12:13], s[0:1]
	s_cbranch_execz .LBB326_562
; %bb.557:                              ;   in Loop: Header=BB326_414 Depth=1
	v_lshrrev_b32_e32 v9, 24, v18
	v_cmp_ne_u32_e64 s[0:1], s24, v9
	v_bfrev_b32_e32 v19, 1
	s_and_saveexec_b64 s[14:15], s[0:1]
	s_cbranch_execz .LBB326_561
; %bb.558:                              ;   in Loop: Header=BB326_414 Depth=1
	v_bfe_u32 v17, v18, 24, 7
	v_cmp_ne_u32_e64 s[0:1], s25, v17
	v_mov_b32_e32 v19, 0x7f800001
	s_and_saveexec_b64 s[16:17], s[0:1]
	s_cbranch_execz .LBB326_560
; %bb.559:                              ;   in Loop: Header=BB326_414 Depth=1
	v_and_b32_e32 v19, 7, v9
	v_lshrrev_b32_e32 v24, 3, v17
	v_cmp_gt_u32_e64 s[0:1], 8, v17
	v_ffbh_u32_e32 v17, v19
	v_min_u32_e32 v35, 32, v17
	v_subrev_u32_e32 v17, 28, v35
	v_lshlrev_b64 v[17:18], v17, v[9:10]
	v_sub_u32_e32 v18, 29, v35
	v_and_b32_e32 v17, 7, v17
	v_cndmask_b32_e64 v18, v24, v18, s[0:1]
	v_cndmask_b32_e64 v17, v19, v17, s[0:1]
	v_lshlrev_b32_e32 v9, 24, v9
	v_bfrev_b32_e32 v19, 60
	v_lshlrev_b32_e32 v17, 20, v17
	v_and_b32_e32 v9, 0x80000000, v9
	v_lshl_add_u32 v18, v18, 23, v19
	v_or3_b32 v19, v9, v18, v17
.LBB326_560:                            ;   in Loop: Header=BB326_414 Depth=1
	s_or_b64 exec, exec, s[16:17]
.LBB326_561:                            ;   in Loop: Header=BB326_414 Depth=1
	s_or_b64 exec, exec, s[14:15]
.LBB326_562:                            ;   in Loop: Header=BB326_414 Depth=1
	s_or_b64 exec, exec, s[12:13]
	v_mul_f32_e32 v9, s18, v22
	v_bfe_u32 v17, v9, 16, 1
	v_add3_u32 v17, v17, v9, s26
	v_or_b32_e32 v18, 0x400000, v9
	v_cmp_u_f32_e64 s[0:1], v9, v9
	v_cndmask_b32_e64 v9, v17, v18, s[0:1]
	v_lshrrev_b32_e32 v9, 16, v9
	buffer_store_dword v9, off, s[48:51], 0 offset:76 ; 4-byte Folded Spill
	v_mul_f32_e32 v9, s18, v21
	v_bfe_u32 v17, v9, 16, 1
	v_add3_u32 v17, v17, v9, s26
	v_or_b32_e32 v18, 0x400000, v9
	v_cmp_u_f32_e64 s[0:1], v9, v9
	v_cndmask_b32_e64 v9, v17, v18, s[0:1]
	v_lshrrev_b32_e32 v9, 16, v9
	buffer_store_dword v9, off, s[48:51], 0 offset:72 ; 4-byte Folded Spill
	;; [unrolled: 8-line block ×4, first 2 shown]
	v_mul_f32_e32 v9, s18, v11
	v_bfe_u32 v11, v9, 16, 1
	v_add3_u32 v11, v11, v9, s26
	v_or_b32_e32 v12, 0x400000, v9
	v_cmp_u_f32_e64 s[0:1], v9, v9
	v_cndmask_b32_e64 v9, v11, v12, s[0:1]
	v_lshrrev_b32_e32 v9, 16, v9
	v_mul_f32_e32 v0, s18, v0
	buffer_store_dword v9, off, s[48:51], 0 offset:100 ; 4-byte Folded Spill
	v_bfe_u32 v9, v0, 16, 1
	v_add3_u32 v9, v9, v0, s26
	v_or_b32_e32 v11, 0x400000, v0
	v_cmp_u_f32_e64 s[0:1], v0, v0
	v_cndmask_b32_e64 v0, v9, v11, s[0:1]
	v_lshrrev_b32_e32 v0, 16, v0
	buffer_store_dword v0, off, s[48:51], 0 offset:96 ; 4-byte Folded Spill
	v_mul_f32_e32 v0, s18, v23
	v_bfe_u32 v9, v0, 16, 1
	v_add3_u32 v9, v9, v0, s26
	v_or_b32_e32 v11, 0x400000, v0
	v_cmp_u_f32_e64 s[0:1], v0, v0
	v_cndmask_b32_e64 v0, v9, v11, s[0:1]
	v_lshrrev_b32_e32 v0, 16, v0
	buffer_store_dword v0, off, s[48:51], 0 offset:80 ; 4-byte Folded Spill
	v_mul_f32_e32 v0, s18, v19
	v_bfe_u32 v9, v0, 16, 1
	v_add3_u32 v9, v9, v0, s26
	v_or_b32_e32 v11, 0x400000, v0
	v_cmp_u_f32_e64 s[0:1], v0, v0
	v_cndmask_b32_e64 v0, v9, v11, s[0:1]
	v_lshrrev_b32_e32 v0, 16, v0
	buffer_store_dword v0, off, s[48:51], 0 offset:92 ; 4-byte Folded Spill
	s_and_saveexec_b64 s[12:13], vcc
	s_cbranch_execz .LBB326_564
; %bb.563:                              ;   in Loop: Header=BB326_414 Depth=1
	v_add_u32_e32 v0, -7, v33
	v_cmp_gt_i32_e64 s[0:1], s30, v0
	buffer_load_dword v0, off, s[48:51], 0 offset:96 ; 4-byte Folded Reload
	s_waitcnt vmcnt(0)
	v_cndmask_b32_e64 v0, 0, v0, s[0:1]
	buffer_store_dword v0, off, s[48:51], 0 offset:96 ; 4-byte Folded Spill
	v_add_u32_e32 v0, -6, v33
	v_cmp_gt_i32_e64 s[0:1], s30, v0
	buffer_load_dword v0, off, s[48:51], 0 offset:100 ; 4-byte Folded Reload
	s_waitcnt vmcnt(0)
	v_cndmask_b32_e64 v0, 0, v0, s[0:1]
	buffer_store_dword v0, off, s[48:51], 0 offset:100 ; 4-byte Folded Spill
	;; [unrolled: 6-line block ×7, first 2 shown]
	buffer_load_dword v0, off, s[48:51], 0 offset:92 ; 4-byte Folded Reload
	v_cmp_gt_i32_e64 s[0:1], s30, v33
	s_waitcnt vmcnt(0)
	v_cndmask_b32_e64 v0, 0, v0, s[0:1]
	buffer_store_dword v0, off, s[48:51], 0 offset:92 ; 4-byte Folded Spill
.LBB326_564:                            ;   in Loop: Header=BB326_414 Depth=1
	s_or_b64 exec, exec, s[12:13]
	global_load_dwordx2 v[17:18], v[15:16], off offset:1536
	v_mov_b32_e32 v11, 0
	v_mov_b32_e32 v0, 0
	s_waitcnt vmcnt(0)
	v_cmp_ne_u16_sdwa s[0:1], v17, v10 src0_sel:BYTE_0 src1_sel:DWORD
	s_and_saveexec_b64 s[12:13], s[0:1]
	s_cbranch_execz .LBB326_570
; %bb.565:                              ;   in Loop: Header=BB326_414 Depth=1
	v_cmp_ne_u16_sdwa s[0:1], v17, s24 src0_sel:BYTE_0 src1_sel:DWORD
	v_bfrev_b32_e32 v0, 1
	s_and_saveexec_b64 s[14:15], s[0:1]
	s_cbranch_execz .LBB326_569
; %bb.566:                              ;   in Loop: Header=BB326_414 Depth=1
	v_and_b32_e32 v9, 0x7f, v17
	v_cmp_ne_u32_e64 s[0:1], s25, v9
	v_mov_b32_e32 v0, 0x7f800001
	s_and_saveexec_b64 s[16:17], s[0:1]
	s_cbranch_execz .LBB326_568
; %bb.567:                              ;   in Loop: Header=BB326_414 Depth=1
	v_and_b32_e32 v0, 7, v17
	v_ffbh_u32_e32 v0, v0
	v_min_u32_e32 v0, 32, v0
	v_lshrrev_b32_e32 v12, 3, v9
	v_cmp_gt_u32_e64 s[0:1], 8, v9
	v_subrev_u32_e32 v9, 28, v0
	v_cndmask_b32_e64 v9, 0, v9, s[0:1]
	v_lshlrev_b64 v[19:20], v9, v[17:18]
	v_sub_u32_e32 v0, 29, v0
	v_cndmask_b32_e64 v0, v12, v0, s[0:1]
	v_lshlrev_b32_e32 v9, 20, v19
	v_lshlrev_b32_e32 v12, 24, v17
	v_bfrev_b32_e32 v19, 60
	v_and_b32_e32 v9, 0x700000, v9
	v_and_b32_e32 v12, 0x80000000, v12
	v_lshl_add_u32 v0, v0, 23, v19
	v_or3_b32 v0, v12, v0, v9
.LBB326_568:                            ;   in Loop: Header=BB326_414 Depth=1
	s_or_b64 exec, exec, s[16:17]
.LBB326_569:                            ;   in Loop: Header=BB326_414 Depth=1
	s_or_b64 exec, exec, s[14:15]
.LBB326_570:                            ;   in Loop: Header=BB326_414 Depth=1
	s_or_b64 exec, exec, s[12:13]
	v_lshrrev_b16_e32 v9, 8, v17
	v_cmp_ne_u16_e64 s[0:1], 0, v9
	s_and_saveexec_b64 s[12:13], s[0:1]
	s_cbranch_execz .LBB326_576
; %bb.571:                              ;   in Loop: Header=BB326_414 Depth=1
	v_cmp_ne_u16_e64 s[0:1], s24, v9
	v_bfrev_b32_e32 v11, 1
	s_and_saveexec_b64 s[14:15], s[0:1]
	s_cbranch_execz .LBB326_575
; %bb.572:                              ;   in Loop: Header=BB326_414 Depth=1
	v_and_b32_e32 v12, 0x7f, v9
	v_cmp_ne_u32_e64 s[0:1], s25, v12
	v_mov_b32_e32 v11, 0x7f800001
	s_and_saveexec_b64 s[16:17], s[0:1]
	s_cbranch_execz .LBB326_574
; %bb.573:                              ;   in Loop: Header=BB326_414 Depth=1
	v_and_b32_e32 v19, 7, v9
	v_ffbh_u32_e32 v11, v19
	v_min_u32_e32 v21, 32, v11
	v_subrev_u32_e32 v11, 28, v21
	v_lshrrev_b32_e32 v20, 3, v12
	v_cmp_gt_u32_e64 s[0:1], 8, v12
	v_lshlrev_b64 v[11:12], v11, v[9:10]
	v_sub_u32_e32 v9, 29, v21
	v_and_b32_e32 v11, 7, v11
	v_cndmask_b32_e64 v9, v20, v9, s[0:1]
	v_cndmask_b32_e64 v11, v19, v11, s[0:1]
	v_lshlrev_b32_e32 v12, 16, v17
	v_bfrev_b32_e32 v19, 60
	v_lshlrev_b32_e32 v11, 20, v11
	v_and_b32_e32 v12, 0x80000000, v12
	v_lshl_add_u32 v9, v9, 23, v19
	v_or3_b32 v11, v12, v9, v11
.LBB326_574:                            ;   in Loop: Header=BB326_414 Depth=1
	s_or_b64 exec, exec, s[16:17]
.LBB326_575:                            ;   in Loop: Header=BB326_414 Depth=1
	s_or_b64 exec, exec, s[14:15]
.LBB326_576:                            ;   in Loop: Header=BB326_414 Depth=1
	s_or_b64 exec, exec, s[12:13]
	v_lshrrev_b32_e32 v9, 16, v17
	v_cmp_ne_u16_sdwa s[0:1], v9, v10 src0_sel:BYTE_0 src1_sel:DWORD
	v_mov_b32_e32 v20, 0
	v_mov_b32_e32 v12, 0
	s_and_saveexec_b64 s[12:13], s[0:1]
	s_cbranch_execz .LBB326_582
; %bb.577:                              ;   in Loop: Header=BB326_414 Depth=1
	v_cmp_ne_u16_sdwa s[0:1], v9, s24 src0_sel:BYTE_0 src1_sel:DWORD
	v_bfrev_b32_e32 v12, 1
	s_and_saveexec_b64 s[14:15], s[0:1]
	s_cbranch_execz .LBB326_581
; %bb.578:                              ;   in Loop: Header=BB326_414 Depth=1
	v_bfe_u32 v19, v17, 16, 7
	v_cmp_ne_u32_e64 s[0:1], s25, v19
	v_mov_b32_e32 v12, 0x7f800001
	s_and_saveexec_b64 s[16:17], s[0:1]
	s_cbranch_execz .LBB326_580
; %bb.579:                              ;   in Loop: Header=BB326_414 Depth=1
	v_and_b32_e32 v12, 7, v9
	v_lshrrev_b32_e32 v23, 3, v19
	v_cmp_gt_u32_e64 s[0:1], 8, v19
	v_ffbh_u32_e32 v19, v12
	v_min_u32_e32 v19, 32, v19
	v_subrev_u32_e32 v21, 28, v19
	v_lshlrev_b64 v[21:22], v21, v[9:10]
	v_sub_u32_e32 v19, 29, v19
	v_and_b32_e32 v21, 7, v21
	v_cndmask_b32_e64 v19, v23, v19, s[0:1]
	v_cndmask_b32_e64 v12, v12, v21, s[0:1]
	v_lshlrev_b32_e32 v9, 24, v9
	v_bfrev_b32_e32 v21, 60
	v_lshlrev_b32_e32 v12, 20, v12
	v_and_b32_e32 v9, 0x80000000, v9
	v_lshl_add_u32 v19, v19, 23, v21
	v_or3_b32 v12, v9, v19, v12
.LBB326_580:                            ;   in Loop: Header=BB326_414 Depth=1
	s_or_b64 exec, exec, s[16:17]
.LBB326_581:                            ;   in Loop: Header=BB326_414 Depth=1
	s_or_b64 exec, exec, s[14:15]
.LBB326_582:                            ;   in Loop: Header=BB326_414 Depth=1
	s_or_b64 exec, exec, s[12:13]
	v_cmp_lt_u32_e64 s[0:1], s5, v17
	s_and_saveexec_b64 s[12:13], s[0:1]
	s_cbranch_execz .LBB326_588
; %bb.583:                              ;   in Loop: Header=BB326_414 Depth=1
	v_lshrrev_b32_e32 v9, 24, v17
	v_cmp_ne_u32_e64 s[0:1], s24, v9
	v_bfrev_b32_e32 v20, 1
	s_and_saveexec_b64 s[14:15], s[0:1]
	s_cbranch_execz .LBB326_587
; %bb.584:                              ;   in Loop: Header=BB326_414 Depth=1
	v_bfe_u32 v19, v17, 24, 7
	v_cmp_ne_u32_e64 s[0:1], s25, v19
	v_mov_b32_e32 v20, 0x7f800001
	s_and_saveexec_b64 s[16:17], s[0:1]
	s_cbranch_execz .LBB326_586
; %bb.585:                              ;   in Loop: Header=BB326_414 Depth=1
	v_and_b32_e32 v21, 7, v9
	v_lshrrev_b32_e32 v22, 3, v19
	v_cmp_gt_u32_e64 s[0:1], 8, v19
	v_ffbh_u32_e32 v19, v21
	v_min_u32_e32 v23, 32, v19
	v_subrev_u32_e32 v19, 28, v23
	v_lshlrev_b64 v[19:20], v19, v[9:10]
	v_sub_u32_e32 v20, 29, v23
	v_and_b32_e32 v19, 7, v19
	v_cndmask_b32_e64 v20, v22, v20, s[0:1]
	v_cndmask_b32_e64 v19, v21, v19, s[0:1]
	v_lshlrev_b32_e32 v9, 24, v9
	v_bfrev_b32_e32 v21, 60
	v_lshlrev_b32_e32 v19, 20, v19
	v_and_b32_e32 v9, 0x80000000, v9
	v_lshl_add_u32 v20, v20, 23, v21
	v_or3_b32 v20, v9, v20, v19
.LBB326_586:                            ;   in Loop: Header=BB326_414 Depth=1
	s_or_b64 exec, exec, s[16:17]
.LBB326_587:                            ;   in Loop: Header=BB326_414 Depth=1
	s_or_b64 exec, exec, s[14:15]
.LBB326_588:                            ;   in Loop: Header=BB326_414 Depth=1
	s_or_b64 exec, exec, s[12:13]
	v_mov_b32_e32 v9, v18
	v_cmp_ne_u16_sdwa s[0:1], v18, v10 src0_sel:BYTE_0 src1_sel:DWORD
	v_mov_b32_e32 v23, 0
	v_mov_b32_e32 v22, 0
	s_and_saveexec_b64 s[12:13], s[0:1]
	s_cbranch_execz .LBB326_594
; %bb.589:                              ;   in Loop: Header=BB326_414 Depth=1
	v_cmp_ne_u16_sdwa s[0:1], v18, s24 src0_sel:BYTE_0 src1_sel:DWORD
	v_bfrev_b32_e32 v22, 1
	s_and_saveexec_b64 s[14:15], s[0:1]
	s_cbranch_execz .LBB326_593
; %bb.590:                              ;   in Loop: Header=BB326_414 Depth=1
	v_and_b32_e32 v19, 0x7f, v18
	v_cmp_ne_u32_e64 s[0:1], s25, v19
	v_mov_b32_e32 v22, 0x7f800001
	s_and_saveexec_b64 s[16:17], s[0:1]
	s_cbranch_execz .LBB326_592
; %bb.591:                              ;   in Loop: Header=BB326_414 Depth=1
	v_and_b32_e32 v21, 7, v18
	v_lshrrev_b32_e32 v22, 3, v19
	v_cmp_gt_u32_e64 s[0:1], 8, v19
	v_ffbh_u32_e32 v19, v21
	v_min_u32_e32 v19, 32, v19
	v_subrev_u32_e32 v21, 28, v19
	v_sub_u32_e32 v19, 29, v19
	v_cndmask_b32_e64 v21, 0, v21, s[0:1]
	v_cndmask_b32_e64 v19, v22, v19, s[0:1]
	v_lshlrev_b64 v[21:22], v21, v[9:10]
	v_lshlrev_b32_e32 v22, 24, v9
	v_lshlrev_b32_e32 v21, 20, v21
	v_bfrev_b32_e32 v24, 60
	v_and_b32_e32 v21, 0x700000, v21
	v_and_b32_e32 v22, 0x80000000, v22
	v_lshl_add_u32 v19, v19, 23, v24
	v_or3_b32 v22, v22, v19, v21
.LBB326_592:                            ;   in Loop: Header=BB326_414 Depth=1
	s_or_b64 exec, exec, s[16:17]
.LBB326_593:                            ;   in Loop: Header=BB326_414 Depth=1
	s_or_b64 exec, exec, s[14:15]
.LBB326_594:                            ;   in Loop: Header=BB326_414 Depth=1
	s_or_b64 exec, exec, s[12:13]
	v_lshrrev_b16_e32 v19, 8, v9
	v_cmp_ne_u16_e64 s[0:1], 0, v19
	s_and_saveexec_b64 s[12:13], s[0:1]
	s_cbranch_execz .LBB326_600
; %bb.595:                              ;   in Loop: Header=BB326_414 Depth=1
	v_cmp_ne_u16_e64 s[0:1], s24, v19
	v_bfrev_b32_e32 v23, 1
	s_and_saveexec_b64 s[14:15], s[0:1]
	s_cbranch_execz .LBB326_599
; %bb.596:                              ;   in Loop: Header=BB326_414 Depth=1
	v_and_b32_e32 v21, 0x7f, v19
	v_cmp_ne_u32_e64 s[0:1], s25, v21
	v_mov_b32_e32 v23, 0x7f800001
	s_and_saveexec_b64 s[16:17], s[0:1]
	s_cbranch_execz .LBB326_598
; %bb.597:                              ;   in Loop: Header=BB326_414 Depth=1
	v_and_b32_e32 v35, 7, v19
	v_lshrrev_b32_e32 v36, 3, v21
	v_cmp_gt_u32_e64 s[0:1], 8, v21
	v_ffbh_u32_e32 v21, v35
	v_min_u32_e32 v21, 32, v21
	v_subrev_u32_e32 v23, 28, v21
	v_lshlrev_b64 v[23:24], v23, v[19:20]
	v_sub_u32_e32 v19, 29, v21
	v_and_b32_e32 v21, 7, v23
	v_cndmask_b32_e64 v19, v36, v19, s[0:1]
	v_cndmask_b32_e64 v21, v35, v21, s[0:1]
	v_lshlrev_b32_e32 v9, 16, v9
	v_bfrev_b32_e32 v23, 60
	v_lshlrev_b32_e32 v21, 20, v21
	v_and_b32_e32 v9, 0x80000000, v9
	v_lshl_add_u32 v19, v19, 23, v23
	v_or3_b32 v23, v9, v19, v21
.LBB326_598:                            ;   in Loop: Header=BB326_414 Depth=1
	s_or_b64 exec, exec, s[16:17]
.LBB326_599:                            ;   in Loop: Header=BB326_414 Depth=1
	s_or_b64 exec, exec, s[14:15]
.LBB326_600:                            ;   in Loop: Header=BB326_414 Depth=1
	s_or_b64 exec, exec, s[12:13]
	v_lshrrev_b32_e32 v9, 16, v18
	v_cmp_ne_u16_sdwa s[0:1], v9, v10 src0_sel:BYTE_0 src1_sel:DWORD
	v_mov_b32_e32 v19, 0
	v_mov_b32_e32 v21, 0
	s_and_saveexec_b64 s[12:13], s[0:1]
	s_cbranch_execz .LBB326_606
; %bb.601:                              ;   in Loop: Header=BB326_414 Depth=1
	v_cmp_ne_u16_sdwa s[0:1], v9, s24 src0_sel:BYTE_0 src1_sel:DWORD
	v_bfrev_b32_e32 v21, 1
	s_and_saveexec_b64 s[14:15], s[0:1]
	s_cbranch_execz .LBB326_605
; %bb.602:                              ;   in Loop: Header=BB326_414 Depth=1
	v_bfe_u32 v24, v18, 16, 7
	v_cmp_ne_u32_e64 s[0:1], s25, v24
	v_mov_b32_e32 v21, 0x7f800001
	s_and_saveexec_b64 s[16:17], s[0:1]
	s_cbranch_execz .LBB326_604
; %bb.603:                              ;   in Loop: Header=BB326_414 Depth=1
	v_and_b32_e32 v21, 7, v9
	v_lshrrev_b32_e32 v37, 3, v24
	v_cmp_gt_u32_e64 s[0:1], 8, v24
	v_ffbh_u32_e32 v24, v21
	v_min_u32_e32 v24, 32, v24
	v_subrev_u32_e32 v35, 28, v24
	v_lshlrev_b64 v[35:36], v35, v[9:10]
	v_sub_u32_e32 v24, 29, v24
	v_and_b32_e32 v35, 7, v35
	v_cndmask_b32_e64 v24, v37, v24, s[0:1]
	v_cndmask_b32_e64 v21, v21, v35, s[0:1]
	v_lshlrev_b32_e32 v9, 24, v9
	v_bfrev_b32_e32 v35, 60
	v_lshlrev_b32_e32 v21, 20, v21
	v_and_b32_e32 v9, 0x80000000, v9
	v_lshl_add_u32 v24, v24, 23, v35
	v_or3_b32 v21, v9, v24, v21
.LBB326_604:                            ;   in Loop: Header=BB326_414 Depth=1
	s_or_b64 exec, exec, s[16:17]
.LBB326_605:                            ;   in Loop: Header=BB326_414 Depth=1
	s_or_b64 exec, exec, s[14:15]
.LBB326_606:                            ;   in Loop: Header=BB326_414 Depth=1
	s_or_b64 exec, exec, s[12:13]
	v_cmp_lt_u64_e64 s[0:1], s[4:5], v[17:18]
	s_and_saveexec_b64 s[12:13], s[0:1]
	s_cbranch_execz .LBB326_612
; %bb.607:                              ;   in Loop: Header=BB326_414 Depth=1
	v_lshrrev_b32_e32 v9, 24, v18
	v_cmp_ne_u32_e64 s[0:1], s24, v9
	v_bfrev_b32_e32 v19, 1
	s_and_saveexec_b64 s[14:15], s[0:1]
	s_cbranch_execz .LBB326_611
; %bb.608:                              ;   in Loop: Header=BB326_414 Depth=1
	v_bfe_u32 v17, v18, 24, 7
	v_cmp_ne_u32_e64 s[0:1], s25, v17
	v_mov_b32_e32 v19, 0x7f800001
	s_and_saveexec_b64 s[16:17], s[0:1]
	s_cbranch_execz .LBB326_610
; %bb.609:                              ;   in Loop: Header=BB326_414 Depth=1
	v_and_b32_e32 v19, 7, v9
	v_lshrrev_b32_e32 v24, 3, v17
	v_cmp_gt_u32_e64 s[0:1], 8, v17
	v_ffbh_u32_e32 v17, v19
	v_min_u32_e32 v35, 32, v17
	v_subrev_u32_e32 v17, 28, v35
	v_lshlrev_b64 v[17:18], v17, v[9:10]
	v_sub_u32_e32 v18, 29, v35
	v_and_b32_e32 v17, 7, v17
	v_cndmask_b32_e64 v18, v24, v18, s[0:1]
	v_cndmask_b32_e64 v17, v19, v17, s[0:1]
	v_lshlrev_b32_e32 v9, 24, v9
	v_bfrev_b32_e32 v19, 60
	v_lshlrev_b32_e32 v17, 20, v17
	v_and_b32_e32 v9, 0x80000000, v9
	v_lshl_add_u32 v18, v18, 23, v19
	v_or3_b32 v19, v9, v18, v17
.LBB326_610:                            ;   in Loop: Header=BB326_414 Depth=1
	s_or_b64 exec, exec, s[16:17]
.LBB326_611:                            ;   in Loop: Header=BB326_414 Depth=1
	s_or_b64 exec, exec, s[14:15]
.LBB326_612:                            ;   in Loop: Header=BB326_414 Depth=1
	s_or_b64 exec, exec, s[12:13]
	v_mul_f32_e32 v9, s18, v23
	v_bfe_u32 v17, v9, 16, 1
	v_add3_u32 v17, v17, v9, s26
	v_or_b32_e32 v18, 0x400000, v9
	v_cmp_u_f32_e64 s[0:1], v9, v9
	v_cndmask_b32_e64 v9, v17, v18, s[0:1]
	v_lshrrev_b32_e32 v9, 16, v9
	buffer_store_dword v9, off, s[48:51], 0 offset:108 ; 4-byte Folded Spill
	v_mul_f32_e32 v9, s18, v22
	v_bfe_u32 v17, v9, 16, 1
	v_add3_u32 v17, v17, v9, s26
	v_or_b32_e32 v18, 0x400000, v9
	v_cmp_u_f32_e64 s[0:1], v9, v9
	v_cndmask_b32_e64 v9, v17, v18, s[0:1]
	v_lshrrev_b32_e32 v9, 16, v9
	buffer_store_dword v9, off, s[48:51], 0 offset:104 ; 4-byte Folded Spill
	v_mul_f32_e32 v9, s18, v20
	v_bfe_u32 v17, v9, 16, 1
	v_add3_u32 v17, v17, v9, s26
	v_or_b32_e32 v18, 0x400000, v9
	v_cmp_u_f32_e64 s[0:1], v9, v9
	v_cndmask_b32_e64 v9, v17, v18, s[0:1]
	v_lshrrev_b32_e32 v51, 16, v9
	v_mul_f32_e32 v9, s18, v12
	v_bfe_u32 v12, v9, 16, 1
	v_add3_u32 v12, v12, v9, s26
	v_or_b32_e32 v17, 0x400000, v9
	v_cmp_u_f32_e64 s[0:1], v9, v9
	v_cndmask_b32_e64 v9, v12, v17, s[0:1]
	v_lshrrev_b32_e32 v9, 16, v9
	buffer_store_dword v9, off, s[48:51], 0 offset:116 ; 4-byte Folded Spill
	v_mul_f32_e32 v9, s18, v11
	v_bfe_u32 v11, v9, 16, 1
	v_add3_u32 v11, v11, v9, s26
	v_or_b32_e32 v17, 0x400000, v9
	v_cmp_u_f32_e64 s[0:1], v9, v9
	v_cndmask_b32_e64 v9, v11, v17, s[0:1]
	v_mul_f32_e32 v0, s18, v0
	v_lshrrev_b32_e32 v54, 16, v9
	v_bfe_u32 v9, v0, 16, 1
	v_add3_u32 v9, v9, v0, s26
	v_or_b32_e32 v11, 0x400000, v0
	v_cmp_u_f32_e64 s[0:1], v0, v0
	v_cndmask_b32_e64 v0, v9, v11, s[0:1]
	v_lshrrev_b32_e32 v53, 16, v0
	v_mul_f32_e32 v0, s18, v21
	v_bfe_u32 v9, v0, 16, 1
	v_add3_u32 v9, v9, v0, s26
	v_or_b32_e32 v11, 0x400000, v0
	v_cmp_u_f32_e64 s[0:1], v0, v0
	v_cndmask_b32_e64 v0, v9, v11, s[0:1]
	v_lshrrev_b32_e32 v0, 16, v0
	buffer_store_dword v0, off, s[48:51], 0 offset:112 ; 4-byte Folded Spill
	v_mul_f32_e32 v0, s18, v19
	v_bfe_u32 v9, v0, 16, 1
	v_add3_u32 v9, v9, v0, s26
	v_or_b32_e32 v17, 0x400000, v0
	v_cmp_u_f32_e64 s[0:1], v0, v0
	v_cndmask_b32_e64 v0, v9, v17, s[0:1]
	v_lshrrev_b32_e32 v52, 16, v0
	s_and_saveexec_b64 s[12:13], vcc
	s_cbranch_execz .LBB326_614
; %bb.613:                              ;   in Loop: Header=BB326_414 Depth=1
	v_add_u32_e32 v0, -7, v33
	v_cmp_gt_i32_e64 s[0:1], s30, v0
	v_add_u32_e32 v0, -6, v33
	v_cndmask_b32_e64 v53, 0, v53, s[0:1]
	v_cmp_gt_i32_e64 s[0:1], s30, v0
	v_add_u32_e32 v0, -5, v33
	v_cndmask_b32_e64 v54, 0, v54, s[0:1]
	v_cmp_gt_i32_e64 s[0:1], s30, v0
	buffer_load_dword v0, off, s[48:51], 0 offset:116 ; 4-byte Folded Reload
	s_waitcnt vmcnt(0)
	v_cndmask_b32_e64 v0, 0, v0, s[0:1]
	buffer_store_dword v0, off, s[48:51], 0 offset:116 ; 4-byte Folded Spill
	v_add_u32_e32 v0, -4, v33
	v_cmp_gt_i32_e64 s[0:1], s30, v0
	v_add_u32_e32 v0, -3, v33
	v_cndmask_b32_e64 v51, 0, v51, s[0:1]
	v_cmp_gt_i32_e64 s[0:1], s30, v0
	buffer_load_dword v0, off, s[48:51], 0 offset:104 ; 4-byte Folded Reload
	s_waitcnt vmcnt(0)
	v_cndmask_b32_e64 v0, 0, v0, s[0:1]
	buffer_store_dword v0, off, s[48:51], 0 offset:104 ; 4-byte Folded Spill
	v_add_u32_e32 v0, -2, v33
	v_cmp_gt_i32_e64 s[0:1], s30, v0
	buffer_load_dword v0, off, s[48:51], 0 offset:108 ; 4-byte Folded Reload
	s_waitcnt vmcnt(0)
	v_cndmask_b32_e64 v0, 0, v0, s[0:1]
	buffer_store_dword v0, off, s[48:51], 0 offset:108 ; 4-byte Folded Spill
	v_add_u32_e32 v0, -1, v33
	v_cmp_gt_i32_e64 s[0:1], s30, v0
	buffer_load_dword v0, off, s[48:51], 0 offset:112 ; 4-byte Folded Reload
	s_waitcnt vmcnt(0)
	v_cndmask_b32_e64 v0, 0, v0, s[0:1]
	v_cmp_gt_i32_e64 s[0:1], s30, v33
	v_cndmask_b32_e64 v52, 0, v52, s[0:1]
	buffer_store_dword v0, off, s[48:51], 0 offset:112 ; 4-byte Folded Spill
.LBB326_614:                            ;   in Loop: Header=BB326_414 Depth=1
	s_or_b64 exec, exec, s[12:13]
	global_load_dwordx2 v[17:18], v[15:16], off offset:2048
	v_mov_b32_e32 v20, 0
	v_mov_b32_e32 v0, 0
	s_waitcnt vmcnt(0)
	v_cmp_ne_u16_sdwa s[0:1], v17, v10 src0_sel:BYTE_0 src1_sel:DWORD
	s_and_saveexec_b64 s[12:13], s[0:1]
	s_cbranch_execz .LBB326_620
; %bb.615:                              ;   in Loop: Header=BB326_414 Depth=1
	v_cmp_ne_u16_sdwa s[0:1], v17, s24 src0_sel:BYTE_0 src1_sel:DWORD
	v_bfrev_b32_e32 v0, 1
	s_and_saveexec_b64 s[14:15], s[0:1]
	s_cbranch_execz .LBB326_619
; %bb.616:                              ;   in Loop: Header=BB326_414 Depth=1
	v_and_b32_e32 v9, 0x7f, v17
	v_cmp_ne_u32_e64 s[0:1], s25, v9
	v_mov_b32_e32 v0, 0x7f800001
	s_and_saveexec_b64 s[16:17], s[0:1]
	s_cbranch_execz .LBB326_618
; %bb.617:                              ;   in Loop: Header=BB326_414 Depth=1
	v_and_b32_e32 v0, 7, v17
	v_ffbh_u32_e32 v0, v0
	v_min_u32_e32 v0, 32, v0
	v_lshrrev_b32_e32 v19, 3, v9
	v_cmp_gt_u32_e64 s[0:1], 8, v9
	v_subrev_u32_e32 v9, 28, v0
	v_cndmask_b32_e64 v9, 0, v9, s[0:1]
	v_lshlrev_b64 v[21:22], v9, v[17:18]
	v_sub_u32_e32 v0, 29, v0
	v_cndmask_b32_e64 v0, v19, v0, s[0:1]
	v_lshlrev_b32_e32 v9, 20, v21
	v_lshlrev_b32_e32 v19, 24, v17
	v_bfrev_b32_e32 v11, 60
	v_and_b32_e32 v9, 0x700000, v9
	v_and_b32_e32 v19, 0x80000000, v19
	v_lshl_add_u32 v0, v0, 23, v11
	v_or3_b32 v0, v19, v0, v9
.LBB326_618:                            ;   in Loop: Header=BB326_414 Depth=1
	s_or_b64 exec, exec, s[16:17]
.LBB326_619:                            ;   in Loop: Header=BB326_414 Depth=1
	s_or_b64 exec, exec, s[14:15]
.LBB326_620:                            ;   in Loop: Header=BB326_414 Depth=1
	s_or_b64 exec, exec, s[12:13]
	v_lshrrev_b16_e32 v9, 8, v17
	v_cmp_ne_u16_e64 s[0:1], 0, v9
	s_and_saveexec_b64 s[12:13], s[0:1]
	s_cbranch_execz .LBB326_626
; %bb.621:                              ;   in Loop: Header=BB326_414 Depth=1
	v_cmp_ne_u16_e64 s[0:1], s24, v9
	v_bfrev_b32_e32 v20, 1
	s_and_saveexec_b64 s[14:15], s[0:1]
	s_cbranch_execz .LBB326_625
; %bb.622:                              ;   in Loop: Header=BB326_414 Depth=1
	v_and_b32_e32 v19, 0x7f, v9
	v_cmp_ne_u32_e64 s[0:1], s25, v19
	v_mov_b32_e32 v20, 0x7f800001
	s_and_saveexec_b64 s[16:17], s[0:1]
	s_cbranch_execz .LBB326_624
; %bb.623:                              ;   in Loop: Header=BB326_414 Depth=1
	v_and_b32_e32 v21, 7, v9
	v_lshrrev_b32_e32 v22, 3, v19
	v_cmp_gt_u32_e64 s[0:1], 8, v19
	v_ffbh_u32_e32 v19, v21
	v_min_u32_e32 v23, 32, v19
	v_subrev_u32_e32 v19, 28, v23
	v_lshlrev_b64 v[19:20], v19, v[9:10]
	v_sub_u32_e32 v9, 29, v23
	v_and_b32_e32 v19, 7, v19
	v_cndmask_b32_e64 v9, v22, v9, s[0:1]
	v_cndmask_b32_e64 v19, v21, v19, s[0:1]
	v_lshlrev_b32_e32 v20, 16, v17
	v_bfrev_b32_e32 v11, 60
	v_lshlrev_b32_e32 v19, 20, v19
	v_and_b32_e32 v20, 0x80000000, v20
	v_lshl_add_u32 v9, v9, 23, v11
	v_or3_b32 v20, v20, v9, v19
.LBB326_624:                            ;   in Loop: Header=BB326_414 Depth=1
	s_or_b64 exec, exec, s[16:17]
.LBB326_625:                            ;   in Loop: Header=BB326_414 Depth=1
	s_or_b64 exec, exec, s[14:15]
.LBB326_626:                            ;   in Loop: Header=BB326_414 Depth=1
	s_or_b64 exec, exec, s[12:13]
	v_lshrrev_b32_e32 v9, 16, v17
	v_cmp_ne_u16_sdwa s[0:1], v9, v10 src0_sel:BYTE_0 src1_sel:DWORD
	v_mov_b32_e32 v36, 0
	v_mov_b32_e32 v35, 0
	s_and_saveexec_b64 s[12:13], s[0:1]
	s_cbranch_execz .LBB326_632
; %bb.627:                              ;   in Loop: Header=BB326_414 Depth=1
	v_cmp_ne_u16_sdwa s[0:1], v9, s24 src0_sel:BYTE_0 src1_sel:DWORD
	v_bfrev_b32_e32 v35, 1
	s_and_saveexec_b64 s[14:15], s[0:1]
	s_cbranch_execz .LBB326_631
; %bb.628:                              ;   in Loop: Header=BB326_414 Depth=1
	v_bfe_u32 v19, v17, 16, 7
	v_cmp_ne_u32_e64 s[0:1], s25, v19
	v_mov_b32_e32 v35, 0x7f800001
	s_and_saveexec_b64 s[16:17], s[0:1]
	s_cbranch_execz .LBB326_630
; %bb.629:                              ;   in Loop: Header=BB326_414 Depth=1
	v_and_b32_e32 v23, 7, v9
	v_lshrrev_b32_e32 v24, 3, v19
	v_cmp_gt_u32_e64 s[0:1], 8, v19
	v_ffbh_u32_e32 v19, v23
	v_min_u32_e32 v19, 32, v19
	v_subrev_u32_e32 v21, 28, v19
	v_lshlrev_b64 v[21:22], v21, v[9:10]
	v_sub_u32_e32 v19, 29, v19
	v_and_b32_e32 v21, 7, v21
	v_cndmask_b32_e64 v19, v24, v19, s[0:1]
	v_cndmask_b32_e64 v21, v23, v21, s[0:1]
	v_lshlrev_b32_e32 v9, 24, v9
	v_bfrev_b32_e32 v11, 60
	v_lshlrev_b32_e32 v21, 20, v21
	v_and_b32_e32 v9, 0x80000000, v9
	v_lshl_add_u32 v19, v19, 23, v11
	v_or3_b32 v35, v9, v19, v21
.LBB326_630:                            ;   in Loop: Header=BB326_414 Depth=1
	s_or_b64 exec, exec, s[16:17]
.LBB326_631:                            ;   in Loop: Header=BB326_414 Depth=1
	s_or_b64 exec, exec, s[14:15]
.LBB326_632:                            ;   in Loop: Header=BB326_414 Depth=1
	s_or_b64 exec, exec, s[12:13]
	v_cmp_lt_u32_e64 s[0:1], s5, v17
	s_and_saveexec_b64 s[12:13], s[0:1]
	s_cbranch_execz .LBB326_638
; %bb.633:                              ;   in Loop: Header=BB326_414 Depth=1
	v_lshrrev_b32_e32 v9, 24, v17
	v_cmp_ne_u32_e64 s[0:1], s24, v9
	v_bfrev_b32_e32 v36, 1
	s_and_saveexec_b64 s[14:15], s[0:1]
	s_cbranch_execz .LBB326_637
; %bb.634:                              ;   in Loop: Header=BB326_414 Depth=1
	v_bfe_u32 v19, v17, 24, 7
	v_cmp_ne_u32_e64 s[0:1], s25, v19
	v_mov_b32_e32 v36, 0x7f800001
	s_and_saveexec_b64 s[16:17], s[0:1]
	s_cbranch_execz .LBB326_636
; %bb.635:                              ;   in Loop: Header=BB326_414 Depth=1
	v_and_b32_e32 v23, 7, v9
	v_lshrrev_b32_e32 v24, 3, v19
	v_cmp_gt_u32_e64 s[0:1], 8, v19
	v_ffbh_u32_e32 v19, v23
	v_min_u32_e32 v19, 32, v19
	v_subrev_u32_e32 v21, 28, v19
	v_lshlrev_b64 v[21:22], v21, v[9:10]
	v_sub_u32_e32 v19, 29, v19
	v_and_b32_e32 v21, 7, v21
	v_cndmask_b32_e64 v19, v24, v19, s[0:1]
	v_cndmask_b32_e64 v21, v23, v21, s[0:1]
	v_lshlrev_b32_e32 v9, 24, v9
	v_bfrev_b32_e32 v11, 60
	v_lshlrev_b32_e32 v21, 20, v21
	v_and_b32_e32 v9, 0x80000000, v9
	v_lshl_add_u32 v19, v19, 23, v11
	v_or3_b32 v36, v9, v19, v21
.LBB326_636:                            ;   in Loop: Header=BB326_414 Depth=1
	s_or_b64 exec, exec, s[16:17]
.LBB326_637:                            ;   in Loop: Header=BB326_414 Depth=1
	s_or_b64 exec, exec, s[14:15]
.LBB326_638:                            ;   in Loop: Header=BB326_414 Depth=1
	s_or_b64 exec, exec, s[12:13]
	v_mov_b32_e32 v9, v18
	v_cmp_ne_u16_sdwa s[0:1], v18, v10 src0_sel:BYTE_0 src1_sel:DWORD
	v_mov_b32_e32 v38, 0
	v_mov_b32_e32 v37, 0
	s_and_saveexec_b64 s[12:13], s[0:1]
	s_cbranch_execz .LBB326_644
; %bb.639:                              ;   in Loop: Header=BB326_414 Depth=1
	v_cmp_ne_u16_sdwa s[0:1], v18, s24 src0_sel:BYTE_0 src1_sel:DWORD
	v_bfrev_b32_e32 v37, 1
	s_and_saveexec_b64 s[14:15], s[0:1]
	s_cbranch_execz .LBB326_643
; %bb.640:                              ;   in Loop: Header=BB326_414 Depth=1
	v_and_b32_e32 v19, 0x7f, v18
	v_cmp_ne_u32_e64 s[0:1], s25, v19
	v_mov_b32_e32 v37, 0x7f800001
	s_and_saveexec_b64 s[16:17], s[0:1]
	s_cbranch_execz .LBB326_642
; %bb.641:                              ;   in Loop: Header=BB326_414 Depth=1
	v_and_b32_e32 v21, 7, v18
	v_lshrrev_b32_e32 v22, 3, v19
	v_cmp_gt_u32_e64 s[0:1], 8, v19
	v_ffbh_u32_e32 v19, v21
	v_min_u32_e32 v19, 32, v19
	v_subrev_u32_e32 v21, 28, v19
	v_sub_u32_e32 v19, 29, v19
	v_cndmask_b32_e64 v21, 0, v21, s[0:1]
	v_cndmask_b32_e64 v19, v22, v19, s[0:1]
	v_lshlrev_b64 v[21:22], v21, v[9:10]
	v_lshlrev_b32_e32 v22, 24, v9
	v_lshlrev_b32_e32 v21, 20, v21
	v_bfrev_b32_e32 v11, 60
	v_and_b32_e32 v21, 0x700000, v21
	v_and_b32_e32 v22, 0x80000000, v22
	v_lshl_add_u32 v19, v19, 23, v11
	v_or3_b32 v37, v22, v19, v21
.LBB326_642:                            ;   in Loop: Header=BB326_414 Depth=1
	s_or_b64 exec, exec, s[16:17]
.LBB326_643:                            ;   in Loop: Header=BB326_414 Depth=1
	s_or_b64 exec, exec, s[14:15]
.LBB326_644:                            ;   in Loop: Header=BB326_414 Depth=1
	s_or_b64 exec, exec, s[12:13]
	v_lshrrev_b16_e32 v19, 8, v9
	v_cmp_ne_u16_e64 s[0:1], 0, v19
	s_and_saveexec_b64 s[12:13], s[0:1]
	s_cbranch_execz .LBB326_650
; %bb.645:                              ;   in Loop: Header=BB326_414 Depth=1
	v_cmp_ne_u16_e64 s[0:1], s24, v19
	v_bfrev_b32_e32 v38, 1
	s_and_saveexec_b64 s[14:15], s[0:1]
	s_cbranch_execz .LBB326_649
; %bb.646:                              ;   in Loop: Header=BB326_414 Depth=1
	v_and_b32_e32 v21, 0x7f, v19
	v_cmp_ne_u32_e64 s[0:1], s25, v21
	v_mov_b32_e32 v38, 0x7f800001
	s_and_saveexec_b64 s[16:17], s[0:1]
	s_cbranch_execz .LBB326_648
; %bb.647:                              ;   in Loop: Header=BB326_414 Depth=1
	v_and_b32_e32 v23, 7, v19
	v_lshrrev_b32_e32 v24, 3, v21
	v_cmp_gt_u32_e64 s[0:1], 8, v21
	v_ffbh_u32_e32 v21, v23
	v_min_u32_e32 v38, 32, v21
	v_subrev_u32_e32 v21, 28, v38
	v_lshlrev_b64 v[21:22], v21, v[19:20]
	v_sub_u32_e32 v19, 29, v38
	v_and_b32_e32 v21, 7, v21
	v_cndmask_b32_e64 v19, v24, v19, s[0:1]
	v_cndmask_b32_e64 v21, v23, v21, s[0:1]
	v_lshlrev_b32_e32 v9, 16, v9
	v_bfrev_b32_e32 v11, 60
	v_lshlrev_b32_e32 v21, 20, v21
	v_and_b32_e32 v9, 0x80000000, v9
	v_lshl_add_u32 v19, v19, 23, v11
	v_or3_b32 v38, v9, v19, v21
.LBB326_648:                            ;   in Loop: Header=BB326_414 Depth=1
	s_or_b64 exec, exec, s[16:17]
.LBB326_649:                            ;   in Loop: Header=BB326_414 Depth=1
	s_or_b64 exec, exec, s[14:15]
.LBB326_650:                            ;   in Loop: Header=BB326_414 Depth=1
	s_or_b64 exec, exec, s[12:13]
	v_lshrrev_b32_e32 v9, 16, v18
	v_cmp_ne_u16_sdwa s[0:1], v9, v10 src0_sel:BYTE_0 src1_sel:DWORD
	v_mov_b32_e32 v19, 0
	v_mov_b32_e32 v21, 0
	s_and_saveexec_b64 s[12:13], s[0:1]
	s_cbranch_execz .LBB326_656
; %bb.651:                              ;   in Loop: Header=BB326_414 Depth=1
	v_cmp_ne_u16_sdwa s[0:1], v9, s24 src0_sel:BYTE_0 src1_sel:DWORD
	v_bfrev_b32_e32 v21, 1
	s_and_saveexec_b64 s[14:15], s[0:1]
	s_cbranch_execz .LBB326_655
; %bb.652:                              ;   in Loop: Header=BB326_414 Depth=1
	v_bfe_u32 v24, v18, 16, 7
	v_cmp_ne_u32_e64 s[0:1], s25, v24
	v_mov_b32_e32 v21, 0x7f800001
	s_and_saveexec_b64 s[16:17], s[0:1]
	s_cbranch_execz .LBB326_654
; %bb.653:                              ;   in Loop: Header=BB326_414 Depth=1
	v_and_b32_e32 v23, 7, v9
	v_ffbh_u32_e32 v21, v23
	v_lshrrev_b32_e32 v39, 3, v24
	v_cmp_gt_u32_e64 s[0:1], 8, v24
	v_min_u32_e32 v24, 32, v21
	v_subrev_u32_e32 v21, 28, v24
	v_lshlrev_b64 v[21:22], v21, v[9:10]
	v_sub_u32_e32 v22, 29, v24
	v_and_b32_e32 v21, 7, v21
	v_cndmask_b32_e64 v22, v39, v22, s[0:1]
	v_cndmask_b32_e64 v21, v23, v21, s[0:1]
	v_lshlrev_b32_e32 v9, 24, v9
	v_bfrev_b32_e32 v11, 60
	v_lshlrev_b32_e32 v21, 20, v21
	v_and_b32_e32 v9, 0x80000000, v9
	v_lshl_add_u32 v22, v22, 23, v11
	v_or3_b32 v21, v9, v22, v21
.LBB326_654:                            ;   in Loop: Header=BB326_414 Depth=1
	s_or_b64 exec, exec, s[16:17]
.LBB326_655:                            ;   in Loop: Header=BB326_414 Depth=1
	s_or_b64 exec, exec, s[14:15]
.LBB326_656:                            ;   in Loop: Header=BB326_414 Depth=1
	s_or_b64 exec, exec, s[12:13]
	v_cmp_lt_u64_e64 s[0:1], s[4:5], v[17:18]
	s_and_saveexec_b64 s[12:13], s[0:1]
	s_cbranch_execz .LBB326_662
; %bb.657:                              ;   in Loop: Header=BB326_414 Depth=1
	v_lshrrev_b32_e32 v9, 24, v18
	v_cmp_ne_u32_e64 s[0:1], s24, v9
	v_bfrev_b32_e32 v19, 1
	s_and_saveexec_b64 s[14:15], s[0:1]
	s_cbranch_execz .LBB326_661
; %bb.658:                              ;   in Loop: Header=BB326_414 Depth=1
	v_bfe_u32 v17, v18, 24, 7
	v_cmp_ne_u32_e64 s[0:1], s25, v17
	v_mov_b32_e32 v19, 0x7f800001
	s_and_saveexec_b64 s[16:17], s[0:1]
	s_cbranch_execz .LBB326_660
; %bb.659:                              ;   in Loop: Header=BB326_414 Depth=1
	v_and_b32_e32 v19, 7, v9
	v_lshrrev_b32_e32 v22, 3, v17
	v_cmp_gt_u32_e64 s[0:1], 8, v17
	v_ffbh_u32_e32 v17, v19
	v_min_u32_e32 v23, 32, v17
	v_subrev_u32_e32 v17, 28, v23
	v_lshlrev_b64 v[17:18], v17, v[9:10]
	v_sub_u32_e32 v18, 29, v23
	v_and_b32_e32 v17, 7, v17
	v_cndmask_b32_e64 v18, v22, v18, s[0:1]
	v_cndmask_b32_e64 v17, v19, v17, s[0:1]
	v_lshlrev_b32_e32 v9, 24, v9
	v_bfrev_b32_e32 v11, 60
	v_lshlrev_b32_e32 v17, 20, v17
	v_and_b32_e32 v9, 0x80000000, v9
	v_lshl_add_u32 v18, v18, 23, v11
	v_or3_b32 v19, v9, v18, v17
.LBB326_660:                            ;   in Loop: Header=BB326_414 Depth=1
	s_or_b64 exec, exec, s[16:17]
.LBB326_661:                            ;   in Loop: Header=BB326_414 Depth=1
	s_or_b64 exec, exec, s[14:15]
.LBB326_662:                            ;   in Loop: Header=BB326_414 Depth=1
	s_or_b64 exec, exec, s[12:13]
	v_mul_f32_e32 v9, s18, v38
	v_bfe_u32 v17, v9, 16, 1
	v_add3_u32 v17, v17, v9, s26
	v_or_b32_e32 v18, 0x400000, v9
	v_cmp_u_f32_e64 s[0:1], v9, v9
	v_cndmask_b32_e64 v9, v17, v18, s[0:1]
	v_lshrrev_b32_e32 v56, 16, v9
	v_mul_f32_e32 v9, s18, v37
	v_bfe_u32 v17, v9, 16, 1
	v_add3_u32 v17, v17, v9, s26
	v_or_b32_e32 v18, 0x400000, v9
	v_cmp_u_f32_e64 s[0:1], v9, v9
	v_cndmask_b32_e64 v9, v17, v18, s[0:1]
	v_lshrrev_b32_e32 v55, 16, v9
	;; [unrolled: 7-line block ×4, first 2 shown]
	v_mul_f32_e32 v9, s18, v20
	v_bfe_u32 v17, v9, 16, 1
	v_add3_u32 v17, v17, v9, s26
	v_or_b32_e32 v18, 0x400000, v9
	v_cmp_u_f32_e64 s[0:1], v9, v9
	v_cndmask_b32_e64 v9, v17, v18, s[0:1]
	v_mul_f32_e32 v0, s18, v0
	v_lshrrev_b32_e32 v40, 16, v9
	v_bfe_u32 v9, v0, 16, 1
	v_add3_u32 v9, v9, v0, s26
	v_or_b32_e32 v17, 0x400000, v0
	v_cmp_u_f32_e64 s[0:1], v0, v0
	v_cndmask_b32_e64 v0, v9, v17, s[0:1]
	v_lshrrev_b32_e32 v39, 16, v0
	v_mul_f32_e32 v0, s18, v21
	v_bfe_u32 v9, v0, 16, 1
	v_add3_u32 v9, v9, v0, s26
	v_or_b32_e32 v17, 0x400000, v0
	v_cmp_u_f32_e64 s[0:1], v0, v0
	v_cndmask_b32_e64 v0, v9, v17, s[0:1]
	v_lshrrev_b32_e32 v57, 16, v0
	v_mul_f32_e32 v0, s18, v19
	v_bfe_u32 v9, v0, 16, 1
	v_add3_u32 v9, v9, v0, s26
	v_or_b32_e32 v17, 0x400000, v0
	v_cmp_u_f32_e64 s[0:1], v0, v0
	v_cndmask_b32_e64 v0, v9, v17, s[0:1]
	v_lshrrev_b32_e32 v38, 16, v0
	s_and_saveexec_b64 s[12:13], vcc
	s_cbranch_execz .LBB326_664
; %bb.663:                              ;   in Loop: Header=BB326_414 Depth=1
	v_add_u32_e32 v0, -7, v33
	v_cmp_gt_i32_e64 s[0:1], s30, v0
	v_add_u32_e32 v0, -6, v33
	v_cndmask_b32_e64 v39, 0, v39, s[0:1]
	v_cmp_gt_i32_e64 s[0:1], s30, v0
	v_add_u32_e32 v0, -5, v33
	v_cndmask_b32_e64 v40, 0, v40, s[0:1]
	;; [unrolled: 3-line block ×6, first 2 shown]
	v_cmp_gt_i32_e64 s[0:1], s30, v0
	v_cndmask_b32_e64 v57, 0, v57, s[0:1]
	v_cmp_gt_i32_e64 s[0:1], s30, v33
	v_cndmask_b32_e64 v38, 0, v38, s[0:1]
.LBB326_664:                            ;   in Loop: Header=BB326_414 Depth=1
	s_or_b64 exec, exec, s[12:13]
	global_load_dwordx2 v[17:18], v[15:16], off offset:2560
	v_mov_b32_e32 v43, 0
	v_mov_b32_e32 v35, 0
	s_waitcnt vmcnt(0)
	v_cmp_ne_u16_sdwa s[0:1], v17, v10 src0_sel:BYTE_0 src1_sel:DWORD
	s_and_saveexec_b64 s[12:13], s[0:1]
	s_cbranch_execz .LBB326_670
; %bb.665:                              ;   in Loop: Header=BB326_414 Depth=1
	v_cmp_ne_u16_sdwa s[0:1], v17, s24 src0_sel:BYTE_0 src1_sel:DWORD
	v_bfrev_b32_e32 v35, 1
	s_and_saveexec_b64 s[14:15], s[0:1]
	s_cbranch_execz .LBB326_669
; %bb.666:                              ;   in Loop: Header=BB326_414 Depth=1
	v_and_b32_e32 v0, 0x7f, v17
	v_cmp_ne_u32_e64 s[0:1], s25, v0
	v_mov_b32_e32 v35, 0x7f800001
	s_and_saveexec_b64 s[16:17], s[0:1]
	s_cbranch_execz .LBB326_668
; %bb.667:                              ;   in Loop: Header=BB326_414 Depth=1
	v_and_b32_e32 v9, 7, v17
	v_lshrrev_b32_e32 v19, 3, v0
	v_cmp_gt_u32_e64 s[0:1], 8, v0
	v_ffbh_u32_e32 v0, v9
	v_min_u32_e32 v0, 32, v0
	v_subrev_u32_e32 v9, 28, v0
	v_sub_u32_e32 v0, 29, v0
	v_cndmask_b32_e64 v9, 0, v9, s[0:1]
	v_cndmask_b32_e64 v0, v19, v0, s[0:1]
	v_lshlrev_b64 v[19:20], v9, v[17:18]
	v_bfrev_b32_e32 v11, 60
	v_lshlrev_b32_e32 v9, 20, v19
	v_lshlrev_b32_e32 v19, 24, v17
	v_and_b32_e32 v9, 0x700000, v9
	v_and_b32_e32 v19, 0x80000000, v19
	v_lshl_add_u32 v0, v0, 23, v11
	v_or3_b32 v35, v19, v0, v9
.LBB326_668:                            ;   in Loop: Header=BB326_414 Depth=1
	s_or_b64 exec, exec, s[16:17]
.LBB326_669:                            ;   in Loop: Header=BB326_414 Depth=1
	s_or_b64 exec, exec, s[14:15]
.LBB326_670:                            ;   in Loop: Header=BB326_414 Depth=1
	s_or_b64 exec, exec, s[12:13]
	v_lshrrev_b16_e32 v9, 8, v17
	v_cmp_ne_u16_e64 s[0:1], 0, v9
	s_and_saveexec_b64 s[12:13], s[0:1]
	s_cbranch_execz .LBB326_676
; %bb.671:                              ;   in Loop: Header=BB326_414 Depth=1
	v_cmp_ne_u16_e64 s[0:1], s24, v9
	v_bfrev_b32_e32 v43, 1
	s_and_saveexec_b64 s[14:15], s[0:1]
	s_cbranch_execz .LBB326_675
; %bb.672:                              ;   in Loop: Header=BB326_414 Depth=1
	v_and_b32_e32 v0, 0x7f, v9
	v_cmp_ne_u32_e64 s[0:1], s25, v0
	v_mov_b32_e32 v43, 0x7f800001
	s_and_saveexec_b64 s[16:17], s[0:1]
	s_cbranch_execz .LBB326_674
; %bb.673:                              ;   in Loop: Header=BB326_414 Depth=1
	v_and_b32_e32 v21, 7, v9
	v_lshrrev_b32_e32 v22, 3, v0
	v_cmp_gt_u32_e64 s[0:1], 8, v0
	v_ffbh_u32_e32 v0, v21
	v_min_u32_e32 v0, 32, v0
	v_subrev_u32_e32 v19, 28, v0
	v_lshlrev_b64 v[19:20], v19, v[9:10]
	v_sub_u32_e32 v0, 29, v0
	v_and_b32_e32 v9, 7, v19
	v_cndmask_b32_e64 v0, v22, v0, s[0:1]
	v_cndmask_b32_e64 v9, v21, v9, s[0:1]
	v_lshlrev_b32_e32 v19, 16, v17
	v_bfrev_b32_e32 v11, 60
	v_lshlrev_b32_e32 v9, 20, v9
	v_and_b32_e32 v19, 0x80000000, v19
	v_lshl_add_u32 v0, v0, 23, v11
	v_or3_b32 v43, v19, v0, v9
.LBB326_674:                            ;   in Loop: Header=BB326_414 Depth=1
	s_or_b64 exec, exec, s[16:17]
.LBB326_675:                            ;   in Loop: Header=BB326_414 Depth=1
	s_or_b64 exec, exec, s[14:15]
.LBB326_676:                            ;   in Loop: Header=BB326_414 Depth=1
	s_or_b64 exec, exec, s[12:13]
	v_lshrrev_b32_e32 v9, 16, v17
	v_cmp_ne_u16_sdwa s[0:1], v9, v10 src0_sel:BYTE_0 src1_sel:DWORD
	v_mov_b32_e32 v20, 0
	v_mov_b32_e32 v0, 0
	s_and_saveexec_b64 s[12:13], s[0:1]
	s_cbranch_execz .LBB326_682
; %bb.677:                              ;   in Loop: Header=BB326_414 Depth=1
	v_cmp_ne_u16_sdwa s[0:1], v9, s24 src0_sel:BYTE_0 src1_sel:DWORD
	v_bfrev_b32_e32 v0, 1
	s_and_saveexec_b64 s[14:15], s[0:1]
	s_cbranch_execz .LBB326_681
; %bb.678:                              ;   in Loop: Header=BB326_414 Depth=1
	v_bfe_u32 v19, v17, 16, 7
	v_cmp_ne_u32_e64 s[0:1], s25, v19
	v_mov_b32_e32 v0, 0x7f800001
	s_and_saveexec_b64 s[16:17], s[0:1]
	s_cbranch_execz .LBB326_680
; %bb.679:                              ;   in Loop: Header=BB326_414 Depth=1
	v_and_b32_e32 v0, 7, v9
	v_lshrrev_b32_e32 v23, 3, v19
	v_cmp_gt_u32_e64 s[0:1], 8, v19
	v_ffbh_u32_e32 v19, v0
	v_min_u32_e32 v19, 32, v19
	v_subrev_u32_e32 v21, 28, v19
	v_lshlrev_b64 v[21:22], v21, v[9:10]
	v_sub_u32_e32 v19, 29, v19
	v_and_b32_e32 v21, 7, v21
	v_cndmask_b32_e64 v19, v23, v19, s[0:1]
	v_cndmask_b32_e64 v0, v0, v21, s[0:1]
	v_lshlrev_b32_e32 v9, 24, v9
	v_bfrev_b32_e32 v11, 60
	v_lshlrev_b32_e32 v0, 20, v0
	v_and_b32_e32 v9, 0x80000000, v9
	v_lshl_add_u32 v19, v19, 23, v11
	v_or3_b32 v0, v9, v19, v0
.LBB326_680:                            ;   in Loop: Header=BB326_414 Depth=1
	s_or_b64 exec, exec, s[16:17]
.LBB326_681:                            ;   in Loop: Header=BB326_414 Depth=1
	s_or_b64 exec, exec, s[14:15]
.LBB326_682:                            ;   in Loop: Header=BB326_414 Depth=1
	s_or_b64 exec, exec, s[12:13]
	v_cmp_lt_u32_e64 s[0:1], s5, v17
	s_and_saveexec_b64 s[12:13], s[0:1]
	s_cbranch_execz .LBB326_688
; %bb.683:                              ;   in Loop: Header=BB326_414 Depth=1
	v_lshrrev_b32_e32 v9, 24, v17
	v_cmp_ne_u32_e64 s[0:1], s24, v9
	v_bfrev_b32_e32 v20, 1
	s_and_saveexec_b64 s[14:15], s[0:1]
	s_cbranch_execz .LBB326_687
; %bb.684:                              ;   in Loop: Header=BB326_414 Depth=1
	v_bfe_u32 v19, v17, 24, 7
	v_cmp_ne_u32_e64 s[0:1], s25, v19
	v_mov_b32_e32 v20, 0x7f800001
	s_and_saveexec_b64 s[16:17], s[0:1]
	s_cbranch_execz .LBB326_686
; %bb.685:                              ;   in Loop: Header=BB326_414 Depth=1
	v_and_b32_e32 v21, 7, v9
	v_lshrrev_b32_e32 v22, 3, v19
	v_cmp_gt_u32_e64 s[0:1], 8, v19
	v_ffbh_u32_e32 v19, v21
	v_min_u32_e32 v23, 32, v19
	v_subrev_u32_e32 v19, 28, v23
	v_lshlrev_b64 v[19:20], v19, v[9:10]
	v_sub_u32_e32 v20, 29, v23
	v_and_b32_e32 v19, 7, v19
	v_cndmask_b32_e64 v20, v22, v20, s[0:1]
	v_cndmask_b32_e64 v19, v21, v19, s[0:1]
	v_lshlrev_b32_e32 v9, 24, v9
	v_bfrev_b32_e32 v11, 60
	v_lshlrev_b32_e32 v19, 20, v19
	v_and_b32_e32 v9, 0x80000000, v9
	v_lshl_add_u32 v20, v20, 23, v11
	v_or3_b32 v20, v9, v20, v19
.LBB326_686:                            ;   in Loop: Header=BB326_414 Depth=1
	s_or_b64 exec, exec, s[16:17]
.LBB326_687:                            ;   in Loop: Header=BB326_414 Depth=1
	s_or_b64 exec, exec, s[14:15]
.LBB326_688:                            ;   in Loop: Header=BB326_414 Depth=1
	s_or_b64 exec, exec, s[12:13]
	v_mov_b32_e32 v9, v18
	v_cmp_ne_u16_sdwa s[0:1], v18, v10 src0_sel:BYTE_0 src1_sel:DWORD
	v_mov_b32_e32 v42, 0
	v_mov_b32_e32 v41, 0
	s_and_saveexec_b64 s[12:13], s[0:1]
	s_cbranch_execz .LBB326_694
; %bb.689:                              ;   in Loop: Header=BB326_414 Depth=1
	v_cmp_ne_u16_sdwa s[0:1], v18, s24 src0_sel:BYTE_0 src1_sel:DWORD
	v_bfrev_b32_e32 v41, 1
	s_and_saveexec_b64 s[14:15], s[0:1]
	s_cbranch_execz .LBB326_693
; %bb.690:                              ;   in Loop: Header=BB326_414 Depth=1
	v_and_b32_e32 v19, 0x7f, v18
	v_cmp_ne_u32_e64 s[0:1], s25, v19
	v_mov_b32_e32 v41, 0x7f800001
	s_and_saveexec_b64 s[16:17], s[0:1]
	s_cbranch_execz .LBB326_692
; %bb.691:                              ;   in Loop: Header=BB326_414 Depth=1
	v_and_b32_e32 v21, 7, v18
	v_lshrrev_b32_e32 v22, 3, v19
	v_cmp_gt_u32_e64 s[0:1], 8, v19
	v_ffbh_u32_e32 v19, v21
	v_min_u32_e32 v19, 32, v19
	v_subrev_u32_e32 v21, 28, v19
	v_sub_u32_e32 v19, 29, v19
	v_cndmask_b32_e64 v21, 0, v21, s[0:1]
	v_cndmask_b32_e64 v19, v22, v19, s[0:1]
	v_lshlrev_b64 v[21:22], v21, v[9:10]
	v_lshlrev_b32_e32 v22, 24, v9
	v_lshlrev_b32_e32 v21, 20, v21
	v_bfrev_b32_e32 v11, 60
	v_and_b32_e32 v21, 0x700000, v21
	v_and_b32_e32 v22, 0x80000000, v22
	v_lshl_add_u32 v19, v19, 23, v11
	v_or3_b32 v41, v22, v19, v21
.LBB326_692:                            ;   in Loop: Header=BB326_414 Depth=1
	s_or_b64 exec, exec, s[16:17]
.LBB326_693:                            ;   in Loop: Header=BB326_414 Depth=1
	s_or_b64 exec, exec, s[14:15]
.LBB326_694:                            ;   in Loop: Header=BB326_414 Depth=1
	s_or_b64 exec, exec, s[12:13]
	v_lshrrev_b16_e32 v19, 8, v9
	v_cmp_ne_u16_e64 s[0:1], 0, v19
	s_and_saveexec_b64 s[12:13], s[0:1]
	s_cbranch_execz .LBB326_700
; %bb.695:                              ;   in Loop: Header=BB326_414 Depth=1
	v_cmp_ne_u16_e64 s[0:1], s24, v19
	v_bfrev_b32_e32 v42, 1
	s_and_saveexec_b64 s[14:15], s[0:1]
	s_cbranch_execz .LBB326_699
; %bb.696:                              ;   in Loop: Header=BB326_414 Depth=1
	v_and_b32_e32 v21, 0x7f, v19
	v_cmp_ne_u32_e64 s[0:1], s25, v21
	v_mov_b32_e32 v42, 0x7f800001
	s_and_saveexec_b64 s[16:17], s[0:1]
	s_cbranch_execz .LBB326_698
; %bb.697:                              ;   in Loop: Header=BB326_414 Depth=1
	v_and_b32_e32 v23, 7, v19
	v_lshrrev_b32_e32 v24, 3, v21
	v_cmp_gt_u32_e64 s[0:1], 8, v21
	v_ffbh_u32_e32 v21, v23
	v_min_u32_e32 v42, 32, v21
	v_subrev_u32_e32 v21, 28, v42
	v_lshlrev_b64 v[21:22], v21, v[19:20]
	v_sub_u32_e32 v19, 29, v42
	v_and_b32_e32 v21, 7, v21
	v_cndmask_b32_e64 v19, v24, v19, s[0:1]
	v_cndmask_b32_e64 v21, v23, v21, s[0:1]
	v_lshlrev_b32_e32 v9, 16, v9
	v_bfrev_b32_e32 v11, 60
	v_lshlrev_b32_e32 v21, 20, v21
	v_and_b32_e32 v9, 0x80000000, v9
	v_lshl_add_u32 v19, v19, 23, v11
	v_or3_b32 v42, v9, v19, v21
.LBB326_698:                            ;   in Loop: Header=BB326_414 Depth=1
	s_or_b64 exec, exec, s[16:17]
.LBB326_699:                            ;   in Loop: Header=BB326_414 Depth=1
	s_or_b64 exec, exec, s[14:15]
.LBB326_700:                            ;   in Loop: Header=BB326_414 Depth=1
	s_or_b64 exec, exec, s[12:13]
	v_lshrrev_b32_e32 v9, 16, v18
	v_cmp_ne_u16_sdwa s[0:1], v9, v10 src0_sel:BYTE_0 src1_sel:DWORD
	v_mov_b32_e32 v19, 0
	v_mov_b32_e32 v21, 0
	s_and_saveexec_b64 s[12:13], s[0:1]
	s_cbranch_execz .LBB326_706
; %bb.701:                              ;   in Loop: Header=BB326_414 Depth=1
	v_cmp_ne_u16_sdwa s[0:1], v9, s24 src0_sel:BYTE_0 src1_sel:DWORD
	v_bfrev_b32_e32 v21, 1
	s_and_saveexec_b64 s[14:15], s[0:1]
	s_cbranch_execz .LBB326_705
; %bb.702:                              ;   in Loop: Header=BB326_414 Depth=1
	v_bfe_u32 v24, v18, 16, 7
	v_cmp_ne_u32_e64 s[0:1], s25, v24
	v_mov_b32_e32 v21, 0x7f800001
	s_and_saveexec_b64 s[16:17], s[0:1]
	s_cbranch_execz .LBB326_704
; %bb.703:                              ;   in Loop: Header=BB326_414 Depth=1
	v_and_b32_e32 v23, 7, v9
	v_ffbh_u32_e32 v21, v23
	v_lshrrev_b32_e32 v44, 3, v24
	v_cmp_gt_u32_e64 s[0:1], 8, v24
	v_min_u32_e32 v24, 32, v21
	v_subrev_u32_e32 v21, 28, v24
	v_lshlrev_b64 v[21:22], v21, v[9:10]
	v_sub_u32_e32 v22, 29, v24
	v_and_b32_e32 v21, 7, v21
	v_cndmask_b32_e64 v22, v44, v22, s[0:1]
	v_cndmask_b32_e64 v21, v23, v21, s[0:1]
	v_lshlrev_b32_e32 v9, 24, v9
	v_bfrev_b32_e32 v11, 60
	v_lshlrev_b32_e32 v21, 20, v21
	v_and_b32_e32 v9, 0x80000000, v9
	v_lshl_add_u32 v22, v22, 23, v11
	v_or3_b32 v21, v9, v22, v21
.LBB326_704:                            ;   in Loop: Header=BB326_414 Depth=1
	s_or_b64 exec, exec, s[16:17]
.LBB326_705:                            ;   in Loop: Header=BB326_414 Depth=1
	s_or_b64 exec, exec, s[14:15]
.LBB326_706:                            ;   in Loop: Header=BB326_414 Depth=1
	s_or_b64 exec, exec, s[12:13]
	v_cmp_lt_u64_e64 s[0:1], s[4:5], v[17:18]
	s_and_saveexec_b64 s[12:13], s[0:1]
	s_cbranch_execz .LBB326_712
; %bb.707:                              ;   in Loop: Header=BB326_414 Depth=1
	v_lshrrev_b32_e32 v9, 24, v18
	v_cmp_ne_u32_e64 s[0:1], s24, v9
	v_bfrev_b32_e32 v19, 1
	s_and_saveexec_b64 s[14:15], s[0:1]
	s_cbranch_execz .LBB326_711
; %bb.708:                              ;   in Loop: Header=BB326_414 Depth=1
	v_bfe_u32 v17, v18, 24, 7
	v_cmp_ne_u32_e64 s[0:1], s25, v17
	v_mov_b32_e32 v19, 0x7f800001
	s_and_saveexec_b64 s[16:17], s[0:1]
	s_cbranch_execz .LBB326_710
; %bb.709:                              ;   in Loop: Header=BB326_414 Depth=1
	v_and_b32_e32 v19, 7, v9
	v_lshrrev_b32_e32 v22, 3, v17
	v_cmp_gt_u32_e64 s[0:1], 8, v17
	v_ffbh_u32_e32 v17, v19
	v_min_u32_e32 v23, 32, v17
	v_subrev_u32_e32 v17, 28, v23
	v_lshlrev_b64 v[17:18], v17, v[9:10]
	v_sub_u32_e32 v18, 29, v23
	v_and_b32_e32 v17, 7, v17
	v_cndmask_b32_e64 v18, v22, v18, s[0:1]
	v_cndmask_b32_e64 v17, v19, v17, s[0:1]
	v_lshlrev_b32_e32 v9, 24, v9
	v_bfrev_b32_e32 v11, 60
	v_lshlrev_b32_e32 v17, 20, v17
	v_and_b32_e32 v9, 0x80000000, v9
	v_lshl_add_u32 v18, v18, 23, v11
	v_or3_b32 v19, v9, v18, v17
.LBB326_710:                            ;   in Loop: Header=BB326_414 Depth=1
	s_or_b64 exec, exec, s[16:17]
.LBB326_711:                            ;   in Loop: Header=BB326_414 Depth=1
	s_or_b64 exec, exec, s[14:15]
.LBB326_712:                            ;   in Loop: Header=BB326_414 Depth=1
	s_or_b64 exec, exec, s[12:13]
	v_mul_f32_e32 v9, s18, v42
	v_bfe_u32 v17, v9, 16, 1
	v_add3_u32 v17, v17, v9, s26
	v_or_b32_e32 v18, 0x400000, v9
	v_cmp_u_f32_e64 s[0:1], v9, v9
	v_cndmask_b32_e64 v9, v17, v18, s[0:1]
	v_lshrrev_b32_e32 v42, 16, v9
	v_mul_f32_e32 v9, s18, v41
	v_bfe_u32 v17, v9, 16, 1
	v_add3_u32 v17, v17, v9, s26
	v_or_b32_e32 v18, 0x400000, v9
	v_cmp_u_f32_e64 s[0:1], v9, v9
	v_cndmask_b32_e64 v9, v17, v18, s[0:1]
	v_lshrrev_b32_e32 v41, 16, v9
	v_mul_f32_e32 v9, s18, v20
	v_bfe_u32 v17, v9, 16, 1
	v_add3_u32 v17, v17, v9, s26
	v_or_b32_e32 v18, 0x400000, v9
	v_cmp_u_f32_e64 s[0:1], v9, v9
	v_cndmask_b32_e64 v9, v17, v18, s[0:1]
	v_mul_f32_e32 v0, s18, v0
	v_lshrrev_b32_e32 v20, 16, v9
	v_bfe_u32 v9, v0, 16, 1
	v_add3_u32 v9, v9, v0, s26
	v_or_b32_e32 v17, 0x400000, v0
	v_cmp_u_f32_e64 s[0:1], v0, v0
	v_cndmask_b32_e64 v0, v9, v17, s[0:1]
	v_mul_f32_e32 v9, s18, v43
	v_bfe_u32 v17, v9, 16, 1
	v_add3_u32 v17, v17, v9, s26
	v_or_b32_e32 v18, 0x400000, v9
	v_cmp_u_f32_e64 s[0:1], v9, v9
	v_cndmask_b32_e64 v9, v17, v18, s[0:1]
	v_lshrrev_b32_e32 v47, 16, v9
	v_mul_f32_e32 v9, s18, v35
	v_bfe_u32 v17, v9, 16, 1
	v_add3_u32 v17, v17, v9, s26
	v_or_b32_e32 v18, 0x400000, v9
	v_cmp_u_f32_e64 s[0:1], v9, v9
	v_cndmask_b32_e64 v9, v17, v18, s[0:1]
	v_lshrrev_b32_e32 v46, 16, v9
	;; [unrolled: 7-line block ×4, first 2 shown]
	v_lshrrev_b32_e32 v45, 16, v9
	s_and_saveexec_b64 s[12:13], vcc
	s_cbranch_execz .LBB326_714
; %bb.713:                              ;   in Loop: Header=BB326_414 Depth=1
	v_add_u32_e32 v9, -7, v33
	v_cmp_gt_i32_e64 s[0:1], s30, v9
	v_add_u32_e32 v9, -6, v33
	v_cndmask_b32_e64 v46, 0, v46, s[0:1]
	v_cmp_gt_i32_e64 s[0:1], s30, v9
	v_add_u32_e32 v9, -5, v33
	v_cndmask_b32_e64 v47, 0, v47, s[0:1]
	;; [unrolled: 3-line block ×6, first 2 shown]
	v_cmp_gt_i32_e64 s[0:1], s30, v9
	v_cndmask_b32_e64 v43, 0, v43, s[0:1]
	v_cmp_gt_i32_e64 s[0:1], s30, v33
	v_cndmask_b32_e64 v45, 0, v45, s[0:1]
.LBB326_714:                            ;   in Loop: Header=BB326_414 Depth=1
	s_or_b64 exec, exec, s[12:13]
	global_load_dwordx2 v[17:18], v[15:16], off offset:3072
	v_mov_b32_e32 v48, 0
	v_mov_b32_e32 v44, 0
	s_waitcnt vmcnt(0)
	v_cmp_ne_u16_sdwa s[0:1], v17, v10 src0_sel:BYTE_0 src1_sel:DWORD
	s_and_saveexec_b64 s[12:13], s[0:1]
	s_cbranch_execz .LBB326_720
; %bb.715:                              ;   in Loop: Header=BB326_414 Depth=1
	v_cmp_ne_u16_sdwa s[0:1], v17, s24 src0_sel:BYTE_0 src1_sel:DWORD
	v_bfrev_b32_e32 v44, 1
	s_and_saveexec_b64 s[14:15], s[0:1]
	s_cbranch_execz .LBB326_719
; %bb.716:                              ;   in Loop: Header=BB326_414 Depth=1
	v_and_b32_e32 v9, 0x7f, v17
	v_cmp_ne_u32_e64 s[0:1], s25, v9
	v_mov_b32_e32 v44, 0x7f800001
	s_and_saveexec_b64 s[16:17], s[0:1]
	s_cbranch_execz .LBB326_718
; %bb.717:                              ;   in Loop: Header=BB326_414 Depth=1
	v_and_b32_e32 v19, 7, v17
	v_lshrrev_b32_e32 v21, 3, v9
	v_cmp_gt_u32_e64 s[0:1], 8, v9
	v_ffbh_u32_e32 v9, v19
	v_min_u32_e32 v9, 32, v9
	v_subrev_u32_e32 v19, 28, v9
	v_sub_u32_e32 v9, 29, v9
	v_cndmask_b32_e64 v19, 0, v19, s[0:1]
	v_cndmask_b32_e64 v9, v21, v9, s[0:1]
	v_lshlrev_b64 v[21:22], v19, v[17:18]
	v_bfrev_b32_e32 v11, 60
	v_lshlrev_b32_e32 v19, 20, v21
	v_lshlrev_b32_e32 v21, 24, v17
	v_and_b32_e32 v19, 0x700000, v19
	v_and_b32_e32 v21, 0x80000000, v21
	v_lshl_add_u32 v9, v9, 23, v11
	v_or3_b32 v44, v21, v9, v19
.LBB326_718:                            ;   in Loop: Header=BB326_414 Depth=1
	s_or_b64 exec, exec, s[16:17]
.LBB326_719:                            ;   in Loop: Header=BB326_414 Depth=1
	s_or_b64 exec, exec, s[14:15]
.LBB326_720:                            ;   in Loop: Header=BB326_414 Depth=1
	s_or_b64 exec, exec, s[12:13]
	v_lshrrev_b16_e32 v9, 8, v17
	v_cmp_ne_u16_e64 s[0:1], 0, v9
	s_and_saveexec_b64 s[12:13], s[0:1]
	s_cbranch_execz .LBB326_726
; %bb.721:                              ;   in Loop: Header=BB326_414 Depth=1
	v_cmp_ne_u16_e64 s[0:1], s24, v9
	v_bfrev_b32_e32 v48, 1
	s_and_saveexec_b64 s[14:15], s[0:1]
	s_cbranch_execz .LBB326_725
; %bb.722:                              ;   in Loop: Header=BB326_414 Depth=1
	v_and_b32_e32 v19, 0x7f, v9
	v_cmp_ne_u32_e64 s[0:1], s25, v19
	v_mov_b32_e32 v48, 0x7f800001
	s_and_saveexec_b64 s[16:17], s[0:1]
	s_cbranch_execz .LBB326_724
; %bb.723:                              ;   in Loop: Header=BB326_414 Depth=1
	v_and_b32_e32 v23, 7, v9
	v_lshrrev_b32_e32 v24, 3, v19
	v_cmp_gt_u32_e64 s[0:1], 8, v19
	v_ffbh_u32_e32 v19, v23
	v_min_u32_e32 v19, 32, v19
	v_subrev_u32_e32 v21, 28, v19
	v_lshlrev_b64 v[21:22], v21, v[9:10]
	v_sub_u32_e32 v9, 29, v19
	v_and_b32_e32 v19, 7, v21
	v_cndmask_b32_e64 v9, v24, v9, s[0:1]
	v_cndmask_b32_e64 v19, v23, v19, s[0:1]
	v_lshlrev_b32_e32 v21, 16, v17
	v_bfrev_b32_e32 v11, 60
	v_lshlrev_b32_e32 v19, 20, v19
	v_and_b32_e32 v21, 0x80000000, v21
	v_lshl_add_u32 v9, v9, 23, v11
	v_or3_b32 v48, v21, v9, v19
.LBB326_724:                            ;   in Loop: Header=BB326_414 Depth=1
	s_or_b64 exec, exec, s[16:17]
.LBB326_725:                            ;   in Loop: Header=BB326_414 Depth=1
	s_or_b64 exec, exec, s[14:15]
.LBB326_726:                            ;   in Loop: Header=BB326_414 Depth=1
	s_or_b64 exec, exec, s[12:13]
	v_lshrrev_b32_e32 v9, 16, v17
	v_cmp_ne_u16_sdwa s[0:1], v9, v10 src0_sel:BYTE_0 src1_sel:DWORD
	v_mov_b32_e32 v35, 0
	v_mov_b32_e32 v49, 0
	s_and_saveexec_b64 s[12:13], s[0:1]
	s_cbranch_execz .LBB326_732
; %bb.727:                              ;   in Loop: Header=BB326_414 Depth=1
	v_cmp_ne_u16_sdwa s[0:1], v9, s24 src0_sel:BYTE_0 src1_sel:DWORD
	v_bfrev_b32_e32 v49, 1
	s_and_saveexec_b64 s[14:15], s[0:1]
	s_cbranch_execz .LBB326_731
; %bb.728:                              ;   in Loop: Header=BB326_414 Depth=1
	v_bfe_u32 v19, v17, 16, 7
	v_cmp_ne_u32_e64 s[0:1], s25, v19
	v_mov_b32_e32 v49, 0x7f800001
	s_and_saveexec_b64 s[16:17], s[0:1]
	s_cbranch_execz .LBB326_730
; %bb.729:                              ;   in Loop: Header=BB326_414 Depth=1
	v_and_b32_e32 v23, 7, v9
	v_lshrrev_b32_e32 v24, 3, v19
	v_cmp_gt_u32_e64 s[0:1], 8, v19
	v_ffbh_u32_e32 v19, v23
	v_min_u32_e32 v19, 32, v19
	v_subrev_u32_e32 v21, 28, v19
	v_lshlrev_b64 v[21:22], v21, v[9:10]
	v_sub_u32_e32 v19, 29, v19
	v_and_b32_e32 v21, 7, v21
	v_cndmask_b32_e64 v19, v24, v19, s[0:1]
	v_cndmask_b32_e64 v21, v23, v21, s[0:1]
	v_lshlrev_b32_e32 v9, 24, v9
	v_bfrev_b32_e32 v11, 60
	v_lshlrev_b32_e32 v21, 20, v21
	v_and_b32_e32 v9, 0x80000000, v9
	v_lshl_add_u32 v19, v19, 23, v11
	v_or3_b32 v49, v9, v19, v21
.LBB326_730:                            ;   in Loop: Header=BB326_414 Depth=1
	s_or_b64 exec, exec, s[16:17]
.LBB326_731:                            ;   in Loop: Header=BB326_414 Depth=1
	s_or_b64 exec, exec, s[14:15]
.LBB326_732:                            ;   in Loop: Header=BB326_414 Depth=1
	s_or_b64 exec, exec, s[12:13]
	v_cmp_lt_u32_e64 s[0:1], s5, v17
	s_and_saveexec_b64 s[12:13], s[0:1]
	s_cbranch_execz .LBB326_738
; %bb.733:                              ;   in Loop: Header=BB326_414 Depth=1
	v_lshrrev_b32_e32 v9, 24, v17
	v_cmp_ne_u32_e64 s[0:1], s24, v9
	v_bfrev_b32_e32 v35, 1
	s_and_saveexec_b64 s[14:15], s[0:1]
	s_cbranch_execz .LBB326_737
; %bb.734:                              ;   in Loop: Header=BB326_414 Depth=1
	v_bfe_u32 v19, v17, 24, 7
	v_cmp_ne_u32_e64 s[0:1], s25, v19
	v_mov_b32_e32 v35, 0x7f800001
	s_and_saveexec_b64 s[16:17], s[0:1]
	s_cbranch_execz .LBB326_736
; %bb.735:                              ;   in Loop: Header=BB326_414 Depth=1
	v_and_b32_e32 v23, 7, v9
	v_lshrrev_b32_e32 v24, 3, v19
	v_cmp_gt_u32_e64 s[0:1], 8, v19
	v_ffbh_u32_e32 v19, v23
	v_min_u32_e32 v19, 32, v19
	v_subrev_u32_e32 v21, 28, v19
	v_lshlrev_b64 v[21:22], v21, v[9:10]
	v_sub_u32_e32 v19, 29, v19
	v_and_b32_e32 v21, 7, v21
	v_cndmask_b32_e64 v19, v24, v19, s[0:1]
	v_cndmask_b32_e64 v21, v23, v21, s[0:1]
	v_lshlrev_b32_e32 v9, 24, v9
	v_bfrev_b32_e32 v11, 60
	v_lshlrev_b32_e32 v21, 20, v21
	v_and_b32_e32 v9, 0x80000000, v9
	v_lshl_add_u32 v19, v19, 23, v11
	v_or3_b32 v35, v9, v19, v21
.LBB326_736:                            ;   in Loop: Header=BB326_414 Depth=1
	s_or_b64 exec, exec, s[16:17]
.LBB326_737:                            ;   in Loop: Header=BB326_414 Depth=1
	s_or_b64 exec, exec, s[14:15]
.LBB326_738:                            ;   in Loop: Header=BB326_414 Depth=1
	s_or_b64 exec, exec, s[12:13]
	v_mov_b32_e32 v9, v18
	v_cmp_ne_u16_sdwa s[0:1], v18, v10 src0_sel:BYTE_0 src1_sel:DWORD
	v_mov_b32_e32 v58, 0
	v_mov_b32_e32 v50, 0
	s_and_saveexec_b64 s[12:13], s[0:1]
	s_cbranch_execz .LBB326_744
; %bb.739:                              ;   in Loop: Header=BB326_414 Depth=1
	v_cmp_ne_u16_sdwa s[0:1], v18, s24 src0_sel:BYTE_0 src1_sel:DWORD
	v_bfrev_b32_e32 v50, 1
	s_and_saveexec_b64 s[14:15], s[0:1]
	s_cbranch_execz .LBB326_743
; %bb.740:                              ;   in Loop: Header=BB326_414 Depth=1
	v_and_b32_e32 v19, 0x7f, v18
	v_cmp_ne_u32_e64 s[0:1], s25, v19
	v_mov_b32_e32 v50, 0x7f800001
	s_and_saveexec_b64 s[16:17], s[0:1]
	s_cbranch_execz .LBB326_742
; %bb.741:                              ;   in Loop: Header=BB326_414 Depth=1
	v_and_b32_e32 v21, 7, v18
	v_lshrrev_b32_e32 v22, 3, v19
	v_cmp_gt_u32_e64 s[0:1], 8, v19
	v_ffbh_u32_e32 v19, v21
	v_min_u32_e32 v19, 32, v19
	v_subrev_u32_e32 v21, 28, v19
	v_sub_u32_e32 v19, 29, v19
	v_cndmask_b32_e64 v21, 0, v21, s[0:1]
	v_cndmask_b32_e64 v19, v22, v19, s[0:1]
	v_lshlrev_b64 v[21:22], v21, v[9:10]
	v_lshlrev_b32_e32 v22, 24, v9
	v_lshlrev_b32_e32 v21, 20, v21
	v_bfrev_b32_e32 v11, 60
	v_and_b32_e32 v21, 0x700000, v21
	v_and_b32_e32 v22, 0x80000000, v22
	v_lshl_add_u32 v19, v19, 23, v11
	v_or3_b32 v50, v22, v19, v21
.LBB326_742:                            ;   in Loop: Header=BB326_414 Depth=1
	s_or_b64 exec, exec, s[16:17]
.LBB326_743:                            ;   in Loop: Header=BB326_414 Depth=1
	s_or_b64 exec, exec, s[14:15]
.LBB326_744:                            ;   in Loop: Header=BB326_414 Depth=1
	s_or_b64 exec, exec, s[12:13]
	v_lshrrev_b16_e32 v19, 8, v9
	v_cmp_ne_u16_e64 s[0:1], 0, v19
	s_and_saveexec_b64 s[12:13], s[0:1]
	s_cbranch_execz .LBB326_750
; %bb.745:                              ;   in Loop: Header=BB326_414 Depth=1
	v_cmp_ne_u16_e64 s[0:1], s24, v19
	v_bfrev_b32_e32 v58, 1
	s_and_saveexec_b64 s[14:15], s[0:1]
	s_cbranch_execz .LBB326_749
; %bb.746:                              ;   in Loop: Header=BB326_414 Depth=1
	v_and_b32_e32 v21, 0x7f, v19
	v_cmp_ne_u32_e64 s[0:1], s25, v21
	v_mov_b32_e32 v58, 0x7f800001
	s_and_saveexec_b64 s[16:17], s[0:1]
	s_cbranch_execz .LBB326_748
; %bb.747:                              ;   in Loop: Header=BB326_414 Depth=1
	v_and_b32_e32 v23, 7, v19
	v_lshrrev_b32_e32 v24, 3, v21
	v_cmp_gt_u32_e64 s[0:1], 8, v21
	v_ffbh_u32_e32 v21, v23
	v_min_u32_e32 v58, 32, v21
	v_subrev_u32_e32 v21, 28, v58
	v_lshlrev_b64 v[21:22], v21, v[19:20]
	v_sub_u32_e32 v19, 29, v58
	v_and_b32_e32 v21, 7, v21
	v_cndmask_b32_e64 v19, v24, v19, s[0:1]
	v_cndmask_b32_e64 v21, v23, v21, s[0:1]
	v_lshlrev_b32_e32 v9, 16, v9
	v_bfrev_b32_e32 v11, 60
	v_lshlrev_b32_e32 v21, 20, v21
	v_and_b32_e32 v9, 0x80000000, v9
	v_lshl_add_u32 v19, v19, 23, v11
	v_or3_b32 v58, v9, v19, v21
.LBB326_748:                            ;   in Loop: Header=BB326_414 Depth=1
	s_or_b64 exec, exec, s[16:17]
.LBB326_749:                            ;   in Loop: Header=BB326_414 Depth=1
	s_or_b64 exec, exec, s[14:15]
.LBB326_750:                            ;   in Loop: Header=BB326_414 Depth=1
	s_or_b64 exec, exec, s[12:13]
	v_lshrrev_b32_e32 v9, 16, v18
	v_cmp_ne_u16_sdwa s[0:1], v9, v10 src0_sel:BYTE_0 src1_sel:DWORD
	v_mov_b32_e32 v24, 0
	v_mov_b32_e32 v21, 0
	s_and_saveexec_b64 s[12:13], s[0:1]
	s_cbranch_execz .LBB326_756
; %bb.751:                              ;   in Loop: Header=BB326_414 Depth=1
	v_cmp_ne_u16_sdwa s[0:1], v9, s24 src0_sel:BYTE_0 src1_sel:DWORD
	v_bfrev_b32_e32 v21, 1
	s_and_saveexec_b64 s[14:15], s[0:1]
	s_cbranch_execz .LBB326_755
; %bb.752:                              ;   in Loop: Header=BB326_414 Depth=1
	v_bfe_u32 v19, v18, 16, 7
	v_cmp_ne_u32_e64 s[0:1], s25, v19
	v_mov_b32_e32 v21, 0x7f800001
	s_and_saveexec_b64 s[16:17], s[0:1]
	s_cbranch_execz .LBB326_754
; %bb.753:                              ;   in Loop: Header=BB326_414 Depth=1
	v_and_b32_e32 v23, 7, v9
	v_lshrrev_b32_e32 v59, 3, v19
	v_cmp_gt_u32_e64 s[0:1], 8, v19
	v_ffbh_u32_e32 v19, v23
	v_min_u32_e32 v19, 32, v19
	v_subrev_u32_e32 v21, 28, v19
	v_lshlrev_b64 v[21:22], v21, v[9:10]
	v_sub_u32_e32 v19, 29, v19
	v_and_b32_e32 v21, 7, v21
	v_cndmask_b32_e64 v19, v59, v19, s[0:1]
	v_cndmask_b32_e64 v21, v23, v21, s[0:1]
	v_lshlrev_b32_e32 v9, 24, v9
	v_bfrev_b32_e32 v11, 60
	v_lshlrev_b32_e32 v21, 20, v21
	v_and_b32_e32 v9, 0x80000000, v9
	v_lshl_add_u32 v19, v19, 23, v11
	v_or3_b32 v21, v9, v19, v21
.LBB326_754:                            ;   in Loop: Header=BB326_414 Depth=1
	s_or_b64 exec, exec, s[16:17]
.LBB326_755:                            ;   in Loop: Header=BB326_414 Depth=1
	s_or_b64 exec, exec, s[14:15]
.LBB326_756:                            ;   in Loop: Header=BB326_414 Depth=1
	s_or_b64 exec, exec, s[12:13]
	v_cmp_lt_u64_e64 s[0:1], s[4:5], v[17:18]
	s_and_saveexec_b64 s[12:13], s[0:1]
	s_cbranch_execz .LBB326_762
; %bb.757:                              ;   in Loop: Header=BB326_414 Depth=1
	v_lshrrev_b32_e32 v9, 24, v18
	v_cmp_ne_u32_e64 s[0:1], s24, v9
	v_bfrev_b32_e32 v24, 1
	s_and_saveexec_b64 s[14:15], s[0:1]
	s_cbranch_execz .LBB326_761
; %bb.758:                              ;   in Loop: Header=BB326_414 Depth=1
	v_bfe_u32 v17, v18, 24, 7
	v_cmp_ne_u32_e64 s[0:1], s25, v17
	v_mov_b32_e32 v24, 0x7f800001
	s_and_saveexec_b64 s[16:17], s[0:1]
	s_cbranch_execz .LBB326_760
; %bb.759:                              ;   in Loop: Header=BB326_414 Depth=1
	v_and_b32_e32 v19, 7, v9
	v_lshrrev_b32_e32 v22, 3, v17
	v_cmp_gt_u32_e64 s[0:1], 8, v17
	v_ffbh_u32_e32 v17, v19
	v_min_u32_e32 v23, 32, v17
	v_subrev_u32_e32 v17, 28, v23
	v_lshlrev_b64 v[17:18], v17, v[9:10]
	v_sub_u32_e32 v18, 29, v23
	v_and_b32_e32 v17, 7, v17
	v_cndmask_b32_e64 v18, v22, v18, s[0:1]
	v_cndmask_b32_e64 v17, v19, v17, s[0:1]
	v_lshlrev_b32_e32 v9, 24, v9
	v_bfrev_b32_e32 v11, 60
	v_lshlrev_b32_e32 v17, 20, v17
	v_and_b32_e32 v9, 0x80000000, v9
	v_lshl_add_u32 v18, v18, 23, v11
	v_or3_b32 v24, v9, v18, v17
.LBB326_760:                            ;   in Loop: Header=BB326_414 Depth=1
	s_or_b64 exec, exec, s[16:17]
.LBB326_761:                            ;   in Loop: Header=BB326_414 Depth=1
	s_or_b64 exec, exec, s[14:15]
.LBB326_762:                            ;   in Loop: Header=BB326_414 Depth=1
	s_or_b64 exec, exec, s[12:13]
	v_mul_f32_e32 v9, s18, v58
	v_bfe_u32 v17, v9, 16, 1
	v_add3_u32 v17, v17, v9, s26
	v_or_b32_e32 v18, 0x400000, v9
	v_cmp_u_f32_e64 s[0:1], v9, v9
	v_cndmask_b32_e64 v9, v17, v18, s[0:1]
	v_lshrrev_b32_e32 v19, 16, v9
	v_mul_f32_e32 v9, s18, v50
	v_bfe_u32 v17, v9, 16, 1
	v_add3_u32 v17, v17, v9, s26
	v_or_b32_e32 v18, 0x400000, v9
	v_cmp_u_f32_e64 s[0:1], v9, v9
	v_cndmask_b32_e64 v9, v17, v18, s[0:1]
	v_lshrrev_b32_e32 v18, 16, v9
	v_mul_f32_e32 v9, s18, v35
	v_bfe_u32 v17, v9, 16, 1
	v_add3_u32 v17, v17, v9, s26
	v_or_b32_e32 v22, 0x400000, v9
	v_cmp_u_f32_e64 s[0:1], v9, v9
	v_cndmask_b32_e64 v9, v17, v22, s[0:1]
	v_lshrrev_b32_e32 v35, 16, v9
	v_mul_f32_e32 v9, s18, v49
	v_bfe_u32 v17, v9, 16, 1
	v_add3_u32 v17, v17, v9, s26
	v_or_b32_e32 v22, 0x400000, v9
	v_cmp_u_f32_e64 s[0:1], v9, v9
	v_cndmask_b32_e64 v9, v17, v22, s[0:1]
	v_lshrrev_b32_e32 v49, 16, v9
	v_mul_f32_e32 v9, s18, v48
	v_bfe_u32 v17, v9, 16, 1
	v_add3_u32 v17, v17, v9, s26
	v_or_b32_e32 v22, 0x400000, v9
	v_cmp_u_f32_e64 s[0:1], v9, v9
	v_cndmask_b32_e64 v9, v17, v22, s[0:1]
	v_lshrrev_b32_e32 v60, 16, v9
	v_mul_f32_e32 v9, s18, v44
	v_bfe_u32 v17, v9, 16, 1
	v_add3_u32 v17, v17, v9, s26
	v_or_b32_e32 v22, 0x400000, v9
	v_cmp_u_f32_e64 s[0:1], v9, v9
	v_cndmask_b32_e64 v9, v17, v22, s[0:1]
	v_lshrrev_b32_e32 v59, 16, v9
	v_mul_f32_e32 v9, s18, v21
	v_bfe_u32 v17, v9, 16, 1
	v_add3_u32 v17, v17, v9, s26
	v_or_b32_e32 v21, 0x400000, v9
	v_cmp_u_f32_e64 s[0:1], v9, v9
	v_cndmask_b32_e64 v9, v17, v21, s[0:1]
	v_lshrrev_b32_e32 v48, 16, v9
	v_mul_f32_e32 v9, s18, v24
	v_bfe_u32 v17, v9, 16, 1
	v_add3_u32 v17, v17, v9, s26
	v_or_b32_e32 v21, 0x400000, v9
	v_cmp_u_f32_e64 s[0:1], v9, v9
	v_cndmask_b32_e64 v9, v17, v21, s[0:1]
	v_lshrrev_b32_e32 v50, 16, v9
	s_and_saveexec_b64 s[12:13], vcc
	s_cbranch_execz .LBB326_764
; %bb.763:                              ;   in Loop: Header=BB326_414 Depth=1
	v_add_u32_e32 v9, -7, v33
	v_cmp_gt_i32_e64 s[0:1], s30, v9
	v_add_u32_e32 v9, -6, v33
	v_cndmask_b32_e64 v59, 0, v59, s[0:1]
	v_cmp_gt_i32_e64 s[0:1], s30, v9
	v_add_u32_e32 v9, -5, v33
	v_cndmask_b32_e64 v60, 0, v60, s[0:1]
	;; [unrolled: 3-line block ×6, first 2 shown]
	v_cmp_gt_i32_e64 s[0:1], s30, v9
	v_cndmask_b32_e64 v48, 0, v48, s[0:1]
	v_cmp_gt_i32_e64 s[0:1], s30, v33
	v_cndmask_b32_e64 v50, 0, v50, s[0:1]
.LBB326_764:                            ;   in Loop: Header=BB326_414 Depth=1
	s_or_b64 exec, exec, s[12:13]
	global_load_dwordx2 v[15:16], v[15:16], off offset:3584
	v_mov_b32_e32 v61, 0
	v_mov_b32_e32 v44, 0
	s_waitcnt vmcnt(0)
	v_cmp_ne_u16_sdwa s[0:1], v15, v10 src0_sel:BYTE_0 src1_sel:DWORD
	s_and_saveexec_b64 s[12:13], s[0:1]
	s_cbranch_execz .LBB326_770
; %bb.765:                              ;   in Loop: Header=BB326_414 Depth=1
	v_cmp_ne_u16_sdwa s[0:1], v15, s24 src0_sel:BYTE_0 src1_sel:DWORD
	v_bfrev_b32_e32 v44, 1
	s_and_saveexec_b64 s[14:15], s[0:1]
	s_cbranch_execz .LBB326_769
; %bb.766:                              ;   in Loop: Header=BB326_414 Depth=1
	v_and_b32_e32 v9, 0x7f, v15
	v_cmp_ne_u32_e64 s[0:1], s25, v9
	v_mov_b32_e32 v44, 0x7f800001
	s_and_saveexec_b64 s[16:17], s[0:1]
	s_cbranch_execz .LBB326_768
; %bb.767:                              ;   in Loop: Header=BB326_414 Depth=1
	v_and_b32_e32 v17, 7, v15
	v_lshrrev_b32_e32 v21, 3, v9
	v_cmp_gt_u32_e64 s[0:1], 8, v9
	v_ffbh_u32_e32 v9, v17
	v_min_u32_e32 v9, 32, v9
	v_subrev_u32_e32 v17, 28, v9
	v_sub_u32_e32 v9, 29, v9
	v_cndmask_b32_e64 v17, 0, v17, s[0:1]
	v_cndmask_b32_e64 v9, v21, v9, s[0:1]
	v_lshlrev_b64 v[21:22], v17, v[15:16]
	v_bfrev_b32_e32 v11, 60
	v_lshlrev_b32_e32 v17, 20, v21
	v_lshlrev_b32_e32 v21, 24, v15
	v_and_b32_e32 v17, 0x700000, v17
	v_and_b32_e32 v21, 0x80000000, v21
	v_lshl_add_u32 v9, v9, 23, v11
	v_or3_b32 v44, v21, v9, v17
.LBB326_768:                            ;   in Loop: Header=BB326_414 Depth=1
	s_or_b64 exec, exec, s[16:17]
.LBB326_769:                            ;   in Loop: Header=BB326_414 Depth=1
	s_or_b64 exec, exec, s[14:15]
.LBB326_770:                            ;   in Loop: Header=BB326_414 Depth=1
	s_or_b64 exec, exec, s[12:13]
	v_lshrrev_b16_e32 v9, 8, v15
	v_cmp_ne_u16_e64 s[0:1], 0, v9
	s_and_saveexec_b64 s[12:13], s[0:1]
	s_cbranch_execz .LBB326_776
; %bb.771:                              ;   in Loop: Header=BB326_414 Depth=1
	v_cmp_ne_u16_e64 s[0:1], s24, v9
	v_bfrev_b32_e32 v61, 1
	s_and_saveexec_b64 s[14:15], s[0:1]
	s_cbranch_execz .LBB326_775
; %bb.772:                              ;   in Loop: Header=BB326_414 Depth=1
	v_and_b32_e32 v17, 0x7f, v9
	v_cmp_ne_u32_e64 s[0:1], s25, v17
	v_mov_b32_e32 v61, 0x7f800001
	s_and_saveexec_b64 s[16:17], s[0:1]
	s_cbranch_execz .LBB326_774
; %bb.773:                              ;   in Loop: Header=BB326_414 Depth=1
	v_and_b32_e32 v23, 7, v9
	v_lshrrev_b32_e32 v24, 3, v17
	v_cmp_gt_u32_e64 s[0:1], 8, v17
	v_ffbh_u32_e32 v17, v23
	v_min_u32_e32 v17, 32, v17
	v_subrev_u32_e32 v21, 28, v17
	v_lshlrev_b64 v[21:22], v21, v[9:10]
	v_sub_u32_e32 v9, 29, v17
	v_and_b32_e32 v17, 7, v21
	v_cndmask_b32_e64 v9, v24, v9, s[0:1]
	v_cndmask_b32_e64 v17, v23, v17, s[0:1]
	v_lshlrev_b32_e32 v21, 16, v15
	v_bfrev_b32_e32 v11, 60
	v_lshlrev_b32_e32 v17, 20, v17
	v_and_b32_e32 v21, 0x80000000, v21
	v_lshl_add_u32 v9, v9, 23, v11
	v_or3_b32 v61, v21, v9, v17
.LBB326_774:                            ;   in Loop: Header=BB326_414 Depth=1
	s_or_b64 exec, exec, s[16:17]
.LBB326_775:                            ;   in Loop: Header=BB326_414 Depth=1
	s_or_b64 exec, exec, s[14:15]
.LBB326_776:                            ;   in Loop: Header=BB326_414 Depth=1
	s_or_b64 exec, exec, s[12:13]
	v_lshrrev_b32_e32 v9, 16, v15
	v_cmp_ne_u16_sdwa s[0:1], v9, v10 src0_sel:BYTE_0 src1_sel:DWORD
	v_mov_b32_e32 v62, 0
	v_mov_b32_e32 v58, 0
	s_and_saveexec_b64 s[12:13], s[0:1]
	s_cbranch_execz .LBB326_782
; %bb.777:                              ;   in Loop: Header=BB326_414 Depth=1
	v_cmp_ne_u16_sdwa s[0:1], v9, s24 src0_sel:BYTE_0 src1_sel:DWORD
	v_bfrev_b32_e32 v58, 1
	s_and_saveexec_b64 s[14:15], s[0:1]
	s_cbranch_execz .LBB326_781
; %bb.778:                              ;   in Loop: Header=BB326_414 Depth=1
	v_bfe_u32 v17, v15, 16, 7
	v_cmp_ne_u32_e64 s[0:1], s25, v17
	v_mov_b32_e32 v58, 0x7f800001
	s_and_saveexec_b64 s[16:17], s[0:1]
	s_cbranch_execz .LBB326_780
; %bb.779:                              ;   in Loop: Header=BB326_414 Depth=1
	v_and_b32_e32 v23, 7, v9
	v_lshrrev_b32_e32 v24, 3, v17
	v_cmp_gt_u32_e64 s[0:1], 8, v17
	v_ffbh_u32_e32 v17, v23
	v_min_u32_e32 v17, 32, v17
	v_subrev_u32_e32 v21, 28, v17
	v_lshlrev_b64 v[21:22], v21, v[9:10]
	v_sub_u32_e32 v17, 29, v17
	v_and_b32_e32 v21, 7, v21
	v_cndmask_b32_e64 v17, v24, v17, s[0:1]
	v_cndmask_b32_e64 v21, v23, v21, s[0:1]
	v_lshlrev_b32_e32 v9, 24, v9
	v_bfrev_b32_e32 v11, 60
	v_lshlrev_b32_e32 v21, 20, v21
	v_and_b32_e32 v9, 0x80000000, v9
	v_lshl_add_u32 v17, v17, 23, v11
	v_or3_b32 v58, v9, v17, v21
.LBB326_780:                            ;   in Loop: Header=BB326_414 Depth=1
	s_or_b64 exec, exec, s[16:17]
.LBB326_781:                            ;   in Loop: Header=BB326_414 Depth=1
	s_or_b64 exec, exec, s[14:15]
.LBB326_782:                            ;   in Loop: Header=BB326_414 Depth=1
	s_or_b64 exec, exec, s[12:13]
	v_cmp_lt_u32_e64 s[0:1], s5, v15
	s_and_saveexec_b64 s[12:13], s[0:1]
	s_cbranch_execz .LBB326_788
; %bb.783:                              ;   in Loop: Header=BB326_414 Depth=1
	v_lshrrev_b32_e32 v9, 24, v15
	v_cmp_ne_u32_e64 s[0:1], s24, v9
	v_bfrev_b32_e32 v62, 1
	s_and_saveexec_b64 s[14:15], s[0:1]
	s_cbranch_execz .LBB326_787
; %bb.784:                              ;   in Loop: Header=BB326_414 Depth=1
	v_bfe_u32 v17, v15, 24, 7
	v_cmp_ne_u32_e64 s[0:1], s25, v17
	v_mov_b32_e32 v62, 0x7f800001
	s_and_saveexec_b64 s[16:17], s[0:1]
	s_cbranch_execz .LBB326_786
; %bb.785:                              ;   in Loop: Header=BB326_414 Depth=1
	v_and_b32_e32 v23, 7, v9
	v_lshrrev_b32_e32 v24, 3, v17
	v_cmp_gt_u32_e64 s[0:1], 8, v17
	v_ffbh_u32_e32 v17, v23
	v_min_u32_e32 v17, 32, v17
	v_subrev_u32_e32 v21, 28, v17
	v_lshlrev_b64 v[21:22], v21, v[9:10]
	v_sub_u32_e32 v17, 29, v17
	v_and_b32_e32 v21, 7, v21
	v_cndmask_b32_e64 v17, v24, v17, s[0:1]
	v_cndmask_b32_e64 v21, v23, v21, s[0:1]
	v_lshlrev_b32_e32 v9, 24, v9
	v_bfrev_b32_e32 v11, 60
	v_lshlrev_b32_e32 v21, 20, v21
	v_and_b32_e32 v9, 0x80000000, v9
	v_lshl_add_u32 v17, v17, 23, v11
	v_or3_b32 v62, v9, v17, v21
.LBB326_786:                            ;   in Loop: Header=BB326_414 Depth=1
	s_or_b64 exec, exec, s[16:17]
.LBB326_787:                            ;   in Loop: Header=BB326_414 Depth=1
	s_or_b64 exec, exec, s[14:15]
.LBB326_788:                            ;   in Loop: Header=BB326_414 Depth=1
	s_or_b64 exec, exec, s[12:13]
	v_mov_b32_e32 v9, v16
	v_cmp_ne_u16_sdwa s[0:1], v16, v10 src0_sel:BYTE_0 src1_sel:DWORD
	v_mov_b32_e32 v24, 0
	v_mov_b32_e32 v63, 0
	s_and_saveexec_b64 s[12:13], s[0:1]
	s_cbranch_execz .LBB326_794
; %bb.789:                              ;   in Loop: Header=BB326_414 Depth=1
	v_cmp_ne_u16_sdwa s[0:1], v16, s24 src0_sel:BYTE_0 src1_sel:DWORD
	v_bfrev_b32_e32 v63, 1
	s_and_saveexec_b64 s[14:15], s[0:1]
	s_cbranch_execz .LBB326_793
; %bb.790:                              ;   in Loop: Header=BB326_414 Depth=1
	v_and_b32_e32 v17, 0x7f, v16
	v_cmp_ne_u32_e64 s[0:1], s25, v17
	v_mov_b32_e32 v63, 0x7f800001
	s_and_saveexec_b64 s[16:17], s[0:1]
	s_cbranch_execz .LBB326_792
; %bb.791:                              ;   in Loop: Header=BB326_414 Depth=1
	v_and_b32_e32 v21, 7, v16
	v_lshrrev_b32_e32 v22, 3, v17
	v_cmp_gt_u32_e64 s[0:1], 8, v17
	v_ffbh_u32_e32 v17, v21
	v_min_u32_e32 v17, 32, v17
	v_subrev_u32_e32 v21, 28, v17
	v_sub_u32_e32 v17, 29, v17
	v_cndmask_b32_e64 v21, 0, v21, s[0:1]
	v_cndmask_b32_e64 v17, v22, v17, s[0:1]
	v_lshlrev_b64 v[21:22], v21, v[9:10]
	v_lshlrev_b32_e32 v22, 24, v9
	v_lshlrev_b32_e32 v21, 20, v21
	v_bfrev_b32_e32 v11, 60
	v_and_b32_e32 v21, 0x700000, v21
	v_and_b32_e32 v22, 0x80000000, v22
	v_lshl_add_u32 v17, v17, 23, v11
	v_or3_b32 v63, v22, v17, v21
.LBB326_792:                            ;   in Loop: Header=BB326_414 Depth=1
	s_or_b64 exec, exec, s[16:17]
.LBB326_793:                            ;   in Loop: Header=BB326_414 Depth=1
	s_or_b64 exec, exec, s[14:15]
.LBB326_794:                            ;   in Loop: Header=BB326_414 Depth=1
	s_or_b64 exec, exec, s[12:13]
	v_lshrrev_b16_e32 v17, 8, v9
	v_cmp_ne_u16_e64 s[0:1], 0, v17
	s_and_saveexec_b64 s[12:13], s[0:1]
	s_cbranch_execz .LBB326_800
; %bb.795:                              ;   in Loop: Header=BB326_414 Depth=1
	v_cmp_ne_u16_e64 s[0:1], s24, v17
	v_bfrev_b32_e32 v24, 1
	s_and_saveexec_b64 s[14:15], s[0:1]
	s_cbranch_execz .LBB326_799
; %bb.796:                              ;   in Loop: Header=BB326_414 Depth=1
	v_and_b32_e32 v21, 0x7f, v17
	v_cmp_ne_u32_e64 s[0:1], s25, v21
	v_mov_b32_e32 v24, 0x7f800001
	s_and_saveexec_b64 s[16:17], s[0:1]
	s_cbranch_execz .LBB326_798
; %bb.797:                              ;   in Loop: Header=BB326_414 Depth=1
	v_and_b32_e32 v23, 7, v17
	v_lshrrev_b32_e32 v24, 3, v21
	v_cmp_gt_u32_e64 s[0:1], 8, v21
	v_ffbh_u32_e32 v21, v23
	v_min_u32_e32 v11, 32, v21
	v_subrev_u32_e32 v21, 28, v11
	v_lshlrev_b64 v[21:22], v21, v[17:18]
	v_sub_u32_e32 v11, 29, v11
	v_and_b32_e32 v17, 7, v21
	v_cndmask_b32_e64 v11, v24, v11, s[0:1]
	v_cndmask_b32_e64 v17, v23, v17, s[0:1]
	v_lshlrev_b32_e32 v9, 16, v9
	v_bfrev_b32_e32 v12, 60
	v_lshlrev_b32_e32 v17, 20, v17
	v_and_b32_e32 v9, 0x80000000, v9
	v_lshl_add_u32 v11, v11, 23, v12
	v_or3_b32 v24, v9, v11, v17
.LBB326_798:                            ;   in Loop: Header=BB326_414 Depth=1
	s_or_b64 exec, exec, s[16:17]
.LBB326_799:                            ;   in Loop: Header=BB326_414 Depth=1
	s_or_b64 exec, exec, s[14:15]
.LBB326_800:                            ;   in Loop: Header=BB326_414 Depth=1
	s_or_b64 exec, exec, s[12:13]
	v_lshrrev_b32_e32 v9, 16, v16
	v_cmp_ne_u16_sdwa s[0:1], v9, v10 src0_sel:BYTE_0 src1_sel:DWORD
	v_mov_b32_e32 v21, 0
	v_mov_b32_e32 v17, 0
	s_and_saveexec_b64 s[12:13], s[0:1]
	s_cbranch_execz .LBB326_806
; %bb.801:                              ;   in Loop: Header=BB326_414 Depth=1
	v_cmp_ne_u16_sdwa s[0:1], v9, s24 src0_sel:BYTE_0 src1_sel:DWORD
	v_bfrev_b32_e32 v17, 1
	s_and_saveexec_b64 s[14:15], s[0:1]
	s_cbranch_execz .LBB326_805
; %bb.802:                              ;   in Loop: Header=BB326_414 Depth=1
	v_bfe_u32 v22, v16, 16, 7
	v_cmp_ne_u32_e64 s[0:1], s25, v22
	v_mov_b32_e32 v17, 0x7f800001
	s_and_saveexec_b64 s[16:17], s[0:1]
	s_cbranch_execz .LBB326_804
; %bb.803:                              ;   in Loop: Header=BB326_414 Depth=1
	v_and_b32_e32 v11, 7, v9
	v_lshrrev_b32_e32 v17, 3, v22
	v_cmp_gt_u32_e64 s[0:1], 8, v22
	v_ffbh_u32_e32 v22, v11
	v_min_u32_e32 v12, 32, v22
	v_subrev_u32_e32 v22, 28, v12
	v_lshlrev_b64 v[22:23], v22, v[9:10]
	v_sub_u32_e32 v12, 29, v12
	v_and_b32_e32 v22, 7, v22
	v_cndmask_b32_e64 v12, v17, v12, s[0:1]
	v_cndmask_b32_e64 v11, v11, v22, s[0:1]
	v_lshlrev_b32_e32 v9, 24, v9
	v_bfrev_b32_e32 v17, 60
	v_lshlrev_b32_e32 v11, 20, v11
	v_and_b32_e32 v9, 0x80000000, v9
	v_lshl_add_u32 v12, v12, 23, v17
	v_or3_b32 v17, v9, v12, v11
.LBB326_804:                            ;   in Loop: Header=BB326_414 Depth=1
	s_or_b64 exec, exec, s[16:17]
.LBB326_805:                            ;   in Loop: Header=BB326_414 Depth=1
	s_or_b64 exec, exec, s[14:15]
.LBB326_806:                            ;   in Loop: Header=BB326_414 Depth=1
	s_or_b64 exec, exec, s[12:13]
	v_cmp_lt_u64_e64 s[0:1], s[4:5], v[15:16]
	s_and_saveexec_b64 s[12:13], s[0:1]
	s_cbranch_execz .LBB326_812
; %bb.807:                              ;   in Loop: Header=BB326_414 Depth=1
	v_lshrrev_b32_e32 v9, 24, v16
	v_cmp_ne_u32_e64 s[0:1], s24, v9
	v_bfrev_b32_e32 v21, 1
	s_and_saveexec_b64 s[14:15], s[0:1]
	s_cbranch_execz .LBB326_811
; %bb.808:                              ;   in Loop: Header=BB326_414 Depth=1
	v_bfe_u32 v15, v16, 24, 7
	v_cmp_ne_u32_e64 s[0:1], s25, v15
	v_mov_b32_e32 v21, 0x7f800001
	s_and_saveexec_b64 s[16:17], s[0:1]
	s_cbranch_execz .LBB326_810
; %bb.809:                              ;   in Loop: Header=BB326_414 Depth=1
	v_and_b32_e32 v11, 7, v9
	v_lshrrev_b32_e32 v12, 3, v15
	v_cmp_gt_u32_e64 s[0:1], 8, v15
	v_ffbh_u32_e32 v15, v11
	v_min_u32_e32 v21, 32, v15
	v_subrev_u32_e32 v15, 28, v21
	v_lshlrev_b64 v[15:16], v15, v[9:10]
	v_sub_u32_e32 v16, 29, v21
	v_and_b32_e32 v15, 7, v15
	v_cndmask_b32_e64 v12, v12, v16, s[0:1]
	v_cndmask_b32_e64 v11, v11, v15, s[0:1]
	v_lshlrev_b32_e32 v9, 24, v9
	v_bfrev_b32_e32 v15, 60
	v_lshlrev_b32_e32 v11, 20, v11
	v_and_b32_e32 v9, 0x80000000, v9
	v_lshl_add_u32 v12, v12, 23, v15
	v_or3_b32 v21, v9, v12, v11
.LBB326_810:                            ;   in Loop: Header=BB326_414 Depth=1
	s_or_b64 exec, exec, s[16:17]
.LBB326_811:                            ;   in Loop: Header=BB326_414 Depth=1
	s_or_b64 exec, exec, s[14:15]
.LBB326_812:                            ;   in Loop: Header=BB326_414 Depth=1
	s_or_b64 exec, exec, s[12:13]
	v_mul_f32_e32 v9, s18, v24
	v_bfe_u32 v11, v9, 16, 1
	v_add3_u32 v11, v11, v9, s26
	v_or_b32_e32 v12, 0x400000, v9
	v_cmp_u_f32_e64 s[0:1], v9, v9
	v_cndmask_b32_e64 v9, v11, v12, s[0:1]
	v_mul_f32_e32 v11, s18, v63
	v_bfe_u32 v12, v11, 16, 1
	v_add3_u32 v12, v12, v11, s26
	v_or_b32_e32 v15, 0x400000, v11
	v_cmp_u_f32_e64 s[0:1], v11, v11
	v_cndmask_b32_e64 v11, v12, v15, s[0:1]
	v_lshrrev_b32_e32 v15, 16, v11
	v_mul_f32_e32 v11, s18, v62
	v_bfe_u32 v12, v11, 16, 1
	v_add3_u32 v12, v12, v11, s26
	v_or_b32_e32 v16, 0x400000, v11
	v_cmp_u_f32_e64 s[0:1], v11, v11
	v_cndmask_b32_e64 v11, v12, v16, s[0:1]
	v_lshrrev_b32_e32 v16, 16, v11
	v_mul_f32_e32 v11, s18, v58
	v_bfe_u32 v12, v11, 16, 1
	v_add3_u32 v12, v12, v11, s26
	v_or_b32_e32 v22, 0x400000, v11
	v_cmp_u_f32_e64 s[0:1], v11, v11
	v_cndmask_b32_e64 v11, v12, v22, s[0:1]
	v_lshrrev_b32_e32 v58, 16, v11
	v_mul_f32_e32 v11, s18, v61
	v_bfe_u32 v12, v11, 16, 1
	v_add3_u32 v12, v12, v11, s26
	v_or_b32_e32 v22, 0x400000, v11
	v_cmp_u_f32_e64 s[0:1], v11, v11
	v_cndmask_b32_e64 v11, v12, v22, s[0:1]
	v_lshrrev_b32_e32 v61, 16, v11
	v_mul_f32_e32 v11, s18, v44
	v_bfe_u32 v12, v11, 16, 1
	v_add3_u32 v12, v12, v11, s26
	v_or_b32_e32 v22, 0x400000, v11
	v_cmp_u_f32_e64 s[0:1], v11, v11
	v_cndmask_b32_e64 v11, v12, v22, s[0:1]
	v_lshrrev_b32_e32 v62, 16, v11
	v_mul_f32_e32 v11, s18, v17
	v_bfe_u32 v12, v11, 16, 1
	v_add3_u32 v12, v12, v11, s26
	v_or_b32_e32 v17, 0x400000, v11
	v_cmp_u_f32_e64 s[0:1], v11, v11
	v_cndmask_b32_e64 v11, v12, v17, s[0:1]
	v_lshrrev_b32_e32 v17, 16, v11
	v_mul_f32_e32 v11, s18, v21
	v_bfe_u32 v12, v11, 16, 1
	v_add3_u32 v12, v12, v11, s26
	v_or_b32_e32 v21, 0x400000, v11
	v_cmp_u_f32_e64 s[0:1], v11, v11
	v_cndmask_b32_e64 v11, v12, v21, s[0:1]
	v_lshrrev_b32_e32 v9, 16, v9
	v_lshrrev_b32_e32 v44, 16, v11
	s_and_saveexec_b64 s[0:1], vcc
	s_cbranch_execz .LBB326_413
; %bb.813:                              ;   in Loop: Header=BB326_414 Depth=1
	v_add_u32_e32 v11, -7, v33
	v_cmp_gt_i32_e32 vcc, s30, v11
	v_add_u32_e32 v11, -6, v33
	v_cndmask_b32_e32 v62, 0, v62, vcc
	v_cmp_gt_i32_e32 vcc, s30, v11
	v_add_u32_e32 v11, -5, v33
	v_cndmask_b32_e32 v61, 0, v61, vcc
	;; [unrolled: 3-line block ×6, first 2 shown]
	v_cmp_gt_i32_e32 vcc, s30, v11
	v_cndmask_b32_e32 v17, 0, v17, vcc
	v_cmp_gt_i32_e32 vcc, s30, v33
	v_cndmask_b32_e32 v44, 0, v44, vcc
	s_branch .LBB326_413
.LBB326_814:
	s_or_b64 exec, exec, s[6:7]
	buffer_load_dword v15, off, s[48:51], 0 offset:128 ; 4-byte Folded Reload
	buffer_load_dword v11, off, s[48:51], 0 offset:132 ; 4-byte Folded Reload
	;; [unrolled: 1-line block ×4, first 2 shown]
.LBB326_815:
	s_or_b64 exec, exec, s[2:3]
	s_waitcnt vmcnt(2)
	ds_bpermute_b32 v0, v11, v31
	ds_bpermute_b32 v1, v11, v32
	;; [unrolled: 1-line block ×4, first 2 shown]
	s_waitcnt lgkmcnt(0)
	v_add_f32_e32 v0, v31, v0
	s_waitcnt vmcnt(1)
	ds_bpermute_b32 v3, v14, v0
	v_add_f32_e32 v1, v32, v1
	v_add_f32_e32 v6, v30, v2
	ds_bpermute_b32 v5, v14, v1
	ds_bpermute_b32 v7, v14, v6
	s_waitcnt lgkmcnt(2)
	v_add_f32_e32 v4, v0, v3
	ds_bpermute_b32 v0, v11, v28
	v_add_f32_e32 v3, v29, v8
	s_waitcnt lgkmcnt(2)
	v_add_f32_e32 v2, v1, v5
	s_waitcnt lgkmcnt(1)
	v_add_f32_e32 v1, v6, v7
	ds_bpermute_b32 v6, v11, v27
	s_waitcnt lgkmcnt(1)
	v_add_f32_e32 v0, v28, v0
	ds_bpermute_b32 v8, v14, v0
	s_waitcnt vmcnt(0) lgkmcnt(0)
	s_barrier
	v_add_f32_e32 v10, v27, v6
	ds_bpermute_b32 v7, v11, v26
	v_add_f32_e32 v6, v0, v8
	buffer_load_dword v8, off, s[48:51], 0 offset:344 ; 4-byte Folded Reload
	ds_bpermute_b32 v9, v11, v25
	ds_bpermute_b32 v5, v14, v3
	s_waitcnt lgkmcnt(2)
	v_add_f32_e32 v12, v26, v7
	ds_bpermute_b32 v11, v14, v10
	ds_bpermute_b32 v13, v14, v12
	s_waitcnt lgkmcnt(3)
	v_add_f32_e32 v9, v25, v9
	ds_bpermute_b32 v14, v14, v9
	s_waitcnt lgkmcnt(3)
	v_add_f32_e32 v7, v3, v5
	s_waitcnt lgkmcnt(2)
	v_add_f32_e32 v5, v10, v11
	;; [unrolled: 2-line block ×4, first 2 shown]
	s_waitcnt vmcnt(0)
	v_and_b32_e32 v9, 0x3c3, v8
	v_cmp_eq_u32_e32 vcc, 64, v9
	s_and_saveexec_b64 s[0:1], vcc
	s_cbranch_execz .LBB326_817
; %bb.816:
	v_add_u32_e32 v8, 0x110, v15
	ds_write2_b32 v8, v4, v2 offset1:16
	ds_write2_b32 v8, v1, v7 offset0:32 offset1:48
	ds_write2_b32 v8, v6, v5 offset0:64 offset1:80
	;; [unrolled: 1-line block ×3, first 2 shown]
.LBB326_817:
	s_or_b64 exec, exec, s[0:1]
	buffer_load_dword v8, off, s[48:51], 0 offset:344 ; 4-byte Folded Reload
	s_waitcnt vmcnt(0) lgkmcnt(0)
	s_barrier
	v_cmp_gt_u32_e32 vcc, 64, v8
	v_lshrrev_b32_e32 v8, 2, v8
	s_and_saveexec_b64 s[0:1], vcc
	s_cbranch_execz .LBB326_828
; %bb.818:
	v_mov_b32_e32 v10, 0x110
	v_cmp_eq_u32_e32 vcc, 0, v16
	v_lshl_add_u32 v10, v8, 2, v10
	s_and_saveexec_b64 s[2:3], vcc
	s_cbranch_execnz .LBB326_831
; %bb.819:
	s_or_b64 exec, exec, s[2:3]
	s_and_saveexec_b64 s[2:3], vcc
	s_cbranch_execnz .LBB326_832
.LBB326_820:
	s_or_b64 exec, exec, s[2:3]
	s_and_saveexec_b64 s[2:3], vcc
	s_cbranch_execnz .LBB326_833
.LBB326_821:
	s_or_b64 exec, exec, s[2:3]
	s_and_saveexec_b64 s[2:3], vcc
	s_cbranch_execnz .LBB326_834
.LBB326_822:
	s_or_b64 exec, exec, s[2:3]
	s_and_saveexec_b64 s[2:3], vcc
	s_cbranch_execnz .LBB326_835
.LBB326_823:
	s_or_b64 exec, exec, s[2:3]
	s_and_saveexec_b64 s[2:3], vcc
	s_cbranch_execnz .LBB326_836
.LBB326_824:
	s_or_b64 exec, exec, s[2:3]
	s_and_saveexec_b64 s[2:3], vcc
	s_cbranch_execnz .LBB326_837
.LBB326_825:
	s_or_b64 exec, exec, s[2:3]
	s_and_saveexec_b64 s[2:3], vcc
	s_cbranch_execz .LBB326_827
.LBB326_826:
	ds_read_b32 v10, v10 offset:448
	s_waitcnt lgkmcnt(0)
	v_add_f32_e32 v0, v0, v10
.LBB326_827:
	s_or_b64 exec, exec, s[2:3]
.LBB326_828:
	s_or_b64 exec, exec, s[0:1]
	v_cmp_eq_u32_e32 vcc, 0, v9
	s_barrier
	s_and_saveexec_b64 s[0:1], vcc
	s_cbranch_execz .LBB326_830
; %bb.829:
	s_mul_i32 s0, s10, s11
	s_mul_i32 s0, s0, s9
	s_lshl_b32 s0, s0, 7
	s_ashr_i32 s1, s0, 31
	s_lshl_b64 s[0:1], s[0:1], 1
	s_add_u32 s2, s22, s0
	s_mul_i32 s0, s11, s20
	s_addc_u32 s3, s23, s1
	s_ashr_i32 s1, s0, 31
	s_lshl_b64 s[0:1], s[0:1], 1
	s_add_u32 s2, s2, s0
	s_addc_u32 s3, s3, s1
	s_lshl_b32 s0, s8, 7
	s_ashr_i32 s1, s0, 31
	s_lshl_b64 s[0:1], s[0:1], 1
	s_add_u32 s0, s2, s0
	v_bfe_u32 v9, v4, 16, 1
	s_movk_i32 s2, 0x7fff
	v_add3_u32 v9, v9, v4, s2
	v_or_b32_e32 v10, 0x400000, v4
	v_cmp_u_f32_e32 vcc, v4, v4
	s_addc_u32 s1, s3, s1
	v_lshlrev_b32_e32 v8, 1, v8
	v_cndmask_b32_e32 v4, v9, v10, vcc
	global_store_short_d16_hi v8, v4, s[0:1]
	v_bfe_u32 v4, v2, 16, 1
	v_add3_u32 v4, v4, v2, s2
	v_or_b32_e32 v9, 0x400000, v2
	v_cmp_u_f32_e32 vcc, v2, v2
	v_cndmask_b32_e32 v2, v4, v9, vcc
	global_store_short_d16_hi v8, v2, s[0:1] offset:32
	v_bfe_u32 v2, v1, 16, 1
	v_add3_u32 v2, v2, v1, s2
	v_or_b32_e32 v4, 0x400000, v1
	v_cmp_u_f32_e32 vcc, v1, v1
	v_cndmask_b32_e32 v1, v2, v4, vcc
	global_store_short_d16_hi v8, v1, s[0:1] offset:64
	;; [unrolled: 6-line block ×7, first 2 shown]
.LBB326_830:
	s_endpgm
.LBB326_831:
	ds_read_b32 v11, v10
	s_waitcnt lgkmcnt(0)
	v_add_f32_e32 v4, v4, v11
	s_or_b64 exec, exec, s[2:3]
	s_and_saveexec_b64 s[2:3], vcc
	s_cbranch_execz .LBB326_820
.LBB326_832:
	ds_read_b32 v11, v10 offset:64
	s_waitcnt lgkmcnt(0)
	v_add_f32_e32 v2, v2, v11
	s_or_b64 exec, exec, s[2:3]
	s_and_saveexec_b64 s[2:3], vcc
	s_cbranch_execz .LBB326_821
.LBB326_833:
	ds_read_b32 v11, v10 offset:128
	s_waitcnt lgkmcnt(0)
	v_add_f32_e32 v1, v1, v11
	s_or_b64 exec, exec, s[2:3]
	s_and_saveexec_b64 s[2:3], vcc
	s_cbranch_execz .LBB326_822
.LBB326_834:
	ds_read_b32 v11, v10 offset:192
	s_waitcnt lgkmcnt(0)
	v_add_f32_e32 v7, v7, v11
	s_or_b64 exec, exec, s[2:3]
	s_and_saveexec_b64 s[2:3], vcc
	s_cbranch_execz .LBB326_823
.LBB326_835:
	ds_read_b32 v11, v10 offset:256
	s_waitcnt lgkmcnt(0)
	v_add_f32_e32 v6, v6, v11
	s_or_b64 exec, exec, s[2:3]
	s_and_saveexec_b64 s[2:3], vcc
	s_cbranch_execz .LBB326_824
.LBB326_836:
	ds_read_b32 v11, v10 offset:320
	s_waitcnt lgkmcnt(0)
	v_add_f32_e32 v5, v5, v11
	s_or_b64 exec, exec, s[2:3]
	s_and_saveexec_b64 s[2:3], vcc
	s_cbranch_execz .LBB326_825
.LBB326_837:
	ds_read_b32 v11, v10 offset:384
	s_waitcnt lgkmcnt(0)
	v_add_f32_e32 v3, v3, v11
	s_or_b64 exec, exec, s[2:3]
	s_and_saveexec_b64 s[2:3], vcc
	s_cbranch_execnz .LBB326_826
	s_branch .LBB326_827
	.section	.rodata,"a",@progbits
	.p2align	6, 0x0
	.amdhsa_kernel _ZN4vllm25paged_attention_v1_kernelI14__hip_bfloat16hLi128ELi32ELi128ELNS_18Fp8KVCacheDataTypeE1ELb0EEEvPT_PKS3_PKT0_S9_ifPKiSB_iPKfiiiSD_SD_iiiii
		.amdhsa_group_segment_fixed_size 272
		.amdhsa_private_segment_fixed_size 372
		.amdhsa_kernarg_size 384
		.amdhsa_user_sgpr_count 6
		.amdhsa_user_sgpr_private_segment_buffer 1
		.amdhsa_user_sgpr_dispatch_ptr 0
		.amdhsa_user_sgpr_queue_ptr 0
		.amdhsa_user_sgpr_kernarg_segment_ptr 1
		.amdhsa_user_sgpr_dispatch_id 0
		.amdhsa_user_sgpr_flat_scratch_init 0
		.amdhsa_user_sgpr_private_segment_size 0
		.amdhsa_uses_dynamic_stack 0
		.amdhsa_system_sgpr_private_segment_wavefront_offset 1
		.amdhsa_system_sgpr_workgroup_id_x 1
		.amdhsa_system_sgpr_workgroup_id_y 1
		.amdhsa_system_sgpr_workgroup_id_z 1
		.amdhsa_system_sgpr_workgroup_info 0
		.amdhsa_system_vgpr_workitem_id 0
		.amdhsa_next_free_vgpr 64
		.amdhsa_next_free_sgpr 52
		.amdhsa_reserve_vcc 1
		.amdhsa_reserve_flat_scratch 0
		.amdhsa_float_round_mode_32 0
		.amdhsa_float_round_mode_16_64 0
		.amdhsa_float_denorm_mode_32 3
		.amdhsa_float_denorm_mode_16_64 3
		.amdhsa_dx10_clamp 1
		.amdhsa_ieee_mode 1
		.amdhsa_fp16_overflow 0
		.amdhsa_exception_fp_ieee_invalid_op 0
		.amdhsa_exception_fp_denorm_src 0
		.amdhsa_exception_fp_ieee_div_zero 0
		.amdhsa_exception_fp_ieee_overflow 0
		.amdhsa_exception_fp_ieee_underflow 0
		.amdhsa_exception_fp_ieee_inexact 0
		.amdhsa_exception_int_div_zero 0
	.end_amdhsa_kernel
	.section	.text._ZN4vllm25paged_attention_v1_kernelI14__hip_bfloat16hLi128ELi32ELi128ELNS_18Fp8KVCacheDataTypeE1ELb0EEEvPT_PKS3_PKT0_S9_ifPKiSB_iPKfiiiSD_SD_iiiii,"axG",@progbits,_ZN4vllm25paged_attention_v1_kernelI14__hip_bfloat16hLi128ELi32ELi128ELNS_18Fp8KVCacheDataTypeE1ELb0EEEvPT_PKS3_PKT0_S9_ifPKiSB_iPKfiiiSD_SD_iiiii,comdat
.Lfunc_end326:
	.size	_ZN4vllm25paged_attention_v1_kernelI14__hip_bfloat16hLi128ELi32ELi128ELNS_18Fp8KVCacheDataTypeE1ELb0EEEvPT_PKS3_PKT0_S9_ifPKiSB_iPKfiiiSD_SD_iiiii, .Lfunc_end326-_ZN4vllm25paged_attention_v1_kernelI14__hip_bfloat16hLi128ELi32ELi128ELNS_18Fp8KVCacheDataTypeE1ELb0EEEvPT_PKS3_PKT0_S9_ifPKiSB_iPKfiiiSD_SD_iiiii
                                        ; -- End function
	.set _ZN4vllm25paged_attention_v1_kernelI14__hip_bfloat16hLi128ELi32ELi128ELNS_18Fp8KVCacheDataTypeE1ELb0EEEvPT_PKS3_PKT0_S9_ifPKiSB_iPKfiiiSD_SD_iiiii.num_vgpr, 64
	.set _ZN4vllm25paged_attention_v1_kernelI14__hip_bfloat16hLi128ELi32ELi128ELNS_18Fp8KVCacheDataTypeE1ELb0EEEvPT_PKS3_PKT0_S9_ifPKiSB_iPKfiiiSD_SD_iiiii.num_agpr, 0
	.set _ZN4vllm25paged_attention_v1_kernelI14__hip_bfloat16hLi128ELi32ELi128ELNS_18Fp8KVCacheDataTypeE1ELb0EEEvPT_PKS3_PKT0_S9_ifPKiSB_iPKfiiiSD_SD_iiiii.numbered_sgpr, 52
	.set _ZN4vllm25paged_attention_v1_kernelI14__hip_bfloat16hLi128ELi32ELi128ELNS_18Fp8KVCacheDataTypeE1ELb0EEEvPT_PKS3_PKT0_S9_ifPKiSB_iPKfiiiSD_SD_iiiii.num_named_barrier, 0
	.set _ZN4vllm25paged_attention_v1_kernelI14__hip_bfloat16hLi128ELi32ELi128ELNS_18Fp8KVCacheDataTypeE1ELb0EEEvPT_PKS3_PKT0_S9_ifPKiSB_iPKfiiiSD_SD_iiiii.private_seg_size, 372
	.set _ZN4vllm25paged_attention_v1_kernelI14__hip_bfloat16hLi128ELi32ELi128ELNS_18Fp8KVCacheDataTypeE1ELb0EEEvPT_PKS3_PKT0_S9_ifPKiSB_iPKfiiiSD_SD_iiiii.uses_vcc, 1
	.set _ZN4vllm25paged_attention_v1_kernelI14__hip_bfloat16hLi128ELi32ELi128ELNS_18Fp8KVCacheDataTypeE1ELb0EEEvPT_PKS3_PKT0_S9_ifPKiSB_iPKfiiiSD_SD_iiiii.uses_flat_scratch, 0
	.set _ZN4vllm25paged_attention_v1_kernelI14__hip_bfloat16hLi128ELi32ELi128ELNS_18Fp8KVCacheDataTypeE1ELb0EEEvPT_PKS3_PKT0_S9_ifPKiSB_iPKfiiiSD_SD_iiiii.has_dyn_sized_stack, 0
	.set _ZN4vllm25paged_attention_v1_kernelI14__hip_bfloat16hLi128ELi32ELi128ELNS_18Fp8KVCacheDataTypeE1ELb0EEEvPT_PKS3_PKT0_S9_ifPKiSB_iPKfiiiSD_SD_iiiii.has_recursion, 0
	.set _ZN4vllm25paged_attention_v1_kernelI14__hip_bfloat16hLi128ELi32ELi128ELNS_18Fp8KVCacheDataTypeE1ELb0EEEvPT_PKS3_PKT0_S9_ifPKiSB_iPKfiiiSD_SD_iiiii.has_indirect_call, 0
	.section	.AMDGPU.csdata,"",@progbits
; Kernel info:
; codeLenInByte = 42684
; TotalNumSgprs: 56
; NumVgprs: 64
; ScratchSize: 372
; MemoryBound: 0
; FloatMode: 240
; IeeeMode: 1
; LDSByteSize: 272 bytes/workgroup (compile time only)
; SGPRBlocks: 6
; VGPRBlocks: 15
; NumSGPRsForWavesPerEU: 56
; NumVGPRsForWavesPerEU: 64
; Occupancy: 4
; WaveLimiterHint : 1
; COMPUTE_PGM_RSRC2:SCRATCH_EN: 1
; COMPUTE_PGM_RSRC2:USER_SGPR: 6
; COMPUTE_PGM_RSRC2:TRAP_HANDLER: 0
; COMPUTE_PGM_RSRC2:TGID_X_EN: 1
; COMPUTE_PGM_RSRC2:TGID_Y_EN: 1
; COMPUTE_PGM_RSRC2:TGID_Z_EN: 1
; COMPUTE_PGM_RSRC2:TIDIG_COMP_CNT: 0
	.section	.text._ZN4vllm25paged_attention_v1_kernelI14__hip_bfloat16hLi192ELi32ELi128ELNS_18Fp8KVCacheDataTypeE1ELb0EEEvPT_PKS3_PKT0_S9_ifPKiSB_iPKfiiiSD_SD_iiiii,"axG",@progbits,_ZN4vllm25paged_attention_v1_kernelI14__hip_bfloat16hLi192ELi32ELi128ELNS_18Fp8KVCacheDataTypeE1ELb0EEEvPT_PKS3_PKT0_S9_ifPKiSB_iPKfiiiSD_SD_iiiii,comdat
	.protected	_ZN4vllm25paged_attention_v1_kernelI14__hip_bfloat16hLi192ELi32ELi128ELNS_18Fp8KVCacheDataTypeE1ELb0EEEvPT_PKS3_PKT0_S9_ifPKiSB_iPKfiiiSD_SD_iiiii ; -- Begin function _ZN4vllm25paged_attention_v1_kernelI14__hip_bfloat16hLi192ELi32ELi128ELNS_18Fp8KVCacheDataTypeE1ELb0EEEvPT_PKS3_PKT0_S9_ifPKiSB_iPKfiiiSD_SD_iiiii
	.globl	_ZN4vllm25paged_attention_v1_kernelI14__hip_bfloat16hLi192ELi32ELi128ELNS_18Fp8KVCacheDataTypeE1ELb0EEEvPT_PKS3_PKT0_S9_ifPKiSB_iPKfiiiSD_SD_iiiii
	.p2align	8
	.type	_ZN4vllm25paged_attention_v1_kernelI14__hip_bfloat16hLi192ELi32ELi128ELNS_18Fp8KVCacheDataTypeE1ELb0EEEvPT_PKS3_PKT0_S9_ifPKiSB_iPKfiiiSD_SD_iiiii,@function
_ZN4vllm25paged_attention_v1_kernelI14__hip_bfloat16hLi192ELi32ELi128ELNS_18Fp8KVCacheDataTypeE1ELb0EEEvPT_PKS3_PKT0_S9_ifPKiSB_iPKfiiiSD_SD_iiiii: ; @_ZN4vllm25paged_attention_v1_kernelI14__hip_bfloat16hLi192ELi32ELi128ELNS_18Fp8KVCacheDataTypeE1ELb0EEEvPT_PKS3_PKT0_S9_ifPKiSB_iPKfiiiSD_SD_iiiii
; %bb.0:
	s_mov_b64 s[50:51], s[2:3]
	s_mov_b64 s[48:49], s[0:1]
	s_add_u32 s48, s48, s9
	s_load_dword s9, s[4:5], 0x80
	s_load_dwordx2 s[0:1], s[4:5], 0x30
	s_load_dwordx2 s[30:31], s[4:5], 0x20
	s_addc_u32 s49, s49, 0
	s_mov_b32 s10, s7
	s_ashr_i32 s11, s7, 31
	s_lshl_b64 s[2:3], s[10:11], 2
	s_waitcnt lgkmcnt(0)
	s_add_u32 s0, s0, s2
	s_addc_u32 s1, s1, s3
	s_abs_i32 s2, s30
	v_mov_b32_e32 v11, v0
	v_cvt_f32_u32_e32 v0, s2
	s_sub_i32 s11, 0, s2
	s_abs_i32 s7, s9
	s_xor_b32 s3, s9, s30
	v_rcp_iflag_f32_e32 v0, v0
	s_ashr_i32 s3, s3, 31
	s_mov_b32 s33, 0
	v_mul_f32_e32 v0, 0x4f7ffffe, v0
	v_cvt_u32_f32_e32 v0, v0
	v_readfirstlane_b32 s12, v0
	s_mul_i32 s11, s11, s12
	s_mul_hi_u32 s11, s12, s11
	s_add_i32 s12, s12, s11
	s_mul_hi_u32 s11, s7, s12
	s_mul_i32 s12, s11, s2
	s_sub_i32 s7, s7, s12
	s_add_i32 s12, s11, 1
	s_sub_i32 s13, s7, s2
	s_cmp_ge_u32 s7, s2
	s_cselect_b32 s11, s12, s11
	s_cselect_b32 s7, s13, s7
	s_add_i32 s12, s11, 1
	s_cmp_ge_u32 s7, s2
	s_cselect_b32 s2, s12, s11
	s_xor_b32 s2, s2, s3
	s_sub_i32 s12, s2, s3
	s_abs_i32 s11, s12
	v_cvt_f32_u32_e32 v0, s11
	s_load_dwordx2 s[2:3], s[4:5], 0x40
	s_sub_i32 s7, 0, s11
	s_abs_i32 s16, s6
	v_rcp_iflag_f32_e32 v0, v0
	v_mul_f32_e32 v0, 0x4f7ffffe, v0
	v_cvt_u32_f32_e32 v0, v0
	v_readfirstlane_b32 s13, v0
	s_mul_i32 s7, s7, s13
	s_mul_hi_u32 s7, s13, s7
	s_add_i32 s13, s13, s7
	s_waitcnt lgkmcnt(0)
	s_cmp_eq_u64 s[2:3], 0
	s_mul_hi_u32 s17, s16, s13
	s_cbranch_scc1 .LBB327_2
; %bb.1:
	s_ashr_i32 s7, s6, 31
	s_lshl_b64 s[14:15], s[6:7], 2
	s_add_u32 s2, s2, s14
	s_addc_u32 s3, s3, s15
	s_load_dword s33, s[2:3], 0x0
.LBB327_2:
	s_load_dword s30, s[0:1], 0x0
	s_ashr_i32 s3, s12, 31
	s_load_dwordx4 s[12:15], s[4:5], 0x48
	s_ashr_i32 s2, s6, 31
	v_and_b32_e32 v0, 1, v11
	s_movk_i32 s7, 0xc0
	s_mul_i32 s20, s6, 0xc0
	v_cmp_gt_u32_e32 vcc, 48, v11
	v_lshlrev_b32_e32 v12, 3, v11
	s_and_saveexec_b64 s[0:1], vcc
	s_cbranch_execz .LBB327_4
; %bb.3:
	s_load_dwordx2 s[18:19], s[4:5], 0x8
	s_waitcnt lgkmcnt(0)
	s_mul_i32 s22, s12, s10
	s_ashr_i32 s23, s22, 31
	s_lshl_b64 s[22:23], s[22:23], 1
	v_lshlrev_b32_e32 v3, 2, v11
	s_add_u32 s6, s18, s22
	s_addc_u32 s12, s19, s23
	s_ashr_i32 s21, s20, 31
	s_lshl_b64 s[18:19], s[20:21], 1
	s_add_u32 s18, s6, s18
	s_addc_u32 s19, s12, s19
	global_load_dwordx2 v[1:2], v12, s[18:19]
	v_and_b32_e32 v3, 0xff8, v3
	v_mad_u32_u24 v3, v0, s7, v3
	s_waitcnt vmcnt(0)
	ds_write_b64 v3, v[1:2]
.LBB327_4:
	s_or_b64 exec, exec, s[0:1]
	s_waitcnt lgkmcnt(0)
	s_add_i32 s1, s30, 31
	s_ashr_i32 s6, s1, 31
	s_lshr_b32 s6, s6, 27
	s_add_i32 s1, s1, s6
	s_ashr_i32 s21, s1, 5
	s_xor_b32 s1, s2, s3
	s_mul_i32 s2, s17, s11
	s_sub_i32 s2, s16, s2
	s_add_i32 s3, s17, 1
	s_sub_i32 s6, s2, s11
	s_load_dwordx2 s[24:25], s[4:5], 0x28
	s_load_dword s0, s[4:5], 0x38
	s_cmp_ge_u32 s2, s11
	s_cselect_b32 s3, s3, s17
	s_cselect_b32 s2, s6, s2
	s_add_i32 s6, s3, 1
	s_cmp_ge_u32 s2, s11
	s_cselect_b32 s2, s6, s3
	v_lshrrev_b32_e32 v1, 6, v11
	s_xor_b32 s2, s2, s1
	s_waitcnt lgkmcnt(0)
	s_mul_i32 s26, s0, s10
                                        ; implicit-def: $vgpr2
	s_sub_i32 s12, s2, s1
	s_barrier
	s_ashr_i32 s27, s26, 31
	v_cmp_gt_i32_e64 s[0:1], s21, v1
	buffer_store_dword v1, off, s[48:51], 0 offset:8 ; 4-byte Folded Spill
	v_cmp_le_i32_e32 vcc, s21, v1
	v_mbcnt_lo_u32_b32 v1, -1, 0
                                        ; kill: killed $vgpr2
                                        ; implicit-def: $vgpr2
                                        ; kill: killed $vgpr2
                                        ; implicit-def: $vgpr2
                                        ; kill: killed $vgpr2
	s_and_saveexec_b64 s[2:3], vcc
	s_xor_b64 s[2:3], exec, s[2:3]
	s_cbranch_execz .LBB327_6
; %bb.5:
	v_mbcnt_hi_u32_b32 v0, -1, v1
	buffer_store_dword v0, off, s[48:51], 0 offset:740 ; 4-byte Folded Spill
	v_and_b32_e32 v0, 64, v0
	buffer_store_dword v0, off, s[48:51], 0 offset:752 ; 4-byte Folded Spill
	v_add_u32_e32 v0, 64, v0
	buffer_store_dword v0, off, s[48:51], 0 offset:744 ; 4-byte Folded Spill
                                        ; implicit-def: $vgpr0
                                        ; implicit-def: $vgpr1
.LBB327_6:
	s_or_saveexec_b64 s[6:7], s[2:3]
	s_load_dwordx2 s[22:23], s[4:5], 0x0
	s_load_dwordx2 s[28:29], s[4:5], 0x18
	s_load_dword s11, s[4:5], 0x88
	s_load_dwordx4 s[16:19], s[4:5], 0x58
	v_mov_b32_e32 v2, 0xff7fffff
	s_mul_i32 s12, s12, s14
	v_lshrrev_b32_e32 v14, 4, v11
	buffer_store_dword v2, off, s[48:51], 0 offset:340 ; 4-byte Folded Spill
	buffer_store_dword v11, off, s[48:51], 0 offset:748 ; 4-byte Folded Spill
	s_xor_b64 exec, exec, s[6:7]
	s_cbranch_execz .LBB327_588
; %bb.7:
	buffer_store_dword v12, off, s[48:51], 0 offset:756 ; 4-byte Folded Spill
	v_mul_u32_u24_e32 v2, 0xc0, v0
	ds_read_b128 v[3:6], v2
	ds_read_b128 v[7:10], v2 offset:16
	s_load_dwordx2 s[2:3], s[4:5], 0x10
	s_ashr_i32 s4, s12, 31
	v_mbcnt_hi_u32_b32 v1, -1, v1
	s_waitcnt lgkmcnt(0)
	v_lshlrev_b32_e32 v12, 16, v3
	v_and_b32_e32 v3, 0xffff0000, v3
	buffer_store_dword v3, off, s[48:51], 0 offset:348 ; 4-byte Folded Spill
	v_lshlrev_b32_e32 v3, 16, v4
	buffer_store_dword v3, off, s[48:51], 0 offset:352 ; 4-byte Folded Spill
	v_and_b32_e32 v3, 0xffff0000, v4
	buffer_store_dword v3, off, s[48:51], 0 offset:356 ; 4-byte Folded Spill
	v_lshlrev_b32_e32 v3, 16, v5
	buffer_store_dword v3, off, s[48:51], 0 offset:360 ; 4-byte Folded Spill
	;; [unrolled: 4-line block ×6, first 2 shown]
	ds_read_b128 v[3:6], v2 offset:32
	v_and_b32_e32 v7, 0xffff0000, v9
	buffer_store_dword v7, off, s[48:51], 0 offset:396 ; 4-byte Folded Spill
	v_lshlrev_b32_e32 v7, 16, v10
	buffer_store_dword v7, off, s[48:51], 0 offset:400 ; 4-byte Folded Spill
	v_and_b32_e32 v7, 0xffff0000, v10
	buffer_store_dword v12, off, s[48:51], 0 offset:344 ; 4-byte Folded Spill
	buffer_store_dword v7, off, s[48:51], 0 offset:404 ; 4-byte Folded Spill
	ds_read_b128 v[7:10], v2 offset:48
	s_waitcnt lgkmcnt(1)
	v_lshlrev_b32_e32 v12, 16, v3
	v_and_b32_e32 v3, 0xffff0000, v3
	buffer_store_dword v3, off, s[48:51], 0 offset:412 ; 4-byte Folded Spill
	v_lshlrev_b32_e32 v3, 16, v4
	buffer_store_dword v3, off, s[48:51], 0 offset:416 ; 4-byte Folded Spill
	v_and_b32_e32 v3, 0xffff0000, v4
	buffer_store_dword v3, off, s[48:51], 0 offset:420 ; 4-byte Folded Spill
	v_lshlrev_b32_e32 v3, 16, v5
	buffer_store_dword v3, off, s[48:51], 0 offset:424 ; 4-byte Folded Spill
	;; [unrolled: 4-line block ×3, first 2 shown]
	v_and_b32_e32 v3, 0xffff0000, v6
	buffer_store_dword v3, off, s[48:51], 0 offset:436 ; 4-byte Folded Spill
	s_waitcnt lgkmcnt(0)
	v_lshlrev_b32_e32 v3, 16, v7
	buffer_store_dword v3, off, s[48:51], 0 offset:440 ; 4-byte Folded Spill
	v_and_b32_e32 v3, 0xffff0000, v7
	buffer_store_dword v3, off, s[48:51], 0 offset:444 ; 4-byte Folded Spill
	v_lshlrev_b32_e32 v3, 16, v8
	buffer_store_dword v3, off, s[48:51], 0 offset:448 ; 4-byte Folded Spill
	v_and_b32_e32 v3, 0xffff0000, v8
	buffer_store_dword v3, off, s[48:51], 0 offset:452 ; 4-byte Folded Spill
	v_lshlrev_b32_e32 v3, 16, v9
	buffer_store_dword v3, off, s[48:51], 0 offset:456 ; 4-byte Folded Spill
	ds_read_b128 v[3:6], v2 offset:64
	v_and_b32_e32 v7, 0xffff0000, v9
	buffer_store_dword v7, off, s[48:51], 0 offset:460 ; 4-byte Folded Spill
	v_lshlrev_b32_e32 v7, 16, v10
	buffer_store_dword v7, off, s[48:51], 0 offset:464 ; 4-byte Folded Spill
	v_and_b32_e32 v7, 0xffff0000, v10
	buffer_store_dword v12, off, s[48:51], 0 offset:408 ; 4-byte Folded Spill
	buffer_store_dword v7, off, s[48:51], 0 offset:468 ; 4-byte Folded Spill
	ds_read_b128 v[7:10], v2 offset:80
	s_waitcnt lgkmcnt(1)
	v_lshlrev_b32_e32 v12, 16, v3
	v_and_b32_e32 v3, 0xffff0000, v3
	buffer_store_dword v3, off, s[48:51], 0 offset:476 ; 4-byte Folded Spill
	v_lshlrev_b32_e32 v3, 16, v4
	buffer_store_dword v3, off, s[48:51], 0 offset:480 ; 4-byte Folded Spill
	v_and_b32_e32 v3, 0xffff0000, v4
	buffer_store_dword v3, off, s[48:51], 0 offset:484 ; 4-byte Folded Spill
	v_lshlrev_b32_e32 v3, 16, v5
	buffer_store_dword v3, off, s[48:51], 0 offset:488 ; 4-byte Folded Spill
	;; [unrolled: 4-line block ×3, first 2 shown]
	v_and_b32_e32 v3, 0xffff0000, v6
	buffer_store_dword v3, off, s[48:51], 0 offset:500 ; 4-byte Folded Spill
	s_waitcnt lgkmcnt(0)
	v_lshlrev_b32_e32 v3, 16, v7
	buffer_store_dword v3, off, s[48:51], 0 offset:504 ; 4-byte Folded Spill
	v_and_b32_e32 v3, 0xffff0000, v7
	buffer_store_dword v3, off, s[48:51], 0 offset:508 ; 4-byte Folded Spill
	v_lshlrev_b32_e32 v3, 16, v8
	buffer_store_dword v3, off, s[48:51], 0 offset:512 ; 4-byte Folded Spill
	v_and_b32_e32 v3, 0xffff0000, v8
	buffer_store_dword v3, off, s[48:51], 0 offset:516 ; 4-byte Folded Spill
	;; [unrolled: 4-line block ×4, first 2 shown]
	buffer_store_dword v3, off, s[48:51], 0 offset:532 ; 4-byte Folded Spill
	ds_read_b128 v[3:6], v2 offset:96
	ds_read_b128 v[7:10], v2 offset:112
	s_add_u32 s2, s2, s12
	s_addc_u32 s3, s3, s4
	s_sub_i32 s38, 1, s30
	s_waitcnt lgkmcnt(1)
	v_lshlrev_b32_e32 v12, 16, v3
	v_and_b32_e32 v3, 0xffff0000, v3
	buffer_store_dword v3, off, s[48:51], 0 offset:540 ; 4-byte Folded Spill
	v_lshlrev_b32_e32 v3, 16, v4
	buffer_store_dword v3, off, s[48:51], 0 offset:544 ; 4-byte Folded Spill
	v_and_b32_e32 v3, 0xffff0000, v4
	buffer_store_dword v3, off, s[48:51], 0 offset:548 ; 4-byte Folded Spill
	v_lshlrev_b32_e32 v3, 16, v5
	buffer_store_dword v3, off, s[48:51], 0 offset:552 ; 4-byte Folded Spill
	;; [unrolled: 4-line block ×3, first 2 shown]
	v_and_b32_e32 v3, 0xffff0000, v6
	buffer_store_dword v3, off, s[48:51], 0 offset:564 ; 4-byte Folded Spill
	s_waitcnt lgkmcnt(0)
	v_lshlrev_b32_e32 v3, 16, v7
	buffer_store_dword v3, off, s[48:51], 0 offset:568 ; 4-byte Folded Spill
	v_and_b32_e32 v3, 0xffff0000, v7
	buffer_store_dword v3, off, s[48:51], 0 offset:572 ; 4-byte Folded Spill
	v_lshlrev_b32_e32 v3, 16, v8
	buffer_store_dword v3, off, s[48:51], 0 offset:576 ; 4-byte Folded Spill
	v_and_b32_e32 v3, 0xffff0000, v8
	buffer_store_dword v3, off, s[48:51], 0 offset:580 ; 4-byte Folded Spill
	;; [unrolled: 4-line block ×4, first 2 shown]
	buffer_store_dword v3, off, s[48:51], 0 offset:596 ; 4-byte Folded Spill
	ds_read_b128 v[3:6], v2 offset:128
	ds_read_b128 v[7:10], v2 offset:144
	s_mov_b32 s39, s13
	v_cmp_neq_f32_e64 s[4:5], s33, 0
	s_mov_b64 s[14:15], 0
	s_waitcnt lgkmcnt(1)
	v_lshlrev_b32_e32 v12, 16, v3
	v_and_b32_e32 v3, 0xffff0000, v3
	buffer_store_dword v3, off, s[48:51], 0 offset:604 ; 4-byte Folded Spill
	v_lshlrev_b32_e32 v3, 16, v4
	buffer_store_dword v3, off, s[48:51], 0 offset:608 ; 4-byte Folded Spill
	v_and_b32_e32 v3, 0xffff0000, v4
	buffer_store_dword v3, off, s[48:51], 0 offset:612 ; 4-byte Folded Spill
	v_lshlrev_b32_e32 v3, 16, v5
	buffer_store_dword v3, off, s[48:51], 0 offset:616 ; 4-byte Folded Spill
	;; [unrolled: 4-line block ×3, first 2 shown]
	v_and_b32_e32 v3, 0xffff0000, v6
	buffer_store_dword v3, off, s[48:51], 0 offset:628 ; 4-byte Folded Spill
	s_waitcnt lgkmcnt(0)
	v_lshlrev_b32_e32 v3, 16, v7
	buffer_store_dword v3, off, s[48:51], 0 offset:632 ; 4-byte Folded Spill
	v_and_b32_e32 v3, 0xffff0000, v7
	buffer_store_dword v3, off, s[48:51], 0 offset:636 ; 4-byte Folded Spill
	v_lshlrev_b32_e32 v3, 16, v8
	buffer_store_dword v3, off, s[48:51], 0 offset:640 ; 4-byte Folded Spill
	v_and_b32_e32 v3, 0xffff0000, v8
	buffer_store_dword v3, off, s[48:51], 0 offset:644 ; 4-byte Folded Spill
	;; [unrolled: 4-line block ×4, first 2 shown]
	buffer_store_dword v3, off, s[48:51], 0 offset:660 ; 4-byte Folded Spill
	ds_read_b128 v[3:6], v2 offset:160
	ds_read_b128 v[7:10], v2 offset:176
	s_movk_i32 s41, 0x80
	s_movk_i32 s42, 0x7f
	s_mov_b32 s43, 0xffffff
	s_waitcnt lgkmcnt(1)
	v_lshlrev_b32_e32 v2, 16, v3
	buffer_store_dword v2, off, s[48:51], 0 offset:664 ; 4-byte Folded Spill
	v_and_b32_e32 v2, 0xffff0000, v3
	buffer_store_dword v2, off, s[48:51], 0 offset:668 ; 4-byte Folded Spill
	v_lshlrev_b32_e32 v2, 16, v4
	buffer_store_dword v2, off, s[48:51], 0 offset:672 ; 4-byte Folded Spill
	v_and_b32_e32 v2, 0xffff0000, v4
	buffer_store_dword v2, off, s[48:51], 0 offset:676 ; 4-byte Folded Spill
	;; [unrolled: 4-line block ×4, first 2 shown]
	s_waitcnt lgkmcnt(0)
	v_lshlrev_b32_e32 v2, 16, v7
	buffer_store_dword v2, off, s[48:51], 0 offset:696 ; 4-byte Folded Spill
	v_and_b32_e32 v2, 0xffff0000, v7
	buffer_store_dword v2, off, s[48:51], 0 offset:700 ; 4-byte Folded Spill
	v_lshlrev_b32_e32 v2, 16, v8
	buffer_store_dword v2, off, s[48:51], 0 offset:704 ; 4-byte Folded Spill
	v_and_b32_e32 v2, 0xffff0000, v8
	buffer_store_dword v2, off, s[48:51], 0 offset:708 ; 4-byte Folded Spill
	;; [unrolled: 4-line block ×4, first 2 shown]
	v_bfe_u32 v2, v11, 1, 5
	v_lshlrev_b32_e32 v3, 4, v2
	v_mov_b32_e32 v4, s3
	v_add_co_u32_e32 v3, vcc, s2, v3
	v_addc_co_u32_e32 v4, vcc, 0, v4, vcc
	s_lshl_b64 s[2:3], s[26:27], 2
	buffer_store_dword v3, off, s[48:51], 0 offset:728 ; 4-byte Folded Spill
	s_nop 0
	buffer_store_dword v4, off, s[48:51], 0 offset:732 ; 4-byte Folded Spill
	s_add_u32 s2, s24, s2
	s_addc_u32 s3, s25, s3
	v_and_b32_e32 v3, 60, v14
	v_mov_b32_e32 v4, s3
	v_add_co_u32_e32 v5, vcc, s2, v3
	v_and_b32_e32 v3, 64, v1
	v_addc_co_u32_e32 v6, vcc, 0, v4, vcc
	v_cmp_eq_u32_e64 s[2:3], 0, v0
	v_lshlrev_b32_e32 v4, 2, v0
	v_xor_b32_e32 v0, 1, v1
	buffer_store_dword v3, off, s[48:51], 0 offset:752 ; 4-byte Folded Spill
	v_add_u32_e32 v3, 64, v3
	v_cmp_lt_i32_e32 vcc, v0, v3
	buffer_store_dword v1, off, s[48:51], 0 offset:740 ; 4-byte Folded Spill
	v_cndmask_b32_e32 v0, v1, v0, vcc
	buffer_load_dword v1, off, s[48:51], 0 offset:8 ; 4-byte Folded Reload
	v_lshlrev_b32_e32 v0, 2, v0
	buffer_store_dword v0, off, s[48:51], 0 offset:736 ; 4-byte Folded Spill
	s_load_dword s40, s[16:17], 0x0
	s_movk_i32 s44, 0x7fff
	buffer_store_dword v14, off, s[48:51], 0 offset:760 ; 4-byte Folded Spill
	buffer_store_dword v3, off, s[48:51], 0 offset:744 ; 4-byte Folded Spill
	buffer_store_dword v4, off, s[48:51], 0 ; 4-byte Folded Spill
	s_waitcnt vmcnt(4)
	v_lshl_or_b32 v0, v1, 5, v2
	buffer_store_dword v0, off, s[48:51], 0 offset:164 ; 4-byte Folded Spill
	v_lshlrev_b32_e32 v0, 2, v2
	v_lshl_or_b32 v0, v1, 7, v0
	v_add_u32_e32 v0, 0x190, v0
	buffer_store_dword v0, off, s[48:51], 0 offset:168 ; 4-byte Folded Spill
	v_or_b32_e32 v0, 8, v4
	buffer_store_dword v0, off, s[48:51], 0 offset:4 ; 4-byte Folded Spill
	v_mov_b32_e32 v0, 0xff7fffff
	v_mov_b32_e32 v7, v1
	buffer_store_dword v0, off, s[48:51], 0 offset:340 ; 4-byte Folded Spill
	s_branch .LBB327_9
.LBB327_8:                              ;   in Loop: Header=BB327_9 Depth=1
	s_or_b64 exec, exec, s[16:17]
	buffer_load_dword v0, off, s[48:51], 0 offset:164 ; 4-byte Folded Reload
	s_waitcnt vmcnt(1)
	v_add_u32_e32 v7, 2, v7
	v_cmp_le_i32_e32 vcc, s21, v7
	s_or_b64 s[14:15], vcc, s[14:15]
	s_waitcnt vmcnt(0)
	v_add_u32_e32 v0, 64, v0
	buffer_store_dword v0, off, s[48:51], 0 offset:164 ; 4-byte Folded Spill
	buffer_load_dword v0, off, s[48:51], 0 offset:168 ; 4-byte Folded Reload
	s_waitcnt vmcnt(0)
	v_add_u32_e32 v0, 0x100, v0
	buffer_store_dword v0, off, s[48:51], 0 offset:168 ; 4-byte Folded Spill
	buffer_load_dword v5, off, s[48:51], 0 offset:172 ; 4-byte Folded Reload
	buffer_load_dword v6, off, s[48:51], 0 offset:176 ; 4-byte Folded Reload
	s_waitcnt vmcnt(1)
	v_add_co_u32_e32 v5, vcc, 8, v5
	s_waitcnt vmcnt(0)
	v_addc_co_u32_e32 v6, vcc, 0, v6, vcc
	s_andn2_b64 exec, exec, s[14:15]
	s_cbranch_execz .LBB327_587
.LBB327_9:                              ; =>This Inner Loop Header: Depth=1
	buffer_store_dword v7, off, s[48:51], 0 offset:180 ; 4-byte Folded Spill
	buffer_store_dword v5, off, s[48:51], 0 offset:172 ; 4-byte Folded Spill
	s_nop 0
	buffer_store_dword v6, off, s[48:51], 0 offset:176 ; 4-byte Folded Spill
	global_load_dword v0, v[5:6], off
	s_waitcnt lgkmcnt(0)
	buffer_load_dword v1, off, s[48:51], 0 offset:728 ; 4-byte Folded Reload
	buffer_load_dword v2, off, s[48:51], 0 offset:732 ; 4-byte Folded Reload
	s_waitcnt vmcnt(0)
	v_mad_i64_i32 v[5:6], s[16:17], v0, s39, v[1:2]
	buffer_load_dword v0, off, s[48:51], 0  ; 4-byte Folded Reload
	s_waitcnt vmcnt(0)
	v_add_co_u32_e32 v7, vcc, v5, v0
	v_addc_co_u32_e32 v8, vcc, 0, v6, vcc
	global_load_dword v9, v[7:8], off
	v_mov_b32_e32 v0, 0
	s_waitcnt vmcnt(0)
	v_cmp_ne_u16_sdwa s[34:35], v9, v0 src0_sel:BYTE_0 src1_sel:DWORD
	v_mov_b32_e32 v0, 0
	buffer_store_dword v0, off, s[48:51], 0 offset:12 ; 4-byte Folded Spill
	s_and_saveexec_b64 s[16:17], s[34:35]
	s_cbranch_execz .LBB327_15
; %bb.10:                               ;   in Loop: Header=BB327_9 Depth=1
	v_cmp_ne_u16_sdwa s[36:37], v9, s41 src0_sel:BYTE_0 src1_sel:DWORD
	v_bfrev_b32_e32 v0, 1
	buffer_store_dword v0, off, s[48:51], 0 offset:12 ; 4-byte Folded Spill
	s_and_saveexec_b64 s[34:35], s[36:37]
	s_cbranch_execz .LBB327_14
; %bb.11:                               ;   in Loop: Header=BB327_9 Depth=1
	v_and_b32_e32 v0, 0x7f, v9
	v_cmp_ne_u32_e32 vcc, s42, v0
	v_mov_b32_e32 v1, 0x7f800001
	buffer_store_dword v1, off, s[48:51], 0 offset:12 ; 4-byte Folded Spill
	s_and_saveexec_b64 s[36:37], vcc
	s_cbranch_execz .LBB327_13
; %bb.12:                               ;   in Loop: Header=BB327_9 Depth=1
	v_and_b32_e32 v2, 7, v9
	v_lshrrev_b32_e32 v3, 3, v0
	v_cmp_gt_u32_e32 vcc, 8, v0
	v_ffbh_u32_e32 v0, v2
	v_min_u32_e32 v4, 32, v0
	v_subrev_u32_e32 v0, 28, v4
	v_lshlrev_b64 v[0:1], v0, v[9:10]
	v_sub_u32_e32 v1, 29, v4
	v_and_b32_e32 v0, 7, v0
	v_cndmask_b32_e32 v1, v3, v1, vcc
	v_cndmask_b32_e32 v0, v2, v0, vcc
	v_lshlrev_b32_e32 v2, 24, v9
	v_bfrev_b32_e32 v3, 60
	v_lshlrev_b32_e32 v0, 20, v0
	v_and_b32_e32 v2, 0x80000000, v2
	v_lshl_add_u32 v1, v1, 23, v3
	v_or3_b32 v0, v2, v1, v0
	buffer_store_dword v0, off, s[48:51], 0 offset:12 ; 4-byte Folded Spill
.LBB327_13:                             ;   in Loop: Header=BB327_9 Depth=1
	s_or_b64 exec, exec, s[36:37]
.LBB327_14:                             ;   in Loop: Header=BB327_9 Depth=1
	s_or_b64 exec, exec, s[34:35]
.LBB327_15:                             ;   in Loop: Header=BB327_9 Depth=1
	s_or_b64 exec, exec, s[16:17]
	v_lshrrev_b16_e32 v10, 8, v9
	v_cmp_ne_u16_e32 vcc, 0, v10
	v_mov_b32_e32 v55, 0
	v_mov_b32_e32 v0, 0
	buffer_store_dword v0, off, s[48:51], 0 offset:112 ; 4-byte Folded Spill
	s_and_saveexec_b64 s[16:17], vcc
	s_cbranch_execz .LBB327_21
; %bb.16:                               ;   in Loop: Header=BB327_9 Depth=1
	v_cmp_ne_u16_e32 vcc, s41, v10
	v_bfrev_b32_e32 v0, 1
	buffer_store_dword v0, off, s[48:51], 0 offset:112 ; 4-byte Folded Spill
	s_and_saveexec_b64 s[34:35], vcc
	s_cbranch_execz .LBB327_20
; %bb.17:                               ;   in Loop: Header=BB327_9 Depth=1
	v_and_b32_e32 v0, 0x7f, v10
	v_cmp_ne_u32_e32 vcc, s42, v0
	v_mov_b32_e32 v1, 0x7f800001
	buffer_store_dword v1, off, s[48:51], 0 offset:112 ; 4-byte Folded Spill
	s_and_saveexec_b64 s[36:37], vcc
	s_cbranch_execz .LBB327_19
; %bb.18:                               ;   in Loop: Header=BB327_9 Depth=1
	v_and_b32_e32 v2, 7, v10
	v_lshrrev_b32_e32 v3, 3, v0
	v_cmp_gt_u32_e32 vcc, 8, v0
	v_ffbh_u32_e32 v0, v2
	v_min_u32_e32 v4, 32, v0
	v_subrev_u32_e32 v0, 28, v4
	v_lshlrev_b64 v[0:1], v0, v[10:11]
	v_sub_u32_e32 v1, 29, v4
	v_and_b32_e32 v0, 7, v0
	v_cndmask_b32_e32 v1, v3, v1, vcc
	v_cndmask_b32_e32 v0, v2, v0, vcc
	v_lshlrev_b32_e32 v2, 16, v9
	v_bfrev_b32_e32 v3, 60
	v_lshlrev_b32_e32 v0, 20, v0
	v_and_b32_e32 v2, 0x80000000, v2
	v_lshl_add_u32 v1, v1, 23, v3
	v_or3_b32 v0, v2, v1, v0
	buffer_store_dword v0, off, s[48:51], 0 offset:112 ; 4-byte Folded Spill
.LBB327_19:                             ;   in Loop: Header=BB327_9 Depth=1
	s_or_b64 exec, exec, s[36:37]
.LBB327_20:                             ;   in Loop: Header=BB327_9 Depth=1
	s_or_b64 exec, exec, s[34:35]
.LBB327_21:                             ;   in Loop: Header=BB327_9 Depth=1
	s_or_b64 exec, exec, s[16:17]
	v_lshrrev_b32_e32 v10, 16, v9
	v_mov_b32_e32 v0, 0
	v_cmp_ne_u16_sdwa s[34:35], v10, v0 src0_sel:BYTE_0 src1_sel:DWORD
	s_and_saveexec_b64 s[16:17], s[34:35]
	s_cbranch_execz .LBB327_27
; %bb.22:                               ;   in Loop: Header=BB327_9 Depth=1
	v_cmp_ne_u16_sdwa s[36:37], v10, s41 src0_sel:BYTE_0 src1_sel:DWORD
	v_bfrev_b32_e32 v55, 1
	s_and_saveexec_b64 s[34:35], s[36:37]
	s_cbranch_execz .LBB327_26
; %bb.23:                               ;   in Loop: Header=BB327_9 Depth=1
	v_bfe_u32 v0, v9, 16, 7
	v_cmp_ne_u32_e32 vcc, s42, v0
	v_mov_b32_e32 v55, 0x7f800001
	s_and_saveexec_b64 s[36:37], vcc
	s_cbranch_execz .LBB327_25
; %bb.24:                               ;   in Loop: Header=BB327_9 Depth=1
	v_and_b32_e32 v2, 7, v10
	v_lshrrev_b32_e32 v3, 3, v0
	v_cmp_gt_u32_e32 vcc, 8, v0
	v_ffbh_u32_e32 v0, v2
	v_min_u32_e32 v4, 32, v0
	v_subrev_u32_e32 v0, 28, v4
	v_lshlrev_b64 v[0:1], v0, v[10:11]
	v_sub_u32_e32 v1, 29, v4
	v_and_b32_e32 v0, 7, v0
	v_cndmask_b32_e32 v1, v3, v1, vcc
	v_cndmask_b32_e32 v0, v2, v0, vcc
	v_lshlrev_b32_e32 v2, 24, v10
	v_bfrev_b32_e32 v3, 60
	v_lshlrev_b32_e32 v0, 20, v0
	v_and_b32_e32 v2, 0x80000000, v2
	v_lshl_add_u32 v1, v1, 23, v3
	v_or3_b32 v55, v2, v1, v0
.LBB327_25:                             ;   in Loop: Header=BB327_9 Depth=1
	s_or_b64 exec, exec, s[36:37]
.LBB327_26:                             ;   in Loop: Header=BB327_9 Depth=1
	s_or_b64 exec, exec, s[34:35]
.LBB327_27:                             ;   in Loop: Header=BB327_9 Depth=1
	s_or_b64 exec, exec, s[16:17]
	v_mov_b32_e32 v0, 0
	v_cmp_lt_u32_e32 vcc, s43, v9
	buffer_store_dword v0, off, s[48:51], 0 offset:16 ; 4-byte Folded Spill
	v_mov_b32_e32 v0, 0
	buffer_store_dword v0, off, s[48:51], 0 offset:124 ; 4-byte Folded Spill
	s_and_saveexec_b64 s[16:17], vcc
	s_cbranch_execz .LBB327_33
; %bb.28:                               ;   in Loop: Header=BB327_9 Depth=1
	v_lshrrev_b32_e32 v10, 24, v9
	v_cmp_ne_u32_e32 vcc, s41, v10
	v_bfrev_b32_e32 v0, 1
	buffer_store_dword v0, off, s[48:51], 0 offset:124 ; 4-byte Folded Spill
	s_and_saveexec_b64 s[34:35], vcc
	s_cbranch_execz .LBB327_32
; %bb.29:                               ;   in Loop: Header=BB327_9 Depth=1
	v_bfe_u32 v0, v9, 24, 7
	v_cmp_ne_u32_e32 vcc, s42, v0
	v_mov_b32_e32 v1, 0x7f800001
	s_and_saveexec_b64 s[36:37], vcc
	s_cbranch_execz .LBB327_31
; %bb.30:                               ;   in Loop: Header=BB327_9 Depth=1
	v_and_b32_e32 v2, 7, v10
	v_lshrrev_b32_e32 v3, 3, v0
	v_cmp_gt_u32_e32 vcc, 8, v0
	v_ffbh_u32_e32 v0, v2
	v_min_u32_e32 v4, 32, v0
	v_subrev_u32_e32 v0, 28, v4
	v_lshlrev_b64 v[0:1], v0, v[10:11]
	v_sub_u32_e32 v1, 29, v4
	v_and_b32_e32 v0, 7, v0
	v_cndmask_b32_e32 v1, v3, v1, vcc
	v_cndmask_b32_e32 v0, v2, v0, vcc
	v_lshlrev_b32_e32 v2, 24, v10
	v_bfrev_b32_e32 v3, 60
	v_lshlrev_b32_e32 v0, 20, v0
	v_and_b32_e32 v2, 0x80000000, v2
	v_lshl_add_u32 v1, v1, 23, v3
	v_or3_b32 v1, v2, v1, v0
.LBB327_31:                             ;   in Loop: Header=BB327_9 Depth=1
	s_or_b64 exec, exec, s[36:37]
	buffer_store_dword v1, off, s[48:51], 0 offset:124 ; 4-byte Folded Spill
.LBB327_32:                             ;   in Loop: Header=BB327_9 Depth=1
	s_or_b64 exec, exec, s[34:35]
.LBB327_33:                             ;   in Loop: Header=BB327_9 Depth=1
	s_or_b64 exec, exec, s[16:17]
	global_load_dword v9, v[7:8], off offset:8
	v_mov_b32_e32 v0, 0
	s_waitcnt vmcnt(0)
	v_cmp_ne_u16_sdwa s[34:35], v9, v0 src0_sel:BYTE_0 src1_sel:DWORD
	s_and_saveexec_b64 s[16:17], s[34:35]
	s_cbranch_execz .LBB327_39
; %bb.34:                               ;   in Loop: Header=BB327_9 Depth=1
	v_cmp_ne_u16_sdwa s[36:37], v9, s41 src0_sel:BYTE_0 src1_sel:DWORD
	v_bfrev_b32_e32 v0, 1
	buffer_store_dword v0, off, s[48:51], 0 offset:16 ; 4-byte Folded Spill
	s_and_saveexec_b64 s[34:35], s[36:37]
	s_cbranch_execz .LBB327_38
; %bb.35:                               ;   in Loop: Header=BB327_9 Depth=1
	v_and_b32_e32 v0, 0x7f, v9
	v_cmp_ne_u32_e32 vcc, s42, v0
	v_mov_b32_e32 v1, 0x7f800001
	buffer_store_dword v1, off, s[48:51], 0 offset:16 ; 4-byte Folded Spill
	s_and_saveexec_b64 s[36:37], vcc
	s_cbranch_execz .LBB327_37
; %bb.36:                               ;   in Loop: Header=BB327_9 Depth=1
	v_and_b32_e32 v2, 7, v9
	v_lshrrev_b32_e32 v3, 3, v0
	v_cmp_gt_u32_e32 vcc, 8, v0
	v_ffbh_u32_e32 v0, v2
	v_min_u32_e32 v4, 32, v0
	v_subrev_u32_e32 v0, 28, v4
	v_lshlrev_b64 v[0:1], v0, v[9:10]
	v_sub_u32_e32 v1, 29, v4
	v_and_b32_e32 v0, 7, v0
	v_cndmask_b32_e32 v1, v3, v1, vcc
	v_cndmask_b32_e32 v0, v2, v0, vcc
	v_lshlrev_b32_e32 v2, 24, v9
	v_bfrev_b32_e32 v3, 60
	v_lshlrev_b32_e32 v0, 20, v0
	v_and_b32_e32 v2, 0x80000000, v2
	v_lshl_add_u32 v1, v1, 23, v3
	v_or3_b32 v0, v2, v1, v0
	buffer_store_dword v0, off, s[48:51], 0 offset:16 ; 4-byte Folded Spill
.LBB327_37:                             ;   in Loop: Header=BB327_9 Depth=1
	s_or_b64 exec, exec, s[36:37]
.LBB327_38:                             ;   in Loop: Header=BB327_9 Depth=1
	s_or_b64 exec, exec, s[34:35]
.LBB327_39:                             ;   in Loop: Header=BB327_9 Depth=1
	s_or_b64 exec, exec, s[16:17]
	v_lshrrev_b16_e32 v10, 8, v9
	v_mov_b32_e32 v0, 0
	v_cmp_ne_u16_e32 vcc, 0, v10
	buffer_store_dword v0, off, s[48:51], 0 offset:24 ; 4-byte Folded Spill
	v_mov_b32_e32 v0, 0
	buffer_store_dword v0, off, s[48:51], 0 offset:20 ; 4-byte Folded Spill
	s_and_saveexec_b64 s[16:17], vcc
	s_cbranch_execz .LBB327_45
; %bb.40:                               ;   in Loop: Header=BB327_9 Depth=1
	v_cmp_ne_u16_e32 vcc, s41, v10
	v_bfrev_b32_e32 v0, 1
	buffer_store_dword v0, off, s[48:51], 0 offset:20 ; 4-byte Folded Spill
	s_and_saveexec_b64 s[34:35], vcc
	s_cbranch_execz .LBB327_44
; %bb.41:                               ;   in Loop: Header=BB327_9 Depth=1
	v_and_b32_e32 v0, 0x7f, v10
	v_cmp_ne_u32_e32 vcc, s42, v0
	v_mov_b32_e32 v1, 0x7f800001
	buffer_store_dword v1, off, s[48:51], 0 offset:20 ; 4-byte Folded Spill
	s_and_saveexec_b64 s[36:37], vcc
	s_cbranch_execz .LBB327_43
; %bb.42:                               ;   in Loop: Header=BB327_9 Depth=1
	v_and_b32_e32 v2, 7, v10
	v_lshrrev_b32_e32 v3, 3, v0
	v_cmp_gt_u32_e32 vcc, 8, v0
	v_ffbh_u32_e32 v0, v2
	v_min_u32_e32 v4, 32, v0
	v_subrev_u32_e32 v0, 28, v4
	v_lshlrev_b64 v[0:1], v0, v[10:11]
	v_sub_u32_e32 v1, 29, v4
	v_and_b32_e32 v0, 7, v0
	v_cndmask_b32_e32 v1, v3, v1, vcc
	v_cndmask_b32_e32 v0, v2, v0, vcc
	v_lshlrev_b32_e32 v2, 16, v9
	v_bfrev_b32_e32 v3, 60
	v_lshlrev_b32_e32 v0, 20, v0
	v_and_b32_e32 v2, 0x80000000, v2
	v_lshl_add_u32 v1, v1, 23, v3
	v_or3_b32 v0, v2, v1, v0
	buffer_store_dword v0, off, s[48:51], 0 offset:20 ; 4-byte Folded Spill
.LBB327_43:                             ;   in Loop: Header=BB327_9 Depth=1
	s_or_b64 exec, exec, s[36:37]
.LBB327_44:                             ;   in Loop: Header=BB327_9 Depth=1
	s_or_b64 exec, exec, s[34:35]
.LBB327_45:                             ;   in Loop: Header=BB327_9 Depth=1
	s_or_b64 exec, exec, s[16:17]
	v_lshrrev_b32_e32 v10, 16, v9
	v_mov_b32_e32 v0, 0
	v_cmp_ne_u16_sdwa s[34:35], v10, v0 src0_sel:BYTE_0 src1_sel:DWORD
	s_and_saveexec_b64 s[16:17], s[34:35]
	s_cbranch_execz .LBB327_51
; %bb.46:                               ;   in Loop: Header=BB327_9 Depth=1
	v_cmp_ne_u16_sdwa s[36:37], v10, s41 src0_sel:BYTE_0 src1_sel:DWORD
	v_bfrev_b32_e32 v0, 1
	buffer_store_dword v0, off, s[48:51], 0 offset:24 ; 4-byte Folded Spill
	s_and_saveexec_b64 s[34:35], s[36:37]
	s_cbranch_execz .LBB327_50
; %bb.47:                               ;   in Loop: Header=BB327_9 Depth=1
	v_bfe_u32 v0, v9, 16, 7
	v_cmp_ne_u32_e32 vcc, s42, v0
	v_mov_b32_e32 v1, 0x7f800001
	buffer_store_dword v1, off, s[48:51], 0 offset:24 ; 4-byte Folded Spill
	s_and_saveexec_b64 s[36:37], vcc
	s_cbranch_execz .LBB327_49
; %bb.48:                               ;   in Loop: Header=BB327_9 Depth=1
	v_and_b32_e32 v2, 7, v10
	v_lshrrev_b32_e32 v3, 3, v0
	v_cmp_gt_u32_e32 vcc, 8, v0
	v_ffbh_u32_e32 v0, v2
	v_min_u32_e32 v4, 32, v0
	v_subrev_u32_e32 v0, 28, v4
	v_lshlrev_b64 v[0:1], v0, v[10:11]
	v_sub_u32_e32 v1, 29, v4
	v_and_b32_e32 v0, 7, v0
	v_cndmask_b32_e32 v1, v3, v1, vcc
	v_cndmask_b32_e32 v0, v2, v0, vcc
	v_lshlrev_b32_e32 v2, 24, v10
	v_bfrev_b32_e32 v3, 60
	v_lshlrev_b32_e32 v0, 20, v0
	v_and_b32_e32 v2, 0x80000000, v2
	v_lshl_add_u32 v1, v1, 23, v3
	v_or3_b32 v0, v2, v1, v0
	buffer_store_dword v0, off, s[48:51], 0 offset:24 ; 4-byte Folded Spill
.LBB327_49:                             ;   in Loop: Header=BB327_9 Depth=1
	s_or_b64 exec, exec, s[36:37]
.LBB327_50:                             ;   in Loop: Header=BB327_9 Depth=1
	s_or_b64 exec, exec, s[34:35]
.LBB327_51:                             ;   in Loop: Header=BB327_9 Depth=1
	s_or_b64 exec, exec, s[16:17]
	v_mov_b32_e32 v0, 0
	v_cmp_lt_u32_e32 vcc, s43, v9
	buffer_store_dword v0, off, s[48:51], 0 offset:28 ; 4-byte Folded Spill
	v_mov_b32_e32 v0, 0
	buffer_store_dword v0, off, s[48:51], 0 offset:128 ; 4-byte Folded Spill
	s_and_saveexec_b64 s[16:17], vcc
	s_cbranch_execz .LBB327_57
; %bb.52:                               ;   in Loop: Header=BB327_9 Depth=1
	v_lshrrev_b32_e32 v10, 24, v9
	v_cmp_ne_u32_e32 vcc, s41, v10
	v_bfrev_b32_e32 v0, 1
	buffer_store_dword v0, off, s[48:51], 0 offset:128 ; 4-byte Folded Spill
	s_and_saveexec_b64 s[34:35], vcc
	s_cbranch_execz .LBB327_56
; %bb.53:                               ;   in Loop: Header=BB327_9 Depth=1
	v_bfe_u32 v0, v9, 24, 7
	v_cmp_ne_u32_e32 vcc, s42, v0
	v_mov_b32_e32 v1, 0x7f800001
	s_and_saveexec_b64 s[36:37], vcc
	s_cbranch_execz .LBB327_55
; %bb.54:                               ;   in Loop: Header=BB327_9 Depth=1
	v_and_b32_e32 v2, 7, v10
	v_lshrrev_b32_e32 v3, 3, v0
	v_cmp_gt_u32_e32 vcc, 8, v0
	v_ffbh_u32_e32 v0, v2
	v_min_u32_e32 v4, 32, v0
	v_subrev_u32_e32 v0, 28, v4
	v_lshlrev_b64 v[0:1], v0, v[10:11]
	v_sub_u32_e32 v1, 29, v4
	v_and_b32_e32 v0, 7, v0
	v_cndmask_b32_e32 v1, v3, v1, vcc
	v_cndmask_b32_e32 v0, v2, v0, vcc
	v_lshlrev_b32_e32 v2, 24, v10
	v_bfrev_b32_e32 v3, 60
	v_lshlrev_b32_e32 v0, 20, v0
	v_and_b32_e32 v2, 0x80000000, v2
	v_lshl_add_u32 v1, v1, 23, v3
	v_or3_b32 v1, v2, v1, v0
.LBB327_55:                             ;   in Loop: Header=BB327_9 Depth=1
	s_or_b64 exec, exec, s[36:37]
	buffer_store_dword v1, off, s[48:51], 0 offset:128 ; 4-byte Folded Spill
.LBB327_56:                             ;   in Loop: Header=BB327_9 Depth=1
	s_or_b64 exec, exec, s[34:35]
.LBB327_57:                             ;   in Loop: Header=BB327_9 Depth=1
	s_or_b64 exec, exec, s[16:17]
	global_load_dword v9, v[7:8], off offset:512
	v_mov_b32_e32 v0, 0
	s_waitcnt vmcnt(0)
	v_cmp_ne_u16_sdwa s[34:35], v9, v0 src0_sel:BYTE_0 src1_sel:DWORD
	s_and_saveexec_b64 s[16:17], s[34:35]
	s_cbranch_execz .LBB327_63
; %bb.58:                               ;   in Loop: Header=BB327_9 Depth=1
	v_cmp_ne_u16_sdwa s[36:37], v9, s41 src0_sel:BYTE_0 src1_sel:DWORD
	v_bfrev_b32_e32 v0, 1
	buffer_store_dword v0, off, s[48:51], 0 offset:28 ; 4-byte Folded Spill
	s_and_saveexec_b64 s[34:35], s[36:37]
	s_cbranch_execz .LBB327_62
; %bb.59:                               ;   in Loop: Header=BB327_9 Depth=1
	v_and_b32_e32 v0, 0x7f, v9
	v_cmp_ne_u32_e32 vcc, s42, v0
	v_mov_b32_e32 v1, 0x7f800001
	buffer_store_dword v1, off, s[48:51], 0 offset:28 ; 4-byte Folded Spill
	s_and_saveexec_b64 s[36:37], vcc
	s_cbranch_execz .LBB327_61
; %bb.60:                               ;   in Loop: Header=BB327_9 Depth=1
	v_and_b32_e32 v2, 7, v9
	v_lshrrev_b32_e32 v3, 3, v0
	v_cmp_gt_u32_e32 vcc, 8, v0
	v_ffbh_u32_e32 v0, v2
	v_min_u32_e32 v4, 32, v0
	v_subrev_u32_e32 v0, 28, v4
	v_lshlrev_b64 v[0:1], v0, v[9:10]
	v_sub_u32_e32 v1, 29, v4
	v_and_b32_e32 v0, 7, v0
	v_cndmask_b32_e32 v1, v3, v1, vcc
	v_cndmask_b32_e32 v0, v2, v0, vcc
	v_lshlrev_b32_e32 v2, 24, v9
	v_bfrev_b32_e32 v3, 60
	v_lshlrev_b32_e32 v0, 20, v0
	v_and_b32_e32 v2, 0x80000000, v2
	v_lshl_add_u32 v1, v1, 23, v3
	v_or3_b32 v0, v2, v1, v0
	buffer_store_dword v0, off, s[48:51], 0 offset:28 ; 4-byte Folded Spill
.LBB327_61:                             ;   in Loop: Header=BB327_9 Depth=1
	s_or_b64 exec, exec, s[36:37]
.LBB327_62:                             ;   in Loop: Header=BB327_9 Depth=1
	s_or_b64 exec, exec, s[34:35]
.LBB327_63:                             ;   in Loop: Header=BB327_9 Depth=1
	s_or_b64 exec, exec, s[16:17]
	v_lshrrev_b16_e32 v10, 8, v9
	v_cmp_ne_u16_e32 vcc, 0, v10
	v_mov_b32_e32 v50, 0
	v_mov_b32_e32 v0, 0
	buffer_store_dword v0, off, s[48:51], 0 offset:32 ; 4-byte Folded Spill
	s_and_saveexec_b64 s[16:17], vcc
	s_cbranch_execz .LBB327_69
; %bb.64:                               ;   in Loop: Header=BB327_9 Depth=1
	v_cmp_ne_u16_e32 vcc, s41, v10
	v_bfrev_b32_e32 v0, 1
	buffer_store_dword v0, off, s[48:51], 0 offset:32 ; 4-byte Folded Spill
	s_and_saveexec_b64 s[34:35], vcc
	s_cbranch_execz .LBB327_68
; %bb.65:                               ;   in Loop: Header=BB327_9 Depth=1
	v_and_b32_e32 v0, 0x7f, v10
	v_cmp_ne_u32_e32 vcc, s42, v0
	v_mov_b32_e32 v1, 0x7f800001
	buffer_store_dword v1, off, s[48:51], 0 offset:32 ; 4-byte Folded Spill
	s_and_saveexec_b64 s[36:37], vcc
	s_cbranch_execz .LBB327_67
; %bb.66:                               ;   in Loop: Header=BB327_9 Depth=1
	v_and_b32_e32 v2, 7, v10
	v_lshrrev_b32_e32 v3, 3, v0
	v_cmp_gt_u32_e32 vcc, 8, v0
	v_ffbh_u32_e32 v0, v2
	v_min_u32_e32 v4, 32, v0
	v_subrev_u32_e32 v0, 28, v4
	v_lshlrev_b64 v[0:1], v0, v[10:11]
	v_sub_u32_e32 v1, 29, v4
	v_and_b32_e32 v0, 7, v0
	v_cndmask_b32_e32 v1, v3, v1, vcc
	v_cndmask_b32_e32 v0, v2, v0, vcc
	v_lshlrev_b32_e32 v2, 16, v9
	v_bfrev_b32_e32 v3, 60
	v_lshlrev_b32_e32 v0, 20, v0
	v_and_b32_e32 v2, 0x80000000, v2
	v_lshl_add_u32 v1, v1, 23, v3
	v_or3_b32 v0, v2, v1, v0
	buffer_store_dword v0, off, s[48:51], 0 offset:32 ; 4-byte Folded Spill
.LBB327_67:                             ;   in Loop: Header=BB327_9 Depth=1
	s_or_b64 exec, exec, s[36:37]
.LBB327_68:                             ;   in Loop: Header=BB327_9 Depth=1
	s_or_b64 exec, exec, s[34:35]
.LBB327_69:                             ;   in Loop: Header=BB327_9 Depth=1
	s_or_b64 exec, exec, s[16:17]
	v_lshrrev_b32_e32 v10, 16, v9
	v_mov_b32_e32 v0, 0
	v_cmp_ne_u16_sdwa s[34:35], v10, v0 src0_sel:BYTE_0 src1_sel:DWORD
	s_and_saveexec_b64 s[16:17], s[34:35]
	s_cbranch_execz .LBB327_75
; %bb.70:                               ;   in Loop: Header=BB327_9 Depth=1
	v_cmp_ne_u16_sdwa s[36:37], v10, s41 src0_sel:BYTE_0 src1_sel:DWORD
	v_bfrev_b32_e32 v50, 1
	s_and_saveexec_b64 s[34:35], s[36:37]
	s_cbranch_execz .LBB327_74
; %bb.71:                               ;   in Loop: Header=BB327_9 Depth=1
	v_bfe_u32 v0, v9, 16, 7
	v_cmp_ne_u32_e32 vcc, s42, v0
	v_mov_b32_e32 v50, 0x7f800001
	s_and_saveexec_b64 s[36:37], vcc
	s_cbranch_execz .LBB327_73
; %bb.72:                               ;   in Loop: Header=BB327_9 Depth=1
	v_and_b32_e32 v2, 7, v10
	v_lshrrev_b32_e32 v3, 3, v0
	v_cmp_gt_u32_e32 vcc, 8, v0
	v_ffbh_u32_e32 v0, v2
	v_min_u32_e32 v4, 32, v0
	v_subrev_u32_e32 v0, 28, v4
	v_lshlrev_b64 v[0:1], v0, v[10:11]
	v_sub_u32_e32 v1, 29, v4
	v_and_b32_e32 v0, 7, v0
	v_cndmask_b32_e32 v1, v3, v1, vcc
	v_cndmask_b32_e32 v0, v2, v0, vcc
	v_lshlrev_b32_e32 v2, 24, v10
	v_bfrev_b32_e32 v3, 60
	v_lshlrev_b32_e32 v0, 20, v0
	v_and_b32_e32 v2, 0x80000000, v2
	v_lshl_add_u32 v1, v1, 23, v3
	v_or3_b32 v50, v2, v1, v0
.LBB327_73:                             ;   in Loop: Header=BB327_9 Depth=1
	s_or_b64 exec, exec, s[36:37]
.LBB327_74:                             ;   in Loop: Header=BB327_9 Depth=1
	s_or_b64 exec, exec, s[34:35]
.LBB327_75:                             ;   in Loop: Header=BB327_9 Depth=1
	s_or_b64 exec, exec, s[16:17]
	v_mov_b32_e32 v0, 0
	v_cmp_lt_u32_e32 vcc, s43, v9
	buffer_store_dword v0, off, s[48:51], 0 offset:36 ; 4-byte Folded Spill
	v_mov_b32_e32 v0, 0
	buffer_store_dword v0, off, s[48:51], 0 offset:132 ; 4-byte Folded Spill
	s_and_saveexec_b64 s[16:17], vcc
	s_cbranch_execz .LBB327_81
; %bb.76:                               ;   in Loop: Header=BB327_9 Depth=1
	v_lshrrev_b32_e32 v10, 24, v9
	v_cmp_ne_u32_e32 vcc, s41, v10
	v_bfrev_b32_e32 v0, 1
	buffer_store_dword v0, off, s[48:51], 0 offset:132 ; 4-byte Folded Spill
	s_and_saveexec_b64 s[34:35], vcc
	s_cbranch_execz .LBB327_80
; %bb.77:                               ;   in Loop: Header=BB327_9 Depth=1
	v_bfe_u32 v0, v9, 24, 7
	v_cmp_ne_u32_e32 vcc, s42, v0
	v_mov_b32_e32 v1, 0x7f800001
	s_and_saveexec_b64 s[36:37], vcc
	s_cbranch_execz .LBB327_79
; %bb.78:                               ;   in Loop: Header=BB327_9 Depth=1
	v_and_b32_e32 v2, 7, v10
	v_lshrrev_b32_e32 v3, 3, v0
	v_cmp_gt_u32_e32 vcc, 8, v0
	v_ffbh_u32_e32 v0, v2
	v_min_u32_e32 v4, 32, v0
	v_subrev_u32_e32 v0, 28, v4
	v_lshlrev_b64 v[0:1], v0, v[10:11]
	v_sub_u32_e32 v1, 29, v4
	v_and_b32_e32 v0, 7, v0
	v_cndmask_b32_e32 v1, v3, v1, vcc
	v_cndmask_b32_e32 v0, v2, v0, vcc
	v_lshlrev_b32_e32 v2, 24, v10
	v_bfrev_b32_e32 v3, 60
	v_lshlrev_b32_e32 v0, 20, v0
	v_and_b32_e32 v2, 0x80000000, v2
	v_lshl_add_u32 v1, v1, 23, v3
	v_or3_b32 v1, v2, v1, v0
.LBB327_79:                             ;   in Loop: Header=BB327_9 Depth=1
	s_or_b64 exec, exec, s[36:37]
	buffer_store_dword v1, off, s[48:51], 0 offset:132 ; 4-byte Folded Spill
.LBB327_80:                             ;   in Loop: Header=BB327_9 Depth=1
	s_or_b64 exec, exec, s[34:35]
.LBB327_81:                             ;   in Loop: Header=BB327_9 Depth=1
	s_or_b64 exec, exec, s[16:17]
	global_load_dword v9, v[7:8], off offset:520
	v_mov_b32_e32 v0, 0
	s_waitcnt vmcnt(0)
	v_cmp_ne_u16_sdwa s[34:35], v9, v0 src0_sel:BYTE_0 src1_sel:DWORD
	s_and_saveexec_b64 s[16:17], s[34:35]
	s_cbranch_execz .LBB327_87
; %bb.82:                               ;   in Loop: Header=BB327_9 Depth=1
	v_cmp_ne_u16_sdwa s[36:37], v9, s41 src0_sel:BYTE_0 src1_sel:DWORD
	v_bfrev_b32_e32 v0, 1
	buffer_store_dword v0, off, s[48:51], 0 offset:36 ; 4-byte Folded Spill
	s_and_saveexec_b64 s[34:35], s[36:37]
	s_cbranch_execz .LBB327_86
; %bb.83:                               ;   in Loop: Header=BB327_9 Depth=1
	v_and_b32_e32 v0, 0x7f, v9
	v_cmp_ne_u32_e32 vcc, s42, v0
	v_mov_b32_e32 v1, 0x7f800001
	buffer_store_dword v1, off, s[48:51], 0 offset:36 ; 4-byte Folded Spill
	s_and_saveexec_b64 s[36:37], vcc
	s_cbranch_execz .LBB327_85
; %bb.84:                               ;   in Loop: Header=BB327_9 Depth=1
	v_and_b32_e32 v2, 7, v9
	v_lshrrev_b32_e32 v3, 3, v0
	v_cmp_gt_u32_e32 vcc, 8, v0
	v_ffbh_u32_e32 v0, v2
	v_min_u32_e32 v4, 32, v0
	v_subrev_u32_e32 v0, 28, v4
	v_lshlrev_b64 v[0:1], v0, v[9:10]
	v_sub_u32_e32 v1, 29, v4
	v_and_b32_e32 v0, 7, v0
	v_cndmask_b32_e32 v1, v3, v1, vcc
	v_cndmask_b32_e32 v0, v2, v0, vcc
	v_lshlrev_b32_e32 v2, 24, v9
	v_bfrev_b32_e32 v3, 60
	v_lshlrev_b32_e32 v0, 20, v0
	v_and_b32_e32 v2, 0x80000000, v2
	v_lshl_add_u32 v1, v1, 23, v3
	v_or3_b32 v0, v2, v1, v0
	buffer_store_dword v0, off, s[48:51], 0 offset:36 ; 4-byte Folded Spill
.LBB327_85:                             ;   in Loop: Header=BB327_9 Depth=1
	s_or_b64 exec, exec, s[36:37]
.LBB327_86:                             ;   in Loop: Header=BB327_9 Depth=1
	s_or_b64 exec, exec, s[34:35]
.LBB327_87:                             ;   in Loop: Header=BB327_9 Depth=1
	s_or_b64 exec, exec, s[16:17]
	v_lshrrev_b16_e32 v10, 8, v9
	v_mov_b32_e32 v0, 0
	v_cmp_ne_u16_e32 vcc, 0, v10
	buffer_store_dword v0, off, s[48:51], 0 offset:44 ; 4-byte Folded Spill
	v_mov_b32_e32 v0, 0
	buffer_store_dword v0, off, s[48:51], 0 offset:40 ; 4-byte Folded Spill
	s_and_saveexec_b64 s[16:17], vcc
	s_cbranch_execz .LBB327_93
; %bb.88:                               ;   in Loop: Header=BB327_9 Depth=1
	v_cmp_ne_u16_e32 vcc, s41, v10
	v_bfrev_b32_e32 v0, 1
	buffer_store_dword v0, off, s[48:51], 0 offset:40 ; 4-byte Folded Spill
	s_and_saveexec_b64 s[34:35], vcc
	s_cbranch_execz .LBB327_92
; %bb.89:                               ;   in Loop: Header=BB327_9 Depth=1
	v_and_b32_e32 v0, 0x7f, v10
	v_cmp_ne_u32_e32 vcc, s42, v0
	v_mov_b32_e32 v1, 0x7f800001
	buffer_store_dword v1, off, s[48:51], 0 offset:40 ; 4-byte Folded Spill
	s_and_saveexec_b64 s[36:37], vcc
	s_cbranch_execz .LBB327_91
; %bb.90:                               ;   in Loop: Header=BB327_9 Depth=1
	v_and_b32_e32 v2, 7, v10
	v_lshrrev_b32_e32 v3, 3, v0
	v_cmp_gt_u32_e32 vcc, 8, v0
	v_ffbh_u32_e32 v0, v2
	v_min_u32_e32 v4, 32, v0
	v_subrev_u32_e32 v0, 28, v4
	v_lshlrev_b64 v[0:1], v0, v[10:11]
	v_sub_u32_e32 v1, 29, v4
	v_and_b32_e32 v0, 7, v0
	v_cndmask_b32_e32 v1, v3, v1, vcc
	v_cndmask_b32_e32 v0, v2, v0, vcc
	v_lshlrev_b32_e32 v2, 16, v9
	v_bfrev_b32_e32 v3, 60
	v_lshlrev_b32_e32 v0, 20, v0
	v_and_b32_e32 v2, 0x80000000, v2
	v_lshl_add_u32 v1, v1, 23, v3
	v_or3_b32 v0, v2, v1, v0
	buffer_store_dword v0, off, s[48:51], 0 offset:40 ; 4-byte Folded Spill
.LBB327_91:                             ;   in Loop: Header=BB327_9 Depth=1
	s_or_b64 exec, exec, s[36:37]
.LBB327_92:                             ;   in Loop: Header=BB327_9 Depth=1
	s_or_b64 exec, exec, s[34:35]
.LBB327_93:                             ;   in Loop: Header=BB327_9 Depth=1
	s_or_b64 exec, exec, s[16:17]
	v_lshrrev_b32_e32 v10, 16, v9
	v_mov_b32_e32 v0, 0
	v_cmp_ne_u16_sdwa s[34:35], v10, v0 src0_sel:BYTE_0 src1_sel:DWORD
	s_and_saveexec_b64 s[16:17], s[34:35]
	s_cbranch_execz .LBB327_99
; %bb.94:                               ;   in Loop: Header=BB327_9 Depth=1
	v_cmp_ne_u16_sdwa s[36:37], v10, s41 src0_sel:BYTE_0 src1_sel:DWORD
	v_bfrev_b32_e32 v0, 1
	buffer_store_dword v0, off, s[48:51], 0 offset:44 ; 4-byte Folded Spill
	s_and_saveexec_b64 s[34:35], s[36:37]
	s_cbranch_execz .LBB327_98
; %bb.95:                               ;   in Loop: Header=BB327_9 Depth=1
	v_bfe_u32 v0, v9, 16, 7
	v_cmp_ne_u32_e32 vcc, s42, v0
	v_mov_b32_e32 v1, 0x7f800001
	buffer_store_dword v1, off, s[48:51], 0 offset:44 ; 4-byte Folded Spill
	s_and_saveexec_b64 s[36:37], vcc
	s_cbranch_execz .LBB327_97
; %bb.96:                               ;   in Loop: Header=BB327_9 Depth=1
	v_and_b32_e32 v2, 7, v10
	v_lshrrev_b32_e32 v3, 3, v0
	v_cmp_gt_u32_e32 vcc, 8, v0
	v_ffbh_u32_e32 v0, v2
	v_min_u32_e32 v4, 32, v0
	v_subrev_u32_e32 v0, 28, v4
	v_lshlrev_b64 v[0:1], v0, v[10:11]
	v_sub_u32_e32 v1, 29, v4
	v_and_b32_e32 v0, 7, v0
	v_cndmask_b32_e32 v1, v3, v1, vcc
	v_cndmask_b32_e32 v0, v2, v0, vcc
	v_lshlrev_b32_e32 v2, 24, v10
	v_bfrev_b32_e32 v3, 60
	v_lshlrev_b32_e32 v0, 20, v0
	v_and_b32_e32 v2, 0x80000000, v2
	v_lshl_add_u32 v1, v1, 23, v3
	v_or3_b32 v0, v2, v1, v0
	buffer_store_dword v0, off, s[48:51], 0 offset:44 ; 4-byte Folded Spill
.LBB327_97:                             ;   in Loop: Header=BB327_9 Depth=1
	s_or_b64 exec, exec, s[36:37]
.LBB327_98:                             ;   in Loop: Header=BB327_9 Depth=1
	s_or_b64 exec, exec, s[34:35]
.LBB327_99:                             ;   in Loop: Header=BB327_9 Depth=1
	s_or_b64 exec, exec, s[16:17]
	v_mov_b32_e32 v0, 0
	v_cmp_lt_u32_e32 vcc, s43, v9
	buffer_store_dword v0, off, s[48:51], 0 offset:48 ; 4-byte Folded Spill
	v_mov_b32_e32 v0, 0
	buffer_store_dword v0, off, s[48:51], 0 offset:136 ; 4-byte Folded Spill
	s_and_saveexec_b64 s[16:17], vcc
	s_cbranch_execz .LBB327_105
; %bb.100:                              ;   in Loop: Header=BB327_9 Depth=1
	v_lshrrev_b32_e32 v10, 24, v9
	v_cmp_ne_u32_e32 vcc, s41, v10
	v_bfrev_b32_e32 v0, 1
	buffer_store_dword v0, off, s[48:51], 0 offset:136 ; 4-byte Folded Spill
	s_and_saveexec_b64 s[34:35], vcc
	s_cbranch_execz .LBB327_104
; %bb.101:                              ;   in Loop: Header=BB327_9 Depth=1
	v_bfe_u32 v0, v9, 24, 7
	v_cmp_ne_u32_e32 vcc, s42, v0
	v_mov_b32_e32 v1, 0x7f800001
	s_and_saveexec_b64 s[36:37], vcc
	s_cbranch_execz .LBB327_103
; %bb.102:                              ;   in Loop: Header=BB327_9 Depth=1
	v_and_b32_e32 v2, 7, v10
	v_lshrrev_b32_e32 v3, 3, v0
	v_cmp_gt_u32_e32 vcc, 8, v0
	v_ffbh_u32_e32 v0, v2
	v_min_u32_e32 v4, 32, v0
	v_subrev_u32_e32 v0, 28, v4
	v_lshlrev_b64 v[0:1], v0, v[10:11]
	v_sub_u32_e32 v1, 29, v4
	v_and_b32_e32 v0, 7, v0
	v_cndmask_b32_e32 v1, v3, v1, vcc
	v_cndmask_b32_e32 v0, v2, v0, vcc
	v_lshlrev_b32_e32 v2, 24, v10
	v_bfrev_b32_e32 v3, 60
	v_lshlrev_b32_e32 v0, 20, v0
	v_and_b32_e32 v2, 0x80000000, v2
	v_lshl_add_u32 v1, v1, 23, v3
	v_or3_b32 v1, v2, v1, v0
.LBB327_103:                            ;   in Loop: Header=BB327_9 Depth=1
	s_or_b64 exec, exec, s[36:37]
	buffer_store_dword v1, off, s[48:51], 0 offset:136 ; 4-byte Folded Spill
.LBB327_104:                            ;   in Loop: Header=BB327_9 Depth=1
	s_or_b64 exec, exec, s[34:35]
.LBB327_105:                            ;   in Loop: Header=BB327_9 Depth=1
	s_or_b64 exec, exec, s[16:17]
	global_load_dword v9, v[7:8], off offset:1024
	v_mov_b32_e32 v0, 0
	s_waitcnt vmcnt(0)
	v_cmp_ne_u16_sdwa s[34:35], v9, v0 src0_sel:BYTE_0 src1_sel:DWORD
	s_and_saveexec_b64 s[16:17], s[34:35]
	s_cbranch_execz .LBB327_111
; %bb.106:                              ;   in Loop: Header=BB327_9 Depth=1
	v_cmp_ne_u16_sdwa s[36:37], v9, s41 src0_sel:BYTE_0 src1_sel:DWORD
	v_bfrev_b32_e32 v0, 1
	buffer_store_dword v0, off, s[48:51], 0 offset:48 ; 4-byte Folded Spill
	s_and_saveexec_b64 s[34:35], s[36:37]
	s_cbranch_execz .LBB327_110
; %bb.107:                              ;   in Loop: Header=BB327_9 Depth=1
	v_and_b32_e32 v0, 0x7f, v9
	v_cmp_ne_u32_e32 vcc, s42, v0
	v_mov_b32_e32 v1, 0x7f800001
	buffer_store_dword v1, off, s[48:51], 0 offset:48 ; 4-byte Folded Spill
	s_and_saveexec_b64 s[36:37], vcc
	s_cbranch_execz .LBB327_109
; %bb.108:                              ;   in Loop: Header=BB327_9 Depth=1
	v_and_b32_e32 v2, 7, v9
	v_lshrrev_b32_e32 v3, 3, v0
	v_cmp_gt_u32_e32 vcc, 8, v0
	v_ffbh_u32_e32 v0, v2
	v_min_u32_e32 v4, 32, v0
	v_subrev_u32_e32 v0, 28, v4
	v_lshlrev_b64 v[0:1], v0, v[9:10]
	v_sub_u32_e32 v1, 29, v4
	v_and_b32_e32 v0, 7, v0
	v_cndmask_b32_e32 v1, v3, v1, vcc
	v_cndmask_b32_e32 v0, v2, v0, vcc
	v_lshlrev_b32_e32 v2, 24, v9
	v_bfrev_b32_e32 v3, 60
	v_lshlrev_b32_e32 v0, 20, v0
	v_and_b32_e32 v2, 0x80000000, v2
	v_lshl_add_u32 v1, v1, 23, v3
	v_or3_b32 v0, v2, v1, v0
	buffer_store_dword v0, off, s[48:51], 0 offset:48 ; 4-byte Folded Spill
.LBB327_109:                            ;   in Loop: Header=BB327_9 Depth=1
	s_or_b64 exec, exec, s[36:37]
.LBB327_110:                            ;   in Loop: Header=BB327_9 Depth=1
	s_or_b64 exec, exec, s[34:35]
.LBB327_111:                            ;   in Loop: Header=BB327_9 Depth=1
	s_or_b64 exec, exec, s[16:17]
	v_lshrrev_b16_e32 v10, 8, v9
	v_mov_b32_e32 v0, 0
	v_cmp_ne_u16_e32 vcc, 0, v10
	buffer_store_dword v0, off, s[48:51], 0 offset:56 ; 4-byte Folded Spill
	v_mov_b32_e32 v0, 0
	buffer_store_dword v0, off, s[48:51], 0 offset:52 ; 4-byte Folded Spill
	s_and_saveexec_b64 s[16:17], vcc
	s_cbranch_execz .LBB327_117
; %bb.112:                              ;   in Loop: Header=BB327_9 Depth=1
	v_cmp_ne_u16_e32 vcc, s41, v10
	v_bfrev_b32_e32 v0, 1
	buffer_store_dword v0, off, s[48:51], 0 offset:52 ; 4-byte Folded Spill
	s_and_saveexec_b64 s[34:35], vcc
	s_cbranch_execz .LBB327_116
; %bb.113:                              ;   in Loop: Header=BB327_9 Depth=1
	v_and_b32_e32 v0, 0x7f, v10
	v_cmp_ne_u32_e32 vcc, s42, v0
	v_mov_b32_e32 v1, 0x7f800001
	buffer_store_dword v1, off, s[48:51], 0 offset:52 ; 4-byte Folded Spill
	s_and_saveexec_b64 s[36:37], vcc
	s_cbranch_execz .LBB327_115
; %bb.114:                              ;   in Loop: Header=BB327_9 Depth=1
	v_and_b32_e32 v2, 7, v10
	v_lshrrev_b32_e32 v3, 3, v0
	v_cmp_gt_u32_e32 vcc, 8, v0
	v_ffbh_u32_e32 v0, v2
	v_min_u32_e32 v4, 32, v0
	v_subrev_u32_e32 v0, 28, v4
	v_lshlrev_b64 v[0:1], v0, v[10:11]
	v_sub_u32_e32 v1, 29, v4
	v_and_b32_e32 v0, 7, v0
	v_cndmask_b32_e32 v1, v3, v1, vcc
	v_cndmask_b32_e32 v0, v2, v0, vcc
	v_lshlrev_b32_e32 v2, 16, v9
	v_bfrev_b32_e32 v3, 60
	v_lshlrev_b32_e32 v0, 20, v0
	v_and_b32_e32 v2, 0x80000000, v2
	v_lshl_add_u32 v1, v1, 23, v3
	v_or3_b32 v0, v2, v1, v0
	buffer_store_dword v0, off, s[48:51], 0 offset:52 ; 4-byte Folded Spill
.LBB327_115:                            ;   in Loop: Header=BB327_9 Depth=1
	s_or_b64 exec, exec, s[36:37]
.LBB327_116:                            ;   in Loop: Header=BB327_9 Depth=1
	s_or_b64 exec, exec, s[34:35]
.LBB327_117:                            ;   in Loop: Header=BB327_9 Depth=1
	s_or_b64 exec, exec, s[16:17]
	v_lshrrev_b32_e32 v10, 16, v9
	v_mov_b32_e32 v0, 0
	v_cmp_ne_u16_sdwa s[34:35], v10, v0 src0_sel:BYTE_0 src1_sel:DWORD
	s_and_saveexec_b64 s[16:17], s[34:35]
	s_cbranch_execz .LBB327_123
; %bb.118:                              ;   in Loop: Header=BB327_9 Depth=1
	v_cmp_ne_u16_sdwa s[36:37], v10, s41 src0_sel:BYTE_0 src1_sel:DWORD
	v_bfrev_b32_e32 v0, 1
	buffer_store_dword v0, off, s[48:51], 0 offset:56 ; 4-byte Folded Spill
	s_and_saveexec_b64 s[34:35], s[36:37]
	s_cbranch_execz .LBB327_122
; %bb.119:                              ;   in Loop: Header=BB327_9 Depth=1
	v_bfe_u32 v0, v9, 16, 7
	v_cmp_ne_u32_e32 vcc, s42, v0
	v_mov_b32_e32 v1, 0x7f800001
	buffer_store_dword v1, off, s[48:51], 0 offset:56 ; 4-byte Folded Spill
	s_and_saveexec_b64 s[36:37], vcc
	s_cbranch_execz .LBB327_121
; %bb.120:                              ;   in Loop: Header=BB327_9 Depth=1
	v_and_b32_e32 v2, 7, v10
	v_lshrrev_b32_e32 v3, 3, v0
	v_cmp_gt_u32_e32 vcc, 8, v0
	v_ffbh_u32_e32 v0, v2
	v_min_u32_e32 v4, 32, v0
	v_subrev_u32_e32 v0, 28, v4
	v_lshlrev_b64 v[0:1], v0, v[10:11]
	v_sub_u32_e32 v1, 29, v4
	v_and_b32_e32 v0, 7, v0
	v_cndmask_b32_e32 v1, v3, v1, vcc
	v_cndmask_b32_e32 v0, v2, v0, vcc
	v_lshlrev_b32_e32 v2, 24, v10
	v_bfrev_b32_e32 v3, 60
	v_lshlrev_b32_e32 v0, 20, v0
	v_and_b32_e32 v2, 0x80000000, v2
	v_lshl_add_u32 v1, v1, 23, v3
	v_or3_b32 v0, v2, v1, v0
	buffer_store_dword v0, off, s[48:51], 0 offset:56 ; 4-byte Folded Spill
.LBB327_121:                            ;   in Loop: Header=BB327_9 Depth=1
	s_or_b64 exec, exec, s[36:37]
.LBB327_122:                            ;   in Loop: Header=BB327_9 Depth=1
	s_or_b64 exec, exec, s[34:35]
.LBB327_123:                            ;   in Loop: Header=BB327_9 Depth=1
	s_or_b64 exec, exec, s[16:17]
	v_mov_b32_e32 v0, 0
	v_cmp_lt_u32_e32 vcc, s43, v9
	buffer_store_dword v0, off, s[48:51], 0 offset:60 ; 4-byte Folded Spill
	v_mov_b32_e32 v0, 0
	buffer_store_dword v0, off, s[48:51], 0 offset:140 ; 4-byte Folded Spill
	s_and_saveexec_b64 s[16:17], vcc
	s_cbranch_execz .LBB327_129
; %bb.124:                              ;   in Loop: Header=BB327_9 Depth=1
	v_lshrrev_b32_e32 v10, 24, v9
	v_cmp_ne_u32_e32 vcc, s41, v10
	v_bfrev_b32_e32 v0, 1
	buffer_store_dword v0, off, s[48:51], 0 offset:140 ; 4-byte Folded Spill
	s_and_saveexec_b64 s[34:35], vcc
	s_cbranch_execz .LBB327_128
; %bb.125:                              ;   in Loop: Header=BB327_9 Depth=1
	v_bfe_u32 v0, v9, 24, 7
	v_cmp_ne_u32_e32 vcc, s42, v0
	v_mov_b32_e32 v1, 0x7f800001
	s_and_saveexec_b64 s[36:37], vcc
	s_cbranch_execz .LBB327_127
; %bb.126:                              ;   in Loop: Header=BB327_9 Depth=1
	v_and_b32_e32 v2, 7, v10
	v_lshrrev_b32_e32 v3, 3, v0
	v_cmp_gt_u32_e32 vcc, 8, v0
	v_ffbh_u32_e32 v0, v2
	v_min_u32_e32 v4, 32, v0
	v_subrev_u32_e32 v0, 28, v4
	v_lshlrev_b64 v[0:1], v0, v[10:11]
	v_sub_u32_e32 v1, 29, v4
	v_and_b32_e32 v0, 7, v0
	v_cndmask_b32_e32 v1, v3, v1, vcc
	v_cndmask_b32_e32 v0, v2, v0, vcc
	v_lshlrev_b32_e32 v2, 24, v10
	v_bfrev_b32_e32 v3, 60
	v_lshlrev_b32_e32 v0, 20, v0
	v_and_b32_e32 v2, 0x80000000, v2
	v_lshl_add_u32 v1, v1, 23, v3
	v_or3_b32 v1, v2, v1, v0
.LBB327_127:                            ;   in Loop: Header=BB327_9 Depth=1
	s_or_b64 exec, exec, s[36:37]
	buffer_store_dword v1, off, s[48:51], 0 offset:140 ; 4-byte Folded Spill
.LBB327_128:                            ;   in Loop: Header=BB327_9 Depth=1
	s_or_b64 exec, exec, s[34:35]
.LBB327_129:                            ;   in Loop: Header=BB327_9 Depth=1
	s_or_b64 exec, exec, s[16:17]
	global_load_dword v9, v[7:8], off offset:1032
	v_mov_b32_e32 v0, 0
	s_waitcnt vmcnt(0)
	v_cmp_ne_u16_sdwa s[34:35], v9, v0 src0_sel:BYTE_0 src1_sel:DWORD
	s_and_saveexec_b64 s[16:17], s[34:35]
	s_cbranch_execz .LBB327_135
; %bb.130:                              ;   in Loop: Header=BB327_9 Depth=1
	v_cmp_ne_u16_sdwa s[36:37], v9, s41 src0_sel:BYTE_0 src1_sel:DWORD
	v_bfrev_b32_e32 v0, 1
	buffer_store_dword v0, off, s[48:51], 0 offset:60 ; 4-byte Folded Spill
	s_and_saveexec_b64 s[34:35], s[36:37]
	s_cbranch_execz .LBB327_134
; %bb.131:                              ;   in Loop: Header=BB327_9 Depth=1
	v_and_b32_e32 v0, 0x7f, v9
	v_cmp_ne_u32_e32 vcc, s42, v0
	v_mov_b32_e32 v1, 0x7f800001
	buffer_store_dword v1, off, s[48:51], 0 offset:60 ; 4-byte Folded Spill
	s_and_saveexec_b64 s[36:37], vcc
	s_cbranch_execz .LBB327_133
; %bb.132:                              ;   in Loop: Header=BB327_9 Depth=1
	v_and_b32_e32 v2, 7, v9
	v_lshrrev_b32_e32 v3, 3, v0
	v_cmp_gt_u32_e32 vcc, 8, v0
	v_ffbh_u32_e32 v0, v2
	v_min_u32_e32 v4, 32, v0
	v_subrev_u32_e32 v0, 28, v4
	v_lshlrev_b64 v[0:1], v0, v[9:10]
	v_sub_u32_e32 v1, 29, v4
	v_and_b32_e32 v0, 7, v0
	v_cndmask_b32_e32 v1, v3, v1, vcc
	v_cndmask_b32_e32 v0, v2, v0, vcc
	v_lshlrev_b32_e32 v2, 24, v9
	v_bfrev_b32_e32 v3, 60
	v_lshlrev_b32_e32 v0, 20, v0
	v_and_b32_e32 v2, 0x80000000, v2
	v_lshl_add_u32 v1, v1, 23, v3
	v_or3_b32 v0, v2, v1, v0
	buffer_store_dword v0, off, s[48:51], 0 offset:60 ; 4-byte Folded Spill
.LBB327_133:                            ;   in Loop: Header=BB327_9 Depth=1
	s_or_b64 exec, exec, s[36:37]
.LBB327_134:                            ;   in Loop: Header=BB327_9 Depth=1
	s_or_b64 exec, exec, s[34:35]
.LBB327_135:                            ;   in Loop: Header=BB327_9 Depth=1
	s_or_b64 exec, exec, s[16:17]
	v_lshrrev_b16_e32 v10, 8, v9
	v_mov_b32_e32 v0, 0
	v_cmp_ne_u16_e32 vcc, 0, v10
	buffer_store_dword v0, off, s[48:51], 0 offset:68 ; 4-byte Folded Spill
	v_mov_b32_e32 v0, 0
	buffer_store_dword v0, off, s[48:51], 0 offset:64 ; 4-byte Folded Spill
	s_and_saveexec_b64 s[16:17], vcc
	s_cbranch_execz .LBB327_141
; %bb.136:                              ;   in Loop: Header=BB327_9 Depth=1
	v_cmp_ne_u16_e32 vcc, s41, v10
	v_bfrev_b32_e32 v0, 1
	buffer_store_dword v0, off, s[48:51], 0 offset:64 ; 4-byte Folded Spill
	s_and_saveexec_b64 s[34:35], vcc
	s_cbranch_execz .LBB327_140
; %bb.137:                              ;   in Loop: Header=BB327_9 Depth=1
	v_and_b32_e32 v0, 0x7f, v10
	v_cmp_ne_u32_e32 vcc, s42, v0
	v_mov_b32_e32 v1, 0x7f800001
	buffer_store_dword v1, off, s[48:51], 0 offset:64 ; 4-byte Folded Spill
	s_and_saveexec_b64 s[36:37], vcc
	s_cbranch_execz .LBB327_139
; %bb.138:                              ;   in Loop: Header=BB327_9 Depth=1
	v_and_b32_e32 v2, 7, v10
	v_lshrrev_b32_e32 v3, 3, v0
	v_cmp_gt_u32_e32 vcc, 8, v0
	v_ffbh_u32_e32 v0, v2
	v_min_u32_e32 v4, 32, v0
	v_subrev_u32_e32 v0, 28, v4
	v_lshlrev_b64 v[0:1], v0, v[10:11]
	v_sub_u32_e32 v1, 29, v4
	v_and_b32_e32 v0, 7, v0
	v_cndmask_b32_e32 v1, v3, v1, vcc
	v_cndmask_b32_e32 v0, v2, v0, vcc
	v_lshlrev_b32_e32 v2, 16, v9
	v_bfrev_b32_e32 v3, 60
	v_lshlrev_b32_e32 v0, 20, v0
	v_and_b32_e32 v2, 0x80000000, v2
	v_lshl_add_u32 v1, v1, 23, v3
	v_or3_b32 v0, v2, v1, v0
	buffer_store_dword v0, off, s[48:51], 0 offset:64 ; 4-byte Folded Spill
.LBB327_139:                            ;   in Loop: Header=BB327_9 Depth=1
	s_or_b64 exec, exec, s[36:37]
.LBB327_140:                            ;   in Loop: Header=BB327_9 Depth=1
	s_or_b64 exec, exec, s[34:35]
.LBB327_141:                            ;   in Loop: Header=BB327_9 Depth=1
	s_or_b64 exec, exec, s[16:17]
	v_lshrrev_b32_e32 v10, 16, v9
	v_mov_b32_e32 v0, 0
	v_cmp_ne_u16_sdwa s[34:35], v10, v0 src0_sel:BYTE_0 src1_sel:DWORD
	s_and_saveexec_b64 s[16:17], s[34:35]
	s_cbranch_execz .LBB327_147
; %bb.142:                              ;   in Loop: Header=BB327_9 Depth=1
	v_cmp_ne_u16_sdwa s[36:37], v10, s41 src0_sel:BYTE_0 src1_sel:DWORD
	v_bfrev_b32_e32 v0, 1
	buffer_store_dword v0, off, s[48:51], 0 offset:68 ; 4-byte Folded Spill
	s_and_saveexec_b64 s[34:35], s[36:37]
	s_cbranch_execz .LBB327_146
; %bb.143:                              ;   in Loop: Header=BB327_9 Depth=1
	v_bfe_u32 v0, v9, 16, 7
	v_cmp_ne_u32_e32 vcc, s42, v0
	v_mov_b32_e32 v1, 0x7f800001
	buffer_store_dword v1, off, s[48:51], 0 offset:68 ; 4-byte Folded Spill
	s_and_saveexec_b64 s[36:37], vcc
	s_cbranch_execz .LBB327_145
; %bb.144:                              ;   in Loop: Header=BB327_9 Depth=1
	v_and_b32_e32 v2, 7, v10
	v_lshrrev_b32_e32 v3, 3, v0
	v_cmp_gt_u32_e32 vcc, 8, v0
	v_ffbh_u32_e32 v0, v2
	v_min_u32_e32 v4, 32, v0
	v_subrev_u32_e32 v0, 28, v4
	v_lshlrev_b64 v[0:1], v0, v[10:11]
	v_sub_u32_e32 v1, 29, v4
	v_and_b32_e32 v0, 7, v0
	v_cndmask_b32_e32 v1, v3, v1, vcc
	v_cndmask_b32_e32 v0, v2, v0, vcc
	v_lshlrev_b32_e32 v2, 24, v10
	v_bfrev_b32_e32 v3, 60
	v_lshlrev_b32_e32 v0, 20, v0
	v_and_b32_e32 v2, 0x80000000, v2
	v_lshl_add_u32 v1, v1, 23, v3
	v_or3_b32 v0, v2, v1, v0
	buffer_store_dword v0, off, s[48:51], 0 offset:68 ; 4-byte Folded Spill
.LBB327_145:                            ;   in Loop: Header=BB327_9 Depth=1
	s_or_b64 exec, exec, s[36:37]
.LBB327_146:                            ;   in Loop: Header=BB327_9 Depth=1
	s_or_b64 exec, exec, s[34:35]
.LBB327_147:                            ;   in Loop: Header=BB327_9 Depth=1
	s_or_b64 exec, exec, s[16:17]
	v_mov_b32_e32 v0, 0
	v_cmp_lt_u32_e32 vcc, s43, v9
	buffer_store_dword v0, off, s[48:51], 0 offset:72 ; 4-byte Folded Spill
	v_mov_b32_e32 v0, 0
	buffer_store_dword v0, off, s[48:51], 0 offset:144 ; 4-byte Folded Spill
	s_and_saveexec_b64 s[16:17], vcc
	s_cbranch_execz .LBB327_153
; %bb.148:                              ;   in Loop: Header=BB327_9 Depth=1
	v_lshrrev_b32_e32 v10, 24, v9
	v_cmp_ne_u32_e32 vcc, s41, v10
	v_bfrev_b32_e32 v0, 1
	buffer_store_dword v0, off, s[48:51], 0 offset:144 ; 4-byte Folded Spill
	s_and_saveexec_b64 s[34:35], vcc
	s_cbranch_execz .LBB327_152
; %bb.149:                              ;   in Loop: Header=BB327_9 Depth=1
	v_bfe_u32 v0, v9, 24, 7
	v_cmp_ne_u32_e32 vcc, s42, v0
	v_mov_b32_e32 v1, 0x7f800001
	s_and_saveexec_b64 s[36:37], vcc
	s_cbranch_execz .LBB327_151
; %bb.150:                              ;   in Loop: Header=BB327_9 Depth=1
	v_and_b32_e32 v2, 7, v10
	v_lshrrev_b32_e32 v3, 3, v0
	v_cmp_gt_u32_e32 vcc, 8, v0
	v_ffbh_u32_e32 v0, v2
	v_min_u32_e32 v4, 32, v0
	v_subrev_u32_e32 v0, 28, v4
	v_lshlrev_b64 v[0:1], v0, v[10:11]
	v_sub_u32_e32 v1, 29, v4
	v_and_b32_e32 v0, 7, v0
	v_cndmask_b32_e32 v1, v3, v1, vcc
	v_cndmask_b32_e32 v0, v2, v0, vcc
	v_lshlrev_b32_e32 v2, 24, v10
	v_bfrev_b32_e32 v3, 60
	v_lshlrev_b32_e32 v0, 20, v0
	v_and_b32_e32 v2, 0x80000000, v2
	v_lshl_add_u32 v1, v1, 23, v3
	v_or3_b32 v1, v2, v1, v0
.LBB327_151:                            ;   in Loop: Header=BB327_9 Depth=1
	s_or_b64 exec, exec, s[36:37]
	buffer_store_dword v1, off, s[48:51], 0 offset:144 ; 4-byte Folded Spill
.LBB327_152:                            ;   in Loop: Header=BB327_9 Depth=1
	s_or_b64 exec, exec, s[34:35]
.LBB327_153:                            ;   in Loop: Header=BB327_9 Depth=1
	s_or_b64 exec, exec, s[16:17]
	global_load_dword v9, v[7:8], off offset:1536
	v_mov_b32_e32 v0, 0
	s_waitcnt vmcnt(0)
	v_cmp_ne_u16_sdwa s[34:35], v9, v0 src0_sel:BYTE_0 src1_sel:DWORD
	s_and_saveexec_b64 s[16:17], s[34:35]
	s_cbranch_execz .LBB327_159
; %bb.154:                              ;   in Loop: Header=BB327_9 Depth=1
	v_cmp_ne_u16_sdwa s[36:37], v9, s41 src0_sel:BYTE_0 src1_sel:DWORD
	v_bfrev_b32_e32 v0, 1
	buffer_store_dword v0, off, s[48:51], 0 offset:72 ; 4-byte Folded Spill
	s_and_saveexec_b64 s[34:35], s[36:37]
	s_cbranch_execz .LBB327_158
; %bb.155:                              ;   in Loop: Header=BB327_9 Depth=1
	v_and_b32_e32 v0, 0x7f, v9
	v_cmp_ne_u32_e32 vcc, s42, v0
	v_mov_b32_e32 v1, 0x7f800001
	buffer_store_dword v1, off, s[48:51], 0 offset:72 ; 4-byte Folded Spill
	s_and_saveexec_b64 s[36:37], vcc
	s_cbranch_execz .LBB327_157
; %bb.156:                              ;   in Loop: Header=BB327_9 Depth=1
	v_and_b32_e32 v2, 7, v9
	v_lshrrev_b32_e32 v3, 3, v0
	v_cmp_gt_u32_e32 vcc, 8, v0
	v_ffbh_u32_e32 v0, v2
	v_min_u32_e32 v4, 32, v0
	v_subrev_u32_e32 v0, 28, v4
	v_lshlrev_b64 v[0:1], v0, v[9:10]
	v_sub_u32_e32 v1, 29, v4
	v_and_b32_e32 v0, 7, v0
	v_cndmask_b32_e32 v1, v3, v1, vcc
	v_cndmask_b32_e32 v0, v2, v0, vcc
	v_lshlrev_b32_e32 v2, 24, v9
	v_bfrev_b32_e32 v3, 60
	v_lshlrev_b32_e32 v0, 20, v0
	v_and_b32_e32 v2, 0x80000000, v2
	v_lshl_add_u32 v1, v1, 23, v3
	v_or3_b32 v0, v2, v1, v0
	buffer_store_dword v0, off, s[48:51], 0 offset:72 ; 4-byte Folded Spill
.LBB327_157:                            ;   in Loop: Header=BB327_9 Depth=1
	s_or_b64 exec, exec, s[36:37]
.LBB327_158:                            ;   in Loop: Header=BB327_9 Depth=1
	s_or_b64 exec, exec, s[34:35]
.LBB327_159:                            ;   in Loop: Header=BB327_9 Depth=1
	s_or_b64 exec, exec, s[16:17]
	v_lshrrev_b16_e32 v10, 8, v9
	v_mov_b32_e32 v0, 0
	v_cmp_ne_u16_e32 vcc, 0, v10
	buffer_store_dword v0, off, s[48:51], 0 offset:80 ; 4-byte Folded Spill
	v_mov_b32_e32 v0, 0
	buffer_store_dword v0, off, s[48:51], 0 offset:76 ; 4-byte Folded Spill
	s_and_saveexec_b64 s[16:17], vcc
	s_cbranch_execz .LBB327_165
; %bb.160:                              ;   in Loop: Header=BB327_9 Depth=1
	v_cmp_ne_u16_e32 vcc, s41, v10
	v_bfrev_b32_e32 v0, 1
	buffer_store_dword v0, off, s[48:51], 0 offset:76 ; 4-byte Folded Spill
	s_and_saveexec_b64 s[34:35], vcc
	s_cbranch_execz .LBB327_164
; %bb.161:                              ;   in Loop: Header=BB327_9 Depth=1
	v_and_b32_e32 v0, 0x7f, v10
	v_cmp_ne_u32_e32 vcc, s42, v0
	v_mov_b32_e32 v1, 0x7f800001
	buffer_store_dword v1, off, s[48:51], 0 offset:76 ; 4-byte Folded Spill
	s_and_saveexec_b64 s[36:37], vcc
	s_cbranch_execz .LBB327_163
; %bb.162:                              ;   in Loop: Header=BB327_9 Depth=1
	v_and_b32_e32 v2, 7, v10
	v_lshrrev_b32_e32 v3, 3, v0
	v_cmp_gt_u32_e32 vcc, 8, v0
	v_ffbh_u32_e32 v0, v2
	v_min_u32_e32 v4, 32, v0
	v_subrev_u32_e32 v0, 28, v4
	v_lshlrev_b64 v[0:1], v0, v[10:11]
	v_sub_u32_e32 v1, 29, v4
	v_and_b32_e32 v0, 7, v0
	v_cndmask_b32_e32 v1, v3, v1, vcc
	v_cndmask_b32_e32 v0, v2, v0, vcc
	v_lshlrev_b32_e32 v2, 16, v9
	v_bfrev_b32_e32 v3, 60
	v_lshlrev_b32_e32 v0, 20, v0
	v_and_b32_e32 v2, 0x80000000, v2
	v_lshl_add_u32 v1, v1, 23, v3
	v_or3_b32 v0, v2, v1, v0
	buffer_store_dword v0, off, s[48:51], 0 offset:76 ; 4-byte Folded Spill
.LBB327_163:                            ;   in Loop: Header=BB327_9 Depth=1
	s_or_b64 exec, exec, s[36:37]
.LBB327_164:                            ;   in Loop: Header=BB327_9 Depth=1
	s_or_b64 exec, exec, s[34:35]
.LBB327_165:                            ;   in Loop: Header=BB327_9 Depth=1
	s_or_b64 exec, exec, s[16:17]
	v_lshrrev_b32_e32 v10, 16, v9
	v_mov_b32_e32 v0, 0
	v_cmp_ne_u16_sdwa s[34:35], v10, v0 src0_sel:BYTE_0 src1_sel:DWORD
	s_and_saveexec_b64 s[16:17], s[34:35]
	s_cbranch_execz .LBB327_171
; %bb.166:                              ;   in Loop: Header=BB327_9 Depth=1
	v_cmp_ne_u16_sdwa s[36:37], v10, s41 src0_sel:BYTE_0 src1_sel:DWORD
	v_bfrev_b32_e32 v0, 1
	buffer_store_dword v0, off, s[48:51], 0 offset:80 ; 4-byte Folded Spill
	s_and_saveexec_b64 s[34:35], s[36:37]
	s_cbranch_execz .LBB327_170
; %bb.167:                              ;   in Loop: Header=BB327_9 Depth=1
	v_bfe_u32 v0, v9, 16, 7
	v_cmp_ne_u32_e32 vcc, s42, v0
	v_mov_b32_e32 v1, 0x7f800001
	buffer_store_dword v1, off, s[48:51], 0 offset:80 ; 4-byte Folded Spill
	s_and_saveexec_b64 s[36:37], vcc
	s_cbranch_execz .LBB327_169
; %bb.168:                              ;   in Loop: Header=BB327_9 Depth=1
	v_and_b32_e32 v2, 7, v10
	v_lshrrev_b32_e32 v3, 3, v0
	v_cmp_gt_u32_e32 vcc, 8, v0
	v_ffbh_u32_e32 v0, v2
	v_min_u32_e32 v4, 32, v0
	v_subrev_u32_e32 v0, 28, v4
	v_lshlrev_b64 v[0:1], v0, v[10:11]
	v_sub_u32_e32 v1, 29, v4
	v_and_b32_e32 v0, 7, v0
	v_cndmask_b32_e32 v1, v3, v1, vcc
	v_cndmask_b32_e32 v0, v2, v0, vcc
	v_lshlrev_b32_e32 v2, 24, v10
	v_bfrev_b32_e32 v3, 60
	v_lshlrev_b32_e32 v0, 20, v0
	v_and_b32_e32 v2, 0x80000000, v2
	v_lshl_add_u32 v1, v1, 23, v3
	v_or3_b32 v0, v2, v1, v0
	buffer_store_dword v0, off, s[48:51], 0 offset:80 ; 4-byte Folded Spill
.LBB327_169:                            ;   in Loop: Header=BB327_9 Depth=1
	s_or_b64 exec, exec, s[36:37]
.LBB327_170:                            ;   in Loop: Header=BB327_9 Depth=1
	s_or_b64 exec, exec, s[34:35]
.LBB327_171:                            ;   in Loop: Header=BB327_9 Depth=1
	s_or_b64 exec, exec, s[16:17]
	v_mov_b32_e32 v0, 0
	v_cmp_lt_u32_e32 vcc, s43, v9
	buffer_store_dword v0, off, s[48:51], 0 offset:84 ; 4-byte Folded Spill
	v_mov_b32_e32 v0, 0
	buffer_store_dword v0, off, s[48:51], 0 offset:148 ; 4-byte Folded Spill
	s_and_saveexec_b64 s[16:17], vcc
	s_cbranch_execz .LBB327_177
; %bb.172:                              ;   in Loop: Header=BB327_9 Depth=1
	v_lshrrev_b32_e32 v10, 24, v9
	v_cmp_ne_u32_e32 vcc, s41, v10
	v_bfrev_b32_e32 v0, 1
	buffer_store_dword v0, off, s[48:51], 0 offset:148 ; 4-byte Folded Spill
	s_and_saveexec_b64 s[34:35], vcc
	s_cbranch_execz .LBB327_176
; %bb.173:                              ;   in Loop: Header=BB327_9 Depth=1
	v_bfe_u32 v0, v9, 24, 7
	v_cmp_ne_u32_e32 vcc, s42, v0
	v_mov_b32_e32 v1, 0x7f800001
	s_and_saveexec_b64 s[36:37], vcc
	s_cbranch_execz .LBB327_175
; %bb.174:                              ;   in Loop: Header=BB327_9 Depth=1
	v_and_b32_e32 v2, 7, v10
	v_lshrrev_b32_e32 v3, 3, v0
	v_cmp_gt_u32_e32 vcc, 8, v0
	v_ffbh_u32_e32 v0, v2
	v_min_u32_e32 v4, 32, v0
	v_subrev_u32_e32 v0, 28, v4
	v_lshlrev_b64 v[0:1], v0, v[10:11]
	v_sub_u32_e32 v1, 29, v4
	v_and_b32_e32 v0, 7, v0
	v_cndmask_b32_e32 v1, v3, v1, vcc
	v_cndmask_b32_e32 v0, v2, v0, vcc
	v_lshlrev_b32_e32 v2, 24, v10
	v_bfrev_b32_e32 v3, 60
	v_lshlrev_b32_e32 v0, 20, v0
	v_and_b32_e32 v2, 0x80000000, v2
	v_lshl_add_u32 v1, v1, 23, v3
	v_or3_b32 v1, v2, v1, v0
.LBB327_175:                            ;   in Loop: Header=BB327_9 Depth=1
	s_or_b64 exec, exec, s[36:37]
	buffer_store_dword v1, off, s[48:51], 0 offset:148 ; 4-byte Folded Spill
.LBB327_176:                            ;   in Loop: Header=BB327_9 Depth=1
	s_or_b64 exec, exec, s[34:35]
.LBB327_177:                            ;   in Loop: Header=BB327_9 Depth=1
	s_or_b64 exec, exec, s[16:17]
	global_load_dword v9, v[7:8], off offset:1544
	v_mov_b32_e32 v0, 0
	s_waitcnt vmcnt(0)
	v_cmp_ne_u16_sdwa s[34:35], v9, v0 src0_sel:BYTE_0 src1_sel:DWORD
	s_and_saveexec_b64 s[16:17], s[34:35]
	s_cbranch_execz .LBB327_183
; %bb.178:                              ;   in Loop: Header=BB327_9 Depth=1
	v_cmp_ne_u16_sdwa s[36:37], v9, s41 src0_sel:BYTE_0 src1_sel:DWORD
	v_bfrev_b32_e32 v0, 1
	buffer_store_dword v0, off, s[48:51], 0 offset:84 ; 4-byte Folded Spill
	s_and_saveexec_b64 s[34:35], s[36:37]
	s_cbranch_execz .LBB327_182
; %bb.179:                              ;   in Loop: Header=BB327_9 Depth=1
	v_and_b32_e32 v0, 0x7f, v9
	v_cmp_ne_u32_e32 vcc, s42, v0
	v_mov_b32_e32 v1, 0x7f800001
	buffer_store_dword v1, off, s[48:51], 0 offset:84 ; 4-byte Folded Spill
	s_and_saveexec_b64 s[36:37], vcc
	s_cbranch_execz .LBB327_181
; %bb.180:                              ;   in Loop: Header=BB327_9 Depth=1
	v_and_b32_e32 v2, 7, v9
	v_lshrrev_b32_e32 v3, 3, v0
	v_cmp_gt_u32_e32 vcc, 8, v0
	v_ffbh_u32_e32 v0, v2
	v_min_u32_e32 v4, 32, v0
	v_subrev_u32_e32 v0, 28, v4
	v_lshlrev_b64 v[0:1], v0, v[9:10]
	v_sub_u32_e32 v1, 29, v4
	v_and_b32_e32 v0, 7, v0
	v_cndmask_b32_e32 v1, v3, v1, vcc
	v_cndmask_b32_e32 v0, v2, v0, vcc
	v_lshlrev_b32_e32 v2, 24, v9
	v_bfrev_b32_e32 v3, 60
	v_lshlrev_b32_e32 v0, 20, v0
	v_and_b32_e32 v2, 0x80000000, v2
	v_lshl_add_u32 v1, v1, 23, v3
	v_or3_b32 v0, v2, v1, v0
	buffer_store_dword v0, off, s[48:51], 0 offset:84 ; 4-byte Folded Spill
.LBB327_181:                            ;   in Loop: Header=BB327_9 Depth=1
	s_or_b64 exec, exec, s[36:37]
.LBB327_182:                            ;   in Loop: Header=BB327_9 Depth=1
	s_or_b64 exec, exec, s[34:35]
.LBB327_183:                            ;   in Loop: Header=BB327_9 Depth=1
	s_or_b64 exec, exec, s[16:17]
	v_lshrrev_b16_e32 v10, 8, v9
	v_mov_b32_e32 v0, 0
	v_cmp_ne_u16_e32 vcc, 0, v10
	buffer_store_dword v0, off, s[48:51], 0 offset:92 ; 4-byte Folded Spill
	v_mov_b32_e32 v0, 0
	buffer_store_dword v0, off, s[48:51], 0 offset:88 ; 4-byte Folded Spill
	s_and_saveexec_b64 s[16:17], vcc
	s_cbranch_execz .LBB327_189
; %bb.184:                              ;   in Loop: Header=BB327_9 Depth=1
	v_cmp_ne_u16_e32 vcc, s41, v10
	v_bfrev_b32_e32 v0, 1
	buffer_store_dword v0, off, s[48:51], 0 offset:88 ; 4-byte Folded Spill
	s_and_saveexec_b64 s[34:35], vcc
	s_cbranch_execz .LBB327_188
; %bb.185:                              ;   in Loop: Header=BB327_9 Depth=1
	v_and_b32_e32 v0, 0x7f, v10
	v_cmp_ne_u32_e32 vcc, s42, v0
	v_mov_b32_e32 v1, 0x7f800001
	buffer_store_dword v1, off, s[48:51], 0 offset:88 ; 4-byte Folded Spill
	s_and_saveexec_b64 s[36:37], vcc
	s_cbranch_execz .LBB327_187
; %bb.186:                              ;   in Loop: Header=BB327_9 Depth=1
	v_and_b32_e32 v2, 7, v10
	v_lshrrev_b32_e32 v3, 3, v0
	v_cmp_gt_u32_e32 vcc, 8, v0
	v_ffbh_u32_e32 v0, v2
	v_min_u32_e32 v4, 32, v0
	v_subrev_u32_e32 v0, 28, v4
	v_lshlrev_b64 v[0:1], v0, v[10:11]
	v_sub_u32_e32 v1, 29, v4
	v_and_b32_e32 v0, 7, v0
	v_cndmask_b32_e32 v1, v3, v1, vcc
	v_cndmask_b32_e32 v0, v2, v0, vcc
	v_lshlrev_b32_e32 v2, 16, v9
	v_bfrev_b32_e32 v3, 60
	v_lshlrev_b32_e32 v0, 20, v0
	v_and_b32_e32 v2, 0x80000000, v2
	v_lshl_add_u32 v1, v1, 23, v3
	v_or3_b32 v0, v2, v1, v0
	buffer_store_dword v0, off, s[48:51], 0 offset:88 ; 4-byte Folded Spill
.LBB327_187:                            ;   in Loop: Header=BB327_9 Depth=1
	s_or_b64 exec, exec, s[36:37]
.LBB327_188:                            ;   in Loop: Header=BB327_9 Depth=1
	s_or_b64 exec, exec, s[34:35]
.LBB327_189:                            ;   in Loop: Header=BB327_9 Depth=1
	s_or_b64 exec, exec, s[16:17]
	v_lshrrev_b32_e32 v10, 16, v9
	v_mov_b32_e32 v0, 0
	v_cmp_ne_u16_sdwa s[34:35], v10, v0 src0_sel:BYTE_0 src1_sel:DWORD
	s_and_saveexec_b64 s[16:17], s[34:35]
	s_cbranch_execz .LBB327_195
; %bb.190:                              ;   in Loop: Header=BB327_9 Depth=1
	v_cmp_ne_u16_sdwa s[36:37], v10, s41 src0_sel:BYTE_0 src1_sel:DWORD
	v_bfrev_b32_e32 v0, 1
	buffer_store_dword v0, off, s[48:51], 0 offset:92 ; 4-byte Folded Spill
	s_and_saveexec_b64 s[34:35], s[36:37]
	s_cbranch_execz .LBB327_194
; %bb.191:                              ;   in Loop: Header=BB327_9 Depth=1
	v_bfe_u32 v0, v9, 16, 7
	v_cmp_ne_u32_e32 vcc, s42, v0
	v_mov_b32_e32 v1, 0x7f800001
	buffer_store_dword v1, off, s[48:51], 0 offset:92 ; 4-byte Folded Spill
	s_and_saveexec_b64 s[36:37], vcc
	s_cbranch_execz .LBB327_193
; %bb.192:                              ;   in Loop: Header=BB327_9 Depth=1
	v_and_b32_e32 v2, 7, v10
	v_lshrrev_b32_e32 v3, 3, v0
	v_cmp_gt_u32_e32 vcc, 8, v0
	v_ffbh_u32_e32 v0, v2
	v_min_u32_e32 v4, 32, v0
	v_subrev_u32_e32 v0, 28, v4
	v_lshlrev_b64 v[0:1], v0, v[10:11]
	v_sub_u32_e32 v1, 29, v4
	v_and_b32_e32 v0, 7, v0
	v_cndmask_b32_e32 v1, v3, v1, vcc
	v_cndmask_b32_e32 v0, v2, v0, vcc
	v_lshlrev_b32_e32 v2, 24, v10
	v_bfrev_b32_e32 v3, 60
	v_lshlrev_b32_e32 v0, 20, v0
	v_and_b32_e32 v2, 0x80000000, v2
	v_lshl_add_u32 v1, v1, 23, v3
	v_or3_b32 v0, v2, v1, v0
	buffer_store_dword v0, off, s[48:51], 0 offset:92 ; 4-byte Folded Spill
.LBB327_193:                            ;   in Loop: Header=BB327_9 Depth=1
	s_or_b64 exec, exec, s[36:37]
.LBB327_194:                            ;   in Loop: Header=BB327_9 Depth=1
	s_or_b64 exec, exec, s[34:35]
.LBB327_195:                            ;   in Loop: Header=BB327_9 Depth=1
	s_or_b64 exec, exec, s[16:17]
	v_cmp_lt_u32_e32 vcc, s43, v9
	v_mov_b32_e32 v53, 0
	v_mov_b32_e32 v0, 0
	buffer_store_dword v0, off, s[48:51], 0 offset:152 ; 4-byte Folded Spill
	s_and_saveexec_b64 s[16:17], vcc
	s_cbranch_execz .LBB327_201
; %bb.196:                              ;   in Loop: Header=BB327_9 Depth=1
	v_lshrrev_b32_e32 v10, 24, v9
	v_cmp_ne_u32_e32 vcc, s41, v10
	v_bfrev_b32_e32 v0, 1
	buffer_store_dword v0, off, s[48:51], 0 offset:152 ; 4-byte Folded Spill
	s_and_saveexec_b64 s[34:35], vcc
	s_cbranch_execz .LBB327_200
; %bb.197:                              ;   in Loop: Header=BB327_9 Depth=1
	v_bfe_u32 v0, v9, 24, 7
	v_cmp_ne_u32_e32 vcc, s42, v0
	v_mov_b32_e32 v1, 0x7f800001
	s_and_saveexec_b64 s[36:37], vcc
	s_cbranch_execz .LBB327_199
; %bb.198:                              ;   in Loop: Header=BB327_9 Depth=1
	v_and_b32_e32 v2, 7, v10
	v_lshrrev_b32_e32 v3, 3, v0
	v_cmp_gt_u32_e32 vcc, 8, v0
	v_ffbh_u32_e32 v0, v2
	v_min_u32_e32 v4, 32, v0
	v_subrev_u32_e32 v0, 28, v4
	v_lshlrev_b64 v[0:1], v0, v[10:11]
	v_sub_u32_e32 v1, 29, v4
	v_and_b32_e32 v0, 7, v0
	v_cndmask_b32_e32 v1, v3, v1, vcc
	v_cndmask_b32_e32 v0, v2, v0, vcc
	v_lshlrev_b32_e32 v2, 24, v10
	v_bfrev_b32_e32 v3, 60
	v_lshlrev_b32_e32 v0, 20, v0
	v_and_b32_e32 v2, 0x80000000, v2
	v_lshl_add_u32 v1, v1, 23, v3
	v_or3_b32 v1, v2, v1, v0
.LBB327_199:                            ;   in Loop: Header=BB327_9 Depth=1
	s_or_b64 exec, exec, s[36:37]
	buffer_store_dword v1, off, s[48:51], 0 offset:152 ; 4-byte Folded Spill
.LBB327_200:                            ;   in Loop: Header=BB327_9 Depth=1
	s_or_b64 exec, exec, s[34:35]
.LBB327_201:                            ;   in Loop: Header=BB327_9 Depth=1
	s_or_b64 exec, exec, s[16:17]
	global_load_dword v9, v[7:8], off offset:2048
	v_mov_b32_e32 v0, 0
	s_waitcnt vmcnt(0)
	v_cmp_ne_u16_sdwa s[34:35], v9, v0 src0_sel:BYTE_0 src1_sel:DWORD
	s_and_saveexec_b64 s[16:17], s[34:35]
	s_cbranch_execz .LBB327_207
; %bb.202:                              ;   in Loop: Header=BB327_9 Depth=1
	v_cmp_ne_u16_sdwa s[36:37], v9, s41 src0_sel:BYTE_0 src1_sel:DWORD
	v_bfrev_b32_e32 v53, 1
	s_and_saveexec_b64 s[34:35], s[36:37]
	s_cbranch_execz .LBB327_206
; %bb.203:                              ;   in Loop: Header=BB327_9 Depth=1
	v_and_b32_e32 v0, 0x7f, v9
	v_cmp_ne_u32_e32 vcc, s42, v0
	v_mov_b32_e32 v53, 0x7f800001
	s_and_saveexec_b64 s[36:37], vcc
	s_cbranch_execz .LBB327_205
; %bb.204:                              ;   in Loop: Header=BB327_9 Depth=1
	v_and_b32_e32 v2, 7, v9
	v_lshrrev_b32_e32 v3, 3, v0
	v_cmp_gt_u32_e32 vcc, 8, v0
	v_ffbh_u32_e32 v0, v2
	v_min_u32_e32 v4, 32, v0
	v_subrev_u32_e32 v0, 28, v4
	v_lshlrev_b64 v[0:1], v0, v[9:10]
	v_sub_u32_e32 v1, 29, v4
	v_and_b32_e32 v0, 7, v0
	v_cndmask_b32_e32 v1, v3, v1, vcc
	v_cndmask_b32_e32 v0, v2, v0, vcc
	v_lshlrev_b32_e32 v2, 24, v9
	v_bfrev_b32_e32 v3, 60
	v_lshlrev_b32_e32 v0, 20, v0
	v_and_b32_e32 v2, 0x80000000, v2
	v_lshl_add_u32 v1, v1, 23, v3
	v_or3_b32 v53, v2, v1, v0
.LBB327_205:                            ;   in Loop: Header=BB327_9 Depth=1
	s_or_b64 exec, exec, s[36:37]
.LBB327_206:                            ;   in Loop: Header=BB327_9 Depth=1
	s_or_b64 exec, exec, s[34:35]
.LBB327_207:                            ;   in Loop: Header=BB327_9 Depth=1
	s_or_b64 exec, exec, s[16:17]
	v_lshrrev_b16_e32 v10, 8, v9
	v_mov_b32_e32 v0, 0
	v_cmp_ne_u16_e32 vcc, 0, v10
	buffer_store_dword v0, off, s[48:51], 0 offset:100 ; 4-byte Folded Spill
	v_mov_b32_e32 v0, 0
	buffer_store_dword v0, off, s[48:51], 0 offset:96 ; 4-byte Folded Spill
	s_and_saveexec_b64 s[16:17], vcc
	s_cbranch_execz .LBB327_213
; %bb.208:                              ;   in Loop: Header=BB327_9 Depth=1
	v_cmp_ne_u16_e32 vcc, s41, v10
	v_bfrev_b32_e32 v0, 1
	buffer_store_dword v0, off, s[48:51], 0 offset:96 ; 4-byte Folded Spill
	s_and_saveexec_b64 s[34:35], vcc
	s_cbranch_execz .LBB327_212
; %bb.209:                              ;   in Loop: Header=BB327_9 Depth=1
	v_and_b32_e32 v0, 0x7f, v10
	v_cmp_ne_u32_e32 vcc, s42, v0
	v_mov_b32_e32 v1, 0x7f800001
	buffer_store_dword v1, off, s[48:51], 0 offset:96 ; 4-byte Folded Spill
	s_and_saveexec_b64 s[36:37], vcc
	s_cbranch_execz .LBB327_211
; %bb.210:                              ;   in Loop: Header=BB327_9 Depth=1
	v_and_b32_e32 v2, 7, v10
	v_lshrrev_b32_e32 v3, 3, v0
	v_cmp_gt_u32_e32 vcc, 8, v0
	v_ffbh_u32_e32 v0, v2
	v_min_u32_e32 v4, 32, v0
	v_subrev_u32_e32 v0, 28, v4
	v_lshlrev_b64 v[0:1], v0, v[10:11]
	v_sub_u32_e32 v1, 29, v4
	v_and_b32_e32 v0, 7, v0
	v_cndmask_b32_e32 v1, v3, v1, vcc
	v_cndmask_b32_e32 v0, v2, v0, vcc
	v_lshlrev_b32_e32 v2, 16, v9
	v_bfrev_b32_e32 v3, 60
	v_lshlrev_b32_e32 v0, 20, v0
	v_and_b32_e32 v2, 0x80000000, v2
	v_lshl_add_u32 v1, v1, 23, v3
	v_or3_b32 v0, v2, v1, v0
	buffer_store_dword v0, off, s[48:51], 0 offset:96 ; 4-byte Folded Spill
.LBB327_211:                            ;   in Loop: Header=BB327_9 Depth=1
	s_or_b64 exec, exec, s[36:37]
.LBB327_212:                            ;   in Loop: Header=BB327_9 Depth=1
	s_or_b64 exec, exec, s[34:35]
.LBB327_213:                            ;   in Loop: Header=BB327_9 Depth=1
	s_or_b64 exec, exec, s[16:17]
	v_lshrrev_b32_e32 v10, 16, v9
	v_mov_b32_e32 v0, 0
	v_cmp_ne_u16_sdwa s[34:35], v10, v0 src0_sel:BYTE_0 src1_sel:DWORD
	s_and_saveexec_b64 s[16:17], s[34:35]
	s_cbranch_execz .LBB327_219
; %bb.214:                              ;   in Loop: Header=BB327_9 Depth=1
	v_cmp_ne_u16_sdwa s[36:37], v10, s41 src0_sel:BYTE_0 src1_sel:DWORD
	v_bfrev_b32_e32 v0, 1
	buffer_store_dword v0, off, s[48:51], 0 offset:100 ; 4-byte Folded Spill
	s_and_saveexec_b64 s[34:35], s[36:37]
	s_cbranch_execz .LBB327_218
; %bb.215:                              ;   in Loop: Header=BB327_9 Depth=1
	v_bfe_u32 v0, v9, 16, 7
	v_cmp_ne_u32_e32 vcc, s42, v0
	v_mov_b32_e32 v1, 0x7f800001
	buffer_store_dword v1, off, s[48:51], 0 offset:100 ; 4-byte Folded Spill
	s_and_saveexec_b64 s[36:37], vcc
	s_cbranch_execz .LBB327_217
; %bb.216:                              ;   in Loop: Header=BB327_9 Depth=1
	v_and_b32_e32 v2, 7, v10
	v_lshrrev_b32_e32 v3, 3, v0
	v_cmp_gt_u32_e32 vcc, 8, v0
	v_ffbh_u32_e32 v0, v2
	v_min_u32_e32 v4, 32, v0
	v_subrev_u32_e32 v0, 28, v4
	v_lshlrev_b64 v[0:1], v0, v[10:11]
	v_sub_u32_e32 v1, 29, v4
	v_and_b32_e32 v0, 7, v0
	v_cndmask_b32_e32 v1, v3, v1, vcc
	v_cndmask_b32_e32 v0, v2, v0, vcc
	v_lshlrev_b32_e32 v2, 24, v10
	v_bfrev_b32_e32 v3, 60
	v_lshlrev_b32_e32 v0, 20, v0
	v_and_b32_e32 v2, 0x80000000, v2
	v_lshl_add_u32 v1, v1, 23, v3
	v_or3_b32 v0, v2, v1, v0
	buffer_store_dword v0, off, s[48:51], 0 offset:100 ; 4-byte Folded Spill
.LBB327_217:                            ;   in Loop: Header=BB327_9 Depth=1
	s_or_b64 exec, exec, s[36:37]
.LBB327_218:                            ;   in Loop: Header=BB327_9 Depth=1
	s_or_b64 exec, exec, s[34:35]
.LBB327_219:                            ;   in Loop: Header=BB327_9 Depth=1
	s_or_b64 exec, exec, s[16:17]
	v_mov_b32_e32 v0, 0
	v_cmp_lt_u32_e32 vcc, s43, v9
	buffer_store_dword v0, off, s[48:51], 0 offset:104 ; 4-byte Folded Spill
	v_mov_b32_e32 v0, 0
	buffer_store_dword v0, off, s[48:51], 0 offset:156 ; 4-byte Folded Spill
	s_and_saveexec_b64 s[16:17], vcc
	s_cbranch_execz .LBB327_225
; %bb.220:                              ;   in Loop: Header=BB327_9 Depth=1
	v_lshrrev_b32_e32 v10, 24, v9
	v_cmp_ne_u32_e32 vcc, s41, v10
	v_bfrev_b32_e32 v0, 1
	buffer_store_dword v0, off, s[48:51], 0 offset:156 ; 4-byte Folded Spill
	s_and_saveexec_b64 s[34:35], vcc
	s_cbranch_execz .LBB327_224
; %bb.221:                              ;   in Loop: Header=BB327_9 Depth=1
	v_bfe_u32 v0, v9, 24, 7
	v_cmp_ne_u32_e32 vcc, s42, v0
	v_mov_b32_e32 v1, 0x7f800001
	s_and_saveexec_b64 s[36:37], vcc
	s_cbranch_execz .LBB327_223
; %bb.222:                              ;   in Loop: Header=BB327_9 Depth=1
	v_and_b32_e32 v2, 7, v10
	v_lshrrev_b32_e32 v3, 3, v0
	v_cmp_gt_u32_e32 vcc, 8, v0
	v_ffbh_u32_e32 v0, v2
	v_min_u32_e32 v4, 32, v0
	v_subrev_u32_e32 v0, 28, v4
	v_lshlrev_b64 v[0:1], v0, v[10:11]
	v_sub_u32_e32 v1, 29, v4
	v_and_b32_e32 v0, 7, v0
	v_cndmask_b32_e32 v1, v3, v1, vcc
	v_cndmask_b32_e32 v0, v2, v0, vcc
	v_lshlrev_b32_e32 v2, 24, v10
	v_bfrev_b32_e32 v3, 60
	v_lshlrev_b32_e32 v0, 20, v0
	v_and_b32_e32 v2, 0x80000000, v2
	v_lshl_add_u32 v1, v1, 23, v3
	v_or3_b32 v1, v2, v1, v0
.LBB327_223:                            ;   in Loop: Header=BB327_9 Depth=1
	s_or_b64 exec, exec, s[36:37]
	buffer_store_dword v1, off, s[48:51], 0 offset:156 ; 4-byte Folded Spill
.LBB327_224:                            ;   in Loop: Header=BB327_9 Depth=1
	s_or_b64 exec, exec, s[34:35]
.LBB327_225:                            ;   in Loop: Header=BB327_9 Depth=1
	s_or_b64 exec, exec, s[16:17]
	global_load_dword v9, v[7:8], off offset:2056
	v_mov_b32_e32 v0, 0
	s_waitcnt vmcnt(0)
	v_cmp_ne_u16_sdwa s[34:35], v9, v0 src0_sel:BYTE_0 src1_sel:DWORD
	s_and_saveexec_b64 s[16:17], s[34:35]
	s_cbranch_execz .LBB327_231
; %bb.226:                              ;   in Loop: Header=BB327_9 Depth=1
	v_cmp_ne_u16_sdwa s[36:37], v9, s41 src0_sel:BYTE_0 src1_sel:DWORD
	v_bfrev_b32_e32 v0, 1
	buffer_store_dword v0, off, s[48:51], 0 offset:104 ; 4-byte Folded Spill
	s_and_saveexec_b64 s[34:35], s[36:37]
	s_cbranch_execz .LBB327_230
; %bb.227:                              ;   in Loop: Header=BB327_9 Depth=1
	v_and_b32_e32 v0, 0x7f, v9
	v_cmp_ne_u32_e32 vcc, s42, v0
	v_mov_b32_e32 v1, 0x7f800001
	buffer_store_dword v1, off, s[48:51], 0 offset:104 ; 4-byte Folded Spill
	s_and_saveexec_b64 s[36:37], vcc
	s_cbranch_execz .LBB327_229
; %bb.228:                              ;   in Loop: Header=BB327_9 Depth=1
	v_and_b32_e32 v2, 7, v9
	v_lshrrev_b32_e32 v3, 3, v0
	v_cmp_gt_u32_e32 vcc, 8, v0
	v_ffbh_u32_e32 v0, v2
	v_min_u32_e32 v4, 32, v0
	v_subrev_u32_e32 v0, 28, v4
	v_lshlrev_b64 v[0:1], v0, v[9:10]
	v_sub_u32_e32 v1, 29, v4
	v_and_b32_e32 v0, 7, v0
	v_cndmask_b32_e32 v1, v3, v1, vcc
	v_cndmask_b32_e32 v0, v2, v0, vcc
	v_lshlrev_b32_e32 v2, 24, v9
	v_bfrev_b32_e32 v3, 60
	v_lshlrev_b32_e32 v0, 20, v0
	v_and_b32_e32 v2, 0x80000000, v2
	v_lshl_add_u32 v1, v1, 23, v3
	v_or3_b32 v0, v2, v1, v0
	buffer_store_dword v0, off, s[48:51], 0 offset:104 ; 4-byte Folded Spill
.LBB327_229:                            ;   in Loop: Header=BB327_9 Depth=1
	s_or_b64 exec, exec, s[36:37]
.LBB327_230:                            ;   in Loop: Header=BB327_9 Depth=1
	s_or_b64 exec, exec, s[34:35]
.LBB327_231:                            ;   in Loop: Header=BB327_9 Depth=1
	s_or_b64 exec, exec, s[16:17]
	v_lshrrev_b16_e32 v10, 8, v9
	v_cmp_ne_u16_e32 vcc, 0, v10
	v_mov_b32_e32 v54, 0
	v_mov_b32_e32 v0, 0
	buffer_store_dword v0, off, s[48:51], 0 offset:108 ; 4-byte Folded Spill
	s_and_saveexec_b64 s[16:17], vcc
	s_cbranch_execz .LBB327_237
; %bb.232:                              ;   in Loop: Header=BB327_9 Depth=1
	v_cmp_ne_u16_e32 vcc, s41, v10
	v_bfrev_b32_e32 v0, 1
	buffer_store_dword v0, off, s[48:51], 0 offset:108 ; 4-byte Folded Spill
	s_and_saveexec_b64 s[34:35], vcc
	s_cbranch_execz .LBB327_236
; %bb.233:                              ;   in Loop: Header=BB327_9 Depth=1
	v_and_b32_e32 v0, 0x7f, v10
	v_cmp_ne_u32_e32 vcc, s42, v0
	v_mov_b32_e32 v1, 0x7f800001
	buffer_store_dword v1, off, s[48:51], 0 offset:108 ; 4-byte Folded Spill
	s_and_saveexec_b64 s[36:37], vcc
	s_cbranch_execz .LBB327_235
; %bb.234:                              ;   in Loop: Header=BB327_9 Depth=1
	v_and_b32_e32 v2, 7, v10
	v_lshrrev_b32_e32 v3, 3, v0
	v_cmp_gt_u32_e32 vcc, 8, v0
	v_ffbh_u32_e32 v0, v2
	v_min_u32_e32 v4, 32, v0
	v_subrev_u32_e32 v0, 28, v4
	v_lshlrev_b64 v[0:1], v0, v[10:11]
	v_sub_u32_e32 v1, 29, v4
	v_and_b32_e32 v0, 7, v0
	v_cndmask_b32_e32 v1, v3, v1, vcc
	v_cndmask_b32_e32 v0, v2, v0, vcc
	v_lshlrev_b32_e32 v2, 16, v9
	v_bfrev_b32_e32 v3, 60
	v_lshlrev_b32_e32 v0, 20, v0
	v_and_b32_e32 v2, 0x80000000, v2
	v_lshl_add_u32 v1, v1, 23, v3
	v_or3_b32 v0, v2, v1, v0
	buffer_store_dword v0, off, s[48:51], 0 offset:108 ; 4-byte Folded Spill
.LBB327_235:                            ;   in Loop: Header=BB327_9 Depth=1
	s_or_b64 exec, exec, s[36:37]
.LBB327_236:                            ;   in Loop: Header=BB327_9 Depth=1
	s_or_b64 exec, exec, s[34:35]
.LBB327_237:                            ;   in Loop: Header=BB327_9 Depth=1
	s_or_b64 exec, exec, s[16:17]
	v_lshrrev_b32_e32 v10, 16, v9
	v_mov_b32_e32 v0, 0
	v_cmp_ne_u16_sdwa s[34:35], v10, v0 src0_sel:BYTE_0 src1_sel:DWORD
	s_and_saveexec_b64 s[16:17], s[34:35]
	s_cbranch_execz .LBB327_243
; %bb.238:                              ;   in Loop: Header=BB327_9 Depth=1
	v_cmp_ne_u16_sdwa s[36:37], v10, s41 src0_sel:BYTE_0 src1_sel:DWORD
	v_bfrev_b32_e32 v54, 1
	s_and_saveexec_b64 s[34:35], s[36:37]
	s_cbranch_execz .LBB327_242
; %bb.239:                              ;   in Loop: Header=BB327_9 Depth=1
	v_bfe_u32 v0, v9, 16, 7
	v_cmp_ne_u32_e32 vcc, s42, v0
	v_mov_b32_e32 v54, 0x7f800001
	s_and_saveexec_b64 s[36:37], vcc
	s_cbranch_execz .LBB327_241
; %bb.240:                              ;   in Loop: Header=BB327_9 Depth=1
	v_and_b32_e32 v2, 7, v10
	v_lshrrev_b32_e32 v3, 3, v0
	v_cmp_gt_u32_e32 vcc, 8, v0
	v_ffbh_u32_e32 v0, v2
	v_min_u32_e32 v4, 32, v0
	v_subrev_u32_e32 v0, 28, v4
	v_lshlrev_b64 v[0:1], v0, v[10:11]
	v_sub_u32_e32 v1, 29, v4
	v_and_b32_e32 v0, 7, v0
	v_cndmask_b32_e32 v1, v3, v1, vcc
	v_cndmask_b32_e32 v0, v2, v0, vcc
	v_lshlrev_b32_e32 v2, 24, v10
	v_bfrev_b32_e32 v3, 60
	v_lshlrev_b32_e32 v0, 20, v0
	v_and_b32_e32 v2, 0x80000000, v2
	v_lshl_add_u32 v1, v1, 23, v3
	v_or3_b32 v54, v2, v1, v0
.LBB327_241:                            ;   in Loop: Header=BB327_9 Depth=1
	s_or_b64 exec, exec, s[36:37]
.LBB327_242:                            ;   in Loop: Header=BB327_9 Depth=1
	s_or_b64 exec, exec, s[34:35]
.LBB327_243:                            ;   in Loop: Header=BB327_9 Depth=1
	s_or_b64 exec, exec, s[16:17]
	v_cmp_lt_u32_e32 vcc, s43, v9
	v_mov_b32_e32 v12, 0
	v_mov_b32_e32 v58, 0
	s_and_saveexec_b64 s[16:17], vcc
	s_cbranch_execz .LBB327_249
; %bb.244:                              ;   in Loop: Header=BB327_9 Depth=1
	v_lshrrev_b32_e32 v10, 24, v9
	v_cmp_ne_u32_e32 vcc, s41, v10
	v_bfrev_b32_e32 v58, 1
	s_and_saveexec_b64 s[34:35], vcc
	s_cbranch_execz .LBB327_248
; %bb.245:                              ;   in Loop: Header=BB327_9 Depth=1
	v_bfe_u32 v0, v9, 24, 7
	v_cmp_ne_u32_e32 vcc, s42, v0
	v_mov_b32_e32 v58, 0x7f800001
	s_and_saveexec_b64 s[36:37], vcc
	s_cbranch_execz .LBB327_247
; %bb.246:                              ;   in Loop: Header=BB327_9 Depth=1
	v_and_b32_e32 v2, 7, v10
	v_lshrrev_b32_e32 v3, 3, v0
	v_cmp_gt_u32_e32 vcc, 8, v0
	v_ffbh_u32_e32 v0, v2
	v_min_u32_e32 v4, 32, v0
	v_subrev_u32_e32 v0, 28, v4
	v_lshlrev_b64 v[0:1], v0, v[10:11]
	v_sub_u32_e32 v1, 29, v4
	v_and_b32_e32 v0, 7, v0
	v_cndmask_b32_e32 v1, v3, v1, vcc
	v_cndmask_b32_e32 v0, v2, v0, vcc
	v_lshlrev_b32_e32 v2, 24, v10
	v_bfrev_b32_e32 v3, 60
	v_lshlrev_b32_e32 v0, 20, v0
	v_and_b32_e32 v2, 0x80000000, v2
	v_lshl_add_u32 v1, v1, 23, v3
	v_or3_b32 v58, v2, v1, v0
.LBB327_247:                            ;   in Loop: Header=BB327_9 Depth=1
	s_or_b64 exec, exec, s[36:37]
.LBB327_248:                            ;   in Loop: Header=BB327_9 Depth=1
	s_or_b64 exec, exec, s[34:35]
.LBB327_249:                            ;   in Loop: Header=BB327_9 Depth=1
	s_or_b64 exec, exec, s[16:17]
	global_load_dword v9, v[7:8], off offset:2560
	v_mov_b32_e32 v0, 0
	s_waitcnt vmcnt(0)
	v_cmp_ne_u16_sdwa s[34:35], v9, v0 src0_sel:BYTE_0 src1_sel:DWORD
	s_and_saveexec_b64 s[16:17], s[34:35]
	s_cbranch_execz .LBB327_255
; %bb.250:                              ;   in Loop: Header=BB327_9 Depth=1
	v_cmp_ne_u16_sdwa s[36:37], v9, s41 src0_sel:BYTE_0 src1_sel:DWORD
	v_bfrev_b32_e32 v12, 1
	s_and_saveexec_b64 s[34:35], s[36:37]
	s_cbranch_execz .LBB327_254
; %bb.251:                              ;   in Loop: Header=BB327_9 Depth=1
	v_and_b32_e32 v0, 0x7f, v9
	v_cmp_ne_u32_e32 vcc, s42, v0
	v_mov_b32_e32 v12, 0x7f800001
	s_and_saveexec_b64 s[36:37], vcc
	s_cbranch_execz .LBB327_253
; %bb.252:                              ;   in Loop: Header=BB327_9 Depth=1
	v_and_b32_e32 v2, 7, v9
	v_lshrrev_b32_e32 v3, 3, v0
	v_cmp_gt_u32_e32 vcc, 8, v0
	v_ffbh_u32_e32 v0, v2
	v_min_u32_e32 v4, 32, v0
	v_subrev_u32_e32 v0, 28, v4
	v_lshlrev_b64 v[0:1], v0, v[9:10]
	v_sub_u32_e32 v1, 29, v4
	v_and_b32_e32 v0, 7, v0
	v_cndmask_b32_e32 v1, v3, v1, vcc
	v_cndmask_b32_e32 v0, v2, v0, vcc
	v_lshlrev_b32_e32 v2, 24, v9
	v_bfrev_b32_e32 v3, 60
	v_lshlrev_b32_e32 v0, 20, v0
	v_and_b32_e32 v2, 0x80000000, v2
	v_lshl_add_u32 v1, v1, 23, v3
	v_or3_b32 v12, v2, v1, v0
.LBB327_253:                            ;   in Loop: Header=BB327_9 Depth=1
	s_or_b64 exec, exec, s[36:37]
.LBB327_254:                            ;   in Loop: Header=BB327_9 Depth=1
	s_or_b64 exec, exec, s[34:35]
.LBB327_255:                            ;   in Loop: Header=BB327_9 Depth=1
	s_or_b64 exec, exec, s[16:17]
	v_lshrrev_b16_e32 v10, 8, v9
	v_cmp_ne_u16_e32 vcc, 0, v10
	v_mov_b32_e32 v62, 0
	v_mov_b32_e32 v59, 0
	s_and_saveexec_b64 s[16:17], vcc
	s_cbranch_execz .LBB327_261
; %bb.256:                              ;   in Loop: Header=BB327_9 Depth=1
	v_cmp_ne_u16_e32 vcc, s41, v10
	v_bfrev_b32_e32 v59, 1
	s_and_saveexec_b64 s[34:35], vcc
	s_cbranch_execz .LBB327_260
; %bb.257:                              ;   in Loop: Header=BB327_9 Depth=1
	v_and_b32_e32 v0, 0x7f, v10
	v_cmp_ne_u32_e32 vcc, s42, v0
	v_mov_b32_e32 v59, 0x7f800001
	s_and_saveexec_b64 s[36:37], vcc
	s_cbranch_execz .LBB327_259
; %bb.258:                              ;   in Loop: Header=BB327_9 Depth=1
	v_and_b32_e32 v2, 7, v10
	v_lshrrev_b32_e32 v3, 3, v0
	v_cmp_gt_u32_e32 vcc, 8, v0
	v_ffbh_u32_e32 v0, v2
	v_min_u32_e32 v4, 32, v0
	v_subrev_u32_e32 v0, 28, v4
	v_lshlrev_b64 v[0:1], v0, v[10:11]
	v_sub_u32_e32 v1, 29, v4
	v_and_b32_e32 v0, 7, v0
	v_cndmask_b32_e32 v1, v3, v1, vcc
	v_cndmask_b32_e32 v0, v2, v0, vcc
	v_lshlrev_b32_e32 v2, 16, v9
	v_bfrev_b32_e32 v3, 60
	v_lshlrev_b32_e32 v0, 20, v0
	v_and_b32_e32 v2, 0x80000000, v2
	v_lshl_add_u32 v1, v1, 23, v3
	v_or3_b32 v59, v2, v1, v0
.LBB327_259:                            ;   in Loop: Header=BB327_9 Depth=1
	s_or_b64 exec, exec, s[36:37]
.LBB327_260:                            ;   in Loop: Header=BB327_9 Depth=1
	s_or_b64 exec, exec, s[34:35]
.LBB327_261:                            ;   in Loop: Header=BB327_9 Depth=1
	s_or_b64 exec, exec, s[16:17]
	v_lshrrev_b32_e32 v10, 16, v9
	v_mov_b32_e32 v0, 0
	v_cmp_ne_u16_sdwa s[34:35], v10, v0 src0_sel:BYTE_0 src1_sel:DWORD
	s_and_saveexec_b64 s[16:17], s[34:35]
	s_cbranch_execz .LBB327_267
; %bb.262:                              ;   in Loop: Header=BB327_9 Depth=1
	v_cmp_ne_u16_sdwa s[36:37], v10, s41 src0_sel:BYTE_0 src1_sel:DWORD
	v_bfrev_b32_e32 v62, 1
	s_and_saveexec_b64 s[34:35], s[36:37]
	s_cbranch_execz .LBB327_266
; %bb.263:                              ;   in Loop: Header=BB327_9 Depth=1
	v_bfe_u32 v0, v9, 16, 7
	v_cmp_ne_u32_e32 vcc, s42, v0
	v_mov_b32_e32 v62, 0x7f800001
	s_and_saveexec_b64 s[36:37], vcc
	s_cbranch_execz .LBB327_265
; %bb.264:                              ;   in Loop: Header=BB327_9 Depth=1
	v_and_b32_e32 v2, 7, v10
	v_lshrrev_b32_e32 v3, 3, v0
	v_cmp_gt_u32_e32 vcc, 8, v0
	v_ffbh_u32_e32 v0, v2
	v_min_u32_e32 v4, 32, v0
	v_subrev_u32_e32 v0, 28, v4
	v_lshlrev_b64 v[0:1], v0, v[10:11]
	v_sub_u32_e32 v1, 29, v4
	v_and_b32_e32 v0, 7, v0
	v_cndmask_b32_e32 v1, v3, v1, vcc
	v_cndmask_b32_e32 v0, v2, v0, vcc
	v_lshlrev_b32_e32 v2, 24, v10
	v_bfrev_b32_e32 v3, 60
	v_lshlrev_b32_e32 v0, 20, v0
	v_and_b32_e32 v2, 0x80000000, v2
	v_lshl_add_u32 v1, v1, 23, v3
	v_or3_b32 v62, v2, v1, v0
.LBB327_265:                            ;   in Loop: Header=BB327_9 Depth=1
	s_or_b64 exec, exec, s[36:37]
.LBB327_266:                            ;   in Loop: Header=BB327_9 Depth=1
	s_or_b64 exec, exec, s[34:35]
.LBB327_267:                            ;   in Loop: Header=BB327_9 Depth=1
	s_or_b64 exec, exec, s[16:17]
	v_cmp_lt_u32_e32 vcc, s43, v9
	v_mov_b32_e32 v60, 0
	v_mov_b32_e32 v15, 0
	s_and_saveexec_b64 s[16:17], vcc
	s_cbranch_execz .LBB327_273
; %bb.268:                              ;   in Loop: Header=BB327_9 Depth=1
	v_lshrrev_b32_e32 v10, 24, v9
	v_cmp_ne_u32_e32 vcc, s41, v10
	v_bfrev_b32_e32 v15, 1
	s_and_saveexec_b64 s[34:35], vcc
	s_cbranch_execz .LBB327_272
; %bb.269:                              ;   in Loop: Header=BB327_9 Depth=1
	v_bfe_u32 v0, v9, 24, 7
	v_cmp_ne_u32_e32 vcc, s42, v0
	v_mov_b32_e32 v15, 0x7f800001
	s_and_saveexec_b64 s[36:37], vcc
	s_cbranch_execz .LBB327_271
; %bb.270:                              ;   in Loop: Header=BB327_9 Depth=1
	v_and_b32_e32 v2, 7, v10
	v_lshrrev_b32_e32 v3, 3, v0
	v_cmp_gt_u32_e32 vcc, 8, v0
	v_ffbh_u32_e32 v0, v2
	v_min_u32_e32 v4, 32, v0
	v_subrev_u32_e32 v0, 28, v4
	v_lshlrev_b64 v[0:1], v0, v[10:11]
	v_sub_u32_e32 v1, 29, v4
	v_and_b32_e32 v0, 7, v0
	v_cndmask_b32_e32 v1, v3, v1, vcc
	v_cndmask_b32_e32 v0, v2, v0, vcc
	v_lshlrev_b32_e32 v2, 24, v10
	v_bfrev_b32_e32 v3, 60
	v_lshlrev_b32_e32 v0, 20, v0
	v_and_b32_e32 v2, 0x80000000, v2
	v_lshl_add_u32 v1, v1, 23, v3
	v_or3_b32 v15, v2, v1, v0
.LBB327_271:                            ;   in Loop: Header=BB327_9 Depth=1
	s_or_b64 exec, exec, s[36:37]
.LBB327_272:                            ;   in Loop: Header=BB327_9 Depth=1
	s_or_b64 exec, exec, s[34:35]
.LBB327_273:                            ;   in Loop: Header=BB327_9 Depth=1
	s_or_b64 exec, exec, s[16:17]
	global_load_dword v9, v[7:8], off offset:2568
	v_mov_b32_e32 v0, 0
	s_waitcnt vmcnt(0)
	v_cmp_ne_u16_sdwa s[34:35], v9, v0 src0_sel:BYTE_0 src1_sel:DWORD
	s_and_saveexec_b64 s[16:17], s[34:35]
	s_cbranch_execz .LBB327_279
; %bb.274:                              ;   in Loop: Header=BB327_9 Depth=1
	v_cmp_ne_u16_sdwa s[36:37], v9, s41 src0_sel:BYTE_0 src1_sel:DWORD
	v_bfrev_b32_e32 v60, 1
	s_and_saveexec_b64 s[34:35], s[36:37]
	s_cbranch_execz .LBB327_278
; %bb.275:                              ;   in Loop: Header=BB327_9 Depth=1
	v_and_b32_e32 v0, 0x7f, v9
	v_cmp_ne_u32_e32 vcc, s42, v0
	v_mov_b32_e32 v60, 0x7f800001
	s_and_saveexec_b64 s[36:37], vcc
	s_cbranch_execz .LBB327_277
; %bb.276:                              ;   in Loop: Header=BB327_9 Depth=1
	v_and_b32_e32 v2, 7, v9
	v_lshrrev_b32_e32 v3, 3, v0
	v_cmp_gt_u32_e32 vcc, 8, v0
	v_ffbh_u32_e32 v0, v2
	v_min_u32_e32 v4, 32, v0
	v_subrev_u32_e32 v0, 28, v4
	v_lshlrev_b64 v[0:1], v0, v[9:10]
	v_sub_u32_e32 v1, 29, v4
	v_and_b32_e32 v0, 7, v0
	v_cndmask_b32_e32 v1, v3, v1, vcc
	v_cndmask_b32_e32 v0, v2, v0, vcc
	v_lshlrev_b32_e32 v2, 24, v9
	v_bfrev_b32_e32 v3, 60
	v_lshlrev_b32_e32 v0, 20, v0
	v_and_b32_e32 v2, 0x80000000, v2
	v_lshl_add_u32 v1, v1, 23, v3
	v_or3_b32 v60, v2, v1, v0
.LBB327_277:                            ;   in Loop: Header=BB327_9 Depth=1
	s_or_b64 exec, exec, s[36:37]
.LBB327_278:                            ;   in Loop: Header=BB327_9 Depth=1
	s_or_b64 exec, exec, s[34:35]
.LBB327_279:                            ;   in Loop: Header=BB327_9 Depth=1
	s_or_b64 exec, exec, s[16:17]
	v_lshrrev_b16_e32 v10, 8, v9
	v_cmp_ne_u16_e32 vcc, 0, v10
	v_mov_b32_e32 v2, 0
	v_mov_b32_e32 v47, 0
	s_and_saveexec_b64 s[16:17], vcc
	s_cbranch_execz .LBB327_285
; %bb.280:                              ;   in Loop: Header=BB327_9 Depth=1
	v_cmp_ne_u16_e32 vcc, s41, v10
	v_bfrev_b32_e32 v47, 1
	s_and_saveexec_b64 s[34:35], vcc
	s_cbranch_execz .LBB327_284
; %bb.281:                              ;   in Loop: Header=BB327_9 Depth=1
	v_and_b32_e32 v0, 0x7f, v10
	v_cmp_ne_u32_e32 vcc, s42, v0
	v_mov_b32_e32 v47, 0x7f800001
	s_and_saveexec_b64 s[36:37], vcc
	s_cbranch_execz .LBB327_283
; %bb.282:                              ;   in Loop: Header=BB327_9 Depth=1
	v_and_b32_e32 v3, 7, v10
	v_lshrrev_b32_e32 v4, 3, v0
	v_cmp_gt_u32_e32 vcc, 8, v0
	v_ffbh_u32_e32 v0, v3
	v_min_u32_e32 v11, 32, v0
	v_subrev_u32_e32 v0, 28, v11
	v_lshlrev_b64 v[0:1], v0, v[10:11]
	v_sub_u32_e32 v1, 29, v11
	v_and_b32_e32 v0, 7, v0
	v_cndmask_b32_e32 v1, v4, v1, vcc
	v_cndmask_b32_e32 v0, v3, v0, vcc
	v_lshlrev_b32_e32 v3, 16, v9
	v_bfrev_b32_e32 v4, 60
	v_lshlrev_b32_e32 v0, 20, v0
	v_and_b32_e32 v3, 0x80000000, v3
	v_lshl_add_u32 v1, v1, 23, v4
	v_or3_b32 v47, v3, v1, v0
.LBB327_283:                            ;   in Loop: Header=BB327_9 Depth=1
	s_or_b64 exec, exec, s[36:37]
.LBB327_284:                            ;   in Loop: Header=BB327_9 Depth=1
	s_or_b64 exec, exec, s[34:35]
.LBB327_285:                            ;   in Loop: Header=BB327_9 Depth=1
	s_or_b64 exec, exec, s[16:17]
	v_lshrrev_b32_e32 v10, 16, v9
	v_mov_b32_e32 v0, 0
	v_cmp_ne_u16_sdwa s[34:35], v10, v0 src0_sel:BYTE_0 src1_sel:DWORD
	s_and_saveexec_b64 s[16:17], s[34:35]
	s_cbranch_execz .LBB327_291
; %bb.286:                              ;   in Loop: Header=BB327_9 Depth=1
	v_cmp_ne_u16_sdwa s[36:37], v10, s41 src0_sel:BYTE_0 src1_sel:DWORD
	v_bfrev_b32_e32 v2, 1
	s_and_saveexec_b64 s[34:35], s[36:37]
	s_cbranch_execz .LBB327_290
; %bb.287:                              ;   in Loop: Header=BB327_9 Depth=1
	v_bfe_u32 v0, v9, 16, 7
	v_cmp_ne_u32_e32 vcc, s42, v0
	v_mov_b32_e32 v2, 0x7f800001
	s_and_saveexec_b64 s[36:37], vcc
	s_cbranch_execz .LBB327_289
; %bb.288:                              ;   in Loop: Header=BB327_9 Depth=1
	v_and_b32_e32 v4, 7, v10
	v_lshrrev_b32_e32 v11, 3, v0
	v_cmp_gt_u32_e32 vcc, 8, v0
	v_ffbh_u32_e32 v0, v4
	v_min_u32_e32 v0, 32, v0
	v_subrev_u32_e32 v2, 28, v0
	v_lshlrev_b64 v[2:3], v2, v[10:11]
	v_sub_u32_e32 v0, 29, v0
	v_and_b32_e32 v2, 7, v2
	v_cndmask_b32_e32 v0, v11, v0, vcc
	v_cndmask_b32_e32 v2, v4, v2, vcc
	v_lshlrev_b32_e32 v3, 24, v10
	v_bfrev_b32_e32 v4, 60
	v_lshlrev_b32_e32 v2, 20, v2
	v_and_b32_e32 v3, 0x80000000, v3
	v_lshl_add_u32 v0, v0, 23, v4
	v_or3_b32 v2, v3, v0, v2
.LBB327_289:                            ;   in Loop: Header=BB327_9 Depth=1
	s_or_b64 exec, exec, s[36:37]
.LBB327_290:                            ;   in Loop: Header=BB327_9 Depth=1
	s_or_b64 exec, exec, s[34:35]
.LBB327_291:                            ;   in Loop: Header=BB327_9 Depth=1
	s_or_b64 exec, exec, s[16:17]
	v_mov_b32_e32 v0, 0
	v_cmp_lt_u32_e32 vcc, s43, v9
	buffer_store_dword v0, off, s[48:51], 0 offset:116 ; 4-byte Folded Spill
	v_mov_b32_e32 v0, 0
	buffer_store_dword v0, off, s[48:51], 0 offset:160 ; 4-byte Folded Spill
	s_and_saveexec_b64 s[16:17], vcc
	s_cbranch_execz .LBB327_297
; %bb.292:                              ;   in Loop: Header=BB327_9 Depth=1
	v_lshrrev_b32_e32 v10, 24, v9
	v_cmp_ne_u32_e32 vcc, s41, v10
	v_bfrev_b32_e32 v0, 1
	buffer_store_dword v0, off, s[48:51], 0 offset:160 ; 4-byte Folded Spill
	s_and_saveexec_b64 s[34:35], vcc
	s_cbranch_execz .LBB327_296
; %bb.293:                              ;   in Loop: Header=BB327_9 Depth=1
	v_bfe_u32 v0, v9, 24, 7
	v_cmp_ne_u32_e32 vcc, s42, v0
	v_mov_b32_e32 v1, 0x7f800001
	s_and_saveexec_b64 s[36:37], vcc
	s_cbranch_execz .LBB327_295
; %bb.294:                              ;   in Loop: Header=BB327_9 Depth=1
	v_and_b32_e32 v9, 7, v10
	v_lshrrev_b32_e32 v11, 3, v0
	v_cmp_gt_u32_e32 vcc, 8, v0
	v_ffbh_u32_e32 v0, v9
	v_min_u32_e32 v0, 32, v0
	v_subrev_u32_e32 v3, 28, v0
	v_lshlrev_b64 v[3:4], v3, v[10:11]
	v_sub_u32_e32 v0, 29, v0
	v_and_b32_e32 v3, 7, v3
	v_cndmask_b32_e32 v0, v11, v0, vcc
	v_cndmask_b32_e32 v3, v9, v3, vcc
	v_lshlrev_b32_e32 v4, 24, v10
	v_bfrev_b32_e32 v9, 60
	v_lshlrev_b32_e32 v3, 20, v3
	v_and_b32_e32 v4, 0x80000000, v4
	v_lshl_add_u32 v0, v0, 23, v9
	v_or3_b32 v1, v4, v0, v3
.LBB327_295:                            ;   in Loop: Header=BB327_9 Depth=1
	s_or_b64 exec, exec, s[36:37]
	buffer_store_dword v1, off, s[48:51], 0 offset:160 ; 4-byte Folded Spill
.LBB327_296:                            ;   in Loop: Header=BB327_9 Depth=1
	s_or_b64 exec, exec, s[34:35]
.LBB327_297:                            ;   in Loop: Header=BB327_9 Depth=1
	s_or_b64 exec, exec, s[16:17]
	global_load_dword v9, v[7:8], off offset:3072
	v_mov_b32_e32 v0, 0
	s_waitcnt vmcnt(0)
	v_cmp_ne_u16_sdwa s[34:35], v9, v0 src0_sel:BYTE_0 src1_sel:DWORD
	s_and_saveexec_b64 s[16:17], s[34:35]
	s_cbranch_execz .LBB327_303
; %bb.298:                              ;   in Loop: Header=BB327_9 Depth=1
	v_cmp_ne_u16_sdwa s[36:37], v9, s41 src0_sel:BYTE_0 src1_sel:DWORD
	v_bfrev_b32_e32 v0, 1
	buffer_store_dword v0, off, s[48:51], 0 offset:116 ; 4-byte Folded Spill
	s_and_saveexec_b64 s[34:35], s[36:37]
	s_cbranch_execz .LBB327_302
; %bb.299:                              ;   in Loop: Header=BB327_9 Depth=1
	v_and_b32_e32 v0, 0x7f, v9
	v_cmp_ne_u32_e32 vcc, s42, v0
	v_mov_b32_e32 v1, 0x7f800001
	buffer_store_dword v1, off, s[48:51], 0 offset:116 ; 4-byte Folded Spill
	s_and_saveexec_b64 s[36:37], vcc
	s_cbranch_execz .LBB327_301
; %bb.300:                              ;   in Loop: Header=BB327_9 Depth=1
	v_and_b32_e32 v10, 7, v9
	v_lshrrev_b32_e32 v11, 3, v0
	v_cmp_gt_u32_e32 vcc, 8, v0
	v_ffbh_u32_e32 v0, v10
	v_min_u32_e32 v0, 32, v0
	v_subrev_u32_e32 v3, 28, v0
	v_lshlrev_b64 v[3:4], v3, v[9:10]
	v_sub_u32_e32 v0, 29, v0
	v_and_b32_e32 v3, 7, v3
	v_cndmask_b32_e32 v0, v11, v0, vcc
	v_cndmask_b32_e32 v3, v10, v3, vcc
	v_lshlrev_b32_e32 v4, 24, v9
	v_bfrev_b32_e32 v10, 60
	v_lshlrev_b32_e32 v3, 20, v3
	v_and_b32_e32 v4, 0x80000000, v4
	v_lshl_add_u32 v0, v0, 23, v10
	v_or3_b32 v0, v4, v0, v3
	buffer_store_dword v0, off, s[48:51], 0 offset:116 ; 4-byte Folded Spill
.LBB327_301:                            ;   in Loop: Header=BB327_9 Depth=1
	s_or_b64 exec, exec, s[36:37]
.LBB327_302:                            ;   in Loop: Header=BB327_9 Depth=1
	s_or_b64 exec, exec, s[34:35]
.LBB327_303:                            ;   in Loop: Header=BB327_9 Depth=1
	s_or_b64 exec, exec, s[16:17]
	v_lshrrev_b16_e32 v10, 8, v9
	v_cmp_ne_u16_e32 vcc, 0, v10
	v_mov_b32_e32 v16, 0
	v_mov_b32_e32 v0, 0
	s_and_saveexec_b64 s[16:17], vcc
	s_cbranch_execz .LBB327_309
; %bb.304:                              ;   in Loop: Header=BB327_9 Depth=1
	v_cmp_ne_u16_e32 vcc, s41, v10
	v_bfrev_b32_e32 v0, 1
	s_and_saveexec_b64 s[34:35], vcc
	s_cbranch_execz .LBB327_308
; %bb.305:                              ;   in Loop: Header=BB327_9 Depth=1
	v_and_b32_e32 v3, 0x7f, v10
	v_cmp_ne_u32_e32 vcc, s42, v3
	v_mov_b32_e32 v0, 0x7f800001
	s_and_saveexec_b64 s[36:37], vcc
	s_cbranch_execz .LBB327_307
; %bb.306:                              ;   in Loop: Header=BB327_9 Depth=1
	v_and_b32_e32 v0, 7, v10
	v_lshrrev_b32_e32 v11, 3, v3
	v_cmp_gt_u32_e32 vcc, 8, v3
	v_ffbh_u32_e32 v3, v0
	v_mov_b32_e32 v13, v12
	v_min_u32_e32 v12, 32, v3
	v_subrev_u32_e32 v3, 28, v12
	v_lshlrev_b64 v[3:4], v3, v[10:11]
	v_sub_u32_e32 v4, 29, v12
	v_and_b32_e32 v3, 7, v3
	v_cndmask_b32_e32 v4, v11, v4, vcc
	v_cndmask_b32_e32 v0, v0, v3, vcc
	v_lshlrev_b32_e32 v3, 16, v9
	v_bfrev_b32_e32 v10, 60
	v_lshlrev_b32_e32 v0, 20, v0
	v_and_b32_e32 v3, 0x80000000, v3
	v_lshl_add_u32 v4, v4, 23, v10
	v_mov_b32_e32 v12, v13
	v_or3_b32 v0, v3, v4, v0
.LBB327_307:                            ;   in Loop: Header=BB327_9 Depth=1
	s_or_b64 exec, exec, s[36:37]
.LBB327_308:                            ;   in Loop: Header=BB327_9 Depth=1
	s_or_b64 exec, exec, s[34:35]
.LBB327_309:                            ;   in Loop: Header=BB327_9 Depth=1
	s_or_b64 exec, exec, s[16:17]
	v_lshrrev_b32_e32 v10, 16, v9
	v_mov_b32_e32 v1, 0
	v_cmp_ne_u16_sdwa s[34:35], v10, v1 src0_sel:BYTE_0 src1_sel:DWORD
	s_and_saveexec_b64 s[16:17], s[34:35]
	s_cbranch_execz .LBB327_315
; %bb.310:                              ;   in Loop: Header=BB327_9 Depth=1
	v_cmp_ne_u16_sdwa s[36:37], v10, s41 src0_sel:BYTE_0 src1_sel:DWORD
	v_bfrev_b32_e32 v16, 1
	s_and_saveexec_b64 s[34:35], s[36:37]
	s_cbranch_execz .LBB327_314
; %bb.311:                              ;   in Loop: Header=BB327_9 Depth=1
	v_bfe_u32 v3, v9, 16, 7
	v_cmp_ne_u32_e32 vcc, s42, v3
	v_mov_b32_e32 v16, 0x7f800001
	s_and_saveexec_b64 s[36:37], vcc
	s_cbranch_execz .LBB327_313
; %bb.312:                              ;   in Loop: Header=BB327_9 Depth=1
	v_and_b32_e32 v11, 7, v10
	v_mov_b32_e32 v14, v12
	v_lshrrev_b32_e32 v12, 3, v3
	v_cmp_gt_u32_e32 vcc, 8, v3
	v_ffbh_u32_e32 v3, v11
	v_min_u32_e32 v13, 32, v3
	v_subrev_u32_e32 v3, 28, v13
	v_lshlrev_b64 v[3:4], v3, v[10:11]
	v_sub_u32_e32 v4, 29, v13
	v_and_b32_e32 v3, 7, v3
	v_cndmask_b32_e32 v4, v12, v4, vcc
	v_cndmask_b32_e32 v3, v11, v3, vcc
	v_lshlrev_b32_e32 v10, 24, v10
	v_bfrev_b32_e32 v11, 60
	v_lshlrev_b32_e32 v3, 20, v3
	v_and_b32_e32 v10, 0x80000000, v10
	v_lshl_add_u32 v4, v4, 23, v11
	v_mov_b32_e32 v12, v14
	v_or3_b32 v16, v10, v4, v3
.LBB327_313:                            ;   in Loop: Header=BB327_9 Depth=1
	s_or_b64 exec, exec, s[36:37]
.LBB327_314:                            ;   in Loop: Header=BB327_9 Depth=1
	s_or_b64 exec, exec, s[34:35]
.LBB327_315:                            ;   in Loop: Header=BB327_9 Depth=1
	s_or_b64 exec, exec, s[16:17]
	v_cmp_lt_u32_e32 vcc, s43, v9
	v_mov_b32_e32 v18, 0
	v_mov_b32_e32 v51, 0
	s_and_saveexec_b64 s[16:17], vcc
	s_cbranch_execz .LBB327_321
; %bb.316:                              ;   in Loop: Header=BB327_9 Depth=1
	v_lshrrev_b32_e32 v10, 24, v9
	v_cmp_ne_u32_e32 vcc, s41, v10
	v_bfrev_b32_e32 v51, 1
	s_and_saveexec_b64 s[34:35], vcc
	s_cbranch_execz .LBB327_320
; %bb.317:                              ;   in Loop: Header=BB327_9 Depth=1
	v_bfe_u32 v3, v9, 24, 7
	v_cmp_ne_u32_e32 vcc, s42, v3
	v_mov_b32_e32 v51, 0x7f800001
	s_and_saveexec_b64 s[36:37], vcc
	s_cbranch_execz .LBB327_319
; %bb.318:                              ;   in Loop: Header=BB327_9 Depth=1
	v_and_b32_e32 v9, 7, v10
	v_lshrrev_b32_e32 v11, 3, v3
	v_cmp_gt_u32_e32 vcc, 8, v3
	v_ffbh_u32_e32 v3, v9
	v_mov_b32_e32 v13, v12
	v_min_u32_e32 v12, 32, v3
	v_subrev_u32_e32 v3, 28, v12
	v_lshlrev_b64 v[3:4], v3, v[10:11]
	v_sub_u32_e32 v4, 29, v12
	v_and_b32_e32 v3, 7, v3
	v_cndmask_b32_e32 v4, v11, v4, vcc
	v_cndmask_b32_e32 v3, v9, v3, vcc
	v_lshlrev_b32_e32 v9, 24, v10
	v_bfrev_b32_e32 v10, 60
	v_lshlrev_b32_e32 v3, 20, v3
	v_and_b32_e32 v9, 0x80000000, v9
	v_lshl_add_u32 v4, v4, 23, v10
	v_mov_b32_e32 v12, v13
	v_or3_b32 v51, v9, v4, v3
.LBB327_319:                            ;   in Loop: Header=BB327_9 Depth=1
	s_or_b64 exec, exec, s[36:37]
.LBB327_320:                            ;   in Loop: Header=BB327_9 Depth=1
	s_or_b64 exec, exec, s[34:35]
.LBB327_321:                            ;   in Loop: Header=BB327_9 Depth=1
	s_or_b64 exec, exec, s[16:17]
	global_load_dword v9, v[7:8], off offset:3080
	v_mov_b32_e32 v1, 0
	s_waitcnt vmcnt(0)
	v_cmp_ne_u16_sdwa s[34:35], v9, v1 src0_sel:BYTE_0 src1_sel:DWORD
	s_and_saveexec_b64 s[16:17], s[34:35]
	s_cbranch_execz .LBB327_327
; %bb.322:                              ;   in Loop: Header=BB327_9 Depth=1
	v_cmp_ne_u16_sdwa s[36:37], v9, s41 src0_sel:BYTE_0 src1_sel:DWORD
	v_bfrev_b32_e32 v18, 1
	s_and_saveexec_b64 s[34:35], s[36:37]
	s_cbranch_execz .LBB327_326
; %bb.323:                              ;   in Loop: Header=BB327_9 Depth=1
	v_and_b32_e32 v3, 0x7f, v9
	v_cmp_ne_u32_e32 vcc, s42, v3
	v_mov_b32_e32 v18, 0x7f800001
	s_and_saveexec_b64 s[36:37], vcc
	s_cbranch_execz .LBB327_325
; %bb.324:                              ;   in Loop: Header=BB327_9 Depth=1
	v_and_b32_e32 v10, 7, v9
	v_lshrrev_b32_e32 v11, 3, v3
	v_cmp_gt_u32_e32 vcc, 8, v3
	v_ffbh_u32_e32 v3, v10
	v_mov_b32_e32 v13, v12
	v_min_u32_e32 v12, 32, v3
	v_subrev_u32_e32 v3, 28, v12
	v_lshlrev_b64 v[3:4], v3, v[9:10]
	v_sub_u32_e32 v4, 29, v12
	v_and_b32_e32 v3, 7, v3
	v_cndmask_b32_e32 v4, v11, v4, vcc
	v_cndmask_b32_e32 v3, v10, v3, vcc
	v_lshlrev_b32_e32 v10, 24, v9
	v_bfrev_b32_e32 v11, 60
	v_lshlrev_b32_e32 v3, 20, v3
	v_and_b32_e32 v10, 0x80000000, v10
	v_lshl_add_u32 v4, v4, 23, v11
	v_mov_b32_e32 v12, v13
	v_or3_b32 v18, v10, v4, v3
.LBB327_325:                            ;   in Loop: Header=BB327_9 Depth=1
	s_or_b64 exec, exec, s[36:37]
.LBB327_326:                            ;   in Loop: Header=BB327_9 Depth=1
	s_or_b64 exec, exec, s[34:35]
.LBB327_327:                            ;   in Loop: Header=BB327_9 Depth=1
	s_or_b64 exec, exec, s[16:17]
	v_lshrrev_b16_e32 v10, 8, v9
	v_cmp_ne_u16_e32 vcc, 0, v10
	v_mov_b32_e32 v57, 0
	v_mov_b32_e32 v17, 0
	s_and_saveexec_b64 s[16:17], vcc
	s_cbranch_execz .LBB327_333
; %bb.328:                              ;   in Loop: Header=BB327_9 Depth=1
	v_cmp_ne_u16_e32 vcc, s41, v10
	v_bfrev_b32_e32 v17, 1
	s_and_saveexec_b64 s[34:35], vcc
	s_cbranch_execz .LBB327_332
; %bb.329:                              ;   in Loop: Header=BB327_9 Depth=1
	v_and_b32_e32 v3, 0x7f, v10
	v_cmp_ne_u32_e32 vcc, s42, v3
	v_mov_b32_e32 v17, 0x7f800001
	s_and_saveexec_b64 s[36:37], vcc
	s_cbranch_execz .LBB327_331
; %bb.330:                              ;   in Loop: Header=BB327_9 Depth=1
	v_and_b32_e32 v11, 7, v10
	v_lshrrev_b32_e32 v13, 3, v3
	v_cmp_gt_u32_e32 vcc, 8, v3
	v_ffbh_u32_e32 v3, v11
	v_min_u32_e32 v17, 32, v3
	v_subrev_u32_e32 v3, 28, v17
	v_lshlrev_b64 v[3:4], v3, v[10:11]
	v_sub_u32_e32 v4, 29, v17
	v_and_b32_e32 v3, 7, v3
	v_cndmask_b32_e32 v4, v13, v4, vcc
	v_cndmask_b32_e32 v3, v11, v3, vcc
	v_lshlrev_b32_e32 v10, 16, v9
	v_bfrev_b32_e32 v11, 60
	v_lshlrev_b32_e32 v3, 20, v3
	v_and_b32_e32 v10, 0x80000000, v10
	v_lshl_add_u32 v4, v4, 23, v11
	v_or3_b32 v17, v10, v4, v3
.LBB327_331:                            ;   in Loop: Header=BB327_9 Depth=1
	s_or_b64 exec, exec, s[36:37]
.LBB327_332:                            ;   in Loop: Header=BB327_9 Depth=1
	s_or_b64 exec, exec, s[34:35]
.LBB327_333:                            ;   in Loop: Header=BB327_9 Depth=1
	s_or_b64 exec, exec, s[16:17]
	v_lshrrev_b32_e32 v10, 16, v9
	v_mov_b32_e32 v1, 0
	v_cmp_ne_u16_sdwa s[34:35], v10, v1 src0_sel:BYTE_0 src1_sel:DWORD
	s_and_saveexec_b64 s[16:17], s[34:35]
	s_cbranch_execz .LBB327_339
; %bb.334:                              ;   in Loop: Header=BB327_9 Depth=1
	v_cmp_ne_u16_sdwa s[36:37], v10, s41 src0_sel:BYTE_0 src1_sel:DWORD
	v_bfrev_b32_e32 v57, 1
	s_and_saveexec_b64 s[34:35], s[36:37]
	s_cbranch_execz .LBB327_338
; %bb.335:                              ;   in Loop: Header=BB327_9 Depth=1
	v_bfe_u32 v3, v9, 16, 7
	v_cmp_ne_u32_e32 vcc, s42, v3
	v_mov_b32_e32 v57, 0x7f800001
	s_and_saveexec_b64 s[36:37], vcc
	s_cbranch_execz .LBB327_337
; %bb.336:                              ;   in Loop: Header=BB327_9 Depth=1
	v_and_b32_e32 v11, 7, v10
	v_mov_b32_e32 v14, v12
	v_lshrrev_b32_e32 v12, 3, v3
	v_cmp_gt_u32_e32 vcc, 8, v3
	v_ffbh_u32_e32 v3, v11
	v_min_u32_e32 v13, 32, v3
	v_subrev_u32_e32 v3, 28, v13
	v_lshlrev_b64 v[3:4], v3, v[10:11]
	v_sub_u32_e32 v4, 29, v13
	v_and_b32_e32 v3, 7, v3
	v_cndmask_b32_e32 v4, v12, v4, vcc
	v_cndmask_b32_e32 v3, v11, v3, vcc
	v_lshlrev_b32_e32 v10, 24, v10
	v_bfrev_b32_e32 v11, 60
	v_lshlrev_b32_e32 v3, 20, v3
	v_and_b32_e32 v10, 0x80000000, v10
	v_lshl_add_u32 v4, v4, 23, v11
	v_mov_b32_e32 v12, v14
	v_or3_b32 v57, v10, v4, v3
.LBB327_337:                            ;   in Loop: Header=BB327_9 Depth=1
	s_or_b64 exec, exec, s[36:37]
.LBB327_338:                            ;   in Loop: Header=BB327_9 Depth=1
	s_or_b64 exec, exec, s[34:35]
.LBB327_339:                            ;   in Loop: Header=BB327_9 Depth=1
	s_or_b64 exec, exec, s[16:17]
	v_cmp_lt_u32_e32 vcc, s43, v9
	v_mov_b32_e32 v21, 0
	v_mov_b32_e32 v19, 0
	s_and_saveexec_b64 s[16:17], vcc
	s_cbranch_execz .LBB327_345
; %bb.340:                              ;   in Loop: Header=BB327_9 Depth=1
	v_lshrrev_b32_e32 v10, 24, v9
	v_cmp_ne_u32_e32 vcc, s41, v10
	v_bfrev_b32_e32 v19, 1
	s_and_saveexec_b64 s[34:35], vcc
	s_cbranch_execz .LBB327_344
; %bb.341:                              ;   in Loop: Header=BB327_9 Depth=1
	v_bfe_u32 v3, v9, 24, 7
	v_cmp_ne_u32_e32 vcc, s42, v3
	v_mov_b32_e32 v19, 0x7f800001
	s_and_saveexec_b64 s[36:37], vcc
	s_cbranch_execz .LBB327_343
; %bb.342:                              ;   in Loop: Header=BB327_9 Depth=1
	v_and_b32_e32 v9, 7, v10
	v_lshrrev_b32_e32 v11, 3, v3
	v_cmp_gt_u32_e32 vcc, 8, v3
	v_ffbh_u32_e32 v3, v9
	v_min_u32_e32 v13, 32, v3
	v_subrev_u32_e32 v3, 28, v13
	v_lshlrev_b64 v[3:4], v3, v[10:11]
	v_sub_u32_e32 v4, 29, v13
	v_and_b32_e32 v3, 7, v3
	v_cndmask_b32_e32 v4, v11, v4, vcc
	v_cndmask_b32_e32 v3, v9, v3, vcc
	v_lshlrev_b32_e32 v9, 24, v10
	v_bfrev_b32_e32 v10, 60
	v_lshlrev_b32_e32 v3, 20, v3
	v_and_b32_e32 v9, 0x80000000, v9
	v_lshl_add_u32 v4, v4, 23, v10
	v_or3_b32 v19, v9, v4, v3
.LBB327_343:                            ;   in Loop: Header=BB327_9 Depth=1
	s_or_b64 exec, exec, s[36:37]
.LBB327_344:                            ;   in Loop: Header=BB327_9 Depth=1
	s_or_b64 exec, exec, s[34:35]
.LBB327_345:                            ;   in Loop: Header=BB327_9 Depth=1
	s_or_b64 exec, exec, s[16:17]
	global_load_dword v9, v[7:8], off offset:3584
	v_mov_b32_e32 v1, 0
	s_waitcnt vmcnt(0)
	v_cmp_ne_u16_sdwa s[34:35], v9, v1 src0_sel:BYTE_0 src1_sel:DWORD
	s_and_saveexec_b64 s[16:17], s[34:35]
	s_cbranch_execz .LBB327_351
; %bb.346:                              ;   in Loop: Header=BB327_9 Depth=1
	v_cmp_ne_u16_sdwa s[36:37], v9, s41 src0_sel:BYTE_0 src1_sel:DWORD
	v_bfrev_b32_e32 v21, 1
	s_and_saveexec_b64 s[34:35], s[36:37]
	s_cbranch_execz .LBB327_350
; %bb.347:                              ;   in Loop: Header=BB327_9 Depth=1
	v_and_b32_e32 v3, 0x7f, v9
	v_cmp_ne_u32_e32 vcc, s42, v3
	v_mov_b32_e32 v21, 0x7f800001
	s_and_saveexec_b64 s[36:37], vcc
	s_cbranch_execz .LBB327_349
; %bb.348:                              ;   in Loop: Header=BB327_9 Depth=1
	v_and_b32_e32 v10, 7, v9
	v_lshrrev_b32_e32 v11, 3, v3
	v_cmp_gt_u32_e32 vcc, 8, v3
	v_ffbh_u32_e32 v3, v10
	v_min_u32_e32 v13, 32, v3
	v_subrev_u32_e32 v3, 28, v13
	v_lshlrev_b64 v[3:4], v3, v[9:10]
	v_sub_u32_e32 v4, 29, v13
	v_and_b32_e32 v3, 7, v3
	v_cndmask_b32_e32 v4, v11, v4, vcc
	v_cndmask_b32_e32 v3, v10, v3, vcc
	v_lshlrev_b32_e32 v10, 24, v9
	v_bfrev_b32_e32 v11, 60
	v_lshlrev_b32_e32 v3, 20, v3
	v_and_b32_e32 v10, 0x80000000, v10
	v_lshl_add_u32 v4, v4, 23, v11
	v_or3_b32 v21, v10, v4, v3
.LBB327_349:                            ;   in Loop: Header=BB327_9 Depth=1
	s_or_b64 exec, exec, s[36:37]
.LBB327_350:                            ;   in Loop: Header=BB327_9 Depth=1
	s_or_b64 exec, exec, s[34:35]
.LBB327_351:                            ;   in Loop: Header=BB327_9 Depth=1
	s_or_b64 exec, exec, s[16:17]
	v_lshrrev_b16_e32 v10, 8, v9
	v_cmp_ne_u16_e32 vcc, 0, v10
	v_mov_b32_e32 v43, 0
	v_mov_b32_e32 v48, 0
	s_and_saveexec_b64 s[16:17], vcc
	s_cbranch_execz .LBB327_357
; %bb.352:                              ;   in Loop: Header=BB327_9 Depth=1
	v_cmp_ne_u16_e32 vcc, s41, v10
	v_bfrev_b32_e32 v48, 1
	s_and_saveexec_b64 s[34:35], vcc
	s_cbranch_execz .LBB327_356
; %bb.353:                              ;   in Loop: Header=BB327_9 Depth=1
	v_and_b32_e32 v3, 0x7f, v10
	v_cmp_ne_u32_e32 vcc, s42, v3
	v_mov_b32_e32 v48, 0x7f800001
	s_and_saveexec_b64 s[36:37], vcc
	s_cbranch_execz .LBB327_355
; %bb.354:                              ;   in Loop: Header=BB327_9 Depth=1
	v_and_b32_e32 v11, 7, v10
	v_lshrrev_b32_e32 v13, 3, v3
	v_cmp_gt_u32_e32 vcc, 8, v3
	v_ffbh_u32_e32 v3, v11
	v_min_u32_e32 v20, 32, v3
	v_subrev_u32_e32 v3, 28, v20
	v_lshlrev_b64 v[3:4], v3, v[10:11]
	v_sub_u32_e32 v4, 29, v20
	v_and_b32_e32 v3, 7, v3
	v_cndmask_b32_e32 v4, v13, v4, vcc
	v_cndmask_b32_e32 v3, v11, v3, vcc
	v_lshlrev_b32_e32 v10, 16, v9
	v_bfrev_b32_e32 v11, 60
	v_lshlrev_b32_e32 v3, 20, v3
	v_and_b32_e32 v10, 0x80000000, v10
	v_lshl_add_u32 v4, v4, 23, v11
	v_or3_b32 v48, v10, v4, v3
.LBB327_355:                            ;   in Loop: Header=BB327_9 Depth=1
	s_or_b64 exec, exec, s[36:37]
.LBB327_356:                            ;   in Loop: Header=BB327_9 Depth=1
	s_or_b64 exec, exec, s[34:35]
.LBB327_357:                            ;   in Loop: Header=BB327_9 Depth=1
	s_or_b64 exec, exec, s[16:17]
	v_lshrrev_b32_e32 v10, 16, v9
	v_mov_b32_e32 v1, 0
	v_cmp_ne_u16_sdwa s[34:35], v10, v1 src0_sel:BYTE_0 src1_sel:DWORD
	s_and_saveexec_b64 s[16:17], s[34:35]
	s_cbranch_execz .LBB327_363
; %bb.358:                              ;   in Loop: Header=BB327_9 Depth=1
	v_cmp_ne_u16_sdwa s[36:37], v10, s41 src0_sel:BYTE_0 src1_sel:DWORD
	v_bfrev_b32_e32 v43, 1
	s_and_saveexec_b64 s[34:35], s[36:37]
	s_cbranch_execz .LBB327_362
; %bb.359:                              ;   in Loop: Header=BB327_9 Depth=1
	v_bfe_u32 v3, v9, 16, 7
	v_cmp_ne_u32_e32 vcc, s42, v3
	v_mov_b32_e32 v43, 0x7f800001
	s_and_saveexec_b64 s[36:37], vcc
	s_cbranch_execz .LBB327_361
; %bb.360:                              ;   in Loop: Header=BB327_9 Depth=1
	v_and_b32_e32 v11, 7, v10
	v_lshrrev_b32_e32 v13, 3, v3
	v_cmp_gt_u32_e32 vcc, 8, v3
	v_ffbh_u32_e32 v3, v11
	v_min_u32_e32 v20, 32, v3
	v_subrev_u32_e32 v3, 28, v20
	v_lshlrev_b64 v[3:4], v3, v[10:11]
	v_sub_u32_e32 v4, 29, v20
	v_and_b32_e32 v3, 7, v3
	v_cndmask_b32_e32 v4, v13, v4, vcc
	v_cndmask_b32_e32 v3, v11, v3, vcc
	v_lshlrev_b32_e32 v10, 24, v10
	v_bfrev_b32_e32 v11, 60
	v_lshlrev_b32_e32 v3, 20, v3
	v_and_b32_e32 v10, 0x80000000, v10
	v_lshl_add_u32 v4, v4, 23, v11
	v_or3_b32 v43, v10, v4, v3
.LBB327_361:                            ;   in Loop: Header=BB327_9 Depth=1
	s_or_b64 exec, exec, s[36:37]
.LBB327_362:                            ;   in Loop: Header=BB327_9 Depth=1
	s_or_b64 exec, exec, s[34:35]
.LBB327_363:                            ;   in Loop: Header=BB327_9 Depth=1
	s_or_b64 exec, exec, s[16:17]
	v_cmp_lt_u32_e32 vcc, s43, v9
	v_mov_b32_e32 v25, 0
	v_mov_b32_e32 v22, 0
	s_and_saveexec_b64 s[16:17], vcc
	s_cbranch_execz .LBB327_369
; %bb.364:                              ;   in Loop: Header=BB327_9 Depth=1
	v_lshrrev_b32_e32 v10, 24, v9
	v_cmp_ne_u32_e32 vcc, s41, v10
	v_bfrev_b32_e32 v22, 1
	s_and_saveexec_b64 s[34:35], vcc
	s_cbranch_execz .LBB327_368
; %bb.365:                              ;   in Loop: Header=BB327_9 Depth=1
	v_bfe_u32 v3, v9, 24, 7
	v_cmp_ne_u32_e32 vcc, s42, v3
	v_mov_b32_e32 v22, 0x7f800001
	s_and_saveexec_b64 s[36:37], vcc
	s_cbranch_execz .LBB327_367
; %bb.366:                              ;   in Loop: Header=BB327_9 Depth=1
	v_and_b32_e32 v9, 7, v10
	v_lshrrev_b32_e32 v11, 3, v3
	v_cmp_gt_u32_e32 vcc, 8, v3
	v_ffbh_u32_e32 v3, v9
	v_min_u32_e32 v13, 32, v3
	v_subrev_u32_e32 v3, 28, v13
	v_lshlrev_b64 v[3:4], v3, v[10:11]
	v_sub_u32_e32 v4, 29, v13
	v_and_b32_e32 v3, 7, v3
	v_cndmask_b32_e32 v4, v11, v4, vcc
	v_cndmask_b32_e32 v3, v9, v3, vcc
	v_lshlrev_b32_e32 v9, 24, v10
	v_bfrev_b32_e32 v10, 60
	v_lshlrev_b32_e32 v3, 20, v3
	v_and_b32_e32 v9, 0x80000000, v9
	v_lshl_add_u32 v4, v4, 23, v10
	v_or3_b32 v22, v9, v4, v3
.LBB327_367:                            ;   in Loop: Header=BB327_9 Depth=1
	s_or_b64 exec, exec, s[36:37]
.LBB327_368:                            ;   in Loop: Header=BB327_9 Depth=1
	s_or_b64 exec, exec, s[34:35]
.LBB327_369:                            ;   in Loop: Header=BB327_9 Depth=1
	s_or_b64 exec, exec, s[16:17]
	global_load_dword v7, v[7:8], off offset:3592
	v_mov_b32_e32 v1, 0
	s_waitcnt vmcnt(0)
	v_cmp_ne_u16_sdwa s[34:35], v7, v1 src0_sel:BYTE_0 src1_sel:DWORD
	s_and_saveexec_b64 s[16:17], s[34:35]
	s_cbranch_execz .LBB327_375
; %bb.370:                              ;   in Loop: Header=BB327_9 Depth=1
	v_cmp_ne_u16_sdwa s[36:37], v7, s41 src0_sel:BYTE_0 src1_sel:DWORD
	v_bfrev_b32_e32 v25, 1
	s_and_saveexec_b64 s[34:35], s[36:37]
	s_cbranch_execz .LBB327_374
; %bb.371:                              ;   in Loop: Header=BB327_9 Depth=1
	v_and_b32_e32 v3, 0x7f, v7
	v_cmp_ne_u32_e32 vcc, s42, v3
	v_mov_b32_e32 v25, 0x7f800001
	s_and_saveexec_b64 s[36:37], vcc
	s_cbranch_execz .LBB327_373
; %bb.372:                              ;   in Loop: Header=BB327_9 Depth=1
	v_and_b32_e32 v8, 7, v7
	v_lshrrev_b32_e32 v9, 3, v3
	v_cmp_gt_u32_e32 vcc, 8, v3
	v_ffbh_u32_e32 v3, v8
	v_min_u32_e32 v10, 32, v3
	v_subrev_u32_e32 v3, 28, v10
	v_lshlrev_b64 v[3:4], v3, v[7:8]
	v_sub_u32_e32 v4, 29, v10
	v_and_b32_e32 v3, 7, v3
	v_cndmask_b32_e32 v4, v9, v4, vcc
	v_cndmask_b32_e32 v3, v8, v3, vcc
	v_lshlrev_b32_e32 v8, 24, v7
	v_bfrev_b32_e32 v9, 60
	v_lshlrev_b32_e32 v3, 20, v3
	v_and_b32_e32 v8, 0x80000000, v8
	v_lshl_add_u32 v4, v4, 23, v9
	v_or3_b32 v25, v8, v4, v3
.LBB327_373:                            ;   in Loop: Header=BB327_9 Depth=1
	s_or_b64 exec, exec, s[36:37]
.LBB327_374:                            ;   in Loop: Header=BB327_9 Depth=1
	s_or_b64 exec, exec, s[34:35]
.LBB327_375:                            ;   in Loop: Header=BB327_9 Depth=1
	s_or_b64 exec, exec, s[16:17]
	v_lshrrev_b16_e32 v8, 8, v7
	v_cmp_ne_u16_e32 vcc, 0, v8
	v_mov_b32_e32 v63, 0
	v_mov_b32_e32 v56, 0
	s_and_saveexec_b64 s[16:17], vcc
	s_cbranch_execz .LBB327_381
; %bb.376:                              ;   in Loop: Header=BB327_9 Depth=1
	v_cmp_ne_u16_e32 vcc, s41, v8
	v_bfrev_b32_e32 v56, 1
	s_and_saveexec_b64 s[34:35], vcc
	s_cbranch_execz .LBB327_380
; %bb.377:                              ;   in Loop: Header=BB327_9 Depth=1
	v_and_b32_e32 v3, 0x7f, v8
	v_cmp_ne_u32_e32 vcc, s42, v3
	v_mov_b32_e32 v56, 0x7f800001
	s_and_saveexec_b64 s[36:37], vcc
	s_cbranch_execz .LBB327_379
; %bb.378:                              ;   in Loop: Header=BB327_9 Depth=1
	v_and_b32_e32 v9, 7, v8
	v_lshrrev_b32_e32 v11, 3, v3
	v_cmp_gt_u32_e32 vcc, 8, v3
	v_ffbh_u32_e32 v3, v9
	v_min_u32_e32 v13, 32, v3
	v_subrev_u32_e32 v3, 28, v13
	v_lshlrev_b64 v[3:4], v3, v[8:9]
	v_sub_u32_e32 v4, 29, v13
	v_and_b32_e32 v3, 7, v3
	v_cndmask_b32_e32 v4, v11, v4, vcc
	v_cndmask_b32_e32 v3, v9, v3, vcc
	v_lshlrev_b32_e32 v8, 16, v7
	v_bfrev_b32_e32 v9, 60
	v_lshlrev_b32_e32 v3, 20, v3
	v_and_b32_e32 v8, 0x80000000, v8
	v_lshl_add_u32 v4, v4, 23, v9
	v_or3_b32 v56, v8, v4, v3
.LBB327_379:                            ;   in Loop: Header=BB327_9 Depth=1
	s_or_b64 exec, exec, s[36:37]
.LBB327_380:                            ;   in Loop: Header=BB327_9 Depth=1
	s_or_b64 exec, exec, s[34:35]
.LBB327_381:                            ;   in Loop: Header=BB327_9 Depth=1
	s_or_b64 exec, exec, s[16:17]
	v_lshrrev_b32_e32 v8, 16, v7
	v_mov_b32_e32 v1, 0
	v_cmp_ne_u16_sdwa s[34:35], v8, v1 src0_sel:BYTE_0 src1_sel:DWORD
	s_and_saveexec_b64 s[16:17], s[34:35]
	s_cbranch_execz .LBB327_387
; %bb.382:                              ;   in Loop: Header=BB327_9 Depth=1
	v_cmp_ne_u16_sdwa s[36:37], v8, s41 src0_sel:BYTE_0 src1_sel:DWORD
	v_bfrev_b32_e32 v63, 1
	s_and_saveexec_b64 s[34:35], s[36:37]
	s_cbranch_execz .LBB327_386
; %bb.383:                              ;   in Loop: Header=BB327_9 Depth=1
	v_bfe_u32 v3, v7, 16, 7
	v_cmp_ne_u32_e32 vcc, s42, v3
	v_mov_b32_e32 v63, 0x7f800001
	s_and_saveexec_b64 s[36:37], vcc
	s_cbranch_execz .LBB327_385
; %bb.384:                              ;   in Loop: Header=BB327_9 Depth=1
	v_and_b32_e32 v10, 7, v8
	v_lshrrev_b32_e32 v11, 3, v3
	v_cmp_gt_u32_e32 vcc, 8, v3
	v_ffbh_u32_e32 v3, v10
	v_min_u32_e32 v13, 32, v3
	v_subrev_u32_e32 v3, 28, v13
	v_lshlrev_b64 v[3:4], v3, v[8:9]
	v_sub_u32_e32 v4, 29, v13
	v_and_b32_e32 v3, 7, v3
	v_cndmask_b32_e32 v4, v11, v4, vcc
	v_cndmask_b32_e32 v3, v10, v3, vcc
	v_lshlrev_b32_e32 v8, 24, v8
	v_bfrev_b32_e32 v9, 60
	v_lshlrev_b32_e32 v3, 20, v3
	v_and_b32_e32 v8, 0x80000000, v8
	v_lshl_add_u32 v4, v4, 23, v9
	v_or3_b32 v63, v8, v4, v3
.LBB327_385:                            ;   in Loop: Header=BB327_9 Depth=1
	s_or_b64 exec, exec, s[36:37]
.LBB327_386:                            ;   in Loop: Header=BB327_9 Depth=1
	s_or_b64 exec, exec, s[34:35]
.LBB327_387:                            ;   in Loop: Header=BB327_9 Depth=1
	s_or_b64 exec, exec, s[16:17]
	v_cmp_lt_u32_e32 vcc, s43, v7
	v_mov_b32_e32 v27, 0
	v_mov_b32_e32 v26, 0
	s_and_saveexec_b64 s[16:17], vcc
	s_cbranch_execz .LBB327_393
; %bb.388:                              ;   in Loop: Header=BB327_9 Depth=1
	v_lshrrev_b32_e32 v8, 24, v7
	v_cmp_ne_u32_e32 vcc, s41, v8
	v_bfrev_b32_e32 v26, 1
	s_and_saveexec_b64 s[34:35], vcc
	s_cbranch_execz .LBB327_392
; %bb.389:                              ;   in Loop: Header=BB327_9 Depth=1
	v_bfe_u32 v3, v7, 24, 7
	v_cmp_ne_u32_e32 vcc, s42, v3
	v_mov_b32_e32 v26, 0x7f800001
	s_and_saveexec_b64 s[36:37], vcc
	s_cbranch_execz .LBB327_391
; %bb.390:                              ;   in Loop: Header=BB327_9 Depth=1
	v_and_b32_e32 v7, 7, v8
	v_lshrrev_b32_e32 v11, 3, v3
	v_cmp_gt_u32_e32 vcc, 8, v3
	v_ffbh_u32_e32 v3, v7
	v_min_u32_e32 v13, 32, v3
	v_subrev_u32_e32 v3, 28, v13
	v_lshlrev_b64 v[3:4], v3, v[8:9]
	v_sub_u32_e32 v4, 29, v13
	v_and_b32_e32 v3, 7, v3
	v_cndmask_b32_e32 v4, v11, v4, vcc
	v_cndmask_b32_e32 v3, v7, v3, vcc
	v_lshlrev_b32_e32 v7, 24, v8
	v_bfrev_b32_e32 v8, 60
	v_lshlrev_b32_e32 v3, 20, v3
	v_and_b32_e32 v7, 0x80000000, v7
	v_lshl_add_u32 v4, v4, 23, v8
	v_or3_b32 v26, v7, v4, v3
.LBB327_391:                            ;   in Loop: Header=BB327_9 Depth=1
	s_or_b64 exec, exec, s[36:37]
.LBB327_392:                            ;   in Loop: Header=BB327_9 Depth=1
	s_or_b64 exec, exec, s[34:35]
.LBB327_393:                            ;   in Loop: Header=BB327_9 Depth=1
	s_or_b64 exec, exec, s[16:17]
	buffer_load_dword v7, off, s[48:51], 0  ; 4-byte Folded Reload
	v_add_co_u32_e32 v3, vcc, 0x1000, v5
	v_addc_co_u32_e32 v4, vcc, 0, v6, vcc
	v_mov_b32_e32 v1, 0
	s_waitcnt vmcnt(0)
	v_add_co_u32_e32 v7, vcc, v3, v7
	v_addc_co_u32_e32 v8, vcc, 0, v4, vcc
	global_load_dword v7, v[7:8], off
	s_waitcnt vmcnt(0)
	v_cmp_ne_u16_sdwa s[34:35], v7, v1 src0_sel:BYTE_0 src1_sel:DWORD
	s_and_saveexec_b64 s[16:17], s[34:35]
	s_cbranch_execz .LBB327_399
; %bb.394:                              ;   in Loop: Header=BB327_9 Depth=1
	v_cmp_ne_u16_sdwa s[36:37], v7, s41 src0_sel:BYTE_0 src1_sel:DWORD
	v_bfrev_b32_e32 v27, 1
	s_and_saveexec_b64 s[34:35], s[36:37]
	s_cbranch_execz .LBB327_398
; %bb.395:                              ;   in Loop: Header=BB327_9 Depth=1
	v_and_b32_e32 v8, 0x7f, v7
	v_cmp_ne_u32_e32 vcc, s42, v8
	v_mov_b32_e32 v27, 0x7f800001
	s_and_saveexec_b64 s[36:37], vcc
	s_cbranch_execz .LBB327_397
; %bb.396:                              ;   in Loop: Header=BB327_9 Depth=1
	v_and_b32_e32 v11, 7, v7
	v_lshrrev_b32_e32 v13, 3, v8
	v_cmp_gt_u32_e32 vcc, 8, v8
	v_ffbh_u32_e32 v8, v11
	v_min_u32_e32 v8, 32, v8
	v_subrev_u32_e32 v20, 28, v8
	v_lshlrev_b64 v[23:24], v20, v[7:8]
	v_sub_u32_e32 v8, 29, v8
	v_and_b32_e32 v20, 7, v23
	v_cndmask_b32_e32 v8, v13, v8, vcc
	v_cndmask_b32_e32 v11, v11, v20, vcc
	v_lshlrev_b32_e32 v13, 24, v7
	v_bfrev_b32_e32 v9, 60
	v_lshlrev_b32_e32 v11, 20, v11
	v_and_b32_e32 v13, 0x80000000, v13
	v_lshl_add_u32 v8, v8, 23, v9
	v_or3_b32 v27, v13, v8, v11
.LBB327_397:                            ;   in Loop: Header=BB327_9 Depth=1
	s_or_b64 exec, exec, s[36:37]
.LBB327_398:                            ;   in Loop: Header=BB327_9 Depth=1
	s_or_b64 exec, exec, s[34:35]
.LBB327_399:                            ;   in Loop: Header=BB327_9 Depth=1
	s_or_b64 exec, exec, s[16:17]
	v_lshrrev_b16_e32 v8, 8, v7
	v_cmp_ne_u16_e32 vcc, 0, v8
	v_mov_b32_e32 v42, 0
	v_mov_b32_e32 v29, 0
	s_and_saveexec_b64 s[16:17], vcc
	s_cbranch_execz .LBB327_405
; %bb.400:                              ;   in Loop: Header=BB327_9 Depth=1
	v_cmp_ne_u16_e32 vcc, s41, v8
	v_bfrev_b32_e32 v29, 1
	s_and_saveexec_b64 s[34:35], vcc
	s_cbranch_execz .LBB327_404
; %bb.401:                              ;   in Loop: Header=BB327_9 Depth=1
	v_and_b32_e32 v11, 0x7f, v8
	v_cmp_ne_u32_e32 vcc, s42, v11
	v_mov_b32_e32 v29, 0x7f800001
	s_and_saveexec_b64 s[36:37], vcc
	s_cbranch_execz .LBB327_403
; %bb.402:                              ;   in Loop: Header=BB327_9 Depth=1
	v_and_b32_e32 v13, 7, v8
	v_lshrrev_b32_e32 v20, 3, v11
	v_cmp_gt_u32_e32 vcc, 8, v11
	v_ffbh_u32_e32 v11, v13
	v_min_u32_e32 v11, 32, v11
	v_subrev_u32_e32 v23, 28, v11
	v_lshlrev_b64 v[23:24], v23, v[8:9]
	v_sub_u32_e32 v8, 29, v11
	v_and_b32_e32 v11, 7, v23
	v_cndmask_b32_e32 v8, v20, v8, vcc
	v_cndmask_b32_e32 v11, v13, v11, vcc
	v_lshlrev_b32_e32 v13, 16, v7
	v_bfrev_b32_e32 v9, 60
	v_lshlrev_b32_e32 v11, 20, v11
	v_and_b32_e32 v13, 0x80000000, v13
	v_lshl_add_u32 v8, v8, 23, v9
	v_or3_b32 v29, v13, v8, v11
.LBB327_403:                            ;   in Loop: Header=BB327_9 Depth=1
	s_or_b64 exec, exec, s[36:37]
.LBB327_404:                            ;   in Loop: Header=BB327_9 Depth=1
	s_or_b64 exec, exec, s[34:35]
.LBB327_405:                            ;   in Loop: Header=BB327_9 Depth=1
	s_or_b64 exec, exec, s[16:17]
	v_lshrrev_b32_e32 v8, 16, v7
	v_mov_b32_e32 v1, 0
	v_cmp_ne_u16_sdwa s[34:35], v8, v1 src0_sel:BYTE_0 src1_sel:DWORD
	s_and_saveexec_b64 s[16:17], s[34:35]
	s_cbranch_execz .LBB327_411
; %bb.406:                              ;   in Loop: Header=BB327_9 Depth=1
	v_cmp_ne_u16_sdwa s[36:37], v8, s41 src0_sel:BYTE_0 src1_sel:DWORD
	v_bfrev_b32_e32 v42, 1
	s_and_saveexec_b64 s[34:35], s[36:37]
	s_cbranch_execz .LBB327_410
; %bb.407:                              ;   in Loop: Header=BB327_9 Depth=1
	v_bfe_u32 v11, v7, 16, 7
	v_cmp_ne_u32_e32 vcc, s42, v11
	v_mov_b32_e32 v42, 0x7f800001
	s_and_saveexec_b64 s[36:37], vcc
	s_cbranch_execz .LBB327_409
; %bb.408:                              ;   in Loop: Header=BB327_9 Depth=1
	v_and_b32_e32 v13, 7, v8
	v_lshrrev_b32_e32 v20, 3, v11
	v_cmp_gt_u32_e32 vcc, 8, v11
	v_ffbh_u32_e32 v11, v13
	v_min_u32_e32 v11, 32, v11
	v_subrev_u32_e32 v23, 28, v11
	v_lshlrev_b64 v[23:24], v23, v[8:9]
	v_sub_u32_e32 v11, 29, v11
	v_and_b32_e32 v23, 7, v23
	v_cndmask_b32_e32 v11, v20, v11, vcc
	v_cndmask_b32_e32 v13, v13, v23, vcc
	v_lshlrev_b32_e32 v8, 24, v8
	v_bfrev_b32_e32 v9, 60
	v_lshlrev_b32_e32 v13, 20, v13
	v_and_b32_e32 v8, 0x80000000, v8
	v_lshl_add_u32 v11, v11, 23, v9
	v_or3_b32 v42, v8, v11, v13
.LBB327_409:                            ;   in Loop: Header=BB327_9 Depth=1
	s_or_b64 exec, exec, s[36:37]
.LBB327_410:                            ;   in Loop: Header=BB327_9 Depth=1
	s_or_b64 exec, exec, s[34:35]
.LBB327_411:                            ;   in Loop: Header=BB327_9 Depth=1
	s_or_b64 exec, exec, s[16:17]
	v_cmp_lt_u32_e32 vcc, s43, v7
	v_mov_b32_e32 v39, 0
	v_mov_b32_e32 v28, 0
	s_and_saveexec_b64 s[16:17], vcc
	s_cbranch_execz .LBB327_417
; %bb.412:                              ;   in Loop: Header=BB327_9 Depth=1
	v_lshrrev_b32_e32 v8, 24, v7
	v_cmp_ne_u32_e32 vcc, s41, v8
	v_bfrev_b32_e32 v28, 1
	s_and_saveexec_b64 s[34:35], vcc
	s_cbranch_execz .LBB327_416
; %bb.413:                              ;   in Loop: Header=BB327_9 Depth=1
	v_bfe_u32 v7, v7, 24, 7
	v_cmp_ne_u32_e32 vcc, s42, v7
	v_mov_b32_e32 v28, 0x7f800001
	s_and_saveexec_b64 s[36:37], vcc
	s_cbranch_execz .LBB327_415
; %bb.414:                              ;   in Loop: Header=BB327_9 Depth=1
	v_and_b32_e32 v11, 7, v8
	v_lshrrev_b32_e32 v13, 3, v7
	v_cmp_gt_u32_e32 vcc, 8, v7
	v_ffbh_u32_e32 v7, v11
	v_min_u32_e32 v7, 32, v7
	v_subrev_u32_e32 v20, 28, v7
	v_lshlrev_b64 v[23:24], v20, v[8:9]
	v_sub_u32_e32 v7, 29, v7
	v_and_b32_e32 v20, 7, v23
	v_cndmask_b32_e32 v7, v13, v7, vcc
	v_cndmask_b32_e32 v11, v11, v20, vcc
	v_lshlrev_b32_e32 v8, 24, v8
	v_bfrev_b32_e32 v9, 60
	v_lshlrev_b32_e32 v11, 20, v11
	v_and_b32_e32 v8, 0x80000000, v8
	v_lshl_add_u32 v7, v7, 23, v9
	v_or3_b32 v28, v8, v7, v11
.LBB327_415:                            ;   in Loop: Header=BB327_9 Depth=1
	s_or_b64 exec, exec, s[36:37]
.LBB327_416:                            ;   in Loop: Header=BB327_9 Depth=1
	s_or_b64 exec, exec, s[34:35]
.LBB327_417:                            ;   in Loop: Header=BB327_9 Depth=1
	s_or_b64 exec, exec, s[16:17]
	buffer_load_dword v7, off, s[48:51], 0 offset:4 ; 4-byte Folded Reload
	v_mov_b32_e32 v1, 0
	s_waitcnt vmcnt(0)
	v_add_co_u32_e32 v3, vcc, v3, v7
	v_addc_co_u32_e32 v4, vcc, 0, v4, vcc
	global_load_dword v7, v[3:4], off
	s_waitcnt vmcnt(0)
	v_cmp_ne_u16_sdwa s[34:35], v7, v1 src0_sel:BYTE_0 src1_sel:DWORD
	s_and_saveexec_b64 s[16:17], s[34:35]
	s_cbranch_execz .LBB327_423
; %bb.418:                              ;   in Loop: Header=BB327_9 Depth=1
	v_cmp_ne_u16_sdwa s[36:37], v7, s41 src0_sel:BYTE_0 src1_sel:DWORD
	v_bfrev_b32_e32 v39, 1
	s_and_saveexec_b64 s[34:35], s[36:37]
	s_cbranch_execz .LBB327_422
; %bb.419:                              ;   in Loop: Header=BB327_9 Depth=1
	v_and_b32_e32 v3, 0x7f, v7
	v_cmp_ne_u32_e32 vcc, s42, v3
	v_mov_b32_e32 v39, 0x7f800001
	s_and_saveexec_b64 s[36:37], vcc
	s_cbranch_execz .LBB327_421
; %bb.420:                              ;   in Loop: Header=BB327_9 Depth=1
	v_and_b32_e32 v8, 7, v7
	v_lshrrev_b32_e32 v11, 3, v3
	v_cmp_gt_u32_e32 vcc, 8, v3
	v_ffbh_u32_e32 v3, v8
	v_min_u32_e32 v13, 32, v3
	v_subrev_u32_e32 v3, 28, v13
	v_lshlrev_b64 v[3:4], v3, v[7:8]
	v_sub_u32_e32 v4, 29, v13
	v_and_b32_e32 v3, 7, v3
	v_cndmask_b32_e32 v4, v11, v4, vcc
	v_cndmask_b32_e32 v3, v8, v3, vcc
	v_lshlrev_b32_e32 v8, 24, v7
	v_bfrev_b32_e32 v9, 60
	v_lshlrev_b32_e32 v3, 20, v3
	v_and_b32_e32 v8, 0x80000000, v8
	v_lshl_add_u32 v4, v4, 23, v9
	v_or3_b32 v39, v8, v4, v3
.LBB327_421:                            ;   in Loop: Header=BB327_9 Depth=1
	s_or_b64 exec, exec, s[36:37]
.LBB327_422:                            ;   in Loop: Header=BB327_9 Depth=1
	s_or_b64 exec, exec, s[34:35]
.LBB327_423:                            ;   in Loop: Header=BB327_9 Depth=1
	s_or_b64 exec, exec, s[16:17]
	v_lshrrev_b16_e32 v8, 8, v7
	v_cmp_ne_u16_e32 vcc, 0, v8
	v_mov_b32_e32 v34, 0
	v_mov_b32_e32 v33, 0
	s_and_saveexec_b64 s[16:17], vcc
	s_cbranch_execz .LBB327_429
; %bb.424:                              ;   in Loop: Header=BB327_9 Depth=1
	v_cmp_ne_u16_e32 vcc, s41, v8
	v_bfrev_b32_e32 v33, 1
	s_and_saveexec_b64 s[34:35], vcc
	s_cbranch_execz .LBB327_428
; %bb.425:                              ;   in Loop: Header=BB327_9 Depth=1
	v_and_b32_e32 v3, 0x7f, v8
	v_cmp_ne_u32_e32 vcc, s42, v3
	v_mov_b32_e32 v33, 0x7f800001
	s_and_saveexec_b64 s[36:37], vcc
	s_cbranch_execz .LBB327_427
; %bb.426:                              ;   in Loop: Header=BB327_9 Depth=1
	v_and_b32_e32 v11, 7, v8
	v_lshrrev_b32_e32 v13, 3, v3
	v_cmp_gt_u32_e32 vcc, 8, v3
	v_ffbh_u32_e32 v3, v11
	v_min_u32_e32 v20, 32, v3
	v_subrev_u32_e32 v3, 28, v20
	v_lshlrev_b64 v[3:4], v3, v[8:9]
	v_sub_u32_e32 v4, 29, v20
	v_and_b32_e32 v3, 7, v3
	v_cndmask_b32_e32 v4, v13, v4, vcc
	v_cndmask_b32_e32 v3, v11, v3, vcc
	v_lshlrev_b32_e32 v8, 16, v7
	v_bfrev_b32_e32 v9, 60
	v_lshlrev_b32_e32 v3, 20, v3
	v_and_b32_e32 v8, 0x80000000, v8
	v_lshl_add_u32 v4, v4, 23, v9
	v_or3_b32 v33, v8, v4, v3
.LBB327_427:                            ;   in Loop: Header=BB327_9 Depth=1
	s_or_b64 exec, exec, s[36:37]
.LBB327_428:                            ;   in Loop: Header=BB327_9 Depth=1
	s_or_b64 exec, exec, s[34:35]
.LBB327_429:                            ;   in Loop: Header=BB327_9 Depth=1
	s_or_b64 exec, exec, s[16:17]
	v_lshrrev_b32_e32 v8, 16, v7
	v_mov_b32_e32 v1, 0
	v_cmp_ne_u16_sdwa s[34:35], v8, v1 src0_sel:BYTE_0 src1_sel:DWORD
	s_and_saveexec_b64 s[16:17], s[34:35]
	s_cbranch_execz .LBB327_435
; %bb.430:                              ;   in Loop: Header=BB327_9 Depth=1
	v_cmp_ne_u16_sdwa s[36:37], v8, s41 src0_sel:BYTE_0 src1_sel:DWORD
	v_bfrev_b32_e32 v34, 1
	s_and_saveexec_b64 s[34:35], s[36:37]
	s_cbranch_execz .LBB327_434
; %bb.431:                              ;   in Loop: Header=BB327_9 Depth=1
	v_bfe_u32 v3, v7, 16, 7
	v_cmp_ne_u32_e32 vcc, s42, v3
	v_mov_b32_e32 v34, 0x7f800001
	s_and_saveexec_b64 s[36:37], vcc
	s_cbranch_execz .LBB327_433
; %bb.432:                              ;   in Loop: Header=BB327_9 Depth=1
	v_and_b32_e32 v11, 7, v8
	v_lshrrev_b32_e32 v13, 3, v3
	v_cmp_gt_u32_e32 vcc, 8, v3
	v_ffbh_u32_e32 v3, v11
	v_min_u32_e32 v20, 32, v3
	v_subrev_u32_e32 v3, 28, v20
	v_lshlrev_b64 v[3:4], v3, v[8:9]
	v_sub_u32_e32 v4, 29, v20
	v_and_b32_e32 v3, 7, v3
	v_cndmask_b32_e32 v4, v13, v4, vcc
	v_cndmask_b32_e32 v3, v11, v3, vcc
	v_lshlrev_b32_e32 v8, 24, v8
	v_bfrev_b32_e32 v9, 60
	v_lshlrev_b32_e32 v3, 20, v3
	v_and_b32_e32 v8, 0x80000000, v8
	v_lshl_add_u32 v4, v4, 23, v9
	v_or3_b32 v34, v8, v4, v3
.LBB327_433:                            ;   in Loop: Header=BB327_9 Depth=1
	s_or_b64 exec, exec, s[36:37]
.LBB327_434:                            ;   in Loop: Header=BB327_9 Depth=1
	s_or_b64 exec, exec, s[34:35]
.LBB327_435:                            ;   in Loop: Header=BB327_9 Depth=1
	s_or_b64 exec, exec, s[16:17]
	v_cmp_lt_u32_e32 vcc, s43, v7
	v_mov_b32_e32 v35, 0
	v_mov_b32_e32 v32, 0
	s_and_saveexec_b64 s[16:17], vcc
	s_cbranch_execz .LBB327_441
; %bb.436:                              ;   in Loop: Header=BB327_9 Depth=1
	v_lshrrev_b32_e32 v8, 24, v7
	v_cmp_ne_u32_e32 vcc, s41, v8
	v_bfrev_b32_e32 v32, 1
	s_and_saveexec_b64 s[34:35], vcc
	s_cbranch_execz .LBB327_440
; %bb.437:                              ;   in Loop: Header=BB327_9 Depth=1
	v_bfe_u32 v3, v7, 24, 7
	v_cmp_ne_u32_e32 vcc, s42, v3
	v_mov_b32_e32 v32, 0x7f800001
	s_and_saveexec_b64 s[36:37], vcc
	s_cbranch_execz .LBB327_439
; %bb.438:                              ;   in Loop: Header=BB327_9 Depth=1
	v_and_b32_e32 v7, 7, v8
	v_lshrrev_b32_e32 v11, 3, v3
	v_cmp_gt_u32_e32 vcc, 8, v3
	v_ffbh_u32_e32 v3, v7
	v_min_u32_e32 v13, 32, v3
	v_subrev_u32_e32 v3, 28, v13
	v_lshlrev_b64 v[3:4], v3, v[8:9]
	v_sub_u32_e32 v4, 29, v13
	v_and_b32_e32 v3, 7, v3
	v_cndmask_b32_e32 v4, v11, v4, vcc
	v_cndmask_b32_e32 v3, v7, v3, vcc
	v_lshlrev_b32_e32 v7, 24, v8
	v_bfrev_b32_e32 v8, 60
	v_lshlrev_b32_e32 v3, 20, v3
	v_and_b32_e32 v7, 0x80000000, v7
	v_lshl_add_u32 v4, v4, 23, v8
	v_or3_b32 v32, v7, v4, v3
.LBB327_439:                            ;   in Loop: Header=BB327_9 Depth=1
	s_or_b64 exec, exec, s[36:37]
.LBB327_440:                            ;   in Loop: Header=BB327_9 Depth=1
	s_or_b64 exec, exec, s[34:35]
.LBB327_441:                            ;   in Loop: Header=BB327_9 Depth=1
	s_or_b64 exec, exec, s[16:17]
	buffer_load_dword v4, off, s[48:51], 0  ; 4-byte Folded Reload
	v_add_co_u32_e32 v3, vcc, 0x1200, v5
	v_addc_co_u32_e32 v13, vcc, 0, v6, vcc
	v_mov_b32_e32 v1, 0
	s_waitcnt vmcnt(0)
	v_add_co_u32_e32 v7, vcc, v3, v4
	v_addc_co_u32_e32 v8, vcc, 0, v13, vcc
	global_load_dword v7, v[7:8], off
	s_waitcnt vmcnt(0)
	v_cmp_ne_u16_sdwa s[34:35], v7, v1 src0_sel:BYTE_0 src1_sel:DWORD
	s_and_saveexec_b64 s[16:17], s[34:35]
	s_cbranch_execz .LBB327_447
; %bb.442:                              ;   in Loop: Header=BB327_9 Depth=1
	v_cmp_ne_u16_sdwa s[36:37], v7, s41 src0_sel:BYTE_0 src1_sel:DWORD
	v_bfrev_b32_e32 v35, 1
	s_and_saveexec_b64 s[34:35], s[36:37]
	s_cbranch_execz .LBB327_446
; %bb.443:                              ;   in Loop: Header=BB327_9 Depth=1
	v_and_b32_e32 v4, 0x7f, v7
	v_cmp_ne_u32_e32 vcc, s42, v4
	v_mov_b32_e32 v35, 0x7f800001
	s_and_saveexec_b64 s[36:37], vcc
	s_cbranch_execz .LBB327_445
; %bb.444:                              ;   in Loop: Header=BB327_9 Depth=1
	v_and_b32_e32 v8, 7, v7
	v_lshrrev_b32_e32 v11, 3, v4
	v_cmp_gt_u32_e32 vcc, 8, v4
	v_ffbh_u32_e32 v4, v8
	v_min_u32_e32 v4, 32, v4
	v_subrev_u32_e32 v20, 28, v4
	v_lshlrev_b64 v[23:24], v20, v[7:8]
	v_sub_u32_e32 v4, 29, v4
	v_and_b32_e32 v20, 7, v23
	v_cndmask_b32_e32 v4, v11, v4, vcc
	v_cndmask_b32_e32 v8, v8, v20, vcc
	v_lshlrev_b32_e32 v11, 24, v7
	v_bfrev_b32_e32 v9, 60
	v_lshlrev_b32_e32 v8, 20, v8
	v_and_b32_e32 v11, 0x80000000, v11
	v_lshl_add_u32 v4, v4, 23, v9
	v_or3_b32 v35, v11, v4, v8
.LBB327_445:                            ;   in Loop: Header=BB327_9 Depth=1
	s_or_b64 exec, exec, s[36:37]
.LBB327_446:                            ;   in Loop: Header=BB327_9 Depth=1
	s_or_b64 exec, exec, s[34:35]
.LBB327_447:                            ;   in Loop: Header=BB327_9 Depth=1
	s_or_b64 exec, exec, s[16:17]
	v_lshrrev_b16_e32 v8, 8, v7
	v_cmp_ne_u16_e32 vcc, 0, v8
	v_mov_b32_e32 v11, 0
	v_mov_b32_e32 v37, 0
	s_and_saveexec_b64 s[16:17], vcc
	s_cbranch_execz .LBB327_453
; %bb.448:                              ;   in Loop: Header=BB327_9 Depth=1
	v_cmp_ne_u16_e32 vcc, s41, v8
	v_bfrev_b32_e32 v37, 1
	s_and_saveexec_b64 s[34:35], vcc
	s_cbranch_execz .LBB327_452
; %bb.449:                              ;   in Loop: Header=BB327_9 Depth=1
	v_and_b32_e32 v4, 0x7f, v8
	v_cmp_ne_u32_e32 vcc, s42, v4
	v_mov_b32_e32 v37, 0x7f800001
	s_and_saveexec_b64 s[36:37], vcc
	s_cbranch_execz .LBB327_451
; %bb.450:                              ;   in Loop: Header=BB327_9 Depth=1
	v_and_b32_e32 v20, 7, v8
	v_lshrrev_b32_e32 v30, 3, v4
	v_cmp_gt_u32_e32 vcc, 8, v4
	v_ffbh_u32_e32 v4, v20
	v_min_u32_e32 v4, 32, v4
	v_subrev_u32_e32 v23, 28, v4
	v_lshlrev_b64 v[23:24], v23, v[8:9]
	v_sub_u32_e32 v4, 29, v4
	v_and_b32_e32 v8, 7, v23
	v_cndmask_b32_e32 v4, v30, v4, vcc
	v_cndmask_b32_e32 v8, v20, v8, vcc
	v_lshlrev_b32_e32 v20, 16, v7
	v_bfrev_b32_e32 v9, 60
	v_lshlrev_b32_e32 v8, 20, v8
	v_and_b32_e32 v20, 0x80000000, v20
	v_lshl_add_u32 v4, v4, 23, v9
	v_or3_b32 v37, v20, v4, v8
.LBB327_451:                            ;   in Loop: Header=BB327_9 Depth=1
	s_or_b64 exec, exec, s[36:37]
.LBB327_452:                            ;   in Loop: Header=BB327_9 Depth=1
	s_or_b64 exec, exec, s[34:35]
.LBB327_453:                            ;   in Loop: Header=BB327_9 Depth=1
	s_or_b64 exec, exec, s[16:17]
	v_lshrrev_b32_e32 v8, 16, v7
	v_mov_b32_e32 v1, 0
	v_cmp_ne_u16_sdwa s[34:35], v8, v1 src0_sel:BYTE_0 src1_sel:DWORD
	s_and_saveexec_b64 s[16:17], s[34:35]
	s_cbranch_execz .LBB327_459
; %bb.454:                              ;   in Loop: Header=BB327_9 Depth=1
	v_cmp_ne_u16_sdwa s[36:37], v8, s41 src0_sel:BYTE_0 src1_sel:DWORD
	v_bfrev_b32_e32 v11, 1
	s_and_saveexec_b64 s[34:35], s[36:37]
	s_cbranch_execz .LBB327_458
; %bb.455:                              ;   in Loop: Header=BB327_9 Depth=1
	v_bfe_u32 v4, v7, 16, 7
	v_cmp_ne_u32_e32 vcc, s42, v4
	v_mov_b32_e32 v11, 0x7f800001
	s_and_saveexec_b64 s[36:37], vcc
	s_cbranch_execz .LBB327_457
; %bb.456:                              ;   in Loop: Header=BB327_9 Depth=1
	v_and_b32_e32 v11, 7, v8
	v_lshrrev_b32_e32 v20, 3, v4
	v_cmp_gt_u32_e32 vcc, 8, v4
	v_ffbh_u32_e32 v4, v11
	v_min_u32_e32 v4, 32, v4
	v_subrev_u32_e32 v23, 28, v4
	v_lshlrev_b64 v[23:24], v23, v[8:9]
	v_sub_u32_e32 v4, 29, v4
	v_and_b32_e32 v23, 7, v23
	v_cndmask_b32_e32 v4, v20, v4, vcc
	v_cndmask_b32_e32 v11, v11, v23, vcc
	v_lshlrev_b32_e32 v8, 24, v8
	v_bfrev_b32_e32 v9, 60
	v_lshlrev_b32_e32 v11, 20, v11
	v_and_b32_e32 v8, 0x80000000, v8
	v_lshl_add_u32 v4, v4, 23, v9
	v_or3_b32 v11, v8, v4, v11
.LBB327_457:                            ;   in Loop: Header=BB327_9 Depth=1
	s_or_b64 exec, exec, s[36:37]
.LBB327_458:                            ;   in Loop: Header=BB327_9 Depth=1
	s_or_b64 exec, exec, s[34:35]
.LBB327_459:                            ;   in Loop: Header=BB327_9 Depth=1
	s_or_b64 exec, exec, s[16:17]
	v_cmp_lt_u32_e32 vcc, s43, v7
	v_mov_b32_e32 v4, 0
	v_mov_b32_e32 v36, 0
	s_and_saveexec_b64 s[16:17], vcc
	s_cbranch_execz .LBB327_465
; %bb.460:                              ;   in Loop: Header=BB327_9 Depth=1
	v_lshrrev_b32_e32 v8, 24, v7
	v_cmp_ne_u32_e32 vcc, s41, v8
	v_bfrev_b32_e32 v36, 1
	s_and_saveexec_b64 s[34:35], vcc
	s_cbranch_execz .LBB327_464
; %bb.461:                              ;   in Loop: Header=BB327_9 Depth=1
	v_bfe_u32 v7, v7, 24, 7
	v_cmp_ne_u32_e32 vcc, s42, v7
	v_mov_b32_e32 v36, 0x7f800001
	s_and_saveexec_b64 s[36:37], vcc
	s_cbranch_execz .LBB327_463
; %bb.462:                              ;   in Loop: Header=BB327_9 Depth=1
	v_and_b32_e32 v20, 7, v8
	v_lshrrev_b32_e32 v30, 3, v7
	v_cmp_gt_u32_e32 vcc, 8, v7
	v_ffbh_u32_e32 v7, v20
	v_min_u32_e32 v7, 32, v7
	v_subrev_u32_e32 v23, 28, v7
	v_lshlrev_b64 v[23:24], v23, v[8:9]
	v_sub_u32_e32 v7, 29, v7
	v_and_b32_e32 v23, 7, v23
	v_cndmask_b32_e32 v7, v30, v7, vcc
	v_cndmask_b32_e32 v20, v20, v23, vcc
	v_lshlrev_b32_e32 v8, 24, v8
	v_bfrev_b32_e32 v9, 60
	v_lshlrev_b32_e32 v20, 20, v20
	v_and_b32_e32 v8, 0x80000000, v8
	v_lshl_add_u32 v7, v7, 23, v9
	v_or3_b32 v36, v8, v7, v20
.LBB327_463:                            ;   in Loop: Header=BB327_9 Depth=1
	s_or_b64 exec, exec, s[36:37]
.LBB327_464:                            ;   in Loop: Header=BB327_9 Depth=1
	s_or_b64 exec, exec, s[34:35]
.LBB327_465:                            ;   in Loop: Header=BB327_9 Depth=1
	s_or_b64 exec, exec, s[16:17]
	buffer_load_dword v7, off, s[48:51], 0 offset:4 ; 4-byte Folded Reload
	v_mov_b32_e32 v1, 0
	s_waitcnt vmcnt(0)
	v_add_co_u32_e32 v7, vcc, v3, v7
	v_addc_co_u32_e32 v8, vcc, 0, v13, vcc
	global_load_dword v7, v[7:8], off
	s_waitcnt vmcnt(0)
	v_cmp_ne_u16_sdwa s[34:35], v7, v1 src0_sel:BYTE_0 src1_sel:DWORD
	s_and_saveexec_b64 s[16:17], s[34:35]
	s_cbranch_execz .LBB327_471
; %bb.466:                              ;   in Loop: Header=BB327_9 Depth=1
	v_cmp_ne_u16_sdwa s[36:37], v7, s41 src0_sel:BYTE_0 src1_sel:DWORD
	v_bfrev_b32_e32 v4, 1
	s_and_saveexec_b64 s[34:35], s[36:37]
	s_cbranch_execz .LBB327_470
; %bb.467:                              ;   in Loop: Header=BB327_9 Depth=1
	v_and_b32_e32 v3, 0x7f, v7
	v_cmp_ne_u32_e32 vcc, s42, v3
	v_mov_b32_e32 v4, 0x7f800001
	s_and_saveexec_b64 s[36:37], vcc
	s_cbranch_execz .LBB327_469
; %bb.468:                              ;   in Loop: Header=BB327_9 Depth=1
	v_and_b32_e32 v8, 7, v7
	v_lshrrev_b32_e32 v13, 3, v3
	v_cmp_gt_u32_e32 vcc, 8, v3
	v_ffbh_u32_e32 v3, v8
	v_min_u32_e32 v20, 32, v3
	v_subrev_u32_e32 v3, 28, v20
	v_lshlrev_b64 v[3:4], v3, v[7:8]
	v_sub_u32_e32 v4, 29, v20
	v_and_b32_e32 v3, 7, v3
	v_cndmask_b32_e32 v4, v13, v4, vcc
	v_cndmask_b32_e32 v3, v8, v3, vcc
	v_lshlrev_b32_e32 v8, 24, v7
	v_bfrev_b32_e32 v9, 60
	v_lshlrev_b32_e32 v3, 20, v3
	v_and_b32_e32 v8, 0x80000000, v8
	v_lshl_add_u32 v4, v4, 23, v9
	v_or3_b32 v4, v8, v4, v3
.LBB327_469:                            ;   in Loop: Header=BB327_9 Depth=1
	s_or_b64 exec, exec, s[36:37]
.LBB327_470:                            ;   in Loop: Header=BB327_9 Depth=1
	s_or_b64 exec, exec, s[34:35]
.LBB327_471:                            ;   in Loop: Header=BB327_9 Depth=1
	s_or_b64 exec, exec, s[16:17]
	v_lshrrev_b16_e32 v8, 8, v7
	v_cmp_ne_u16_e32 vcc, 0, v8
	v_mov_b32_e32 v20, 0
	v_mov_b32_e32 v3, 0
	s_and_saveexec_b64 s[16:17], vcc
	s_cbranch_execz .LBB327_477
; %bb.472:                              ;   in Loop: Header=BB327_9 Depth=1
	v_cmp_ne_u16_e32 vcc, s41, v8
	v_bfrev_b32_e32 v3, 1
	s_and_saveexec_b64 s[34:35], vcc
	s_cbranch_execz .LBB327_476
; %bb.473:                              ;   in Loop: Header=BB327_9 Depth=1
	v_and_b32_e32 v13, 0x7f, v8
	v_cmp_ne_u32_e32 vcc, s42, v13
	v_mov_b32_e32 v3, 0x7f800001
	s_and_saveexec_b64 s[36:37], vcc
	s_cbranch_execz .LBB327_475
; %bb.474:                              ;   in Loop: Header=BB327_9 Depth=1
	v_and_b32_e32 v3, 7, v8
	v_lshrrev_b32_e32 v30, 3, v13
	v_cmp_gt_u32_e32 vcc, 8, v13
	v_ffbh_u32_e32 v13, v3
	v_min_u32_e32 v13, 32, v13
	v_subrev_u32_e32 v23, 28, v13
	v_lshlrev_b64 v[23:24], v23, v[8:9]
	v_sub_u32_e32 v8, 29, v13
	v_and_b32_e32 v13, 7, v23
	v_cndmask_b32_e32 v8, v30, v8, vcc
	v_cndmask_b32_e32 v3, v3, v13, vcc
	v_lshlrev_b32_e32 v13, 16, v7
	v_bfrev_b32_e32 v9, 60
	v_lshlrev_b32_e32 v3, 20, v3
	v_and_b32_e32 v13, 0x80000000, v13
	v_lshl_add_u32 v8, v8, 23, v9
	v_or3_b32 v3, v13, v8, v3
.LBB327_475:                            ;   in Loop: Header=BB327_9 Depth=1
	s_or_b64 exec, exec, s[36:37]
.LBB327_476:                            ;   in Loop: Header=BB327_9 Depth=1
	s_or_b64 exec, exec, s[34:35]
.LBB327_477:                            ;   in Loop: Header=BB327_9 Depth=1
	s_or_b64 exec, exec, s[16:17]
	v_lshrrev_b32_e32 v8, 16, v7
	v_mov_b32_e32 v1, 0
	v_cmp_ne_u16_sdwa s[34:35], v8, v1 src0_sel:BYTE_0 src1_sel:DWORD
	s_and_saveexec_b64 s[16:17], s[34:35]
	s_cbranch_execz .LBB327_483
; %bb.478:                              ;   in Loop: Header=BB327_9 Depth=1
	v_cmp_ne_u16_sdwa s[36:37], v8, s41 src0_sel:BYTE_0 src1_sel:DWORD
	v_bfrev_b32_e32 v20, 1
	s_and_saveexec_b64 s[34:35], s[36:37]
	s_cbranch_execz .LBB327_482
; %bb.479:                              ;   in Loop: Header=BB327_9 Depth=1
	v_bfe_u32 v13, v7, 16, 7
	v_cmp_ne_u32_e32 vcc, s42, v13
	v_mov_b32_e32 v20, 0x7f800001
	s_and_saveexec_b64 s[36:37], vcc
	s_cbranch_execz .LBB327_481
; %bb.480:                              ;   in Loop: Header=BB327_9 Depth=1
	v_and_b32_e32 v20, 7, v8
	v_lshrrev_b32_e32 v30, 3, v13
	v_cmp_gt_u32_e32 vcc, 8, v13
	v_ffbh_u32_e32 v13, v20
	v_min_u32_e32 v13, 32, v13
	v_subrev_u32_e32 v23, 28, v13
	v_lshlrev_b64 v[23:24], v23, v[8:9]
	v_sub_u32_e32 v13, 29, v13
	v_and_b32_e32 v23, 7, v23
	v_cndmask_b32_e32 v13, v30, v13, vcc
	v_cndmask_b32_e32 v20, v20, v23, vcc
	v_lshlrev_b32_e32 v8, 24, v8
	v_bfrev_b32_e32 v9, 60
	v_lshlrev_b32_e32 v20, 20, v20
	v_and_b32_e32 v8, 0x80000000, v8
	v_lshl_add_u32 v13, v13, 23, v9
	v_or3_b32 v20, v8, v13, v20
.LBB327_481:                            ;   in Loop: Header=BB327_9 Depth=1
	s_or_b64 exec, exec, s[36:37]
.LBB327_482:                            ;   in Loop: Header=BB327_9 Depth=1
	s_or_b64 exec, exec, s[34:35]
.LBB327_483:                            ;   in Loop: Header=BB327_9 Depth=1
	s_or_b64 exec, exec, s[16:17]
	v_cmp_lt_u32_e32 vcc, s43, v7
	v_mov_b32_e32 v30, 0
	v_mov_b32_e32 v31, 0
	s_and_saveexec_b64 s[16:17], vcc
	s_cbranch_execz .LBB327_489
; %bb.484:                              ;   in Loop: Header=BB327_9 Depth=1
	v_lshrrev_b32_e32 v8, 24, v7
	v_cmp_ne_u32_e32 vcc, s41, v8
	v_bfrev_b32_e32 v31, 1
	s_and_saveexec_b64 s[34:35], vcc
	s_cbranch_execz .LBB327_488
; %bb.485:                              ;   in Loop: Header=BB327_9 Depth=1
	v_bfe_u32 v7, v7, 24, 7
	v_cmp_ne_u32_e32 vcc, s42, v7
	v_mov_b32_e32 v31, 0x7f800001
	s_and_saveexec_b64 s[36:37], vcc
	s_cbranch_execz .LBB327_487
; %bb.486:                              ;   in Loop: Header=BB327_9 Depth=1
	v_and_b32_e32 v13, 7, v8
	v_lshrrev_b32_e32 v31, 3, v7
	v_cmp_gt_u32_e32 vcc, 8, v7
	v_ffbh_u32_e32 v7, v13
	v_min_u32_e32 v7, 32, v7
	v_subrev_u32_e32 v23, 28, v7
	v_lshlrev_b64 v[23:24], v23, v[8:9]
	v_sub_u32_e32 v7, 29, v7
	v_and_b32_e32 v23, 7, v23
	v_cndmask_b32_e32 v7, v31, v7, vcc
	v_cndmask_b32_e32 v13, v13, v23, vcc
	v_lshlrev_b32_e32 v8, 24, v8
	v_bfrev_b32_e32 v9, 60
	v_lshlrev_b32_e32 v13, 20, v13
	v_and_b32_e32 v8, 0x80000000, v8
	v_lshl_add_u32 v7, v7, 23, v9
	v_or3_b32 v31, v8, v7, v13
.LBB327_487:                            ;   in Loop: Header=BB327_9 Depth=1
	s_or_b64 exec, exec, s[36:37]
.LBB327_488:                            ;   in Loop: Header=BB327_9 Depth=1
	s_or_b64 exec, exec, s[34:35]
.LBB327_489:                            ;   in Loop: Header=BB327_9 Depth=1
	s_or_b64 exec, exec, s[16:17]
	buffer_load_dword v7, off, s[48:51], 0  ; 4-byte Folded Reload
	v_add_co_u32_e32 v13, vcc, 0x1400, v5
	v_addc_co_u32_e32 v38, vcc, 0, v6, vcc
	v_mov_b32_e32 v1, 0
	s_waitcnt vmcnt(0)
	v_add_co_u32_e32 v7, vcc, v13, v7
	v_addc_co_u32_e32 v8, vcc, 0, v38, vcc
	global_load_dword v7, v[7:8], off
	s_waitcnt vmcnt(0)
	v_cmp_ne_u16_sdwa s[34:35], v7, v1 src0_sel:BYTE_0 src1_sel:DWORD
	s_and_saveexec_b64 s[16:17], s[34:35]
	s_cbranch_execz .LBB327_495
; %bb.490:                              ;   in Loop: Header=BB327_9 Depth=1
	v_cmp_ne_u16_sdwa s[36:37], v7, s41 src0_sel:BYTE_0 src1_sel:DWORD
	v_bfrev_b32_e32 v30, 1
	s_and_saveexec_b64 s[34:35], s[36:37]
	s_cbranch_execz .LBB327_494
; %bb.491:                              ;   in Loop: Header=BB327_9 Depth=1
	v_and_b32_e32 v8, 0x7f, v7
	v_cmp_ne_u32_e32 vcc, s42, v8
	v_mov_b32_e32 v30, 0x7f800001
	s_and_saveexec_b64 s[36:37], vcc
	s_cbranch_execz .LBB327_493
; %bb.492:                              ;   in Loop: Header=BB327_9 Depth=1
	v_and_b32_e32 v30, 7, v7
	v_lshrrev_b32_e32 v40, 3, v8
	v_cmp_gt_u32_e32 vcc, 8, v8
	v_ffbh_u32_e32 v8, v30
	v_min_u32_e32 v8, 32, v8
	v_subrev_u32_e32 v23, 28, v8
	v_lshlrev_b64 v[23:24], v23, v[7:8]
	v_sub_u32_e32 v8, 29, v8
	v_and_b32_e32 v23, 7, v23
	v_cndmask_b32_e32 v8, v40, v8, vcc
	v_cndmask_b32_e32 v23, v30, v23, vcc
	v_lshlrev_b32_e32 v24, 24, v7
	v_bfrev_b32_e32 v9, 60
	v_lshlrev_b32_e32 v23, 20, v23
	v_and_b32_e32 v24, 0x80000000, v24
	v_lshl_add_u32 v8, v8, 23, v9
	v_or3_b32 v30, v24, v8, v23
.LBB327_493:                            ;   in Loop: Header=BB327_9 Depth=1
	s_or_b64 exec, exec, s[36:37]
.LBB327_494:                            ;   in Loop: Header=BB327_9 Depth=1
	s_or_b64 exec, exec, s[34:35]
.LBB327_495:                            ;   in Loop: Header=BB327_9 Depth=1
	s_or_b64 exec, exec, s[16:17]
	v_lshrrev_b16_e32 v8, 8, v7
	v_cmp_ne_u16_e32 vcc, 0, v8
	v_mov_b32_e32 v23, 0
	v_mov_b32_e32 v24, 0
	s_and_saveexec_b64 s[16:17], vcc
	s_cbranch_execz .LBB327_501
; %bb.496:                              ;   in Loop: Header=BB327_9 Depth=1
	v_cmp_ne_u16_e32 vcc, s41, v8
	v_bfrev_b32_e32 v24, 1
	s_and_saveexec_b64 s[34:35], vcc
	s_cbranch_execz .LBB327_500
; %bb.497:                              ;   in Loop: Header=BB327_9 Depth=1
	v_and_b32_e32 v40, 0x7f, v8
	v_cmp_ne_u32_e32 vcc, s42, v40
	v_mov_b32_e32 v24, 0x7f800001
	s_and_saveexec_b64 s[36:37], vcc
	s_cbranch_execz .LBB327_499
; %bb.498:                              ;   in Loop: Header=BB327_9 Depth=1
	v_and_b32_e32 v24, 7, v8
	v_lshrrev_b32_e32 v44, 3, v40
	v_cmp_gt_u32_e32 vcc, 8, v40
	v_ffbh_u32_e32 v40, v24
	v_min_u32_e32 v45, 32, v40
	v_subrev_u32_e32 v40, 28, v45
	v_lshlrev_b64 v[40:41], v40, v[8:9]
	v_sub_u32_e32 v8, 29, v45
	v_and_b32_e32 v40, 7, v40
	v_cndmask_b32_e32 v8, v44, v8, vcc
	v_cndmask_b32_e32 v24, v24, v40, vcc
	v_lshlrev_b32_e32 v40, 16, v7
	v_bfrev_b32_e32 v9, 60
	v_lshlrev_b32_e32 v24, 20, v24
	v_and_b32_e32 v40, 0x80000000, v40
	v_lshl_add_u32 v8, v8, 23, v9
	v_or3_b32 v24, v40, v8, v24
.LBB327_499:                            ;   in Loop: Header=BB327_9 Depth=1
	s_or_b64 exec, exec, s[36:37]
.LBB327_500:                            ;   in Loop: Header=BB327_9 Depth=1
	s_or_b64 exec, exec, s[34:35]
.LBB327_501:                            ;   in Loop: Header=BB327_9 Depth=1
	s_or_b64 exec, exec, s[16:17]
	v_lshrrev_b32_e32 v8, 16, v7
	v_mov_b32_e32 v1, 0
	v_cmp_ne_u16_sdwa s[34:35], v8, v1 src0_sel:BYTE_0 src1_sel:DWORD
	s_and_saveexec_b64 s[16:17], s[34:35]
	s_cbranch_execz .LBB327_507
; %bb.502:                              ;   in Loop: Header=BB327_9 Depth=1
	v_cmp_ne_u16_sdwa s[36:37], v8, s41 src0_sel:BYTE_0 src1_sel:DWORD
	v_bfrev_b32_e32 v23, 1
	s_and_saveexec_b64 s[34:35], s[36:37]
	s_cbranch_execz .LBB327_506
; %bb.503:                              ;   in Loop: Header=BB327_9 Depth=1
	v_bfe_u32 v40, v7, 16, 7
	v_cmp_ne_u32_e32 vcc, s42, v40
	v_mov_b32_e32 v23, 0x7f800001
	s_and_saveexec_b64 s[36:37], vcc
	s_cbranch_execz .LBB327_505
; %bb.504:                              ;   in Loop: Header=BB327_9 Depth=1
	v_and_b32_e32 v23, 7, v8
	v_lshrrev_b32_e32 v44, 3, v40
	v_cmp_gt_u32_e32 vcc, 8, v40
	v_ffbh_u32_e32 v40, v23
	v_min_u32_e32 v45, 32, v40
	v_subrev_u32_e32 v40, 28, v45
	v_lshlrev_b64 v[40:41], v40, v[8:9]
	v_sub_u32_e32 v41, 29, v45
	v_and_b32_e32 v40, 7, v40
	v_cndmask_b32_e32 v41, v44, v41, vcc
	v_cndmask_b32_e32 v23, v23, v40, vcc
	v_lshlrev_b32_e32 v8, 24, v8
	v_bfrev_b32_e32 v9, 60
	v_lshlrev_b32_e32 v23, 20, v23
	v_and_b32_e32 v8, 0x80000000, v8
	v_lshl_add_u32 v40, v41, 23, v9
	v_or3_b32 v23, v8, v40, v23
.LBB327_505:                            ;   in Loop: Header=BB327_9 Depth=1
	s_or_b64 exec, exec, s[36:37]
.LBB327_506:                            ;   in Loop: Header=BB327_9 Depth=1
	s_or_b64 exec, exec, s[34:35]
.LBB327_507:                            ;   in Loop: Header=BB327_9 Depth=1
	s_or_b64 exec, exec, s[16:17]
	v_cmp_lt_u32_e32 vcc, s43, v7
	v_mov_b32_e32 v14, 0
	v_mov_b32_e32 v1, 0
	buffer_store_dword v1, off, s[48:51], 0 offset:120 ; 4-byte Folded Spill
	s_and_saveexec_b64 s[16:17], vcc
	s_cbranch_execz .LBB327_513
; %bb.508:                              ;   in Loop: Header=BB327_9 Depth=1
	v_lshrrev_b32_e32 v8, 24, v7
	v_cmp_ne_u32_e32 vcc, s41, v8
	v_bfrev_b32_e32 v1, 1
	buffer_store_dword v1, off, s[48:51], 0 offset:120 ; 4-byte Folded Spill
	s_and_saveexec_b64 s[34:35], vcc
	s_cbranch_execz .LBB327_512
; %bb.509:                              ;   in Loop: Header=BB327_9 Depth=1
	v_bfe_u32 v7, v7, 24, 7
	v_cmp_ne_u32_e32 vcc, s42, v7
	v_mov_b32_e32 v1, 0x7f800001
	buffer_store_dword v1, off, s[48:51], 0 offset:120 ; 4-byte Folded Spill
	s_and_saveexec_b64 s[36:37], vcc
	s_cbranch_execz .LBB327_511
; %bb.510:                              ;   in Loop: Header=BB327_9 Depth=1
	v_and_b32_e32 v44, 7, v8
	v_lshrrev_b32_e32 v45, 3, v7
	v_cmp_gt_u32_e32 vcc, 8, v7
	v_ffbh_u32_e32 v7, v44
	v_min_u32_e32 v7, 32, v7
	v_subrev_u32_e32 v40, 28, v7
	v_lshlrev_b64 v[40:41], v40, v[8:9]
	v_sub_u32_e32 v7, 29, v7
	v_and_b32_e32 v40, 7, v40
	v_cndmask_b32_e32 v7, v45, v7, vcc
	v_cndmask_b32_e32 v40, v44, v40, vcc
	v_lshlrev_b32_e32 v8, 24, v8
	v_bfrev_b32_e32 v9, 60
	v_lshlrev_b32_e32 v40, 20, v40
	v_and_b32_e32 v8, 0x80000000, v8
	v_lshl_add_u32 v7, v7, 23, v9
	v_or3_b32 v1, v8, v7, v40
	buffer_store_dword v1, off, s[48:51], 0 offset:120 ; 4-byte Folded Spill
.LBB327_511:                            ;   in Loop: Header=BB327_9 Depth=1
	s_or_b64 exec, exec, s[36:37]
.LBB327_512:                            ;   in Loop: Header=BB327_9 Depth=1
	s_or_b64 exec, exec, s[34:35]
.LBB327_513:                            ;   in Loop: Header=BB327_9 Depth=1
	s_or_b64 exec, exec, s[16:17]
	buffer_load_dword v7, off, s[48:51], 0 offset:4 ; 4-byte Folded Reload
	v_mov_b32_e32 v1, 0
	s_waitcnt vmcnt(0)
	v_add_co_u32_e32 v7, vcc, v13, v7
	v_addc_co_u32_e32 v8, vcc, 0, v38, vcc
	global_load_dword v7, v[7:8], off
	s_waitcnt vmcnt(0)
	v_cmp_ne_u16_sdwa s[34:35], v7, v1 src0_sel:BYTE_0 src1_sel:DWORD
	s_and_saveexec_b64 s[16:17], s[34:35]
	s_cbranch_execz .LBB327_519
; %bb.514:                              ;   in Loop: Header=BB327_9 Depth=1
	v_cmp_ne_u16_sdwa s[36:37], v7, s41 src0_sel:BYTE_0 src1_sel:DWORD
	v_bfrev_b32_e32 v14, 1
	s_and_saveexec_b64 s[34:35], s[36:37]
	s_cbranch_execz .LBB327_518
; %bb.515:                              ;   in Loop: Header=BB327_9 Depth=1
	v_and_b32_e32 v8, 0x7f, v7
	v_cmp_ne_u32_e32 vcc, s42, v8
	v_mov_b32_e32 v14, 0x7f800001
	s_and_saveexec_b64 s[36:37], vcc
	s_cbranch_execz .LBB327_517
; %bb.516:                              ;   in Loop: Header=BB327_9 Depth=1
	v_and_b32_e32 v13, 7, v7
	v_lshrrev_b32_e32 v38, 3, v8
	v_cmp_gt_u32_e32 vcc, 8, v8
	v_ffbh_u32_e32 v8, v13
	v_min_u32_e32 v8, 32, v8
	v_subrev_u32_e32 v40, 28, v8
	v_lshlrev_b64 v[40:41], v40, v[7:8]
	v_sub_u32_e32 v8, 29, v8
	v_and_b32_e32 v40, 7, v40
	v_cndmask_b32_e32 v8, v38, v8, vcc
	v_cndmask_b32_e32 v13, v13, v40, vcc
	v_lshlrev_b32_e32 v38, 24, v7
	v_bfrev_b32_e32 v10, 60
	v_lshlrev_b32_e32 v13, 20, v13
	v_and_b32_e32 v38, 0x80000000, v38
	v_lshl_add_u32 v8, v8, 23, v10
	v_or3_b32 v14, v38, v8, v13
.LBB327_517:                            ;   in Loop: Header=BB327_9 Depth=1
	s_or_b64 exec, exec, s[36:37]
.LBB327_518:                            ;   in Loop: Header=BB327_9 Depth=1
	s_or_b64 exec, exec, s[34:35]
.LBB327_519:                            ;   in Loop: Header=BB327_9 Depth=1
	s_or_b64 exec, exec, s[16:17]
	v_lshrrev_b16_e32 v8, 8, v7
	v_cmp_ne_u16_e32 vcc, 0, v8
	v_mov_b32_e32 v45, 0
	v_mov_b32_e32 v49, 0
	s_and_saveexec_b64 s[16:17], vcc
	s_cbranch_execz .LBB327_525
; %bb.520:                              ;   in Loop: Header=BB327_9 Depth=1
	v_cmp_ne_u16_e32 vcc, s41, v8
	v_bfrev_b32_e32 v49, 1
	s_and_saveexec_b64 s[34:35], vcc
	s_cbranch_execz .LBB327_524
; %bb.521:                              ;   in Loop: Header=BB327_9 Depth=1
	v_and_b32_e32 v13, 0x7f, v8
	v_cmp_ne_u32_e32 vcc, s42, v13
	v_mov_b32_e32 v49, 0x7f800001
	s_and_saveexec_b64 s[36:37], vcc
	s_cbranch_execz .LBB327_523
; %bb.522:                              ;   in Loop: Header=BB327_9 Depth=1
	v_and_b32_e32 v38, 7, v8
	v_lshrrev_b32_e32 v44, 3, v13
	v_cmp_gt_u32_e32 vcc, 8, v13
	v_ffbh_u32_e32 v13, v38
	v_min_u32_e32 v13, 32, v13
	v_subrev_u32_e32 v40, 28, v13
	v_lshlrev_b64 v[40:41], v40, v[8:9]
	v_sub_u32_e32 v8, 29, v13
	v_and_b32_e32 v13, 7, v40
	v_cndmask_b32_e32 v8, v44, v8, vcc
	v_cndmask_b32_e32 v13, v38, v13, vcc
	v_lshlrev_b32_e32 v38, 16, v7
	v_bfrev_b32_e32 v10, 60
	v_lshlrev_b32_e32 v13, 20, v13
	v_and_b32_e32 v38, 0x80000000, v38
	v_lshl_add_u32 v8, v8, 23, v10
	v_or3_b32 v49, v38, v8, v13
.LBB327_523:                            ;   in Loop: Header=BB327_9 Depth=1
	s_or_b64 exec, exec, s[36:37]
.LBB327_524:                            ;   in Loop: Header=BB327_9 Depth=1
	s_or_b64 exec, exec, s[34:35]
.LBB327_525:                            ;   in Loop: Header=BB327_9 Depth=1
	s_or_b64 exec, exec, s[16:17]
	v_lshrrev_b32_e32 v8, 16, v7
	v_mov_b32_e32 v1, 0
	v_cmp_ne_u16_sdwa s[34:35], v8, v1 src0_sel:BYTE_0 src1_sel:DWORD
	s_and_saveexec_b64 s[16:17], s[34:35]
	s_cbranch_execz .LBB327_531
; %bb.526:                              ;   in Loop: Header=BB327_9 Depth=1
	v_cmp_ne_u16_sdwa s[36:37], v8, s41 src0_sel:BYTE_0 src1_sel:DWORD
	v_bfrev_b32_e32 v45, 1
	s_and_saveexec_b64 s[34:35], s[36:37]
	s_cbranch_execz .LBB327_530
; %bb.527:                              ;   in Loop: Header=BB327_9 Depth=1
	v_bfe_u32 v13, v7, 16, 7
	v_cmp_ne_u32_e32 vcc, s42, v13
	v_mov_b32_e32 v45, 0x7f800001
	s_and_saveexec_b64 s[36:37], vcc
	s_cbranch_execz .LBB327_529
; %bb.528:                              ;   in Loop: Header=BB327_9 Depth=1
	v_and_b32_e32 v38, 7, v8
	v_lshrrev_b32_e32 v44, 3, v13
	v_cmp_gt_u32_e32 vcc, 8, v13
	v_ffbh_u32_e32 v13, v38
	v_min_u32_e32 v13, 32, v13
	v_subrev_u32_e32 v40, 28, v13
	v_lshlrev_b64 v[40:41], v40, v[8:9]
	v_sub_u32_e32 v13, 29, v13
	v_and_b32_e32 v40, 7, v40
	v_cndmask_b32_e32 v13, v44, v13, vcc
	v_cndmask_b32_e32 v38, v38, v40, vcc
	v_lshlrev_b32_e32 v8, 24, v8
	v_bfrev_b32_e32 v10, 60
	v_lshlrev_b32_e32 v38, 20, v38
	v_and_b32_e32 v8, 0x80000000, v8
	v_lshl_add_u32 v13, v13, 23, v10
	v_or3_b32 v45, v8, v13, v38
.LBB327_529:                            ;   in Loop: Header=BB327_9 Depth=1
	s_or_b64 exec, exec, s[36:37]
.LBB327_530:                            ;   in Loop: Header=BB327_9 Depth=1
	s_or_b64 exec, exec, s[34:35]
.LBB327_531:                            ;   in Loop: Header=BB327_9 Depth=1
	s_or_b64 exec, exec, s[16:17]
	v_cmp_lt_u32_e32 vcc, s43, v7
	v_mov_b32_e32 v44, 0
	v_mov_b32_e32 v46, 0
	s_and_saveexec_b64 s[16:17], vcc
	s_cbranch_execz .LBB327_537
; %bb.532:                              ;   in Loop: Header=BB327_9 Depth=1
	v_lshrrev_b32_e32 v8, 24, v7
	v_cmp_ne_u32_e32 vcc, s41, v8
	v_bfrev_b32_e32 v46, 1
	s_and_saveexec_b64 s[34:35], vcc
	s_cbranch_execz .LBB327_536
; %bb.533:                              ;   in Loop: Header=BB327_9 Depth=1
	v_bfe_u32 v7, v7, 24, 7
	v_cmp_ne_u32_e32 vcc, s42, v7
	v_mov_b32_e32 v46, 0x7f800001
	s_and_saveexec_b64 s[36:37], vcc
	s_cbranch_execz .LBB327_535
; %bb.534:                              ;   in Loop: Header=BB327_9 Depth=1
	v_and_b32_e32 v13, 7, v8
	v_lshrrev_b32_e32 v38, 3, v7
	v_cmp_gt_u32_e32 vcc, 8, v7
	v_ffbh_u32_e32 v7, v13
	v_min_u32_e32 v7, 32, v7
	v_subrev_u32_e32 v40, 28, v7
	v_lshlrev_b64 v[40:41], v40, v[8:9]
	v_sub_u32_e32 v7, 29, v7
	v_and_b32_e32 v40, 7, v40
	v_cndmask_b32_e32 v7, v38, v7, vcc
	v_cndmask_b32_e32 v13, v13, v40, vcc
	v_lshlrev_b32_e32 v8, 24, v8
	v_bfrev_b32_e32 v10, 60
	v_lshlrev_b32_e32 v13, 20, v13
	v_and_b32_e32 v8, 0x80000000, v8
	v_lshl_add_u32 v7, v7, 23, v10
	v_or3_b32 v46, v8, v7, v13
.LBB327_535:                            ;   in Loop: Header=BB327_9 Depth=1
	s_or_b64 exec, exec, s[36:37]
.LBB327_536:                            ;   in Loop: Header=BB327_9 Depth=1
	s_or_b64 exec, exec, s[34:35]
.LBB327_537:                            ;   in Loop: Header=BB327_9 Depth=1
	s_or_b64 exec, exec, s[16:17]
	v_add_co_u32_e32 v40, vcc, 0x1600, v5
	buffer_load_dword v5, off, s[48:51], 0  ; 4-byte Folded Reload
	v_addc_co_u32_e32 v41, vcc, 0, v6, vcc
	v_mov_b32_e32 v1, 0
	s_waitcnt vmcnt(0)
	v_add_co_u32_e32 v5, vcc, v40, v5
	v_addc_co_u32_e32 v6, vcc, 0, v41, vcc
	global_load_dword v5, v[5:6], off
	s_waitcnt vmcnt(0)
	v_cmp_ne_u16_sdwa s[34:35], v5, v1 src0_sel:BYTE_0 src1_sel:DWORD
	s_and_saveexec_b64 s[16:17], s[34:35]
	s_cbranch_execz .LBB327_543
; %bb.538:                              ;   in Loop: Header=BB327_9 Depth=1
	v_cmp_ne_u16_sdwa s[36:37], v5, s41 src0_sel:BYTE_0 src1_sel:DWORD
	v_bfrev_b32_e32 v44, 1
	s_and_saveexec_b64 s[34:35], s[36:37]
	s_cbranch_execz .LBB327_542
; %bb.539:                              ;   in Loop: Header=BB327_9 Depth=1
	v_and_b32_e32 v6, 0x7f, v5
	v_cmp_ne_u32_e32 vcc, s42, v6
	v_mov_b32_e32 v44, 0x7f800001
	s_and_saveexec_b64 s[36:37], vcc
	s_cbranch_execz .LBB327_541
; %bb.540:                              ;   in Loop: Header=BB327_9 Depth=1
	v_and_b32_e32 v8, 7, v5
	v_lshrrev_b32_e32 v13, 3, v6
	v_cmp_gt_u32_e32 vcc, 8, v6
	v_ffbh_u32_e32 v6, v8
	v_min_u32_e32 v38, 32, v6
	v_subrev_u32_e32 v6, 28, v38
	v_lshlrev_b64 v[6:7], v6, v[5:6]
	v_sub_u32_e32 v7, 29, v38
	v_and_b32_e32 v6, 7, v6
	v_cndmask_b32_e32 v7, v13, v7, vcc
	v_cndmask_b32_e32 v6, v8, v6, vcc
	v_lshlrev_b32_e32 v8, 24, v5
	v_bfrev_b32_e32 v10, 60
	v_lshlrev_b32_e32 v6, 20, v6
	v_and_b32_e32 v8, 0x80000000, v8
	v_lshl_add_u32 v7, v7, 23, v10
	v_or3_b32 v44, v8, v7, v6
.LBB327_541:                            ;   in Loop: Header=BB327_9 Depth=1
	s_or_b64 exec, exec, s[36:37]
.LBB327_542:                            ;   in Loop: Header=BB327_9 Depth=1
	s_or_b64 exec, exec, s[34:35]
.LBB327_543:                            ;   in Loop: Header=BB327_9 Depth=1
	s_or_b64 exec, exec, s[16:17]
	v_lshrrev_b16_e32 v6, 8, v5
	v_cmp_ne_u16_e32 vcc, 0, v6
	v_mov_b32_e32 v7, 0
	v_mov_b32_e32 v13, 0
	s_and_saveexec_b64 s[16:17], vcc
	s_cbranch_execz .LBB327_549
; %bb.544:                              ;   in Loop: Header=BB327_9 Depth=1
	v_cmp_ne_u16_e32 vcc, s41, v6
	v_bfrev_b32_e32 v13, 1
	s_and_saveexec_b64 s[34:35], vcc
	s_cbranch_execz .LBB327_548
; %bb.545:                              ;   in Loop: Header=BB327_9 Depth=1
	v_and_b32_e32 v8, 0x7f, v6
	v_cmp_ne_u32_e32 vcc, s42, v8
	v_mov_b32_e32 v13, 0x7f800001
	s_and_saveexec_b64 s[36:37], vcc
	s_cbranch_execz .LBB327_547
; %bb.546:                              ;   in Loop: Header=BB327_9 Depth=1
	v_and_b32_e32 v13, 7, v6
	v_lshrrev_b32_e32 v38, 3, v8
	v_cmp_gt_u32_e32 vcc, 8, v8
	v_ffbh_u32_e32 v8, v13
	v_min_u32_e32 v8, 32, v8
	v_mov_b32_e32 v10, v50
	v_subrev_u32_e32 v50, 28, v8
	v_mov_b32_e32 v52, v53
	v_mov_b32_e32 v61, v54
	v_lshlrev_b64 v[53:54], v50, v[6:7]
	v_sub_u32_e32 v6, 29, v8
	v_and_b32_e32 v8, 7, v53
	v_mov_b32_e32 v50, v10
	v_cndmask_b32_e32 v6, v38, v6, vcc
	v_cndmask_b32_e32 v8, v13, v8, vcc
	v_lshlrev_b32_e32 v13, 16, v5
	v_bfrev_b32_e32 v10, 60
	v_lshlrev_b32_e32 v8, 20, v8
	v_and_b32_e32 v13, 0x80000000, v13
	v_lshl_add_u32 v6, v6, 23, v10
	v_mov_b32_e32 v54, v61
	v_mov_b32_e32 v53, v52
	v_or3_b32 v13, v13, v6, v8
.LBB327_547:                            ;   in Loop: Header=BB327_9 Depth=1
	s_or_b64 exec, exec, s[36:37]
.LBB327_548:                            ;   in Loop: Header=BB327_9 Depth=1
	s_or_b64 exec, exec, s[34:35]
.LBB327_549:                            ;   in Loop: Header=BB327_9 Depth=1
	s_or_b64 exec, exec, s[16:17]
	v_lshrrev_b32_e32 v6, 16, v5
	v_mov_b32_e32 v1, 0
	v_cmp_ne_u16_sdwa s[34:35], v6, v1 src0_sel:BYTE_0 src1_sel:DWORD
	s_and_saveexec_b64 s[16:17], s[34:35]
	s_cbranch_execz .LBB327_555
; %bb.550:                              ;   in Loop: Header=BB327_9 Depth=1
	v_cmp_ne_u16_sdwa s[36:37], v6, s41 src0_sel:BYTE_0 src1_sel:DWORD
	v_bfrev_b32_e32 v7, 1
	s_and_saveexec_b64 s[34:35], s[36:37]
	s_cbranch_execz .LBB327_554
; %bb.551:                              ;   in Loop: Header=BB327_9 Depth=1
	v_bfe_u32 v8, v5, 16, 7
	v_cmp_ne_u32_e32 vcc, s42, v8
	v_mov_b32_e32 v7, 0x7f800001
	s_and_saveexec_b64 s[36:37], vcc
	s_cbranch_execz .LBB327_553
; %bb.552:                              ;   in Loop: Header=BB327_9 Depth=1
	v_and_b32_e32 v38, 7, v6
	v_ffbh_u32_e32 v7, v38
	v_mov_b32_e32 v52, v53
	v_min_u32_e32 v53, 32, v7
	v_subrev_u32_e32 v7, 28, v53
	v_mov_b32_e32 v10, v50
	v_lshrrev_b32_e32 v50, 3, v8
	v_cmp_gt_u32_e32 vcc, 8, v8
	v_lshlrev_b64 v[7:8], v7, v[6:7]
	v_sub_u32_e32 v8, 29, v53
	v_and_b32_e32 v7, 7, v7
	v_cndmask_b32_e32 v8, v50, v8, vcc
	v_mov_b32_e32 v50, v10
	v_cndmask_b32_e32 v7, v38, v7, vcc
	v_lshlrev_b32_e32 v6, 24, v6
	v_bfrev_b32_e32 v10, 60
	v_lshlrev_b32_e32 v7, 20, v7
	v_and_b32_e32 v6, 0x80000000, v6
	v_lshl_add_u32 v8, v8, 23, v10
	v_mov_b32_e32 v53, v52
	v_or3_b32 v7, v6, v8, v7
.LBB327_553:                            ;   in Loop: Header=BB327_9 Depth=1
	s_or_b64 exec, exec, s[36:37]
.LBB327_554:                            ;   in Loop: Header=BB327_9 Depth=1
	s_or_b64 exec, exec, s[34:35]
.LBB327_555:                            ;   in Loop: Header=BB327_9 Depth=1
	s_or_b64 exec, exec, s[16:17]
	v_cmp_lt_u32_e32 vcc, s43, v5
	v_mov_b32_e32 v38, 0
	v_mov_b32_e32 v8, 0
	s_and_saveexec_b64 s[16:17], vcc
	s_cbranch_execz .LBB327_561
; %bb.556:                              ;   in Loop: Header=BB327_9 Depth=1
	v_lshrrev_b32_e32 v6, 24, v5
	v_cmp_ne_u32_e32 vcc, s41, v6
	v_bfrev_b32_e32 v8, 1
	s_and_saveexec_b64 s[34:35], vcc
	s_cbranch_execz .LBB327_560
; %bb.557:                              ;   in Loop: Header=BB327_9 Depth=1
	v_bfe_u32 v5, v5, 24, 7
	v_cmp_ne_u32_e32 vcc, s42, v5
	v_mov_b32_e32 v8, 0x7f800001
	s_and_saveexec_b64 s[36:37], vcc
	s_cbranch_execz .LBB327_559
; %bb.558:                              ;   in Loop: Header=BB327_9 Depth=1
	v_and_b32_e32 v8, 7, v6
	v_mov_b32_e32 v10, v50
	v_lshrrev_b32_e32 v50, 3, v5
	v_cmp_gt_u32_e32 vcc, 8, v5
	v_ffbh_u32_e32 v5, v8
	v_min_u32_e32 v5, 32, v5
	v_mov_b32_e32 v52, v53
	v_subrev_u32_e32 v53, 28, v5
	v_mov_b32_e32 v61, v54
	v_lshlrev_b64 v[53:54], v53, v[6:7]
	v_sub_u32_e32 v5, 29, v5
	v_and_b32_e32 v53, 7, v53
	v_cndmask_b32_e32 v5, v50, v5, vcc
	v_mov_b32_e32 v50, v10
	v_cndmask_b32_e32 v8, v8, v53, vcc
	v_lshlrev_b32_e32 v6, 24, v6
	v_bfrev_b32_e32 v10, 60
	v_lshlrev_b32_e32 v8, 20, v8
	v_and_b32_e32 v6, 0x80000000, v6
	v_lshl_add_u32 v5, v5, 23, v10
	v_mov_b32_e32 v54, v61
	v_mov_b32_e32 v53, v52
	v_or3_b32 v8, v6, v5, v8
.LBB327_559:                            ;   in Loop: Header=BB327_9 Depth=1
	s_or_b64 exec, exec, s[36:37]
.LBB327_560:                            ;   in Loop: Header=BB327_9 Depth=1
	s_or_b64 exec, exec, s[34:35]
.LBB327_561:                            ;   in Loop: Header=BB327_9 Depth=1
	s_or_b64 exec, exec, s[16:17]
	buffer_load_dword v5, off, s[48:51], 0 offset:4 ; 4-byte Folded Reload
	v_mov_b32_e32 v1, 0
	s_waitcnt vmcnt(0)
	v_add_co_u32_e32 v5, vcc, v40, v5
	v_addc_co_u32_e32 v6, vcc, 0, v41, vcc
	global_load_dword v5, v[5:6], off
	s_waitcnt vmcnt(0)
	v_cmp_ne_u16_sdwa s[34:35], v5, v1 src0_sel:BYTE_0 src1_sel:DWORD
	s_and_saveexec_b64 s[16:17], s[34:35]
	s_cbranch_execz .LBB327_567
; %bb.562:                              ;   in Loop: Header=BB327_9 Depth=1
	v_cmp_ne_u16_sdwa s[36:37], v5, s41 src0_sel:BYTE_0 src1_sel:DWORD
	v_bfrev_b32_e32 v38, 1
	s_and_saveexec_b64 s[34:35], s[36:37]
	s_cbranch_execz .LBB327_566
; %bb.563:                              ;   in Loop: Header=BB327_9 Depth=1
	v_and_b32_e32 v6, 0x7f, v5
	v_cmp_ne_u32_e32 vcc, s42, v6
	v_mov_b32_e32 v38, 0x7f800001
	s_and_saveexec_b64 s[36:37], vcc
	s_cbranch_execz .LBB327_565
; %bb.564:                              ;   in Loop: Header=BB327_9 Depth=1
	v_and_b32_e32 v38, 7, v5
	v_mov_b32_e32 v10, v50
	v_lshrrev_b32_e32 v50, 3, v6
	v_cmp_gt_u32_e32 vcc, 8, v6
	v_ffbh_u32_e32 v6, v38
	v_min_u32_e32 v6, 32, v6
	v_subrev_u32_e32 v40, 28, v6
	v_lshlrev_b64 v[40:41], v40, v[5:6]
	v_sub_u32_e32 v6, 29, v6
	v_and_b32_e32 v40, 7, v40
	v_cndmask_b32_e32 v6, v50, v6, vcc
	v_mov_b32_e32 v50, v10
	v_cndmask_b32_e32 v38, v38, v40, vcc
	v_lshlrev_b32_e32 v40, 24, v5
	v_bfrev_b32_e32 v10, 60
	v_lshlrev_b32_e32 v38, 20, v38
	v_and_b32_e32 v40, 0x80000000, v40
	v_lshl_add_u32 v6, v6, 23, v10
	v_or3_b32 v38, v40, v6, v38
.LBB327_565:                            ;   in Loop: Header=BB327_9 Depth=1
	s_or_b64 exec, exec, s[36:37]
.LBB327_566:                            ;   in Loop: Header=BB327_9 Depth=1
	s_or_b64 exec, exec, s[34:35]
.LBB327_567:                            ;   in Loop: Header=BB327_9 Depth=1
	s_or_b64 exec, exec, s[16:17]
	v_lshrrev_b16_e32 v6, 8, v5
	v_cmp_ne_u16_e32 vcc, 0, v6
	v_mov_b32_e32 v9, 0
	v_mov_b32_e32 v41, 0
	s_and_saveexec_b64 s[16:17], vcc
	s_cbranch_execz .LBB327_573
; %bb.568:                              ;   in Loop: Header=BB327_9 Depth=1
	v_cmp_ne_u16_e32 vcc, s41, v6
	v_bfrev_b32_e32 v41, 1
	s_and_saveexec_b64 s[34:35], vcc
	s_cbranch_execz .LBB327_572
; %bb.569:                              ;   in Loop: Header=BB327_9 Depth=1
	v_mov_b32_e32 v40, v50
	v_and_b32_e32 v50, 0x7f, v6
	v_cmp_ne_u32_e32 vcc, s42, v50
	v_mov_b32_e32 v41, 0x7f800001
	s_and_saveexec_b64 s[36:37], vcc
	s_cbranch_execz .LBB327_571
; %bb.570:                              ;   in Loop: Header=BB327_9 Depth=1
	v_and_b32_e32 v41, 7, v6
	v_mov_b32_e32 v10, v55
	v_lshrrev_b32_e32 v55, 3, v50
	v_cmp_gt_u32_e32 vcc, 8, v50
	v_ffbh_u32_e32 v50, v41
	v_min_u32_e32 v50, 32, v50
	v_mov_b32_e32 v52, v53
	v_subrev_u32_e32 v53, 28, v50
	v_mov_b32_e32 v61, v54
	v_lshlrev_b64 v[53:54], v53, v[6:7]
	v_sub_u32_e32 v6, 29, v50
	v_and_b32_e32 v50, 7, v53
	v_cndmask_b32_e32 v6, v55, v6, vcc
	v_mov_b32_e32 v55, v10
	v_cndmask_b32_e32 v41, v41, v50, vcc
	v_lshlrev_b32_e32 v50, 16, v5
	v_bfrev_b32_e32 v10, 60
	v_lshlrev_b32_e32 v41, 20, v41
	v_and_b32_e32 v50, 0x80000000, v50
	v_lshl_add_u32 v6, v6, 23, v10
	v_mov_b32_e32 v54, v61
	v_mov_b32_e32 v53, v52
	v_or3_b32 v41, v50, v6, v41
.LBB327_571:                            ;   in Loop: Header=BB327_9 Depth=1
	s_or_b64 exec, exec, s[36:37]
	v_mov_b32_e32 v50, v40
.LBB327_572:                            ;   in Loop: Header=BB327_9 Depth=1
	s_or_b64 exec, exec, s[34:35]
.LBB327_573:                            ;   in Loop: Header=BB327_9 Depth=1
	s_or_b64 exec, exec, s[16:17]
	v_lshrrev_b32_e32 v6, 16, v5
	v_mov_b32_e32 v1, 0
	v_cmp_ne_u16_sdwa s[34:35], v6, v1 src0_sel:BYTE_0 src1_sel:DWORD
	s_and_saveexec_b64 s[16:17], s[34:35]
	s_cbranch_execz .LBB327_579
; %bb.574:                              ;   in Loop: Header=BB327_9 Depth=1
	v_cmp_ne_u16_sdwa s[36:37], v6, s41 src0_sel:BYTE_0 src1_sel:DWORD
	v_bfrev_b32_e32 v9, 1
	s_and_saveexec_b64 s[34:35], s[36:37]
	s_cbranch_execz .LBB327_578
; %bb.575:                              ;   in Loop: Header=BB327_9 Depth=1
	v_mov_b32_e32 v52, v50
	v_bfe_u32 v50, v5, 16, 7
	v_cmp_ne_u32_e32 vcc, s42, v50
	v_mov_b32_e32 v9, 0x7f800001
	s_and_saveexec_b64 s[36:37], vcc
	s_cbranch_execz .LBB327_577
; %bb.576:                              ;   in Loop: Header=BB327_9 Depth=1
	v_and_b32_e32 v40, 7, v6
	v_mov_b32_e32 v10, v55
	v_lshrrev_b32_e32 v55, 3, v50
	v_cmp_gt_u32_e32 vcc, 8, v50
	v_ffbh_u32_e32 v50, v40
	v_min_u32_e32 v50, 32, v50
	v_mov_b32_e32 v61, v53
	v_subrev_u32_e32 v53, 28, v50
	v_mov_b32_e32 v9, v23
	v_mov_b32_e32 v23, v24
	;; [unrolled: 1-line block ×41, first 2 shown]
	v_lshlrev_b64 v[1:2], v53, v[6:7]
	v_sub_u32_e32 v50, 29, v50
	v_and_b32_e32 v53, 7, v1
	v_cndmask_b32_e32 v50, v55, v50, vcc
	v_mov_b32_e32 v55, v10
	v_cndmask_b32_e32 v40, v40, v53, vcc
	v_lshlrev_b32_e32 v6, 24, v6
	v_bfrev_b32_e32 v10, 60
	v_lshlrev_b32_e32 v40, 20, v40
	v_and_b32_e32 v6, 0x80000000, v6
	v_lshl_add_u32 v50, v50, 23, v10
	v_mov_b32_e32 v2, v58
	v_mov_b32_e32 v58, v12
	;; [unrolled: 1-line block ×42, first 2 shown]
	v_or3_b32 v9, v6, v50, v40
.LBB327_577:                            ;   in Loop: Header=BB327_9 Depth=1
	s_or_b64 exec, exec, s[36:37]
	v_mov_b32_e32 v50, v52
.LBB327_578:                            ;   in Loop: Header=BB327_9 Depth=1
	s_or_b64 exec, exec, s[34:35]
.LBB327_579:                            ;   in Loop: Header=BB327_9 Depth=1
	s_or_b64 exec, exec, s[16:17]
	v_mov_b32_e32 v52, v9
	v_mov_b32_e32 v1, v47
	;; [unrolled: 1-line block ×3, first 2 shown]
	v_cmp_lt_u32_e32 vcc, s43, v5
	v_mov_b32_e32 v61, 0
	s_and_saveexec_b64 s[16:17], vcc
	s_cbranch_execz .LBB327_585
; %bb.580:                              ;   in Loop: Header=BB327_9 Depth=1
	v_lshrrev_b32_e32 v6, 24, v5
	v_cmp_ne_u32_e32 vcc, s41, v6
	v_bfrev_b32_e32 v61, 1
	s_and_saveexec_b64 s[34:35], vcc
	s_cbranch_execz .LBB327_584
; %bb.581:                              ;   in Loop: Header=BB327_9 Depth=1
	v_bfe_u32 v5, v5, 24, 7
	v_cmp_ne_u32_e32 vcc, s42, v5
	v_mov_b32_e32 v61, 0x7f800001
	s_and_saveexec_b64 s[36:37], vcc
	s_cbranch_execz .LBB327_583
; %bb.582:                              ;   in Loop: Header=BB327_9 Depth=1
	v_mov_b32_e32 v40, v50
	v_and_b32_e32 v50, 7, v6
	v_lshrrev_b32_e32 v55, 3, v5
	v_cmp_gt_u32_e32 vcc, 8, v5
	v_ffbh_u32_e32 v5, v50
	v_min_u32_e32 v5, 32, v5
	v_mov_b32_e32 v10, v53
	v_subrev_u32_e32 v53, 28, v5
	v_mov_b32_e32 v61, v54
	v_lshlrev_b64 v[53:54], v53, v[6:7]
	v_sub_u32_e32 v5, 29, v5
	v_and_b32_e32 v53, 7, v53
	v_cndmask_b32_e32 v5, v55, v5, vcc
	v_cndmask_b32_e32 v50, v50, v53, vcc
	v_mov_b32_e32 v53, v10
	v_lshlrev_b32_e32 v6, 24, v6
	v_bfrev_b32_e32 v10, 60
	v_lshlrev_b32_e32 v50, 20, v50
	v_and_b32_e32 v6, 0x80000000, v6
	v_lshl_add_u32 v5, v5, 23, v10
	v_mov_b32_e32 v54, v61
	v_or3_b32 v61, v6, v5, v50
	v_mov_b32_e32 v50, v40
.LBB327_583:                            ;   in Loop: Header=BB327_9 Depth=1
	s_or_b64 exec, exec, s[36:37]
.LBB327_584:                            ;   in Loop: Header=BB327_9 Depth=1
	s_or_b64 exec, exec, s[34:35]
.LBB327_585:                            ;   in Loop: Header=BB327_9 Depth=1
	s_or_b64 exec, exec, s[16:17]
	s_waitcnt lgkmcnt(0)
	v_mul_f32_e32 v5, s40, v41
	v_bfe_u32 v6, v5, 16, 1
	v_add3_u32 v6, v6, v5, s44
	v_or_b32_e32 v41, 0x400000, v5
	v_cmp_u_f32_e32 vcc, v5, v5
	v_cndmask_b32_e32 v5, v6, v41, vcc
	buffer_store_dword v5, off, s[48:51], 0 offset:184 ; 4-byte Folded Spill
	v_mul_f32_e32 v5, s40, v38
	v_bfe_u32 v6, v5, 16, 1
	v_add3_u32 v6, v6, v5, s44
	v_or_b32_e32 v38, 0x400000, v5
	v_cmp_u_f32_e32 vcc, v5, v5
	v_cndmask_b32_e32 v5, v6, v38, vcc
	buffer_store_dword v5, off, s[48:51], 0 offset:188 ; 4-byte Folded Spill
	;; [unrolled: 7-line block ×11, first 2 shown]
	buffer_load_dword v5, off, s[48:51], 0 offset:120 ; 4-byte Folded Reload
	v_mul_f32_e32 v3, s40, v3
	v_mul_f32_e32 v0, s40, v0
	s_waitcnt vmcnt(0)
	v_mul_f32_e32 v5, s40, v5
	v_bfe_u32 v6, v5, 16, 1
	v_add3_u32 v6, v6, v5, s44
	v_or_b32_e32 v7, 0x400000, v5
	v_cmp_u_f32_e32 vcc, v5, v5
	v_cndmask_b32_e32 v5, v6, v7, vcc
	buffer_store_dword v5, off, s[48:51], 0 offset:120 ; 4-byte Folded Spill
	v_mul_f32_e32 v5, s40, v24
	v_bfe_u32 v6, v5, 16, 1
	v_add3_u32 v6, v6, v5, s44
	v_or_b32_e32 v7, 0x400000, v5
	v_cmp_u_f32_e32 vcc, v5, v5
	v_cndmask_b32_e32 v5, v6, v7, vcc
	buffer_store_dword v5, off, s[48:51], 0 offset:228 ; 4-byte Folded Spill
	;; [unrolled: 7-line block ×5, first 2 shown]
	v_bfe_u32 v5, v3, 16, 1
	v_add3_u32 v5, v5, v3, s44
	v_or_b32_e32 v6, 0x400000, v3
	v_cmp_u_f32_e32 vcc, v3, v3
	v_cndmask_b32_e32 v3, v5, v6, vcc
	buffer_store_dword v3, off, s[48:51], 0 offset:244 ; 4-byte Folded Spill
	v_mul_f32_e32 v3, s40, v4
	v_bfe_u32 v4, v3, 16, 1
	v_add3_u32 v4, v4, v3, s44
	v_or_b32_e32 v5, 0x400000, v3
	v_cmp_u_f32_e32 vcc, v3, v3
	v_cndmask_b32_e32 v3, v4, v5, vcc
	buffer_store_dword v3, off, s[48:51], 0 offset:248 ; 4-byte Folded Spill
	v_mul_f32_e32 v3, s40, v11
	;; [unrolled: 7-line block ×23, first 2 shown]
	v_bfe_u32 v4, v3, 16, 1
	v_add3_u32 v4, v4, v3, s44
	v_or_b32_e32 v5, 0x400000, v3
	v_cmp_u_f32_e32 vcc, v3, v3
	v_mul_f32_e32 v3, s40, v17
	v_cndmask_b32_e32 v49, v4, v5, vcc
	v_bfe_u32 v4, v3, 16, 1
	v_add3_u32 v4, v4, v3, s44
	v_or_b32_e32 v5, 0x400000, v3
	v_cmp_u_f32_e32 vcc, v3, v3
	v_mul_f32_e32 v3, s40, v18
	v_cndmask_b32_e32 v46, v4, v5, vcc
	;; [unrolled: 6-line block ×4, first 2 shown]
	v_bfe_u32 v4, v3, 16, 1
	v_add3_u32 v4, v4, v3, s44
	v_or_b32_e32 v5, 0x400000, v3
	v_cmp_u_f32_e32 vcc, v3, v3
	v_bfe_u32 v3, v0, 16, 1
	v_cndmask_b32_e32 v17, v4, v5, vcc
	v_add3_u32 v3, v3, v0, s44
	v_or_b32_e32 v4, 0x400000, v0
	v_cmp_u_f32_e32 vcc, v0, v0
	buffer_load_dword v0, off, s[48:51], 0 offset:116 ; 4-byte Folded Reload
	v_cndmask_b32_e32 v7, v3, v4, vcc
	s_waitcnt vmcnt(0)
	v_mul_f32_e32 v0, s40, v0
	v_bfe_u32 v3, v0, 16, 1
	v_add3_u32 v3, v3, v0, s44
	v_or_b32_e32 v4, 0x400000, v0
	v_cmp_u_f32_e32 vcc, v0, v0
	v_mul_f32_e32 v0, s40, v2
	v_bfe_u32 v2, v0, 16, 1
	v_cndmask_b32_e32 v47, v3, v4, vcc
	v_add3_u32 v2, v2, v0, s44
	v_or_b32_e32 v3, 0x400000, v0
	v_cmp_u_f32_e32 vcc, v0, v0
	buffer_load_dword v0, off, s[48:51], 0 offset:160 ; 4-byte Folded Reload
	v_cndmask_b32_e32 v6, v2, v3, vcc
	s_waitcnt vmcnt(0)
	v_mul_f32_e32 v0, s40, v0
	v_bfe_u32 v3, v0, 16, 1
	v_add3_u32 v3, v3, v0, s44
	v_or_b32_e32 v4, 0x400000, v0
	v_cmp_u_f32_e32 vcc, v0, v0
	v_mul_f32_e32 v0, s40, v1
	v_bfe_u32 v1, v0, 16, 1
	v_cndmask_b32_e32 v5, v3, v4, vcc
	v_add3_u32 v1, v1, v0, s44
	v_or_b32_e32 v3, 0x400000, v0
	v_cmp_u_f32_e32 vcc, v0, v0
	v_mul_f32_e32 v0, s40, v60
	v_cndmask_b32_e32 v2, v1, v3, vcc
	v_bfe_u32 v3, v0, 16, 1
	v_add3_u32 v3, v3, v0, s44
	v_or_b32_e32 v4, 0x400000, v0
	v_cmp_u_f32_e32 vcc, v0, v0
	v_mul_f32_e32 v0, s40, v62
	v_cndmask_b32_e32 v1, v3, v4, vcc
	v_bfe_u32 v3, v0, 16, 1
	;; [unrolled: 6-line block ×7, first 2 shown]
	v_add3_u32 v3, v3, v0, s44
	v_or_b32_e32 v4, 0x400000, v0
	v_cmp_u_f32_e32 vcc, v0, v0
	buffer_load_dword v0, off, s[48:51], 0 offset:108 ; 4-byte Folded Reload
	v_cndmask_b32_e32 v54, v3, v4, vcc
	buffer_load_dword v12, off, s[48:51], 0 offset:112 ; 4-byte Folded Reload
	buffer_load_dword v16, off, s[48:51], 0 offset:12 ; 4-byte Folded Reload
	s_waitcnt vmcnt(2)
	v_mul_f32_e32 v0, s40, v0
	v_bfe_u32 v3, v0, 16, 1
	v_add3_u32 v3, v3, v0, s44
	v_or_b32_e32 v4, 0x400000, v0
	v_cmp_u_f32_e32 vcc, v0, v0
	buffer_load_dword v0, off, s[48:51], 0 offset:104 ; 4-byte Folded Reload
	v_cndmask_b32_e32 v13, v3, v4, vcc
	s_waitcnt vmcnt(0)
	v_mul_f32_e32 v0, s40, v0
	v_bfe_u32 v3, v0, 16, 1
	v_add3_u32 v3, v3, v0, s44
	v_or_b32_e32 v4, 0x400000, v0
	v_cmp_u_f32_e32 vcc, v0, v0
	buffer_load_dword v0, off, s[48:51], 0 offset:100 ; 4-byte Folded Reload
	v_cndmask_b32_e32 v63, v3, v4, vcc
	;; [unrolled: 8-line block ×4, first 2 shown]
	v_and_b32_e32 v3, 0xffff0000, v3
	s_waitcnt vmcnt(0)
	v_mul_f32_e32 v0, s40, v0
	v_bfe_u32 v4, v0, 16, 1
	v_add3_u32 v4, v4, v0, s44
	v_or_b32_e32 v8, 0x400000, v0
	v_cmp_u_f32_e32 vcc, v0, v0
	v_mul_f32_e32 v0, s40, v53
	v_cndmask_b32_e32 v4, v4, v8, vcc
	v_bfe_u32 v8, v0, 16, 1
	v_add3_u32 v8, v8, v0, s44
	v_or_b32_e32 v11, 0x400000, v0
	v_cmp_u_f32_e32 vcc, v0, v0
	buffer_load_dword v0, off, s[48:51], 0 offset:92 ; 4-byte Folded Reload
	v_cndmask_b32_e32 v53, v8, v11, vcc
	v_and_b32_e32 v4, 0xffff0000, v4
	s_waitcnt vmcnt(0)
	v_mul_f32_e32 v0, s40, v0
	v_bfe_u32 v8, v0, 16, 1
	v_add3_u32 v8, v8, v0, s44
	v_or_b32_e32 v11, 0x400000, v0
	v_cmp_u_f32_e32 vcc, v0, v0
	buffer_load_dword v0, off, s[48:51], 0 offset:152 ; 4-byte Folded Reload
	v_cndmask_b32_e32 v8, v8, v11, vcc
	v_and_b32_e32 v8, 0xffff0000, v8
	s_waitcnt vmcnt(0)
	v_mul_f32_e32 v0, s40, v0
	v_bfe_u32 v11, v0, 16, 1
	v_add3_u32 v11, v11, v0, s44
	v_or_b32_e32 v22, 0x400000, v0
	v_cmp_u_f32_e32 vcc, v0, v0
	buffer_load_dword v0, off, s[48:51], 0 offset:88 ; 4-byte Folded Reload
	v_cndmask_b32_e32 v43, v11, v22, vcc
	s_waitcnt vmcnt(0)
	v_mul_f32_e32 v0, s40, v0
	v_bfe_u32 v11, v0, 16, 1
	v_add3_u32 v11, v11, v0, s44
	v_or_b32_e32 v22, 0x400000, v0
	v_cmp_u_f32_e32 vcc, v0, v0
	buffer_load_dword v0, off, s[48:51], 0 offset:84 ; 4-byte Folded Reload
	v_cndmask_b32_e32 v39, v11, v22, vcc
	;; [unrolled: 8-line block ×18, first 2 shown]
	s_waitcnt vmcnt(0)
	v_mul_f32_e32 v0, s40, v0
	v_bfe_u32 v11, v0, 16, 1
	v_add3_u32 v11, v11, v0, s44
	v_or_b32_e32 v22, 0x400000, v0
	v_cmp_u_f32_e32 vcc, v0, v0
	v_mul_f32_e32 v0, s40, v50
	v_cndmask_b32_e32 v22, v11, v22, vcc
	v_bfe_u32 v11, v0, 16, 1
	v_add3_u32 v11, v11, v0, s44
	v_or_b32_e32 v23, 0x400000, v0
	v_cmp_u_f32_e32 vcc, v0, v0
	buffer_load_dword v0, off, s[48:51], 0 offset:132 ; 4-byte Folded Reload
	v_cndmask_b32_e32 v23, v11, v23, vcc
	s_waitcnt vmcnt(0)
	v_mul_f32_e32 v0, s40, v0
	v_bfe_u32 v11, v0, 16, 1
	v_add3_u32 v11, v11, v0, s44
	v_or_b32_e32 v34, 0x400000, v0
	v_cmp_u_f32_e32 vcc, v0, v0
	buffer_load_dword v0, off, s[48:51], 0 offset:32 ; 4-byte Folded Reload
	v_cndmask_b32_e32 v50, v11, v34, vcc
	s_waitcnt vmcnt(0)
	v_mul_f32_e32 v0, s40, v0
	;; [unrolled: 8-line block ×6, first 2 shown]
	v_bfe_u32 v11, v0, 16, 1
	v_add3_u32 v11, v11, v0, s44
	v_or_b32_e32 v35, 0x400000, v0
	v_cmp_u_f32_e32 vcc, v0, v0
	buffer_load_dword v0, off, s[48:51], 0 offset:16 ; 4-byte Folded Reload
	v_cndmask_b32_e32 v11, v11, v35, vcc
	v_and_b32_e32 v11, 0xffff0000, v11
	s_waitcnt vmcnt(0)
	v_mul_f32_e32 v0, s40, v0
	v_bfe_u32 v35, v0, 16, 1
	v_add3_u32 v35, v35, v0, s44
	v_or_b32_e32 v40, 0x400000, v0
	v_cmp_u_f32_e32 vcc, v0, v0
	v_cndmask_b32_e32 v0, v35, v40, vcc
	v_mul_f32_e32 v35, s40, v9
	buffer_load_dword v9, off, s[48:51], 0 offset:124 ; 4-byte Folded Reload
	v_bfe_u32 v40, v35, 16, 1
	v_add3_u32 v40, v40, v35, s44
	v_or_b32_e32 v10, 0x400000, v35
	v_cmp_u_f32_e32 vcc, v35, v35
	v_cndmask_b32_e32 v10, v40, v10, vcc
	v_and_b32_e32 v0, 0xffff0000, v0
	v_and_b32_e32 v10, 0xffff0000, v10
	s_waitcnt vmcnt(0)
	v_mul_f32_e32 v35, s40, v9
	v_bfe_u32 v40, v35, 16, 1
	v_add3_u32 v40, v40, v35, s44
	v_or_b32_e32 v9, 0x400000, v35
	v_cmp_u_f32_e32 vcc, v35, v35
	v_mul_f32_e32 v35, s40, v12
	v_cndmask_b32_e32 v9, v40, v9, vcc
	v_bfe_u32 v40, v35, 16, 1
	v_add3_u32 v40, v40, v35, s44
	v_or_b32_e32 v12, 0x400000, v35
	v_cmp_u_f32_e32 vcc, v35, v35
	v_mul_f32_e32 v35, s40, v16
	v_cndmask_b32_e32 v12, v40, v12, vcc
	;; [unrolled: 6-line block ×4, first 2 shown]
	v_bfe_u32 v52, v35, 16, 1
	v_add3_u32 v52, v52, v35, s44
	v_or_b32_e32 v61, 0x400000, v35
	v_cmp_u_f32_e32 vcc, v35, v35
	buffer_load_dword v35, off, s[48:51], 0 offset:360 ; 4-byte Folded Reload
	v_and_b32_e32 v16, 0xffff0000, v16
	v_and_b32_e32 v12, 0xffff0000, v12
	v_and_b32_e32 v9, 0xffff0000, v9
	v_cndmask_b32_e32 v61, v52, v61, vcc
	s_waitcnt vmcnt(0)
	v_mul_f32_e32 v0, v35, v0
	buffer_load_dword v35, off, s[48:51], 0 offset:344 ; 4-byte Folded Reload
	s_waitcnt vmcnt(0)
	v_fmac_f32_e32 v0, v35, v16
	buffer_load_dword v16, off, s[48:51], 0 offset:364 ; 4-byte Folded Reload
	s_waitcnt vmcnt(0)
	v_mul_f32_e32 v11, v16, v11
	buffer_load_dword v16, off, s[48:51], 0 offset:348 ; 4-byte Folded Reload
	s_waitcnt vmcnt(0)
	v_fmac_f32_e32 v11, v16, v12
	buffer_load_dword v16, off, s[48:51], 0 offset:368 ; 4-byte Folded Reload
	v_and_b32_e32 v12, 0xffff0000, v34
	s_waitcnt vmcnt(0)
	v_mul_f32_e32 v35, v16, v12
	buffer_load_dword v12, off, s[48:51], 0 offset:352 ; 4-byte Folded Reload
	s_waitcnt vmcnt(0)
	v_fmac_f32_e32 v35, v12, v10
	buffer_load_dword v12, off, s[48:51], 0 offset:372 ; 4-byte Folded Reload
	v_and_b32_e32 v10, 0xffff0000, v18
	;; [unrolled: 7-line block ×3, first 2 shown]
	s_waitcnt vmcnt(0)
	v_fmac_f32_e32 v0, v10, v9
	buffer_load_dword v10, off, s[48:51], 0 offset:380 ; 4-byte Folded Reload
	v_and_b32_e32 v9, 0xffff0000, v21
	s_waitcnt vmcnt(0)
	v_fmac_f32_e32 v11, v10, v9
	buffer_load_dword v10, off, s[48:51], 0 offset:384 ; 4-byte Folded Reload
	v_and_b32_e32 v9, 0xffff0000, v23
	;; [unrolled: 4-line block ×21, first 2 shown]
	s_waitcnt vmcnt(0)
	v_fmac_f32_e32 v11, v10, v9
	buffer_load_dword v9, off, s[48:51], 0 offset:464 ; 4-byte Folded Reload
	s_waitcnt vmcnt(0)
	v_fmac_f32_e32 v35, v9, v8
	buffer_load_dword v9, off, s[48:51], 0 offset:468 ; 4-byte Folded Reload
	v_and_b32_e32 v8, 0xffff0000, v43
	s_waitcnt vmcnt(0)
	v_fmac_f32_e32 v34, v9, v8
	buffer_load_dword v9, off, s[48:51], 0 offset:472 ; 4-byte Folded Reload
	v_and_b32_e32 v8, 0xffff0000, v53
	s_waitcnt vmcnt(0)
	v_fmac_f32_e32 v0, v9, v8
	buffer_load_dword v8, off, s[48:51], 0 offset:476 ; 4-byte Folded Reload
	s_waitcnt vmcnt(0)
	v_fmac_f32_e32 v11, v8, v4
	buffer_load_dword v8, off, s[48:51], 0 offset:480 ; 4-byte Folded Reload
	v_and_b32_e32 v4, 0xffff0000, v20
	s_waitcnt vmcnt(0)
	v_fmac_f32_e32 v35, v8, v4
	buffer_load_dword v4, off, s[48:51], 0 offset:484 ; 4-byte Folded Reload
	;; [unrolled: 7-line block ×3, first 2 shown]
	v_and_b32_e32 v3, 0xffff0000, v13
	s_waitcnt vmcnt(0)
	v_fmac_f32_e32 v11, v4, v3
	buffer_load_dword v4, off, s[48:51], 0 offset:496 ; 4-byte Folded Reload
	v_and_b32_e32 v3, 0xffff0000, v55
	s_waitcnt vmcnt(0)
	v_fmac_f32_e32 v35, v4, v3
	buffer_load_dword v4, off, s[48:51], 0 offset:500 ; 4-byte Folded Reload
	;; [unrolled: 4-line block ×7, first 2 shown]
	v_and_b32_e32 v3, 0xffff0000, v1
	v_and_b32_e32 v1, 0xffff0000, v2
	buffer_load_dword v2, off, s[48:51], 0 offset:528 ; 4-byte Folded Reload
	s_waitcnt vmcnt(1)
	v_fmac_f32_e32 v0, v4, v3
	buffer_load_dword v3, off, s[48:51], 0 offset:524 ; 4-byte Folded Reload
	s_waitcnt vmcnt(0)
	v_fmac_f32_e32 v11, v3, v1
	v_and_b32_e32 v1, 0xffff0000, v6
	v_fmac_f32_e32 v35, v2, v1
	buffer_load_dword v2, off, s[48:51], 0 offset:532 ; 4-byte Folded Reload
	v_and_b32_e32 v1, 0xffff0000, v5
	s_waitcnt vmcnt(0)
	v_fmac_f32_e32 v34, v2, v1
	buffer_load_dword v2, off, s[48:51], 0 offset:536 ; 4-byte Folded Reload
	v_and_b32_e32 v1, 0xffff0000, v47
	s_waitcnt vmcnt(0)
	;; [unrolled: 4-line block ×7, first 2 shown]
	v_fmac_f32_e32 v11, v2, v1
	buffer_load_dword v1, off, s[48:51], 0 offset:336 ; 4-byte Folded Reload
	buffer_load_dword v2, off, s[48:51], 0 offset:560 ; 4-byte Folded Reload
	s_waitcnt vmcnt(1)
	v_and_b32_e32 v1, 0xffff0000, v1
	s_waitcnt vmcnt(0)
	v_fmac_f32_e32 v35, v2, v1
	buffer_load_dword v2, off, s[48:51], 0 offset:564 ; 4-byte Folded Reload
	v_and_b32_e32 v1, 0xffff0000, v49
	s_waitcnt vmcnt(0)
	v_fmac_f32_e32 v34, v2, v1
	buffer_load_dword v1, off, s[48:51], 0 offset:332 ; 4-byte Folded Reload
	buffer_load_dword v2, off, s[48:51], 0 offset:568 ; 4-byte Folded Reload
	s_waitcnt vmcnt(1)
	v_and_b32_e32 v1, 0xffff0000, v1
	s_waitcnt vmcnt(0)
	v_fmac_f32_e32 v0, v2, v1
	buffer_load_dword v1, off, s[48:51], 0 offset:328 ; 4-byte Folded Reload
	buffer_load_dword v2, off, s[48:51], 0 offset:572 ; 4-byte Folded Reload
	s_waitcnt vmcnt(1)
	;; [unrolled: 6-line block ×38, first 2 shown]
	v_and_b32_e32 v1, 0xffff0000, v1
	s_waitcnt vmcnt(0)
	v_fmac_f32_e32 v11, v2, v1
	buffer_load_dword v2, off, s[48:51], 0 offset:720 ; 4-byte Folded Reload
	v_and_b32_e32 v1, 0xffff0000, v40
	v_add_f32_e32 v0, v0, v11
	s_waitcnt vmcnt(0)
	v_fmac_f32_e32 v35, v2, v1
	buffer_load_dword v2, off, s[48:51], 0 offset:724 ; 4-byte Folded Reload
	v_and_b32_e32 v1, 0xffff0000, v61
	v_add_f32_e32 v0, v0, v35
	s_waitcnt vmcnt(0)
	v_fmac_f32_e32 v34, v2, v1
	buffer_load_dword v1, off, s[48:51], 0 offset:736 ; 4-byte Folded Reload
	v_add_f32_e32 v0, v0, v34
	s_waitcnt vmcnt(0)
	ds_bpermute_b32 v1, v1, v0
	s_mov_b64 s[16:17], exec
	buffer_load_dword v7, off, s[48:51], 0 offset:180 ; 4-byte Folded Reload
	s_and_b64 s[34:35], s[16:17], s[2:3]
	s_mov_b64 exec, s[34:35]
	s_cbranch_execz .LBB327_8
; %bb.586:                              ;   in Loop: Header=BB327_9 Depth=1
	buffer_load_dword v4, off, s[48:51], 0 offset:164 ; 4-byte Folded Reload
	buffer_load_dword v3, off, s[48:51], 0 offset:340 ; 4-byte Folded Reload
	s_waitcnt lgkmcnt(0)
	v_add_f32_e32 v0, v0, v1
	s_waitcnt vmcnt(1)
	v_add_u32_e32 v2, s38, v4
	v_cmp_gt_i32_e32 vcc, s30, v4
	buffer_load_dword v4, off, s[48:51], 0 offset:168 ; 4-byte Folded Reload
	v_cvt_f32_i32_e32 v2, v2
	s_waitcnt vmcnt(1)
	v_max_f32_e32 v1, v3, v3
	v_mul_f32_e32 v2, s33, v2
	v_cndmask_b32_e64 v2, 0, v2, s[4:5]
	v_fmac_f32_e32 v2, s31, v0
	v_cndmask_b32_e32 v0, 0, v2, vcc
	s_waitcnt vmcnt(0)
	ds_write_b32 v4, v0
	v_max_f32_e32 v0, v1, v2
	v_cndmask_b32_e32 v3, v3, v0, vcc
	buffer_store_dword v3, off, s[48:51], 0 offset:340 ; 4-byte Folded Spill
	s_branch .LBB327_8
.LBB327_587:
	s_or_b64 exec, exec, s[14:15]
	buffer_load_dword v11, off, s[48:51], 0 offset:748 ; 4-byte Folded Reload
	buffer_load_dword v12, off, s[48:51], 0 offset:756 ; 4-byte Folded Reload
	;; [unrolled: 1-line block ×3, first 2 shown]
.LBB327_588:
	s_or_b64 exec, exec, s[6:7]
	buffer_load_dword v7, off, s[48:51], 0 offset:740 ; 4-byte Folded Reload
	buffer_load_dword v8, off, s[48:51], 0 offset:744 ; 4-byte Folded Reload
	;; [unrolled: 1-line block ×3, first 2 shown]
	s_waitcnt vmcnt(5)
	v_and_b32_e32 v19, 63, v11
	s_waitcnt vmcnt(2)
	v_xor_b32_e32 v0, 32, v7
	s_waitcnt vmcnt(1)
	v_cmp_lt_i32_e32 vcc, v0, v8
	v_cndmask_b32_e32 v0, v7, v0, vcc
	v_lshlrev_b32_e32 v0, 2, v0
	s_waitcnt vmcnt(0) lgkmcnt(0)
	ds_bpermute_b32 v1, v0, v2
	v_xor_b32_e32 v3, 16, v7
	v_max_f32_e32 v2, v2, v2
	v_cmp_lt_i32_e32 vcc, v3, v8
	v_xor_b32_e32 v4, 8, v7
	s_waitcnt lgkmcnt(0)
	v_max_f32_e32 v1, v1, v1
	v_max_f32_e32 v2, v2, v1
	v_cndmask_b32_e32 v1, v7, v3, vcc
	v_lshlrev_b32_e32 v1, 2, v1
	ds_bpermute_b32 v3, v1, v2
	v_cmp_lt_i32_e32 vcc, v4, v8
	v_xor_b32_e32 v5, 4, v7
	v_xor_b32_e32 v6, 2, v7
	s_waitcnt lgkmcnt(0)
	v_max_f32_e32 v3, v3, v3
	v_max_f32_e32 v3, v2, v3
	v_cndmask_b32_e32 v2, v7, v4, vcc
	v_lshlrev_b32_e32 v2, 2, v2
	ds_bpermute_b32 v4, v2, v3
	v_cmp_lt_i32_e32 vcc, v5, v8
	s_waitcnt lgkmcnt(0)
	v_max_f32_e32 v4, v4, v4
	v_max_f32_e32 v4, v3, v4
	v_cndmask_b32_e32 v3, v7, v5, vcc
	v_lshlrev_b32_e32 v3, 2, v3
	ds_bpermute_b32 v5, v3, v4
	v_cmp_lt_i32_e32 vcc, v6, v8
	s_waitcnt lgkmcnt(0)
	v_max_f32_e32 v5, v5, v5
	v_max_f32_e32 v5, v4, v5
	v_cndmask_b32_e32 v4, v7, v6, vcc
	v_lshlrev_b32_e32 v13, 2, v4
	buffer_load_dword v4, off, s[48:51], 0 offset:8 ; 4-byte Folded Reload
	ds_bpermute_b32 v6, v13, v5
	v_cmp_eq_u32_e32 vcc, 0, v19
	s_waitcnt vmcnt(0)
	v_lshlrev_b32_e32 v4, 2, v4
	s_and_saveexec_b64 s[2:3], vcc
	s_cbranch_execz .LBB327_590
; %bb.589:
	s_waitcnt lgkmcnt(0)
	v_max_f32_e32 v6, v6, v6
	v_max_f32_e32 v5, v5, v5
	;; [unrolled: 1-line block ×3, first 2 shown]
	ds_write_b32 v4, v5 offset:384
.LBB327_590:
	s_or_b64 exec, exec, s[2:3]
	v_cmp_gt_u32_e64 s[2:3], 2, v19
	s_waitcnt lgkmcnt(0)
	v_mov_b32_e32 v6, 0xff7fffff
	v_lshlrev_b32_e32 v5, 2, v19
	s_barrier
	s_and_saveexec_b64 s[4:5], s[2:3]
; %bb.591:
	ds_read_b32 v6, v5 offset:384
; %bb.592:
	s_or_b64 exec, exec, s[4:5]
	buffer_load_dword v8, off, s[48:51], 0 offset:740 ; 4-byte Folded Reload
	buffer_load_dword v9, off, s[48:51], 0 offset:744 ; 4-byte Folded Reload
	s_waitcnt vmcnt(1)
	v_xor_b32_e32 v7, 1, v8
	s_waitcnt vmcnt(0)
	v_cmp_lt_i32_e64 s[4:5], v7, v9
	v_cndmask_b32_e64 v7, v8, v7, s[4:5]
	v_lshlrev_b32_e32 v18, 2, v7
	s_waitcnt lgkmcnt(0)
	ds_bpermute_b32 v7, v18, v6
	v_max_f32_e32 v6, v6, v6
	s_lshl_b32 s4, s21, 5
	s_min_i32 s31, s4, s30
	v_cmp_gt_i32_e64 s[4:5], s31, v11
	s_waitcnt lgkmcnt(0)
	v_max_f32_e32 v7, v7, v7
	v_max_f32_e32 v6, v6, v7
	buffer_load_dword v7, off, s[48:51], 0 offset:752 ; 4-byte Folded Reload
	s_waitcnt vmcnt(0)
	v_lshlrev_b32_e32 v7, 2, v7
	ds_bpermute_b32 v7, v7, v6
	v_mov_b32_e32 v6, 0
	s_and_saveexec_b64 s[14:15], s[4:5]
	s_cbranch_execz .LBB327_596
; %bb.593:
	v_mov_b32_e32 v6, 0x190
	v_lshl_add_u32 v8, v11, 2, v6
	v_mov_b32_e32 v6, 0
	s_mov_b64 s[16:17], 0
	v_mov_b32_e32 v9, v11
.LBB327_594:                            ; =>This Inner Loop Header: Depth=1
	ds_read_b32 v10, v8
	v_add_u32_e32 v9, 0x80, v9
	v_cmp_le_i32_e64 s[6:7], s31, v9
	s_or_b64 s[16:17], s[6:7], s[16:17]
	s_waitcnt lgkmcnt(0)
	v_sub_f32_e32 v10, v10, v7
	v_mul_f32_e32 v10, 0x3fb8aa3b, v10
	v_exp_f32_e32 v10, v10
	ds_write_b32 v8, v10
	v_add_f32_e32 v6, v6, v10
	v_add_u32_e32 v8, 0x200, v8
	s_andn2_b64 exec, exec, s[16:17]
	s_cbranch_execnz .LBB327_594
; %bb.595:
	s_or_b64 exec, exec, s[16:17]
.LBB327_596:
	s_or_b64 exec, exec, s[14:15]
	ds_bpermute_b32 v0, v0, v6
	s_waitcnt lgkmcnt(0)
	v_add_f32_e32 v0, v6, v0
	ds_bpermute_b32 v1, v1, v0
	s_waitcnt lgkmcnt(0)
	v_add_f32_e32 v0, v0, v1
	ds_bpermute_b32 v1, v2, v0
	s_waitcnt lgkmcnt(0)
	v_add_f32_e32 v0, v0, v1
	ds_bpermute_b32 v1, v3, v0
	s_waitcnt lgkmcnt(0)
	v_add_f32_e32 v0, v0, v1
	ds_bpermute_b32 v1, v13, v0
	s_waitcnt lgkmcnt(0)
	v_add_f32_e32 v0, v0, v1
	ds_bpermute_b32 v1, v18, v0
	s_waitcnt lgkmcnt(0)
	v_add_f32_e32 v0, v0, v1
	s_and_saveexec_b64 s[6:7], vcc
; %bb.597:
	ds_write_b32 v4, v0 offset:392
; %bb.598:
	s_or_b64 exec, exec, s[6:7]
	s_waitcnt lgkmcnt(0)
	s_barrier
	s_and_saveexec_b64 s[6:7], s[2:3]
; %bb.599:
	ds_read_b32 v0, v5 offset:392
; %bb.600:
	s_or_b64 exec, exec, s[6:7]
	buffer_load_dword v2, off, s[48:51], 0 offset:740 ; 4-byte Folded Reload
	s_waitcnt lgkmcnt(0)
	ds_bpermute_b32 v1, v18, v0
	s_waitcnt lgkmcnt(0)
	v_add_f32_e32 v0, v0, v1
	s_waitcnt vmcnt(0)
	v_lshlrev_b32_e32 v2, 2, v2
	v_and_b32_e32 v1, 0xffffff00, v2
	ds_bpermute_b32 v0, v1, v0
	s_and_saveexec_b64 s[2:3], s[4:5]
	s_cbranch_execz .LBB327_603
; %bb.601:
	s_waitcnt lgkmcnt(0)
	v_add_f32_e32 v1, 0x358637bd, v0
	v_div_scale_f32 v0, s[4:5], v1, v1, 1.0
	v_div_scale_f32 v2, vcc, 1.0, v1, 1.0
	s_mov_b64 s[4:5], 0
	v_rcp_f32_e32 v3, v0
	v_fma_f32 v4, -v0, v3, 1.0
	v_fmac_f32_e32 v3, v4, v3
	v_mul_f32_e32 v4, v2, v3
	v_fma_f32 v5, -v0, v4, v2
	v_fmac_f32_e32 v4, v5, v3
	v_fma_f32 v0, -v0, v4, v2
	v_div_fmas_f32 v2, v0, v3, v4
	v_mov_b32_e32 v0, 0x190
	v_lshl_add_u32 v0, v11, 2, v0
	v_div_fixup_f32 v1, v2, v1, 1.0
	v_mov_b32_e32 v2, v11
.LBB327_602:                            ; =>This Inner Loop Header: Depth=1
	ds_read_b32 v3, v0
	v_add_u32_e32 v2, 0x80, v2
	v_cmp_le_i32_e32 vcc, s31, v2
	s_or_b64 s[4:5], vcc, s[4:5]
	s_waitcnt lgkmcnt(0)
	v_mul_f32_e32 v3, v1, v3
	ds_write_b32 v0, v3
	v_add_u32_e32 v0, 0x200, v0
	s_andn2_b64 exec, exec, s[4:5]
	s_cbranch_execnz .LBB327_602
.LBB327_603:
	s_or_b64 exec, exec, s[2:3]
	s_waitcnt lgkmcnt(0)
	v_mov_b32_e32 v0, 0
	s_barrier
	buffer_store_dword v0, off, s[48:51], 0 offset:264 ; 4-byte Folded Spill
	v_mov_b32_e32 v0, 0
	buffer_store_dword v0, off, s[48:51], 0 offset:260 ; 4-byte Folded Spill
	v_mov_b32_e32 v0, 0
	v_mov_b32_e32 v61, 0
	v_and_b32_e32 v20, 3, v11
	v_mov_b32_e32 v46, 0
	v_mov_b32_e32 v60, 0
	;; [unrolled: 1-line block ×7, first 2 shown]
	buffer_store_dword v0, off, s[48:51], 0 offset:256 ; 4-byte Folded Spill
	v_mov_b32_e32 v0, 0
	buffer_store_dword v0, off, s[48:51], 0 offset:252 ; 4-byte Folded Spill
	s_and_saveexec_b64 s[2:3], s[0:1]
	s_cbranch_execz .LBB327_1207
; %bb.604:
	s_ashr_i32 s0, s12, 31
	s_add_u32 s1, s28, s12
	s_addc_u32 s0, s29, s0
	v_and_b32_e32 v1, 0x1f8, v12
	v_mov_b32_e32 v2, s0
	v_add_co_u32_e32 v1, vcc, s1, v1
	buffer_store_dword v18, off, s[48:51], 0 offset:284 ; 4-byte Folded Spill
	buffer_store_dword v13, off, s[48:51], 0 offset:280 ; 4-byte Folded Spill
	;; [unrolled: 1-line block ×3, first 2 shown]
	v_addc_co_u32_e32 v2, vcc, 0, v2, vcc
	s_load_dword s18, s[18:19], 0x0
	buffer_store_dword v1, off, s[48:51], 0 offset:268 ; 4-byte Folded Spill
	s_nop 0
	buffer_store_dword v2, off, s[48:51], 0 offset:272 ; 4-byte Folded Spill
	buffer_load_dword v2, off, s[48:51], 0 offset:8 ; 4-byte Folded Reload
	v_and_b32_e32 v0, 24, v12
	s_add_i32 s19, s21, -1
	s_lshl_b64 s[0:1], s[26:27], 2
	s_add_u32 s0, s24, s0
	s_addc_u32 s1, s25, s1
	s_mov_b32 s4, -1
	s_mov_b32 s31, s13
	s_mov_b32 s5, 0xffffff
	v_mov_b32_e32 v10, 0
	s_mov_b64 s[6:7], 0
	s_movk_i32 s24, 0x80
	s_movk_i32 s25, 0x7f
	;; [unrolled: 1-line block ×3, first 2 shown]
	v_bfrev_b32_e32 v40, 60
	v_mov_b32_e32 v41, 0
	v_mov_b32_e32 v38, 0
	;; [unrolled: 1-line block ×8, first 2 shown]
	buffer_store_dword v20, off, s[48:51], 0 offset:288 ; 4-byte Folded Spill
	s_waitcnt vmcnt(1)
	v_lshlrev_b32_e32 v1, 5, v2
	v_or3_b32 v37, v1, v0, 7
	v_lshlrev_b32_e32 v0, 5, v20
	v_lshl_or_b32 v0, v2, 7, v0
	v_add_u32_e32 v47, 0x190, v0
	v_and_b32_e32 v0, 60, v14
	v_add_co_u32_e32 v13, vcc, s0, v0
	v_mov_b32_e32 v0, 0
	buffer_store_dword v0, off, s[48:51], 0 offset:252 ; 4-byte Folded Spill
	v_mov_b32_e32 v0, 0
	v_mov_b32_e32 v1, s1
	buffer_store_dword v0, off, s[48:51], 0 offset:256 ; 4-byte Folded Spill
	v_mov_b32_e32 v0, 0
	v_addc_co_u32_e32 v14, vcc, 0, v1, vcc
	buffer_store_dword v0, off, s[48:51], 0 offset:260 ; 4-byte Folded Spill
	v_mov_b32_e32 v0, 0
	buffer_store_dword v0, off, s[48:51], 0 offset:264 ; 4-byte Folded Spill
	s_branch .LBB327_606
.LBB327_605:                            ;   in Loop: Header=BB327_606 Depth=1
	s_or_b64 exec, exec, s[12:13]
	buffer_load_dword v0, off, s[48:51], 0 offset:256 ; 4-byte Folded Reload
	v_bfe_u32 v11, v5, 16, 1
	v_add3_u32 v11, v11, v5, s26
	v_or_b32_e32 v34, 0x400000, v5
	v_cmp_u_f32_e32 vcc, v5, v5
	v_bfe_u32 v5, v6, 16, 1
	v_cndmask_b32_e32 v34, v11, v34, vcc
	v_add3_u32 v5, v5, v6, s26
	v_or_b32_e32 v11, 0x400000, v6
	v_cmp_u_f32_e32 vcc, v6, v6
	v_cndmask_b32_e32 v35, v5, v11, vcc
	v_bfe_u32 v5, v7, 16, 1
	v_add3_u32 v5, v5, v7, s26
	v_or_b32_e32 v6, 0x400000, v7
	v_cmp_u_f32_e32 vcc, v7, v7
	v_cndmask_b32_e32 v5, v5, v6, vcc
	v_bfe_u32 v6, v8, 16, 1
	;; [unrolled: 5-line block ×3, first 2 shown]
	v_add3_u32 v7, v7, v1, s26
	v_or_b32_e32 v8, 0x400000, v1
	v_cmp_u_f32_e32 vcc, v1, v1
	v_bfe_u32 v1, v2, 16, 1
	v_cndmask_b32_e32 v7, v7, v8, vcc
	v_add3_u32 v1, v1, v2, s26
	v_or_b32_e32 v8, 0x400000, v2
	v_cmp_u_f32_e32 vcc, v2, v2
	v_cndmask_b32_e32 v11, v1, v8, vcc
	v_bfe_u32 v1, v3, 16, 1
	v_add3_u32 v1, v1, v3, s26
	v_or_b32_e32 v2, 0x400000, v3
	v_cmp_u_f32_e32 vcc, v3, v3
	v_cndmask_b32_e32 v8, v1, v2, vcc
	v_bfe_u32 v1, v4, 16, 1
	v_add3_u32 v1, v1, v4, s26
	v_or_b32_e32 v2, 0x400000, v4
	v_cmp_u_f32_e32 vcc, v4, v4
	v_cndmask_b32_e32 v36, v1, v2, vcc
	v_and_b32_e32 v1, 0xffff0000, v35
	v_lshlrev_b32_e32 v2, 16, v33
	v_mul_f32_e32 v2, v1, v2
	v_bfe_u32 v3, v2, 16, 1
	v_add3_u32 v3, v3, v2, s26
	v_or_b32_e32 v4, 0x400000, v2
	v_cmp_u_f32_e32 vcc, v2, v2
	v_cndmask_b32_e32 v33, v3, v4, vcc
	v_and_b32_e32 v4, 0xffff0000, v34
	v_lshlrev_b32_e32 v2, 16, v32
	v_mul_f32_e32 v2, v4, v2
	;; [unrolled: 8-line block ×5, first 2 shown]
	v_bfe_u32 v11, v5, 16, 1
	v_add3_u32 v11, v11, v5, s26
	v_or_b32_e32 v27, 0x400000, v5
	v_cmp_u_f32_e32 vcc, v5, v5
	v_and_b32_e32 v7, 0xffff0000, v7
	v_lshlrev_b32_e32 v5, 16, v26
	v_mul_f32_e32 v5, v7, v5
	v_bfe_u32 v26, v5, 16, 1
	v_cndmask_b32_e32 v11, v11, v27, vcc
	v_add3_u32 v26, v26, v5, s26
	v_or_b32_e32 v27, 0x400000, v5
	v_cmp_u_f32_e32 vcc, v5, v5
	v_cndmask_b32_e32 v26, v26, v27, vcc
	v_and_b32_e32 v5, 0xffff0000, v36
	v_lshlrev_b32_e32 v27, 16, v30
	v_mul_f32_e32 v27, v5, v27
	v_bfe_u32 v30, v27, 16, 1
	v_and_b32_e32 v8, 0xffff0000, v8
	v_lshlrev_b32_e32 v28, 16, v28
	v_add3_u32 v30, v30, v27, s26
	v_or_b32_e32 v34, 0x400000, v27
	v_cmp_u_f32_e32 vcc, v27, v27
	v_mul_f32_e32 v28, v8, v28
	v_cndmask_b32_e32 v27, v30, v34, vcc
	v_bfe_u32 v30, v28, 16, 1
	v_add3_u32 v30, v30, v28, s26
	v_or_b32_e32 v34, 0x400000, v28
	v_cmp_u_f32_e32 vcc, v28, v28
	v_cndmask_b32_e32 v28, v30, v34, vcc
	v_and_b32_e32 v30, 0xffff0000, v32
	v_and_b32_e32 v32, 0xffff0000, v33
	;; [unrolled: 1-line block ×4, first 2 shown]
	v_add_f32_e32 v30, v30, v32
	v_add_f32_e32 v29, v29, v31
	v_and_b32_e32 v26, 0xffff0000, v26
	v_and_b32_e32 v11, 0xffff0000, v11
	v_add_f32_e32 v29, v29, v30
	v_add_f32_e32 v11, v26, v11
	v_and_b32_e32 v26, 0xffff0000, v28
	v_and_b32_e32 v27, 0xffff0000, v27
	v_add_f32_e32 v11, v11, v29
	v_add_f32_e32 v26, v26, v27
	;; [unrolled: 1-line block ×3, first 2 shown]
	s_waitcnt vmcnt(0)
	v_add_f32_e32 v0, v0, v11
	buffer_store_dword v0, off, s[48:51], 0 offset:256 ; 4-byte Folded Spill
	buffer_load_dword v0, off, s[48:51], 0 offset:260 ; 4-byte Folded Reload
	v_lshlrev_b32_e32 v11, 16, v56
	v_mul_f32_e32 v11, v1, v11
	v_bfe_u32 v26, v11, 16, 1
	v_add3_u32 v26, v26, v11, s26
	v_or_b32_e32 v27, 0x400000, v11
	v_cmp_u_f32_e32 vcc, v11, v11
	v_cndmask_b32_e32 v11, v26, v27, vcc
	v_lshlrev_b32_e32 v26, 16, v55
	v_mul_f32_e32 v26, v4, v26
	v_bfe_u32 v27, v26, 16, 1
	v_lshlrev_b32_e32 v22, 16, v22
	v_add3_u32 v27, v27, v26, s26
	v_or_b32_e32 v28, 0x400000, v26
	v_cmp_u_f32_e32 vcc, v26, v26
	v_mul_f32_e32 v22, v2, v22
	v_cndmask_b32_e32 v26, v27, v28, vcc
	v_bfe_u32 v27, v22, 16, 1
	v_lshlrev_b32_e32 v21, 16, v21
	v_add3_u32 v27, v27, v22, s26
	v_or_b32_e32 v28, 0x400000, v22
	v_cmp_u_f32_e32 vcc, v22, v22
	v_mul_f32_e32 v21, v6, v21
	v_cndmask_b32_e32 v22, v27, v28, vcc
	v_bfe_u32 v27, v21, 16, 1
	v_add3_u32 v27, v27, v21, s26
	v_or_b32_e32 v28, 0x400000, v21
	v_cmp_u_f32_e32 vcc, v21, v21
	v_cndmask_b32_e32 v21, v27, v28, vcc
	v_lshlrev_b32_e32 v27, 16, v63
	v_mul_f32_e32 v27, v3, v27
	v_bfe_u32 v28, v27, 16, 1
	v_add3_u32 v28, v28, v27, s26
	v_or_b32_e32 v29, 0x400000, v27
	v_cmp_u_f32_e32 vcc, v27, v27
	v_cndmask_b32_e32 v27, v28, v29, vcc
	v_lshlrev_b32_e32 v28, 16, v62
	v_mul_f32_e32 v28, v7, v28
	v_bfe_u32 v29, v28, 16, 1
	v_lshlrev_b32_e32 v23, 16, v23
	v_add3_u32 v29, v29, v28, s26
	v_or_b32_e32 v30, 0x400000, v28
	v_cmp_u_f32_e32 vcc, v28, v28
	v_mul_f32_e32 v23, v5, v23
	v_cndmask_b32_e32 v28, v29, v30, vcc
	v_bfe_u32 v29, v23, 16, 1
	v_lshlrev_b32_e32 v24, 16, v24
	v_add3_u32 v29, v29, v23, s26
	v_or_b32_e32 v30, 0x400000, v23
	v_cmp_u_f32_e32 vcc, v23, v23
	v_mul_f32_e32 v24, v8, v24
	v_and_b32_e32 v26, 0xffff0000, v26
	v_and_b32_e32 v11, 0xffff0000, v11
	;; [unrolled: 1-line block ×4, first 2 shown]
	v_cndmask_b32_e32 v23, v29, v30, vcc
	v_bfe_u32 v29, v24, 16, 1
	v_add_f32_e32 v11, v26, v11
	v_add_f32_e32 v21, v21, v22
	v_add3_u32 v29, v29, v24, s26
	v_or_b32_e32 v30, 0x400000, v24
	v_cmp_u_f32_e32 vcc, v24, v24
	v_add_f32_e32 v11, v21, v11
	v_and_b32_e32 v21, 0xffff0000, v28
	v_and_b32_e32 v22, 0xffff0000, v27
	v_cndmask_b32_e32 v24, v29, v30, vcc
	v_add_f32_e32 v21, v21, v22
	v_add_f32_e32 v11, v21, v11
	v_and_b32_e32 v21, 0xffff0000, v24
	v_and_b32_e32 v22, 0xffff0000, v23
	v_add_f32_e32 v21, v21, v22
	v_add_f32_e32 v11, v21, v11
	v_add_u32_e32 v37, 64, v37
	v_add_u32_e32 v47, 0x100, v47
	buffer_load_dword v20, off, s[48:51], 0 offset:232 ; 4-byte Folded Reload
	s_waitcnt vmcnt(1)
	v_add_f32_e32 v0, v0, v11
	buffer_store_dword v0, off, s[48:51], 0 offset:260 ; 4-byte Folded Spill
	buffer_load_dword v0, off, s[48:51], 0 offset:248 ; 4-byte Folded Reload
	v_lshlrev_b32_e32 v11, 16, v54
	v_mul_f32_e32 v11, v1, v11
	v_bfe_u32 v21, v11, 16, 1
	v_add3_u32 v21, v21, v11, s26
	v_or_b32_e32 v22, 0x400000, v11
	v_cmp_u_f32_e32 vcc, v11, v11
	v_cndmask_b32_e32 v11, v21, v22, vcc
	v_lshlrev_b32_e32 v21, 16, v53
	v_mul_f32_e32 v21, v4, v21
	v_bfe_u32 v22, v21, 16, 1
	v_add3_u32 v22, v22, v21, s26
	v_or_b32_e32 v23, 0x400000, v21
	v_cmp_u_f32_e32 vcc, v21, v21
	v_cndmask_b32_e32 v21, v22, v23, vcc
	v_lshlrev_b32_e32 v22, 16, v51
	v_mul_f32_e32 v22, v2, v22
	v_bfe_u32 v23, v22, 16, 1
	v_add3_u32 v23, v23, v22, s26
	v_or_b32_e32 v24, 0x400000, v22
	v_cmp_u_f32_e32 vcc, v22, v22
	v_cndmask_b32_e32 v22, v23, v24, vcc
	v_lshlrev_b32_e32 v23, 16, v50
	v_mul_f32_e32 v23, v6, v23
	v_bfe_u32 v24, v23, 16, 1
	v_add3_u32 v24, v24, v23, s26
	v_or_b32_e32 v26, 0x400000, v23
	v_cmp_u_f32_e32 vcc, v23, v23
	v_cndmask_b32_e32 v23, v24, v26, vcc
	v_and_b32_e32 v21, 0xffff0000, v21
	v_and_b32_e32 v11, 0xffff0000, v11
	v_add_f32_e32 v11, v21, v11
	v_and_b32_e32 v21, 0xffff0000, v23
	v_and_b32_e32 v22, 0xffff0000, v22
	v_add_f32_e32 v21, v21, v22
	v_add_f32_e32 v11, v21, v11
	s_waitcnt vmcnt(0)
	v_lshlrev_b32_e32 v24, 16, v0
	buffer_load_dword v0, off, s[48:51], 0 offset:244 ; 4-byte Folded Reload
	v_mul_f32_e32 v24, v3, v24
	v_bfe_u32 v26, v24, 16, 1
	v_add3_u32 v26, v26, v24, s26
	v_or_b32_e32 v27, 0x400000, v24
	v_cmp_u_f32_e32 vcc, v24, v24
	v_cndmask_b32_e32 v24, v26, v27, vcc
	v_and_b32_e32 v21, 0xffff0000, v24
	s_waitcnt vmcnt(0)
	v_lshlrev_b32_e32 v0, 16, v0
	v_mul_f32_e32 v0, v7, v0
	v_bfe_u32 v26, v0, 16, 1
	v_add3_u32 v26, v26, v0, s26
	v_or_b32_e32 v27, 0x400000, v0
	v_cmp_u_f32_e32 vcc, v0, v0
	v_cndmask_b32_e32 v0, v26, v27, vcc
	v_lshlrev_b32_e32 v26, 16, v52
	v_mul_f32_e32 v26, v5, v26
	v_bfe_u32 v27, v26, 16, 1
	v_add3_u32 v27, v27, v26, s26
	v_or_b32_e32 v28, 0x400000, v26
	v_cmp_u_f32_e32 vcc, v26, v26
	v_cndmask_b32_e32 v26, v27, v28, vcc
	v_lshlrev_b32_e32 v27, 16, v49
	v_mul_f32_e32 v27, v8, v27
	v_bfe_u32 v28, v27, 16, 1
	v_add3_u32 v28, v28, v27, s26
	v_or_b32_e32 v29, 0x400000, v27
	v_cmp_u_f32_e32 vcc, v27, v27
	v_and_b32_e32 v0, 0xffff0000, v0
	v_cndmask_b32_e32 v27, v28, v29, vcc
	v_add_f32_e32 v0, v0, v21
	v_add_f32_e32 v0, v0, v11
	v_and_b32_e32 v11, 0xffff0000, v27
	v_and_b32_e32 v21, 0xffff0000, v26
	v_add_f32_e32 v11, v11, v21
	v_add_f32_e32 v0, v11, v0
	buffer_load_dword v11, off, s[48:51], 0 offset:264 ; 4-byte Folded Reload
	s_waitcnt vmcnt(0)
	v_add_f32_e32 v11, v11, v0
	buffer_load_dword v0, off, s[48:51], 0 offset:240 ; 4-byte Folded Reload
	s_waitcnt vmcnt(0)
	v_lshlrev_b32_e32 v0, 16, v0
	v_mul_f32_e32 v0, v1, v0
	buffer_store_dword v11, off, s[48:51], 0 offset:264 ; 4-byte Folded Spill
	v_bfe_u32 v11, v0, 16, 1
	v_add3_u32 v11, v11, v0, s26
	v_or_b32_e32 v12, 0x400000, v0
	v_cmp_u_f32_e32 vcc, v0, v0
	v_cndmask_b32_e32 v0, v11, v12, vcc
	buffer_load_dword v11, off, s[48:51], 0 offset:236 ; 4-byte Folded Reload
	v_and_b32_e32 v0, 0xffff0000, v0
	s_waitcnt vmcnt(0)
	v_lshlrev_b32_e32 v11, 16, v11
	v_mul_f32_e32 v11, v4, v11
	v_bfe_u32 v12, v11, 16, 1
	v_add3_u32 v12, v12, v11, s26
	v_or_b32_e32 v21, 0x400000, v11
	v_cmp_u_f32_e32 vcc, v11, v11
	v_cndmask_b32_e32 v11, v12, v21, vcc
	v_lshlrev_b32_e32 v12, 16, v44
	v_mul_f32_e32 v12, v2, v12
	v_bfe_u32 v21, v12, 16, 1
	v_add3_u32 v21, v21, v12, s26
	v_or_b32_e32 v22, 0x400000, v12
	v_cmp_u_f32_e32 vcc, v12, v12
	v_cndmask_b32_e32 v12, v21, v22, vcc
	;; [unrolled: 7-line block ×3, first 2 shown]
	v_lshlrev_b32_e32 v22, 16, v20
	buffer_load_dword v20, off, s[48:51], 0 offset:228 ; 4-byte Folded Reload
	v_mul_f32_e32 v22, v3, v22
	v_bfe_u32 v23, v22, 16, 1
	v_add3_u32 v23, v23, v22, s26
	v_or_b32_e32 v24, 0x400000, v22
	v_cmp_u_f32_e32 vcc, v22, v22
	v_cndmask_b32_e32 v22, v23, v24, vcc
	v_and_b32_e32 v11, 0xffff0000, v11
	v_add_f32_e32 v0, v11, v0
	v_and_b32_e32 v11, 0xffff0000, v21
	v_and_b32_e32 v12, 0xffff0000, v12
	v_add_f32_e32 v11, v11, v12
	v_add_f32_e32 v0, v11, v0
	v_and_b32_e32 v12, 0xffff0000, v22
	s_waitcnt vmcnt(0)
	v_lshlrev_b32_e32 v23, 16, v20
	v_mul_f32_e32 v23, v7, v23
	v_bfe_u32 v24, v23, 16, 1
	v_add3_u32 v24, v24, v23, s26
	v_or_b32_e32 v26, 0x400000, v23
	v_cmp_u_f32_e32 vcc, v23, v23
	v_cndmask_b32_e32 v23, v24, v26, vcc
	v_lshlrev_b32_e32 v24, 16, v45
	v_mul_f32_e32 v24, v5, v24
	v_bfe_u32 v26, v24, 16, 1
	v_add3_u32 v26, v26, v24, s26
	v_or_b32_e32 v27, 0x400000, v24
	v_cmp_u_f32_e32 vcc, v24, v24
	v_cndmask_b32_e32 v24, v26, v27, vcc
	v_lshlrev_b32_e32 v26, 16, v42
	v_mul_f32_e32 v26, v8, v26
	v_bfe_u32 v27, v26, 16, 1
	v_add3_u32 v27, v27, v26, s26
	v_or_b32_e32 v28, 0x400000, v26
	v_cmp_u_f32_e32 vcc, v26, v26
	v_and_b32_e32 v11, 0xffff0000, v23
	v_cndmask_b32_e32 v26, v27, v28, vcc
	v_add_f32_e32 v11, v11, v12
	v_add_f32_e32 v0, v11, v0
	v_and_b32_e32 v11, 0xffff0000, v26
	v_and_b32_e32 v12, 0xffff0000, v24
	v_add_f32_e32 v11, v11, v12
	v_add_f32_e32 v0, v11, v0
	;; [unrolled: 1-line block ×3, first 2 shown]
	buffer_load_dword v0, off, s[48:51], 0 offset:224 ; 4-byte Folded Reload
	s_waitcnt vmcnt(0)
	v_lshlrev_b32_e32 v0, 16, v0
	v_mul_f32_e32 v0, v1, v0
	v_bfe_u32 v11, v0, 16, 1
	v_add3_u32 v11, v11, v0, s26
	v_or_b32_e32 v12, 0x400000, v0
	v_cmp_u_f32_e32 vcc, v0, v0
	v_cndmask_b32_e32 v0, v11, v12, vcc
	buffer_load_dword v11, off, s[48:51], 0 offset:220 ; 4-byte Folded Reload
	v_and_b32_e32 v0, 0xffff0000, v0
	s_waitcnt vmcnt(0)
	v_lshlrev_b32_e32 v11, 16, v11
	v_mul_f32_e32 v11, v4, v11
	v_bfe_u32 v12, v11, 16, 1
	v_add3_u32 v12, v12, v11, s26
	v_or_b32_e32 v20, 0x400000, v11
	v_cmp_u_f32_e32 vcc, v11, v11
	v_cndmask_b32_e32 v11, v12, v20, vcc
	buffer_load_dword v12, off, s[48:51], 0 offset:212 ; 4-byte Folded Reload
	v_and_b32_e32 v11, 0xffff0000, v11
	v_add_f32_e32 v0, v11, v0
	s_waitcnt vmcnt(0)
	v_lshlrev_b32_e32 v12, 16, v12
	v_mul_f32_e32 v12, v2, v12
	v_bfe_u32 v20, v12, 16, 1
	v_add3_u32 v20, v20, v12, s26
	v_or_b32_e32 v21, 0x400000, v12
	v_cmp_u_f32_e32 vcc, v12, v12
	v_cndmask_b32_e32 v12, v20, v21, vcc
	buffer_load_dword v20, off, s[48:51], 0 offset:208 ; 4-byte Folded Reload
	v_and_b32_e32 v12, 0xffff0000, v12
	s_waitcnt vmcnt(0)
	v_lshlrev_b32_e32 v20, 16, v20
	v_mul_f32_e32 v20, v6, v20
	v_bfe_u32 v21, v20, 16, 1
	v_add3_u32 v21, v21, v20, s26
	v_or_b32_e32 v22, 0x400000, v20
	v_cmp_u_f32_e32 vcc, v20, v20
	v_cndmask_b32_e32 v20, v21, v22, vcc
	buffer_load_dword v21, off, s[48:51], 0 offset:204 ; 4-byte Folded Reload
	v_and_b32_e32 v11, 0xffff0000, v20
	v_add_f32_e32 v11, v11, v12
	v_add_f32_e32 v0, v11, v0
	s_waitcnt vmcnt(0)
	v_lshlrev_b32_e32 v21, 16, v21
	v_mul_f32_e32 v21, v3, v21
	v_bfe_u32 v22, v21, 16, 1
	v_add3_u32 v22, v22, v21, s26
	v_or_b32_e32 v23, 0x400000, v21
	v_cmp_u_f32_e32 vcc, v21, v21
	v_cndmask_b32_e32 v21, v22, v23, vcc
	buffer_load_dword v22, off, s[48:51], 0 offset:200 ; 4-byte Folded Reload
	v_and_b32_e32 v12, 0xffff0000, v21
	s_waitcnt vmcnt(0)
	v_lshlrev_b32_e32 v22, 16, v22
	v_mul_f32_e32 v22, v7, v22
	v_bfe_u32 v23, v22, 16, 1
	v_add3_u32 v23, v23, v22, s26
	v_or_b32_e32 v24, 0x400000, v22
	v_cmp_u_f32_e32 vcc, v22, v22
	v_cndmask_b32_e32 v22, v23, v24, vcc
	buffer_load_dword v23, off, s[48:51], 0 offset:216 ; 4-byte Folded Reload
	v_and_b32_e32 v11, 0xffff0000, v22
	v_add_f32_e32 v11, v11, v12
	v_add_f32_e32 v0, v11, v0
	s_waitcnt vmcnt(0)
	v_lshlrev_b32_e32 v23, 16, v23
	v_mul_f32_e32 v23, v5, v23
	v_bfe_u32 v24, v23, 16, 1
	v_add3_u32 v24, v24, v23, s26
	v_or_b32_e32 v26, 0x400000, v23
	v_cmp_u_f32_e32 vcc, v23, v23
	v_cndmask_b32_e32 v23, v24, v26, vcc
	v_lshlrev_b32_e32 v24, 16, v48
	v_mul_f32_e32 v24, v8, v24
	v_bfe_u32 v26, v24, 16, 1
	v_add3_u32 v26, v26, v24, s26
	v_or_b32_e32 v27, 0x400000, v24
	v_cmp_u_f32_e32 vcc, v24, v24
	v_cndmask_b32_e32 v24, v26, v27, vcc
	v_and_b32_e32 v11, 0xffff0000, v24
	v_and_b32_e32 v12, 0xffff0000, v23
	v_add_f32_e32 v11, v11, v12
	v_add_f32_e32 v0, v11, v0
	;; [unrolled: 1-line block ×3, first 2 shown]
	buffer_load_dword v0, off, s[48:51], 0 offset:196 ; 4-byte Folded Reload
	s_waitcnt vmcnt(0)
	v_lshlrev_b32_e32 v0, 16, v0
	v_mul_f32_e32 v0, v1, v0
	v_bfe_u32 v11, v0, 16, 1
	v_add3_u32 v11, v11, v0, s26
	v_or_b32_e32 v12, 0x400000, v0
	v_cmp_u_f32_e32 vcc, v0, v0
	v_cndmask_b32_e32 v0, v11, v12, vcc
	buffer_load_dword v11, off, s[48:51], 0 offset:192 ; 4-byte Folded Reload
	v_and_b32_e32 v0, 0xffff0000, v0
	s_waitcnt vmcnt(0)
	v_lshlrev_b32_e32 v11, 16, v11
	v_mul_f32_e32 v11, v4, v11
	v_bfe_u32 v12, v11, 16, 1
	v_add3_u32 v12, v12, v11, s26
	v_or_b32_e32 v20, 0x400000, v11
	v_cmp_u_f32_e32 vcc, v11, v11
	v_cndmask_b32_e32 v11, v12, v20, vcc
	buffer_load_dword v12, off, s[48:51], 0 offset:184 ; 4-byte Folded Reload
	v_and_b32_e32 v11, 0xffff0000, v11
	v_add_f32_e32 v0, v11, v0
	s_waitcnt vmcnt(0)
	v_lshlrev_b32_e32 v12, 16, v12
	v_mul_f32_e32 v12, v2, v12
	v_bfe_u32 v20, v12, 16, 1
	v_add3_u32 v20, v20, v12, s26
	v_or_b32_e32 v21, 0x400000, v12
	v_cmp_u_f32_e32 vcc, v12, v12
	v_cndmask_b32_e32 v12, v20, v21, vcc
	buffer_load_dword v20, off, s[48:51], 0 offset:180 ; 4-byte Folded Reload
	v_and_b32_e32 v12, 0xffff0000, v12
	s_waitcnt vmcnt(0)
	v_lshlrev_b32_e32 v20, 16, v20
	v_mul_f32_e32 v20, v6, v20
	v_bfe_u32 v21, v20, 16, 1
	v_add3_u32 v21, v21, v20, s26
	v_or_b32_e32 v22, 0x400000, v20
	v_cmp_u_f32_e32 vcc, v20, v20
	v_cndmask_b32_e32 v20, v21, v22, vcc
	buffer_load_dword v21, off, s[48:51], 0 offset:168 ; 4-byte Folded Reload
	v_and_b32_e32 v11, 0xffff0000, v20
	v_add_f32_e32 v11, v11, v12
	v_add_f32_e32 v0, v11, v0
	s_waitcnt vmcnt(0)
	v_lshlrev_b32_e32 v21, 16, v21
	v_mul_f32_e32 v21, v3, v21
	v_bfe_u32 v22, v21, 16, 1
	v_add3_u32 v22, v22, v21, s26
	v_or_b32_e32 v23, 0x400000, v21
	v_cmp_u_f32_e32 vcc, v21, v21
	v_cndmask_b32_e32 v21, v22, v23, vcc
	buffer_load_dword v22, off, s[48:51], 0 offset:164 ; 4-byte Folded Reload
	v_and_b32_e32 v12, 0xffff0000, v21
	s_waitcnt vmcnt(0)
	v_lshlrev_b32_e32 v22, 16, v22
	v_mul_f32_e32 v22, v7, v22
	v_bfe_u32 v23, v22, 16, 1
	v_add3_u32 v23, v23, v22, s26
	v_or_b32_e32 v24, 0x400000, v22
	v_cmp_u_f32_e32 vcc, v22, v22
	v_cndmask_b32_e32 v22, v23, v24, vcc
	buffer_load_dword v23, off, s[48:51], 0 offset:188 ; 4-byte Folded Reload
	v_and_b32_e32 v11, 0xffff0000, v22
	v_add_f32_e32 v11, v11, v12
	v_add_f32_e32 v0, v11, v0
	s_waitcnt vmcnt(0)
	v_lshlrev_b32_e32 v23, 16, v23
	v_mul_f32_e32 v23, v5, v23
	v_bfe_u32 v24, v23, 16, 1
	v_add3_u32 v24, v24, v23, s26
	v_or_b32_e32 v26, 0x400000, v23
	v_cmp_u_f32_e32 vcc, v23, v23
	v_cndmask_b32_e32 v23, v24, v26, vcc
	buffer_load_dword v24, off, s[48:51], 0 offset:172 ; 4-byte Folded Reload
	v_and_b32_e32 v12, 0xffff0000, v23
	s_waitcnt vmcnt(0)
	v_lshlrev_b32_e32 v24, 16, v24
	v_mul_f32_e32 v24, v8, v24
	v_bfe_u32 v26, v24, 16, 1
	v_add3_u32 v26, v26, v24, s26
	v_or_b32_e32 v27, 0x400000, v24
	v_cmp_u_f32_e32 vcc, v24, v24
	v_cndmask_b32_e32 v24, v26, v27, vcc
	v_and_b32_e32 v11, 0xffff0000, v24
	v_add_f32_e32 v11, v11, v12
	v_add_f32_e32 v0, v11, v0
	;; [unrolled: 1-line block ×3, first 2 shown]
	buffer_load_dword v0, off, s[48:51], 0 offset:160 ; 4-byte Folded Reload
	s_waitcnt vmcnt(0)
	v_lshlrev_b32_e32 v0, 16, v0
	v_mul_f32_e32 v0, v1, v0
	v_bfe_u32 v11, v0, 16, 1
	v_add3_u32 v11, v11, v0, s26
	v_or_b32_e32 v12, 0x400000, v0
	v_cmp_u_f32_e32 vcc, v0, v0
	v_cndmask_b32_e32 v0, v11, v12, vcc
	buffer_load_dword v11, off, s[48:51], 0 offset:156 ; 4-byte Folded Reload
	v_and_b32_e32 v0, 0xffff0000, v0
	s_waitcnt vmcnt(0)
	v_lshlrev_b32_e32 v11, 16, v11
	v_mul_f32_e32 v11, v4, v11
	v_bfe_u32 v12, v11, 16, 1
	v_add3_u32 v12, v12, v11, s26
	v_or_b32_e32 v20, 0x400000, v11
	v_cmp_u_f32_e32 vcc, v11, v11
	v_cndmask_b32_e32 v11, v12, v20, vcc
	buffer_load_dword v12, off, s[48:51], 0 offset:148 ; 4-byte Folded Reload
	v_and_b32_e32 v11, 0xffff0000, v11
	v_add_f32_e32 v0, v11, v0
	s_waitcnt vmcnt(0)
	v_lshlrev_b32_e32 v12, 16, v12
	v_mul_f32_e32 v12, v2, v12
	v_bfe_u32 v20, v12, 16, 1
	v_add3_u32 v20, v20, v12, s26
	v_or_b32_e32 v21, 0x400000, v12
	v_cmp_u_f32_e32 vcc, v12, v12
	v_cndmask_b32_e32 v12, v20, v21, vcc
	buffer_load_dword v20, off, s[48:51], 0 offset:144 ; 4-byte Folded Reload
	v_and_b32_e32 v12, 0xffff0000, v12
	s_waitcnt vmcnt(0)
	v_lshlrev_b32_e32 v20, 16, v20
	v_mul_f32_e32 v20, v6, v20
	v_bfe_u32 v21, v20, 16, 1
	v_add3_u32 v21, v21, v20, s26
	v_or_b32_e32 v22, 0x400000, v20
	v_cmp_u_f32_e32 vcc, v20, v20
	v_cndmask_b32_e32 v20, v21, v22, vcc
	buffer_load_dword v21, off, s[48:51], 0 offset:136 ; 4-byte Folded Reload
	v_and_b32_e32 v11, 0xffff0000, v20
	v_add_f32_e32 v11, v11, v12
	v_add_f32_e32 v0, v11, v0
	s_waitcnt vmcnt(0)
	v_lshlrev_b32_e32 v21, 16, v21
	v_mul_f32_e32 v21, v3, v21
	v_bfe_u32 v22, v21, 16, 1
	v_add3_u32 v22, v22, v21, s26
	v_or_b32_e32 v23, 0x400000, v21
	v_cmp_u_f32_e32 vcc, v21, v21
	v_cndmask_b32_e32 v21, v22, v23, vcc
	buffer_load_dword v22, off, s[48:51], 0 offset:132 ; 4-byte Folded Reload
	v_and_b32_e32 v12, 0xffff0000, v21
	s_waitcnt vmcnt(0)
	v_lshlrev_b32_e32 v22, 16, v22
	v_mul_f32_e32 v22, v7, v22
	v_bfe_u32 v23, v22, 16, 1
	v_add3_u32 v23, v23, v22, s26
	v_or_b32_e32 v24, 0x400000, v22
	v_cmp_u_f32_e32 vcc, v22, v22
	v_cndmask_b32_e32 v22, v23, v24, vcc
	buffer_load_dword v23, off, s[48:51], 0 offset:152 ; 4-byte Folded Reload
	v_and_b32_e32 v11, 0xffff0000, v22
	v_add_f32_e32 v11, v11, v12
	v_add_f32_e32 v0, v11, v0
	s_waitcnt vmcnt(0)
	v_lshlrev_b32_e32 v23, 16, v23
	v_mul_f32_e32 v23, v5, v23
	v_bfe_u32 v24, v23, 16, 1
	v_add3_u32 v24, v24, v23, s26
	v_or_b32_e32 v26, 0x400000, v23
	v_cmp_u_f32_e32 vcc, v23, v23
	v_cndmask_b32_e32 v23, v24, v26, vcc
	buffer_load_dword v24, off, s[48:51], 0 offset:140 ; 4-byte Folded Reload
	v_and_b32_e32 v12, 0xffff0000, v23
	s_waitcnt vmcnt(0)
	v_lshlrev_b32_e32 v24, 16, v24
	v_mul_f32_e32 v24, v8, v24
	v_bfe_u32 v26, v24, 16, 1
	v_add3_u32 v26, v26, v24, s26
	v_or_b32_e32 v27, 0x400000, v24
	v_cmp_u_f32_e32 vcc, v24, v24
	v_cndmask_b32_e32 v24, v26, v27, vcc
	v_and_b32_e32 v11, 0xffff0000, v24
	v_add_f32_e32 v11, v11, v12
	v_add_f32_e32 v0, v11, v0
	;; [unrolled: 1-line block ×3, first 2 shown]
	buffer_load_dword v0, off, s[48:51], 0 offset:128 ; 4-byte Folded Reload
	s_waitcnt vmcnt(0)
	v_lshlrev_b32_e32 v0, 16, v0
	v_mul_f32_e32 v0, v1, v0
	v_bfe_u32 v11, v0, 16, 1
	v_add3_u32 v11, v11, v0, s26
	v_or_b32_e32 v12, 0x400000, v0
	v_cmp_u_f32_e32 vcc, v0, v0
	v_cndmask_b32_e32 v0, v11, v12, vcc
	buffer_load_dword v11, off, s[48:51], 0 offset:124 ; 4-byte Folded Reload
	v_and_b32_e32 v0, 0xffff0000, v0
	s_waitcnt vmcnt(0)
	v_lshlrev_b32_e32 v11, 16, v11
	v_mul_f32_e32 v11, v4, v11
	v_bfe_u32 v12, v11, 16, 1
	v_add3_u32 v12, v12, v11, s26
	v_or_b32_e32 v20, 0x400000, v11
	v_cmp_u_f32_e32 vcc, v11, v11
	v_cndmask_b32_e32 v11, v12, v20, vcc
	buffer_load_dword v12, off, s[48:51], 0 offset:116 ; 4-byte Folded Reload
	v_and_b32_e32 v11, 0xffff0000, v11
	v_add_f32_e32 v0, v11, v0
	s_waitcnt vmcnt(0)
	v_lshlrev_b32_e32 v12, 16, v12
	v_mul_f32_e32 v12, v2, v12
	v_bfe_u32 v20, v12, 16, 1
	v_add3_u32 v20, v20, v12, s26
	v_or_b32_e32 v21, 0x400000, v12
	v_cmp_u_f32_e32 vcc, v12, v12
	v_cndmask_b32_e32 v12, v20, v21, vcc
	buffer_load_dword v20, off, s[48:51], 0 offset:112 ; 4-byte Folded Reload
	v_and_b32_e32 v12, 0xffff0000, v12
	s_waitcnt vmcnt(0)
	v_lshlrev_b32_e32 v20, 16, v20
	v_mul_f32_e32 v20, v6, v20
	v_bfe_u32 v21, v20, 16, 1
	v_add3_u32 v21, v21, v20, s26
	v_or_b32_e32 v22, 0x400000, v20
	v_cmp_u_f32_e32 vcc, v20, v20
	v_cndmask_b32_e32 v20, v21, v22, vcc
	buffer_load_dword v21, off, s[48:51], 0 offset:104 ; 4-byte Folded Reload
	v_and_b32_e32 v11, 0xffff0000, v20
	v_add_f32_e32 v11, v11, v12
	v_add_f32_e32 v0, v11, v0
	s_waitcnt vmcnt(0)
	v_lshlrev_b32_e32 v21, 16, v21
	v_mul_f32_e32 v21, v3, v21
	v_bfe_u32 v22, v21, 16, 1
	v_add3_u32 v22, v22, v21, s26
	v_or_b32_e32 v23, 0x400000, v21
	v_cmp_u_f32_e32 vcc, v21, v21
	v_cndmask_b32_e32 v21, v22, v23, vcc
	buffer_load_dword v22, off, s[48:51], 0 offset:100 ; 4-byte Folded Reload
	v_and_b32_e32 v12, 0xffff0000, v21
	s_waitcnt vmcnt(0)
	v_lshlrev_b32_e32 v22, 16, v22
	v_mul_f32_e32 v22, v7, v22
	v_bfe_u32 v23, v22, 16, 1
	v_add3_u32 v23, v23, v22, s26
	v_or_b32_e32 v24, 0x400000, v22
	v_cmp_u_f32_e32 vcc, v22, v22
	v_cndmask_b32_e32 v22, v23, v24, vcc
	buffer_load_dword v23, off, s[48:51], 0 offset:120 ; 4-byte Folded Reload
	v_and_b32_e32 v11, 0xffff0000, v22
	v_add_f32_e32 v11, v11, v12
	v_add_f32_e32 v0, v11, v0
	s_waitcnt vmcnt(0)
	v_lshlrev_b32_e32 v23, 16, v23
	v_mul_f32_e32 v23, v5, v23
	v_bfe_u32 v24, v23, 16, 1
	v_add3_u32 v24, v24, v23, s26
	v_or_b32_e32 v26, 0x400000, v23
	v_cmp_u_f32_e32 vcc, v23, v23
	v_cndmask_b32_e32 v23, v24, v26, vcc
	buffer_load_dword v24, off, s[48:51], 0 offset:108 ; 4-byte Folded Reload
	v_and_b32_e32 v12, 0xffff0000, v23
	s_waitcnt vmcnt(0)
	v_lshlrev_b32_e32 v24, 16, v24
	v_mul_f32_e32 v24, v8, v24
	v_bfe_u32 v26, v24, 16, 1
	v_add3_u32 v26, v26, v24, s26
	v_or_b32_e32 v27, 0x400000, v24
	v_cmp_u_f32_e32 vcc, v24, v24
	v_cndmask_b32_e32 v24, v26, v27, vcc
	v_and_b32_e32 v11, 0xffff0000, v24
	v_add_f32_e32 v11, v11, v12
	v_add_f32_e32 v0, v11, v0
	;; [unrolled: 1-line block ×3, first 2 shown]
	buffer_load_dword v0, off, s[48:51], 0 offset:96 ; 4-byte Folded Reload
	s_waitcnt vmcnt(0)
	v_lshlrev_b32_e32 v0, 16, v0
	v_mul_f32_e32 v0, v1, v0
	v_bfe_u32 v11, v0, 16, 1
	v_add3_u32 v11, v11, v0, s26
	v_or_b32_e32 v12, 0x400000, v0
	v_cmp_u_f32_e32 vcc, v0, v0
	v_cndmask_b32_e32 v0, v11, v12, vcc
	buffer_load_dword v11, off, s[48:51], 0 offset:92 ; 4-byte Folded Reload
	v_and_b32_e32 v0, 0xffff0000, v0
	s_waitcnt vmcnt(0)
	v_lshlrev_b32_e32 v11, 16, v11
	v_mul_f32_e32 v11, v4, v11
	v_bfe_u32 v12, v11, 16, 1
	v_add3_u32 v12, v12, v11, s26
	v_or_b32_e32 v20, 0x400000, v11
	v_cmp_u_f32_e32 vcc, v11, v11
	v_cndmask_b32_e32 v11, v12, v20, vcc
	buffer_load_dword v12, off, s[48:51], 0 offset:84 ; 4-byte Folded Reload
	v_and_b32_e32 v11, 0xffff0000, v11
	v_add_f32_e32 v0, v11, v0
	s_waitcnt vmcnt(0)
	v_lshlrev_b32_e32 v12, 16, v12
	v_mul_f32_e32 v12, v2, v12
	v_bfe_u32 v20, v12, 16, 1
	v_add3_u32 v20, v20, v12, s26
	v_or_b32_e32 v21, 0x400000, v12
	v_cmp_u_f32_e32 vcc, v12, v12
	v_cndmask_b32_e32 v12, v20, v21, vcc
	buffer_load_dword v20, off, s[48:51], 0 offset:80 ; 4-byte Folded Reload
	v_and_b32_e32 v12, 0xffff0000, v12
	s_waitcnt vmcnt(0)
	v_lshlrev_b32_e32 v20, 16, v20
	v_mul_f32_e32 v20, v6, v20
	v_bfe_u32 v21, v20, 16, 1
	v_add3_u32 v21, v21, v20, s26
	v_or_b32_e32 v22, 0x400000, v20
	v_cmp_u_f32_e32 vcc, v20, v20
	v_cndmask_b32_e32 v20, v21, v22, vcc
	buffer_load_dword v21, off, s[48:51], 0 offset:72 ; 4-byte Folded Reload
	v_and_b32_e32 v11, 0xffff0000, v20
	v_add_f32_e32 v11, v11, v12
	v_add_f32_e32 v0, v11, v0
	s_waitcnt vmcnt(0)
	v_lshlrev_b32_e32 v21, 16, v21
	v_mul_f32_e32 v21, v3, v21
	v_bfe_u32 v22, v21, 16, 1
	v_add3_u32 v22, v22, v21, s26
	v_or_b32_e32 v23, 0x400000, v21
	v_cmp_u_f32_e32 vcc, v21, v21
	v_cndmask_b32_e32 v21, v22, v23, vcc
	buffer_load_dword v22, off, s[48:51], 0 offset:68 ; 4-byte Folded Reload
	v_and_b32_e32 v12, 0xffff0000, v21
	s_waitcnt vmcnt(0)
	v_lshlrev_b32_e32 v22, 16, v22
	v_mul_f32_e32 v22, v7, v22
	v_bfe_u32 v23, v22, 16, 1
	v_add3_u32 v23, v23, v22, s26
	v_or_b32_e32 v24, 0x400000, v22
	v_cmp_u_f32_e32 vcc, v22, v22
	v_cndmask_b32_e32 v22, v23, v24, vcc
	buffer_load_dword v23, off, s[48:51], 0 offset:88 ; 4-byte Folded Reload
	v_and_b32_e32 v11, 0xffff0000, v22
	v_add_f32_e32 v11, v11, v12
	v_add_f32_e32 v0, v11, v0
	s_waitcnt vmcnt(0)
	v_lshlrev_b32_e32 v23, 16, v23
	v_mul_f32_e32 v23, v5, v23
	v_bfe_u32 v24, v23, 16, 1
	v_add3_u32 v24, v24, v23, s26
	v_or_b32_e32 v26, 0x400000, v23
	v_cmp_u_f32_e32 vcc, v23, v23
	v_cndmask_b32_e32 v23, v24, v26, vcc
	buffer_load_dword v24, off, s[48:51], 0 offset:76 ; 4-byte Folded Reload
	v_and_b32_e32 v12, 0xffff0000, v23
	s_waitcnt vmcnt(0)
	v_lshlrev_b32_e32 v24, 16, v24
	v_mul_f32_e32 v24, v8, v24
	v_bfe_u32 v26, v24, 16, 1
	v_add3_u32 v26, v26, v24, s26
	v_or_b32_e32 v27, 0x400000, v24
	v_cmp_u_f32_e32 vcc, v24, v24
	v_cndmask_b32_e32 v24, v26, v27, vcc
	v_and_b32_e32 v11, 0xffff0000, v24
	v_add_f32_e32 v11, v11, v12
	v_add_f32_e32 v0, v11, v0
	;; [unrolled: 1-line block ×3, first 2 shown]
	buffer_load_dword v0, off, s[48:51], 0 offset:60 ; 4-byte Folded Reload
	s_waitcnt vmcnt(0)
	v_lshlrev_b32_e32 v0, 16, v0
	v_mul_f32_e32 v0, v1, v0
	v_bfe_u32 v11, v0, 16, 1
	v_add3_u32 v11, v11, v0, s26
	v_or_b32_e32 v12, 0x400000, v0
	v_cmp_u_f32_e32 vcc, v0, v0
	v_cndmask_b32_e32 v0, v11, v12, vcc
	buffer_load_dword v11, off, s[48:51], 0 offset:64 ; 4-byte Folded Reload
	v_and_b32_e32 v0, 0xffff0000, v0
	s_waitcnt vmcnt(0)
	v_lshlrev_b32_e32 v11, 16, v11
	v_mul_f32_e32 v11, v4, v11
	v_bfe_u32 v12, v11, 16, 1
	v_add3_u32 v12, v12, v11, s26
	v_or_b32_e32 v20, 0x400000, v11
	v_cmp_u_f32_e32 vcc, v11, v11
	v_cndmask_b32_e32 v11, v12, v20, vcc
	buffer_load_dword v12, off, s[48:51], 0 offset:48 ; 4-byte Folded Reload
	v_and_b32_e32 v11, 0xffff0000, v11
	v_add_f32_e32 v0, v11, v0
	s_waitcnt vmcnt(0)
	v_lshlrev_b32_e32 v12, 16, v12
	v_mul_f32_e32 v12, v2, v12
	v_bfe_u32 v20, v12, 16, 1
	v_add3_u32 v20, v20, v12, s26
	v_or_b32_e32 v21, 0x400000, v12
	v_cmp_u_f32_e32 vcc, v12, v12
	v_cndmask_b32_e32 v12, v20, v21, vcc
	buffer_load_dword v20, off, s[48:51], 0 offset:52 ; 4-byte Folded Reload
	v_and_b32_e32 v12, 0xffff0000, v12
	s_waitcnt vmcnt(0)
	v_lshlrev_b32_e32 v20, 16, v20
	v_mul_f32_e32 v20, v6, v20
	v_bfe_u32 v21, v20, 16, 1
	v_add3_u32 v21, v21, v20, s26
	v_or_b32_e32 v22, 0x400000, v20
	v_cmp_u_f32_e32 vcc, v20, v20
	v_cndmask_b32_e32 v20, v21, v22, vcc
	buffer_load_dword v21, off, s[48:51], 0 offset:36 ; 4-byte Folded Reload
	v_and_b32_e32 v11, 0xffff0000, v20
	v_add_f32_e32 v11, v11, v12
	v_add_f32_e32 v0, v11, v0
	s_waitcnt vmcnt(0)
	v_lshlrev_b32_e32 v21, 16, v21
	v_mul_f32_e32 v21, v3, v21
	v_bfe_u32 v22, v21, 16, 1
	v_add3_u32 v22, v22, v21, s26
	v_or_b32_e32 v23, 0x400000, v21
	v_cmp_u_f32_e32 vcc, v21, v21
	v_cndmask_b32_e32 v21, v22, v23, vcc
	buffer_load_dword v22, off, s[48:51], 0 offset:40 ; 4-byte Folded Reload
	v_and_b32_e32 v12, 0xffff0000, v21
	s_waitcnt vmcnt(0)
	v_lshlrev_b32_e32 v22, 16, v22
	v_mul_f32_e32 v22, v7, v22
	v_bfe_u32 v23, v22, 16, 1
	v_add3_u32 v23, v23, v22, s26
	v_or_b32_e32 v24, 0x400000, v22
	v_cmp_u_f32_e32 vcc, v22, v22
	v_cndmask_b32_e32 v22, v23, v24, vcc
	buffer_load_dword v23, off, s[48:51], 0 offset:56 ; 4-byte Folded Reload
	v_and_b32_e32 v11, 0xffff0000, v22
	v_add_f32_e32 v11, v11, v12
	v_add_f32_e32 v0, v11, v0
	s_waitcnt vmcnt(0)
	v_lshlrev_b32_e32 v23, 16, v23
	v_mul_f32_e32 v23, v5, v23
	v_bfe_u32 v24, v23, 16, 1
	v_add3_u32 v24, v24, v23, s26
	v_or_b32_e32 v26, 0x400000, v23
	v_cmp_u_f32_e32 vcc, v23, v23
	v_cndmask_b32_e32 v23, v24, v26, vcc
	buffer_load_dword v24, off, s[48:51], 0 offset:44 ; 4-byte Folded Reload
	v_and_b32_e32 v12, 0xffff0000, v23
	s_waitcnt vmcnt(0)
	v_lshlrev_b32_e32 v24, 16, v24
	v_mul_f32_e32 v24, v8, v24
	v_bfe_u32 v26, v24, 16, 1
	v_add3_u32 v26, v26, v24, s26
	v_or_b32_e32 v27, 0x400000, v24
	v_cmp_u_f32_e32 vcc, v24, v24
	v_cndmask_b32_e32 v24, v26, v27, vcc
	v_and_b32_e32 v11, 0xffff0000, v24
	v_add_f32_e32 v11, v11, v12
	v_add_f32_e32 v0, v11, v0
	;; [unrolled: 1-line block ×3, first 2 shown]
	buffer_load_dword v0, off, s[48:51], 0 offset:28 ; 4-byte Folded Reload
	s_waitcnt vmcnt(0)
	v_lshlrev_b32_e32 v0, 16, v0
	v_mul_f32_e32 v0, v1, v0
	v_bfe_u32 v11, v0, 16, 1
	v_add3_u32 v11, v11, v0, s26
	v_or_b32_e32 v12, 0x400000, v0
	v_cmp_u_f32_e32 vcc, v0, v0
	v_cndmask_b32_e32 v0, v11, v12, vcc
	buffer_load_dword v11, off, s[48:51], 0 offset:32 ; 4-byte Folded Reload
	v_and_b32_e32 v0, 0xffff0000, v0
	s_waitcnt vmcnt(0)
	v_lshlrev_b32_e32 v11, 16, v11
	v_mul_f32_e32 v11, v4, v11
	v_bfe_u32 v12, v11, 16, 1
	v_add3_u32 v12, v12, v11, s26
	v_or_b32_e32 v20, 0x400000, v11
	v_cmp_u_f32_e32 vcc, v11, v11
	v_cndmask_b32_e32 v11, v12, v20, vcc
	buffer_load_dword v12, off, s[48:51], 0 offset:16 ; 4-byte Folded Reload
	v_and_b32_e32 v11, 0xffff0000, v11
	v_add_f32_e32 v0, v11, v0
	s_waitcnt vmcnt(0)
	v_lshlrev_b32_e32 v12, 16, v12
	v_mul_f32_e32 v12, v2, v12
	v_bfe_u32 v20, v12, 16, 1
	v_add3_u32 v20, v20, v12, s26
	v_or_b32_e32 v21, 0x400000, v12
	v_cmp_u_f32_e32 vcc, v12, v12
	v_cndmask_b32_e32 v12, v20, v21, vcc
	buffer_load_dword v20, off, s[48:51], 0 offset:20 ; 4-byte Folded Reload
	v_and_b32_e32 v12, 0xffff0000, v12
	s_waitcnt vmcnt(0)
	v_lshlrev_b32_e32 v20, 16, v20
	v_mul_f32_e32 v20, v6, v20
	v_bfe_u32 v21, v20, 16, 1
	v_add3_u32 v21, v21, v20, s26
	v_or_b32_e32 v22, 0x400000, v20
	v_cmp_u_f32_e32 vcc, v20, v20
	v_cndmask_b32_e32 v20, v21, v22, vcc
	buffer_load_dword v21, off, s[48:51], 0 ; 4-byte Folded Reload
	v_and_b32_e32 v11, 0xffff0000, v20
	v_add_f32_e32 v11, v11, v12
	v_add_f32_e32 v0, v11, v0
	s_waitcnt vmcnt(0)
	v_lshlrev_b32_e32 v21, 16, v21
	v_mul_f32_e32 v21, v3, v21
	v_bfe_u32 v22, v21, 16, 1
	v_add3_u32 v22, v22, v21, s26
	v_or_b32_e32 v23, 0x400000, v21
	v_cmp_u_f32_e32 vcc, v21, v21
	v_cndmask_b32_e32 v21, v22, v23, vcc
	buffer_load_dword v22, off, s[48:51], 0 offset:4 ; 4-byte Folded Reload
	v_and_b32_e32 v12, 0xffff0000, v21
	s_waitcnt vmcnt(0)
	v_lshlrev_b32_e32 v22, 16, v22
	v_mul_f32_e32 v22, v7, v22
	v_bfe_u32 v23, v22, 16, 1
	v_add3_u32 v23, v23, v22, s26
	v_or_b32_e32 v24, 0x400000, v22
	v_cmp_u_f32_e32 vcc, v22, v22
	v_cndmask_b32_e32 v22, v23, v24, vcc
	buffer_load_dword v23, off, s[48:51], 0 offset:24 ; 4-byte Folded Reload
	v_and_b32_e32 v11, 0xffff0000, v22
	v_add_f32_e32 v11, v11, v12
	v_add_f32_e32 v0, v11, v0
	s_waitcnt vmcnt(0)
	v_lshlrev_b32_e32 v23, 16, v23
	v_mul_f32_e32 v23, v5, v23
	v_bfe_u32 v24, v23, 16, 1
	v_add3_u32 v24, v24, v23, s26
	v_or_b32_e32 v26, 0x400000, v23
	v_cmp_u_f32_e32 vcc, v23, v23
	v_cndmask_b32_e32 v23, v24, v26, vcc
	buffer_load_dword v24, off, s[48:51], 0 offset:12 ; 4-byte Folded Reload
	v_and_b32_e32 v12, 0xffff0000, v23
	s_waitcnt vmcnt(0)
	v_lshlrev_b32_e32 v24, 16, v24
	v_mul_f32_e32 v24, v8, v24
	v_bfe_u32 v26, v24, 16, 1
	v_add3_u32 v26, v26, v24, s26
	v_or_b32_e32 v27, 0x400000, v24
	v_cmp_u_f32_e32 vcc, v24, v24
	v_cndmask_b32_e32 v24, v26, v27, vcc
	v_and_b32_e32 v11, 0xffff0000, v24
	v_add_f32_e32 v11, v11, v12
	v_add_f32_e32 v0, v11, v0
	;; [unrolled: 1-line block ×3, first 2 shown]
	v_lshlrev_b32_e32 v0, 16, v25
	v_mul_f32_e32 v0, v4, v0
	v_bfe_u32 v4, v0, 16, 1
	v_add3_u32 v4, v4, v0, s26
	v_or_b32_e32 v11, 0x400000, v0
	v_cmp_u_f32_e32 vcc, v0, v0
	v_cndmask_b32_e32 v0, v4, v11, vcc
	v_lshlrev_b32_e32 v4, 16, v39
	v_mul_f32_e32 v1, v1, v4
	v_bfe_u32 v4, v1, 16, 1
	v_add3_u32 v4, v4, v1, s26
	v_or_b32_e32 v11, 0x400000, v1
	v_cmp_u_f32_e32 vcc, v1, v1
	v_cndmask_b32_e32 v1, v4, v11, vcc
	;; [unrolled: 7-line block ×7, first 2 shown]
	v_lshlrev_b32_e32 v8, 16, v18
	v_and_b32_e32 v1, 0xffff0000, v1
	v_and_b32_e32 v0, 0xffff0000, v0
	v_mul_f32_e32 v5, v5, v8
	v_add_f32_e32 v0, v0, v1
	v_and_b32_e32 v1, 0xffff0000, v2
	v_and_b32_e32 v2, 0xffff0000, v4
	v_bfe_u32 v8, v5, 16, 1
	v_add_f32_e32 v1, v2, v1
	v_add3_u32 v8, v8, v5, s26
	v_or_b32_e32 v9, 0x400000, v5
	v_cmp_u_f32_e32 vcc, v5, v5
	v_add_f32_e32 v0, v1, v0
	v_and_b32_e32 v1, 0xffff0000, v3
	v_and_b32_e32 v2, 0xffff0000, v6
	v_cndmask_b32_e32 v5, v8, v9, vcc
	v_add_f32_e32 v1, v2, v1
	v_add_f32_e32 v0, v1, v0
	v_and_b32_e32 v1, 0xffff0000, v5
	v_and_b32_e32 v2, 0xffff0000, v7
	v_add_f32_e32 v1, v2, v1
	v_add_f32_e32 v0, v1, v0
	buffer_load_dword v1, off, s[48:51], 0 offset:252 ; 4-byte Folded Reload
	v_add_co_u32_e32 v13, vcc, 8, v13
	v_addc_co_u32_e32 v14, vcc, 0, v14, vcc
	s_waitcnt vmcnt(0)
	v_add_f32_e32 v1, v1, v0
	buffer_load_dword v0, off, s[48:51], 0 offset:8 ; 4-byte Folded Reload
	s_waitcnt vmcnt(0)
	v_add_u32_e32 v0, 2, v0
	v_cmp_le_i32_e32 vcc, s21, v0
	s_or_b64 s[6:7], vcc, s[6:7]
	buffer_store_dword v1, off, s[48:51], 0 offset:252 ; 4-byte Folded Spill
	buffer_store_dword v0, off, s[48:51], 0 offset:8 ; 4-byte Folded Spill
	s_andn2_b64 exec, exec, s[6:7]
	s_cbranch_execz .LBB327_1206
.LBB327_606:                            ; =>This Inner Loop Header: Depth=1
	global_load_dword v0, v[13:14], off
	buffer_load_dword v1, off, s[48:51], 0 offset:268 ; 4-byte Folded Reload
	buffer_load_dword v2, off, s[48:51], 0 offset:272 ; 4-byte Folded Reload
	s_waitcnt vmcnt(0)
	v_mad_i64_i32 v[15:16], s[0:1], v0, s31, v[1:2]
	v_mov_b32_e32 v0, 0
	global_load_dwordx2 v[17:18], v[15:16], off
	ds_read2_b64 v[5:8], v47 offset1:1
	ds_read2_b64 v[1:4], v47 offset0:2 offset1:3
	s_waitcnt vmcnt(0)
	v_cmp_ne_u16_sdwa s[12:13], v17, v10 src0_sel:BYTE_0 src1_sel:DWORD
	s_and_saveexec_b64 s[0:1], s[12:13]
	s_cbranch_execz .LBB327_612
; %bb.607:                              ;   in Loop: Header=BB327_606 Depth=1
	v_cmp_ne_u16_sdwa s[14:15], v17, s24 src0_sel:BYTE_0 src1_sel:DWORD
	v_bfrev_b32_e32 v0, 1
	s_and_saveexec_b64 s[12:13], s[14:15]
	s_cbranch_execz .LBB327_611
; %bb.608:                              ;   in Loop: Header=BB327_606 Depth=1
	v_and_b32_e32 v9, 0x7f, v17
	v_cmp_ne_u32_e32 vcc, s25, v9
	v_mov_b32_e32 v0, 0x7f800001
	s_and_saveexec_b64 s[14:15], vcc
	s_cbranch_execz .LBB327_610
; %bb.609:                              ;   in Loop: Header=BB327_606 Depth=1
	v_and_b32_e32 v0, 7, v17
	v_ffbh_u32_e32 v0, v0
	v_min_u32_e32 v0, 32, v0
	v_subrev_u32_e32 v12, 28, v0
	v_cmp_gt_u32_e32 vcc, 8, v9
	v_lshrrev_b32_e32 v11, 3, v9
	v_sub_u32_e32 v0, 29, v0
	v_cndmask_b32_e32 v9, 0, v12, vcc
	v_cndmask_b32_e32 v0, v11, v0, vcc
	v_lshlrev_b64 v[11:12], v9, v[17:18]
	v_lshl_add_u32 v0, v0, 23, v40
	v_lshlrev_b32_e32 v9, 20, v11
	v_lshlrev_b32_e32 v11, 24, v17
	v_and_b32_e32 v9, 0x700000, v9
	v_and_b32_e32 v11, 0x80000000, v11
	v_or3_b32 v0, v11, v0, v9
.LBB327_610:                            ;   in Loop: Header=BB327_606 Depth=1
	s_or_b64 exec, exec, s[14:15]
.LBB327_611:                            ;   in Loop: Header=BB327_606 Depth=1
	s_or_b64 exec, exec, s[12:13]
.LBB327_612:                            ;   in Loop: Header=BB327_606 Depth=1
	s_or_b64 exec, exec, s[0:1]
	v_lshrrev_b16_e32 v9, 8, v17
	v_cmp_ne_u16_e32 vcc, 0, v9
	v_mov_b32_e32 v12, 0
	v_mov_b32_e32 v11, 0
	s_and_saveexec_b64 s[0:1], vcc
	s_cbranch_execz .LBB327_618
; %bb.613:                              ;   in Loop: Header=BB327_606 Depth=1
	v_cmp_ne_u16_e32 vcc, s24, v9
	v_bfrev_b32_e32 v11, 1
	s_and_saveexec_b64 s[12:13], vcc
	s_cbranch_execz .LBB327_617
; %bb.614:                              ;   in Loop: Header=BB327_606 Depth=1
	v_and_b32_e32 v19, 0x7f, v9
	v_cmp_ne_u32_e32 vcc, s25, v19
	v_mov_b32_e32 v11, 0x7f800001
	s_and_saveexec_b64 s[14:15], vcc
	s_cbranch_execz .LBB327_616
; %bb.615:                              ;   in Loop: Header=BB327_606 Depth=1
	v_and_b32_e32 v11, 7, v9
	v_ffbh_u32_e32 v20, v11
	v_min_u32_e32 v23, 32, v20
	v_subrev_u32_e32 v20, 28, v23
	v_lshlrev_b64 v[20:21], v20, v[9:10]
	v_lshrrev_b32_e32 v22, 3, v19
	v_sub_u32_e32 v9, 29, v23
	v_and_b32_e32 v20, 7, v20
	v_cmp_gt_u32_e32 vcc, 8, v19
	v_cndmask_b32_e32 v9, v22, v9, vcc
	v_cndmask_b32_e32 v11, v11, v20, vcc
	v_lshlrev_b32_e32 v19, 16, v17
	v_lshlrev_b32_e32 v11, 20, v11
	v_and_b32_e32 v19, 0x80000000, v19
	v_lshl_add_u32 v9, v9, 23, v40
	v_or3_b32 v11, v19, v9, v11
.LBB327_616:                            ;   in Loop: Header=BB327_606 Depth=1
	s_or_b64 exec, exec, s[14:15]
.LBB327_617:                            ;   in Loop: Header=BB327_606 Depth=1
	s_or_b64 exec, exec, s[12:13]
.LBB327_618:                            ;   in Loop: Header=BB327_606 Depth=1
	s_or_b64 exec, exec, s[0:1]
	v_lshrrev_b32_e32 v9, 16, v17
	v_cmp_ne_u16_sdwa s[12:13], v9, v10 src0_sel:BYTE_0 src1_sel:DWORD
	s_and_saveexec_b64 s[0:1], s[12:13]
	s_cbranch_execz .LBB327_624
; %bb.619:                              ;   in Loop: Header=BB327_606 Depth=1
	v_cmp_ne_u16_sdwa s[14:15], v9, s24 src0_sel:BYTE_0 src1_sel:DWORD
	v_bfrev_b32_e32 v12, 1
	s_and_saveexec_b64 s[12:13], s[14:15]
	s_cbranch_execz .LBB327_623
; %bb.620:                              ;   in Loop: Header=BB327_606 Depth=1
	v_bfe_u32 v19, v17, 16, 7
	v_cmp_ne_u32_e32 vcc, s25, v19
	v_mov_b32_e32 v12, 0x7f800001
	s_and_saveexec_b64 s[14:15], vcc
	s_cbranch_execz .LBB327_622
; %bb.621:                              ;   in Loop: Header=BB327_606 Depth=1
	v_and_b32_e32 v12, 7, v9
	v_ffbh_u32_e32 v20, v12
	v_min_u32_e32 v23, 32, v20
	v_subrev_u32_e32 v20, 28, v23
	v_lshlrev_b64 v[20:21], v20, v[9:10]
	v_lshrrev_b32_e32 v22, 3, v19
	v_sub_u32_e32 v21, 29, v23
	v_and_b32_e32 v20, 7, v20
	v_cmp_gt_u32_e32 vcc, 8, v19
	v_cndmask_b32_e32 v19, v22, v21, vcc
	v_cndmask_b32_e32 v12, v12, v20, vcc
	v_lshlrev_b32_e32 v9, 24, v9
	v_lshlrev_b32_e32 v12, 20, v12
	v_and_b32_e32 v9, 0x80000000, v9
	v_lshl_add_u32 v19, v19, 23, v40
	v_or3_b32 v12, v9, v19, v12
.LBB327_622:                            ;   in Loop: Header=BB327_606 Depth=1
	s_or_b64 exec, exec, s[14:15]
.LBB327_623:                            ;   in Loop: Header=BB327_606 Depth=1
	s_or_b64 exec, exec, s[12:13]
.LBB327_624:                            ;   in Loop: Header=BB327_606 Depth=1
	s_or_b64 exec, exec, s[0:1]
	v_cmp_lt_u32_e32 vcc, s5, v17
	v_mov_b32_e32 v21, 0
	v_mov_b32_e32 v20, 0
	s_and_saveexec_b64 s[0:1], vcc
	s_cbranch_execz .LBB327_630
; %bb.625:                              ;   in Loop: Header=BB327_606 Depth=1
	v_lshrrev_b32_e32 v9, 24, v17
	v_cmp_ne_u32_e32 vcc, s24, v9
	v_bfrev_b32_e32 v20, 1
	s_and_saveexec_b64 s[12:13], vcc
	s_cbranch_execz .LBB327_629
; %bb.626:                              ;   in Loop: Header=BB327_606 Depth=1
	v_bfe_u32 v19, v17, 24, 7
	v_cmp_ne_u32_e32 vcc, s25, v19
	v_mov_b32_e32 v20, 0x7f800001
	s_and_saveexec_b64 s[14:15], vcc
	s_cbranch_execz .LBB327_628
; %bb.627:                              ;   in Loop: Header=BB327_606 Depth=1
	v_and_b32_e32 v20, 7, v9
	v_ffbh_u32_e32 v22, v20
	v_min_u32_e32 v25, 32, v22
	v_subrev_u32_e32 v22, 28, v25
	v_lshlrev_b64 v[22:23], v22, v[9:10]
	v_lshrrev_b32_e32 v24, 3, v19
	v_sub_u32_e32 v23, 29, v25
	v_and_b32_e32 v22, 7, v22
	v_cmp_gt_u32_e32 vcc, 8, v19
	v_cndmask_b32_e32 v19, v24, v23, vcc
	v_cndmask_b32_e32 v20, v20, v22, vcc
	v_lshlrev_b32_e32 v9, 24, v9
	v_lshlrev_b32_e32 v20, 20, v20
	v_and_b32_e32 v9, 0x80000000, v9
	v_lshl_add_u32 v19, v19, 23, v40
	v_or3_b32 v20, v9, v19, v20
.LBB327_628:                            ;   in Loop: Header=BB327_606 Depth=1
	s_or_b64 exec, exec, s[14:15]
.LBB327_629:                            ;   in Loop: Header=BB327_606 Depth=1
	s_or_b64 exec, exec, s[12:13]
.LBB327_630:                            ;   in Loop: Header=BB327_606 Depth=1
	s_or_b64 exec, exec, s[0:1]
	v_mov_b32_e32 v9, v18
	v_cmp_ne_u16_sdwa s[12:13], v18, v10 src0_sel:BYTE_0 src1_sel:DWORD
	s_and_saveexec_b64 s[0:1], s[12:13]
	s_cbranch_execz .LBB327_636
; %bb.631:                              ;   in Loop: Header=BB327_606 Depth=1
	v_cmp_ne_u16_sdwa s[14:15], v18, s24 src0_sel:BYTE_0 src1_sel:DWORD
	v_bfrev_b32_e32 v21, 1
	s_and_saveexec_b64 s[12:13], s[14:15]
	s_cbranch_execz .LBB327_635
; %bb.632:                              ;   in Loop: Header=BB327_606 Depth=1
	v_and_b32_e32 v19, 0x7f, v18
	v_cmp_ne_u32_e32 vcc, s25, v19
	v_mov_b32_e32 v21, 0x7f800001
	s_and_saveexec_b64 s[14:15], vcc
	s_cbranch_execz .LBB327_634
; %bb.633:                              ;   in Loop: Header=BB327_606 Depth=1
	v_and_b32_e32 v21, 7, v18
	v_ffbh_u32_e32 v21, v21
	v_min_u32_e32 v21, 32, v21
	v_lshrrev_b32_e32 v22, 3, v19
	v_subrev_u32_e32 v23, 28, v21
	v_sub_u32_e32 v21, 29, v21
	v_cmp_gt_u32_e32 vcc, 8, v19
	v_cndmask_b32_e32 v19, v22, v21, vcc
	v_cndmask_b32_e32 v21, 0, v23, vcc
	v_lshlrev_b64 v[21:22], v21, v[9:10]
	v_lshlrev_b32_e32 v22, 24, v9
	v_lshlrev_b32_e32 v21, 20, v21
	v_and_b32_e32 v21, 0x700000, v21
	v_and_b32_e32 v22, 0x80000000, v22
	v_lshl_add_u32 v19, v19, 23, v40
	v_or3_b32 v21, v22, v19, v21
.LBB327_634:                            ;   in Loop: Header=BB327_606 Depth=1
	s_or_b64 exec, exec, s[14:15]
.LBB327_635:                            ;   in Loop: Header=BB327_606 Depth=1
	s_or_b64 exec, exec, s[12:13]
.LBB327_636:                            ;   in Loop: Header=BB327_606 Depth=1
	s_or_b64 exec, exec, s[0:1]
	v_lshrrev_b16_e32 v19, 8, v9
	v_cmp_ne_u16_e32 vcc, 0, v19
	v_mov_b32_e32 v22, 0
	v_mov_b32_e32 v23, 0
	s_and_saveexec_b64 s[0:1], vcc
	s_cbranch_execz .LBB327_642
; %bb.637:                              ;   in Loop: Header=BB327_606 Depth=1
	v_cmp_ne_u16_e32 vcc, s24, v19
	v_bfrev_b32_e32 v23, 1
	s_and_saveexec_b64 s[12:13], vcc
	s_cbranch_execz .LBB327_641
; %bb.638:                              ;   in Loop: Header=BB327_606 Depth=1
	v_and_b32_e32 v24, 0x7f, v19
	v_cmp_ne_u32_e32 vcc, s25, v24
	v_mov_b32_e32 v23, 0x7f800001
	s_and_saveexec_b64 s[14:15], vcc
	s_cbranch_execz .LBB327_640
; %bb.639:                              ;   in Loop: Header=BB327_606 Depth=1
	v_and_b32_e32 v23, 7, v19
	v_ffbh_u32_e32 v25, v23
	v_min_u32_e32 v28, 32, v25
	v_subrev_u32_e32 v25, 28, v28
	v_lshlrev_b64 v[25:26], v25, v[19:20]
	v_lshrrev_b32_e32 v27, 3, v24
	v_sub_u32_e32 v19, 29, v28
	v_and_b32_e32 v25, 7, v25
	v_cmp_gt_u32_e32 vcc, 8, v24
	v_cndmask_b32_e32 v19, v27, v19, vcc
	v_cndmask_b32_e32 v23, v23, v25, vcc
	v_lshlrev_b32_e32 v9, 16, v9
	v_lshlrev_b32_e32 v23, 20, v23
	v_and_b32_e32 v9, 0x80000000, v9
	v_lshl_add_u32 v19, v19, 23, v40
	v_or3_b32 v23, v9, v19, v23
.LBB327_640:                            ;   in Loop: Header=BB327_606 Depth=1
	s_or_b64 exec, exec, s[14:15]
.LBB327_641:                            ;   in Loop: Header=BB327_606 Depth=1
	s_or_b64 exec, exec, s[12:13]
.LBB327_642:                            ;   in Loop: Header=BB327_606 Depth=1
	s_or_b64 exec, exec, s[0:1]
	v_lshrrev_b32_e32 v9, 16, v18
	v_cmp_ne_u16_sdwa s[12:13], v9, v10 src0_sel:BYTE_0 src1_sel:DWORD
	s_and_saveexec_b64 s[0:1], s[12:13]
	s_cbranch_execz .LBB327_648
; %bb.643:                              ;   in Loop: Header=BB327_606 Depth=1
	v_cmp_ne_u16_sdwa s[14:15], v9, s24 src0_sel:BYTE_0 src1_sel:DWORD
	v_bfrev_b32_e32 v22, 1
	s_and_saveexec_b64 s[12:13], s[14:15]
	s_cbranch_execz .LBB327_647
; %bb.644:                              ;   in Loop: Header=BB327_606 Depth=1
	v_bfe_u32 v19, v18, 16, 7
	v_cmp_ne_u32_e32 vcc, s25, v19
	v_mov_b32_e32 v22, 0x7f800001
	s_and_saveexec_b64 s[14:15], vcc
	s_cbranch_execz .LBB327_646
; %bb.645:                              ;   in Loop: Header=BB327_606 Depth=1
	v_and_b32_e32 v22, 7, v9
	v_ffbh_u32_e32 v24, v22
	v_min_u32_e32 v27, 32, v24
	v_subrev_u32_e32 v24, 28, v27
	v_lshlrev_b64 v[24:25], v24, v[9:10]
	v_lshrrev_b32_e32 v26, 3, v19
	v_sub_u32_e32 v25, 29, v27
	v_and_b32_e32 v24, 7, v24
	v_cmp_gt_u32_e32 vcc, 8, v19
	v_cndmask_b32_e32 v19, v26, v25, vcc
	v_cndmask_b32_e32 v22, v22, v24, vcc
	v_lshlrev_b32_e32 v9, 24, v9
	v_lshlrev_b32_e32 v22, 20, v22
	v_and_b32_e32 v9, 0x80000000, v9
	v_lshl_add_u32 v19, v19, 23, v40
	v_or3_b32 v22, v9, v19, v22
.LBB327_646:                            ;   in Loop: Header=BB327_606 Depth=1
	s_or_b64 exec, exec, s[14:15]
.LBB327_647:                            ;   in Loop: Header=BB327_606 Depth=1
	s_or_b64 exec, exec, s[12:13]
.LBB327_648:                            ;   in Loop: Header=BB327_606 Depth=1
	s_or_b64 exec, exec, s[0:1]
	v_cmp_lt_u64_e32 vcc, s[4:5], v[17:18]
	v_mov_b32_e32 v17, 0
	s_and_saveexec_b64 s[0:1], vcc
	s_cbranch_execz .LBB327_654
; %bb.649:                              ;   in Loop: Header=BB327_606 Depth=1
	v_lshrrev_b32_e32 v9, 24, v18
	v_cmp_ne_u32_e32 vcc, s24, v9
	v_bfrev_b32_e32 v17, 1
	s_and_saveexec_b64 s[12:13], vcc
	s_cbranch_execz .LBB327_653
; %bb.650:                              ;   in Loop: Header=BB327_606 Depth=1
	v_bfe_u32 v18, v18, 24, 7
	v_cmp_ne_u32_e32 vcc, s25, v18
	v_mov_b32_e32 v17, 0x7f800001
	s_and_saveexec_b64 s[14:15], vcc
	s_cbranch_execz .LBB327_652
; %bb.651:                              ;   in Loop: Header=BB327_606 Depth=1
	v_and_b32_e32 v17, 7, v9
	v_ffbh_u32_e32 v24, v17
	v_min_u32_e32 v26, 32, v24
	v_subrev_u32_e32 v24, 28, v26
	v_lshlrev_b64 v[24:25], v24, v[9:10]
	v_lshrrev_b32_e32 v19, 3, v18
	v_sub_u32_e32 v25, 29, v26
	v_and_b32_e32 v24, 7, v24
	v_cmp_gt_u32_e32 vcc, 8, v18
	v_cndmask_b32_e32 v18, v19, v25, vcc
	v_cndmask_b32_e32 v17, v17, v24, vcc
	v_lshlrev_b32_e32 v9, 24, v9
	v_lshlrev_b32_e32 v17, 20, v17
	v_and_b32_e32 v9, 0x80000000, v9
	v_lshl_add_u32 v18, v18, 23, v40
	v_or3_b32 v17, v9, v18, v17
.LBB327_652:                            ;   in Loop: Header=BB327_606 Depth=1
	s_or_b64 exec, exec, s[14:15]
.LBB327_653:                            ;   in Loop: Header=BB327_606 Depth=1
	s_or_b64 exec, exec, s[12:13]
.LBB327_654:                            ;   in Loop: Header=BB327_606 Depth=1
	s_or_b64 exec, exec, s[0:1]
	buffer_load_dword v9, off, s[48:51], 0 offset:8 ; 4-byte Folded Reload
	s_waitcnt lgkmcnt(0)
	v_mul_f32_e32 v0, s18, v0
	s_waitcnt vmcnt(0)
	v_cmp_eq_u32_e64 s[0:1], s19, v9
	v_mul_f32_e32 v9, s18, v23
	v_bfe_u32 v18, v9, 16, 1
	v_add3_u32 v18, v18, v9, s26
	v_or_b32_e32 v19, 0x400000, v9
	v_cmp_u_f32_e32 vcc, v9, v9
	v_cndmask_b32_e32 v9, v18, v19, vcc
	v_lshrrev_b32_e32 v9, 16, v9
	buffer_store_dword v9, off, s[48:51], 0 ; 4-byte Folded Spill
	v_mul_f32_e32 v9, s18, v21
	v_bfe_u32 v18, v9, 16, 1
	v_add3_u32 v18, v18, v9, s26
	v_or_b32_e32 v19, 0x400000, v9
	v_cmp_u_f32_e32 vcc, v9, v9
	v_cndmask_b32_e32 v9, v18, v19, vcc
	v_lshrrev_b32_e32 v9, 16, v9
	buffer_store_dword v9, off, s[48:51], 0 offset:4 ; 4-byte Folded Spill
	v_mul_f32_e32 v9, s18, v20
	v_bfe_u32 v18, v9, 16, 1
	v_add3_u32 v18, v18, v9, s26
	v_or_b32_e32 v19, 0x400000, v9
	v_cmp_u_f32_e32 vcc, v9, v9
	v_cndmask_b32_e32 v9, v18, v19, vcc
	v_lshrrev_b32_e32 v9, 16, v9
	buffer_store_dword v9, off, s[48:51], 0 offset:16 ; 4-byte Folded Spill
	;; [unrolled: 8-line block ×4, first 2 shown]
	v_bfe_u32 v9, v0, 16, 1
	v_add3_u32 v9, v9, v0, s26
	v_or_b32_e32 v11, 0x400000, v0
	v_cmp_u_f32_e32 vcc, v0, v0
	v_cndmask_b32_e32 v0, v9, v11, vcc
	v_lshrrev_b32_e32 v0, 16, v0
	buffer_store_dword v0, off, s[48:51], 0 offset:32 ; 4-byte Folded Spill
	v_mul_f32_e32 v0, s18, v22
	v_bfe_u32 v9, v0, 16, 1
	v_add3_u32 v9, v9, v0, s26
	v_or_b32_e32 v11, 0x400000, v0
	v_cmp_u_f32_e32 vcc, v0, v0
	v_cndmask_b32_e32 v0, v9, v11, vcc
	v_lshrrev_b32_e32 v0, 16, v0
	buffer_store_dword v0, off, s[48:51], 0 offset:12 ; 4-byte Folded Spill
	v_mul_f32_e32 v0, s18, v17
	v_bfe_u32 v9, v0, 16, 1
	v_add3_u32 v9, v9, v0, s26
	v_or_b32_e32 v11, 0x400000, v0
	v_cmp_u_f32_e32 vcc, v0, v0
	v_cndmask_b32_e32 v0, v9, v11, vcc
	v_lshrrev_b32_e32 v0, 16, v0
	buffer_store_dword v0, off, s[48:51], 0 offset:24 ; 4-byte Folded Spill
	s_and_saveexec_b64 s[12:13], s[0:1]
	s_cbranch_execz .LBB327_656
; %bb.655:                              ;   in Loop: Header=BB327_606 Depth=1
	v_add_u32_e32 v0, -7, v37
	v_cmp_gt_i32_e32 vcc, s30, v0
	buffer_load_dword v0, off, s[48:51], 0 offset:32 ; 4-byte Folded Reload
	s_waitcnt vmcnt(0)
	v_cndmask_b32_e32 v0, 0, v0, vcc
	buffer_store_dword v0, off, s[48:51], 0 offset:32 ; 4-byte Folded Spill
	v_add_u32_e32 v0, -6, v37
	v_cmp_gt_i32_e32 vcc, s30, v0
	buffer_load_dword v0, off, s[48:51], 0 offset:28 ; 4-byte Folded Reload
	s_waitcnt vmcnt(0)
	v_cndmask_b32_e32 v0, 0, v0, vcc
	buffer_store_dword v0, off, s[48:51], 0 offset:28 ; 4-byte Folded Spill
	;; [unrolled: 6-line block ×5, first 2 shown]
	v_add_u32_e32 v0, -2, v37
	v_cmp_gt_i32_e32 vcc, s30, v0
	buffer_load_dword v0, off, s[48:51], 0  ; 4-byte Folded Reload
	s_waitcnt vmcnt(0)
	v_cndmask_b32_e32 v0, 0, v0, vcc
	buffer_store_dword v0, off, s[48:51], 0 ; 4-byte Folded Spill
	v_add_u32_e32 v0, -1, v37
	v_cmp_gt_i32_e32 vcc, s30, v0
	buffer_load_dword v0, off, s[48:51], 0 offset:12 ; 4-byte Folded Reload
	s_waitcnt vmcnt(0)
	v_cndmask_b32_e32 v0, 0, v0, vcc
	buffer_store_dword v0, off, s[48:51], 0 offset:12 ; 4-byte Folded Spill
	buffer_load_dword v0, off, s[48:51], 0 offset:24 ; 4-byte Folded Reload
	v_cmp_gt_i32_e32 vcc, s30, v37
	s_waitcnt vmcnt(0)
	v_cndmask_b32_e32 v0, 0, v0, vcc
	buffer_store_dword v0, off, s[48:51], 0 offset:24 ; 4-byte Folded Spill
.LBB327_656:                            ;   in Loop: Header=BB327_606 Depth=1
	s_or_b64 exec, exec, s[12:13]
	global_load_dwordx2 v[17:18], v[15:16], off offset:512
	v_mov_b32_e32 v11, 0
	v_mov_b32_e32 v0, 0
	s_waitcnt vmcnt(0)
	v_cmp_ne_u16_sdwa s[14:15], v17, v10 src0_sel:BYTE_0 src1_sel:DWORD
	s_and_saveexec_b64 s[12:13], s[14:15]
	s_cbranch_execz .LBB327_662
; %bb.657:                              ;   in Loop: Header=BB327_606 Depth=1
	v_cmp_ne_u16_sdwa s[16:17], v17, s24 src0_sel:BYTE_0 src1_sel:DWORD
	v_bfrev_b32_e32 v0, 1
	s_and_saveexec_b64 s[14:15], s[16:17]
	s_cbranch_execz .LBB327_661
; %bb.658:                              ;   in Loop: Header=BB327_606 Depth=1
	v_and_b32_e32 v9, 0x7f, v17
	v_cmp_ne_u32_e32 vcc, s25, v9
	v_mov_b32_e32 v0, 0x7f800001
	s_and_saveexec_b64 s[16:17], vcc
	s_cbranch_execz .LBB327_660
; %bb.659:                              ;   in Loop: Header=BB327_606 Depth=1
	v_and_b32_e32 v0, 7, v17
	v_ffbh_u32_e32 v0, v0
	v_min_u32_e32 v0, 32, v0
	v_subrev_u32_e32 v19, 28, v0
	v_cmp_gt_u32_e32 vcc, 8, v9
	v_lshrrev_b32_e32 v12, 3, v9
	v_cndmask_b32_e32 v9, 0, v19, vcc
	v_lshlrev_b64 v[19:20], v9, v[17:18]
	v_sub_u32_e32 v0, 29, v0
	v_cndmask_b32_e32 v0, v12, v0, vcc
	v_lshlrev_b32_e32 v9, 20, v19
	v_lshlrev_b32_e32 v12, 24, v17
	v_and_b32_e32 v9, 0x700000, v9
	v_and_b32_e32 v12, 0x80000000, v12
	v_lshl_add_u32 v0, v0, 23, v40
	v_or3_b32 v0, v12, v0, v9
.LBB327_660:                            ;   in Loop: Header=BB327_606 Depth=1
	s_or_b64 exec, exec, s[16:17]
.LBB327_661:                            ;   in Loop: Header=BB327_606 Depth=1
	s_or_b64 exec, exec, s[14:15]
.LBB327_662:                            ;   in Loop: Header=BB327_606 Depth=1
	s_or_b64 exec, exec, s[12:13]
	v_lshrrev_b16_e32 v9, 8, v17
	v_cmp_ne_u16_e32 vcc, 0, v9
	s_and_saveexec_b64 s[12:13], vcc
	s_cbranch_execz .LBB327_668
; %bb.663:                              ;   in Loop: Header=BB327_606 Depth=1
	v_cmp_ne_u16_e32 vcc, s24, v9
	v_bfrev_b32_e32 v11, 1
	s_and_saveexec_b64 s[14:15], vcc
	s_cbranch_execz .LBB327_667
; %bb.664:                              ;   in Loop: Header=BB327_606 Depth=1
	v_and_b32_e32 v12, 0x7f, v9
	v_cmp_ne_u32_e32 vcc, s25, v12
	v_mov_b32_e32 v11, 0x7f800001
	s_and_saveexec_b64 s[16:17], vcc
	s_cbranch_execz .LBB327_666
; %bb.665:                              ;   in Loop: Header=BB327_606 Depth=1
	v_and_b32_e32 v11, 7, v9
	v_ffbh_u32_e32 v19, v11
	v_min_u32_e32 v22, 32, v19
	v_subrev_u32_e32 v19, 28, v22
	v_lshlrev_b64 v[19:20], v19, v[9:10]
	v_lshrrev_b32_e32 v21, 3, v12
	v_sub_u32_e32 v9, 29, v22
	v_and_b32_e32 v19, 7, v19
	v_cmp_gt_u32_e32 vcc, 8, v12
	v_cndmask_b32_e32 v9, v21, v9, vcc
	v_cndmask_b32_e32 v11, v11, v19, vcc
	v_lshlrev_b32_e32 v12, 16, v17
	v_lshlrev_b32_e32 v11, 20, v11
	v_and_b32_e32 v12, 0x80000000, v12
	v_lshl_add_u32 v9, v9, 23, v40
	v_or3_b32 v11, v12, v9, v11
.LBB327_666:                            ;   in Loop: Header=BB327_606 Depth=1
	s_or_b64 exec, exec, s[16:17]
.LBB327_667:                            ;   in Loop: Header=BB327_606 Depth=1
	s_or_b64 exec, exec, s[14:15]
.LBB327_668:                            ;   in Loop: Header=BB327_606 Depth=1
	s_or_b64 exec, exec, s[12:13]
	v_lshrrev_b32_e32 v9, 16, v17
	v_cmp_ne_u16_sdwa s[14:15], v9, v10 src0_sel:BYTE_0 src1_sel:DWORD
	v_mov_b32_e32 v20, 0
	v_mov_b32_e32 v12, 0
	s_and_saveexec_b64 s[12:13], s[14:15]
	s_cbranch_execz .LBB327_674
; %bb.669:                              ;   in Loop: Header=BB327_606 Depth=1
	v_cmp_ne_u16_sdwa s[16:17], v9, s24 src0_sel:BYTE_0 src1_sel:DWORD
	v_bfrev_b32_e32 v12, 1
	s_and_saveexec_b64 s[14:15], s[16:17]
	s_cbranch_execz .LBB327_673
; %bb.670:                              ;   in Loop: Header=BB327_606 Depth=1
	v_bfe_u32 v19, v17, 16, 7
	v_cmp_ne_u32_e32 vcc, s25, v19
	v_mov_b32_e32 v12, 0x7f800001
	s_and_saveexec_b64 s[16:17], vcc
	s_cbranch_execz .LBB327_672
; %bb.671:                              ;   in Loop: Header=BB327_606 Depth=1
	v_and_b32_e32 v12, 7, v9
	v_ffbh_u32_e32 v21, v12
	v_min_u32_e32 v24, 32, v21
	v_subrev_u32_e32 v21, 28, v24
	v_lshlrev_b64 v[21:22], v21, v[9:10]
	v_lshrrev_b32_e32 v23, 3, v19
	v_sub_u32_e32 v22, 29, v24
	v_and_b32_e32 v21, 7, v21
	v_cmp_gt_u32_e32 vcc, 8, v19
	v_cndmask_b32_e32 v19, v23, v22, vcc
	v_cndmask_b32_e32 v12, v12, v21, vcc
	v_lshlrev_b32_e32 v9, 24, v9
	v_lshlrev_b32_e32 v12, 20, v12
	v_and_b32_e32 v9, 0x80000000, v9
	v_lshl_add_u32 v19, v19, 23, v40
	v_or3_b32 v12, v9, v19, v12
.LBB327_672:                            ;   in Loop: Header=BB327_606 Depth=1
	s_or_b64 exec, exec, s[16:17]
.LBB327_673:                            ;   in Loop: Header=BB327_606 Depth=1
	s_or_b64 exec, exec, s[14:15]
.LBB327_674:                            ;   in Loop: Header=BB327_606 Depth=1
	s_or_b64 exec, exec, s[12:13]
	v_cmp_lt_u32_e32 vcc, s5, v17
	s_and_saveexec_b64 s[12:13], vcc
	s_cbranch_execz .LBB327_680
; %bb.675:                              ;   in Loop: Header=BB327_606 Depth=1
	v_lshrrev_b32_e32 v9, 24, v17
	v_cmp_ne_u32_e32 vcc, s24, v9
	v_bfrev_b32_e32 v20, 1
	s_and_saveexec_b64 s[14:15], vcc
	s_cbranch_execz .LBB327_679
; %bb.676:                              ;   in Loop: Header=BB327_606 Depth=1
	v_bfe_u32 v19, v17, 24, 7
	v_cmp_ne_u32_e32 vcc, s25, v19
	v_mov_b32_e32 v20, 0x7f800001
	s_and_saveexec_b64 s[16:17], vcc
	s_cbranch_execz .LBB327_678
; %bb.677:                              ;   in Loop: Header=BB327_606 Depth=1
	v_and_b32_e32 v22, 7, v9
	v_ffbh_u32_e32 v20, v22
	v_min_u32_e32 v24, 32, v20
	v_subrev_u32_e32 v20, 28, v24
	v_lshlrev_b64 v[20:21], v20, v[9:10]
	v_lshrrev_b32_e32 v23, 3, v19
	v_sub_u32_e32 v21, 29, v24
	v_and_b32_e32 v20, 7, v20
	v_cmp_gt_u32_e32 vcc, 8, v19
	v_cndmask_b32_e32 v19, v23, v21, vcc
	v_cndmask_b32_e32 v20, v22, v20, vcc
	v_lshlrev_b32_e32 v9, 24, v9
	v_lshlrev_b32_e32 v20, 20, v20
	v_and_b32_e32 v9, 0x80000000, v9
	v_lshl_add_u32 v19, v19, 23, v40
	v_or3_b32 v20, v9, v19, v20
.LBB327_678:                            ;   in Loop: Header=BB327_606 Depth=1
	s_or_b64 exec, exec, s[16:17]
.LBB327_679:                            ;   in Loop: Header=BB327_606 Depth=1
	s_or_b64 exec, exec, s[14:15]
.LBB327_680:                            ;   in Loop: Header=BB327_606 Depth=1
	s_or_b64 exec, exec, s[12:13]
	v_mov_b32_e32 v9, v18
	v_cmp_ne_u16_sdwa s[14:15], v18, v10 src0_sel:BYTE_0 src1_sel:DWORD
	v_mov_b32_e32 v22, 0
	v_mov_b32_e32 v21, 0
	s_and_saveexec_b64 s[12:13], s[14:15]
	s_cbranch_execz .LBB327_686
; %bb.681:                              ;   in Loop: Header=BB327_606 Depth=1
	v_cmp_ne_u16_sdwa s[16:17], v18, s24 src0_sel:BYTE_0 src1_sel:DWORD
	v_bfrev_b32_e32 v21, 1
	s_and_saveexec_b64 s[14:15], s[16:17]
	s_cbranch_execz .LBB327_685
; %bb.682:                              ;   in Loop: Header=BB327_606 Depth=1
	v_and_b32_e32 v19, 0x7f, v18
	v_cmp_ne_u32_e32 vcc, s25, v19
	v_mov_b32_e32 v21, 0x7f800001
	s_and_saveexec_b64 s[16:17], vcc
	s_cbranch_execz .LBB327_684
; %bb.683:                              ;   in Loop: Header=BB327_606 Depth=1
	v_and_b32_e32 v21, 7, v18
	v_ffbh_u32_e32 v21, v21
	v_min_u32_e32 v21, 32, v21
	v_lshrrev_b32_e32 v23, 3, v19
	v_subrev_u32_e32 v24, 28, v21
	v_sub_u32_e32 v21, 29, v21
	v_cmp_gt_u32_e32 vcc, 8, v19
	v_cndmask_b32_e32 v19, v23, v21, vcc
	v_cndmask_b32_e32 v21, 0, v24, vcc
	v_lshlrev_b64 v[23:24], v21, v[9:10]
	v_lshl_add_u32 v19, v19, 23, v40
	v_lshlrev_b32_e32 v21, 20, v23
	v_lshlrev_b32_e32 v23, 24, v9
	v_and_b32_e32 v21, 0x700000, v21
	v_and_b32_e32 v23, 0x80000000, v23
	v_or3_b32 v21, v23, v19, v21
.LBB327_684:                            ;   in Loop: Header=BB327_606 Depth=1
	s_or_b64 exec, exec, s[16:17]
.LBB327_685:                            ;   in Loop: Header=BB327_606 Depth=1
	s_or_b64 exec, exec, s[14:15]
.LBB327_686:                            ;   in Loop: Header=BB327_606 Depth=1
	s_or_b64 exec, exec, s[12:13]
	v_lshrrev_b16_e32 v19, 8, v9
	v_cmp_ne_u16_e32 vcc, 0, v19
	s_and_saveexec_b64 s[12:13], vcc
	s_cbranch_execz .LBB327_692
; %bb.687:                              ;   in Loop: Header=BB327_606 Depth=1
	v_cmp_ne_u16_e32 vcc, s24, v19
	v_bfrev_b32_e32 v22, 1
	s_and_saveexec_b64 s[14:15], vcc
	s_cbranch_execz .LBB327_691
; %bb.688:                              ;   in Loop: Header=BB327_606 Depth=1
	v_and_b32_e32 v23, 0x7f, v19
	v_cmp_ne_u32_e32 vcc, s25, v23
	v_mov_b32_e32 v22, 0x7f800001
	s_and_saveexec_b64 s[16:17], vcc
	s_cbranch_execz .LBB327_690
; %bb.689:                              ;   in Loop: Header=BB327_606 Depth=1
	v_and_b32_e32 v24, 7, v19
	v_ffbh_u32_e32 v22, v24
	v_min_u32_e32 v26, 32, v22
	v_subrev_u32_e32 v22, 28, v26
	v_lshrrev_b32_e32 v25, 3, v23
	v_cmp_gt_u32_e32 vcc, 8, v23
	v_lshlrev_b64 v[22:23], v22, v[19:20]
	v_sub_u32_e32 v19, 29, v26
	v_and_b32_e32 v22, 7, v22
	v_cndmask_b32_e32 v19, v25, v19, vcc
	v_cndmask_b32_e32 v22, v24, v22, vcc
	v_lshlrev_b32_e32 v9, 16, v9
	v_lshlrev_b32_e32 v22, 20, v22
	v_and_b32_e32 v9, 0x80000000, v9
	v_lshl_add_u32 v19, v19, 23, v40
	v_or3_b32 v22, v9, v19, v22
.LBB327_690:                            ;   in Loop: Header=BB327_606 Depth=1
	s_or_b64 exec, exec, s[16:17]
.LBB327_691:                            ;   in Loop: Header=BB327_606 Depth=1
	s_or_b64 exec, exec, s[14:15]
.LBB327_692:                            ;   in Loop: Header=BB327_606 Depth=1
	s_or_b64 exec, exec, s[12:13]
	v_lshrrev_b32_e32 v9, 16, v18
	v_cmp_ne_u16_sdwa s[14:15], v9, v10 src0_sel:BYTE_0 src1_sel:DWORD
	v_mov_b32_e32 v19, 0
	v_mov_b32_e32 v23, 0
	s_and_saveexec_b64 s[12:13], s[14:15]
	s_cbranch_execz .LBB327_698
; %bb.693:                              ;   in Loop: Header=BB327_606 Depth=1
	v_cmp_ne_u16_sdwa s[16:17], v9, s24 src0_sel:BYTE_0 src1_sel:DWORD
	v_bfrev_b32_e32 v23, 1
	s_and_saveexec_b64 s[14:15], s[16:17]
	s_cbranch_execz .LBB327_697
; %bb.694:                              ;   in Loop: Header=BB327_606 Depth=1
	v_bfe_u32 v24, v18, 16, 7
	v_cmp_ne_u32_e32 vcc, s25, v24
	v_mov_b32_e32 v23, 0x7f800001
	s_and_saveexec_b64 s[16:17], vcc
	s_cbranch_execz .LBB327_696
; %bb.695:                              ;   in Loop: Header=BB327_606 Depth=1
	v_and_b32_e32 v25, 7, v9
	v_ffbh_u32_e32 v23, v25
	v_min_u32_e32 v27, 32, v23
	v_subrev_u32_e32 v23, 28, v27
	v_lshrrev_b32_e32 v26, 3, v24
	v_cmp_gt_u32_e32 vcc, 8, v24
	v_lshlrev_b64 v[23:24], v23, v[9:10]
	v_sub_u32_e32 v24, 29, v27
	v_and_b32_e32 v23, 7, v23
	v_cndmask_b32_e32 v24, v26, v24, vcc
	v_cndmask_b32_e32 v23, v25, v23, vcc
	v_lshlrev_b32_e32 v9, 24, v9
	v_lshlrev_b32_e32 v23, 20, v23
	v_and_b32_e32 v9, 0x80000000, v9
	v_lshl_add_u32 v24, v24, 23, v40
	v_or3_b32 v23, v9, v24, v23
.LBB327_696:                            ;   in Loop: Header=BB327_606 Depth=1
	s_or_b64 exec, exec, s[16:17]
.LBB327_697:                            ;   in Loop: Header=BB327_606 Depth=1
	s_or_b64 exec, exec, s[14:15]
.LBB327_698:                            ;   in Loop: Header=BB327_606 Depth=1
	s_or_b64 exec, exec, s[12:13]
	v_cmp_lt_u64_e32 vcc, s[4:5], v[17:18]
	s_and_saveexec_b64 s[12:13], vcc
	s_cbranch_execz .LBB327_704
; %bb.699:                              ;   in Loop: Header=BB327_606 Depth=1
	v_lshrrev_b32_e32 v9, 24, v18
	v_cmp_ne_u32_e32 vcc, s24, v9
	v_bfrev_b32_e32 v19, 1
	s_and_saveexec_b64 s[14:15], vcc
	s_cbranch_execz .LBB327_703
; %bb.700:                              ;   in Loop: Header=BB327_606 Depth=1
	v_bfe_u32 v17, v18, 24, 7
	v_cmp_ne_u32_e32 vcc, s25, v17
	v_mov_b32_e32 v19, 0x7f800001
	s_and_saveexec_b64 s[16:17], vcc
	s_cbranch_execz .LBB327_702
; %bb.701:                              ;   in Loop: Header=BB327_606 Depth=1
	v_and_b32_e32 v19, 7, v9
	v_lshrrev_b32_e32 v24, 3, v17
	v_cmp_gt_u32_e32 vcc, 8, v17
	v_ffbh_u32_e32 v17, v19
	v_min_u32_e32 v25, 32, v17
	v_subrev_u32_e32 v17, 28, v25
	v_lshlrev_b64 v[17:18], v17, v[9:10]
	v_sub_u32_e32 v18, 29, v25
	v_and_b32_e32 v17, 7, v17
	v_cndmask_b32_e32 v18, v24, v18, vcc
	v_cndmask_b32_e32 v17, v19, v17, vcc
	v_lshlrev_b32_e32 v9, 24, v9
	v_lshlrev_b32_e32 v17, 20, v17
	v_and_b32_e32 v9, 0x80000000, v9
	v_lshl_add_u32 v18, v18, 23, v40
	v_or3_b32 v19, v9, v18, v17
.LBB327_702:                            ;   in Loop: Header=BB327_606 Depth=1
	s_or_b64 exec, exec, s[16:17]
.LBB327_703:                            ;   in Loop: Header=BB327_606 Depth=1
	s_or_b64 exec, exec, s[14:15]
.LBB327_704:                            ;   in Loop: Header=BB327_606 Depth=1
	s_or_b64 exec, exec, s[12:13]
	v_mul_f32_e32 v9, s18, v22
	v_bfe_u32 v17, v9, 16, 1
	v_add3_u32 v17, v17, v9, s26
	v_or_b32_e32 v18, 0x400000, v9
	v_cmp_u_f32_e32 vcc, v9, v9
	v_cndmask_b32_e32 v9, v17, v18, vcc
	v_lshrrev_b32_e32 v9, 16, v9
	buffer_store_dword v9, off, s[48:51], 0 offset:36 ; 4-byte Folded Spill
	v_mul_f32_e32 v9, s18, v21
	v_bfe_u32 v17, v9, 16, 1
	v_add3_u32 v17, v17, v9, s26
	v_or_b32_e32 v18, 0x400000, v9
	v_cmp_u_f32_e32 vcc, v9, v9
	v_cndmask_b32_e32 v9, v17, v18, vcc
	v_lshrrev_b32_e32 v9, 16, v9
	buffer_store_dword v9, off, s[48:51], 0 offset:40 ; 4-byte Folded Spill
	;; [unrolled: 8-line block ×4, first 2 shown]
	v_mul_f32_e32 v9, s18, v11
	v_bfe_u32 v11, v9, 16, 1
	v_add3_u32 v11, v11, v9, s26
	v_or_b32_e32 v12, 0x400000, v9
	v_cmp_u_f32_e32 vcc, v9, v9
	v_cndmask_b32_e32 v9, v11, v12, vcc
	v_lshrrev_b32_e32 v9, 16, v9
	v_mul_f32_e32 v0, s18, v0
	buffer_store_dword v9, off, s[48:51], 0 offset:60 ; 4-byte Folded Spill
	v_bfe_u32 v9, v0, 16, 1
	v_add3_u32 v9, v9, v0, s26
	v_or_b32_e32 v11, 0x400000, v0
	v_cmp_u_f32_e32 vcc, v0, v0
	v_cndmask_b32_e32 v0, v9, v11, vcc
	v_lshrrev_b32_e32 v0, 16, v0
	buffer_store_dword v0, off, s[48:51], 0 offset:64 ; 4-byte Folded Spill
	v_mul_f32_e32 v0, s18, v23
	v_bfe_u32 v9, v0, 16, 1
	v_add3_u32 v9, v9, v0, s26
	v_or_b32_e32 v11, 0x400000, v0
	v_cmp_u_f32_e32 vcc, v0, v0
	v_cndmask_b32_e32 v0, v9, v11, vcc
	v_lshrrev_b32_e32 v0, 16, v0
	buffer_store_dword v0, off, s[48:51], 0 offset:44 ; 4-byte Folded Spill
	v_mul_f32_e32 v0, s18, v19
	v_bfe_u32 v9, v0, 16, 1
	v_add3_u32 v9, v9, v0, s26
	v_or_b32_e32 v11, 0x400000, v0
	v_cmp_u_f32_e32 vcc, v0, v0
	v_cndmask_b32_e32 v0, v9, v11, vcc
	v_lshrrev_b32_e32 v0, 16, v0
	buffer_store_dword v0, off, s[48:51], 0 offset:56 ; 4-byte Folded Spill
	s_and_saveexec_b64 s[12:13], s[0:1]
	s_cbranch_execz .LBB327_706
; %bb.705:                              ;   in Loop: Header=BB327_606 Depth=1
	v_add_u32_e32 v0, -7, v37
	v_cmp_gt_i32_e32 vcc, s30, v0
	buffer_load_dword v0, off, s[48:51], 0 offset:64 ; 4-byte Folded Reload
	s_waitcnt vmcnt(0)
	v_cndmask_b32_e32 v0, 0, v0, vcc
	buffer_store_dword v0, off, s[48:51], 0 offset:64 ; 4-byte Folded Spill
	v_add_u32_e32 v0, -6, v37
	v_cmp_gt_i32_e32 vcc, s30, v0
	buffer_load_dword v0, off, s[48:51], 0 offset:60 ; 4-byte Folded Reload
	s_waitcnt vmcnt(0)
	v_cndmask_b32_e32 v0, 0, v0, vcc
	buffer_store_dword v0, off, s[48:51], 0 offset:60 ; 4-byte Folded Spill
	;; [unrolled: 6-line block ×7, first 2 shown]
	buffer_load_dword v0, off, s[48:51], 0 offset:56 ; 4-byte Folded Reload
	v_cmp_gt_i32_e32 vcc, s30, v37
	s_waitcnt vmcnt(0)
	v_cndmask_b32_e32 v0, 0, v0, vcc
	buffer_store_dword v0, off, s[48:51], 0 offset:56 ; 4-byte Folded Spill
.LBB327_706:                            ;   in Loop: Header=BB327_606 Depth=1
	s_or_b64 exec, exec, s[12:13]
	global_load_dwordx2 v[17:18], v[15:16], off offset:1024
	v_mov_b32_e32 v11, 0
	v_mov_b32_e32 v0, 0
	s_waitcnt vmcnt(0)
	v_cmp_ne_u16_sdwa s[14:15], v17, v10 src0_sel:BYTE_0 src1_sel:DWORD
	s_and_saveexec_b64 s[12:13], s[14:15]
	s_cbranch_execz .LBB327_712
; %bb.707:                              ;   in Loop: Header=BB327_606 Depth=1
	v_cmp_ne_u16_sdwa s[16:17], v17, s24 src0_sel:BYTE_0 src1_sel:DWORD
	v_bfrev_b32_e32 v0, 1
	s_and_saveexec_b64 s[14:15], s[16:17]
	s_cbranch_execz .LBB327_711
; %bb.708:                              ;   in Loop: Header=BB327_606 Depth=1
	v_and_b32_e32 v9, 0x7f, v17
	v_cmp_ne_u32_e32 vcc, s25, v9
	v_mov_b32_e32 v0, 0x7f800001
	s_and_saveexec_b64 s[16:17], vcc
	s_cbranch_execz .LBB327_710
; %bb.709:                              ;   in Loop: Header=BB327_606 Depth=1
	v_and_b32_e32 v0, 7, v17
	v_ffbh_u32_e32 v0, v0
	v_min_u32_e32 v0, 32, v0
	v_lshrrev_b32_e32 v12, 3, v9
	v_cmp_gt_u32_e32 vcc, 8, v9
	v_subrev_u32_e32 v9, 28, v0
	v_cndmask_b32_e32 v9, 0, v9, vcc
	v_lshlrev_b64 v[19:20], v9, v[17:18]
	v_sub_u32_e32 v0, 29, v0
	v_cndmask_b32_e32 v0, v12, v0, vcc
	v_lshlrev_b32_e32 v9, 20, v19
	v_lshlrev_b32_e32 v12, 24, v17
	v_and_b32_e32 v9, 0x700000, v9
	v_and_b32_e32 v12, 0x80000000, v12
	v_lshl_add_u32 v0, v0, 23, v40
	v_or3_b32 v0, v12, v0, v9
.LBB327_710:                            ;   in Loop: Header=BB327_606 Depth=1
	s_or_b64 exec, exec, s[16:17]
.LBB327_711:                            ;   in Loop: Header=BB327_606 Depth=1
	s_or_b64 exec, exec, s[14:15]
.LBB327_712:                            ;   in Loop: Header=BB327_606 Depth=1
	s_or_b64 exec, exec, s[12:13]
	v_lshrrev_b16_e32 v9, 8, v17
	v_cmp_ne_u16_e32 vcc, 0, v9
	s_and_saveexec_b64 s[12:13], vcc
	s_cbranch_execz .LBB327_718
; %bb.713:                              ;   in Loop: Header=BB327_606 Depth=1
	v_cmp_ne_u16_e32 vcc, s24, v9
	v_bfrev_b32_e32 v11, 1
	s_and_saveexec_b64 s[14:15], vcc
	s_cbranch_execz .LBB327_717
; %bb.714:                              ;   in Loop: Header=BB327_606 Depth=1
	v_and_b32_e32 v12, 0x7f, v9
	v_cmp_ne_u32_e32 vcc, s25, v12
	v_mov_b32_e32 v11, 0x7f800001
	s_and_saveexec_b64 s[16:17], vcc
	s_cbranch_execz .LBB327_716
; %bb.715:                              ;   in Loop: Header=BB327_606 Depth=1
	v_and_b32_e32 v19, 7, v9
	v_ffbh_u32_e32 v11, v19
	v_min_u32_e32 v21, 32, v11
	v_subrev_u32_e32 v11, 28, v21
	v_lshrrev_b32_e32 v20, 3, v12
	v_cmp_gt_u32_e32 vcc, 8, v12
	v_lshlrev_b64 v[11:12], v11, v[9:10]
	v_sub_u32_e32 v9, 29, v21
	v_and_b32_e32 v11, 7, v11
	v_cndmask_b32_e32 v9, v20, v9, vcc
	v_cndmask_b32_e32 v11, v19, v11, vcc
	v_lshlrev_b32_e32 v12, 16, v17
	v_lshlrev_b32_e32 v11, 20, v11
	v_and_b32_e32 v12, 0x80000000, v12
	v_lshl_add_u32 v9, v9, 23, v40
	v_or3_b32 v11, v12, v9, v11
.LBB327_716:                            ;   in Loop: Header=BB327_606 Depth=1
	s_or_b64 exec, exec, s[16:17]
.LBB327_717:                            ;   in Loop: Header=BB327_606 Depth=1
	s_or_b64 exec, exec, s[14:15]
.LBB327_718:                            ;   in Loop: Header=BB327_606 Depth=1
	s_or_b64 exec, exec, s[12:13]
	v_lshrrev_b32_e32 v9, 16, v17
	v_cmp_ne_u16_sdwa s[14:15], v9, v10 src0_sel:BYTE_0 src1_sel:DWORD
	v_mov_b32_e32 v20, 0
	v_mov_b32_e32 v12, 0
	s_and_saveexec_b64 s[12:13], s[14:15]
	s_cbranch_execz .LBB327_724
; %bb.719:                              ;   in Loop: Header=BB327_606 Depth=1
	v_cmp_ne_u16_sdwa s[16:17], v9, s24 src0_sel:BYTE_0 src1_sel:DWORD
	v_bfrev_b32_e32 v12, 1
	s_and_saveexec_b64 s[14:15], s[16:17]
	s_cbranch_execz .LBB327_723
; %bb.720:                              ;   in Loop: Header=BB327_606 Depth=1
	v_bfe_u32 v19, v17, 16, 7
	v_cmp_ne_u32_e32 vcc, s25, v19
	v_mov_b32_e32 v12, 0x7f800001
	s_and_saveexec_b64 s[16:17], vcc
	s_cbranch_execz .LBB327_722
; %bb.721:                              ;   in Loop: Header=BB327_606 Depth=1
	v_and_b32_e32 v12, 7, v9
	v_lshrrev_b32_e32 v23, 3, v19
	v_cmp_gt_u32_e32 vcc, 8, v19
	v_ffbh_u32_e32 v19, v12
	v_min_u32_e32 v19, 32, v19
	v_subrev_u32_e32 v21, 28, v19
	v_lshlrev_b64 v[21:22], v21, v[9:10]
	v_sub_u32_e32 v19, 29, v19
	v_and_b32_e32 v21, 7, v21
	v_cndmask_b32_e32 v19, v23, v19, vcc
	v_cndmask_b32_e32 v12, v12, v21, vcc
	v_lshlrev_b32_e32 v9, 24, v9
	v_lshlrev_b32_e32 v12, 20, v12
	v_and_b32_e32 v9, 0x80000000, v9
	v_lshl_add_u32 v19, v19, 23, v40
	v_or3_b32 v12, v9, v19, v12
.LBB327_722:                            ;   in Loop: Header=BB327_606 Depth=1
	s_or_b64 exec, exec, s[16:17]
.LBB327_723:                            ;   in Loop: Header=BB327_606 Depth=1
	s_or_b64 exec, exec, s[14:15]
.LBB327_724:                            ;   in Loop: Header=BB327_606 Depth=1
	s_or_b64 exec, exec, s[12:13]
	v_cmp_lt_u32_e32 vcc, s5, v17
	s_and_saveexec_b64 s[12:13], vcc
	s_cbranch_execz .LBB327_730
; %bb.725:                              ;   in Loop: Header=BB327_606 Depth=1
	v_lshrrev_b32_e32 v9, 24, v17
	v_cmp_ne_u32_e32 vcc, s24, v9
	v_bfrev_b32_e32 v20, 1
	s_and_saveexec_b64 s[14:15], vcc
	s_cbranch_execz .LBB327_729
; %bb.726:                              ;   in Loop: Header=BB327_606 Depth=1
	v_bfe_u32 v19, v17, 24, 7
	v_cmp_ne_u32_e32 vcc, s25, v19
	v_mov_b32_e32 v20, 0x7f800001
	s_and_saveexec_b64 s[16:17], vcc
	s_cbranch_execz .LBB327_728
; %bb.727:                              ;   in Loop: Header=BB327_606 Depth=1
	v_and_b32_e32 v21, 7, v9
	v_lshrrev_b32_e32 v22, 3, v19
	v_cmp_gt_u32_e32 vcc, 8, v19
	v_ffbh_u32_e32 v19, v21
	v_min_u32_e32 v23, 32, v19
	v_subrev_u32_e32 v19, 28, v23
	v_lshlrev_b64 v[19:20], v19, v[9:10]
	v_sub_u32_e32 v20, 29, v23
	v_and_b32_e32 v19, 7, v19
	v_cndmask_b32_e32 v20, v22, v20, vcc
	v_cndmask_b32_e32 v19, v21, v19, vcc
	v_lshlrev_b32_e32 v9, 24, v9
	v_lshlrev_b32_e32 v19, 20, v19
	v_and_b32_e32 v9, 0x80000000, v9
	v_lshl_add_u32 v20, v20, 23, v40
	v_or3_b32 v20, v9, v20, v19
.LBB327_728:                            ;   in Loop: Header=BB327_606 Depth=1
	s_or_b64 exec, exec, s[16:17]
.LBB327_729:                            ;   in Loop: Header=BB327_606 Depth=1
	s_or_b64 exec, exec, s[14:15]
.LBB327_730:                            ;   in Loop: Header=BB327_606 Depth=1
	s_or_b64 exec, exec, s[12:13]
	v_mov_b32_e32 v9, v18
	v_cmp_ne_u16_sdwa s[14:15], v18, v10 src0_sel:BYTE_0 src1_sel:DWORD
	v_mov_b32_e32 v22, 0
	v_mov_b32_e32 v21, 0
	s_and_saveexec_b64 s[12:13], s[14:15]
	s_cbranch_execz .LBB327_736
; %bb.731:                              ;   in Loop: Header=BB327_606 Depth=1
	v_cmp_ne_u16_sdwa s[16:17], v18, s24 src0_sel:BYTE_0 src1_sel:DWORD
	v_bfrev_b32_e32 v21, 1
	s_and_saveexec_b64 s[14:15], s[16:17]
	s_cbranch_execz .LBB327_735
; %bb.732:                              ;   in Loop: Header=BB327_606 Depth=1
	v_and_b32_e32 v19, 0x7f, v18
	v_cmp_ne_u32_e32 vcc, s25, v19
	v_mov_b32_e32 v21, 0x7f800001
	s_and_saveexec_b64 s[16:17], vcc
	s_cbranch_execz .LBB327_734
; %bb.733:                              ;   in Loop: Header=BB327_606 Depth=1
	v_and_b32_e32 v21, 7, v18
	v_lshrrev_b32_e32 v23, 3, v19
	v_cmp_gt_u32_e32 vcc, 8, v19
	v_ffbh_u32_e32 v19, v21
	v_min_u32_e32 v19, 32, v19
	v_subrev_u32_e32 v21, 28, v19
	v_sub_u32_e32 v19, 29, v19
	v_cndmask_b32_e32 v21, 0, v21, vcc
	v_cndmask_b32_e32 v19, v23, v19, vcc
	v_lshlrev_b64 v[23:24], v21, v[9:10]
	v_lshl_add_u32 v19, v19, 23, v40
	v_lshlrev_b32_e32 v21, 20, v23
	v_lshlrev_b32_e32 v23, 24, v9
	v_and_b32_e32 v21, 0x700000, v21
	v_and_b32_e32 v23, 0x80000000, v23
	v_or3_b32 v21, v23, v19, v21
.LBB327_734:                            ;   in Loop: Header=BB327_606 Depth=1
	s_or_b64 exec, exec, s[16:17]
.LBB327_735:                            ;   in Loop: Header=BB327_606 Depth=1
	s_or_b64 exec, exec, s[14:15]
.LBB327_736:                            ;   in Loop: Header=BB327_606 Depth=1
	s_or_b64 exec, exec, s[12:13]
	v_lshrrev_b16_e32 v19, 8, v9
	v_cmp_ne_u16_e32 vcc, 0, v19
	s_and_saveexec_b64 s[12:13], vcc
	s_cbranch_execz .LBB327_742
; %bb.737:                              ;   in Loop: Header=BB327_606 Depth=1
	v_cmp_ne_u16_e32 vcc, s24, v19
	v_bfrev_b32_e32 v22, 1
	s_and_saveexec_b64 s[14:15], vcc
	s_cbranch_execz .LBB327_741
; %bb.738:                              ;   in Loop: Header=BB327_606 Depth=1
	v_and_b32_e32 v23, 0x7f, v19
	v_cmp_ne_u32_e32 vcc, s25, v23
	v_mov_b32_e32 v22, 0x7f800001
	s_and_saveexec_b64 s[16:17], vcc
	s_cbranch_execz .LBB327_740
; %bb.739:                              ;   in Loop: Header=BB327_606 Depth=1
	v_and_b32_e32 v24, 7, v19
	v_ffbh_u32_e32 v22, v24
	v_min_u32_e32 v26, 32, v22
	v_subrev_u32_e32 v22, 28, v26
	v_lshrrev_b32_e32 v25, 3, v23
	v_cmp_gt_u32_e32 vcc, 8, v23
	v_lshlrev_b64 v[22:23], v22, v[19:20]
	v_sub_u32_e32 v19, 29, v26
	v_and_b32_e32 v22, 7, v22
	v_cndmask_b32_e32 v19, v25, v19, vcc
	v_cndmask_b32_e32 v22, v24, v22, vcc
	v_lshlrev_b32_e32 v9, 16, v9
	v_lshlrev_b32_e32 v22, 20, v22
	v_and_b32_e32 v9, 0x80000000, v9
	v_lshl_add_u32 v19, v19, 23, v40
	v_or3_b32 v22, v9, v19, v22
.LBB327_740:                            ;   in Loop: Header=BB327_606 Depth=1
	s_or_b64 exec, exec, s[16:17]
.LBB327_741:                            ;   in Loop: Header=BB327_606 Depth=1
	s_or_b64 exec, exec, s[14:15]
.LBB327_742:                            ;   in Loop: Header=BB327_606 Depth=1
	s_or_b64 exec, exec, s[12:13]
	v_lshrrev_b32_e32 v9, 16, v18
	v_cmp_ne_u16_sdwa s[14:15], v9, v10 src0_sel:BYTE_0 src1_sel:DWORD
	v_mov_b32_e32 v19, 0
	v_mov_b32_e32 v23, 0
	s_and_saveexec_b64 s[12:13], s[14:15]
	s_cbranch_execz .LBB327_748
; %bb.743:                              ;   in Loop: Header=BB327_606 Depth=1
	v_cmp_ne_u16_sdwa s[16:17], v9, s24 src0_sel:BYTE_0 src1_sel:DWORD
	v_bfrev_b32_e32 v23, 1
	s_and_saveexec_b64 s[14:15], s[16:17]
	s_cbranch_execz .LBB327_747
; %bb.744:                              ;   in Loop: Header=BB327_606 Depth=1
	v_bfe_u32 v24, v18, 16, 7
	v_cmp_ne_u32_e32 vcc, s25, v24
	v_mov_b32_e32 v23, 0x7f800001
	s_and_saveexec_b64 s[16:17], vcc
	s_cbranch_execz .LBB327_746
; %bb.745:                              ;   in Loop: Header=BB327_606 Depth=1
	v_and_b32_e32 v25, 7, v9
	v_ffbh_u32_e32 v23, v25
	v_min_u32_e32 v27, 32, v23
	v_subrev_u32_e32 v23, 28, v27
	v_lshrrev_b32_e32 v26, 3, v24
	v_cmp_gt_u32_e32 vcc, 8, v24
	v_lshlrev_b64 v[23:24], v23, v[9:10]
	v_sub_u32_e32 v24, 29, v27
	v_and_b32_e32 v23, 7, v23
	v_cndmask_b32_e32 v24, v26, v24, vcc
	v_cndmask_b32_e32 v23, v25, v23, vcc
	v_lshlrev_b32_e32 v9, 24, v9
	v_lshlrev_b32_e32 v23, 20, v23
	v_and_b32_e32 v9, 0x80000000, v9
	v_lshl_add_u32 v24, v24, 23, v40
	v_or3_b32 v23, v9, v24, v23
.LBB327_746:                            ;   in Loop: Header=BB327_606 Depth=1
	s_or_b64 exec, exec, s[16:17]
.LBB327_747:                            ;   in Loop: Header=BB327_606 Depth=1
	s_or_b64 exec, exec, s[14:15]
.LBB327_748:                            ;   in Loop: Header=BB327_606 Depth=1
	s_or_b64 exec, exec, s[12:13]
	v_cmp_lt_u64_e32 vcc, s[4:5], v[17:18]
	s_and_saveexec_b64 s[12:13], vcc
	s_cbranch_execz .LBB327_754
; %bb.749:                              ;   in Loop: Header=BB327_606 Depth=1
	v_lshrrev_b32_e32 v9, 24, v18
	v_cmp_ne_u32_e32 vcc, s24, v9
	v_bfrev_b32_e32 v19, 1
	s_and_saveexec_b64 s[14:15], vcc
	s_cbranch_execz .LBB327_753
; %bb.750:                              ;   in Loop: Header=BB327_606 Depth=1
	v_bfe_u32 v17, v18, 24, 7
	v_cmp_ne_u32_e32 vcc, s25, v17
	v_mov_b32_e32 v19, 0x7f800001
	s_and_saveexec_b64 s[16:17], vcc
	s_cbranch_execz .LBB327_752
; %bb.751:                              ;   in Loop: Header=BB327_606 Depth=1
	v_and_b32_e32 v19, 7, v9
	v_lshrrev_b32_e32 v24, 3, v17
	v_cmp_gt_u32_e32 vcc, 8, v17
	v_ffbh_u32_e32 v17, v19
	v_min_u32_e32 v25, 32, v17
	v_subrev_u32_e32 v17, 28, v25
	v_lshlrev_b64 v[17:18], v17, v[9:10]
	v_sub_u32_e32 v18, 29, v25
	v_and_b32_e32 v17, 7, v17
	v_cndmask_b32_e32 v18, v24, v18, vcc
	v_cndmask_b32_e32 v17, v19, v17, vcc
	v_lshlrev_b32_e32 v9, 24, v9
	v_lshlrev_b32_e32 v17, 20, v17
	v_and_b32_e32 v9, 0x80000000, v9
	v_lshl_add_u32 v18, v18, 23, v40
	v_or3_b32 v19, v9, v18, v17
.LBB327_752:                            ;   in Loop: Header=BB327_606 Depth=1
	s_or_b64 exec, exec, s[16:17]
.LBB327_753:                            ;   in Loop: Header=BB327_606 Depth=1
	s_or_b64 exec, exec, s[14:15]
.LBB327_754:                            ;   in Loop: Header=BB327_606 Depth=1
	s_or_b64 exec, exec, s[12:13]
	v_mul_f32_e32 v9, s18, v22
	v_bfe_u32 v17, v9, 16, 1
	v_add3_u32 v17, v17, v9, s26
	v_or_b32_e32 v18, 0x400000, v9
	v_cmp_u_f32_e32 vcc, v9, v9
	v_cndmask_b32_e32 v9, v17, v18, vcc
	v_lshrrev_b32_e32 v9, 16, v9
	buffer_store_dword v9, off, s[48:51], 0 offset:72 ; 4-byte Folded Spill
	v_mul_f32_e32 v9, s18, v21
	v_bfe_u32 v17, v9, 16, 1
	v_add3_u32 v17, v17, v9, s26
	v_or_b32_e32 v18, 0x400000, v9
	v_cmp_u_f32_e32 vcc, v9, v9
	v_cndmask_b32_e32 v9, v17, v18, vcc
	v_lshrrev_b32_e32 v9, 16, v9
	buffer_store_dword v9, off, s[48:51], 0 offset:68 ; 4-byte Folded Spill
	;; [unrolled: 8-line block ×4, first 2 shown]
	v_mul_f32_e32 v9, s18, v11
	v_bfe_u32 v11, v9, 16, 1
	v_add3_u32 v11, v11, v9, s26
	v_or_b32_e32 v12, 0x400000, v9
	v_cmp_u_f32_e32 vcc, v9, v9
	v_cndmask_b32_e32 v9, v11, v12, vcc
	v_lshrrev_b32_e32 v9, 16, v9
	v_mul_f32_e32 v0, s18, v0
	buffer_store_dword v9, off, s[48:51], 0 offset:96 ; 4-byte Folded Spill
	v_bfe_u32 v9, v0, 16, 1
	v_add3_u32 v9, v9, v0, s26
	v_or_b32_e32 v11, 0x400000, v0
	v_cmp_u_f32_e32 vcc, v0, v0
	v_cndmask_b32_e32 v0, v9, v11, vcc
	v_lshrrev_b32_e32 v0, 16, v0
	buffer_store_dword v0, off, s[48:51], 0 offset:92 ; 4-byte Folded Spill
	v_mul_f32_e32 v0, s18, v23
	v_bfe_u32 v9, v0, 16, 1
	v_add3_u32 v9, v9, v0, s26
	v_or_b32_e32 v11, 0x400000, v0
	v_cmp_u_f32_e32 vcc, v0, v0
	v_cndmask_b32_e32 v0, v9, v11, vcc
	v_lshrrev_b32_e32 v0, 16, v0
	buffer_store_dword v0, off, s[48:51], 0 offset:76 ; 4-byte Folded Spill
	v_mul_f32_e32 v0, s18, v19
	v_bfe_u32 v9, v0, 16, 1
	v_add3_u32 v9, v9, v0, s26
	v_or_b32_e32 v11, 0x400000, v0
	v_cmp_u_f32_e32 vcc, v0, v0
	v_cndmask_b32_e32 v0, v9, v11, vcc
	v_lshrrev_b32_e32 v0, 16, v0
	buffer_store_dword v0, off, s[48:51], 0 offset:88 ; 4-byte Folded Spill
	s_and_saveexec_b64 s[12:13], s[0:1]
	s_cbranch_execz .LBB327_756
; %bb.755:                              ;   in Loop: Header=BB327_606 Depth=1
	v_add_u32_e32 v0, -7, v37
	v_cmp_gt_i32_e32 vcc, s30, v0
	buffer_load_dword v0, off, s[48:51], 0 offset:92 ; 4-byte Folded Reload
	s_waitcnt vmcnt(0)
	v_cndmask_b32_e32 v0, 0, v0, vcc
	buffer_store_dword v0, off, s[48:51], 0 offset:92 ; 4-byte Folded Spill
	v_add_u32_e32 v0, -6, v37
	v_cmp_gt_i32_e32 vcc, s30, v0
	buffer_load_dword v0, off, s[48:51], 0 offset:96 ; 4-byte Folded Reload
	s_waitcnt vmcnt(0)
	v_cndmask_b32_e32 v0, 0, v0, vcc
	buffer_store_dword v0, off, s[48:51], 0 offset:96 ; 4-byte Folded Spill
	v_add_u32_e32 v0, -5, v37
	v_cmp_gt_i32_e32 vcc, s30, v0
	buffer_load_dword v0, off, s[48:51], 0 offset:80 ; 4-byte Folded Reload
	s_waitcnt vmcnt(0)
	v_cndmask_b32_e32 v0, 0, v0, vcc
	buffer_store_dword v0, off, s[48:51], 0 offset:80 ; 4-byte Folded Spill
	v_add_u32_e32 v0, -4, v37
	v_cmp_gt_i32_e32 vcc, s30, v0
	buffer_load_dword v0, off, s[48:51], 0 offset:84 ; 4-byte Folded Reload
	s_waitcnt vmcnt(0)
	v_cndmask_b32_e32 v0, 0, v0, vcc
	buffer_store_dword v0, off, s[48:51], 0 offset:84 ; 4-byte Folded Spill
	v_add_u32_e32 v0, -3, v37
	v_cmp_gt_i32_e32 vcc, s30, v0
	buffer_load_dword v0, off, s[48:51], 0 offset:68 ; 4-byte Folded Reload
	s_waitcnt vmcnt(0)
	v_cndmask_b32_e32 v0, 0, v0, vcc
	buffer_store_dword v0, off, s[48:51], 0 offset:68 ; 4-byte Folded Spill
	v_add_u32_e32 v0, -2, v37
	v_cmp_gt_i32_e32 vcc, s30, v0
	buffer_load_dword v0, off, s[48:51], 0 offset:72 ; 4-byte Folded Reload
	s_waitcnt vmcnt(0)
	v_cndmask_b32_e32 v0, 0, v0, vcc
	buffer_store_dword v0, off, s[48:51], 0 offset:72 ; 4-byte Folded Spill
	v_add_u32_e32 v0, -1, v37
	v_cmp_gt_i32_e32 vcc, s30, v0
	buffer_load_dword v0, off, s[48:51], 0 offset:76 ; 4-byte Folded Reload
	s_waitcnt vmcnt(0)
	v_cndmask_b32_e32 v0, 0, v0, vcc
	buffer_store_dword v0, off, s[48:51], 0 offset:76 ; 4-byte Folded Spill
	buffer_load_dword v0, off, s[48:51], 0 offset:88 ; 4-byte Folded Reload
	v_cmp_gt_i32_e32 vcc, s30, v37
	s_waitcnt vmcnt(0)
	v_cndmask_b32_e32 v0, 0, v0, vcc
	buffer_store_dword v0, off, s[48:51], 0 offset:88 ; 4-byte Folded Spill
.LBB327_756:                            ;   in Loop: Header=BB327_606 Depth=1
	s_or_b64 exec, exec, s[12:13]
	global_load_dwordx2 v[17:18], v[15:16], off offset:1536
	v_mov_b32_e32 v11, 0
	v_mov_b32_e32 v0, 0
	s_waitcnt vmcnt(0)
	v_cmp_ne_u16_sdwa s[14:15], v17, v10 src0_sel:BYTE_0 src1_sel:DWORD
	s_and_saveexec_b64 s[12:13], s[14:15]
	s_cbranch_execz .LBB327_762
; %bb.757:                              ;   in Loop: Header=BB327_606 Depth=1
	v_cmp_ne_u16_sdwa s[16:17], v17, s24 src0_sel:BYTE_0 src1_sel:DWORD
	v_bfrev_b32_e32 v0, 1
	s_and_saveexec_b64 s[14:15], s[16:17]
	s_cbranch_execz .LBB327_761
; %bb.758:                              ;   in Loop: Header=BB327_606 Depth=1
	v_and_b32_e32 v9, 0x7f, v17
	v_cmp_ne_u32_e32 vcc, s25, v9
	v_mov_b32_e32 v0, 0x7f800001
	s_and_saveexec_b64 s[16:17], vcc
	s_cbranch_execz .LBB327_760
; %bb.759:                              ;   in Loop: Header=BB327_606 Depth=1
	v_and_b32_e32 v0, 7, v17
	v_ffbh_u32_e32 v0, v0
	v_min_u32_e32 v0, 32, v0
	v_lshrrev_b32_e32 v12, 3, v9
	v_cmp_gt_u32_e32 vcc, 8, v9
	v_subrev_u32_e32 v9, 28, v0
	v_cndmask_b32_e32 v9, 0, v9, vcc
	v_lshlrev_b64 v[19:20], v9, v[17:18]
	v_sub_u32_e32 v0, 29, v0
	v_cndmask_b32_e32 v0, v12, v0, vcc
	v_lshlrev_b32_e32 v9, 20, v19
	v_lshlrev_b32_e32 v12, 24, v17
	v_and_b32_e32 v9, 0x700000, v9
	v_and_b32_e32 v12, 0x80000000, v12
	v_lshl_add_u32 v0, v0, 23, v40
	v_or3_b32 v0, v12, v0, v9
.LBB327_760:                            ;   in Loop: Header=BB327_606 Depth=1
	s_or_b64 exec, exec, s[16:17]
.LBB327_761:                            ;   in Loop: Header=BB327_606 Depth=1
	s_or_b64 exec, exec, s[14:15]
.LBB327_762:                            ;   in Loop: Header=BB327_606 Depth=1
	s_or_b64 exec, exec, s[12:13]
	v_lshrrev_b16_e32 v9, 8, v17
	v_cmp_ne_u16_e32 vcc, 0, v9
	s_and_saveexec_b64 s[12:13], vcc
	s_cbranch_execz .LBB327_768
; %bb.763:                              ;   in Loop: Header=BB327_606 Depth=1
	v_cmp_ne_u16_e32 vcc, s24, v9
	v_bfrev_b32_e32 v11, 1
	s_and_saveexec_b64 s[14:15], vcc
	s_cbranch_execz .LBB327_767
; %bb.764:                              ;   in Loop: Header=BB327_606 Depth=1
	v_and_b32_e32 v12, 0x7f, v9
	v_cmp_ne_u32_e32 vcc, s25, v12
	v_mov_b32_e32 v11, 0x7f800001
	s_and_saveexec_b64 s[16:17], vcc
	s_cbranch_execz .LBB327_766
; %bb.765:                              ;   in Loop: Header=BB327_606 Depth=1
	v_and_b32_e32 v19, 7, v9
	v_ffbh_u32_e32 v11, v19
	v_min_u32_e32 v21, 32, v11
	v_subrev_u32_e32 v11, 28, v21
	v_lshrrev_b32_e32 v20, 3, v12
	v_cmp_gt_u32_e32 vcc, 8, v12
	v_lshlrev_b64 v[11:12], v11, v[9:10]
	v_sub_u32_e32 v9, 29, v21
	v_and_b32_e32 v11, 7, v11
	v_cndmask_b32_e32 v9, v20, v9, vcc
	v_cndmask_b32_e32 v11, v19, v11, vcc
	v_lshlrev_b32_e32 v12, 16, v17
	v_lshlrev_b32_e32 v11, 20, v11
	v_and_b32_e32 v12, 0x80000000, v12
	v_lshl_add_u32 v9, v9, 23, v40
	v_or3_b32 v11, v12, v9, v11
.LBB327_766:                            ;   in Loop: Header=BB327_606 Depth=1
	s_or_b64 exec, exec, s[16:17]
.LBB327_767:                            ;   in Loop: Header=BB327_606 Depth=1
	s_or_b64 exec, exec, s[14:15]
.LBB327_768:                            ;   in Loop: Header=BB327_606 Depth=1
	s_or_b64 exec, exec, s[12:13]
	v_lshrrev_b32_e32 v9, 16, v17
	v_cmp_ne_u16_sdwa s[14:15], v9, v10 src0_sel:BYTE_0 src1_sel:DWORD
	v_mov_b32_e32 v20, 0
	v_mov_b32_e32 v12, 0
	s_and_saveexec_b64 s[12:13], s[14:15]
	s_cbranch_execz .LBB327_774
; %bb.769:                              ;   in Loop: Header=BB327_606 Depth=1
	v_cmp_ne_u16_sdwa s[16:17], v9, s24 src0_sel:BYTE_0 src1_sel:DWORD
	v_bfrev_b32_e32 v12, 1
	s_and_saveexec_b64 s[14:15], s[16:17]
	s_cbranch_execz .LBB327_773
; %bb.770:                              ;   in Loop: Header=BB327_606 Depth=1
	v_bfe_u32 v19, v17, 16, 7
	v_cmp_ne_u32_e32 vcc, s25, v19
	v_mov_b32_e32 v12, 0x7f800001
	s_and_saveexec_b64 s[16:17], vcc
	s_cbranch_execz .LBB327_772
; %bb.771:                              ;   in Loop: Header=BB327_606 Depth=1
	v_and_b32_e32 v12, 7, v9
	v_lshrrev_b32_e32 v23, 3, v19
	v_cmp_gt_u32_e32 vcc, 8, v19
	v_ffbh_u32_e32 v19, v12
	v_min_u32_e32 v19, 32, v19
	v_subrev_u32_e32 v21, 28, v19
	v_lshlrev_b64 v[21:22], v21, v[9:10]
	v_sub_u32_e32 v19, 29, v19
	v_and_b32_e32 v21, 7, v21
	v_cndmask_b32_e32 v19, v23, v19, vcc
	v_cndmask_b32_e32 v12, v12, v21, vcc
	v_lshlrev_b32_e32 v9, 24, v9
	v_lshlrev_b32_e32 v12, 20, v12
	v_and_b32_e32 v9, 0x80000000, v9
	v_lshl_add_u32 v19, v19, 23, v40
	v_or3_b32 v12, v9, v19, v12
.LBB327_772:                            ;   in Loop: Header=BB327_606 Depth=1
	s_or_b64 exec, exec, s[16:17]
.LBB327_773:                            ;   in Loop: Header=BB327_606 Depth=1
	s_or_b64 exec, exec, s[14:15]
.LBB327_774:                            ;   in Loop: Header=BB327_606 Depth=1
	s_or_b64 exec, exec, s[12:13]
	v_cmp_lt_u32_e32 vcc, s5, v17
	s_and_saveexec_b64 s[12:13], vcc
	s_cbranch_execz .LBB327_780
; %bb.775:                              ;   in Loop: Header=BB327_606 Depth=1
	v_lshrrev_b32_e32 v9, 24, v17
	v_cmp_ne_u32_e32 vcc, s24, v9
	v_bfrev_b32_e32 v20, 1
	s_and_saveexec_b64 s[14:15], vcc
	s_cbranch_execz .LBB327_779
; %bb.776:                              ;   in Loop: Header=BB327_606 Depth=1
	v_bfe_u32 v19, v17, 24, 7
	v_cmp_ne_u32_e32 vcc, s25, v19
	v_mov_b32_e32 v20, 0x7f800001
	s_and_saveexec_b64 s[16:17], vcc
	s_cbranch_execz .LBB327_778
; %bb.777:                              ;   in Loop: Header=BB327_606 Depth=1
	v_and_b32_e32 v21, 7, v9
	v_lshrrev_b32_e32 v22, 3, v19
	v_cmp_gt_u32_e32 vcc, 8, v19
	v_ffbh_u32_e32 v19, v21
	v_min_u32_e32 v23, 32, v19
	v_subrev_u32_e32 v19, 28, v23
	v_lshlrev_b64 v[19:20], v19, v[9:10]
	v_sub_u32_e32 v20, 29, v23
	v_and_b32_e32 v19, 7, v19
	v_cndmask_b32_e32 v20, v22, v20, vcc
	v_cndmask_b32_e32 v19, v21, v19, vcc
	v_lshlrev_b32_e32 v9, 24, v9
	v_lshlrev_b32_e32 v19, 20, v19
	v_and_b32_e32 v9, 0x80000000, v9
	v_lshl_add_u32 v20, v20, 23, v40
	v_or3_b32 v20, v9, v20, v19
.LBB327_778:                            ;   in Loop: Header=BB327_606 Depth=1
	s_or_b64 exec, exec, s[16:17]
.LBB327_779:                            ;   in Loop: Header=BB327_606 Depth=1
	s_or_b64 exec, exec, s[14:15]
.LBB327_780:                            ;   in Loop: Header=BB327_606 Depth=1
	s_or_b64 exec, exec, s[12:13]
	v_mov_b32_e32 v9, v18
	v_cmp_ne_u16_sdwa s[14:15], v18, v10 src0_sel:BYTE_0 src1_sel:DWORD
	v_mov_b32_e32 v22, 0
	v_mov_b32_e32 v21, 0
	s_and_saveexec_b64 s[12:13], s[14:15]
	s_cbranch_execz .LBB327_786
; %bb.781:                              ;   in Loop: Header=BB327_606 Depth=1
	v_cmp_ne_u16_sdwa s[16:17], v18, s24 src0_sel:BYTE_0 src1_sel:DWORD
	v_bfrev_b32_e32 v21, 1
	s_and_saveexec_b64 s[14:15], s[16:17]
	s_cbranch_execz .LBB327_785
; %bb.782:                              ;   in Loop: Header=BB327_606 Depth=1
	v_and_b32_e32 v19, 0x7f, v18
	v_cmp_ne_u32_e32 vcc, s25, v19
	v_mov_b32_e32 v21, 0x7f800001
	s_and_saveexec_b64 s[16:17], vcc
	s_cbranch_execz .LBB327_784
; %bb.783:                              ;   in Loop: Header=BB327_606 Depth=1
	v_and_b32_e32 v21, 7, v18
	v_lshrrev_b32_e32 v23, 3, v19
	v_cmp_gt_u32_e32 vcc, 8, v19
	v_ffbh_u32_e32 v19, v21
	v_min_u32_e32 v19, 32, v19
	v_subrev_u32_e32 v21, 28, v19
	v_sub_u32_e32 v19, 29, v19
	v_cndmask_b32_e32 v21, 0, v21, vcc
	v_cndmask_b32_e32 v19, v23, v19, vcc
	v_lshlrev_b64 v[23:24], v21, v[9:10]
	v_lshl_add_u32 v19, v19, 23, v40
	v_lshlrev_b32_e32 v21, 20, v23
	v_lshlrev_b32_e32 v23, 24, v9
	v_and_b32_e32 v21, 0x700000, v21
	v_and_b32_e32 v23, 0x80000000, v23
	v_or3_b32 v21, v23, v19, v21
.LBB327_784:                            ;   in Loop: Header=BB327_606 Depth=1
	s_or_b64 exec, exec, s[16:17]
.LBB327_785:                            ;   in Loop: Header=BB327_606 Depth=1
	s_or_b64 exec, exec, s[14:15]
.LBB327_786:                            ;   in Loop: Header=BB327_606 Depth=1
	s_or_b64 exec, exec, s[12:13]
	v_lshrrev_b16_e32 v19, 8, v9
	v_cmp_ne_u16_e32 vcc, 0, v19
	s_and_saveexec_b64 s[12:13], vcc
	s_cbranch_execz .LBB327_792
; %bb.787:                              ;   in Loop: Header=BB327_606 Depth=1
	v_cmp_ne_u16_e32 vcc, s24, v19
	v_bfrev_b32_e32 v22, 1
	s_and_saveexec_b64 s[14:15], vcc
	s_cbranch_execz .LBB327_791
; %bb.788:                              ;   in Loop: Header=BB327_606 Depth=1
	v_and_b32_e32 v23, 0x7f, v19
	v_cmp_ne_u32_e32 vcc, s25, v23
	v_mov_b32_e32 v22, 0x7f800001
	s_and_saveexec_b64 s[16:17], vcc
	s_cbranch_execz .LBB327_790
; %bb.789:                              ;   in Loop: Header=BB327_606 Depth=1
	v_and_b32_e32 v24, 7, v19
	v_ffbh_u32_e32 v22, v24
	v_min_u32_e32 v26, 32, v22
	v_subrev_u32_e32 v22, 28, v26
	v_lshrrev_b32_e32 v25, 3, v23
	v_cmp_gt_u32_e32 vcc, 8, v23
	v_lshlrev_b64 v[22:23], v22, v[19:20]
	v_sub_u32_e32 v19, 29, v26
	v_and_b32_e32 v22, 7, v22
	v_cndmask_b32_e32 v19, v25, v19, vcc
	v_cndmask_b32_e32 v22, v24, v22, vcc
	v_lshlrev_b32_e32 v9, 16, v9
	v_lshlrev_b32_e32 v22, 20, v22
	v_and_b32_e32 v9, 0x80000000, v9
	v_lshl_add_u32 v19, v19, 23, v40
	v_or3_b32 v22, v9, v19, v22
.LBB327_790:                            ;   in Loop: Header=BB327_606 Depth=1
	s_or_b64 exec, exec, s[16:17]
.LBB327_791:                            ;   in Loop: Header=BB327_606 Depth=1
	s_or_b64 exec, exec, s[14:15]
.LBB327_792:                            ;   in Loop: Header=BB327_606 Depth=1
	s_or_b64 exec, exec, s[12:13]
	v_lshrrev_b32_e32 v9, 16, v18
	v_cmp_ne_u16_sdwa s[14:15], v9, v10 src0_sel:BYTE_0 src1_sel:DWORD
	v_mov_b32_e32 v19, 0
	v_mov_b32_e32 v23, 0
	s_and_saveexec_b64 s[12:13], s[14:15]
	s_cbranch_execz .LBB327_798
; %bb.793:                              ;   in Loop: Header=BB327_606 Depth=1
	v_cmp_ne_u16_sdwa s[16:17], v9, s24 src0_sel:BYTE_0 src1_sel:DWORD
	v_bfrev_b32_e32 v23, 1
	s_and_saveexec_b64 s[14:15], s[16:17]
	s_cbranch_execz .LBB327_797
; %bb.794:                              ;   in Loop: Header=BB327_606 Depth=1
	v_bfe_u32 v24, v18, 16, 7
	v_cmp_ne_u32_e32 vcc, s25, v24
	v_mov_b32_e32 v23, 0x7f800001
	s_and_saveexec_b64 s[16:17], vcc
	s_cbranch_execz .LBB327_796
; %bb.795:                              ;   in Loop: Header=BB327_606 Depth=1
	v_and_b32_e32 v25, 7, v9
	v_ffbh_u32_e32 v23, v25
	v_min_u32_e32 v27, 32, v23
	v_subrev_u32_e32 v23, 28, v27
	v_lshrrev_b32_e32 v26, 3, v24
	v_cmp_gt_u32_e32 vcc, 8, v24
	v_lshlrev_b64 v[23:24], v23, v[9:10]
	v_sub_u32_e32 v24, 29, v27
	v_and_b32_e32 v23, 7, v23
	v_cndmask_b32_e32 v24, v26, v24, vcc
	v_cndmask_b32_e32 v23, v25, v23, vcc
	v_lshlrev_b32_e32 v9, 24, v9
	v_lshlrev_b32_e32 v23, 20, v23
	v_and_b32_e32 v9, 0x80000000, v9
	v_lshl_add_u32 v24, v24, 23, v40
	v_or3_b32 v23, v9, v24, v23
.LBB327_796:                            ;   in Loop: Header=BB327_606 Depth=1
	s_or_b64 exec, exec, s[16:17]
.LBB327_797:                            ;   in Loop: Header=BB327_606 Depth=1
	s_or_b64 exec, exec, s[14:15]
.LBB327_798:                            ;   in Loop: Header=BB327_606 Depth=1
	s_or_b64 exec, exec, s[12:13]
	v_cmp_lt_u64_e32 vcc, s[4:5], v[17:18]
	s_and_saveexec_b64 s[12:13], vcc
	s_cbranch_execz .LBB327_804
; %bb.799:                              ;   in Loop: Header=BB327_606 Depth=1
	v_lshrrev_b32_e32 v9, 24, v18
	v_cmp_ne_u32_e32 vcc, s24, v9
	v_bfrev_b32_e32 v19, 1
	s_and_saveexec_b64 s[14:15], vcc
	s_cbranch_execz .LBB327_803
; %bb.800:                              ;   in Loop: Header=BB327_606 Depth=1
	v_bfe_u32 v17, v18, 24, 7
	v_cmp_ne_u32_e32 vcc, s25, v17
	v_mov_b32_e32 v19, 0x7f800001
	s_and_saveexec_b64 s[16:17], vcc
	s_cbranch_execz .LBB327_802
; %bb.801:                              ;   in Loop: Header=BB327_606 Depth=1
	v_and_b32_e32 v19, 7, v9
	v_lshrrev_b32_e32 v24, 3, v17
	v_cmp_gt_u32_e32 vcc, 8, v17
	v_ffbh_u32_e32 v17, v19
	v_min_u32_e32 v25, 32, v17
	v_subrev_u32_e32 v17, 28, v25
	v_lshlrev_b64 v[17:18], v17, v[9:10]
	v_sub_u32_e32 v18, 29, v25
	v_and_b32_e32 v17, 7, v17
	v_cndmask_b32_e32 v18, v24, v18, vcc
	v_cndmask_b32_e32 v17, v19, v17, vcc
	v_lshlrev_b32_e32 v9, 24, v9
	v_lshlrev_b32_e32 v17, 20, v17
	v_and_b32_e32 v9, 0x80000000, v9
	v_lshl_add_u32 v18, v18, 23, v40
	v_or3_b32 v19, v9, v18, v17
.LBB327_802:                            ;   in Loop: Header=BB327_606 Depth=1
	s_or_b64 exec, exec, s[16:17]
.LBB327_803:                            ;   in Loop: Header=BB327_606 Depth=1
	s_or_b64 exec, exec, s[14:15]
.LBB327_804:                            ;   in Loop: Header=BB327_606 Depth=1
	s_or_b64 exec, exec, s[12:13]
	v_mul_f32_e32 v9, s18, v22
	v_bfe_u32 v17, v9, 16, 1
	v_add3_u32 v17, v17, v9, s26
	v_or_b32_e32 v18, 0x400000, v9
	v_cmp_u_f32_e32 vcc, v9, v9
	v_cndmask_b32_e32 v9, v17, v18, vcc
	v_lshrrev_b32_e32 v9, 16, v9
	buffer_store_dword v9, off, s[48:51], 0 offset:104 ; 4-byte Folded Spill
	v_mul_f32_e32 v9, s18, v21
	v_bfe_u32 v17, v9, 16, 1
	v_add3_u32 v17, v17, v9, s26
	v_or_b32_e32 v18, 0x400000, v9
	v_cmp_u_f32_e32 vcc, v9, v9
	v_cndmask_b32_e32 v9, v17, v18, vcc
	v_lshrrev_b32_e32 v9, 16, v9
	buffer_store_dword v9, off, s[48:51], 0 offset:100 ; 4-byte Folded Spill
	;; [unrolled: 8-line block ×4, first 2 shown]
	v_mul_f32_e32 v9, s18, v11
	v_bfe_u32 v11, v9, 16, 1
	v_add3_u32 v11, v11, v9, s26
	v_or_b32_e32 v12, 0x400000, v9
	v_cmp_u_f32_e32 vcc, v9, v9
	v_cndmask_b32_e32 v9, v11, v12, vcc
	v_lshrrev_b32_e32 v9, 16, v9
	v_mul_f32_e32 v0, s18, v0
	buffer_store_dword v9, off, s[48:51], 0 offset:128 ; 4-byte Folded Spill
	v_bfe_u32 v9, v0, 16, 1
	v_add3_u32 v9, v9, v0, s26
	v_or_b32_e32 v11, 0x400000, v0
	v_cmp_u_f32_e32 vcc, v0, v0
	v_cndmask_b32_e32 v0, v9, v11, vcc
	v_lshrrev_b32_e32 v0, 16, v0
	buffer_store_dword v0, off, s[48:51], 0 offset:124 ; 4-byte Folded Spill
	v_mul_f32_e32 v0, s18, v23
	v_bfe_u32 v9, v0, 16, 1
	v_add3_u32 v9, v9, v0, s26
	v_or_b32_e32 v11, 0x400000, v0
	v_cmp_u_f32_e32 vcc, v0, v0
	v_cndmask_b32_e32 v0, v9, v11, vcc
	v_lshrrev_b32_e32 v0, 16, v0
	buffer_store_dword v0, off, s[48:51], 0 offset:108 ; 4-byte Folded Spill
	v_mul_f32_e32 v0, s18, v19
	v_bfe_u32 v9, v0, 16, 1
	v_add3_u32 v9, v9, v0, s26
	v_or_b32_e32 v11, 0x400000, v0
	v_cmp_u_f32_e32 vcc, v0, v0
	v_cndmask_b32_e32 v0, v9, v11, vcc
	v_lshrrev_b32_e32 v0, 16, v0
	buffer_store_dword v0, off, s[48:51], 0 offset:120 ; 4-byte Folded Spill
	s_and_saveexec_b64 s[12:13], s[0:1]
	s_cbranch_execz .LBB327_806
; %bb.805:                              ;   in Loop: Header=BB327_606 Depth=1
	v_add_u32_e32 v0, -7, v37
	v_cmp_gt_i32_e32 vcc, s30, v0
	buffer_load_dword v0, off, s[48:51], 0 offset:124 ; 4-byte Folded Reload
	s_waitcnt vmcnt(0)
	v_cndmask_b32_e32 v0, 0, v0, vcc
	buffer_store_dword v0, off, s[48:51], 0 offset:124 ; 4-byte Folded Spill
	v_add_u32_e32 v0, -6, v37
	v_cmp_gt_i32_e32 vcc, s30, v0
	buffer_load_dword v0, off, s[48:51], 0 offset:128 ; 4-byte Folded Reload
	s_waitcnt vmcnt(0)
	v_cndmask_b32_e32 v0, 0, v0, vcc
	buffer_store_dword v0, off, s[48:51], 0 offset:128 ; 4-byte Folded Spill
	;; [unrolled: 6-line block ×7, first 2 shown]
	buffer_load_dword v0, off, s[48:51], 0 offset:120 ; 4-byte Folded Reload
	v_cmp_gt_i32_e32 vcc, s30, v37
	s_waitcnt vmcnt(0)
	v_cndmask_b32_e32 v0, 0, v0, vcc
	buffer_store_dword v0, off, s[48:51], 0 offset:120 ; 4-byte Folded Spill
.LBB327_806:                            ;   in Loop: Header=BB327_606 Depth=1
	s_or_b64 exec, exec, s[12:13]
	global_load_dwordx2 v[17:18], v[15:16], off offset:2048
	v_mov_b32_e32 v11, 0
	v_mov_b32_e32 v0, 0
	s_waitcnt vmcnt(0)
	v_cmp_ne_u16_sdwa s[14:15], v17, v10 src0_sel:BYTE_0 src1_sel:DWORD
	s_and_saveexec_b64 s[12:13], s[14:15]
	s_cbranch_execz .LBB327_812
; %bb.807:                              ;   in Loop: Header=BB327_606 Depth=1
	v_cmp_ne_u16_sdwa s[16:17], v17, s24 src0_sel:BYTE_0 src1_sel:DWORD
	v_bfrev_b32_e32 v0, 1
	s_and_saveexec_b64 s[14:15], s[16:17]
	s_cbranch_execz .LBB327_811
; %bb.808:                              ;   in Loop: Header=BB327_606 Depth=1
	v_and_b32_e32 v9, 0x7f, v17
	v_cmp_ne_u32_e32 vcc, s25, v9
	v_mov_b32_e32 v0, 0x7f800001
	s_and_saveexec_b64 s[16:17], vcc
	s_cbranch_execz .LBB327_810
; %bb.809:                              ;   in Loop: Header=BB327_606 Depth=1
	v_and_b32_e32 v0, 7, v17
	v_ffbh_u32_e32 v0, v0
	v_min_u32_e32 v0, 32, v0
	v_lshrrev_b32_e32 v12, 3, v9
	v_cmp_gt_u32_e32 vcc, 8, v9
	v_subrev_u32_e32 v9, 28, v0
	v_cndmask_b32_e32 v9, 0, v9, vcc
	v_lshlrev_b64 v[19:20], v9, v[17:18]
	v_sub_u32_e32 v0, 29, v0
	v_cndmask_b32_e32 v0, v12, v0, vcc
	v_lshlrev_b32_e32 v9, 20, v19
	v_lshlrev_b32_e32 v12, 24, v17
	v_and_b32_e32 v9, 0x700000, v9
	v_and_b32_e32 v12, 0x80000000, v12
	v_lshl_add_u32 v0, v0, 23, v40
	v_or3_b32 v0, v12, v0, v9
.LBB327_810:                            ;   in Loop: Header=BB327_606 Depth=1
	s_or_b64 exec, exec, s[16:17]
.LBB327_811:                            ;   in Loop: Header=BB327_606 Depth=1
	s_or_b64 exec, exec, s[14:15]
.LBB327_812:                            ;   in Loop: Header=BB327_606 Depth=1
	s_or_b64 exec, exec, s[12:13]
	v_lshrrev_b16_e32 v9, 8, v17
	v_cmp_ne_u16_e32 vcc, 0, v9
	s_and_saveexec_b64 s[12:13], vcc
	s_cbranch_execz .LBB327_818
; %bb.813:                              ;   in Loop: Header=BB327_606 Depth=1
	v_cmp_ne_u16_e32 vcc, s24, v9
	v_bfrev_b32_e32 v11, 1
	s_and_saveexec_b64 s[14:15], vcc
	s_cbranch_execz .LBB327_817
; %bb.814:                              ;   in Loop: Header=BB327_606 Depth=1
	v_and_b32_e32 v12, 0x7f, v9
	v_cmp_ne_u32_e32 vcc, s25, v12
	v_mov_b32_e32 v11, 0x7f800001
	s_and_saveexec_b64 s[16:17], vcc
	s_cbranch_execz .LBB327_816
; %bb.815:                              ;   in Loop: Header=BB327_606 Depth=1
	v_and_b32_e32 v19, 7, v9
	v_ffbh_u32_e32 v11, v19
	v_min_u32_e32 v21, 32, v11
	v_subrev_u32_e32 v11, 28, v21
	v_lshrrev_b32_e32 v20, 3, v12
	v_cmp_gt_u32_e32 vcc, 8, v12
	v_lshlrev_b64 v[11:12], v11, v[9:10]
	v_sub_u32_e32 v9, 29, v21
	v_and_b32_e32 v11, 7, v11
	v_cndmask_b32_e32 v9, v20, v9, vcc
	v_cndmask_b32_e32 v11, v19, v11, vcc
	v_lshlrev_b32_e32 v12, 16, v17
	v_lshlrev_b32_e32 v11, 20, v11
	v_and_b32_e32 v12, 0x80000000, v12
	v_lshl_add_u32 v9, v9, 23, v40
	v_or3_b32 v11, v12, v9, v11
.LBB327_816:                            ;   in Loop: Header=BB327_606 Depth=1
	s_or_b64 exec, exec, s[16:17]
.LBB327_817:                            ;   in Loop: Header=BB327_606 Depth=1
	s_or_b64 exec, exec, s[14:15]
.LBB327_818:                            ;   in Loop: Header=BB327_606 Depth=1
	s_or_b64 exec, exec, s[12:13]
	v_lshrrev_b32_e32 v9, 16, v17
	v_cmp_ne_u16_sdwa s[14:15], v9, v10 src0_sel:BYTE_0 src1_sel:DWORD
	v_mov_b32_e32 v20, 0
	v_mov_b32_e32 v12, 0
	s_and_saveexec_b64 s[12:13], s[14:15]
	s_cbranch_execz .LBB327_824
; %bb.819:                              ;   in Loop: Header=BB327_606 Depth=1
	v_cmp_ne_u16_sdwa s[16:17], v9, s24 src0_sel:BYTE_0 src1_sel:DWORD
	v_bfrev_b32_e32 v12, 1
	s_and_saveexec_b64 s[14:15], s[16:17]
	s_cbranch_execz .LBB327_823
; %bb.820:                              ;   in Loop: Header=BB327_606 Depth=1
	v_bfe_u32 v19, v17, 16, 7
	v_cmp_ne_u32_e32 vcc, s25, v19
	v_mov_b32_e32 v12, 0x7f800001
	s_and_saveexec_b64 s[16:17], vcc
	s_cbranch_execz .LBB327_822
; %bb.821:                              ;   in Loop: Header=BB327_606 Depth=1
	v_and_b32_e32 v12, 7, v9
	v_lshrrev_b32_e32 v23, 3, v19
	v_cmp_gt_u32_e32 vcc, 8, v19
	v_ffbh_u32_e32 v19, v12
	v_min_u32_e32 v19, 32, v19
	v_subrev_u32_e32 v21, 28, v19
	v_lshlrev_b64 v[21:22], v21, v[9:10]
	v_sub_u32_e32 v19, 29, v19
	v_and_b32_e32 v21, 7, v21
	v_cndmask_b32_e32 v19, v23, v19, vcc
	v_cndmask_b32_e32 v12, v12, v21, vcc
	v_lshlrev_b32_e32 v9, 24, v9
	v_lshlrev_b32_e32 v12, 20, v12
	v_and_b32_e32 v9, 0x80000000, v9
	v_lshl_add_u32 v19, v19, 23, v40
	v_or3_b32 v12, v9, v19, v12
.LBB327_822:                            ;   in Loop: Header=BB327_606 Depth=1
	s_or_b64 exec, exec, s[16:17]
.LBB327_823:                            ;   in Loop: Header=BB327_606 Depth=1
	s_or_b64 exec, exec, s[14:15]
.LBB327_824:                            ;   in Loop: Header=BB327_606 Depth=1
	s_or_b64 exec, exec, s[12:13]
	v_cmp_lt_u32_e32 vcc, s5, v17
	s_and_saveexec_b64 s[12:13], vcc
	s_cbranch_execz .LBB327_830
; %bb.825:                              ;   in Loop: Header=BB327_606 Depth=1
	v_lshrrev_b32_e32 v9, 24, v17
	v_cmp_ne_u32_e32 vcc, s24, v9
	v_bfrev_b32_e32 v20, 1
	s_and_saveexec_b64 s[14:15], vcc
	s_cbranch_execz .LBB327_829
; %bb.826:                              ;   in Loop: Header=BB327_606 Depth=1
	v_bfe_u32 v19, v17, 24, 7
	v_cmp_ne_u32_e32 vcc, s25, v19
	v_mov_b32_e32 v20, 0x7f800001
	s_and_saveexec_b64 s[16:17], vcc
	s_cbranch_execz .LBB327_828
; %bb.827:                              ;   in Loop: Header=BB327_606 Depth=1
	v_and_b32_e32 v21, 7, v9
	v_lshrrev_b32_e32 v22, 3, v19
	v_cmp_gt_u32_e32 vcc, 8, v19
	v_ffbh_u32_e32 v19, v21
	v_min_u32_e32 v23, 32, v19
	v_subrev_u32_e32 v19, 28, v23
	v_lshlrev_b64 v[19:20], v19, v[9:10]
	v_sub_u32_e32 v20, 29, v23
	v_and_b32_e32 v19, 7, v19
	v_cndmask_b32_e32 v20, v22, v20, vcc
	v_cndmask_b32_e32 v19, v21, v19, vcc
	v_lshlrev_b32_e32 v9, 24, v9
	v_lshlrev_b32_e32 v19, 20, v19
	v_and_b32_e32 v9, 0x80000000, v9
	v_lshl_add_u32 v20, v20, 23, v40
	v_or3_b32 v20, v9, v20, v19
.LBB327_828:                            ;   in Loop: Header=BB327_606 Depth=1
	s_or_b64 exec, exec, s[16:17]
.LBB327_829:                            ;   in Loop: Header=BB327_606 Depth=1
	s_or_b64 exec, exec, s[14:15]
.LBB327_830:                            ;   in Loop: Header=BB327_606 Depth=1
	s_or_b64 exec, exec, s[12:13]
	v_mov_b32_e32 v9, v18
	v_cmp_ne_u16_sdwa s[14:15], v18, v10 src0_sel:BYTE_0 src1_sel:DWORD
	v_mov_b32_e32 v22, 0
	v_mov_b32_e32 v21, 0
	s_and_saveexec_b64 s[12:13], s[14:15]
	s_cbranch_execz .LBB327_836
; %bb.831:                              ;   in Loop: Header=BB327_606 Depth=1
	v_cmp_ne_u16_sdwa s[16:17], v18, s24 src0_sel:BYTE_0 src1_sel:DWORD
	v_bfrev_b32_e32 v21, 1
	s_and_saveexec_b64 s[14:15], s[16:17]
	s_cbranch_execz .LBB327_835
; %bb.832:                              ;   in Loop: Header=BB327_606 Depth=1
	v_and_b32_e32 v19, 0x7f, v18
	v_cmp_ne_u32_e32 vcc, s25, v19
	v_mov_b32_e32 v21, 0x7f800001
	s_and_saveexec_b64 s[16:17], vcc
	s_cbranch_execz .LBB327_834
; %bb.833:                              ;   in Loop: Header=BB327_606 Depth=1
	v_and_b32_e32 v21, 7, v18
	v_lshrrev_b32_e32 v23, 3, v19
	v_cmp_gt_u32_e32 vcc, 8, v19
	v_ffbh_u32_e32 v19, v21
	v_min_u32_e32 v19, 32, v19
	v_subrev_u32_e32 v21, 28, v19
	v_sub_u32_e32 v19, 29, v19
	v_cndmask_b32_e32 v21, 0, v21, vcc
	v_cndmask_b32_e32 v19, v23, v19, vcc
	v_lshlrev_b64 v[23:24], v21, v[9:10]
	v_lshl_add_u32 v19, v19, 23, v40
	v_lshlrev_b32_e32 v21, 20, v23
	v_lshlrev_b32_e32 v23, 24, v9
	v_and_b32_e32 v21, 0x700000, v21
	v_and_b32_e32 v23, 0x80000000, v23
	v_or3_b32 v21, v23, v19, v21
.LBB327_834:                            ;   in Loop: Header=BB327_606 Depth=1
	s_or_b64 exec, exec, s[16:17]
.LBB327_835:                            ;   in Loop: Header=BB327_606 Depth=1
	s_or_b64 exec, exec, s[14:15]
.LBB327_836:                            ;   in Loop: Header=BB327_606 Depth=1
	s_or_b64 exec, exec, s[12:13]
	v_lshrrev_b16_e32 v19, 8, v9
	v_cmp_ne_u16_e32 vcc, 0, v19
	s_and_saveexec_b64 s[12:13], vcc
	s_cbranch_execz .LBB327_842
; %bb.837:                              ;   in Loop: Header=BB327_606 Depth=1
	v_cmp_ne_u16_e32 vcc, s24, v19
	v_bfrev_b32_e32 v22, 1
	s_and_saveexec_b64 s[14:15], vcc
	s_cbranch_execz .LBB327_841
; %bb.838:                              ;   in Loop: Header=BB327_606 Depth=1
	v_and_b32_e32 v23, 0x7f, v19
	v_cmp_ne_u32_e32 vcc, s25, v23
	v_mov_b32_e32 v22, 0x7f800001
	s_and_saveexec_b64 s[16:17], vcc
	s_cbranch_execz .LBB327_840
; %bb.839:                              ;   in Loop: Header=BB327_606 Depth=1
	v_and_b32_e32 v24, 7, v19
	v_ffbh_u32_e32 v22, v24
	v_min_u32_e32 v26, 32, v22
	v_subrev_u32_e32 v22, 28, v26
	v_lshrrev_b32_e32 v25, 3, v23
	v_cmp_gt_u32_e32 vcc, 8, v23
	v_lshlrev_b64 v[22:23], v22, v[19:20]
	v_sub_u32_e32 v19, 29, v26
	v_and_b32_e32 v22, 7, v22
	v_cndmask_b32_e32 v19, v25, v19, vcc
	v_cndmask_b32_e32 v22, v24, v22, vcc
	v_lshlrev_b32_e32 v9, 16, v9
	v_lshlrev_b32_e32 v22, 20, v22
	v_and_b32_e32 v9, 0x80000000, v9
	v_lshl_add_u32 v19, v19, 23, v40
	v_or3_b32 v22, v9, v19, v22
.LBB327_840:                            ;   in Loop: Header=BB327_606 Depth=1
	s_or_b64 exec, exec, s[16:17]
.LBB327_841:                            ;   in Loop: Header=BB327_606 Depth=1
	s_or_b64 exec, exec, s[14:15]
.LBB327_842:                            ;   in Loop: Header=BB327_606 Depth=1
	s_or_b64 exec, exec, s[12:13]
	v_lshrrev_b32_e32 v9, 16, v18
	v_cmp_ne_u16_sdwa s[14:15], v9, v10 src0_sel:BYTE_0 src1_sel:DWORD
	v_mov_b32_e32 v19, 0
	v_mov_b32_e32 v23, 0
	s_and_saveexec_b64 s[12:13], s[14:15]
	s_cbranch_execz .LBB327_848
; %bb.843:                              ;   in Loop: Header=BB327_606 Depth=1
	v_cmp_ne_u16_sdwa s[16:17], v9, s24 src0_sel:BYTE_0 src1_sel:DWORD
	v_bfrev_b32_e32 v23, 1
	s_and_saveexec_b64 s[14:15], s[16:17]
	s_cbranch_execz .LBB327_847
; %bb.844:                              ;   in Loop: Header=BB327_606 Depth=1
	v_bfe_u32 v24, v18, 16, 7
	v_cmp_ne_u32_e32 vcc, s25, v24
	v_mov_b32_e32 v23, 0x7f800001
	s_and_saveexec_b64 s[16:17], vcc
	s_cbranch_execz .LBB327_846
; %bb.845:                              ;   in Loop: Header=BB327_606 Depth=1
	v_and_b32_e32 v25, 7, v9
	v_ffbh_u32_e32 v23, v25
	v_min_u32_e32 v27, 32, v23
	v_subrev_u32_e32 v23, 28, v27
	v_lshrrev_b32_e32 v26, 3, v24
	v_cmp_gt_u32_e32 vcc, 8, v24
	v_lshlrev_b64 v[23:24], v23, v[9:10]
	v_sub_u32_e32 v24, 29, v27
	v_and_b32_e32 v23, 7, v23
	v_cndmask_b32_e32 v24, v26, v24, vcc
	v_cndmask_b32_e32 v23, v25, v23, vcc
	v_lshlrev_b32_e32 v9, 24, v9
	v_lshlrev_b32_e32 v23, 20, v23
	v_and_b32_e32 v9, 0x80000000, v9
	v_lshl_add_u32 v24, v24, 23, v40
	v_or3_b32 v23, v9, v24, v23
.LBB327_846:                            ;   in Loop: Header=BB327_606 Depth=1
	s_or_b64 exec, exec, s[16:17]
.LBB327_847:                            ;   in Loop: Header=BB327_606 Depth=1
	s_or_b64 exec, exec, s[14:15]
.LBB327_848:                            ;   in Loop: Header=BB327_606 Depth=1
	s_or_b64 exec, exec, s[12:13]
	v_cmp_lt_u64_e32 vcc, s[4:5], v[17:18]
	s_and_saveexec_b64 s[12:13], vcc
	s_cbranch_execz .LBB327_854
; %bb.849:                              ;   in Loop: Header=BB327_606 Depth=1
	v_lshrrev_b32_e32 v9, 24, v18
	v_cmp_ne_u32_e32 vcc, s24, v9
	v_bfrev_b32_e32 v19, 1
	s_and_saveexec_b64 s[14:15], vcc
	s_cbranch_execz .LBB327_853
; %bb.850:                              ;   in Loop: Header=BB327_606 Depth=1
	v_bfe_u32 v17, v18, 24, 7
	v_cmp_ne_u32_e32 vcc, s25, v17
	v_mov_b32_e32 v19, 0x7f800001
	s_and_saveexec_b64 s[16:17], vcc
	s_cbranch_execz .LBB327_852
; %bb.851:                              ;   in Loop: Header=BB327_606 Depth=1
	v_and_b32_e32 v19, 7, v9
	v_lshrrev_b32_e32 v24, 3, v17
	v_cmp_gt_u32_e32 vcc, 8, v17
	v_ffbh_u32_e32 v17, v19
	v_min_u32_e32 v25, 32, v17
	v_subrev_u32_e32 v17, 28, v25
	v_lshlrev_b64 v[17:18], v17, v[9:10]
	v_sub_u32_e32 v18, 29, v25
	v_and_b32_e32 v17, 7, v17
	v_cndmask_b32_e32 v18, v24, v18, vcc
	v_cndmask_b32_e32 v17, v19, v17, vcc
	v_lshlrev_b32_e32 v9, 24, v9
	v_lshlrev_b32_e32 v17, 20, v17
	v_and_b32_e32 v9, 0x80000000, v9
	v_lshl_add_u32 v18, v18, 23, v40
	v_or3_b32 v19, v9, v18, v17
.LBB327_852:                            ;   in Loop: Header=BB327_606 Depth=1
	s_or_b64 exec, exec, s[16:17]
.LBB327_853:                            ;   in Loop: Header=BB327_606 Depth=1
	s_or_b64 exec, exec, s[14:15]
.LBB327_854:                            ;   in Loop: Header=BB327_606 Depth=1
	s_or_b64 exec, exec, s[12:13]
	v_mul_f32_e32 v9, s18, v22
	v_bfe_u32 v17, v9, 16, 1
	v_add3_u32 v17, v17, v9, s26
	v_or_b32_e32 v18, 0x400000, v9
	v_cmp_u_f32_e32 vcc, v9, v9
	v_cndmask_b32_e32 v9, v17, v18, vcc
	v_lshrrev_b32_e32 v9, 16, v9
	buffer_store_dword v9, off, s[48:51], 0 offset:136 ; 4-byte Folded Spill
	v_mul_f32_e32 v9, s18, v21
	v_bfe_u32 v17, v9, 16, 1
	v_add3_u32 v17, v17, v9, s26
	v_or_b32_e32 v18, 0x400000, v9
	v_cmp_u_f32_e32 vcc, v9, v9
	v_cndmask_b32_e32 v9, v17, v18, vcc
	v_lshrrev_b32_e32 v9, 16, v9
	buffer_store_dword v9, off, s[48:51], 0 offset:132 ; 4-byte Folded Spill
	;; [unrolled: 8-line block ×4, first 2 shown]
	v_mul_f32_e32 v9, s18, v11
	v_bfe_u32 v11, v9, 16, 1
	v_add3_u32 v11, v11, v9, s26
	v_or_b32_e32 v12, 0x400000, v9
	v_cmp_u_f32_e32 vcc, v9, v9
	v_cndmask_b32_e32 v9, v11, v12, vcc
	v_lshrrev_b32_e32 v9, 16, v9
	v_mul_f32_e32 v0, s18, v0
	buffer_store_dword v9, off, s[48:51], 0 offset:160 ; 4-byte Folded Spill
	v_bfe_u32 v9, v0, 16, 1
	v_add3_u32 v9, v9, v0, s26
	v_or_b32_e32 v11, 0x400000, v0
	v_cmp_u_f32_e32 vcc, v0, v0
	v_cndmask_b32_e32 v0, v9, v11, vcc
	v_lshrrev_b32_e32 v0, 16, v0
	buffer_store_dword v0, off, s[48:51], 0 offset:156 ; 4-byte Folded Spill
	v_mul_f32_e32 v0, s18, v23
	v_bfe_u32 v9, v0, 16, 1
	v_add3_u32 v9, v9, v0, s26
	v_or_b32_e32 v11, 0x400000, v0
	v_cmp_u_f32_e32 vcc, v0, v0
	v_cndmask_b32_e32 v0, v9, v11, vcc
	v_lshrrev_b32_e32 v0, 16, v0
	buffer_store_dword v0, off, s[48:51], 0 offset:140 ; 4-byte Folded Spill
	v_mul_f32_e32 v0, s18, v19
	v_bfe_u32 v9, v0, 16, 1
	v_add3_u32 v9, v9, v0, s26
	v_or_b32_e32 v11, 0x400000, v0
	v_cmp_u_f32_e32 vcc, v0, v0
	v_cndmask_b32_e32 v0, v9, v11, vcc
	v_lshrrev_b32_e32 v0, 16, v0
	buffer_store_dword v0, off, s[48:51], 0 offset:152 ; 4-byte Folded Spill
	s_and_saveexec_b64 s[12:13], s[0:1]
	s_cbranch_execz .LBB327_856
; %bb.855:                              ;   in Loop: Header=BB327_606 Depth=1
	v_add_u32_e32 v0, -7, v37
	v_cmp_gt_i32_e32 vcc, s30, v0
	buffer_load_dword v0, off, s[48:51], 0 offset:156 ; 4-byte Folded Reload
	s_waitcnt vmcnt(0)
	v_cndmask_b32_e32 v0, 0, v0, vcc
	buffer_store_dword v0, off, s[48:51], 0 offset:156 ; 4-byte Folded Spill
	v_add_u32_e32 v0, -6, v37
	v_cmp_gt_i32_e32 vcc, s30, v0
	buffer_load_dword v0, off, s[48:51], 0 offset:160 ; 4-byte Folded Reload
	s_waitcnt vmcnt(0)
	v_cndmask_b32_e32 v0, 0, v0, vcc
	buffer_store_dword v0, off, s[48:51], 0 offset:160 ; 4-byte Folded Spill
	;; [unrolled: 6-line block ×7, first 2 shown]
	buffer_load_dword v0, off, s[48:51], 0 offset:152 ; 4-byte Folded Reload
	v_cmp_gt_i32_e32 vcc, s30, v37
	s_waitcnt vmcnt(0)
	v_cndmask_b32_e32 v0, 0, v0, vcc
	buffer_store_dword v0, off, s[48:51], 0 offset:152 ; 4-byte Folded Spill
.LBB327_856:                            ;   in Loop: Header=BB327_606 Depth=1
	s_or_b64 exec, exec, s[12:13]
	global_load_dwordx2 v[17:18], v[15:16], off offset:2560
	v_mov_b32_e32 v11, 0
	v_mov_b32_e32 v0, 0
	s_waitcnt vmcnt(0)
	v_cmp_ne_u16_sdwa s[14:15], v17, v10 src0_sel:BYTE_0 src1_sel:DWORD
	s_and_saveexec_b64 s[12:13], s[14:15]
	s_cbranch_execz .LBB327_862
; %bb.857:                              ;   in Loop: Header=BB327_606 Depth=1
	v_cmp_ne_u16_sdwa s[16:17], v17, s24 src0_sel:BYTE_0 src1_sel:DWORD
	v_bfrev_b32_e32 v0, 1
	s_and_saveexec_b64 s[14:15], s[16:17]
	s_cbranch_execz .LBB327_861
; %bb.858:                              ;   in Loop: Header=BB327_606 Depth=1
	v_and_b32_e32 v9, 0x7f, v17
	v_cmp_ne_u32_e32 vcc, s25, v9
	v_mov_b32_e32 v0, 0x7f800001
	s_and_saveexec_b64 s[16:17], vcc
	s_cbranch_execz .LBB327_860
; %bb.859:                              ;   in Loop: Header=BB327_606 Depth=1
	v_and_b32_e32 v0, 7, v17
	v_ffbh_u32_e32 v0, v0
	v_min_u32_e32 v0, 32, v0
	v_lshrrev_b32_e32 v12, 3, v9
	v_cmp_gt_u32_e32 vcc, 8, v9
	v_subrev_u32_e32 v9, 28, v0
	v_cndmask_b32_e32 v9, 0, v9, vcc
	v_lshlrev_b64 v[19:20], v9, v[17:18]
	v_sub_u32_e32 v0, 29, v0
	v_cndmask_b32_e32 v0, v12, v0, vcc
	v_lshlrev_b32_e32 v9, 20, v19
	v_lshlrev_b32_e32 v12, 24, v17
	v_and_b32_e32 v9, 0x700000, v9
	v_and_b32_e32 v12, 0x80000000, v12
	v_lshl_add_u32 v0, v0, 23, v40
	v_or3_b32 v0, v12, v0, v9
.LBB327_860:                            ;   in Loop: Header=BB327_606 Depth=1
	s_or_b64 exec, exec, s[16:17]
.LBB327_861:                            ;   in Loop: Header=BB327_606 Depth=1
	s_or_b64 exec, exec, s[14:15]
.LBB327_862:                            ;   in Loop: Header=BB327_606 Depth=1
	s_or_b64 exec, exec, s[12:13]
	v_lshrrev_b16_e32 v9, 8, v17
	v_cmp_ne_u16_e32 vcc, 0, v9
	s_and_saveexec_b64 s[12:13], vcc
	s_cbranch_execz .LBB327_868
; %bb.863:                              ;   in Loop: Header=BB327_606 Depth=1
	v_cmp_ne_u16_e32 vcc, s24, v9
	v_bfrev_b32_e32 v11, 1
	s_and_saveexec_b64 s[14:15], vcc
	s_cbranch_execz .LBB327_867
; %bb.864:                              ;   in Loop: Header=BB327_606 Depth=1
	v_and_b32_e32 v12, 0x7f, v9
	v_cmp_ne_u32_e32 vcc, s25, v12
	v_mov_b32_e32 v11, 0x7f800001
	s_and_saveexec_b64 s[16:17], vcc
	s_cbranch_execz .LBB327_866
; %bb.865:                              ;   in Loop: Header=BB327_606 Depth=1
	v_and_b32_e32 v19, 7, v9
	v_ffbh_u32_e32 v11, v19
	v_min_u32_e32 v21, 32, v11
	v_subrev_u32_e32 v11, 28, v21
	v_lshrrev_b32_e32 v20, 3, v12
	v_cmp_gt_u32_e32 vcc, 8, v12
	v_lshlrev_b64 v[11:12], v11, v[9:10]
	v_sub_u32_e32 v9, 29, v21
	v_and_b32_e32 v11, 7, v11
	v_cndmask_b32_e32 v9, v20, v9, vcc
	v_cndmask_b32_e32 v11, v19, v11, vcc
	v_lshlrev_b32_e32 v12, 16, v17
	v_lshlrev_b32_e32 v11, 20, v11
	v_and_b32_e32 v12, 0x80000000, v12
	v_lshl_add_u32 v9, v9, 23, v40
	v_or3_b32 v11, v12, v9, v11
.LBB327_866:                            ;   in Loop: Header=BB327_606 Depth=1
	s_or_b64 exec, exec, s[16:17]
.LBB327_867:                            ;   in Loop: Header=BB327_606 Depth=1
	s_or_b64 exec, exec, s[14:15]
.LBB327_868:                            ;   in Loop: Header=BB327_606 Depth=1
	s_or_b64 exec, exec, s[12:13]
	v_lshrrev_b32_e32 v9, 16, v17
	v_cmp_ne_u16_sdwa s[14:15], v9, v10 src0_sel:BYTE_0 src1_sel:DWORD
	v_mov_b32_e32 v20, 0
	v_mov_b32_e32 v12, 0
	s_and_saveexec_b64 s[12:13], s[14:15]
	s_cbranch_execz .LBB327_874
; %bb.869:                              ;   in Loop: Header=BB327_606 Depth=1
	v_cmp_ne_u16_sdwa s[16:17], v9, s24 src0_sel:BYTE_0 src1_sel:DWORD
	v_bfrev_b32_e32 v12, 1
	s_and_saveexec_b64 s[14:15], s[16:17]
	s_cbranch_execz .LBB327_873
; %bb.870:                              ;   in Loop: Header=BB327_606 Depth=1
	v_bfe_u32 v19, v17, 16, 7
	v_cmp_ne_u32_e32 vcc, s25, v19
	v_mov_b32_e32 v12, 0x7f800001
	s_and_saveexec_b64 s[16:17], vcc
	s_cbranch_execz .LBB327_872
; %bb.871:                              ;   in Loop: Header=BB327_606 Depth=1
	v_and_b32_e32 v12, 7, v9
	v_lshrrev_b32_e32 v23, 3, v19
	v_cmp_gt_u32_e32 vcc, 8, v19
	v_ffbh_u32_e32 v19, v12
	v_min_u32_e32 v19, 32, v19
	v_subrev_u32_e32 v21, 28, v19
	v_lshlrev_b64 v[21:22], v21, v[9:10]
	v_sub_u32_e32 v19, 29, v19
	v_and_b32_e32 v21, 7, v21
	v_cndmask_b32_e32 v19, v23, v19, vcc
	v_cndmask_b32_e32 v12, v12, v21, vcc
	v_lshlrev_b32_e32 v9, 24, v9
	v_lshlrev_b32_e32 v12, 20, v12
	v_and_b32_e32 v9, 0x80000000, v9
	v_lshl_add_u32 v19, v19, 23, v40
	v_or3_b32 v12, v9, v19, v12
.LBB327_872:                            ;   in Loop: Header=BB327_606 Depth=1
	s_or_b64 exec, exec, s[16:17]
.LBB327_873:                            ;   in Loop: Header=BB327_606 Depth=1
	s_or_b64 exec, exec, s[14:15]
.LBB327_874:                            ;   in Loop: Header=BB327_606 Depth=1
	s_or_b64 exec, exec, s[12:13]
	v_cmp_lt_u32_e32 vcc, s5, v17
	s_and_saveexec_b64 s[12:13], vcc
	s_cbranch_execz .LBB327_880
; %bb.875:                              ;   in Loop: Header=BB327_606 Depth=1
	v_lshrrev_b32_e32 v9, 24, v17
	v_cmp_ne_u32_e32 vcc, s24, v9
	v_bfrev_b32_e32 v20, 1
	s_and_saveexec_b64 s[14:15], vcc
	s_cbranch_execz .LBB327_879
; %bb.876:                              ;   in Loop: Header=BB327_606 Depth=1
	v_bfe_u32 v19, v17, 24, 7
	v_cmp_ne_u32_e32 vcc, s25, v19
	v_mov_b32_e32 v20, 0x7f800001
	s_and_saveexec_b64 s[16:17], vcc
	s_cbranch_execz .LBB327_878
; %bb.877:                              ;   in Loop: Header=BB327_606 Depth=1
	v_and_b32_e32 v21, 7, v9
	v_lshrrev_b32_e32 v22, 3, v19
	v_cmp_gt_u32_e32 vcc, 8, v19
	v_ffbh_u32_e32 v19, v21
	v_min_u32_e32 v23, 32, v19
	v_subrev_u32_e32 v19, 28, v23
	v_lshlrev_b64 v[19:20], v19, v[9:10]
	v_sub_u32_e32 v20, 29, v23
	v_and_b32_e32 v19, 7, v19
	v_cndmask_b32_e32 v20, v22, v20, vcc
	v_cndmask_b32_e32 v19, v21, v19, vcc
	v_lshlrev_b32_e32 v9, 24, v9
	v_lshlrev_b32_e32 v19, 20, v19
	v_and_b32_e32 v9, 0x80000000, v9
	v_lshl_add_u32 v20, v20, 23, v40
	v_or3_b32 v20, v9, v20, v19
.LBB327_878:                            ;   in Loop: Header=BB327_606 Depth=1
	s_or_b64 exec, exec, s[16:17]
.LBB327_879:                            ;   in Loop: Header=BB327_606 Depth=1
	s_or_b64 exec, exec, s[14:15]
.LBB327_880:                            ;   in Loop: Header=BB327_606 Depth=1
	s_or_b64 exec, exec, s[12:13]
	v_mov_b32_e32 v9, v18
	v_cmp_ne_u16_sdwa s[14:15], v18, v10 src0_sel:BYTE_0 src1_sel:DWORD
	v_mov_b32_e32 v22, 0
	v_mov_b32_e32 v21, 0
	s_and_saveexec_b64 s[12:13], s[14:15]
	s_cbranch_execz .LBB327_886
; %bb.881:                              ;   in Loop: Header=BB327_606 Depth=1
	v_cmp_ne_u16_sdwa s[16:17], v18, s24 src0_sel:BYTE_0 src1_sel:DWORD
	v_bfrev_b32_e32 v21, 1
	s_and_saveexec_b64 s[14:15], s[16:17]
	s_cbranch_execz .LBB327_885
; %bb.882:                              ;   in Loop: Header=BB327_606 Depth=1
	v_and_b32_e32 v19, 0x7f, v18
	v_cmp_ne_u32_e32 vcc, s25, v19
	v_mov_b32_e32 v21, 0x7f800001
	s_and_saveexec_b64 s[16:17], vcc
	s_cbranch_execz .LBB327_884
; %bb.883:                              ;   in Loop: Header=BB327_606 Depth=1
	v_and_b32_e32 v21, 7, v18
	v_lshrrev_b32_e32 v23, 3, v19
	v_cmp_gt_u32_e32 vcc, 8, v19
	v_ffbh_u32_e32 v19, v21
	v_min_u32_e32 v19, 32, v19
	v_subrev_u32_e32 v21, 28, v19
	v_sub_u32_e32 v19, 29, v19
	v_cndmask_b32_e32 v21, 0, v21, vcc
	v_cndmask_b32_e32 v19, v23, v19, vcc
	v_lshlrev_b64 v[23:24], v21, v[9:10]
	v_lshl_add_u32 v19, v19, 23, v40
	v_lshlrev_b32_e32 v21, 20, v23
	v_lshlrev_b32_e32 v23, 24, v9
	v_and_b32_e32 v21, 0x700000, v21
	v_and_b32_e32 v23, 0x80000000, v23
	v_or3_b32 v21, v23, v19, v21
.LBB327_884:                            ;   in Loop: Header=BB327_606 Depth=1
	s_or_b64 exec, exec, s[16:17]
.LBB327_885:                            ;   in Loop: Header=BB327_606 Depth=1
	s_or_b64 exec, exec, s[14:15]
.LBB327_886:                            ;   in Loop: Header=BB327_606 Depth=1
	s_or_b64 exec, exec, s[12:13]
	v_lshrrev_b16_e32 v19, 8, v9
	v_cmp_ne_u16_e32 vcc, 0, v19
	s_and_saveexec_b64 s[12:13], vcc
	s_cbranch_execz .LBB327_892
; %bb.887:                              ;   in Loop: Header=BB327_606 Depth=1
	v_cmp_ne_u16_e32 vcc, s24, v19
	v_bfrev_b32_e32 v22, 1
	s_and_saveexec_b64 s[14:15], vcc
	s_cbranch_execz .LBB327_891
; %bb.888:                              ;   in Loop: Header=BB327_606 Depth=1
	v_and_b32_e32 v23, 0x7f, v19
	v_cmp_ne_u32_e32 vcc, s25, v23
	v_mov_b32_e32 v22, 0x7f800001
	s_and_saveexec_b64 s[16:17], vcc
	s_cbranch_execz .LBB327_890
; %bb.889:                              ;   in Loop: Header=BB327_606 Depth=1
	v_and_b32_e32 v24, 7, v19
	v_ffbh_u32_e32 v22, v24
	v_min_u32_e32 v26, 32, v22
	v_subrev_u32_e32 v22, 28, v26
	v_lshrrev_b32_e32 v25, 3, v23
	v_cmp_gt_u32_e32 vcc, 8, v23
	v_lshlrev_b64 v[22:23], v22, v[19:20]
	v_sub_u32_e32 v19, 29, v26
	v_and_b32_e32 v22, 7, v22
	v_cndmask_b32_e32 v19, v25, v19, vcc
	v_cndmask_b32_e32 v22, v24, v22, vcc
	v_lshlrev_b32_e32 v9, 16, v9
	v_lshlrev_b32_e32 v22, 20, v22
	v_and_b32_e32 v9, 0x80000000, v9
	v_lshl_add_u32 v19, v19, 23, v40
	v_or3_b32 v22, v9, v19, v22
.LBB327_890:                            ;   in Loop: Header=BB327_606 Depth=1
	s_or_b64 exec, exec, s[16:17]
.LBB327_891:                            ;   in Loop: Header=BB327_606 Depth=1
	s_or_b64 exec, exec, s[14:15]
.LBB327_892:                            ;   in Loop: Header=BB327_606 Depth=1
	s_or_b64 exec, exec, s[12:13]
	v_lshrrev_b32_e32 v9, 16, v18
	v_cmp_ne_u16_sdwa s[14:15], v9, v10 src0_sel:BYTE_0 src1_sel:DWORD
	v_mov_b32_e32 v19, 0
	v_mov_b32_e32 v23, 0
	s_and_saveexec_b64 s[12:13], s[14:15]
	s_cbranch_execz .LBB327_898
; %bb.893:                              ;   in Loop: Header=BB327_606 Depth=1
	v_cmp_ne_u16_sdwa s[16:17], v9, s24 src0_sel:BYTE_0 src1_sel:DWORD
	v_bfrev_b32_e32 v23, 1
	s_and_saveexec_b64 s[14:15], s[16:17]
	s_cbranch_execz .LBB327_897
; %bb.894:                              ;   in Loop: Header=BB327_606 Depth=1
	v_bfe_u32 v24, v18, 16, 7
	v_cmp_ne_u32_e32 vcc, s25, v24
	v_mov_b32_e32 v23, 0x7f800001
	s_and_saveexec_b64 s[16:17], vcc
	s_cbranch_execz .LBB327_896
; %bb.895:                              ;   in Loop: Header=BB327_606 Depth=1
	v_and_b32_e32 v25, 7, v9
	v_ffbh_u32_e32 v23, v25
	v_min_u32_e32 v27, 32, v23
	v_subrev_u32_e32 v23, 28, v27
	v_lshrrev_b32_e32 v26, 3, v24
	v_cmp_gt_u32_e32 vcc, 8, v24
	v_lshlrev_b64 v[23:24], v23, v[9:10]
	v_sub_u32_e32 v24, 29, v27
	v_and_b32_e32 v23, 7, v23
	v_cndmask_b32_e32 v24, v26, v24, vcc
	v_cndmask_b32_e32 v23, v25, v23, vcc
	v_lshlrev_b32_e32 v9, 24, v9
	v_lshlrev_b32_e32 v23, 20, v23
	v_and_b32_e32 v9, 0x80000000, v9
	v_lshl_add_u32 v24, v24, 23, v40
	v_or3_b32 v23, v9, v24, v23
.LBB327_896:                            ;   in Loop: Header=BB327_606 Depth=1
	s_or_b64 exec, exec, s[16:17]
.LBB327_897:                            ;   in Loop: Header=BB327_606 Depth=1
	s_or_b64 exec, exec, s[14:15]
.LBB327_898:                            ;   in Loop: Header=BB327_606 Depth=1
	s_or_b64 exec, exec, s[12:13]
	v_cmp_lt_u64_e32 vcc, s[4:5], v[17:18]
	s_and_saveexec_b64 s[12:13], vcc
	s_cbranch_execz .LBB327_904
; %bb.899:                              ;   in Loop: Header=BB327_606 Depth=1
	v_lshrrev_b32_e32 v9, 24, v18
	v_cmp_ne_u32_e32 vcc, s24, v9
	v_bfrev_b32_e32 v19, 1
	s_and_saveexec_b64 s[14:15], vcc
	s_cbranch_execz .LBB327_903
; %bb.900:                              ;   in Loop: Header=BB327_606 Depth=1
	v_bfe_u32 v17, v18, 24, 7
	v_cmp_ne_u32_e32 vcc, s25, v17
	v_mov_b32_e32 v19, 0x7f800001
	s_and_saveexec_b64 s[16:17], vcc
	s_cbranch_execz .LBB327_902
; %bb.901:                              ;   in Loop: Header=BB327_606 Depth=1
	v_and_b32_e32 v19, 7, v9
	v_lshrrev_b32_e32 v24, 3, v17
	v_cmp_gt_u32_e32 vcc, 8, v17
	v_ffbh_u32_e32 v17, v19
	v_min_u32_e32 v25, 32, v17
	v_subrev_u32_e32 v17, 28, v25
	v_lshlrev_b64 v[17:18], v17, v[9:10]
	v_sub_u32_e32 v18, 29, v25
	v_and_b32_e32 v17, 7, v17
	v_cndmask_b32_e32 v18, v24, v18, vcc
	v_cndmask_b32_e32 v17, v19, v17, vcc
	v_lshlrev_b32_e32 v9, 24, v9
	v_lshlrev_b32_e32 v17, 20, v17
	v_and_b32_e32 v9, 0x80000000, v9
	v_lshl_add_u32 v18, v18, 23, v40
	v_or3_b32 v19, v9, v18, v17
.LBB327_902:                            ;   in Loop: Header=BB327_606 Depth=1
	s_or_b64 exec, exec, s[16:17]
.LBB327_903:                            ;   in Loop: Header=BB327_606 Depth=1
	s_or_b64 exec, exec, s[14:15]
.LBB327_904:                            ;   in Loop: Header=BB327_606 Depth=1
	s_or_b64 exec, exec, s[12:13]
	v_mul_f32_e32 v9, s18, v22
	v_bfe_u32 v17, v9, 16, 1
	v_add3_u32 v17, v17, v9, s26
	v_or_b32_e32 v18, 0x400000, v9
	v_cmp_u_f32_e32 vcc, v9, v9
	v_cndmask_b32_e32 v9, v17, v18, vcc
	v_lshrrev_b32_e32 v9, 16, v9
	buffer_store_dword v9, off, s[48:51], 0 offset:168 ; 4-byte Folded Spill
	v_mul_f32_e32 v9, s18, v21
	v_bfe_u32 v17, v9, 16, 1
	v_add3_u32 v17, v17, v9, s26
	v_or_b32_e32 v18, 0x400000, v9
	v_cmp_u_f32_e32 vcc, v9, v9
	v_cndmask_b32_e32 v9, v17, v18, vcc
	v_lshrrev_b32_e32 v9, 16, v9
	buffer_store_dword v9, off, s[48:51], 0 offset:164 ; 4-byte Folded Spill
	;; [unrolled: 8-line block ×4, first 2 shown]
	v_mul_f32_e32 v9, s18, v11
	v_bfe_u32 v11, v9, 16, 1
	v_add3_u32 v11, v11, v9, s26
	v_or_b32_e32 v12, 0x400000, v9
	v_cmp_u_f32_e32 vcc, v9, v9
	v_cndmask_b32_e32 v9, v11, v12, vcc
	v_lshrrev_b32_e32 v9, 16, v9
	v_mul_f32_e32 v0, s18, v0
	buffer_store_dword v9, off, s[48:51], 0 offset:196 ; 4-byte Folded Spill
	v_bfe_u32 v9, v0, 16, 1
	v_add3_u32 v9, v9, v0, s26
	v_or_b32_e32 v11, 0x400000, v0
	v_cmp_u_f32_e32 vcc, v0, v0
	v_cndmask_b32_e32 v0, v9, v11, vcc
	v_lshrrev_b32_e32 v0, 16, v0
	buffer_store_dword v0, off, s[48:51], 0 offset:192 ; 4-byte Folded Spill
	v_mul_f32_e32 v0, s18, v23
	v_bfe_u32 v9, v0, 16, 1
	v_add3_u32 v9, v9, v0, s26
	v_or_b32_e32 v11, 0x400000, v0
	v_cmp_u_f32_e32 vcc, v0, v0
	v_cndmask_b32_e32 v0, v9, v11, vcc
	v_lshrrev_b32_e32 v0, 16, v0
	buffer_store_dword v0, off, s[48:51], 0 offset:172 ; 4-byte Folded Spill
	v_mul_f32_e32 v0, s18, v19
	v_bfe_u32 v9, v0, 16, 1
	v_add3_u32 v9, v9, v0, s26
	v_or_b32_e32 v11, 0x400000, v0
	v_cmp_u_f32_e32 vcc, v0, v0
	v_cndmask_b32_e32 v0, v9, v11, vcc
	v_lshrrev_b32_e32 v0, 16, v0
	buffer_store_dword v0, off, s[48:51], 0 offset:188 ; 4-byte Folded Spill
	s_and_saveexec_b64 s[12:13], s[0:1]
	s_cbranch_execz .LBB327_906
; %bb.905:                              ;   in Loop: Header=BB327_606 Depth=1
	v_add_u32_e32 v0, -7, v37
	v_cmp_gt_i32_e32 vcc, s30, v0
	buffer_load_dword v0, off, s[48:51], 0 offset:192 ; 4-byte Folded Reload
	s_waitcnt vmcnt(0)
	v_cndmask_b32_e32 v0, 0, v0, vcc
	buffer_store_dword v0, off, s[48:51], 0 offset:192 ; 4-byte Folded Spill
	v_add_u32_e32 v0, -6, v37
	v_cmp_gt_i32_e32 vcc, s30, v0
	buffer_load_dword v0, off, s[48:51], 0 offset:196 ; 4-byte Folded Reload
	s_waitcnt vmcnt(0)
	v_cndmask_b32_e32 v0, 0, v0, vcc
	buffer_store_dword v0, off, s[48:51], 0 offset:196 ; 4-byte Folded Spill
	;; [unrolled: 6-line block ×7, first 2 shown]
	buffer_load_dword v0, off, s[48:51], 0 offset:188 ; 4-byte Folded Reload
	v_cmp_gt_i32_e32 vcc, s30, v37
	s_waitcnt vmcnt(0)
	v_cndmask_b32_e32 v0, 0, v0, vcc
	buffer_store_dword v0, off, s[48:51], 0 offset:188 ; 4-byte Folded Spill
.LBB327_906:                            ;   in Loop: Header=BB327_606 Depth=1
	s_or_b64 exec, exec, s[12:13]
	global_load_dwordx2 v[17:18], v[15:16], off offset:3072
	v_mov_b32_e32 v11, 0
	v_mov_b32_e32 v0, 0
	s_waitcnt vmcnt(0)
	v_cmp_ne_u16_sdwa s[14:15], v17, v10 src0_sel:BYTE_0 src1_sel:DWORD
	s_and_saveexec_b64 s[12:13], s[14:15]
	s_cbranch_execz .LBB327_912
; %bb.907:                              ;   in Loop: Header=BB327_606 Depth=1
	v_cmp_ne_u16_sdwa s[16:17], v17, s24 src0_sel:BYTE_0 src1_sel:DWORD
	v_bfrev_b32_e32 v0, 1
	s_and_saveexec_b64 s[14:15], s[16:17]
	s_cbranch_execz .LBB327_911
; %bb.908:                              ;   in Loop: Header=BB327_606 Depth=1
	v_and_b32_e32 v9, 0x7f, v17
	v_cmp_ne_u32_e32 vcc, s25, v9
	v_mov_b32_e32 v0, 0x7f800001
	s_and_saveexec_b64 s[16:17], vcc
	s_cbranch_execz .LBB327_910
; %bb.909:                              ;   in Loop: Header=BB327_606 Depth=1
	v_and_b32_e32 v0, 7, v17
	v_ffbh_u32_e32 v0, v0
	v_min_u32_e32 v0, 32, v0
	v_lshrrev_b32_e32 v12, 3, v9
	v_cmp_gt_u32_e32 vcc, 8, v9
	v_subrev_u32_e32 v9, 28, v0
	v_cndmask_b32_e32 v9, 0, v9, vcc
	v_lshlrev_b64 v[19:20], v9, v[17:18]
	v_sub_u32_e32 v0, 29, v0
	v_cndmask_b32_e32 v0, v12, v0, vcc
	v_lshlrev_b32_e32 v9, 20, v19
	v_lshlrev_b32_e32 v12, 24, v17
	v_and_b32_e32 v9, 0x700000, v9
	v_and_b32_e32 v12, 0x80000000, v12
	v_lshl_add_u32 v0, v0, 23, v40
	v_or3_b32 v0, v12, v0, v9
.LBB327_910:                            ;   in Loop: Header=BB327_606 Depth=1
	s_or_b64 exec, exec, s[16:17]
.LBB327_911:                            ;   in Loop: Header=BB327_606 Depth=1
	s_or_b64 exec, exec, s[14:15]
.LBB327_912:                            ;   in Loop: Header=BB327_606 Depth=1
	s_or_b64 exec, exec, s[12:13]
	v_lshrrev_b16_e32 v9, 8, v17
	v_cmp_ne_u16_e32 vcc, 0, v9
	s_and_saveexec_b64 s[12:13], vcc
	s_cbranch_execz .LBB327_918
; %bb.913:                              ;   in Loop: Header=BB327_606 Depth=1
	v_cmp_ne_u16_e32 vcc, s24, v9
	v_bfrev_b32_e32 v11, 1
	s_and_saveexec_b64 s[14:15], vcc
	s_cbranch_execz .LBB327_917
; %bb.914:                              ;   in Loop: Header=BB327_606 Depth=1
	v_and_b32_e32 v12, 0x7f, v9
	v_cmp_ne_u32_e32 vcc, s25, v12
	v_mov_b32_e32 v11, 0x7f800001
	s_and_saveexec_b64 s[16:17], vcc
	s_cbranch_execz .LBB327_916
; %bb.915:                              ;   in Loop: Header=BB327_606 Depth=1
	v_and_b32_e32 v19, 7, v9
	v_ffbh_u32_e32 v11, v19
	v_min_u32_e32 v21, 32, v11
	v_subrev_u32_e32 v11, 28, v21
	v_lshrrev_b32_e32 v20, 3, v12
	v_cmp_gt_u32_e32 vcc, 8, v12
	v_lshlrev_b64 v[11:12], v11, v[9:10]
	v_sub_u32_e32 v9, 29, v21
	v_and_b32_e32 v11, 7, v11
	v_cndmask_b32_e32 v9, v20, v9, vcc
	v_cndmask_b32_e32 v11, v19, v11, vcc
	v_lshlrev_b32_e32 v12, 16, v17
	v_lshlrev_b32_e32 v11, 20, v11
	v_and_b32_e32 v12, 0x80000000, v12
	v_lshl_add_u32 v9, v9, 23, v40
	v_or3_b32 v11, v12, v9, v11
.LBB327_916:                            ;   in Loop: Header=BB327_606 Depth=1
	s_or_b64 exec, exec, s[16:17]
.LBB327_917:                            ;   in Loop: Header=BB327_606 Depth=1
	s_or_b64 exec, exec, s[14:15]
.LBB327_918:                            ;   in Loop: Header=BB327_606 Depth=1
	s_or_b64 exec, exec, s[12:13]
	v_lshrrev_b32_e32 v9, 16, v17
	v_cmp_ne_u16_sdwa s[14:15], v9, v10 src0_sel:BYTE_0 src1_sel:DWORD
	v_mov_b32_e32 v20, 0
	v_mov_b32_e32 v12, 0
	s_and_saveexec_b64 s[12:13], s[14:15]
	s_cbranch_execz .LBB327_924
; %bb.919:                              ;   in Loop: Header=BB327_606 Depth=1
	v_cmp_ne_u16_sdwa s[16:17], v9, s24 src0_sel:BYTE_0 src1_sel:DWORD
	v_bfrev_b32_e32 v12, 1
	s_and_saveexec_b64 s[14:15], s[16:17]
	s_cbranch_execz .LBB327_923
; %bb.920:                              ;   in Loop: Header=BB327_606 Depth=1
	v_bfe_u32 v19, v17, 16, 7
	v_cmp_ne_u32_e32 vcc, s25, v19
	v_mov_b32_e32 v12, 0x7f800001
	s_and_saveexec_b64 s[16:17], vcc
	s_cbranch_execz .LBB327_922
; %bb.921:                              ;   in Loop: Header=BB327_606 Depth=1
	v_and_b32_e32 v12, 7, v9
	v_lshrrev_b32_e32 v23, 3, v19
	v_cmp_gt_u32_e32 vcc, 8, v19
	v_ffbh_u32_e32 v19, v12
	v_min_u32_e32 v19, 32, v19
	v_subrev_u32_e32 v21, 28, v19
	v_lshlrev_b64 v[21:22], v21, v[9:10]
	v_sub_u32_e32 v19, 29, v19
	v_and_b32_e32 v21, 7, v21
	v_cndmask_b32_e32 v19, v23, v19, vcc
	v_cndmask_b32_e32 v12, v12, v21, vcc
	v_lshlrev_b32_e32 v9, 24, v9
	v_lshlrev_b32_e32 v12, 20, v12
	v_and_b32_e32 v9, 0x80000000, v9
	v_lshl_add_u32 v19, v19, 23, v40
	v_or3_b32 v12, v9, v19, v12
.LBB327_922:                            ;   in Loop: Header=BB327_606 Depth=1
	s_or_b64 exec, exec, s[16:17]
.LBB327_923:                            ;   in Loop: Header=BB327_606 Depth=1
	s_or_b64 exec, exec, s[14:15]
.LBB327_924:                            ;   in Loop: Header=BB327_606 Depth=1
	s_or_b64 exec, exec, s[12:13]
	v_cmp_lt_u32_e32 vcc, s5, v17
	s_and_saveexec_b64 s[12:13], vcc
	s_cbranch_execz .LBB327_930
; %bb.925:                              ;   in Loop: Header=BB327_606 Depth=1
	v_lshrrev_b32_e32 v9, 24, v17
	v_cmp_ne_u32_e32 vcc, s24, v9
	v_bfrev_b32_e32 v20, 1
	s_and_saveexec_b64 s[14:15], vcc
	s_cbranch_execz .LBB327_929
; %bb.926:                              ;   in Loop: Header=BB327_606 Depth=1
	v_bfe_u32 v19, v17, 24, 7
	v_cmp_ne_u32_e32 vcc, s25, v19
	v_mov_b32_e32 v20, 0x7f800001
	s_and_saveexec_b64 s[16:17], vcc
	s_cbranch_execz .LBB327_928
; %bb.927:                              ;   in Loop: Header=BB327_606 Depth=1
	v_and_b32_e32 v21, 7, v9
	v_lshrrev_b32_e32 v22, 3, v19
	v_cmp_gt_u32_e32 vcc, 8, v19
	v_ffbh_u32_e32 v19, v21
	v_min_u32_e32 v23, 32, v19
	v_subrev_u32_e32 v19, 28, v23
	v_lshlrev_b64 v[19:20], v19, v[9:10]
	v_sub_u32_e32 v20, 29, v23
	v_and_b32_e32 v19, 7, v19
	v_cndmask_b32_e32 v20, v22, v20, vcc
	v_cndmask_b32_e32 v19, v21, v19, vcc
	v_lshlrev_b32_e32 v9, 24, v9
	v_lshlrev_b32_e32 v19, 20, v19
	v_and_b32_e32 v9, 0x80000000, v9
	v_lshl_add_u32 v20, v20, 23, v40
	v_or3_b32 v20, v9, v20, v19
.LBB327_928:                            ;   in Loop: Header=BB327_606 Depth=1
	s_or_b64 exec, exec, s[16:17]
.LBB327_929:                            ;   in Loop: Header=BB327_606 Depth=1
	s_or_b64 exec, exec, s[14:15]
.LBB327_930:                            ;   in Loop: Header=BB327_606 Depth=1
	s_or_b64 exec, exec, s[12:13]
	v_mov_b32_e32 v9, v18
	v_cmp_ne_u16_sdwa s[14:15], v18, v10 src0_sel:BYTE_0 src1_sel:DWORD
	v_mov_b32_e32 v22, 0
	v_mov_b32_e32 v21, 0
	s_and_saveexec_b64 s[12:13], s[14:15]
	s_cbranch_execz .LBB327_936
; %bb.931:                              ;   in Loop: Header=BB327_606 Depth=1
	v_cmp_ne_u16_sdwa s[16:17], v18, s24 src0_sel:BYTE_0 src1_sel:DWORD
	v_bfrev_b32_e32 v21, 1
	s_and_saveexec_b64 s[14:15], s[16:17]
	s_cbranch_execz .LBB327_935
; %bb.932:                              ;   in Loop: Header=BB327_606 Depth=1
	v_and_b32_e32 v19, 0x7f, v18
	v_cmp_ne_u32_e32 vcc, s25, v19
	v_mov_b32_e32 v21, 0x7f800001
	s_and_saveexec_b64 s[16:17], vcc
	s_cbranch_execz .LBB327_934
; %bb.933:                              ;   in Loop: Header=BB327_606 Depth=1
	v_and_b32_e32 v21, 7, v18
	v_lshrrev_b32_e32 v23, 3, v19
	v_cmp_gt_u32_e32 vcc, 8, v19
	v_ffbh_u32_e32 v19, v21
	v_min_u32_e32 v19, 32, v19
	v_subrev_u32_e32 v21, 28, v19
	v_sub_u32_e32 v19, 29, v19
	v_cndmask_b32_e32 v21, 0, v21, vcc
	v_cndmask_b32_e32 v19, v23, v19, vcc
	v_lshlrev_b64 v[23:24], v21, v[9:10]
	v_lshl_add_u32 v19, v19, 23, v40
	v_lshlrev_b32_e32 v21, 20, v23
	v_lshlrev_b32_e32 v23, 24, v9
	v_and_b32_e32 v21, 0x700000, v21
	v_and_b32_e32 v23, 0x80000000, v23
	v_or3_b32 v21, v23, v19, v21
.LBB327_934:                            ;   in Loop: Header=BB327_606 Depth=1
	s_or_b64 exec, exec, s[16:17]
.LBB327_935:                            ;   in Loop: Header=BB327_606 Depth=1
	s_or_b64 exec, exec, s[14:15]
.LBB327_936:                            ;   in Loop: Header=BB327_606 Depth=1
	s_or_b64 exec, exec, s[12:13]
	v_lshrrev_b16_e32 v19, 8, v9
	v_cmp_ne_u16_e32 vcc, 0, v19
	s_and_saveexec_b64 s[12:13], vcc
	s_cbranch_execz .LBB327_942
; %bb.937:                              ;   in Loop: Header=BB327_606 Depth=1
	v_cmp_ne_u16_e32 vcc, s24, v19
	v_bfrev_b32_e32 v22, 1
	s_and_saveexec_b64 s[14:15], vcc
	s_cbranch_execz .LBB327_941
; %bb.938:                              ;   in Loop: Header=BB327_606 Depth=1
	v_and_b32_e32 v23, 0x7f, v19
	v_cmp_ne_u32_e32 vcc, s25, v23
	v_mov_b32_e32 v22, 0x7f800001
	s_and_saveexec_b64 s[16:17], vcc
	s_cbranch_execz .LBB327_940
; %bb.939:                              ;   in Loop: Header=BB327_606 Depth=1
	v_and_b32_e32 v24, 7, v19
	v_ffbh_u32_e32 v22, v24
	v_min_u32_e32 v26, 32, v22
	v_subrev_u32_e32 v22, 28, v26
	v_lshrrev_b32_e32 v25, 3, v23
	v_cmp_gt_u32_e32 vcc, 8, v23
	v_lshlrev_b64 v[22:23], v22, v[19:20]
	v_sub_u32_e32 v19, 29, v26
	v_and_b32_e32 v22, 7, v22
	v_cndmask_b32_e32 v19, v25, v19, vcc
	v_cndmask_b32_e32 v22, v24, v22, vcc
	v_lshlrev_b32_e32 v9, 16, v9
	v_lshlrev_b32_e32 v22, 20, v22
	v_and_b32_e32 v9, 0x80000000, v9
	v_lshl_add_u32 v19, v19, 23, v40
	v_or3_b32 v22, v9, v19, v22
.LBB327_940:                            ;   in Loop: Header=BB327_606 Depth=1
	s_or_b64 exec, exec, s[16:17]
.LBB327_941:                            ;   in Loop: Header=BB327_606 Depth=1
	s_or_b64 exec, exec, s[14:15]
.LBB327_942:                            ;   in Loop: Header=BB327_606 Depth=1
	s_or_b64 exec, exec, s[12:13]
	v_lshrrev_b32_e32 v9, 16, v18
	v_cmp_ne_u16_sdwa s[14:15], v9, v10 src0_sel:BYTE_0 src1_sel:DWORD
	v_mov_b32_e32 v19, 0
	v_mov_b32_e32 v23, 0
	s_and_saveexec_b64 s[12:13], s[14:15]
	s_cbranch_execz .LBB327_948
; %bb.943:                              ;   in Loop: Header=BB327_606 Depth=1
	v_cmp_ne_u16_sdwa s[16:17], v9, s24 src0_sel:BYTE_0 src1_sel:DWORD
	v_bfrev_b32_e32 v23, 1
	s_and_saveexec_b64 s[14:15], s[16:17]
	s_cbranch_execz .LBB327_947
; %bb.944:                              ;   in Loop: Header=BB327_606 Depth=1
	v_bfe_u32 v24, v18, 16, 7
	v_cmp_ne_u32_e32 vcc, s25, v24
	v_mov_b32_e32 v23, 0x7f800001
	s_and_saveexec_b64 s[16:17], vcc
	s_cbranch_execz .LBB327_946
; %bb.945:                              ;   in Loop: Header=BB327_606 Depth=1
	v_and_b32_e32 v25, 7, v9
	v_ffbh_u32_e32 v23, v25
	v_min_u32_e32 v27, 32, v23
	v_subrev_u32_e32 v23, 28, v27
	v_lshrrev_b32_e32 v26, 3, v24
	v_cmp_gt_u32_e32 vcc, 8, v24
	v_lshlrev_b64 v[23:24], v23, v[9:10]
	v_sub_u32_e32 v24, 29, v27
	v_and_b32_e32 v23, 7, v23
	v_cndmask_b32_e32 v24, v26, v24, vcc
	v_cndmask_b32_e32 v23, v25, v23, vcc
	v_lshlrev_b32_e32 v9, 24, v9
	v_lshlrev_b32_e32 v23, 20, v23
	v_and_b32_e32 v9, 0x80000000, v9
	v_lshl_add_u32 v24, v24, 23, v40
	v_or3_b32 v23, v9, v24, v23
.LBB327_946:                            ;   in Loop: Header=BB327_606 Depth=1
	s_or_b64 exec, exec, s[16:17]
.LBB327_947:                            ;   in Loop: Header=BB327_606 Depth=1
	s_or_b64 exec, exec, s[14:15]
.LBB327_948:                            ;   in Loop: Header=BB327_606 Depth=1
	s_or_b64 exec, exec, s[12:13]
	v_cmp_lt_u64_e32 vcc, s[4:5], v[17:18]
	s_and_saveexec_b64 s[12:13], vcc
	s_cbranch_execz .LBB327_954
; %bb.949:                              ;   in Loop: Header=BB327_606 Depth=1
	v_lshrrev_b32_e32 v9, 24, v18
	v_cmp_ne_u32_e32 vcc, s24, v9
	v_bfrev_b32_e32 v19, 1
	s_and_saveexec_b64 s[14:15], vcc
	s_cbranch_execz .LBB327_953
; %bb.950:                              ;   in Loop: Header=BB327_606 Depth=1
	v_bfe_u32 v17, v18, 24, 7
	v_cmp_ne_u32_e32 vcc, s25, v17
	v_mov_b32_e32 v19, 0x7f800001
	s_and_saveexec_b64 s[16:17], vcc
	s_cbranch_execz .LBB327_952
; %bb.951:                              ;   in Loop: Header=BB327_606 Depth=1
	v_and_b32_e32 v19, 7, v9
	v_lshrrev_b32_e32 v24, 3, v17
	v_cmp_gt_u32_e32 vcc, 8, v17
	v_ffbh_u32_e32 v17, v19
	v_min_u32_e32 v25, 32, v17
	v_subrev_u32_e32 v17, 28, v25
	v_lshlrev_b64 v[17:18], v17, v[9:10]
	v_sub_u32_e32 v18, 29, v25
	v_and_b32_e32 v17, 7, v17
	v_cndmask_b32_e32 v18, v24, v18, vcc
	v_cndmask_b32_e32 v17, v19, v17, vcc
	v_lshlrev_b32_e32 v9, 24, v9
	v_lshlrev_b32_e32 v17, 20, v17
	v_and_b32_e32 v9, 0x80000000, v9
	v_lshl_add_u32 v18, v18, 23, v40
	v_or3_b32 v19, v9, v18, v17
.LBB327_952:                            ;   in Loop: Header=BB327_606 Depth=1
	s_or_b64 exec, exec, s[16:17]
.LBB327_953:                            ;   in Loop: Header=BB327_606 Depth=1
	s_or_b64 exec, exec, s[14:15]
.LBB327_954:                            ;   in Loop: Header=BB327_606 Depth=1
	s_or_b64 exec, exec, s[12:13]
	v_mul_f32_e32 v9, s18, v22
	v_bfe_u32 v17, v9, 16, 1
	v_add3_u32 v17, v17, v9, s26
	v_or_b32_e32 v18, 0x400000, v9
	v_cmp_u_f32_e32 vcc, v9, v9
	v_cndmask_b32_e32 v9, v17, v18, vcc
	v_lshrrev_b32_e32 v9, 16, v9
	buffer_store_dword v9, off, s[48:51], 0 offset:204 ; 4-byte Folded Spill
	v_mul_f32_e32 v9, s18, v21
	v_bfe_u32 v17, v9, 16, 1
	v_add3_u32 v17, v17, v9, s26
	v_or_b32_e32 v18, 0x400000, v9
	v_cmp_u_f32_e32 vcc, v9, v9
	v_cndmask_b32_e32 v9, v17, v18, vcc
	v_lshrrev_b32_e32 v9, 16, v9
	buffer_store_dword v9, off, s[48:51], 0 offset:200 ; 4-byte Folded Spill
	;; [unrolled: 8-line block ×4, first 2 shown]
	v_mul_f32_e32 v9, s18, v11
	v_bfe_u32 v11, v9, 16, 1
	v_add3_u32 v11, v11, v9, s26
	v_or_b32_e32 v12, 0x400000, v9
	v_cmp_u_f32_e32 vcc, v9, v9
	v_cndmask_b32_e32 v9, v11, v12, vcc
	v_lshrrev_b32_e32 v9, 16, v9
	v_mul_f32_e32 v0, s18, v0
	buffer_store_dword v9, off, s[48:51], 0 offset:224 ; 4-byte Folded Spill
	v_bfe_u32 v9, v0, 16, 1
	v_add3_u32 v9, v9, v0, s26
	v_or_b32_e32 v11, 0x400000, v0
	v_cmp_u_f32_e32 vcc, v0, v0
	v_cndmask_b32_e32 v0, v9, v11, vcc
	v_lshrrev_b32_e32 v0, 16, v0
	buffer_store_dword v0, off, s[48:51], 0 offset:220 ; 4-byte Folded Spill
	v_mul_f32_e32 v0, s18, v23
	v_bfe_u32 v9, v0, 16, 1
	v_add3_u32 v9, v9, v0, s26
	v_or_b32_e32 v11, 0x400000, v0
	v_cmp_u_f32_e32 vcc, v0, v0
	v_cndmask_b32_e32 v0, v9, v11, vcc
	v_lshrrev_b32_e32 v48, 16, v0
	v_mul_f32_e32 v0, s18, v19
	v_bfe_u32 v9, v0, 16, 1
	v_add3_u32 v9, v9, v0, s26
	v_or_b32_e32 v12, 0x400000, v0
	v_cmp_u_f32_e32 vcc, v0, v0
	v_cndmask_b32_e32 v0, v9, v12, vcc
	v_lshrrev_b32_e32 v0, 16, v0
	buffer_store_dword v0, off, s[48:51], 0 offset:216 ; 4-byte Folded Spill
	s_and_saveexec_b64 s[12:13], s[0:1]
	s_cbranch_execz .LBB327_956
; %bb.955:                              ;   in Loop: Header=BB327_606 Depth=1
	v_add_u32_e32 v0, -7, v37
	v_cmp_gt_i32_e32 vcc, s30, v0
	buffer_load_dword v0, off, s[48:51], 0 offset:220 ; 4-byte Folded Reload
	s_waitcnt vmcnt(0)
	v_cndmask_b32_e32 v0, 0, v0, vcc
	buffer_store_dword v0, off, s[48:51], 0 offset:220 ; 4-byte Folded Spill
	v_add_u32_e32 v0, -6, v37
	v_cmp_gt_i32_e32 vcc, s30, v0
	buffer_load_dword v0, off, s[48:51], 0 offset:224 ; 4-byte Folded Reload
	s_waitcnt vmcnt(0)
	v_cndmask_b32_e32 v0, 0, v0, vcc
	buffer_store_dword v0, off, s[48:51], 0 offset:224 ; 4-byte Folded Spill
	;; [unrolled: 6-line block ×6, first 2 shown]
	v_add_u32_e32 v0, -1, v37
	v_cmp_gt_i32_e32 vcc, s30, v0
	buffer_load_dword v0, off, s[48:51], 0 offset:216 ; 4-byte Folded Reload
	v_cndmask_b32_e32 v48, 0, v48, vcc
	v_cmp_gt_i32_e32 vcc, s30, v37
	s_waitcnt vmcnt(0)
	v_cndmask_b32_e32 v0, 0, v0, vcc
	buffer_store_dword v0, off, s[48:51], 0 offset:216 ; 4-byte Folded Spill
.LBB327_956:                            ;   in Loop: Header=BB327_606 Depth=1
	s_or_b64 exec, exec, s[12:13]
	global_load_dwordx2 v[17:18], v[15:16], off offset:3584
	v_mov_b32_e32 v12, 0
	v_mov_b32_e32 v0, 0
	s_waitcnt vmcnt(0)
	v_cmp_ne_u16_sdwa s[14:15], v17, v10 src0_sel:BYTE_0 src1_sel:DWORD
	s_and_saveexec_b64 s[12:13], s[14:15]
	s_cbranch_execz .LBB327_962
; %bb.957:                              ;   in Loop: Header=BB327_606 Depth=1
	v_cmp_ne_u16_sdwa s[16:17], v17, s24 src0_sel:BYTE_0 src1_sel:DWORD
	v_bfrev_b32_e32 v0, 1
	s_and_saveexec_b64 s[14:15], s[16:17]
	s_cbranch_execz .LBB327_961
; %bb.958:                              ;   in Loop: Header=BB327_606 Depth=1
	v_and_b32_e32 v9, 0x7f, v17
	v_cmp_ne_u32_e32 vcc, s25, v9
	v_mov_b32_e32 v0, 0x7f800001
	s_and_saveexec_b64 s[16:17], vcc
	s_cbranch_execz .LBB327_960
; %bb.959:                              ;   in Loop: Header=BB327_606 Depth=1
	v_and_b32_e32 v0, 7, v17
	v_ffbh_u32_e32 v0, v0
	v_min_u32_e32 v0, 32, v0
	v_lshrrev_b32_e32 v19, 3, v9
	v_cmp_gt_u32_e32 vcc, 8, v9
	v_subrev_u32_e32 v9, 28, v0
	v_cndmask_b32_e32 v9, 0, v9, vcc
	v_lshlrev_b64 v[21:22], v9, v[17:18]
	v_sub_u32_e32 v0, 29, v0
	v_cndmask_b32_e32 v0, v19, v0, vcc
	v_lshlrev_b32_e32 v9, 20, v21
	v_lshlrev_b32_e32 v19, 24, v17
	v_and_b32_e32 v9, 0x700000, v9
	v_and_b32_e32 v19, 0x80000000, v19
	v_lshl_add_u32 v0, v0, 23, v40
	v_or3_b32 v0, v19, v0, v9
.LBB327_960:                            ;   in Loop: Header=BB327_606 Depth=1
	s_or_b64 exec, exec, s[16:17]
.LBB327_961:                            ;   in Loop: Header=BB327_606 Depth=1
	s_or_b64 exec, exec, s[14:15]
.LBB327_962:                            ;   in Loop: Header=BB327_606 Depth=1
	s_or_b64 exec, exec, s[12:13]
	v_lshrrev_b16_e32 v9, 8, v17
	v_cmp_ne_u16_e32 vcc, 0, v9
	s_and_saveexec_b64 s[12:13], vcc
	s_cbranch_execz .LBB327_968
; %bb.963:                              ;   in Loop: Header=BB327_606 Depth=1
	v_cmp_ne_u16_e32 vcc, s24, v9
	v_bfrev_b32_e32 v12, 1
	s_and_saveexec_b64 s[14:15], vcc
	s_cbranch_execz .LBB327_967
; %bb.964:                              ;   in Loop: Header=BB327_606 Depth=1
	v_and_b32_e32 v19, 0x7f, v9
	v_cmp_ne_u32_e32 vcc, s25, v19
	v_mov_b32_e32 v12, 0x7f800001
	s_and_saveexec_b64 s[16:17], vcc
	s_cbranch_execz .LBB327_966
; %bb.965:                              ;   in Loop: Header=BB327_606 Depth=1
	v_and_b32_e32 v12, 7, v9
	v_lshrrev_b32_e32 v23, 3, v19
	v_cmp_gt_u32_e32 vcc, 8, v19
	v_ffbh_u32_e32 v19, v12
	v_min_u32_e32 v19, 32, v19
	v_subrev_u32_e32 v21, 28, v19
	v_lshlrev_b64 v[21:22], v21, v[9:10]
	v_sub_u32_e32 v9, 29, v19
	v_and_b32_e32 v19, 7, v21
	v_cndmask_b32_e32 v9, v23, v9, vcc
	v_cndmask_b32_e32 v12, v12, v19, vcc
	v_lshlrev_b32_e32 v19, 16, v17
	v_lshlrev_b32_e32 v12, 20, v12
	v_and_b32_e32 v19, 0x80000000, v19
	v_lshl_add_u32 v9, v9, 23, v40
	v_or3_b32 v12, v19, v9, v12
.LBB327_966:                            ;   in Loop: Header=BB327_606 Depth=1
	s_or_b64 exec, exec, s[16:17]
.LBB327_967:                            ;   in Loop: Header=BB327_606 Depth=1
	s_or_b64 exec, exec, s[14:15]
.LBB327_968:                            ;   in Loop: Header=BB327_606 Depth=1
	s_or_b64 exec, exec, s[12:13]
	v_lshrrev_b32_e32 v9, 16, v17
	v_cmp_ne_u16_sdwa s[14:15], v9, v10 src0_sel:BYTE_0 src1_sel:DWORD
	v_mov_b32_e32 v22, 0
	v_mov_b32_e32 v21, 0
	s_and_saveexec_b64 s[12:13], s[14:15]
	s_cbranch_execz .LBB327_974
; %bb.969:                              ;   in Loop: Header=BB327_606 Depth=1
	v_cmp_ne_u16_sdwa s[16:17], v9, s24 src0_sel:BYTE_0 src1_sel:DWORD
	v_bfrev_b32_e32 v21, 1
	s_and_saveexec_b64 s[14:15], s[16:17]
	s_cbranch_execz .LBB327_973
; %bb.970:                              ;   in Loop: Header=BB327_606 Depth=1
	v_bfe_u32 v19, v17, 16, 7
	v_cmp_ne_u32_e32 vcc, s25, v19
	v_mov_b32_e32 v21, 0x7f800001
	s_and_saveexec_b64 s[16:17], vcc
	s_cbranch_execz .LBB327_972
; %bb.971:                              ;   in Loop: Header=BB327_606 Depth=1
	v_and_b32_e32 v21, 7, v9
	v_lshrrev_b32_e32 v25, 3, v19
	v_cmp_gt_u32_e32 vcc, 8, v19
	v_ffbh_u32_e32 v19, v21
	v_min_u32_e32 v19, 32, v19
	v_subrev_u32_e32 v23, 28, v19
	v_lshlrev_b64 v[23:24], v23, v[9:10]
	v_sub_u32_e32 v19, 29, v19
	v_and_b32_e32 v23, 7, v23
	v_cndmask_b32_e32 v19, v25, v19, vcc
	v_cndmask_b32_e32 v21, v21, v23, vcc
	v_lshlrev_b32_e32 v9, 24, v9
	v_lshlrev_b32_e32 v21, 20, v21
	v_and_b32_e32 v9, 0x80000000, v9
	v_lshl_add_u32 v19, v19, 23, v40
	v_or3_b32 v21, v9, v19, v21
.LBB327_972:                            ;   in Loop: Header=BB327_606 Depth=1
	s_or_b64 exec, exec, s[16:17]
.LBB327_973:                            ;   in Loop: Header=BB327_606 Depth=1
	s_or_b64 exec, exec, s[14:15]
.LBB327_974:                            ;   in Loop: Header=BB327_606 Depth=1
	s_or_b64 exec, exec, s[12:13]
	v_cmp_lt_u32_e32 vcc, s5, v17
	s_and_saveexec_b64 s[12:13], vcc
	s_cbranch_execz .LBB327_980
; %bb.975:                              ;   in Loop: Header=BB327_606 Depth=1
	v_lshrrev_b32_e32 v9, 24, v17
	v_cmp_ne_u32_e32 vcc, s24, v9
	v_bfrev_b32_e32 v22, 1
	s_and_saveexec_b64 s[14:15], vcc
	s_cbranch_execz .LBB327_979
; %bb.976:                              ;   in Loop: Header=BB327_606 Depth=1
	v_bfe_u32 v19, v17, 24, 7
	v_cmp_ne_u32_e32 vcc, s25, v19
	v_mov_b32_e32 v22, 0x7f800001
	s_and_saveexec_b64 s[16:17], vcc
	s_cbranch_execz .LBB327_978
; %bb.977:                              ;   in Loop: Header=BB327_606 Depth=1
	v_and_b32_e32 v24, 7, v9
	v_lshrrev_b32_e32 v25, 3, v19
	v_cmp_gt_u32_e32 vcc, 8, v19
	v_ffbh_u32_e32 v19, v24
	v_min_u32_e32 v19, 32, v19
	v_subrev_u32_e32 v22, 28, v19
	v_lshlrev_b64 v[22:23], v22, v[9:10]
	v_sub_u32_e32 v19, 29, v19
	v_and_b32_e32 v22, 7, v22
	v_cndmask_b32_e32 v19, v25, v19, vcc
	v_cndmask_b32_e32 v22, v24, v22, vcc
	v_lshlrev_b32_e32 v9, 24, v9
	v_lshlrev_b32_e32 v22, 20, v22
	v_and_b32_e32 v9, 0x80000000, v9
	v_lshl_add_u32 v19, v19, 23, v40
	v_or3_b32 v22, v9, v19, v22
.LBB327_978:                            ;   in Loop: Header=BB327_606 Depth=1
	s_or_b64 exec, exec, s[16:17]
.LBB327_979:                            ;   in Loop: Header=BB327_606 Depth=1
	s_or_b64 exec, exec, s[14:15]
.LBB327_980:                            ;   in Loop: Header=BB327_606 Depth=1
	s_or_b64 exec, exec, s[12:13]
	v_mov_b32_e32 v9, v18
	v_cmp_ne_u16_sdwa s[14:15], v18, v10 src0_sel:BYTE_0 src1_sel:DWORD
	v_mov_b32_e32 v24, 0
	v_mov_b32_e32 v23, 0
	s_and_saveexec_b64 s[12:13], s[14:15]
	s_cbranch_execz .LBB327_986
; %bb.981:                              ;   in Loop: Header=BB327_606 Depth=1
	v_cmp_ne_u16_sdwa s[16:17], v18, s24 src0_sel:BYTE_0 src1_sel:DWORD
	v_bfrev_b32_e32 v23, 1
	s_and_saveexec_b64 s[14:15], s[16:17]
	s_cbranch_execz .LBB327_985
; %bb.982:                              ;   in Loop: Header=BB327_606 Depth=1
	v_and_b32_e32 v19, 0x7f, v18
	v_cmp_ne_u32_e32 vcc, s25, v19
	v_mov_b32_e32 v23, 0x7f800001
	s_and_saveexec_b64 s[16:17], vcc
	s_cbranch_execz .LBB327_984
; %bb.983:                              ;   in Loop: Header=BB327_606 Depth=1
	v_and_b32_e32 v23, 7, v18
	v_lshrrev_b32_e32 v25, 3, v19
	v_cmp_gt_u32_e32 vcc, 8, v19
	v_ffbh_u32_e32 v19, v23
	v_min_u32_e32 v19, 32, v19
	v_subrev_u32_e32 v23, 28, v19
	v_sub_u32_e32 v19, 29, v19
	v_cndmask_b32_e32 v23, 0, v23, vcc
	v_cndmask_b32_e32 v19, v25, v19, vcc
	v_lshlrev_b64 v[25:26], v23, v[9:10]
	v_lshl_add_u32 v19, v19, 23, v40
	v_lshlrev_b32_e32 v23, 20, v25
	v_lshlrev_b32_e32 v25, 24, v9
	v_and_b32_e32 v23, 0x700000, v23
	v_and_b32_e32 v25, 0x80000000, v25
	v_or3_b32 v23, v25, v19, v23
.LBB327_984:                            ;   in Loop: Header=BB327_606 Depth=1
	s_or_b64 exec, exec, s[16:17]
.LBB327_985:                            ;   in Loop: Header=BB327_606 Depth=1
	s_or_b64 exec, exec, s[14:15]
.LBB327_986:                            ;   in Loop: Header=BB327_606 Depth=1
	s_or_b64 exec, exec, s[12:13]
	v_lshrrev_b16_e32 v19, 8, v9
	v_cmp_ne_u16_e32 vcc, 0, v19
	s_and_saveexec_b64 s[12:13], vcc
	s_cbranch_execz .LBB327_992
; %bb.987:                              ;   in Loop: Header=BB327_606 Depth=1
	v_cmp_ne_u16_e32 vcc, s24, v19
	v_bfrev_b32_e32 v24, 1
	s_and_saveexec_b64 s[14:15], vcc
	s_cbranch_execz .LBB327_991
; %bb.988:                              ;   in Loop: Header=BB327_606 Depth=1
	v_and_b32_e32 v25, 0x7f, v19
	v_cmp_ne_u32_e32 vcc, s25, v25
	v_mov_b32_e32 v24, 0x7f800001
	s_and_saveexec_b64 s[16:17], vcc
	s_cbranch_execz .LBB327_990
; %bb.989:                              ;   in Loop: Header=BB327_606 Depth=1
	v_and_b32_e32 v26, 7, v19
	v_ffbh_u32_e32 v24, v26
	v_min_u32_e32 v28, 32, v24
	v_subrev_u32_e32 v24, 28, v28
	v_lshrrev_b32_e32 v27, 3, v25
	v_cmp_gt_u32_e32 vcc, 8, v25
	v_lshlrev_b64 v[24:25], v24, v[19:20]
	v_sub_u32_e32 v19, 29, v28
	v_and_b32_e32 v24, 7, v24
	v_cndmask_b32_e32 v19, v27, v19, vcc
	v_cndmask_b32_e32 v24, v26, v24, vcc
	v_lshlrev_b32_e32 v9, 16, v9
	v_lshlrev_b32_e32 v24, 20, v24
	v_and_b32_e32 v9, 0x80000000, v9
	v_lshl_add_u32 v19, v19, 23, v40
	v_or3_b32 v24, v9, v19, v24
.LBB327_990:                            ;   in Loop: Header=BB327_606 Depth=1
	s_or_b64 exec, exec, s[16:17]
.LBB327_991:                            ;   in Loop: Header=BB327_606 Depth=1
	s_or_b64 exec, exec, s[14:15]
.LBB327_992:                            ;   in Loop: Header=BB327_606 Depth=1
	s_or_b64 exec, exec, s[12:13]
	v_lshrrev_b32_e32 v9, 16, v18
	v_cmp_ne_u16_sdwa s[14:15], v9, v10 src0_sel:BYTE_0 src1_sel:DWORD
	v_mov_b32_e32 v19, 0
	v_mov_b32_e32 v25, 0
	s_and_saveexec_b64 s[12:13], s[14:15]
	s_cbranch_execz .LBB327_998
; %bb.993:                              ;   in Loop: Header=BB327_606 Depth=1
	v_cmp_ne_u16_sdwa s[16:17], v9, s24 src0_sel:BYTE_0 src1_sel:DWORD
	v_bfrev_b32_e32 v25, 1
	s_and_saveexec_b64 s[14:15], s[16:17]
	s_cbranch_execz .LBB327_997
; %bb.994:                              ;   in Loop: Header=BB327_606 Depth=1
	v_bfe_u32 v26, v18, 16, 7
	v_cmp_ne_u32_e32 vcc, s25, v26
	v_mov_b32_e32 v25, 0x7f800001
	s_and_saveexec_b64 s[16:17], vcc
	s_cbranch_execz .LBB327_996
; %bb.995:                              ;   in Loop: Header=BB327_606 Depth=1
	v_and_b32_e32 v27, 7, v9
	v_ffbh_u32_e32 v25, v27
	v_min_u32_e32 v29, 32, v25
	v_subrev_u32_e32 v25, 28, v29
	v_lshrrev_b32_e32 v28, 3, v26
	v_cmp_gt_u32_e32 vcc, 8, v26
	v_lshlrev_b64 v[25:26], v25, v[9:10]
	v_sub_u32_e32 v26, 29, v29
	v_and_b32_e32 v25, 7, v25
	v_cndmask_b32_e32 v26, v28, v26, vcc
	v_cndmask_b32_e32 v25, v27, v25, vcc
	v_lshlrev_b32_e32 v9, 24, v9
	v_lshlrev_b32_e32 v25, 20, v25
	v_and_b32_e32 v9, 0x80000000, v9
	v_lshl_add_u32 v26, v26, 23, v40
	v_or3_b32 v25, v9, v26, v25
.LBB327_996:                            ;   in Loop: Header=BB327_606 Depth=1
	s_or_b64 exec, exec, s[16:17]
.LBB327_997:                            ;   in Loop: Header=BB327_606 Depth=1
	s_or_b64 exec, exec, s[14:15]
.LBB327_998:                            ;   in Loop: Header=BB327_606 Depth=1
	s_or_b64 exec, exec, s[12:13]
	v_cmp_lt_u64_e32 vcc, s[4:5], v[17:18]
	s_and_saveexec_b64 s[12:13], vcc
	s_cbranch_execz .LBB327_1004
; %bb.999:                              ;   in Loop: Header=BB327_606 Depth=1
	v_lshrrev_b32_e32 v9, 24, v18
	v_cmp_ne_u32_e32 vcc, s24, v9
	v_bfrev_b32_e32 v19, 1
	s_and_saveexec_b64 s[14:15], vcc
	s_cbranch_execz .LBB327_1003
; %bb.1000:                             ;   in Loop: Header=BB327_606 Depth=1
	v_bfe_u32 v17, v18, 24, 7
	v_cmp_ne_u32_e32 vcc, s25, v17
	v_mov_b32_e32 v19, 0x7f800001
	s_and_saveexec_b64 s[16:17], vcc
	s_cbranch_execz .LBB327_1002
; %bb.1001:                             ;   in Loop: Header=BB327_606 Depth=1
	v_and_b32_e32 v19, 7, v9
	v_lshrrev_b32_e32 v26, 3, v17
	v_cmp_gt_u32_e32 vcc, 8, v17
	v_ffbh_u32_e32 v17, v19
	v_min_u32_e32 v27, 32, v17
	v_subrev_u32_e32 v17, 28, v27
	v_lshlrev_b64 v[17:18], v17, v[9:10]
	v_sub_u32_e32 v18, 29, v27
	v_and_b32_e32 v17, 7, v17
	v_cndmask_b32_e32 v18, v26, v18, vcc
	v_cndmask_b32_e32 v17, v19, v17, vcc
	v_lshlrev_b32_e32 v9, 24, v9
	v_lshlrev_b32_e32 v17, 20, v17
	v_and_b32_e32 v9, 0x80000000, v9
	v_lshl_add_u32 v18, v18, 23, v40
	v_or3_b32 v19, v9, v18, v17
.LBB327_1002:                           ;   in Loop: Header=BB327_606 Depth=1
	s_or_b64 exec, exec, s[16:17]
.LBB327_1003:                           ;   in Loop: Header=BB327_606 Depth=1
	s_or_b64 exec, exec, s[14:15]
.LBB327_1004:                           ;   in Loop: Header=BB327_606 Depth=1
	s_or_b64 exec, exec, s[12:13]
	v_mul_f32_e32 v9, s18, v24
	v_bfe_u32 v17, v9, 16, 1
	v_add3_u32 v17, v17, v9, s26
	v_or_b32_e32 v18, 0x400000, v9
	v_cmp_u_f32_e32 vcc, v9, v9
	v_cndmask_b32_e32 v9, v17, v18, vcc
	v_lshrrev_b32_e32 v9, 16, v9
	buffer_store_dword v9, off, s[48:51], 0 offset:232 ; 4-byte Folded Spill
	v_mul_f32_e32 v9, s18, v23
	v_bfe_u32 v17, v9, 16, 1
	v_add3_u32 v17, v17, v9, s26
	v_or_b32_e32 v18, 0x400000, v9
	v_cmp_u_f32_e32 vcc, v9, v9
	v_cndmask_b32_e32 v9, v17, v18, vcc
	v_lshrrev_b32_e32 v9, 16, v9
	buffer_store_dword v9, off, s[48:51], 0 offset:228 ; 4-byte Folded Spill
	v_mul_f32_e32 v9, s18, v22
	v_bfe_u32 v17, v9, 16, 1
	v_add3_u32 v17, v17, v9, s26
	v_or_b32_e32 v18, 0x400000, v9
	v_cmp_u_f32_e32 vcc, v9, v9
	v_cndmask_b32_e32 v9, v17, v18, vcc
	v_lshrrev_b32_e32 v44, 16, v9
	v_mul_f32_e32 v9, s18, v21
	v_bfe_u32 v17, v9, 16, 1
	v_add3_u32 v17, v17, v9, s26
	v_or_b32_e32 v18, 0x400000, v9
	v_cmp_u_f32_e32 vcc, v9, v9
	v_cndmask_b32_e32 v9, v17, v18, vcc
	v_lshrrev_b32_e32 v43, 16, v9
	;; [unrolled: 7-line block ×3, first 2 shown]
	v_mul_f32_e32 v0, s18, v0
	buffer_store_dword v9, off, s[48:51], 0 offset:240 ; 4-byte Folded Spill
	v_bfe_u32 v9, v0, 16, 1
	v_add3_u32 v9, v9, v0, s26
	v_or_b32_e32 v17, 0x400000, v0
	v_cmp_u_f32_e32 vcc, v0, v0
	v_cndmask_b32_e32 v0, v9, v17, vcc
	v_lshrrev_b32_e32 v0, 16, v0
	buffer_store_dword v0, off, s[48:51], 0 offset:236 ; 4-byte Folded Spill
	v_mul_f32_e32 v0, s18, v25
	v_bfe_u32 v9, v0, 16, 1
	v_add3_u32 v9, v9, v0, s26
	v_or_b32_e32 v17, 0x400000, v0
	v_cmp_u_f32_e32 vcc, v0, v0
	v_cndmask_b32_e32 v0, v9, v17, vcc
	v_lshrrev_b32_e32 v12, 16, v0
	v_mul_f32_e32 v0, s18, v19
	v_bfe_u32 v9, v0, 16, 1
	v_add3_u32 v9, v9, v0, s26
	v_or_b32_e32 v17, 0x400000, v0
	v_cmp_u_f32_e32 vcc, v0, v0
	v_cndmask_b32_e32 v0, v9, v17, vcc
	v_lshrrev_b32_e32 v45, 16, v0
	s_and_saveexec_b64 s[12:13], s[0:1]
	s_cbranch_execz .LBB327_1006
; %bb.1005:                             ;   in Loop: Header=BB327_606 Depth=1
	v_add_u32_e32 v0, -7, v37
	v_cmp_gt_i32_e32 vcc, s30, v0
	buffer_load_dword v0, off, s[48:51], 0 offset:236 ; 4-byte Folded Reload
	s_waitcnt vmcnt(0)
	v_cndmask_b32_e32 v0, 0, v0, vcc
	buffer_store_dword v0, off, s[48:51], 0 offset:236 ; 4-byte Folded Spill
	v_add_u32_e32 v0, -6, v37
	v_cmp_gt_i32_e32 vcc, s30, v0
	buffer_load_dword v0, off, s[48:51], 0 offset:240 ; 4-byte Folded Reload
	s_waitcnt vmcnt(0)
	v_cndmask_b32_e32 v0, 0, v0, vcc
	buffer_store_dword v0, off, s[48:51], 0 offset:240 ; 4-byte Folded Spill
	v_add_u32_e32 v0, -5, v37
	v_cmp_gt_i32_e32 vcc, s30, v0
	v_add_u32_e32 v0, -4, v37
	v_cndmask_b32_e32 v43, 0, v43, vcc
	v_cmp_gt_i32_e32 vcc, s30, v0
	v_add_u32_e32 v0, -3, v37
	v_cndmask_b32_e32 v44, 0, v44, vcc
	v_cmp_gt_i32_e32 vcc, s30, v0
	buffer_load_dword v0, off, s[48:51], 0 offset:228 ; 4-byte Folded Reload
	s_waitcnt vmcnt(0)
	v_cndmask_b32_e32 v0, 0, v0, vcc
	buffer_store_dword v0, off, s[48:51], 0 offset:228 ; 4-byte Folded Spill
	v_add_u32_e32 v0, -2, v37
	v_cmp_gt_i32_e32 vcc, s30, v0
	buffer_load_dword v0, off, s[48:51], 0 offset:232 ; 4-byte Folded Reload
	s_waitcnt vmcnt(0)
	v_cndmask_b32_e32 v0, 0, v0, vcc
	buffer_store_dword v0, off, s[48:51], 0 offset:232 ; 4-byte Folded Spill
	v_add_u32_e32 v0, -1, v37
	v_cmp_gt_i32_e32 vcc, s30, v0
	v_cndmask_b32_e32 v12, 0, v12, vcc
	v_cmp_gt_i32_e32 vcc, s30, v37
	v_cndmask_b32_e32 v45, 0, v45, vcc
.LBB327_1006:                           ;   in Loop: Header=BB327_606 Depth=1
	s_or_b64 exec, exec, s[12:13]
	v_add_co_u32_e32 v17, vcc, 0x1000, v15
	v_addc_co_u32_e32 v18, vcc, 0, v16, vcc
	global_load_dwordx2 v[17:18], v[17:18], off
	v_mov_b32_e32 v22, 0
	v_mov_b32_e32 v21, 0
	s_waitcnt vmcnt(0)
	v_cmp_ne_u16_sdwa s[14:15], v17, v10 src0_sel:BYTE_0 src1_sel:DWORD
	s_and_saveexec_b64 s[12:13], s[14:15]
	s_cbranch_execz .LBB327_1012
; %bb.1007:                             ;   in Loop: Header=BB327_606 Depth=1
	v_cmp_ne_u16_sdwa s[16:17], v17, s24 src0_sel:BYTE_0 src1_sel:DWORD
	v_bfrev_b32_e32 v21, 1
	s_and_saveexec_b64 s[14:15], s[16:17]
	s_cbranch_execz .LBB327_1011
; %bb.1008:                             ;   in Loop: Header=BB327_606 Depth=1
	v_and_b32_e32 v0, 0x7f, v17
	v_cmp_ne_u32_e32 vcc, s25, v0
	v_mov_b32_e32 v21, 0x7f800001
	s_and_saveexec_b64 s[16:17], vcc
	s_cbranch_execz .LBB327_1010
; %bb.1009:                             ;   in Loop: Header=BB327_606 Depth=1
	v_and_b32_e32 v9, 7, v17
	v_lshrrev_b32_e32 v19, 3, v0
	v_cmp_gt_u32_e32 vcc, 8, v0
	v_ffbh_u32_e32 v0, v9
	v_min_u32_e32 v0, 32, v0
	v_subrev_u32_e32 v9, 28, v0
	v_cndmask_b32_e32 v9, 0, v9, vcc
	v_lshlrev_b64 v[23:24], v9, v[17:18]
	v_sub_u32_e32 v0, 29, v0
	v_cndmask_b32_e32 v0, v19, v0, vcc
	v_lshlrev_b32_e32 v9, 20, v23
	v_lshlrev_b32_e32 v19, 24, v17
	v_and_b32_e32 v9, 0x700000, v9
	v_and_b32_e32 v19, 0x80000000, v19
	v_lshl_add_u32 v0, v0, 23, v40
	v_or3_b32 v21, v19, v0, v9
.LBB327_1010:                           ;   in Loop: Header=BB327_606 Depth=1
	s_or_b64 exec, exec, s[16:17]
.LBB327_1011:                           ;   in Loop: Header=BB327_606 Depth=1
	s_or_b64 exec, exec, s[14:15]
.LBB327_1012:                           ;   in Loop: Header=BB327_606 Depth=1
	s_or_b64 exec, exec, s[12:13]
	v_lshrrev_b16_e32 v9, 8, v17
	v_cmp_ne_u16_e32 vcc, 0, v9
	s_and_saveexec_b64 s[12:13], vcc
	s_cbranch_execz .LBB327_1018
; %bb.1013:                             ;   in Loop: Header=BB327_606 Depth=1
	v_cmp_ne_u16_e32 vcc, s24, v9
	v_bfrev_b32_e32 v22, 1
	s_and_saveexec_b64 s[14:15], vcc
	s_cbranch_execz .LBB327_1017
; %bb.1014:                             ;   in Loop: Header=BB327_606 Depth=1
	v_and_b32_e32 v0, 0x7f, v9
	v_cmp_ne_u32_e32 vcc, s25, v0
	v_mov_b32_e32 v22, 0x7f800001
	s_and_saveexec_b64 s[16:17], vcc
	s_cbranch_execz .LBB327_1016
; %bb.1015:                             ;   in Loop: Header=BB327_606 Depth=1
	v_and_b32_e32 v19, 7, v9
	v_lshrrev_b32_e32 v24, 3, v0
	v_cmp_gt_u32_e32 vcc, 8, v0
	v_ffbh_u32_e32 v0, v19
	v_min_u32_e32 v0, 32, v0
	v_subrev_u32_e32 v22, 28, v0
	v_lshlrev_b64 v[22:23], v22, v[9:10]
	v_sub_u32_e32 v0, 29, v0
	v_and_b32_e32 v9, 7, v22
	v_cndmask_b32_e32 v0, v24, v0, vcc
	v_cndmask_b32_e32 v9, v19, v9, vcc
	v_lshlrev_b32_e32 v19, 16, v17
	v_lshlrev_b32_e32 v9, 20, v9
	v_and_b32_e32 v19, 0x80000000, v19
	v_lshl_add_u32 v0, v0, 23, v40
	v_or3_b32 v22, v19, v0, v9
.LBB327_1016:                           ;   in Loop: Header=BB327_606 Depth=1
	s_or_b64 exec, exec, s[16:17]
.LBB327_1017:                           ;   in Loop: Header=BB327_606 Depth=1
	s_or_b64 exec, exec, s[14:15]
.LBB327_1018:                           ;   in Loop: Header=BB327_606 Depth=1
	s_or_b64 exec, exec, s[12:13]
	v_lshrrev_b32_e32 v9, 16, v17
	v_cmp_ne_u16_sdwa s[14:15], v9, v10 src0_sel:BYTE_0 src1_sel:DWORD
	v_mov_b32_e32 v24, 0
	v_mov_b32_e32 v23, 0
	s_and_saveexec_b64 s[12:13], s[14:15]
	s_cbranch_execz .LBB327_1024
; %bb.1019:                             ;   in Loop: Header=BB327_606 Depth=1
	v_cmp_ne_u16_sdwa s[16:17], v9, s24 src0_sel:BYTE_0 src1_sel:DWORD
	v_bfrev_b32_e32 v23, 1
	s_and_saveexec_b64 s[14:15], s[16:17]
	s_cbranch_execz .LBB327_1023
; %bb.1020:                             ;   in Loop: Header=BB327_606 Depth=1
	v_bfe_u32 v0, v17, 16, 7
	v_cmp_ne_u32_e32 vcc, s25, v0
	v_mov_b32_e32 v23, 0x7f800001
	s_and_saveexec_b64 s[16:17], vcc
	s_cbranch_execz .LBB327_1022
; %bb.1021:                             ;   in Loop: Header=BB327_606 Depth=1
	v_and_b32_e32 v19, 7, v9
	v_lshrrev_b32_e32 v23, 3, v0
	v_cmp_gt_u32_e32 vcc, 8, v0
	v_ffbh_u32_e32 v0, v19
	v_min_u32_e32 v0, 32, v0
	v_subrev_u32_e32 v25, 28, v0
	v_lshlrev_b64 v[25:26], v25, v[9:10]
	v_sub_u32_e32 v0, 29, v0
	v_and_b32_e32 v25, 7, v25
	v_cndmask_b32_e32 v0, v23, v0, vcc
	v_cndmask_b32_e32 v19, v19, v25, vcc
	v_lshlrev_b32_e32 v9, 24, v9
	v_lshlrev_b32_e32 v19, 20, v19
	v_and_b32_e32 v9, 0x80000000, v9
	v_lshl_add_u32 v0, v0, 23, v40
	v_or3_b32 v23, v9, v0, v19
.LBB327_1022:                           ;   in Loop: Header=BB327_606 Depth=1
	s_or_b64 exec, exec, s[16:17]
.LBB327_1023:                           ;   in Loop: Header=BB327_606 Depth=1
	s_or_b64 exec, exec, s[14:15]
.LBB327_1024:                           ;   in Loop: Header=BB327_606 Depth=1
	s_or_b64 exec, exec, s[12:13]
	v_cmp_lt_u32_e32 vcc, s5, v17
	s_and_saveexec_b64 s[12:13], vcc
	s_cbranch_execz .LBB327_1030
; %bb.1025:                             ;   in Loop: Header=BB327_606 Depth=1
	v_lshrrev_b32_e32 v9, 24, v17
	v_cmp_ne_u32_e32 vcc, s24, v9
	v_bfrev_b32_e32 v24, 1
	s_and_saveexec_b64 s[14:15], vcc
	s_cbranch_execz .LBB327_1029
; %bb.1026:                             ;   in Loop: Header=BB327_606 Depth=1
	v_bfe_u32 v0, v17, 24, 7
	v_cmp_ne_u32_e32 vcc, s25, v0
	v_mov_b32_e32 v24, 0x7f800001
	s_and_saveexec_b64 s[16:17], vcc
	s_cbranch_execz .LBB327_1028
; %bb.1027:                             ;   in Loop: Header=BB327_606 Depth=1
	v_and_b32_e32 v19, 7, v9
	v_lshrrev_b32_e32 v26, 3, v0
	v_cmp_gt_u32_e32 vcc, 8, v0
	v_ffbh_u32_e32 v0, v19
	v_min_u32_e32 v0, 32, v0
	v_subrev_u32_e32 v24, 28, v0
	v_lshlrev_b64 v[24:25], v24, v[9:10]
	v_sub_u32_e32 v0, 29, v0
	v_and_b32_e32 v24, 7, v24
	v_cndmask_b32_e32 v0, v26, v0, vcc
	v_cndmask_b32_e32 v19, v19, v24, vcc
	v_lshlrev_b32_e32 v9, 24, v9
	v_lshlrev_b32_e32 v19, 20, v19
	v_and_b32_e32 v9, 0x80000000, v9
	v_lshl_add_u32 v0, v0, 23, v40
	v_or3_b32 v24, v9, v0, v19
.LBB327_1028:                           ;   in Loop: Header=BB327_606 Depth=1
	s_or_b64 exec, exec, s[16:17]
.LBB327_1029:                           ;   in Loop: Header=BB327_606 Depth=1
	s_or_b64 exec, exec, s[14:15]
.LBB327_1030:                           ;   in Loop: Header=BB327_606 Depth=1
	s_or_b64 exec, exec, s[12:13]
	v_mov_b32_e32 v9, v18
	v_cmp_ne_u16_sdwa s[14:15], v18, v10 src0_sel:BYTE_0 src1_sel:DWORD
	v_mov_b32_e32 v25, 0
	v_mov_b32_e32 v0, 0
	s_and_saveexec_b64 s[12:13], s[14:15]
	s_cbranch_execz .LBB327_1036
; %bb.1031:                             ;   in Loop: Header=BB327_606 Depth=1
	v_cmp_ne_u16_sdwa s[16:17], v18, s24 src0_sel:BYTE_0 src1_sel:DWORD
	v_bfrev_b32_e32 v0, 1
	s_and_saveexec_b64 s[14:15], s[16:17]
	s_cbranch_execz .LBB327_1035
; %bb.1032:                             ;   in Loop: Header=BB327_606 Depth=1
	v_and_b32_e32 v19, 0x7f, v18
	v_cmp_ne_u32_e32 vcc, s25, v19
	v_mov_b32_e32 v0, 0x7f800001
	s_and_saveexec_b64 s[16:17], vcc
	s_cbranch_execz .LBB327_1034
; %bb.1033:                             ;   in Loop: Header=BB327_606 Depth=1
	v_and_b32_e32 v0, 7, v18
	v_ffbh_u32_e32 v0, v0
	v_min_u32_e32 v0, 32, v0
	v_lshrrev_b32_e32 v26, 3, v19
	v_cmp_gt_u32_e32 vcc, 8, v19
	v_subrev_u32_e32 v19, 28, v0
	v_sub_u32_e32 v0, 29, v0
	v_cndmask_b32_e32 v19, 0, v19, vcc
	v_cndmask_b32_e32 v0, v26, v0, vcc
	v_lshlrev_b64 v[26:27], v19, v[9:10]
	v_lshl_add_u32 v0, v0, 23, v40
	v_lshlrev_b32_e32 v19, 20, v26
	v_lshlrev_b32_e32 v26, 24, v9
	v_and_b32_e32 v19, 0x700000, v19
	v_and_b32_e32 v26, 0x80000000, v26
	v_or3_b32 v0, v26, v0, v19
.LBB327_1034:                           ;   in Loop: Header=BB327_606 Depth=1
	s_or_b64 exec, exec, s[16:17]
.LBB327_1035:                           ;   in Loop: Header=BB327_606 Depth=1
	s_or_b64 exec, exec, s[14:15]
.LBB327_1036:                           ;   in Loop: Header=BB327_606 Depth=1
	s_or_b64 exec, exec, s[12:13]
	v_lshrrev_b16_e32 v19, 8, v9
	v_cmp_ne_u16_e32 vcc, 0, v19
	s_and_saveexec_b64 s[12:13], vcc
	s_cbranch_execz .LBB327_1042
; %bb.1037:                             ;   in Loop: Header=BB327_606 Depth=1
	v_cmp_ne_u16_e32 vcc, s24, v19
	v_bfrev_b32_e32 v25, 1
	s_and_saveexec_b64 s[14:15], vcc
	s_cbranch_execz .LBB327_1041
; %bb.1038:                             ;   in Loop: Header=BB327_606 Depth=1
	v_and_b32_e32 v26, 0x7f, v19
	v_cmp_ne_u32_e32 vcc, s25, v26
	v_mov_b32_e32 v25, 0x7f800001
	s_and_saveexec_b64 s[16:17], vcc
	s_cbranch_execz .LBB327_1040
; %bb.1039:                             ;   in Loop: Header=BB327_606 Depth=1
	v_and_b32_e32 v27, 7, v19
	v_ffbh_u32_e32 v25, v27
	v_min_u32_e32 v29, 32, v25
	v_subrev_u32_e32 v25, 28, v29
	v_lshrrev_b32_e32 v28, 3, v26
	v_cmp_gt_u32_e32 vcc, 8, v26
	v_lshlrev_b64 v[25:26], v25, v[19:20]
	v_sub_u32_e32 v19, 29, v29
	v_and_b32_e32 v25, 7, v25
	v_cndmask_b32_e32 v19, v28, v19, vcc
	v_cndmask_b32_e32 v25, v27, v25, vcc
	v_lshlrev_b32_e32 v9, 16, v9
	v_lshlrev_b32_e32 v25, 20, v25
	v_and_b32_e32 v9, 0x80000000, v9
	v_lshl_add_u32 v19, v19, 23, v40
	v_or3_b32 v25, v9, v19, v25
.LBB327_1040:                           ;   in Loop: Header=BB327_606 Depth=1
	s_or_b64 exec, exec, s[16:17]
.LBB327_1041:                           ;   in Loop: Header=BB327_606 Depth=1
	s_or_b64 exec, exec, s[14:15]
.LBB327_1042:                           ;   in Loop: Header=BB327_606 Depth=1
	s_or_b64 exec, exec, s[12:13]
	v_lshrrev_b32_e32 v9, 16, v18
	v_cmp_ne_u16_sdwa s[14:15], v9, v10 src0_sel:BYTE_0 src1_sel:DWORD
	v_mov_b32_e32 v19, 0
	v_mov_b32_e32 v26, 0
	s_and_saveexec_b64 s[12:13], s[14:15]
	s_cbranch_execz .LBB327_1048
; %bb.1043:                             ;   in Loop: Header=BB327_606 Depth=1
	v_cmp_ne_u16_sdwa s[16:17], v9, s24 src0_sel:BYTE_0 src1_sel:DWORD
	v_bfrev_b32_e32 v26, 1
	s_and_saveexec_b64 s[14:15], s[16:17]
	s_cbranch_execz .LBB327_1047
; %bb.1044:                             ;   in Loop: Header=BB327_606 Depth=1
	v_bfe_u32 v27, v18, 16, 7
	v_cmp_ne_u32_e32 vcc, s25, v27
	v_mov_b32_e32 v26, 0x7f800001
	s_and_saveexec_b64 s[16:17], vcc
	s_cbranch_execz .LBB327_1046
; %bb.1045:                             ;   in Loop: Header=BB327_606 Depth=1
	v_and_b32_e32 v28, 7, v9
	v_ffbh_u32_e32 v26, v28
	v_min_u32_e32 v30, 32, v26
	v_subrev_u32_e32 v26, 28, v30
	v_lshrrev_b32_e32 v29, 3, v27
	v_cmp_gt_u32_e32 vcc, 8, v27
	v_lshlrev_b64 v[26:27], v26, v[9:10]
	v_sub_u32_e32 v27, 29, v30
	v_and_b32_e32 v26, 7, v26
	v_cndmask_b32_e32 v27, v29, v27, vcc
	v_cndmask_b32_e32 v26, v28, v26, vcc
	v_lshlrev_b32_e32 v9, 24, v9
	v_lshlrev_b32_e32 v26, 20, v26
	v_and_b32_e32 v9, 0x80000000, v9
	v_lshl_add_u32 v27, v27, 23, v40
	v_or3_b32 v26, v9, v27, v26
.LBB327_1046:                           ;   in Loop: Header=BB327_606 Depth=1
	s_or_b64 exec, exec, s[16:17]
.LBB327_1047:                           ;   in Loop: Header=BB327_606 Depth=1
	s_or_b64 exec, exec, s[14:15]
.LBB327_1048:                           ;   in Loop: Header=BB327_606 Depth=1
	s_or_b64 exec, exec, s[12:13]
	v_cmp_lt_u64_e32 vcc, s[4:5], v[17:18]
	s_and_saveexec_b64 s[12:13], vcc
	s_cbranch_execz .LBB327_1054
; %bb.1049:                             ;   in Loop: Header=BB327_606 Depth=1
	v_lshrrev_b32_e32 v9, 24, v18
	v_cmp_ne_u32_e32 vcc, s24, v9
	v_bfrev_b32_e32 v19, 1
	s_and_saveexec_b64 s[14:15], vcc
	s_cbranch_execz .LBB327_1053
; %bb.1050:                             ;   in Loop: Header=BB327_606 Depth=1
	v_bfe_u32 v17, v18, 24, 7
	v_cmp_ne_u32_e32 vcc, s25, v17
	v_mov_b32_e32 v19, 0x7f800001
	s_and_saveexec_b64 s[16:17], vcc
	s_cbranch_execz .LBB327_1052
; %bb.1051:                             ;   in Loop: Header=BB327_606 Depth=1
	v_and_b32_e32 v19, 7, v9
	v_lshrrev_b32_e32 v27, 3, v17
	v_cmp_gt_u32_e32 vcc, 8, v17
	v_ffbh_u32_e32 v17, v19
	v_min_u32_e32 v28, 32, v17
	v_subrev_u32_e32 v17, 28, v28
	v_lshlrev_b64 v[17:18], v17, v[9:10]
	v_sub_u32_e32 v18, 29, v28
	v_and_b32_e32 v17, 7, v17
	v_cndmask_b32_e32 v18, v27, v18, vcc
	v_cndmask_b32_e32 v17, v19, v17, vcc
	v_lshlrev_b32_e32 v9, 24, v9
	v_lshlrev_b32_e32 v17, 20, v17
	v_and_b32_e32 v9, 0x80000000, v9
	v_lshl_add_u32 v18, v18, 23, v40
	v_or3_b32 v19, v9, v18, v17
.LBB327_1052:                           ;   in Loop: Header=BB327_606 Depth=1
	s_or_b64 exec, exec, s[16:17]
.LBB327_1053:                           ;   in Loop: Header=BB327_606 Depth=1
	s_or_b64 exec, exec, s[14:15]
.LBB327_1054:                           ;   in Loop: Header=BB327_606 Depth=1
	s_or_b64 exec, exec, s[12:13]
	v_mul_f32_e32 v9, s18, v25
	v_bfe_u32 v17, v9, 16, 1
	v_add3_u32 v17, v17, v9, s26
	v_or_b32_e32 v18, 0x400000, v9
	v_cmp_u_f32_e32 vcc, v9, v9
	v_cndmask_b32_e32 v9, v17, v18, vcc
	v_lshrrev_b32_e32 v9, 16, v9
	v_mul_f32_e32 v0, s18, v0
	buffer_store_dword v9, off, s[48:51], 0 offset:248 ; 4-byte Folded Spill
	v_bfe_u32 v9, v0, 16, 1
	v_add3_u32 v9, v9, v0, s26
	v_or_b32_e32 v17, 0x400000, v0
	v_cmp_u_f32_e32 vcc, v0, v0
	v_cndmask_b32_e32 v0, v9, v17, vcc
	v_mul_f32_e32 v9, s18, v24
	v_bfe_u32 v17, v9, 16, 1
	v_add3_u32 v17, v17, v9, s26
	v_or_b32_e32 v18, 0x400000, v9
	v_cmp_u_f32_e32 vcc, v9, v9
	v_cndmask_b32_e32 v9, v17, v18, vcc
	v_lshrrev_b32_e32 v51, 16, v9
	v_mul_f32_e32 v9, s18, v23
	v_bfe_u32 v17, v9, 16, 1
	v_add3_u32 v17, v17, v9, s26
	v_or_b32_e32 v18, 0x400000, v9
	v_cmp_u_f32_e32 vcc, v9, v9
	v_cndmask_b32_e32 v9, v17, v18, vcc
	v_lshrrev_b32_e32 v50, 16, v9
	;; [unrolled: 7-line block ×6, first 2 shown]
	v_lshrrev_b32_e32 v52, 16, v9
	buffer_store_dword v0, off, s[48:51], 0 offset:244 ; 4-byte Folded Spill
	s_and_saveexec_b64 s[12:13], s[0:1]
	s_cbranch_execz .LBB327_1056
; %bb.1055:                             ;   in Loop: Header=BB327_606 Depth=1
	v_add_u32_e32 v0, -7, v37
	v_cmp_gt_i32_e32 vcc, s30, v0
	v_add_u32_e32 v0, -6, v37
	v_cndmask_b32_e32 v53, 0, v53, vcc
	v_cmp_gt_i32_e32 vcc, s30, v0
	v_add_u32_e32 v0, -5, v37
	v_cndmask_b32_e32 v54, 0, v54, vcc
	;; [unrolled: 3-line block ×4, first 2 shown]
	v_cmp_gt_i32_e32 vcc, s30, v0
	buffer_load_dword v0, off, s[48:51], 0 offset:244 ; 4-byte Folded Reload
	s_waitcnt vmcnt(0)
	v_cndmask_b32_e32 v0, 0, v0, vcc
	buffer_store_dword v0, off, s[48:51], 0 offset:244 ; 4-byte Folded Spill
	v_add_u32_e32 v0, -2, v37
	v_cmp_gt_i32_e32 vcc, s30, v0
	buffer_load_dword v0, off, s[48:51], 0 offset:248 ; 4-byte Folded Reload
	s_waitcnt vmcnt(0)
	v_cndmask_b32_e32 v0, 0, v0, vcc
	buffer_store_dword v0, off, s[48:51], 0 offset:248 ; 4-byte Folded Spill
	v_add_u32_e32 v0, -1, v37
	v_cmp_gt_i32_e32 vcc, s30, v0
	v_cndmask_b32_e32 v49, 0, v49, vcc
	v_cmp_gt_i32_e32 vcc, s30, v37
	v_cndmask_b32_e32 v52, 0, v52, vcc
.LBB327_1056:                           ;   in Loop: Header=BB327_606 Depth=1
	s_or_b64 exec, exec, s[12:13]
	v_add_co_u32_e32 v17, vcc, 0x1000, v15
	v_addc_co_u32_e32 v18, vcc, 0, v16, vcc
	global_load_dwordx2 v[17:18], v[17:18], off offset:512
	v_mov_b32_e32 v24, 0
	v_mov_b32_e32 v23, 0
	s_waitcnt vmcnt(0)
	v_cmp_ne_u16_sdwa s[14:15], v17, v10 src0_sel:BYTE_0 src1_sel:DWORD
	s_and_saveexec_b64 s[12:13], s[14:15]
	s_cbranch_execz .LBB327_1062
; %bb.1057:                             ;   in Loop: Header=BB327_606 Depth=1
	v_cmp_ne_u16_sdwa s[16:17], v17, s24 src0_sel:BYTE_0 src1_sel:DWORD
	v_bfrev_b32_e32 v23, 1
	s_and_saveexec_b64 s[14:15], s[16:17]
	s_cbranch_execz .LBB327_1061
; %bb.1058:                             ;   in Loop: Header=BB327_606 Depth=1
	v_and_b32_e32 v9, 0x7f, v17
	v_cmp_ne_u32_e32 vcc, s25, v9
	v_mov_b32_e32 v23, 0x7f800001
	s_and_saveexec_b64 s[16:17], vcc
	s_cbranch_execz .LBB327_1060
; %bb.1059:                             ;   in Loop: Header=BB327_606 Depth=1
	v_and_b32_e32 v19, 7, v17
	v_lshrrev_b32_e32 v21, 3, v9
	v_cmp_gt_u32_e32 vcc, 8, v9
	v_ffbh_u32_e32 v9, v19
	v_min_u32_e32 v9, 32, v9
	v_subrev_u32_e32 v19, 28, v9
	v_sub_u32_e32 v9, 29, v9
	v_cndmask_b32_e32 v19, 0, v19, vcc
	v_cndmask_b32_e32 v9, v21, v9, vcc
	v_lshlrev_b64 v[21:22], v19, v[17:18]
	v_lshl_add_u32 v9, v9, 23, v40
	v_lshlrev_b32_e32 v19, 20, v21
	v_lshlrev_b32_e32 v21, 24, v17
	v_and_b32_e32 v19, 0x700000, v19
	v_and_b32_e32 v21, 0x80000000, v21
	v_or3_b32 v23, v21, v9, v19
.LBB327_1060:                           ;   in Loop: Header=BB327_606 Depth=1
	s_or_b64 exec, exec, s[16:17]
.LBB327_1061:                           ;   in Loop: Header=BB327_606 Depth=1
	s_or_b64 exec, exec, s[14:15]
.LBB327_1062:                           ;   in Loop: Header=BB327_606 Depth=1
	s_or_b64 exec, exec, s[12:13]
	v_lshrrev_b16_e32 v9, 8, v17
	v_cmp_ne_u16_e32 vcc, 0, v9
	s_and_saveexec_b64 s[12:13], vcc
	s_cbranch_execz .LBB327_1068
; %bb.1063:                             ;   in Loop: Header=BB327_606 Depth=1
	v_cmp_ne_u16_e32 vcc, s24, v9
	v_bfrev_b32_e32 v24, 1
	s_and_saveexec_b64 s[14:15], vcc
	s_cbranch_execz .LBB327_1067
; %bb.1064:                             ;   in Loop: Header=BB327_606 Depth=1
	v_and_b32_e32 v19, 0x7f, v9
	v_cmp_ne_u32_e32 vcc, s25, v19
	v_mov_b32_e32 v24, 0x7f800001
	s_and_saveexec_b64 s[16:17], vcc
	s_cbranch_execz .LBB327_1066
; %bb.1065:                             ;   in Loop: Header=BB327_606 Depth=1
	v_and_b32_e32 v24, 7, v9
	v_lshrrev_b32_e32 v25, 3, v19
	v_cmp_gt_u32_e32 vcc, 8, v19
	v_ffbh_u32_e32 v19, v24
	v_min_u32_e32 v19, 32, v19
	v_subrev_u32_e32 v21, 28, v19
	v_lshlrev_b64 v[21:22], v21, v[9:10]
	v_sub_u32_e32 v9, 29, v19
	v_and_b32_e32 v19, 7, v21
	v_cndmask_b32_e32 v9, v25, v9, vcc
	v_cndmask_b32_e32 v19, v24, v19, vcc
	v_lshlrev_b32_e32 v21, 16, v17
	v_lshlrev_b32_e32 v19, 20, v19
	v_and_b32_e32 v21, 0x80000000, v21
	v_lshl_add_u32 v9, v9, 23, v40
	v_or3_b32 v24, v21, v9, v19
.LBB327_1066:                           ;   in Loop: Header=BB327_606 Depth=1
	s_or_b64 exec, exec, s[16:17]
.LBB327_1067:                           ;   in Loop: Header=BB327_606 Depth=1
	s_or_b64 exec, exec, s[14:15]
.LBB327_1068:                           ;   in Loop: Header=BB327_606 Depth=1
	s_or_b64 exec, exec, s[12:13]
	v_lshrrev_b32_e32 v9, 16, v17
	v_cmp_ne_u16_sdwa s[14:15], v9, v10 src0_sel:BYTE_0 src1_sel:DWORD
	v_mov_b32_e32 v22, 0
	v_mov_b32_e32 v21, 0
	s_and_saveexec_b64 s[12:13], s[14:15]
	s_cbranch_execz .LBB327_1074
; %bb.1069:                             ;   in Loop: Header=BB327_606 Depth=1
	v_cmp_ne_u16_sdwa s[16:17], v9, s24 src0_sel:BYTE_0 src1_sel:DWORD
	v_bfrev_b32_e32 v21, 1
	s_and_saveexec_b64 s[14:15], s[16:17]
	s_cbranch_execz .LBB327_1073
; %bb.1070:                             ;   in Loop: Header=BB327_606 Depth=1
	v_bfe_u32 v19, v17, 16, 7
	v_cmp_ne_u32_e32 vcc, s25, v19
	v_mov_b32_e32 v21, 0x7f800001
	s_and_saveexec_b64 s[16:17], vcc
	s_cbranch_execz .LBB327_1072
; %bb.1071:                             ;   in Loop: Header=BB327_606 Depth=1
	v_and_b32_e32 v21, 7, v9
	v_lshrrev_b32_e32 v27, 3, v19
	v_cmp_gt_u32_e32 vcc, 8, v19
	v_ffbh_u32_e32 v19, v21
	v_min_u32_e32 v19, 32, v19
	v_subrev_u32_e32 v25, 28, v19
	v_lshlrev_b64 v[25:26], v25, v[9:10]
	v_sub_u32_e32 v19, 29, v19
	v_and_b32_e32 v25, 7, v25
	v_cndmask_b32_e32 v19, v27, v19, vcc
	v_cndmask_b32_e32 v21, v21, v25, vcc
	v_lshlrev_b32_e32 v9, 24, v9
	v_lshlrev_b32_e32 v21, 20, v21
	v_and_b32_e32 v9, 0x80000000, v9
	v_lshl_add_u32 v19, v19, 23, v40
	v_or3_b32 v21, v9, v19, v21
.LBB327_1072:                           ;   in Loop: Header=BB327_606 Depth=1
	s_or_b64 exec, exec, s[16:17]
.LBB327_1073:                           ;   in Loop: Header=BB327_606 Depth=1
	s_or_b64 exec, exec, s[14:15]
.LBB327_1074:                           ;   in Loop: Header=BB327_606 Depth=1
	s_or_b64 exec, exec, s[12:13]
	v_cmp_lt_u32_e32 vcc, s5, v17
	s_and_saveexec_b64 s[12:13], vcc
	s_cbranch_execz .LBB327_1080
; %bb.1075:                             ;   in Loop: Header=BB327_606 Depth=1
	v_lshrrev_b32_e32 v9, 24, v17
	v_cmp_ne_u32_e32 vcc, s24, v9
	v_bfrev_b32_e32 v22, 1
	s_and_saveexec_b64 s[14:15], vcc
	s_cbranch_execz .LBB327_1079
; %bb.1076:                             ;   in Loop: Header=BB327_606 Depth=1
	v_bfe_u32 v19, v17, 24, 7
	v_cmp_ne_u32_e32 vcc, s25, v19
	v_mov_b32_e32 v22, 0x7f800001
	s_and_saveexec_b64 s[16:17], vcc
	s_cbranch_execz .LBB327_1078
; %bb.1077:                             ;   in Loop: Header=BB327_606 Depth=1
	v_and_b32_e32 v22, 7, v9
	v_lshrrev_b32_e32 v27, 3, v19
	v_cmp_gt_u32_e32 vcc, 8, v19
	v_ffbh_u32_e32 v19, v22
	v_min_u32_e32 v19, 32, v19
	v_subrev_u32_e32 v25, 28, v19
	v_lshlrev_b64 v[25:26], v25, v[9:10]
	v_sub_u32_e32 v19, 29, v19
	v_and_b32_e32 v25, 7, v25
	v_cndmask_b32_e32 v19, v27, v19, vcc
	v_cndmask_b32_e32 v22, v22, v25, vcc
	v_lshlrev_b32_e32 v9, 24, v9
	v_lshlrev_b32_e32 v22, 20, v22
	v_and_b32_e32 v9, 0x80000000, v9
	v_lshl_add_u32 v19, v19, 23, v40
	v_or3_b32 v22, v9, v19, v22
.LBB327_1078:                           ;   in Loop: Header=BB327_606 Depth=1
	s_or_b64 exec, exec, s[16:17]
.LBB327_1079:                           ;   in Loop: Header=BB327_606 Depth=1
	s_or_b64 exec, exec, s[14:15]
.LBB327_1080:                           ;   in Loop: Header=BB327_606 Depth=1
	s_or_b64 exec, exec, s[12:13]
	v_mov_b32_e32 v9, v18
	v_cmp_ne_u16_sdwa s[14:15], v18, v10 src0_sel:BYTE_0 src1_sel:DWORD
	v_mov_b32_e32 v26, 0
	v_mov_b32_e32 v25, 0
	s_and_saveexec_b64 s[12:13], s[14:15]
	s_cbranch_execz .LBB327_1086
; %bb.1081:                             ;   in Loop: Header=BB327_606 Depth=1
	v_cmp_ne_u16_sdwa s[16:17], v18, s24 src0_sel:BYTE_0 src1_sel:DWORD
	v_bfrev_b32_e32 v25, 1
	s_and_saveexec_b64 s[14:15], s[16:17]
	s_cbranch_execz .LBB327_1085
; %bb.1082:                             ;   in Loop: Header=BB327_606 Depth=1
	v_and_b32_e32 v19, 0x7f, v18
	v_cmp_ne_u32_e32 vcc, s25, v19
	v_mov_b32_e32 v25, 0x7f800001
	s_and_saveexec_b64 s[16:17], vcc
	s_cbranch_execz .LBB327_1084
; %bb.1083:                             ;   in Loop: Header=BB327_606 Depth=1
	v_and_b32_e32 v25, 7, v18
	v_lshrrev_b32_e32 v27, 3, v19
	v_cmp_gt_u32_e32 vcc, 8, v19
	v_ffbh_u32_e32 v19, v25
	v_min_u32_e32 v19, 32, v19
	v_subrev_u32_e32 v25, 28, v19
	v_sub_u32_e32 v19, 29, v19
	v_cndmask_b32_e32 v25, 0, v25, vcc
	v_cndmask_b32_e32 v19, v27, v19, vcc
	v_lshlrev_b64 v[27:28], v25, v[9:10]
	v_lshl_add_u32 v19, v19, 23, v40
	v_lshlrev_b32_e32 v25, 20, v27
	v_lshlrev_b32_e32 v27, 24, v9
	v_and_b32_e32 v25, 0x700000, v25
	v_and_b32_e32 v27, 0x80000000, v27
	v_or3_b32 v25, v27, v19, v25
.LBB327_1084:                           ;   in Loop: Header=BB327_606 Depth=1
	s_or_b64 exec, exec, s[16:17]
.LBB327_1085:                           ;   in Loop: Header=BB327_606 Depth=1
	s_or_b64 exec, exec, s[14:15]
.LBB327_1086:                           ;   in Loop: Header=BB327_606 Depth=1
	s_or_b64 exec, exec, s[12:13]
	v_lshrrev_b16_e32 v19, 8, v9
	v_cmp_ne_u16_e32 vcc, 0, v19
	s_and_saveexec_b64 s[12:13], vcc
	s_cbranch_execz .LBB327_1092
; %bb.1087:                             ;   in Loop: Header=BB327_606 Depth=1
	v_cmp_ne_u16_e32 vcc, s24, v19
	v_bfrev_b32_e32 v26, 1
	s_and_saveexec_b64 s[14:15], vcc
	s_cbranch_execz .LBB327_1091
; %bb.1088:                             ;   in Loop: Header=BB327_606 Depth=1
	v_and_b32_e32 v27, 0x7f, v19
	v_cmp_ne_u32_e32 vcc, s25, v27
	v_mov_b32_e32 v26, 0x7f800001
	s_and_saveexec_b64 s[16:17], vcc
	s_cbranch_execz .LBB327_1090
; %bb.1089:                             ;   in Loop: Header=BB327_606 Depth=1
	v_and_b32_e32 v28, 7, v19
	v_ffbh_u32_e32 v26, v28
	v_min_u32_e32 v30, 32, v26
	v_subrev_u32_e32 v26, 28, v30
	v_lshrrev_b32_e32 v29, 3, v27
	v_cmp_gt_u32_e32 vcc, 8, v27
	v_lshlrev_b64 v[26:27], v26, v[19:20]
	v_sub_u32_e32 v19, 29, v30
	v_and_b32_e32 v26, 7, v26
	v_cndmask_b32_e32 v19, v29, v19, vcc
	v_cndmask_b32_e32 v26, v28, v26, vcc
	v_lshlrev_b32_e32 v9, 16, v9
	v_lshlrev_b32_e32 v26, 20, v26
	v_and_b32_e32 v9, 0x80000000, v9
	v_lshl_add_u32 v19, v19, 23, v40
	v_or3_b32 v26, v9, v19, v26
.LBB327_1090:                           ;   in Loop: Header=BB327_606 Depth=1
	s_or_b64 exec, exec, s[16:17]
.LBB327_1091:                           ;   in Loop: Header=BB327_606 Depth=1
	s_or_b64 exec, exec, s[14:15]
.LBB327_1092:                           ;   in Loop: Header=BB327_606 Depth=1
	s_or_b64 exec, exec, s[12:13]
	v_lshrrev_b32_e32 v9, 16, v18
	v_cmp_ne_u16_sdwa s[14:15], v9, v10 src0_sel:BYTE_0 src1_sel:DWORD
	v_mov_b32_e32 v19, 0
	v_mov_b32_e32 v27, 0
	s_and_saveexec_b64 s[12:13], s[14:15]
	s_cbranch_execz .LBB327_1098
; %bb.1093:                             ;   in Loop: Header=BB327_606 Depth=1
	v_cmp_ne_u16_sdwa s[16:17], v9, s24 src0_sel:BYTE_0 src1_sel:DWORD
	v_bfrev_b32_e32 v27, 1
	s_and_saveexec_b64 s[14:15], s[16:17]
	s_cbranch_execz .LBB327_1097
; %bb.1094:                             ;   in Loop: Header=BB327_606 Depth=1
	v_bfe_u32 v28, v18, 16, 7
	v_cmp_ne_u32_e32 vcc, s25, v28
	v_mov_b32_e32 v27, 0x7f800001
	s_and_saveexec_b64 s[16:17], vcc
	s_cbranch_execz .LBB327_1096
; %bb.1095:                             ;   in Loop: Header=BB327_606 Depth=1
	v_and_b32_e32 v29, 7, v9
	v_ffbh_u32_e32 v27, v29
	v_min_u32_e32 v31, 32, v27
	v_subrev_u32_e32 v27, 28, v31
	v_lshrrev_b32_e32 v30, 3, v28
	v_cmp_gt_u32_e32 vcc, 8, v28
	v_lshlrev_b64 v[27:28], v27, v[9:10]
	v_sub_u32_e32 v28, 29, v31
	v_and_b32_e32 v27, 7, v27
	v_cndmask_b32_e32 v28, v30, v28, vcc
	v_cndmask_b32_e32 v27, v29, v27, vcc
	v_lshlrev_b32_e32 v9, 24, v9
	v_lshlrev_b32_e32 v27, 20, v27
	v_and_b32_e32 v9, 0x80000000, v9
	v_lshl_add_u32 v28, v28, 23, v40
	v_or3_b32 v27, v9, v28, v27
.LBB327_1096:                           ;   in Loop: Header=BB327_606 Depth=1
	s_or_b64 exec, exec, s[16:17]
.LBB327_1097:                           ;   in Loop: Header=BB327_606 Depth=1
	s_or_b64 exec, exec, s[14:15]
.LBB327_1098:                           ;   in Loop: Header=BB327_606 Depth=1
	s_or_b64 exec, exec, s[12:13]
	v_cmp_lt_u64_e32 vcc, s[4:5], v[17:18]
	s_and_saveexec_b64 s[12:13], vcc
	s_cbranch_execz .LBB327_1104
; %bb.1099:                             ;   in Loop: Header=BB327_606 Depth=1
	v_lshrrev_b32_e32 v9, 24, v18
	v_cmp_ne_u32_e32 vcc, s24, v9
	v_bfrev_b32_e32 v19, 1
	s_and_saveexec_b64 s[14:15], vcc
	s_cbranch_execz .LBB327_1103
; %bb.1100:                             ;   in Loop: Header=BB327_606 Depth=1
	v_bfe_u32 v17, v18, 24, 7
	v_cmp_ne_u32_e32 vcc, s25, v17
	v_mov_b32_e32 v19, 0x7f800001
	s_and_saveexec_b64 s[16:17], vcc
	s_cbranch_execz .LBB327_1102
; %bb.1101:                             ;   in Loop: Header=BB327_606 Depth=1
	v_and_b32_e32 v19, 7, v9
	v_lshrrev_b32_e32 v28, 3, v17
	v_cmp_gt_u32_e32 vcc, 8, v17
	v_ffbh_u32_e32 v17, v19
	v_min_u32_e32 v29, 32, v17
	v_subrev_u32_e32 v17, 28, v29
	v_lshlrev_b64 v[17:18], v17, v[9:10]
	v_sub_u32_e32 v18, 29, v29
	v_and_b32_e32 v17, 7, v17
	v_cndmask_b32_e32 v18, v28, v18, vcc
	v_cndmask_b32_e32 v17, v19, v17, vcc
	v_lshlrev_b32_e32 v9, 24, v9
	v_lshlrev_b32_e32 v17, 20, v17
	v_and_b32_e32 v9, 0x80000000, v9
	v_lshl_add_u32 v18, v18, 23, v40
	v_or3_b32 v19, v9, v18, v17
.LBB327_1102:                           ;   in Loop: Header=BB327_606 Depth=1
	s_or_b64 exec, exec, s[16:17]
.LBB327_1103:                           ;   in Loop: Header=BB327_606 Depth=1
	s_or_b64 exec, exec, s[14:15]
.LBB327_1104:                           ;   in Loop: Header=BB327_606 Depth=1
	s_or_b64 exec, exec, s[12:13]
	v_mul_f32_e32 v9, s18, v26
	v_bfe_u32 v17, v9, 16, 1
	v_add3_u32 v17, v17, v9, s26
	v_or_b32_e32 v18, 0x400000, v9
	v_cmp_u_f32_e32 vcc, v9, v9
	v_cndmask_b32_e32 v9, v17, v18, vcc
	v_lshrrev_b32_e32 v63, 16, v9
	v_mul_f32_e32 v9, s18, v25
	v_bfe_u32 v17, v9, 16, 1
	v_add3_u32 v17, v17, v9, s26
	v_or_b32_e32 v18, 0x400000, v9
	v_cmp_u_f32_e32 vcc, v9, v9
	v_cndmask_b32_e32 v9, v17, v18, vcc
	v_lshrrev_b32_e32 v62, 16, v9
	;; [unrolled: 7-line block ×8, first 2 shown]
	s_and_saveexec_b64 s[12:13], s[0:1]
	s_cbranch_execz .LBB327_1106
; %bb.1105:                             ;   in Loop: Header=BB327_606 Depth=1
	v_add_u32_e32 v0, -7, v37
	v_cmp_gt_i32_e32 vcc, s30, v0
	v_add_u32_e32 v0, -6, v37
	v_cndmask_b32_e32 v55, 0, v55, vcc
	v_cmp_gt_i32_e32 vcc, s30, v0
	v_add_u32_e32 v0, -5, v37
	v_cndmask_b32_e32 v56, 0, v56, vcc
	v_cmp_gt_i32_e32 vcc, s30, v0
	v_add_u32_e32 v0, -4, v37
	v_cndmask_b32_e32 v21, 0, v21, vcc
	v_cmp_gt_i32_e32 vcc, s30, v0
	v_add_u32_e32 v0, -3, v37
	v_cndmask_b32_e32 v22, 0, v22, vcc
	v_cmp_gt_i32_e32 vcc, s30, v0
	v_add_u32_e32 v0, -2, v37
	v_cndmask_b32_e32 v62, 0, v62, vcc
	v_cmp_gt_i32_e32 vcc, s30, v0
	v_add_u32_e32 v0, -1, v37
	v_cndmask_b32_e32 v63, 0, v63, vcc
	v_cmp_gt_i32_e32 vcc, s30, v0
	v_cndmask_b32_e32 v24, 0, v24, vcc
	v_cmp_gt_i32_e32 vcc, s30, v37
	v_cndmask_b32_e32 v23, 0, v23, vcc
.LBB327_1106:                           ;   in Loop: Header=BB327_606 Depth=1
	s_or_b64 exec, exec, s[12:13]
	v_add_co_u32_e32 v17, vcc, 0x1000, v15
	v_addc_co_u32_e32 v18, vcc, 0, v16, vcc
	global_load_dwordx2 v[17:18], v[17:18], off offset:1024
	v_mov_b32_e32 v28, 0
	v_mov_b32_e32 v25, 0
	s_waitcnt vmcnt(0)
	v_cmp_ne_u16_sdwa s[14:15], v17, v10 src0_sel:BYTE_0 src1_sel:DWORD
	s_and_saveexec_b64 s[12:13], s[14:15]
	s_cbranch_execz .LBB327_1112
; %bb.1107:                             ;   in Loop: Header=BB327_606 Depth=1
	v_cmp_ne_u16_sdwa s[16:17], v17, s24 src0_sel:BYTE_0 src1_sel:DWORD
	v_bfrev_b32_e32 v25, 1
	s_and_saveexec_b64 s[14:15], s[16:17]
	s_cbranch_execz .LBB327_1111
; %bb.1108:                             ;   in Loop: Header=BB327_606 Depth=1
	v_and_b32_e32 v9, 0x7f, v17
	v_cmp_ne_u32_e32 vcc, s25, v9
	v_mov_b32_e32 v25, 0x7f800001
	s_and_saveexec_b64 s[16:17], vcc
	s_cbranch_execz .LBB327_1110
; %bb.1109:                             ;   in Loop: Header=BB327_606 Depth=1
	v_and_b32_e32 v19, 7, v17
	v_lshrrev_b32_e32 v25, 3, v9
	v_cmp_gt_u32_e32 vcc, 8, v9
	v_ffbh_u32_e32 v9, v19
	v_min_u32_e32 v9, 32, v9
	v_subrev_u32_e32 v19, 28, v9
	v_sub_u32_e32 v9, 29, v9
	v_cndmask_b32_e32 v19, 0, v19, vcc
	v_cndmask_b32_e32 v9, v25, v9, vcc
	v_lshlrev_b64 v[25:26], v19, v[17:18]
	v_lshl_add_u32 v9, v9, 23, v40
	v_lshlrev_b32_e32 v19, 20, v25
	v_lshlrev_b32_e32 v25, 24, v17
	v_and_b32_e32 v19, 0x700000, v19
	v_and_b32_e32 v25, 0x80000000, v25
	v_or3_b32 v25, v25, v9, v19
.LBB327_1110:                           ;   in Loop: Header=BB327_606 Depth=1
	s_or_b64 exec, exec, s[16:17]
.LBB327_1111:                           ;   in Loop: Header=BB327_606 Depth=1
	s_or_b64 exec, exec, s[14:15]
.LBB327_1112:                           ;   in Loop: Header=BB327_606 Depth=1
	s_or_b64 exec, exec, s[12:13]
	v_lshrrev_b16_e32 v9, 8, v17
	v_cmp_ne_u16_e32 vcc, 0, v9
	s_and_saveexec_b64 s[12:13], vcc
	s_cbranch_execz .LBB327_1118
; %bb.1113:                             ;   in Loop: Header=BB327_606 Depth=1
	v_cmp_ne_u16_e32 vcc, s24, v9
	v_bfrev_b32_e32 v28, 1
	s_and_saveexec_b64 s[14:15], vcc
	s_cbranch_execz .LBB327_1117
; %bb.1114:                             ;   in Loop: Header=BB327_606 Depth=1
	v_and_b32_e32 v19, 0x7f, v9
	v_cmp_ne_u32_e32 vcc, s25, v19
	v_mov_b32_e32 v28, 0x7f800001
	s_and_saveexec_b64 s[16:17], vcc
	s_cbranch_execz .LBB327_1116
; %bb.1115:                             ;   in Loop: Header=BB327_606 Depth=1
	v_and_b32_e32 v28, 7, v9
	v_lshrrev_b32_e32 v29, 3, v19
	v_cmp_gt_u32_e32 vcc, 8, v19
	v_ffbh_u32_e32 v19, v28
	v_min_u32_e32 v19, 32, v19
	v_subrev_u32_e32 v26, 28, v19
	v_lshlrev_b64 v[26:27], v26, v[9:10]
	v_sub_u32_e32 v9, 29, v19
	v_and_b32_e32 v19, 7, v26
	v_cndmask_b32_e32 v9, v29, v9, vcc
	v_cndmask_b32_e32 v19, v28, v19, vcc
	v_lshlrev_b32_e32 v26, 16, v17
	v_lshlrev_b32_e32 v19, 20, v19
	v_and_b32_e32 v26, 0x80000000, v26
	v_lshl_add_u32 v9, v9, 23, v40
	v_or3_b32 v28, v26, v9, v19
.LBB327_1116:                           ;   in Loop: Header=BB327_606 Depth=1
	s_or_b64 exec, exec, s[16:17]
.LBB327_1117:                           ;   in Loop: Header=BB327_606 Depth=1
	s_or_b64 exec, exec, s[14:15]
.LBB327_1118:                           ;   in Loop: Header=BB327_606 Depth=1
	s_or_b64 exec, exec, s[12:13]
	v_lshrrev_b32_e32 v9, 16, v17
	v_cmp_ne_u16_sdwa s[14:15], v9, v10 src0_sel:BYTE_0 src1_sel:DWORD
	v_mov_b32_e32 v30, 0
	v_mov_b32_e32 v29, 0
	s_and_saveexec_b64 s[12:13], s[14:15]
	s_cbranch_execz .LBB327_1124
; %bb.1119:                             ;   in Loop: Header=BB327_606 Depth=1
	v_cmp_ne_u16_sdwa s[16:17], v9, s24 src0_sel:BYTE_0 src1_sel:DWORD
	v_bfrev_b32_e32 v29, 1
	s_and_saveexec_b64 s[14:15], s[16:17]
	s_cbranch_execz .LBB327_1123
; %bb.1120:                             ;   in Loop: Header=BB327_606 Depth=1
	v_bfe_u32 v19, v17, 16, 7
	v_cmp_ne_u32_e32 vcc, s25, v19
	v_mov_b32_e32 v29, 0x7f800001
	s_and_saveexec_b64 s[16:17], vcc
	s_cbranch_execz .LBB327_1122
; %bb.1121:                             ;   in Loop: Header=BB327_606 Depth=1
	v_and_b32_e32 v29, 7, v9
	v_lshrrev_b32_e32 v31, 3, v19
	v_cmp_gt_u32_e32 vcc, 8, v19
	v_ffbh_u32_e32 v19, v29
	v_min_u32_e32 v19, 32, v19
	v_subrev_u32_e32 v26, 28, v19
	v_lshlrev_b64 v[26:27], v26, v[9:10]
	v_sub_u32_e32 v19, 29, v19
	v_and_b32_e32 v26, 7, v26
	v_cndmask_b32_e32 v19, v31, v19, vcc
	v_cndmask_b32_e32 v26, v29, v26, vcc
	v_lshlrev_b32_e32 v9, 24, v9
	v_lshlrev_b32_e32 v26, 20, v26
	v_and_b32_e32 v9, 0x80000000, v9
	v_lshl_add_u32 v19, v19, 23, v40
	v_or3_b32 v29, v9, v19, v26
.LBB327_1122:                           ;   in Loop: Header=BB327_606 Depth=1
	s_or_b64 exec, exec, s[16:17]
.LBB327_1123:                           ;   in Loop: Header=BB327_606 Depth=1
	s_or_b64 exec, exec, s[14:15]
.LBB327_1124:                           ;   in Loop: Header=BB327_606 Depth=1
	s_or_b64 exec, exec, s[12:13]
	v_cmp_lt_u32_e32 vcc, s5, v17
	s_and_saveexec_b64 s[12:13], vcc
	s_cbranch_execz .LBB327_1130
; %bb.1125:                             ;   in Loop: Header=BB327_606 Depth=1
	v_lshrrev_b32_e32 v9, 24, v17
	v_cmp_ne_u32_e32 vcc, s24, v9
	v_bfrev_b32_e32 v30, 1
	s_and_saveexec_b64 s[14:15], vcc
	s_cbranch_execz .LBB327_1129
; %bb.1126:                             ;   in Loop: Header=BB327_606 Depth=1
	v_bfe_u32 v19, v17, 24, 7
	v_cmp_ne_u32_e32 vcc, s25, v19
	v_mov_b32_e32 v30, 0x7f800001
	s_and_saveexec_b64 s[16:17], vcc
	s_cbranch_execz .LBB327_1128
; %bb.1127:                             ;   in Loop: Header=BB327_606 Depth=1
	v_and_b32_e32 v30, 7, v9
	v_lshrrev_b32_e32 v31, 3, v19
	v_cmp_gt_u32_e32 vcc, 8, v19
	v_ffbh_u32_e32 v19, v30
	v_min_u32_e32 v19, 32, v19
	v_subrev_u32_e32 v26, 28, v19
	v_lshlrev_b64 v[26:27], v26, v[9:10]
	v_sub_u32_e32 v19, 29, v19
	v_and_b32_e32 v26, 7, v26
	v_cndmask_b32_e32 v19, v31, v19, vcc
	v_cndmask_b32_e32 v26, v30, v26, vcc
	v_lshlrev_b32_e32 v9, 24, v9
	v_lshlrev_b32_e32 v26, 20, v26
	v_and_b32_e32 v9, 0x80000000, v9
	v_lshl_add_u32 v19, v19, 23, v40
	v_or3_b32 v30, v9, v19, v26
.LBB327_1128:                           ;   in Loop: Header=BB327_606 Depth=1
	s_or_b64 exec, exec, s[16:17]
.LBB327_1129:                           ;   in Loop: Header=BB327_606 Depth=1
	s_or_b64 exec, exec, s[14:15]
.LBB327_1130:                           ;   in Loop: Header=BB327_606 Depth=1
	s_or_b64 exec, exec, s[12:13]
	v_mov_b32_e32 v9, v18
	v_cmp_ne_u16_sdwa s[14:15], v18, v10 src0_sel:BYTE_0 src1_sel:DWORD
	v_mov_b32_e32 v27, 0
	v_mov_b32_e32 v26, 0
	s_and_saveexec_b64 s[12:13], s[14:15]
	s_cbranch_execz .LBB327_1136
; %bb.1131:                             ;   in Loop: Header=BB327_606 Depth=1
	v_cmp_ne_u16_sdwa s[16:17], v18, s24 src0_sel:BYTE_0 src1_sel:DWORD
	v_bfrev_b32_e32 v26, 1
	s_and_saveexec_b64 s[14:15], s[16:17]
	s_cbranch_execz .LBB327_1135
; %bb.1132:                             ;   in Loop: Header=BB327_606 Depth=1
	v_and_b32_e32 v19, 0x7f, v18
	v_cmp_ne_u32_e32 vcc, s25, v19
	v_mov_b32_e32 v26, 0x7f800001
	s_and_saveexec_b64 s[16:17], vcc
	s_cbranch_execz .LBB327_1134
; %bb.1133:                             ;   in Loop: Header=BB327_606 Depth=1
	v_and_b32_e32 v26, 7, v18
	v_lshrrev_b32_e32 v31, 3, v19
	v_cmp_gt_u32_e32 vcc, 8, v19
	v_ffbh_u32_e32 v19, v26
	v_min_u32_e32 v19, 32, v19
	v_subrev_u32_e32 v26, 28, v19
	v_sub_u32_e32 v19, 29, v19
	v_cndmask_b32_e32 v26, 0, v26, vcc
	v_cndmask_b32_e32 v19, v31, v19, vcc
	v_lshlrev_b64 v[31:32], v26, v[9:10]
	v_lshl_add_u32 v19, v19, 23, v40
	v_lshlrev_b32_e32 v26, 20, v31
	v_lshlrev_b32_e32 v31, 24, v9
	v_and_b32_e32 v26, 0x700000, v26
	v_and_b32_e32 v31, 0x80000000, v31
	v_or3_b32 v26, v31, v19, v26
.LBB327_1134:                           ;   in Loop: Header=BB327_606 Depth=1
	s_or_b64 exec, exec, s[16:17]
.LBB327_1135:                           ;   in Loop: Header=BB327_606 Depth=1
	s_or_b64 exec, exec, s[14:15]
.LBB327_1136:                           ;   in Loop: Header=BB327_606 Depth=1
	s_or_b64 exec, exec, s[12:13]
	v_lshrrev_b16_e32 v19, 8, v9
	v_cmp_ne_u16_e32 vcc, 0, v19
	s_and_saveexec_b64 s[12:13], vcc
	s_cbranch_execz .LBB327_1142
; %bb.1137:                             ;   in Loop: Header=BB327_606 Depth=1
	v_cmp_ne_u16_e32 vcc, s24, v19
	v_bfrev_b32_e32 v27, 1
	s_and_saveexec_b64 s[14:15], vcc
	s_cbranch_execz .LBB327_1141
; %bb.1138:                             ;   in Loop: Header=BB327_606 Depth=1
	v_and_b32_e32 v31, 0x7f, v19
	v_cmp_ne_u32_e32 vcc, s25, v31
	v_mov_b32_e32 v27, 0x7f800001
	s_and_saveexec_b64 s[16:17], vcc
	s_cbranch_execz .LBB327_1140
; %bb.1139:                             ;   in Loop: Header=BB327_606 Depth=1
	v_and_b32_e32 v27, 7, v19
	v_lshrrev_b32_e32 v33, 3, v31
	v_cmp_gt_u32_e32 vcc, 8, v31
	v_ffbh_u32_e32 v31, v27
	v_min_u32_e32 v34, 32, v31
	v_subrev_u32_e32 v31, 28, v34
	v_lshlrev_b64 v[31:32], v31, v[19:20]
	v_sub_u32_e32 v19, 29, v34
	v_and_b32_e32 v31, 7, v31
	v_cndmask_b32_e32 v19, v33, v19, vcc
	v_cndmask_b32_e32 v27, v27, v31, vcc
	v_lshlrev_b32_e32 v9, 16, v9
	v_lshlrev_b32_e32 v27, 20, v27
	v_and_b32_e32 v9, 0x80000000, v9
	v_lshl_add_u32 v19, v19, 23, v40
	v_or3_b32 v27, v9, v19, v27
.LBB327_1140:                           ;   in Loop: Header=BB327_606 Depth=1
	s_or_b64 exec, exec, s[16:17]
.LBB327_1141:                           ;   in Loop: Header=BB327_606 Depth=1
	s_or_b64 exec, exec, s[14:15]
.LBB327_1142:                           ;   in Loop: Header=BB327_606 Depth=1
	s_or_b64 exec, exec, s[12:13]
	v_lshrrev_b32_e32 v9, 16, v18
	v_cmp_ne_u16_sdwa s[14:15], v9, v10 src0_sel:BYTE_0 src1_sel:DWORD
	v_mov_b32_e32 v19, 0
	v_mov_b32_e32 v34, 0
	s_and_saveexec_b64 s[12:13], s[14:15]
	s_cbranch_execz .LBB327_1148
; %bb.1143:                             ;   in Loop: Header=BB327_606 Depth=1
	v_cmp_ne_u16_sdwa s[16:17], v9, s24 src0_sel:BYTE_0 src1_sel:DWORD
	v_bfrev_b32_e32 v34, 1
	s_and_saveexec_b64 s[14:15], s[16:17]
	s_cbranch_execz .LBB327_1147
; %bb.1144:                             ;   in Loop: Header=BB327_606 Depth=1
	v_bfe_u32 v31, v18, 16, 7
	v_cmp_ne_u32_e32 vcc, s25, v31
	v_mov_b32_e32 v34, 0x7f800001
	s_and_saveexec_b64 s[16:17], vcc
	s_cbranch_execz .LBB327_1146
; %bb.1145:                             ;   in Loop: Header=BB327_606 Depth=1
	v_and_b32_e32 v33, 7, v9
	v_lshrrev_b32_e32 v34, 3, v31
	v_cmp_gt_u32_e32 vcc, 8, v31
	v_ffbh_u32_e32 v31, v33
	v_min_u32_e32 v35, 32, v31
	v_subrev_u32_e32 v31, 28, v35
	v_lshlrev_b64 v[31:32], v31, v[9:10]
	v_sub_u32_e32 v32, 29, v35
	v_and_b32_e32 v31, 7, v31
	v_cndmask_b32_e32 v32, v34, v32, vcc
	v_cndmask_b32_e32 v31, v33, v31, vcc
	v_lshlrev_b32_e32 v9, 24, v9
	v_lshlrev_b32_e32 v31, 20, v31
	v_and_b32_e32 v9, 0x80000000, v9
	v_lshl_add_u32 v32, v32, 23, v40
	v_or3_b32 v34, v9, v32, v31
.LBB327_1146:                           ;   in Loop: Header=BB327_606 Depth=1
	s_or_b64 exec, exec, s[16:17]
.LBB327_1147:                           ;   in Loop: Header=BB327_606 Depth=1
	s_or_b64 exec, exec, s[14:15]
.LBB327_1148:                           ;   in Loop: Header=BB327_606 Depth=1
	s_or_b64 exec, exec, s[12:13]
	v_cmp_lt_u64_e32 vcc, s[4:5], v[17:18]
	s_and_saveexec_b64 s[12:13], vcc
	s_cbranch_execz .LBB327_1154
; %bb.1149:                             ;   in Loop: Header=BB327_606 Depth=1
	v_lshrrev_b32_e32 v9, 24, v18
	v_cmp_ne_u32_e32 vcc, s24, v9
	v_bfrev_b32_e32 v19, 1
	s_and_saveexec_b64 s[14:15], vcc
	s_cbranch_execz .LBB327_1153
; %bb.1150:                             ;   in Loop: Header=BB327_606 Depth=1
	v_bfe_u32 v17, v18, 24, 7
	v_cmp_ne_u32_e32 vcc, s25, v17
	v_mov_b32_e32 v19, 0x7f800001
	s_and_saveexec_b64 s[16:17], vcc
	s_cbranch_execz .LBB327_1152
; %bb.1151:                             ;   in Loop: Header=BB327_606 Depth=1
	v_and_b32_e32 v19, 7, v9
	v_lshrrev_b32_e32 v31, 3, v17
	v_cmp_gt_u32_e32 vcc, 8, v17
	v_ffbh_u32_e32 v17, v19
	v_min_u32_e32 v32, 32, v17
	v_subrev_u32_e32 v17, 28, v32
	v_lshlrev_b64 v[17:18], v17, v[9:10]
	v_sub_u32_e32 v18, 29, v32
	v_and_b32_e32 v17, 7, v17
	v_cndmask_b32_e32 v18, v31, v18, vcc
	v_cndmask_b32_e32 v17, v19, v17, vcc
	v_lshlrev_b32_e32 v9, 24, v9
	v_lshlrev_b32_e32 v17, 20, v17
	v_and_b32_e32 v9, 0x80000000, v9
	v_lshl_add_u32 v18, v18, 23, v40
	v_or3_b32 v19, v9, v18, v17
.LBB327_1152:                           ;   in Loop: Header=BB327_606 Depth=1
	s_or_b64 exec, exec, s[16:17]
.LBB327_1153:                           ;   in Loop: Header=BB327_606 Depth=1
	s_or_b64 exec, exec, s[14:15]
.LBB327_1154:                           ;   in Loop: Header=BB327_606 Depth=1
	s_or_b64 exec, exec, s[12:13]
	v_mul_f32_e32 v9, s18, v27
	v_bfe_u32 v17, v9, 16, 1
	v_add3_u32 v17, v17, v9, s26
	v_or_b32_e32 v18, 0x400000, v9
	v_cmp_u_f32_e32 vcc, v9, v9
	v_cndmask_b32_e32 v9, v17, v18, vcc
	v_lshrrev_b32_e32 v27, 16, v9
	v_mul_f32_e32 v9, s18, v26
	v_bfe_u32 v17, v9, 16, 1
	v_add3_u32 v17, v17, v9, s26
	v_or_b32_e32 v18, 0x400000, v9
	v_cmp_u_f32_e32 vcc, v9, v9
	v_cndmask_b32_e32 v9, v17, v18, vcc
	v_lshrrev_b32_e32 v26, 16, v9
	;; [unrolled: 7-line block ×8, first 2 shown]
	s_and_saveexec_b64 s[12:13], s[0:1]
	s_cbranch_execz .LBB327_1156
; %bb.1155:                             ;   in Loop: Header=BB327_606 Depth=1
	v_add_u32_e32 v0, -7, v37
	v_cmp_gt_i32_e32 vcc, s30, v0
	v_add_u32_e32 v0, -6, v37
	v_cndmask_b32_e32 v32, 0, v32, vcc
	v_cmp_gt_i32_e32 vcc, s30, v0
	v_add_u32_e32 v0, -5, v37
	v_cndmask_b32_e32 v33, 0, v33, vcc
	v_cmp_gt_i32_e32 vcc, s30, v0
	v_add_u32_e32 v0, -4, v37
	v_cndmask_b32_e32 v29, 0, v29, vcc
	v_cmp_gt_i32_e32 vcc, s30, v0
	v_add_u32_e32 v0, -3, v37
	v_cndmask_b32_e32 v31, 0, v31, vcc
	v_cmp_gt_i32_e32 vcc, s30, v0
	v_add_u32_e32 v0, -2, v37
	v_cndmask_b32_e32 v26, 0, v26, vcc
	v_cmp_gt_i32_e32 vcc, s30, v0
	v_add_u32_e32 v0, -1, v37
	v_cndmask_b32_e32 v27, 0, v27, vcc
	v_cmp_gt_i32_e32 vcc, s30, v0
	v_cndmask_b32_e32 v28, 0, v28, vcc
	v_cmp_gt_i32_e32 vcc, s30, v37
	v_cndmask_b32_e32 v30, 0, v30, vcc
.LBB327_1156:                           ;   in Loop: Header=BB327_606 Depth=1
	s_or_b64 exec, exec, s[12:13]
	v_add_co_u32_e32 v15, vcc, 0x1000, v15
	v_addc_co_u32_e32 v16, vcc, 0, v16, vcc
	global_load_dwordx2 v[15:16], v[15:16], off offset:1536
	v_mov_b32_e32 v25, 0
	v_mov_b32_e32 v18, 0
	s_waitcnt vmcnt(0)
	v_cmp_ne_u16_sdwa s[14:15], v15, v10 src0_sel:BYTE_0 src1_sel:DWORD
	s_and_saveexec_b64 s[12:13], s[14:15]
	s_cbranch_execz .LBB327_1162
; %bb.1157:                             ;   in Loop: Header=BB327_606 Depth=1
	v_cmp_ne_u16_sdwa s[16:17], v15, s24 src0_sel:BYTE_0 src1_sel:DWORD
	v_bfrev_b32_e32 v18, 1
	s_and_saveexec_b64 s[14:15], s[16:17]
	s_cbranch_execz .LBB327_1161
; %bb.1158:                             ;   in Loop: Header=BB327_606 Depth=1
	v_and_b32_e32 v9, 0x7f, v15
	v_cmp_ne_u32_e32 vcc, s25, v9
	v_mov_b32_e32 v18, 0x7f800001
	s_and_saveexec_b64 s[16:17], vcc
	s_cbranch_execz .LBB327_1160
; %bb.1159:                             ;   in Loop: Header=BB327_606 Depth=1
	v_and_b32_e32 v17, 7, v15
	v_lshrrev_b32_e32 v18, 3, v9
	v_cmp_gt_u32_e32 vcc, 8, v9
	v_ffbh_u32_e32 v9, v17
	v_min_u32_e32 v9, 32, v9
	v_subrev_u32_e32 v17, 28, v9
	v_sub_u32_e32 v9, 29, v9
	v_cndmask_b32_e32 v17, 0, v17, vcc
	v_cndmask_b32_e32 v9, v18, v9, vcc
	v_lshlrev_b64 v[17:18], v17, v[15:16]
	v_lshlrev_b32_e32 v18, 24, v15
	v_lshlrev_b32_e32 v17, 20, v17
	v_and_b32_e32 v17, 0x700000, v17
	v_and_b32_e32 v18, 0x80000000, v18
	v_lshl_add_u32 v9, v9, 23, v40
	v_or3_b32 v18, v18, v9, v17
.LBB327_1160:                           ;   in Loop: Header=BB327_606 Depth=1
	s_or_b64 exec, exec, s[16:17]
.LBB327_1161:                           ;   in Loop: Header=BB327_606 Depth=1
	s_or_b64 exec, exec, s[14:15]
.LBB327_1162:                           ;   in Loop: Header=BB327_606 Depth=1
	s_or_b64 exec, exec, s[12:13]
	v_lshrrev_b16_e32 v9, 8, v15
	v_cmp_ne_u16_e32 vcc, 0, v9
	s_and_saveexec_b64 s[12:13], vcc
	s_cbranch_execz .LBB327_1168
; %bb.1163:                             ;   in Loop: Header=BB327_606 Depth=1
	v_cmp_ne_u16_e32 vcc, s24, v9
	v_bfrev_b32_e32 v25, 1
	s_and_saveexec_b64 s[14:15], vcc
	s_cbranch_execz .LBB327_1167
; %bb.1164:                             ;   in Loop: Header=BB327_606 Depth=1
	v_and_b32_e32 v17, 0x7f, v9
	v_cmp_ne_u32_e32 vcc, s25, v17
	v_mov_b32_e32 v25, 0x7f800001
	s_and_saveexec_b64 s[16:17], vcc
	s_cbranch_execz .LBB327_1166
; %bb.1165:                             ;   in Loop: Header=BB327_606 Depth=1
	v_and_b32_e32 v19, 7, v9
	v_lshrrev_b32_e32 v25, 3, v17
	v_cmp_gt_u32_e32 vcc, 8, v17
	v_ffbh_u32_e32 v17, v19
	v_min_u32_e32 v17, 32, v17
	v_subrev_u32_e32 v34, 28, v17
	v_lshlrev_b64 v[34:35], v34, v[9:10]
	v_sub_u32_e32 v9, 29, v17
	v_and_b32_e32 v17, 7, v34
	v_cndmask_b32_e32 v9, v25, v9, vcc
	v_cndmask_b32_e32 v17, v19, v17, vcc
	v_lshlrev_b32_e32 v19, 16, v15
	v_lshlrev_b32_e32 v17, 20, v17
	v_and_b32_e32 v19, 0x80000000, v19
	v_lshl_add_u32 v9, v9, 23, v40
	v_or3_b32 v25, v19, v9, v17
.LBB327_1166:                           ;   in Loop: Header=BB327_606 Depth=1
	s_or_b64 exec, exec, s[16:17]
.LBB327_1167:                           ;   in Loop: Header=BB327_606 Depth=1
	s_or_b64 exec, exec, s[14:15]
.LBB327_1168:                           ;   in Loop: Header=BB327_606 Depth=1
	s_or_b64 exec, exec, s[12:13]
	v_lshrrev_b32_e32 v9, 16, v15
	v_cmp_ne_u16_sdwa s[14:15], v9, v10 src0_sel:BYTE_0 src1_sel:DWORD
	v_mov_b32_e32 v39, 0
	v_mov_b32_e32 v19, 0
	s_and_saveexec_b64 s[12:13], s[14:15]
	s_cbranch_execz .LBB327_1174
; %bb.1169:                             ;   in Loop: Header=BB327_606 Depth=1
	v_cmp_ne_u16_sdwa s[16:17], v9, s24 src0_sel:BYTE_0 src1_sel:DWORD
	v_bfrev_b32_e32 v19, 1
	s_and_saveexec_b64 s[14:15], s[16:17]
	s_cbranch_execz .LBB327_1173
; %bb.1170:                             ;   in Loop: Header=BB327_606 Depth=1
	v_bfe_u32 v17, v15, 16, 7
	v_cmp_ne_u32_e32 vcc, s25, v17
	v_mov_b32_e32 v19, 0x7f800001
	s_and_saveexec_b64 s[16:17], vcc
	s_cbranch_execz .LBB327_1172
; %bb.1171:                             ;   in Loop: Header=BB327_606 Depth=1
	v_and_b32_e32 v19, 7, v9
	v_lshrrev_b32_e32 v36, 3, v17
	v_cmp_gt_u32_e32 vcc, 8, v17
	v_ffbh_u32_e32 v17, v19
	v_min_u32_e32 v17, 32, v17
	v_subrev_u32_e32 v34, 28, v17
	v_lshlrev_b64 v[34:35], v34, v[9:10]
	v_sub_u32_e32 v17, 29, v17
	v_and_b32_e32 v34, 7, v34
	v_cndmask_b32_e32 v17, v36, v17, vcc
	v_cndmask_b32_e32 v19, v19, v34, vcc
	v_lshlrev_b32_e32 v9, 24, v9
	v_lshlrev_b32_e32 v19, 20, v19
	v_and_b32_e32 v9, 0x80000000, v9
	v_lshl_add_u32 v17, v17, 23, v40
	v_or3_b32 v19, v9, v17, v19
.LBB327_1172:                           ;   in Loop: Header=BB327_606 Depth=1
	s_or_b64 exec, exec, s[16:17]
.LBB327_1173:                           ;   in Loop: Header=BB327_606 Depth=1
	s_or_b64 exec, exec, s[14:15]
.LBB327_1174:                           ;   in Loop: Header=BB327_606 Depth=1
	s_or_b64 exec, exec, s[12:13]
	v_cmp_lt_u32_e32 vcc, s5, v15
	s_and_saveexec_b64 s[12:13], vcc
	s_cbranch_execz .LBB327_1180
; %bb.1175:                             ;   in Loop: Header=BB327_606 Depth=1
	v_lshrrev_b32_e32 v9, 24, v15
	v_cmp_ne_u32_e32 vcc, s24, v9
	v_bfrev_b32_e32 v39, 1
	s_and_saveexec_b64 s[14:15], vcc
	s_cbranch_execz .LBB327_1179
; %bb.1176:                             ;   in Loop: Header=BB327_606 Depth=1
	v_bfe_u32 v17, v15, 24, 7
	v_cmp_ne_u32_e32 vcc, s25, v17
	v_mov_b32_e32 v39, 0x7f800001
	s_and_saveexec_b64 s[16:17], vcc
	s_cbranch_execz .LBB327_1178
; %bb.1177:                             ;   in Loop: Header=BB327_606 Depth=1
	v_and_b32_e32 v36, 7, v9
	v_lshrrev_b32_e32 v39, 3, v17
	v_cmp_gt_u32_e32 vcc, 8, v17
	v_ffbh_u32_e32 v17, v36
	v_min_u32_e32 v17, 32, v17
	v_subrev_u32_e32 v34, 28, v17
	v_lshlrev_b64 v[34:35], v34, v[9:10]
	v_sub_u32_e32 v17, 29, v17
	v_and_b32_e32 v34, 7, v34
	v_cndmask_b32_e32 v17, v39, v17, vcc
	v_cndmask_b32_e32 v34, v36, v34, vcc
	v_lshlrev_b32_e32 v9, 24, v9
	v_lshlrev_b32_e32 v34, 20, v34
	v_and_b32_e32 v9, 0x80000000, v9
	v_lshl_add_u32 v17, v17, 23, v40
	v_or3_b32 v39, v9, v17, v34
.LBB327_1178:                           ;   in Loop: Header=BB327_606 Depth=1
	s_or_b64 exec, exec, s[16:17]
.LBB327_1179:                           ;   in Loop: Header=BB327_606 Depth=1
	s_or_b64 exec, exec, s[14:15]
.LBB327_1180:                           ;   in Loop: Header=BB327_606 Depth=1
	s_or_b64 exec, exec, s[12:13]
	v_mov_b32_e32 v9, v16
	v_cmp_ne_u16_sdwa s[14:15], v16, v10 src0_sel:BYTE_0 src1_sel:DWORD
	v_mov_b32_e32 v35, 0
	v_mov_b32_e32 v34, 0
	s_and_saveexec_b64 s[12:13], s[14:15]
	s_cbranch_execz .LBB327_1186
; %bb.1181:                             ;   in Loop: Header=BB327_606 Depth=1
	v_cmp_ne_u16_sdwa s[16:17], v16, s24 src0_sel:BYTE_0 src1_sel:DWORD
	v_bfrev_b32_e32 v34, 1
	s_and_saveexec_b64 s[14:15], s[16:17]
	s_cbranch_execz .LBB327_1185
; %bb.1182:                             ;   in Loop: Header=BB327_606 Depth=1
	v_and_b32_e32 v17, 0x7f, v16
	v_cmp_ne_u32_e32 vcc, s25, v17
	v_mov_b32_e32 v34, 0x7f800001
	s_and_saveexec_b64 s[16:17], vcc
	s_cbranch_execz .LBB327_1184
; %bb.1183:                             ;   in Loop: Header=BB327_606 Depth=1
	v_and_b32_e32 v34, 7, v16
	v_lshrrev_b32_e32 v36, 3, v17
	v_cmp_gt_u32_e32 vcc, 8, v17
	v_ffbh_u32_e32 v17, v34
	v_min_u32_e32 v17, 32, v17
	v_subrev_u32_e32 v34, 28, v17
	v_cndmask_b32_e32 v34, 0, v34, vcc
	v_mov_b32_e32 v11, v41
	v_lshlrev_b64 v[40:41], v34, v[9:10]
	v_sub_u32_e32 v17, 29, v17
	v_cndmask_b32_e32 v17, v36, v17, vcc
	v_lshlrev_b32_e32 v34, 20, v40
	v_bfrev_b32_e32 v40, 60
	v_lshlrev_b32_e32 v36, 24, v9
	v_and_b32_e32 v34, 0x700000, v34
	v_and_b32_e32 v36, 0x80000000, v36
	v_lshl_add_u32 v17, v17, 23, v40
	v_mov_b32_e32 v41, v11
	v_or3_b32 v34, v36, v17, v34
.LBB327_1184:                           ;   in Loop: Header=BB327_606 Depth=1
	s_or_b64 exec, exec, s[16:17]
.LBB327_1185:                           ;   in Loop: Header=BB327_606 Depth=1
	s_or_b64 exec, exec, s[14:15]
.LBB327_1186:                           ;   in Loop: Header=BB327_606 Depth=1
	s_or_b64 exec, exec, s[12:13]
	v_lshrrev_b16_e32 v17, 8, v9
	v_cmp_ne_u16_e32 vcc, 0, v17
	s_and_saveexec_b64 s[12:13], vcc
	s_cbranch_execz .LBB327_1192
; %bb.1187:                             ;   in Loop: Header=BB327_606 Depth=1
	v_cmp_ne_u16_e32 vcc, s24, v17
	v_bfrev_b32_e32 v35, 1
	s_and_saveexec_b64 s[14:15], vcc
	s_cbranch_execz .LBB327_1191
; %bb.1188:                             ;   in Loop: Header=BB327_606 Depth=1
	v_and_b32_e32 v36, 0x7f, v17
	v_cmp_ne_u32_e32 vcc, s25, v36
	v_mov_b32_e32 v35, 0x7f800001
	s_and_saveexec_b64 s[16:17], vcc
	s_cbranch_execz .LBB327_1190
; %bb.1189:                             ;   in Loop: Header=BB327_606 Depth=1
	v_and_b32_e32 v40, 7, v17
	v_ffbh_u32_e32 v35, v40
	v_min_u32_e32 v11, 32, v35
	v_subrev_u32_e32 v35, 28, v11
	v_mov_b32_e32 v20, v41
	v_lshrrev_b32_e32 v41, 3, v36
	v_cmp_gt_u32_e32 vcc, 8, v36
	v_lshlrev_b64 v[35:36], v35, v[17:18]
	v_sub_u32_e32 v11, 29, v11
	v_and_b32_e32 v17, 7, v35
	v_cndmask_b32_e32 v11, v41, v11, vcc
	v_cndmask_b32_e32 v17, v40, v17, vcc
	v_bfrev_b32_e32 v40, 60
	v_lshlrev_b32_e32 v9, 16, v9
	v_lshlrev_b32_e32 v17, 20, v17
	v_and_b32_e32 v9, 0x80000000, v9
	v_lshl_add_u32 v11, v11, 23, v40
	v_mov_b32_e32 v41, v20
	v_or3_b32 v35, v9, v11, v17
.LBB327_1190:                           ;   in Loop: Header=BB327_606 Depth=1
	s_or_b64 exec, exec, s[16:17]
.LBB327_1191:                           ;   in Loop: Header=BB327_606 Depth=1
	s_or_b64 exec, exec, s[14:15]
.LBB327_1192:                           ;   in Loop: Header=BB327_606 Depth=1
	s_or_b64 exec, exec, s[12:13]
	v_lshrrev_b32_e32 v9, 16, v16
	v_cmp_ne_u16_sdwa s[14:15], v9, v10 src0_sel:BYTE_0 src1_sel:DWORD
	v_mov_b32_e32 v36, 0
	v_mov_b32_e32 v17, 0
	s_and_saveexec_b64 s[12:13], s[14:15]
	s_cbranch_execz .LBB327_1198
; %bb.1193:                             ;   in Loop: Header=BB327_606 Depth=1
	v_cmp_ne_u16_sdwa s[16:17], v9, s24 src0_sel:BYTE_0 src1_sel:DWORD
	v_bfrev_b32_e32 v17, 1
	s_and_saveexec_b64 s[14:15], s[16:17]
	s_cbranch_execz .LBB327_1197
; %bb.1194:                             ;   in Loop: Header=BB327_606 Depth=1
	v_bfe_u32 v40, v16, 16, 7
	v_bfrev_b32_e32 v0, 60
	v_cmp_ne_u32_e32 vcc, s25, v40
	v_mov_b32_e32 v17, 0x7f800001
	s_and_saveexec_b64 s[16:17], vcc
	s_cbranch_execz .LBB327_1196
; %bb.1195:                             ;   in Loop: Header=BB327_606 Depth=1
	v_and_b32_e32 v11, 7, v9
	v_lshrrev_b32_e32 v17, 3, v40
	v_cmp_gt_u32_e32 vcc, 8, v40
	v_ffbh_u32_e32 v40, v11
	v_min_u32_e32 v42, 32, v40
	v_subrev_u32_e32 v40, 28, v42
	v_mov_b32_e32 v20, v45
	v_mov_b32_e32 v45, v44
	;; [unrolled: 1-line block ×13, first 2 shown]
	v_lshlrev_b64 v[40:41], v40, v[9:10]
	v_sub_u32_e32 v41, 29, v42
	v_and_b32_e32 v40, 7, v40
	v_cndmask_b32_e32 v17, v17, v41, vcc
	v_cndmask_b32_e32 v11, v11, v40, vcc
	v_lshlrev_b32_e32 v9, 24, v9
	v_lshlrev_b32_e32 v11, 20, v11
	v_and_b32_e32 v9, 0x80000000, v9
	v_lshl_add_u32 v17, v17, 23, v0
	v_mov_b32_e32 v41, v38
	v_mov_b32_e32 v38, v57
	v_mov_b32_e32 v57, v58
	v_mov_b32_e32 v58, v59
	v_mov_b32_e32 v59, v60
	v_mov_b32_e32 v60, v61
	v_mov_b32_e32 v61, v46
	v_mov_b32_e32 v46, v47
	v_mov_b32_e32 v47, v12
	v_mov_b32_e32 v12, v43
	v_mov_b32_e32 v43, v44
	v_mov_b32_e32 v44, v45
	v_mov_b32_e32 v45, v20
	v_or3_b32 v17, v9, v17, v11
.LBB327_1196:                           ;   in Loop: Header=BB327_606 Depth=1
	s_or_b64 exec, exec, s[16:17]
	v_bfrev_b32_e32 v40, 60
.LBB327_1197:                           ;   in Loop: Header=BB327_606 Depth=1
	s_or_b64 exec, exec, s[14:15]
.LBB327_1198:                           ;   in Loop: Header=BB327_606 Depth=1
	s_or_b64 exec, exec, s[12:13]
	v_cmp_lt_u64_e32 vcc, s[4:5], v[15:16]
	s_and_saveexec_b64 s[12:13], vcc
	s_cbranch_execz .LBB327_1204
; %bb.1199:                             ;   in Loop: Header=BB327_606 Depth=1
	v_lshrrev_b32_e32 v9, 24, v16
	v_cmp_ne_u32_e32 vcc, s24, v9
	v_bfrev_b32_e32 v36, 1
	s_and_saveexec_b64 s[14:15], vcc
	s_cbranch_execz .LBB327_1203
; %bb.1200:                             ;   in Loop: Header=BB327_606 Depth=1
	v_bfe_u32 v15, v16, 24, 7
	v_cmp_ne_u32_e32 vcc, s25, v15
	v_mov_b32_e32 v36, 0x7f800001
	s_and_saveexec_b64 s[16:17], vcc
	s_cbranch_execz .LBB327_1202
; %bb.1201:                             ;   in Loop: Header=BB327_606 Depth=1
	v_and_b32_e32 v11, 7, v9
	v_lshrrev_b32_e32 v36, 3, v15
	v_cmp_gt_u32_e32 vcc, 8, v15
	v_ffbh_u32_e32 v15, v11
	v_min_u32_e32 v40, 32, v15
	v_subrev_u32_e32 v15, 28, v40
	v_lshlrev_b64 v[15:16], v15, v[9:10]
	v_sub_u32_e32 v16, 29, v40
	v_and_b32_e32 v15, 7, v15
	v_bfrev_b32_e32 v40, 60
	v_cndmask_b32_e32 v16, v36, v16, vcc
	v_cndmask_b32_e32 v11, v11, v15, vcc
	v_lshlrev_b32_e32 v9, 24, v9
	v_lshlrev_b32_e32 v11, 20, v11
	v_and_b32_e32 v9, 0x80000000, v9
	v_lshl_add_u32 v15, v16, 23, v40
	v_or3_b32 v36, v9, v15, v11
.LBB327_1202:                           ;   in Loop: Header=BB327_606 Depth=1
	s_or_b64 exec, exec, s[16:17]
.LBB327_1203:                           ;   in Loop: Header=BB327_606 Depth=1
	s_or_b64 exec, exec, s[14:15]
.LBB327_1204:                           ;   in Loop: Header=BB327_606 Depth=1
	s_or_b64 exec, exec, s[12:13]
	v_mul_f32_e32 v9, s18, v35
	v_bfe_u32 v11, v9, 16, 1
	v_add3_u32 v11, v11, v9, s26
	v_or_b32_e32 v15, 0x400000, v9
	v_cmp_u_f32_e32 vcc, v9, v9
	v_cndmask_b32_e32 v9, v11, v15, vcc
	v_mul_f32_e32 v11, s18, v34
	v_bfe_u32 v15, v11, 16, 1
	v_add3_u32 v15, v15, v11, s26
	v_or_b32_e32 v16, 0x400000, v11
	v_cmp_u_f32_e32 vcc, v11, v11
	v_cndmask_b32_e32 v11, v15, v16, vcc
	v_lshrrev_b32_e32 v15, 16, v11
	v_mul_f32_e32 v11, s18, v39
	v_bfe_u32 v16, v11, 16, 1
	v_add3_u32 v16, v16, v11, s26
	v_or_b32_e32 v34, 0x400000, v11
	v_cmp_u_f32_e32 vcc, v11, v11
	v_cndmask_b32_e32 v11, v16, v34, vcc
	v_lshrrev_b32_e32 v16, 16, v11
	;; [unrolled: 7-line block ×6, first 2 shown]
	v_mul_f32_e32 v11, s18, v36
	v_bfe_u32 v18, v11, 16, 1
	v_add3_u32 v18, v18, v11, s26
	v_or_b32_e32 v34, 0x400000, v11
	v_cmp_u_f32_e32 vcc, v11, v11
	v_cndmask_b32_e32 v11, v18, v34, vcc
	v_mov_b32_e32 v42, v12
	v_lshrrev_b32_e32 v9, 16, v9
	v_lshrrev_b32_e32 v18, 16, v11
	s_and_saveexec_b64 s[12:13], s[0:1]
	s_cbranch_execz .LBB327_605
; %bb.1205:                             ;   in Loop: Header=BB327_606 Depth=1
	v_add_u32_e32 v0, -7, v37
	v_cmp_gt_i32_e32 vcc, s30, v0
	v_add_u32_e32 v0, -6, v37
	v_cndmask_b32_e32 v25, 0, v25, vcc
	v_cmp_gt_i32_e32 vcc, s30, v0
	v_add_u32_e32 v0, -5, v37
	v_cndmask_b32_e32 v39, 0, v39, vcc
	;; [unrolled: 3-line block ×6, first 2 shown]
	v_cmp_gt_i32_e32 vcc, s30, v0
	v_cndmask_b32_e32 v17, 0, v17, vcc
	v_cmp_gt_i32_e32 vcc, s30, v37
	v_cndmask_b32_e32 v18, 0, v18, vcc
	s_branch .LBB327_605
.LBB327_1206:
	s_or_b64 exec, exec, s[6:7]
	buffer_load_dword v19, off, s[48:51], 0 offset:276 ; 4-byte Folded Reload
	buffer_load_dword v13, off, s[48:51], 0 offset:280 ; 4-byte Folded Reload
	;; [unrolled: 1-line block ×4, first 2 shown]
.LBB327_1207:
	s_or_b64 exec, exec, s[2:3]
	buffer_load_dword v12, off, s[48:51], 0 offset:264 ; 4-byte Folded Reload
	buffer_load_dword v14, off, s[48:51], 0 offset:260 ; 4-byte Folded Reload
	;; [unrolled: 1-line block ×4, first 2 shown]
	s_waitcnt vmcnt(6)
	ds_bpermute_b32 v0, v13, v61
	ds_bpermute_b32 v1, v13, v46
	;; [unrolled: 1-line block ×5, first 2 shown]
	s_waitcnt lgkmcnt(4)
	v_add_f32_e32 v0, v61, v0
	s_waitcnt vmcnt(5)
	ds_bpermute_b32 v4, v18, v0
	s_waitcnt lgkmcnt(4)
	v_add_f32_e32 v1, v46, v1
	s_waitcnt lgkmcnt(3)
	v_add_f32_e32 v3, v59, v3
	ds_bpermute_b32 v5, v18, v1
	s_waitcnt lgkmcnt(3)
	v_add_f32_e32 v2, v60, v2
	s_waitcnt lgkmcnt(1)
	v_add_f32_e32 v8, v0, v4
	ds_bpermute_b32 v0, v18, v3
	ds_bpermute_b32 v4, v13, v58
	s_waitcnt lgkmcnt(2)
	v_add_f32_e32 v6, v1, v5
	ds_bpermute_b32 v7, v18, v2
	ds_bpermute_b32 v5, v13, v57
	s_waitcnt lgkmcnt(3)
	v_add_f32_e32 v1, v3, v0
	ds_bpermute_b32 v0, v13, v38
	s_waitcnt lgkmcnt(3)
	v_add_f32_e32 v3, v58, v4
	;; [unrolled: 3-line block ×3, first 2 shown]
	s_waitcnt lgkmcnt(2)
	v_add_f32_e32 v5, v57, v5
	s_waitcnt lgkmcnt(1)
	v_add_f32_e32 v0, v38, v0
	ds_bpermute_b32 v10, v18, v0
	s_waitcnt lgkmcnt(1)
	v_add_f32_e32 v7, v3, v4
	ds_bpermute_b32 v9, v18, v5
	s_waitcnt vmcnt(0) lgkmcnt(0)
	s_barrier
	v_add_f32_e32 v3, v0, v10
	v_add_f32_e32 v0, v41, v11
	;; [unrolled: 1-line block ×3, first 2 shown]
	ds_bpermute_b32 v9, v18, v0
	s_waitcnt lgkmcnt(0)
	ds_bpermute_b32 v5, v13, v12
	ds_bpermute_b32 v10, v13, v14
	;; [unrolled: 1-line block ×4, first 2 shown]
	s_waitcnt lgkmcnt(3)
	v_add_f32_e32 v5, v12, v5
	s_waitcnt lgkmcnt(2)
	v_add_f32_e32 v14, v14, v10
	ds_bpermute_b32 v15, v18, v14
	s_waitcnt lgkmcnt(2)
	v_add_f32_e32 v16, v16, v11
	v_add_f32_e32 v11, v0, v9
	s_waitcnt lgkmcnt(1)
	v_add_f32_e32 v13, v21, v13
	ds_bpermute_b32 v12, v18, v5
	s_waitcnt lgkmcnt(1)
	v_add_f32_e32 v9, v14, v15
	buffer_load_dword v14, off, s[48:51], 0 offset:748 ; 4-byte Folded Reload
	ds_bpermute_b32 v17, v18, v16
	ds_bpermute_b32 v18, v18, v13
	s_waitcnt lgkmcnt(2)
	v_add_f32_e32 v10, v5, v12
	s_waitcnt lgkmcnt(1)
	v_add_f32_e32 v5, v16, v17
	;; [unrolled: 2-line block ×3, first 2 shown]
	s_waitcnt vmcnt(0)
	v_and_b32_e32 v13, 0x3c3, v14
	v_cmp_eq_u32_e32 vcc, 64, v13
	s_and_saveexec_b64 s[0:1], vcc
	s_cbranch_execz .LBB327_1209
; %bb.1208:
	v_add_u32_e32 v12, 0x190, v19
	ds_write2_b32 v12, v8, v6 offset1:16
	ds_write2_b32 v12, v2, v1 offset0:32 offset1:48
	ds_write2_b32 v12, v7, v4 offset0:64 offset1:80
	;; [unrolled: 1-line block ×5, first 2 shown]
.LBB327_1209:
	s_or_b64 exec, exec, s[0:1]
	v_cmp_gt_u32_e32 vcc, 64, v14
	v_lshrrev_b32_e32 v12, 2, v14
	s_waitcnt lgkmcnt(0)
	s_barrier
	s_and_saveexec_b64 s[0:1], vcc
	s_cbranch_execz .LBB327_1224
; %bb.1210:
	v_mov_b32_e32 v14, 0x190
	v_cmp_eq_u32_e32 vcc, 0, v20
	v_lshl_add_u32 v14, v12, 2, v14
	s_and_saveexec_b64 s[2:3], vcc
	s_cbranch_execnz .LBB327_1227
; %bb.1211:
	s_or_b64 exec, exec, s[2:3]
	s_and_saveexec_b64 s[2:3], vcc
	s_cbranch_execnz .LBB327_1228
.LBB327_1212:
	s_or_b64 exec, exec, s[2:3]
	s_and_saveexec_b64 s[2:3], vcc
	s_cbranch_execnz .LBB327_1229
.LBB327_1213:
	s_or_b64 exec, exec, s[2:3]
	s_and_saveexec_b64 s[2:3], vcc
	s_cbranch_execnz .LBB327_1230
.LBB327_1214:
	s_or_b64 exec, exec, s[2:3]
	s_and_saveexec_b64 s[2:3], vcc
	s_cbranch_execnz .LBB327_1231
.LBB327_1215:
	s_or_b64 exec, exec, s[2:3]
	s_and_saveexec_b64 s[2:3], vcc
	s_cbranch_execnz .LBB327_1232
.LBB327_1216:
	s_or_b64 exec, exec, s[2:3]
	s_and_saveexec_b64 s[2:3], vcc
	s_cbranch_execnz .LBB327_1233
.LBB327_1217:
	s_or_b64 exec, exec, s[2:3]
	s_and_saveexec_b64 s[2:3], vcc
	s_cbranch_execnz .LBB327_1234
.LBB327_1218:
	s_or_b64 exec, exec, s[2:3]
	s_and_saveexec_b64 s[2:3], vcc
	s_cbranch_execnz .LBB327_1235
.LBB327_1219:
	s_or_b64 exec, exec, s[2:3]
	s_and_saveexec_b64 s[2:3], vcc
	s_cbranch_execnz .LBB327_1236
.LBB327_1220:
	s_or_b64 exec, exec, s[2:3]
	s_and_saveexec_b64 s[2:3], vcc
	s_cbranch_execnz .LBB327_1237
.LBB327_1221:
	s_or_b64 exec, exec, s[2:3]
	s_and_saveexec_b64 s[2:3], vcc
	s_cbranch_execz .LBB327_1223
.LBB327_1222:
	ds_read_b32 v14, v14 offset:704
	s_waitcnt lgkmcnt(0)
	v_add_f32_e32 v0, v0, v14
.LBB327_1223:
	s_or_b64 exec, exec, s[2:3]
.LBB327_1224:
	s_or_b64 exec, exec, s[0:1]
	v_cmp_eq_u32_e32 vcc, 0, v13
	s_barrier
	s_and_saveexec_b64 s[0:1], vcc
	s_cbranch_execz .LBB327_1226
; %bb.1225:
	s_mul_i32 s0, s10, s11
	s_mul_i32 s0, s0, s9
	s_mulk_i32 s0, 0xc0
	s_ashr_i32 s1, s0, 31
	s_lshl_b64 s[0:1], s[0:1], 1
	s_add_u32 s2, s22, s0
	s_mul_i32 s0, s11, s20
	s_addc_u32 s3, s23, s1
	s_ashr_i32 s1, s0, 31
	s_lshl_b64 s[0:1], s[0:1], 1
	s_add_u32 s2, s2, s0
	s_mul_i32 s0, s8, 0xc0
	s_addc_u32 s3, s3, s1
	s_ashr_i32 s1, s0, 31
	s_lshl_b64 s[0:1], s[0:1], 1
	s_add_u32 s0, s2, s0
	v_bfe_u32 v13, v8, 16, 1
	s_movk_i32 s2, 0x7fff
	v_add3_u32 v13, v13, v8, s2
	v_or_b32_e32 v14, 0x400000, v8
	v_cmp_u_f32_e32 vcc, v8, v8
	s_addc_u32 s1, s3, s1
	v_lshlrev_b32_e32 v12, 1, v12
	v_cndmask_b32_e32 v8, v13, v14, vcc
	global_store_short_d16_hi v12, v8, s[0:1]
	v_bfe_u32 v8, v6, 16, 1
	v_add3_u32 v8, v8, v6, s2
	v_or_b32_e32 v13, 0x400000, v6
	v_cmp_u_f32_e32 vcc, v6, v6
	v_cndmask_b32_e32 v6, v8, v13, vcc
	global_store_short_d16_hi v12, v6, s[0:1] offset:32
	v_bfe_u32 v6, v2, 16, 1
	v_add3_u32 v6, v6, v2, s2
	v_or_b32_e32 v8, 0x400000, v2
	v_cmp_u_f32_e32 vcc, v2, v2
	v_cndmask_b32_e32 v2, v6, v8, vcc
	global_store_short_d16_hi v12, v2, s[0:1] offset:64
	;; [unrolled: 6-line block ×11, first 2 shown]
.LBB327_1226:
	s_endpgm
.LBB327_1227:
	ds_read_b32 v15, v14
	s_waitcnt lgkmcnt(0)
	v_add_f32_e32 v8, v8, v15
	s_or_b64 exec, exec, s[2:3]
	s_and_saveexec_b64 s[2:3], vcc
	s_cbranch_execz .LBB327_1212
.LBB327_1228:
	ds_read_b32 v15, v14 offset:64
	s_waitcnt lgkmcnt(0)
	v_add_f32_e32 v6, v6, v15
	s_or_b64 exec, exec, s[2:3]
	s_and_saveexec_b64 s[2:3], vcc
	s_cbranch_execz .LBB327_1213
.LBB327_1229:
	ds_read_b32 v15, v14 offset:128
	s_waitcnt lgkmcnt(0)
	v_add_f32_e32 v2, v2, v15
	s_or_b64 exec, exec, s[2:3]
	s_and_saveexec_b64 s[2:3], vcc
	s_cbranch_execz .LBB327_1214
.LBB327_1230:
	ds_read_b32 v15, v14 offset:192
	s_waitcnt lgkmcnt(0)
	v_add_f32_e32 v1, v1, v15
	s_or_b64 exec, exec, s[2:3]
	s_and_saveexec_b64 s[2:3], vcc
	s_cbranch_execz .LBB327_1215
.LBB327_1231:
	ds_read_b32 v15, v14 offset:256
	s_waitcnt lgkmcnt(0)
	v_add_f32_e32 v7, v7, v15
	s_or_b64 exec, exec, s[2:3]
	s_and_saveexec_b64 s[2:3], vcc
	s_cbranch_execz .LBB327_1216
.LBB327_1232:
	ds_read_b32 v15, v14 offset:320
	s_waitcnt lgkmcnt(0)
	v_add_f32_e32 v4, v4, v15
	s_or_b64 exec, exec, s[2:3]
	s_and_saveexec_b64 s[2:3], vcc
	s_cbranch_execz .LBB327_1217
.LBB327_1233:
	ds_read_b32 v15, v14 offset:384
	s_waitcnt lgkmcnt(0)
	v_add_f32_e32 v3, v3, v15
	s_or_b64 exec, exec, s[2:3]
	s_and_saveexec_b64 s[2:3], vcc
	s_cbranch_execz .LBB327_1218
.LBB327_1234:
	ds_read_b32 v15, v14 offset:448
	s_waitcnt lgkmcnt(0)
	v_add_f32_e32 v11, v11, v15
	s_or_b64 exec, exec, s[2:3]
	s_and_saveexec_b64 s[2:3], vcc
	s_cbranch_execz .LBB327_1219
.LBB327_1235:
	ds_read_b32 v15, v14 offset:512
	s_waitcnt lgkmcnt(0)
	v_add_f32_e32 v10, v10, v15
	s_or_b64 exec, exec, s[2:3]
	s_and_saveexec_b64 s[2:3], vcc
	s_cbranch_execz .LBB327_1220
.LBB327_1236:
	ds_read_b32 v15, v14 offset:576
	s_waitcnt lgkmcnt(0)
	v_add_f32_e32 v9, v9, v15
	s_or_b64 exec, exec, s[2:3]
	s_and_saveexec_b64 s[2:3], vcc
	s_cbranch_execz .LBB327_1221
.LBB327_1237:
	ds_read_b32 v15, v14 offset:640
	s_waitcnt lgkmcnt(0)
	v_add_f32_e32 v5, v5, v15
	s_or_b64 exec, exec, s[2:3]
	s_and_saveexec_b64 s[2:3], vcc
	s_cbranch_execnz .LBB327_1222
	s_branch .LBB327_1223
	.section	.rodata,"a",@progbits
	.p2align	6, 0x0
	.amdhsa_kernel _ZN4vllm25paged_attention_v1_kernelI14__hip_bfloat16hLi192ELi32ELi128ELNS_18Fp8KVCacheDataTypeE1ELb0EEEvPT_PKS3_PKT0_S9_ifPKiSB_iPKfiiiSD_SD_iiiii
		.amdhsa_group_segment_fixed_size 400
		.amdhsa_private_segment_fixed_size 768
		.amdhsa_kernarg_size 384
		.amdhsa_user_sgpr_count 6
		.amdhsa_user_sgpr_private_segment_buffer 1
		.amdhsa_user_sgpr_dispatch_ptr 0
		.amdhsa_user_sgpr_queue_ptr 0
		.amdhsa_user_sgpr_kernarg_segment_ptr 1
		.amdhsa_user_sgpr_dispatch_id 0
		.amdhsa_user_sgpr_flat_scratch_init 0
		.amdhsa_user_sgpr_private_segment_size 0
		.amdhsa_uses_dynamic_stack 0
		.amdhsa_system_sgpr_private_segment_wavefront_offset 1
		.amdhsa_system_sgpr_workgroup_id_x 1
		.amdhsa_system_sgpr_workgroup_id_y 1
		.amdhsa_system_sgpr_workgroup_id_z 1
		.amdhsa_system_sgpr_workgroup_info 0
		.amdhsa_system_vgpr_workitem_id 0
		.amdhsa_next_free_vgpr 64
		.amdhsa_next_free_sgpr 52
		.amdhsa_reserve_vcc 1
		.amdhsa_reserve_flat_scratch 0
		.amdhsa_float_round_mode_32 0
		.amdhsa_float_round_mode_16_64 0
		.amdhsa_float_denorm_mode_32 3
		.amdhsa_float_denorm_mode_16_64 3
		.amdhsa_dx10_clamp 1
		.amdhsa_ieee_mode 1
		.amdhsa_fp16_overflow 0
		.amdhsa_exception_fp_ieee_invalid_op 0
		.amdhsa_exception_fp_denorm_src 0
		.amdhsa_exception_fp_ieee_div_zero 0
		.amdhsa_exception_fp_ieee_overflow 0
		.amdhsa_exception_fp_ieee_underflow 0
		.amdhsa_exception_fp_ieee_inexact 0
		.amdhsa_exception_int_div_zero 0
	.end_amdhsa_kernel
	.section	.text._ZN4vllm25paged_attention_v1_kernelI14__hip_bfloat16hLi192ELi32ELi128ELNS_18Fp8KVCacheDataTypeE1ELb0EEEvPT_PKS3_PKT0_S9_ifPKiSB_iPKfiiiSD_SD_iiiii,"axG",@progbits,_ZN4vllm25paged_attention_v1_kernelI14__hip_bfloat16hLi192ELi32ELi128ELNS_18Fp8KVCacheDataTypeE1ELb0EEEvPT_PKS3_PKT0_S9_ifPKiSB_iPKfiiiSD_SD_iiiii,comdat
.Lfunc_end327:
	.size	_ZN4vllm25paged_attention_v1_kernelI14__hip_bfloat16hLi192ELi32ELi128ELNS_18Fp8KVCacheDataTypeE1ELb0EEEvPT_PKS3_PKT0_S9_ifPKiSB_iPKfiiiSD_SD_iiiii, .Lfunc_end327-_ZN4vllm25paged_attention_v1_kernelI14__hip_bfloat16hLi192ELi32ELi128ELNS_18Fp8KVCacheDataTypeE1ELb0EEEvPT_PKS3_PKT0_S9_ifPKiSB_iPKfiiiSD_SD_iiiii
                                        ; -- End function
	.set _ZN4vllm25paged_attention_v1_kernelI14__hip_bfloat16hLi192ELi32ELi128ELNS_18Fp8KVCacheDataTypeE1ELb0EEEvPT_PKS3_PKT0_S9_ifPKiSB_iPKfiiiSD_SD_iiiii.num_vgpr, 64
	.set _ZN4vllm25paged_attention_v1_kernelI14__hip_bfloat16hLi192ELi32ELi128ELNS_18Fp8KVCacheDataTypeE1ELb0EEEvPT_PKS3_PKT0_S9_ifPKiSB_iPKfiiiSD_SD_iiiii.num_agpr, 0
	.set _ZN4vllm25paged_attention_v1_kernelI14__hip_bfloat16hLi192ELi32ELi128ELNS_18Fp8KVCacheDataTypeE1ELb0EEEvPT_PKS3_PKT0_S9_ifPKiSB_iPKfiiiSD_SD_iiiii.numbered_sgpr, 52
	.set _ZN4vllm25paged_attention_v1_kernelI14__hip_bfloat16hLi192ELi32ELi128ELNS_18Fp8KVCacheDataTypeE1ELb0EEEvPT_PKS3_PKT0_S9_ifPKiSB_iPKfiiiSD_SD_iiiii.num_named_barrier, 0
	.set _ZN4vllm25paged_attention_v1_kernelI14__hip_bfloat16hLi192ELi32ELi128ELNS_18Fp8KVCacheDataTypeE1ELb0EEEvPT_PKS3_PKT0_S9_ifPKiSB_iPKfiiiSD_SD_iiiii.private_seg_size, 768
	.set _ZN4vllm25paged_attention_v1_kernelI14__hip_bfloat16hLi192ELi32ELi128ELNS_18Fp8KVCacheDataTypeE1ELb0EEEvPT_PKS3_PKT0_S9_ifPKiSB_iPKfiiiSD_SD_iiiii.uses_vcc, 1
	.set _ZN4vllm25paged_attention_v1_kernelI14__hip_bfloat16hLi192ELi32ELi128ELNS_18Fp8KVCacheDataTypeE1ELb0EEEvPT_PKS3_PKT0_S9_ifPKiSB_iPKfiiiSD_SD_iiiii.uses_flat_scratch, 0
	.set _ZN4vllm25paged_attention_v1_kernelI14__hip_bfloat16hLi192ELi32ELi128ELNS_18Fp8KVCacheDataTypeE1ELb0EEEvPT_PKS3_PKT0_S9_ifPKiSB_iPKfiiiSD_SD_iiiii.has_dyn_sized_stack, 0
	.set _ZN4vllm25paged_attention_v1_kernelI14__hip_bfloat16hLi192ELi32ELi128ELNS_18Fp8KVCacheDataTypeE1ELb0EEEvPT_PKS3_PKT0_S9_ifPKiSB_iPKfiiiSD_SD_iiiii.has_recursion, 0
	.set _ZN4vllm25paged_attention_v1_kernelI14__hip_bfloat16hLi192ELi32ELi128ELNS_18Fp8KVCacheDataTypeE1ELb0EEEvPT_PKS3_PKT0_S9_ifPKiSB_iPKfiiiSD_SD_iiiii.has_indirect_call, 0
	.section	.AMDGPU.csdata,"",@progbits
; Kernel info:
; codeLenInByte = 59672
; TotalNumSgprs: 56
; NumVgprs: 64
; ScratchSize: 768
; MemoryBound: 0
; FloatMode: 240
; IeeeMode: 1
; LDSByteSize: 400 bytes/workgroup (compile time only)
; SGPRBlocks: 6
; VGPRBlocks: 15
; NumSGPRsForWavesPerEU: 56
; NumVGPRsForWavesPerEU: 64
; Occupancy: 4
; WaveLimiterHint : 1
; COMPUTE_PGM_RSRC2:SCRATCH_EN: 1
; COMPUTE_PGM_RSRC2:USER_SGPR: 6
; COMPUTE_PGM_RSRC2:TRAP_HANDLER: 0
; COMPUTE_PGM_RSRC2:TGID_X_EN: 1
; COMPUTE_PGM_RSRC2:TGID_Y_EN: 1
; COMPUTE_PGM_RSRC2:TGID_Z_EN: 1
; COMPUTE_PGM_RSRC2:TIDIG_COMP_CNT: 0
	.text
	.p2align	2                               ; -- Begin function _ZN4vllm22paged_attention_kernelI14__hip_bfloat16hLi256ELi32ELi128ELNS_18Fp8KVCacheDataTypeE1ELb0ELi0EEEvPfS3_PT_PKS4_PKT0_SA_ifPKiSC_iPKfiiiSE_SE_iiiii
	.type	_ZN4vllm22paged_attention_kernelI14__hip_bfloat16hLi256ELi32ELi128ELNS_18Fp8KVCacheDataTypeE1ELb0ELi0EEEvPfS3_PT_PKS4_PKT0_SA_ifPKiSC_iPKfiiiSE_SE_iiiii,@function
_ZN4vllm22paged_attention_kernelI14__hip_bfloat16hLi256ELi32ELi128ELNS_18Fp8KVCacheDataTypeE1ELb0ELi0EEEvPfS3_PT_PKS4_PKT0_SA_ifPKiSC_iPKfiiiSE_SE_iiiii: ; @_ZN4vllm22paged_attention_kernelI14__hip_bfloat16hLi256ELi32ELi128ELNS_18Fp8KVCacheDataTypeE1ELb0ELi0EEEvPfS3_PT_PKS4_PKT0_SA_ifPKiSC_iPKfiiiSE_SE_iiiii
; %bb.0:
	s_waitcnt vmcnt(0) expcnt(0) lgkmcnt(0)
	buffer_store_dword v40, off, s[0:3], s32 offset:60 ; 4-byte Folded Spill
	buffer_store_dword v41, off, s[0:3], s32 offset:56 ; 4-byte Folded Spill
	;; [unrolled: 1-line block ×15, first 2 shown]
	buffer_store_dword v63, off, s[0:3], s32 ; 4-byte Folded Spill
	s_mov_b32 s16, s13
	s_ashr_i32 s17, s13, 31
	s_lshl_b64 s[4:5], s[16:17], 2
	buffer_store_dword v18, off, s[0:3], s32 offset:420 ; 4-byte Folded Spill
	buffer_store_dword v11, off, s[0:3], s32 offset:1168 ; 4-byte Folded Spill
	buffer_store_dword v10, off, s[0:3], s32 offset:1172 ; 4-byte Folded Spill
	buffer_store_dword v9, off, s[0:3], s32 offset:1152 ; 4-byte Folded Spill
	buffer_store_dword v7, off, s[0:3], s32 offset:1208 ; 4-byte Folded Spill
	buffer_store_dword v6, off, s[0:3], s32 offset:1212 ; 4-byte Folded Spill
	buffer_store_dword v1, off, s[0:3], s32 offset:1200 ; 4-byte Folded Spill
	buffer_store_dword v0, off, s[0:3], s32 offset:1204 ; 4-byte Folded Spill
	v_mov_b32_e32 v1, s5
	v_add_co_u32_e32 v0, vcc, s4, v12
	buffer_store_dword v22, off, s[0:3], s32 offset:1216 ; 4-byte Folded Spill
	s_nop 0
	buffer_store_dword v23, off, s[0:3], s32 offset:1220 ; 4-byte Folded Spill
	buffer_store_dword v20, off, s[0:3], s32 offset:616 ; 4-byte Folded Spill
	s_nop 0
	buffer_store_dword v21, off, s[0:3], s32 offset:620 ; 4-byte Folded Spill
	v_addc_co_u32_e32 v1, vcc, v13, v1, vcc
	flat_load_dword v0, v[0:1]
	v_sub_u32_e32 v6, 0, v8
	v_max_i32_e32 v6, v8, v6
	v_cvt_f32_u32_e32 v7, v6
	s_load_dword s4, s[8:9], 0x10
	s_load_dword s6, s[8:9], 0x0
	v_sub_u32_e32 v1, 0, v6
	s_mov_b32 s20, s15
	v_mov_b32_e32 v24, v31
	s_waitcnt lgkmcnt(0)
	s_lshr_b32 s4, s4, 16
	s_cmp_lg_u32 s4, 0
	s_cselect_b64 s[4:5], -1, 0
	s_cmp_lg_u64 s[4:5], 0
	s_addc_u32 s15, s6, 0
	s_abs_i32 s4, s15
	s_abs_i32 s10, s12
	s_waitcnt vmcnt(0)
	buffer_store_dword v0, off, s[0:3], s32 offset:68 ; 4-byte Folded Spill
	v_rcp_iflag_f32_e32 v0, v7
	v_mul_f32_e32 v0, 0x4f7ffffe, v0
	v_cvt_u32_f32_e32 v0, v0
	v_mul_lo_u32 v1, v1, v0
	v_mul_hi_u32 v1, v0, v1
	v_add_u32_e32 v0, v0, v1
	v_mul_hi_u32 v0, s4, v0
	v_mul_lo_u32 v1, v0, v6
	v_add_u32_e32 v7, 1, v0
	v_sub_u32_e32 v1, s4, v1
	v_cmp_ge_u32_e32 vcc, v1, v6
	v_cndmask_b32_e32 v0, v0, v7, vcc
	v_sub_u32_e32 v7, v1, v6
	v_cndmask_b32_e32 v1, v1, v7, vcc
	v_add_u32_e32 v7, 1, v0
	v_cmp_ge_u32_e32 vcc, v1, v6
	v_xor_b32_e32 v1, s15, v8
	v_cndmask_b32_e32 v0, v0, v7, vcc
	v_ashrrev_i32_e32 v1, 31, v1
	v_xor_b32_e32 v0, v0, v1
	v_sub_u32_e32 v0, v0, v1
	v_sub_u32_e32 v1, 0, v0
	v_max_i32_e32 v1, v0, v1
	v_cvt_f32_u32_e32 v6, v1
	v_sub_u32_e32 v7, 0, v1
	v_cmp_ne_u64_e32 vcc, 0, v[15:16]
	v_rcp_iflag_f32_e32 v6, v6
	v_mul_f32_e32 v6, 0x4f7ffffe, v6
	v_cvt_u32_f32_e32 v6, v6
	v_mul_lo_u32 v7, v7, v6
	v_mul_hi_u32 v7, v6, v7
	v_add_u32_e32 v6, v6, v7
	v_mad_u64_u32 v[12:13], s[4:5], s10, v6, 0
	v_mov_b32_e32 v6, 0
	buffer_store_dword v6, off, s[0:3], s32 offset:1148 ; 4-byte Folded Spill
	s_and_saveexec_b64 s[4:5], vcc
	s_cbranch_execz .LBB328_2
; %bb.1:
	s_ashr_i32 s13, s12, 31
	s_lshl_b64 s[6:7], s[12:13], 2
	v_mov_b32_e32 v7, s7
	v_add_co_u32_e32 v6, vcc, s6, v15
	v_addc_co_u32_e32 v7, vcc, v16, v7, vcc
	flat_load_dword v6, v[6:7]
	s_waitcnt vmcnt(0) lgkmcnt(0)
	buffer_store_dword v6, off, s[0:3], s32 offset:1148 ; 4-byte Folded Spill
.LBB328_2:
	s_or_b64 exec, exec, s[4:5]
	v_and_b32_e32 v9, 0x3ff, v24
	s_ashr_i32 s11, s12, 31
	v_ashrrev_i32_e32 v6, 31, v0
	v_and_b32_e32 v0, 1, v24
	s_lshl_b32 s18, s12, 8
	v_cmp_gt_u32_e64 s[4:5], 64, v9
	v_lshlrev_b32_e32 v7, 3, v9
	buffer_store_dword v7, off, s[0:3], s32 offset:1224 ; 4-byte Folded Spill
	s_and_saveexec_b64 s[6:7], s[4:5]
	s_cbranch_execz .LBB328_4
; %bb.3:
	v_mul_lo_u32 v7, v17, s16
	s_ashr_i32 s19, s18, 31
	s_lshl_b64 s[12:13], s[18:19], 1
	v_ashrrev_i32_e32 v8, 31, v7
	v_lshlrev_b64 v[7:8], 1, v[7:8]
	v_add_co_u32_e32 v2, vcc, v2, v7
	v_addc_co_u32_e32 v3, vcc, v3, v8, vcc
	v_mov_b32_e32 v7, s13
	v_add_co_u32_e32 v2, vcc, s12, v2
	v_addc_co_u32_e32 v3, vcc, v3, v7, vcc
	v_lshlrev_b32_e32 v7, 3, v9
	v_add_co_u32_e32 v2, vcc, v2, v7
	v_addc_co_u32_e32 v3, vcc, 0, v3, vcc
	flat_load_dwordx2 v[2:3], v[2:3]
	v_lshlrev_b32_e32 v7, 2, v9
	v_and_b32_e32 v7, 0xff8, v7
	v_lshl_add_u32 v7, v0, 8, v7
	s_waitcnt vmcnt(0) lgkmcnt(0)
	ds_write_b64 v7, v[2:3]
.LBB328_4:
	s_or_b64 exec, exec, s[6:7]
	buffer_load_dword v2, off, s[0:3], s32 offset:68 ; 4-byte Folded Reload
	s_waitcnt vmcnt(0)
	v_add_u32_e32 v2, 31, v2
	v_ashrrev_i32_e32 v3, 31, v2
	v_lshrrev_b32_e32 v3, 27, v3
	v_add_u32_e32 v2, v2, v3
	v_mul_lo_u32 v3, v13, v1
	v_ashrrev_i32_e32 v8, 5, v2
	v_xor_b32_e32 v2, s11, v6
	v_add_u32_e32 v6, 1, v13
	v_sub_u32_e32 v3, s10, v3
	v_cmp_ge_u32_e32 vcc, v3, v1
	v_sub_u32_e32 v7, v3, v1
	v_cndmask_b32_e32 v6, v13, v6, vcc
	v_cndmask_b32_e32 v3, v3, v7, vcc
	v_add_u32_e32 v7, 1, v6
	v_cmp_ge_u32_e32 vcc, v3, v1
	v_cndmask_b32_e32 v1, v6, v7, vcc
	v_xor_b32_e32 v1, v1, v2
	v_sub_u32_e32 v6, v1, v2
	v_mul_lo_u32 v2, v14, s16
	buffer_store_dword v9, off, s[0:3], s32 offset:1156 ; 4-byte Folded Spill
	v_lshrrev_b32_e32 v9, 6, v9
                                        ; implicit-def: $vgpr7
	v_cmp_ge_i32_e64 s[6:7], v9, v8
	v_ashrrev_i32_e32 v3, 31, v2
	v_mbcnt_lo_u32_b32 v1, -1, 0
                                        ; kill: killed $vgpr7
                                        ; implicit-def: $vgpr7
	s_waitcnt vmcnt(0) lgkmcnt(0)
	s_barrier
	buffer_store_dword v8, off, s[0:3], s32 offset:80 ; 4-byte Folded Spill
	buffer_store_dword v9, off, s[0:3], s32 offset:76 ; 4-byte Folded Spill
                                        ; kill: killed $vgpr7
                                        ; implicit-def: $vgpr7
                                        ; kill: killed $vgpr7
	s_and_saveexec_b64 s[10:11], s[6:7]
	s_xor_b64 s[10:11], exec, s[10:11]
	s_cbranch_execz .LBB328_6
; %bb.5:
	v_mbcnt_hi_u32_b32 v0, -1, v1
	buffer_store_dword v0, off, s[0:3], s32 offset:1160 ; 4-byte Folded Spill
	v_and_b32_e32 v0, 64, v0
	buffer_store_dword v0, off, s[0:3], s32 offset:1196 ; 4-byte Folded Spill
	v_add_u32_e32 v0, 64, v0
	buffer_store_dword v0, off, s[0:3], s32 offset:1164 ; 4-byte Folded Spill
                                        ; implicit-def: $vgpr0
                                        ; kill: killed $vgpr0
                                        ; implicit-def: $vgpr0
                                        ; kill: killed $vgpr0
                                        ; implicit-def: $vgpr0
	buffer_store_dword v0, off, s[0:3], s32 offset:616 ; 4-byte Folded Spill
	s_nop 0
	buffer_store_dword v1, off, s[0:3], s32 offset:620 ; 4-byte Folded Spill
                                        ; implicit-def: $vgpr4
                                        ; implicit-def: $vgpr5
                                        ; implicit-def: $vgpr0
                                        ; implicit-def: $vgpr1
.LBB328_6:
	s_or_saveexec_b64 s[12:13], s[10:11]
	v_mul_lo_u32 v6, v6, v19
	v_mov_b32_e32 v7, 0xff7fffff
	v_lshlrev_b64 v[2:3], 2, v[2:3]
	s_load_dword s19, s[8:9], 0x14
	s_load_dword s17, s[8:9], 0x8
	buffer_store_dword v7, off, s[0:3], s32 offset:612 ; 4-byte Folded Spill
	buffer_store_dword v6, off, s[0:3], s32 offset:1188 ; 4-byte Folded Spill
	v_ashrrev_i32_e32 v6, 31, v6
	buffer_store_dword v6, off, s[0:3], s32 offset:1192 ; 4-byte Folded Spill
	buffer_store_dword v2, off, s[0:3], s32 offset:1176 ; 4-byte Folded Spill
	s_nop 0
	buffer_store_dword v3, off, s[0:3], s32 offset:1180 ; 4-byte Folded Spill
	buffer_load_dword v2, off, s[0:3], s32 offset:1156 ; 4-byte Folded Reload
	s_waitcnt vmcnt(0)
	v_lshrrev_b32_e32 v2, 4, v2
	buffer_store_dword v2, off, s[0:3], s32 offset:1184 ; 4-byte Folded Spill
	s_xor_b64 exec, exec, s[12:13]
	s_cbranch_execz .LBB328_780
; %bb.7:
	v_lshlrev_b32_e32 v2, 8, v0
	ds_read_b128 v[6:9], v2
	ds_read_b128 v[10:13], v2 offset:16
	v_mbcnt_hi_u32_b32 v1, -1, v1
	v_cmp_eq_u32_e64 s[8:9], 0, v0
	s_ashr_i32 s21, s20, 31
	s_waitcnt lgkmcnt(0)
	v_lshlrev_b32_e32 v3, 16, v6
	buffer_store_dword v3, off, s[0:3], s32 offset:624 ; 4-byte Folded Spill
	v_and_b32_e32 v3, 0xffff0000, v6
	buffer_store_dword v3, off, s[0:3], s32 offset:628 ; 4-byte Folded Spill
	v_lshlrev_b32_e32 v3, 16, v7
	buffer_store_dword v3, off, s[0:3], s32 offset:632 ; 4-byte Folded Spill
	v_and_b32_e32 v3, 0xffff0000, v7
	buffer_store_dword v3, off, s[0:3], s32 offset:636 ; 4-byte Folded Spill
	;; [unrolled: 4-line block ×5, first 2 shown]
	v_lshlrev_b32_e32 v3, 16, v11
	buffer_store_dword v3, off, s[0:3], s32 offset:664 ; 4-byte Folded Spill
	v_and_b32_e32 v3, 0xffff0000, v11
	ds_read_b128 v[6:9], v2 offset:32
	buffer_store_dword v3, off, s[0:3], s32 offset:668 ; 4-byte Folded Spill
	v_lshlrev_b32_e32 v3, 16, v12
	buffer_store_dword v3, off, s[0:3], s32 offset:672 ; 4-byte Folded Spill
	v_and_b32_e32 v3, 0xffff0000, v12
	buffer_store_dword v3, off, s[0:3], s32 offset:676 ; 4-byte Folded Spill
	v_lshlrev_b32_e32 v3, 16, v13
	buffer_store_dword v3, off, s[0:3], s32 offset:680 ; 4-byte Folded Spill
	v_and_b32_e32 v3, 0xffff0000, v13
	buffer_store_dword v3, off, s[0:3], s32 offset:684 ; 4-byte Folded Spill
	ds_read_b128 v[10:13], v2 offset:48
	s_waitcnt lgkmcnt(1)
	v_lshlrev_b32_e32 v3, 16, v6
	buffer_store_dword v3, off, s[0:3], s32 offset:688 ; 4-byte Folded Spill
	v_and_b32_e32 v3, 0xffff0000, v6
	buffer_store_dword v3, off, s[0:3], s32 offset:692 ; 4-byte Folded Spill
	v_lshlrev_b32_e32 v3, 16, v7
	buffer_store_dword v3, off, s[0:3], s32 offset:696 ; 4-byte Folded Spill
	v_and_b32_e32 v3, 0xffff0000, v7
	buffer_store_dword v3, off, s[0:3], s32 offset:700 ; 4-byte Folded Spill
	;; [unrolled: 4-line block ×4, first 2 shown]
	s_waitcnt lgkmcnt(0)
	v_lshlrev_b32_e32 v3, 16, v10
	buffer_store_dword v3, off, s[0:3], s32 offset:720 ; 4-byte Folded Spill
	v_and_b32_e32 v3, 0xffff0000, v10
	buffer_store_dword v3, off, s[0:3], s32 offset:724 ; 4-byte Folded Spill
	v_lshlrev_b32_e32 v3, 16, v11
	buffer_store_dword v3, off, s[0:3], s32 offset:728 ; 4-byte Folded Spill
	v_and_b32_e32 v3, 0xffff0000, v11
	ds_read_b128 v[6:9], v2 offset:64
	buffer_store_dword v3, off, s[0:3], s32 offset:732 ; 4-byte Folded Spill
	v_lshlrev_b32_e32 v3, 16, v12
	buffer_store_dword v3, off, s[0:3], s32 offset:736 ; 4-byte Folded Spill
	v_and_b32_e32 v3, 0xffff0000, v12
	buffer_store_dword v3, off, s[0:3], s32 offset:740 ; 4-byte Folded Spill
	v_lshlrev_b32_e32 v3, 16, v13
	buffer_store_dword v3, off, s[0:3], s32 offset:744 ; 4-byte Folded Spill
	v_and_b32_e32 v3, 0xffff0000, v13
	buffer_store_dword v3, off, s[0:3], s32 offset:748 ; 4-byte Folded Spill
	ds_read_b128 v[10:13], v2 offset:80
	s_waitcnt lgkmcnt(1)
	v_lshlrev_b32_e32 v3, 16, v6
	buffer_store_dword v3, off, s[0:3], s32 offset:752 ; 4-byte Folded Spill
	v_and_b32_e32 v3, 0xffff0000, v6
	buffer_store_dword v3, off, s[0:3], s32 offset:756 ; 4-byte Folded Spill
	v_lshlrev_b32_e32 v3, 16, v7
	buffer_store_dword v3, off, s[0:3], s32 offset:760 ; 4-byte Folded Spill
	v_and_b32_e32 v3, 0xffff0000, v7
	buffer_store_dword v3, off, s[0:3], s32 offset:764 ; 4-byte Folded Spill
	;; [unrolled: 4-line block ×4, first 2 shown]
	s_waitcnt lgkmcnt(0)
	v_lshlrev_b32_e32 v3, 16, v10
	buffer_store_dword v3, off, s[0:3], s32 offset:784 ; 4-byte Folded Spill
	v_and_b32_e32 v3, 0xffff0000, v10
	buffer_store_dword v3, off, s[0:3], s32 offset:788 ; 4-byte Folded Spill
	v_lshlrev_b32_e32 v3, 16, v11
	buffer_store_dword v3, off, s[0:3], s32 offset:792 ; 4-byte Folded Spill
	v_and_b32_e32 v3, 0xffff0000, v11
	buffer_store_dword v3, off, s[0:3], s32 offset:796 ; 4-byte Folded Spill
	;; [unrolled: 4-line block ×4, first 2 shown]
	ds_read_b128 v[6:9], v2 offset:96
	ds_read_b128 v[10:13], v2 offset:112
	s_lshl_b64 s[22:23], s[20:21], 2
	s_getpc_b64 s[24:25]
	s_add_u32 s24, s24, llvm.amdgcn.dynlds.offset.table@rel32@lo+4
	s_addc_u32 s25, s25, llvm.amdgcn.dynlds.offset.table@rel32@hi+12
	s_add_u32 s22, s24, s22
	s_waitcnt lgkmcnt(1)
	v_lshlrev_b32_e32 v3, 16, v6
	buffer_store_dword v3, off, s[0:3], s32 offset:816 ; 4-byte Folded Spill
	v_and_b32_e32 v3, 0xffff0000, v6
	buffer_store_dword v3, off, s[0:3], s32 offset:820 ; 4-byte Folded Spill
	v_lshlrev_b32_e32 v3, 16, v7
	buffer_store_dword v3, off, s[0:3], s32 offset:824 ; 4-byte Folded Spill
	v_and_b32_e32 v3, 0xffff0000, v7
	buffer_store_dword v3, off, s[0:3], s32 offset:828 ; 4-byte Folded Spill
	;; [unrolled: 4-line block ×4, first 2 shown]
	s_waitcnt lgkmcnt(0)
	v_lshlrev_b32_e32 v3, 16, v10
	buffer_store_dword v3, off, s[0:3], s32 offset:848 ; 4-byte Folded Spill
	v_and_b32_e32 v3, 0xffff0000, v10
	buffer_store_dword v3, off, s[0:3], s32 offset:852 ; 4-byte Folded Spill
	v_lshlrev_b32_e32 v3, 16, v11
	buffer_store_dword v3, off, s[0:3], s32 offset:856 ; 4-byte Folded Spill
	v_and_b32_e32 v3, 0xffff0000, v11
	buffer_store_dword v3, off, s[0:3], s32 offset:860 ; 4-byte Folded Spill
	;; [unrolled: 4-line block ×4, first 2 shown]
	ds_read_b128 v[6:9], v2 offset:128
	ds_read_b128 v[10:13], v2 offset:144
	s_addc_u32 s23, s25, s23
	s_mov_b64 s[24:25], 0
	s_movk_i32 s21, 0x80
	s_waitcnt lgkmcnt(1)
	v_lshlrev_b32_e32 v3, 16, v6
	buffer_store_dword v3, off, s[0:3], s32 offset:880 ; 4-byte Folded Spill
	v_and_b32_e32 v3, 0xffff0000, v6
	buffer_store_dword v3, off, s[0:3], s32 offset:884 ; 4-byte Folded Spill
	v_lshlrev_b32_e32 v3, 16, v7
	buffer_store_dword v3, off, s[0:3], s32 offset:888 ; 4-byte Folded Spill
	v_and_b32_e32 v3, 0xffff0000, v7
	buffer_store_dword v3, off, s[0:3], s32 offset:892 ; 4-byte Folded Spill
	;; [unrolled: 4-line block ×4, first 2 shown]
	s_waitcnt lgkmcnt(0)
	v_lshlrev_b32_e32 v3, 16, v10
	buffer_store_dword v3, off, s[0:3], s32 offset:912 ; 4-byte Folded Spill
	v_and_b32_e32 v3, 0xffff0000, v10
	buffer_store_dword v3, off, s[0:3], s32 offset:916 ; 4-byte Folded Spill
	v_lshlrev_b32_e32 v3, 16, v11
	buffer_store_dword v3, off, s[0:3], s32 offset:920 ; 4-byte Folded Spill
	v_and_b32_e32 v3, 0xffff0000, v11
	buffer_store_dword v3, off, s[0:3], s32 offset:924 ; 4-byte Folded Spill
	;; [unrolled: 4-line block ×4, first 2 shown]
	ds_read_b128 v[6:9], v2 offset:160
	ds_read_b128 v[10:13], v2 offset:176
	s_movk_i32 s42, 0x7f
	s_mov_b32 s43, 0xffffff
	s_movk_i32 s44, 0x7fff
	s_waitcnt lgkmcnt(1)
	v_lshlrev_b32_e32 v3, 16, v6
	buffer_store_dword v3, off, s[0:3], s32 offset:944 ; 4-byte Folded Spill
	v_and_b32_e32 v3, 0xffff0000, v6
	buffer_store_dword v3, off, s[0:3], s32 offset:948 ; 4-byte Folded Spill
	v_lshlrev_b32_e32 v3, 16, v7
	buffer_store_dword v3, off, s[0:3], s32 offset:952 ; 4-byte Folded Spill
	v_and_b32_e32 v3, 0xffff0000, v7
	buffer_store_dword v3, off, s[0:3], s32 offset:956 ; 4-byte Folded Spill
	;; [unrolled: 4-line block ×4, first 2 shown]
	s_waitcnt lgkmcnt(0)
	v_lshlrev_b32_e32 v3, 16, v10
	buffer_store_dword v3, off, s[0:3], s32 offset:976 ; 4-byte Folded Spill
	v_and_b32_e32 v3, 0xffff0000, v10
	buffer_store_dword v3, off, s[0:3], s32 offset:980 ; 4-byte Folded Spill
	v_lshlrev_b32_e32 v3, 16, v11
	buffer_store_dword v3, off, s[0:3], s32 offset:984 ; 4-byte Folded Spill
	v_and_b32_e32 v3, 0xffff0000, v11
	buffer_store_dword v3, off, s[0:3], s32 offset:988 ; 4-byte Folded Spill
	;; [unrolled: 4-line block ×4, first 2 shown]
	ds_read_b128 v[6:9], v2 offset:192
	ds_read_b128 v[10:13], v2 offset:208
	s_waitcnt lgkmcnt(1)
	v_lshlrev_b32_e32 v3, 16, v6
	buffer_store_dword v3, off, s[0:3], s32 offset:1008 ; 4-byte Folded Spill
	v_and_b32_e32 v3, 0xffff0000, v6
	buffer_store_dword v3, off, s[0:3], s32 offset:1012 ; 4-byte Folded Spill
	v_lshlrev_b32_e32 v3, 16, v7
	buffer_store_dword v3, off, s[0:3], s32 offset:1016 ; 4-byte Folded Spill
	v_and_b32_e32 v3, 0xffff0000, v7
	buffer_store_dword v3, off, s[0:3], s32 offset:1020 ; 4-byte Folded Spill
	;; [unrolled: 4-line block ×4, first 2 shown]
	s_waitcnt lgkmcnt(0)
	v_lshlrev_b32_e32 v3, 16, v10
	buffer_store_dword v3, off, s[0:3], s32 offset:1040 ; 4-byte Folded Spill
	v_and_b32_e32 v3, 0xffff0000, v10
	buffer_store_dword v3, off, s[0:3], s32 offset:1044 ; 4-byte Folded Spill
	v_lshlrev_b32_e32 v3, 16, v11
	buffer_store_dword v3, off, s[0:3], s32 offset:1048 ; 4-byte Folded Spill
	v_and_b32_e32 v3, 0xffff0000, v11
	buffer_store_dword v3, off, s[0:3], s32 offset:1052 ; 4-byte Folded Spill
	;; [unrolled: 4-line block ×4, first 2 shown]
	ds_read_b128 v[6:9], v2 offset:224
	ds_read_b128 v[10:13], v2 offset:240
	buffer_load_dword v3, off, s[0:3], s32 offset:1192 ; 4-byte Folded Reload
	s_waitcnt lgkmcnt(1)
	v_lshlrev_b32_e32 v2, 16, v6
	buffer_store_dword v2, off, s[0:3], s32 offset:1072 ; 4-byte Folded Spill
	v_and_b32_e32 v2, 0xffff0000, v6
	buffer_store_dword v2, off, s[0:3], s32 offset:1076 ; 4-byte Folded Spill
	v_lshlrev_b32_e32 v2, 16, v7
	buffer_store_dword v2, off, s[0:3], s32 offset:1080 ; 4-byte Folded Spill
	v_and_b32_e32 v2, 0xffff0000, v7
	buffer_store_dword v2, off, s[0:3], s32 offset:1084 ; 4-byte Folded Spill
	;; [unrolled: 4-line block ×4, first 2 shown]
	s_waitcnt lgkmcnt(0)
	v_lshlrev_b32_e32 v2, 16, v10
	buffer_store_dword v2, off, s[0:3], s32 offset:1104 ; 4-byte Folded Spill
	v_and_b32_e32 v2, 0xffff0000, v10
	buffer_store_dword v2, off, s[0:3], s32 offset:1108 ; 4-byte Folded Spill
	v_lshlrev_b32_e32 v2, 16, v11
	buffer_store_dword v2, off, s[0:3], s32 offset:1112 ; 4-byte Folded Spill
	v_and_b32_e32 v2, 0xffff0000, v11
	buffer_store_dword v2, off, s[0:3], s32 offset:1116 ; 4-byte Folded Spill
	;; [unrolled: 4-line block ×4, first 2 shown]
	buffer_load_dword v2, off, s[0:3], s32 offset:1188 ; 4-byte Folded Reload
	s_waitcnt vmcnt(0)
	v_add_co_u32_e32 v2, vcc, v4, v2
	buffer_load_dword v4, off, s[0:3], s32 offset:1156 ; 4-byte Folded Reload
	v_addc_co_u32_e32 v3, vcc, v5, v3, vcc
	s_waitcnt vmcnt(0)
	v_bfe_u32 v4, v4, 1, 5
	v_lshlrev_b32_e32 v5, 4, v4
	v_add_co_u32_e32 v2, vcc, v2, v5
	v_addc_co_u32_e32 v3, vcc, 0, v3, vcc
	buffer_store_dword v2, off, s[0:3], s32 offset:1136 ; 4-byte Folded Spill
	s_nop 0
	buffer_store_dword v3, off, s[0:3], s32 offset:1140 ; 4-byte Folded Spill
	buffer_load_dword v2, off, s[0:3], s32 offset:1184 ; 4-byte Folded Reload
	s_nop 0
	buffer_load_dword v5, off, s[0:3], s32 offset:1176 ; 4-byte Folded Reload
	buffer_load_dword v6, off, s[0:3], s32 offset:1180 ; 4-byte Folded Reload
	s_waitcnt vmcnt(2)
	v_and_b32_e32 v2, 60, v2
	s_waitcnt vmcnt(1)
	v_add_co_u32_e32 v2, vcc, v2, v5
	buffer_load_dword v5, off, s[0:3], s32 offset:1172 ; 4-byte Folded Reload
	s_waitcnt vmcnt(1)
	v_addc_co_u32_e32 v3, vcc, 0, v6, vcc
	buffer_store_dword v1, off, s[0:3], s32 offset:1160 ; 4-byte Folded Spill
	s_waitcnt vmcnt(1)
	v_add_co_u32_e32 v5, vcc, v5, v2
	buffer_load_dword v2, off, s[0:3], s32 offset:1168 ; 4-byte Folded Reload
	s_waitcnt vmcnt(0)
	v_addc_co_u32_e32 v6, vcc, v2, v3, vcc
	v_and_b32_e32 v2, 64, v1
	v_lshlrev_b32_e32 v3, 2, v0
	v_xor_b32_e32 v0, 1, v1
	buffer_store_dword v2, off, s[0:3], s32 offset:1196 ; 4-byte Folded Spill
	v_add_u32_e32 v2, 64, v2
	v_cmp_lt_i32_e32 vcc, v0, v2
	v_cndmask_b32_e32 v0, v1, v0, vcc
	v_lshlrev_b32_e32 v0, 2, v0
	buffer_store_dword v0, off, s[0:3], s32 offset:1144 ; 4-byte Folded Spill
	buffer_load_dword v0, off, s[0:3], s32 offset:1148 ; 4-byte Folded Reload
	s_nop 0
	buffer_load_dword v1, off, s[0:3], s32 offset:76 ; 4-byte Folded Reload
	s_waitcnt vmcnt(1)
	v_cmp_neq_f32_e64 s[10:11], 0, v0
	buffer_store_dword v2, off, s[0:3], s32 offset:1164 ; 4-byte Folded Spill
	s_waitcnt vmcnt(1)
	v_lshl_or_b32 v0, v1, 5, v4
	buffer_store_dword v0, off, s[0:3], s32 offset:364 ; 4-byte Folded Spill
	v_lshlrev_b32_e32 v0, 2, v4
	v_lshl_or_b32 v0, v1, 7, v0
	buffer_store_dword v0, off, s[0:3], s32 offset:368 ; 4-byte Folded Spill
	v_or_b32_e32 v0, 8, v3
	buffer_store_dword v0, off, s[0:3], s32 offset:72 ; 4-byte Folded Spill
	v_mov_b32_e32 v0, 0xff7fffff
	v_mov_b32_e32 v7, v1
	buffer_store_dword v3, off, s[0:3], s32 offset:64 ; 4-byte Folded Spill
	buffer_store_dword v0, off, s[0:3], s32 offset:612 ; 4-byte Folded Spill
	s_branch .LBB328_9
.LBB328_8:                              ;   in Loop: Header=BB328_9 Depth=1
	s_or_b64 exec, exec, s[26:27]
	buffer_load_dword v5, off, s[0:3], s32 offset:372 ; 4-byte Folded Reload
	buffer_load_dword v6, off, s[0:3], s32 offset:376 ; 4-byte Folded Reload
	;; [unrolled: 1-line block ×3, first 2 shown]
	s_waitcnt vmcnt(3)
	v_add_u32_e32 v7, 2, v7
	s_waitcnt vmcnt(2)
	v_add_co_u32_e32 v5, vcc, 8, v5
	s_waitcnt vmcnt(0)
	v_add_u32_e32 v0, 64, v0
	buffer_store_dword v0, off, s[0:3], s32 offset:364 ; 4-byte Folded Spill
	buffer_load_dword v0, off, s[0:3], s32 offset:80 ; 4-byte Folded Reload
	v_addc_co_u32_e32 v6, vcc, 0, v6, vcc
	s_waitcnt vmcnt(0)
	v_cmp_ge_i32_e32 vcc, v7, v0
	buffer_load_dword v0, off, s[0:3], s32 offset:368 ; 4-byte Folded Reload
	s_or_b64 s[24:25], vcc, s[24:25]
	s_waitcnt vmcnt(0)
	v_add_u32_e32 v0, 0x100, v0
	buffer_store_dword v0, off, s[0:3], s32 offset:368 ; 4-byte Folded Spill
	s_andn2_b64 exec, exec, s[24:25]
	s_cbranch_execz .LBB328_779
.LBB328_9:                              ; =>This Inner Loop Header: Depth=1
	buffer_store_dword v7, off, s[0:3], s32 offset:380 ; 4-byte Folded Spill
	buffer_store_dword v5, off, s[0:3], s32 offset:372 ; 4-byte Folded Spill
	s_nop 0
	buffer_store_dword v6, off, s[0:3], s32 offset:376 ; 4-byte Folded Spill
	v_mov_b32_e32 v61, 0
	flat_load_dword v0, v[5:6]
	s_waitcnt lgkmcnt(0)
	buffer_load_dword v1, off, s[0:3], s32 offset:420 ; 4-byte Folded Reload
	buffer_load_dword v2, off, s[0:3], s32 offset:1136 ; 4-byte Folded Reload
	buffer_load_dword v3, off, s[0:3], s32 offset:1140 ; 4-byte Folded Reload
	s_waitcnt vmcnt(0) lgkmcnt(0)
	v_mad_i64_i32 v[14:15], s[26:27], v0, v1, v[2:3]
	buffer_load_dword v0, off, s[0:3], s32 offset:64 ; 4-byte Folded Reload
	s_waitcnt vmcnt(0)
	v_add_co_u32_e32 v16, vcc, v14, v0
	v_addc_co_u32_e32 v17, vcc, 0, v15, vcc
	flat_load_dword v8, v[16:17]
	buffer_load_dword v0, off, s[0:3], s32 offset:616 ; 4-byte Folded Reload
	buffer_load_dword v1, off, s[0:3], s32 offset:620 ; 4-byte Folded Reload
	s_waitcnt vmcnt(0)
	flat_load_dword v28, v[0:1]
	v_mov_b32_e32 v0, 0
	s_waitcnt lgkmcnt(0)
	v_cmp_ne_u16_sdwa s[28:29], v8, v0 src0_sel:BYTE_0 src1_sel:DWORD
	s_and_saveexec_b64 s[26:27], s[28:29]
	s_cbranch_execz .LBB328_15
; %bb.10:                               ;   in Loop: Header=BB328_9 Depth=1
	v_cmp_ne_u16_sdwa s[40:41], v8, s21 src0_sel:BYTE_0 src1_sel:DWORD
	v_bfrev_b32_e32 v61, 1
	s_and_saveexec_b64 s[28:29], s[40:41]
	s_cbranch_execz .LBB328_14
; %bb.11:                               ;   in Loop: Header=BB328_9 Depth=1
	v_and_b32_e32 v0, 0x7f, v8
	v_cmp_ne_u32_e32 vcc, s42, v0
	v_mov_b32_e32 v61, 0x7f800001
	s_and_saveexec_b64 s[40:41], vcc
	s_cbranch_execz .LBB328_13
; %bb.12:                               ;   in Loop: Header=BB328_9 Depth=1
	v_and_b32_e32 v2, 7, v8
	v_lshrrev_b32_e32 v3, 3, v0
	v_cmp_gt_u32_e32 vcc, 8, v0
	v_ffbh_u32_e32 v0, v2
	v_min_u32_e32 v4, 32, v0
	v_subrev_u32_e32 v0, 28, v4
	v_lshlrev_b64 v[0:1], v0, v[8:9]
	v_sub_u32_e32 v1, 29, v4
	v_and_b32_e32 v0, 7, v0
	v_cndmask_b32_e32 v1, v3, v1, vcc
	v_cndmask_b32_e32 v0, v2, v0, vcc
	v_lshlrev_b32_e32 v2, 24, v8
	v_bfrev_b32_e32 v3, 60
	v_lshlrev_b32_e32 v0, 20, v0
	v_and_b32_e32 v2, 0x80000000, v2
	v_lshl_add_u32 v1, v1, 23, v3
	v_or3_b32 v61, v2, v1, v0
.LBB328_13:                             ;   in Loop: Header=BB328_9 Depth=1
	s_or_b64 exec, exec, s[40:41]
.LBB328_14:                             ;   in Loop: Header=BB328_9 Depth=1
	s_or_b64 exec, exec, s[28:29]
.LBB328_15:                             ;   in Loop: Header=BB328_9 Depth=1
	s_or_b64 exec, exec, s[26:27]
	v_lshrrev_b16_e32 v19, 8, v8
	v_cmp_ne_u16_e32 vcc, 0, v19
	v_mov_b32_e32 v26, 0
	v_mov_b32_e32 v63, 0
	s_and_saveexec_b64 s[26:27], vcc
	s_cbranch_execz .LBB328_21
; %bb.16:                               ;   in Loop: Header=BB328_9 Depth=1
	v_cmp_ne_u16_e32 vcc, s21, v19
	v_bfrev_b32_e32 v63, 1
	s_and_saveexec_b64 s[28:29], vcc
	s_cbranch_execz .LBB328_20
; %bb.17:                               ;   in Loop: Header=BB328_9 Depth=1
	v_and_b32_e32 v0, 0x7f, v19
	v_cmp_ne_u32_e32 vcc, s42, v0
	v_mov_b32_e32 v63, 0x7f800001
	s_and_saveexec_b64 s[40:41], vcc
	s_cbranch_execz .LBB328_19
; %bb.18:                               ;   in Loop: Header=BB328_9 Depth=1
	v_and_b32_e32 v2, 7, v19
	v_lshrrev_b32_e32 v3, 3, v0
	v_cmp_gt_u32_e32 vcc, 8, v0
	v_ffbh_u32_e32 v0, v2
	v_min_u32_e32 v4, 32, v0
	v_subrev_u32_e32 v0, 28, v4
	v_lshlrev_b64 v[0:1], v0, v[19:20]
	v_sub_u32_e32 v1, 29, v4
	v_and_b32_e32 v0, 7, v0
	v_cndmask_b32_e32 v1, v3, v1, vcc
	v_cndmask_b32_e32 v0, v2, v0, vcc
	v_lshlrev_b32_e32 v2, 16, v8
	v_bfrev_b32_e32 v3, 60
	v_lshlrev_b32_e32 v0, 20, v0
	v_and_b32_e32 v2, 0x80000000, v2
	v_lshl_add_u32 v1, v1, 23, v3
	v_or3_b32 v63, v2, v1, v0
.LBB328_19:                             ;   in Loop: Header=BB328_9 Depth=1
	s_or_b64 exec, exec, s[40:41]
.LBB328_20:                             ;   in Loop: Header=BB328_9 Depth=1
	s_or_b64 exec, exec, s[28:29]
.LBB328_21:                             ;   in Loop: Header=BB328_9 Depth=1
	s_or_b64 exec, exec, s[26:27]
	v_lshrrev_b32_e32 v19, 16, v8
	v_mov_b32_e32 v0, 0
	v_cmp_ne_u16_sdwa s[28:29], v19, v0 src0_sel:BYTE_0 src1_sel:DWORD
	s_and_saveexec_b64 s[26:27], s[28:29]
	s_cbranch_execz .LBB328_27
; %bb.22:                               ;   in Loop: Header=BB328_9 Depth=1
	v_cmp_ne_u16_sdwa s[40:41], v19, s21 src0_sel:BYTE_0 src1_sel:DWORD
	v_bfrev_b32_e32 v26, 1
	s_and_saveexec_b64 s[28:29], s[40:41]
	s_cbranch_execz .LBB328_26
; %bb.23:                               ;   in Loop: Header=BB328_9 Depth=1
	v_bfe_u32 v0, v8, 16, 7
	v_cmp_ne_u32_e32 vcc, s42, v0
	v_mov_b32_e32 v26, 0x7f800001
	s_and_saveexec_b64 s[40:41], vcc
	s_cbranch_execz .LBB328_25
; %bb.24:                               ;   in Loop: Header=BB328_9 Depth=1
	v_and_b32_e32 v2, 7, v19
	v_lshrrev_b32_e32 v3, 3, v0
	v_cmp_gt_u32_e32 vcc, 8, v0
	v_ffbh_u32_e32 v0, v2
	v_min_u32_e32 v4, 32, v0
	v_subrev_u32_e32 v0, 28, v4
	v_lshlrev_b64 v[0:1], v0, v[19:20]
	v_sub_u32_e32 v1, 29, v4
	v_and_b32_e32 v0, 7, v0
	v_cndmask_b32_e32 v1, v3, v1, vcc
	v_cndmask_b32_e32 v0, v2, v0, vcc
	v_lshlrev_b32_e32 v2, 24, v19
	v_bfrev_b32_e32 v3, 60
	v_lshlrev_b32_e32 v0, 20, v0
	v_and_b32_e32 v2, 0x80000000, v2
	v_lshl_add_u32 v1, v1, 23, v3
	v_or3_b32 v26, v2, v1, v0
.LBB328_25:                             ;   in Loop: Header=BB328_9 Depth=1
	s_or_b64 exec, exec, s[40:41]
.LBB328_26:                             ;   in Loop: Header=BB328_9 Depth=1
	s_or_b64 exec, exec, s[28:29]
.LBB328_27:                             ;   in Loop: Header=BB328_9 Depth=1
	s_or_b64 exec, exec, s[26:27]
	v_mov_b32_e32 v0, 0
	v_cmp_lt_u32_e32 vcc, s43, v8
	buffer_store_dword v0, off, s[0:3], s32 offset:84 ; 4-byte Folded Spill
	v_mov_b32_e32 v0, 0
	buffer_store_dword v0, off, s[0:3], s32 offset:292 ; 4-byte Folded Spill
	s_and_saveexec_b64 s[26:27], vcc
	s_cbranch_execz .LBB328_33
; %bb.28:                               ;   in Loop: Header=BB328_9 Depth=1
	v_lshrrev_b32_e32 v19, 24, v8
	v_cmp_ne_u32_e32 vcc, s21, v19
	v_bfrev_b32_e32 v0, 1
	buffer_store_dword v0, off, s[0:3], s32 offset:292 ; 4-byte Folded Spill
	s_and_saveexec_b64 s[28:29], vcc
	s_cbranch_execz .LBB328_32
; %bb.29:                               ;   in Loop: Header=BB328_9 Depth=1
	v_bfe_u32 v0, v8, 24, 7
	v_cmp_ne_u32_e32 vcc, s42, v0
	v_mov_b32_e32 v1, 0x7f800001
	s_and_saveexec_b64 s[40:41], vcc
	s_cbranch_execz .LBB328_31
; %bb.30:                               ;   in Loop: Header=BB328_9 Depth=1
	v_and_b32_e32 v2, 7, v19
	v_lshrrev_b32_e32 v3, 3, v0
	v_cmp_gt_u32_e32 vcc, 8, v0
	v_ffbh_u32_e32 v0, v2
	v_min_u32_e32 v4, 32, v0
	v_subrev_u32_e32 v0, 28, v4
	v_lshlrev_b64 v[0:1], v0, v[19:20]
	v_sub_u32_e32 v1, 29, v4
	v_and_b32_e32 v0, 7, v0
	v_cndmask_b32_e32 v1, v3, v1, vcc
	v_cndmask_b32_e32 v0, v2, v0, vcc
	v_lshlrev_b32_e32 v2, 24, v19
	v_bfrev_b32_e32 v3, 60
	v_lshlrev_b32_e32 v0, 20, v0
	v_and_b32_e32 v2, 0x80000000, v2
	v_lshl_add_u32 v1, v1, 23, v3
	v_or3_b32 v1, v2, v1, v0
.LBB328_31:                             ;   in Loop: Header=BB328_9 Depth=1
	s_or_b64 exec, exec, s[40:41]
	buffer_store_dword v1, off, s[0:3], s32 offset:292 ; 4-byte Folded Spill
.LBB328_32:                             ;   in Loop: Header=BB328_9 Depth=1
	s_or_b64 exec, exec, s[28:29]
.LBB328_33:                             ;   in Loop: Header=BB328_9 Depth=1
	s_or_b64 exec, exec, s[26:27]
	flat_load_dword v8, v[16:17] offset:8
	v_mov_b32_e32 v0, 0
	s_waitcnt vmcnt(0) lgkmcnt(0)
	v_cmp_ne_u16_sdwa s[28:29], v8, v0 src0_sel:BYTE_0 src1_sel:DWORD
	s_and_saveexec_b64 s[26:27], s[28:29]
	s_cbranch_execz .LBB328_39
; %bb.34:                               ;   in Loop: Header=BB328_9 Depth=1
	v_cmp_ne_u16_sdwa s[40:41], v8, s21 src0_sel:BYTE_0 src1_sel:DWORD
	v_bfrev_b32_e32 v0, 1
	buffer_store_dword v0, off, s[0:3], s32 offset:84 ; 4-byte Folded Spill
	s_and_saveexec_b64 s[28:29], s[40:41]
	s_cbranch_execz .LBB328_38
; %bb.35:                               ;   in Loop: Header=BB328_9 Depth=1
	v_and_b32_e32 v0, 0x7f, v8
	v_cmp_ne_u32_e32 vcc, s42, v0
	v_mov_b32_e32 v1, 0x7f800001
	buffer_store_dword v1, off, s[0:3], s32 offset:84 ; 4-byte Folded Spill
	s_and_saveexec_b64 s[40:41], vcc
	s_cbranch_execz .LBB328_37
; %bb.36:                               ;   in Loop: Header=BB328_9 Depth=1
	v_and_b32_e32 v2, 7, v8
	v_lshrrev_b32_e32 v3, 3, v0
	v_cmp_gt_u32_e32 vcc, 8, v0
	v_ffbh_u32_e32 v0, v2
	v_min_u32_e32 v4, 32, v0
	v_subrev_u32_e32 v0, 28, v4
	v_lshlrev_b64 v[0:1], v0, v[8:9]
	v_sub_u32_e32 v1, 29, v4
	v_and_b32_e32 v0, 7, v0
	v_cndmask_b32_e32 v1, v3, v1, vcc
	v_cndmask_b32_e32 v0, v2, v0, vcc
	v_lshlrev_b32_e32 v2, 24, v8
	v_bfrev_b32_e32 v3, 60
	v_lshlrev_b32_e32 v0, 20, v0
	v_and_b32_e32 v2, 0x80000000, v2
	v_lshl_add_u32 v1, v1, 23, v3
	v_or3_b32 v0, v2, v1, v0
	buffer_store_dword v0, off, s[0:3], s32 offset:84 ; 4-byte Folded Spill
.LBB328_37:                             ;   in Loop: Header=BB328_9 Depth=1
	s_or_b64 exec, exec, s[40:41]
.LBB328_38:                             ;   in Loop: Header=BB328_9 Depth=1
	s_or_b64 exec, exec, s[28:29]
.LBB328_39:                             ;   in Loop: Header=BB328_9 Depth=1
	s_or_b64 exec, exec, s[26:27]
	v_lshrrev_b16_e32 v19, 8, v8
	v_mov_b32_e32 v0, 0
	v_cmp_ne_u16_e32 vcc, 0, v19
	buffer_store_dword v0, off, s[0:3], s32 offset:92 ; 4-byte Folded Spill
	v_mov_b32_e32 v0, 0
	buffer_store_dword v0, off, s[0:3], s32 offset:88 ; 4-byte Folded Spill
	s_and_saveexec_b64 s[26:27], vcc
	s_cbranch_execz .LBB328_45
; %bb.40:                               ;   in Loop: Header=BB328_9 Depth=1
	v_cmp_ne_u16_e32 vcc, s21, v19
	v_bfrev_b32_e32 v0, 1
	buffer_store_dword v0, off, s[0:3], s32 offset:88 ; 4-byte Folded Spill
	s_and_saveexec_b64 s[28:29], vcc
	s_cbranch_execz .LBB328_44
; %bb.41:                               ;   in Loop: Header=BB328_9 Depth=1
	v_and_b32_e32 v0, 0x7f, v19
	v_cmp_ne_u32_e32 vcc, s42, v0
	v_mov_b32_e32 v1, 0x7f800001
	buffer_store_dword v1, off, s[0:3], s32 offset:88 ; 4-byte Folded Spill
	s_and_saveexec_b64 s[40:41], vcc
	s_cbranch_execz .LBB328_43
; %bb.42:                               ;   in Loop: Header=BB328_9 Depth=1
	v_and_b32_e32 v2, 7, v19
	v_lshrrev_b32_e32 v3, 3, v0
	v_cmp_gt_u32_e32 vcc, 8, v0
	v_ffbh_u32_e32 v0, v2
	v_min_u32_e32 v4, 32, v0
	v_subrev_u32_e32 v0, 28, v4
	v_lshlrev_b64 v[0:1], v0, v[19:20]
	v_sub_u32_e32 v1, 29, v4
	v_and_b32_e32 v0, 7, v0
	v_cndmask_b32_e32 v1, v3, v1, vcc
	v_cndmask_b32_e32 v0, v2, v0, vcc
	v_lshlrev_b32_e32 v2, 16, v8
	v_bfrev_b32_e32 v3, 60
	v_lshlrev_b32_e32 v0, 20, v0
	v_and_b32_e32 v2, 0x80000000, v2
	v_lshl_add_u32 v1, v1, 23, v3
	v_or3_b32 v0, v2, v1, v0
	buffer_store_dword v0, off, s[0:3], s32 offset:88 ; 4-byte Folded Spill
.LBB328_43:                             ;   in Loop: Header=BB328_9 Depth=1
	s_or_b64 exec, exec, s[40:41]
.LBB328_44:                             ;   in Loop: Header=BB328_9 Depth=1
	s_or_b64 exec, exec, s[28:29]
.LBB328_45:                             ;   in Loop: Header=BB328_9 Depth=1
	s_or_b64 exec, exec, s[26:27]
	v_lshrrev_b32_e32 v19, 16, v8
	v_mov_b32_e32 v0, 0
	v_cmp_ne_u16_sdwa s[28:29], v19, v0 src0_sel:BYTE_0 src1_sel:DWORD
	s_and_saveexec_b64 s[26:27], s[28:29]
	s_cbranch_execz .LBB328_51
; %bb.46:                               ;   in Loop: Header=BB328_9 Depth=1
	v_cmp_ne_u16_sdwa s[40:41], v19, s21 src0_sel:BYTE_0 src1_sel:DWORD
	v_bfrev_b32_e32 v0, 1
	buffer_store_dword v0, off, s[0:3], s32 offset:92 ; 4-byte Folded Spill
	s_and_saveexec_b64 s[28:29], s[40:41]
	s_cbranch_execz .LBB328_50
; %bb.47:                               ;   in Loop: Header=BB328_9 Depth=1
	v_bfe_u32 v0, v8, 16, 7
	v_cmp_ne_u32_e32 vcc, s42, v0
	v_mov_b32_e32 v1, 0x7f800001
	buffer_store_dword v1, off, s[0:3], s32 offset:92 ; 4-byte Folded Spill
	s_and_saveexec_b64 s[40:41], vcc
	s_cbranch_execz .LBB328_49
; %bb.48:                               ;   in Loop: Header=BB328_9 Depth=1
	v_and_b32_e32 v2, 7, v19
	v_lshrrev_b32_e32 v3, 3, v0
	v_cmp_gt_u32_e32 vcc, 8, v0
	v_ffbh_u32_e32 v0, v2
	v_min_u32_e32 v4, 32, v0
	v_subrev_u32_e32 v0, 28, v4
	v_lshlrev_b64 v[0:1], v0, v[19:20]
	v_sub_u32_e32 v1, 29, v4
	v_and_b32_e32 v0, 7, v0
	v_cndmask_b32_e32 v1, v3, v1, vcc
	v_cndmask_b32_e32 v0, v2, v0, vcc
	v_lshlrev_b32_e32 v2, 24, v19
	v_bfrev_b32_e32 v3, 60
	v_lshlrev_b32_e32 v0, 20, v0
	v_and_b32_e32 v2, 0x80000000, v2
	v_lshl_add_u32 v1, v1, 23, v3
	v_or3_b32 v0, v2, v1, v0
	buffer_store_dword v0, off, s[0:3], s32 offset:92 ; 4-byte Folded Spill
.LBB328_49:                             ;   in Loop: Header=BB328_9 Depth=1
	s_or_b64 exec, exec, s[40:41]
.LBB328_50:                             ;   in Loop: Header=BB328_9 Depth=1
	s_or_b64 exec, exec, s[28:29]
.LBB328_51:                             ;   in Loop: Header=BB328_9 Depth=1
	s_or_b64 exec, exec, s[26:27]
	v_mov_b32_e32 v0, 0
	v_cmp_lt_u32_e32 vcc, s43, v8
	buffer_store_dword v0, off, s[0:3], s32 offset:96 ; 4-byte Folded Spill
	v_mov_b32_e32 v0, 0
	buffer_store_dword v0, off, s[0:3], s32 offset:296 ; 4-byte Folded Spill
	s_and_saveexec_b64 s[26:27], vcc
	s_cbranch_execz .LBB328_57
; %bb.52:                               ;   in Loop: Header=BB328_9 Depth=1
	v_lshrrev_b32_e32 v19, 24, v8
	v_cmp_ne_u32_e32 vcc, s21, v19
	v_bfrev_b32_e32 v0, 1
	buffer_store_dword v0, off, s[0:3], s32 offset:296 ; 4-byte Folded Spill
	s_and_saveexec_b64 s[28:29], vcc
	s_cbranch_execz .LBB328_56
; %bb.53:                               ;   in Loop: Header=BB328_9 Depth=1
	v_bfe_u32 v0, v8, 24, 7
	v_cmp_ne_u32_e32 vcc, s42, v0
	v_mov_b32_e32 v1, 0x7f800001
	s_and_saveexec_b64 s[40:41], vcc
	s_cbranch_execz .LBB328_55
; %bb.54:                               ;   in Loop: Header=BB328_9 Depth=1
	v_and_b32_e32 v2, 7, v19
	v_lshrrev_b32_e32 v3, 3, v0
	v_cmp_gt_u32_e32 vcc, 8, v0
	v_ffbh_u32_e32 v0, v2
	v_min_u32_e32 v4, 32, v0
	v_subrev_u32_e32 v0, 28, v4
	v_lshlrev_b64 v[0:1], v0, v[19:20]
	v_sub_u32_e32 v1, 29, v4
	v_and_b32_e32 v0, 7, v0
	v_cndmask_b32_e32 v1, v3, v1, vcc
	v_cndmask_b32_e32 v0, v2, v0, vcc
	v_lshlrev_b32_e32 v2, 24, v19
	v_bfrev_b32_e32 v3, 60
	v_lshlrev_b32_e32 v0, 20, v0
	v_and_b32_e32 v2, 0x80000000, v2
	v_lshl_add_u32 v1, v1, 23, v3
	v_or3_b32 v1, v2, v1, v0
.LBB328_55:                             ;   in Loop: Header=BB328_9 Depth=1
	s_or_b64 exec, exec, s[40:41]
	buffer_store_dword v1, off, s[0:3], s32 offset:296 ; 4-byte Folded Spill
.LBB328_56:                             ;   in Loop: Header=BB328_9 Depth=1
	s_or_b64 exec, exec, s[28:29]
.LBB328_57:                             ;   in Loop: Header=BB328_9 Depth=1
	s_or_b64 exec, exec, s[26:27]
	flat_load_dword v8, v[16:17] offset:512
	v_mov_b32_e32 v0, 0
	s_waitcnt vmcnt(0) lgkmcnt(0)
	v_cmp_ne_u16_sdwa s[28:29], v8, v0 src0_sel:BYTE_0 src1_sel:DWORD
	s_and_saveexec_b64 s[26:27], s[28:29]
	s_cbranch_execz .LBB328_63
; %bb.58:                               ;   in Loop: Header=BB328_9 Depth=1
	v_cmp_ne_u16_sdwa s[40:41], v8, s21 src0_sel:BYTE_0 src1_sel:DWORD
	v_bfrev_b32_e32 v0, 1
	buffer_store_dword v0, off, s[0:3], s32 offset:96 ; 4-byte Folded Spill
	s_and_saveexec_b64 s[28:29], s[40:41]
	s_cbranch_execz .LBB328_62
; %bb.59:                               ;   in Loop: Header=BB328_9 Depth=1
	v_and_b32_e32 v0, 0x7f, v8
	v_cmp_ne_u32_e32 vcc, s42, v0
	v_mov_b32_e32 v1, 0x7f800001
	buffer_store_dword v1, off, s[0:3], s32 offset:96 ; 4-byte Folded Spill
	s_and_saveexec_b64 s[40:41], vcc
	s_cbranch_execz .LBB328_61
; %bb.60:                               ;   in Loop: Header=BB328_9 Depth=1
	v_and_b32_e32 v2, 7, v8
	v_lshrrev_b32_e32 v3, 3, v0
	v_cmp_gt_u32_e32 vcc, 8, v0
	v_ffbh_u32_e32 v0, v2
	v_min_u32_e32 v4, 32, v0
	v_subrev_u32_e32 v0, 28, v4
	v_lshlrev_b64 v[0:1], v0, v[8:9]
	v_sub_u32_e32 v1, 29, v4
	v_and_b32_e32 v0, 7, v0
	v_cndmask_b32_e32 v1, v3, v1, vcc
	v_cndmask_b32_e32 v0, v2, v0, vcc
	v_lshlrev_b32_e32 v2, 24, v8
	v_bfrev_b32_e32 v3, 60
	v_lshlrev_b32_e32 v0, 20, v0
	v_and_b32_e32 v2, 0x80000000, v2
	v_lshl_add_u32 v1, v1, 23, v3
	v_or3_b32 v0, v2, v1, v0
	buffer_store_dword v0, off, s[0:3], s32 offset:96 ; 4-byte Folded Spill
.LBB328_61:                             ;   in Loop: Header=BB328_9 Depth=1
	s_or_b64 exec, exec, s[40:41]
.LBB328_62:                             ;   in Loop: Header=BB328_9 Depth=1
	s_or_b64 exec, exec, s[28:29]
.LBB328_63:                             ;   in Loop: Header=BB328_9 Depth=1
	s_or_b64 exec, exec, s[26:27]
	v_lshrrev_b16_e32 v19, 8, v8
	v_mov_b32_e32 v0, 0
	v_cmp_ne_u16_e32 vcc, 0, v19
	buffer_store_dword v0, off, s[0:3], s32 offset:104 ; 4-byte Folded Spill
	v_mov_b32_e32 v0, 0
	buffer_store_dword v0, off, s[0:3], s32 offset:100 ; 4-byte Folded Spill
	s_and_saveexec_b64 s[26:27], vcc
	s_cbranch_execz .LBB328_69
; %bb.64:                               ;   in Loop: Header=BB328_9 Depth=1
	v_cmp_ne_u16_e32 vcc, s21, v19
	v_bfrev_b32_e32 v0, 1
	buffer_store_dword v0, off, s[0:3], s32 offset:100 ; 4-byte Folded Spill
	s_and_saveexec_b64 s[28:29], vcc
	s_cbranch_execz .LBB328_68
; %bb.65:                               ;   in Loop: Header=BB328_9 Depth=1
	v_and_b32_e32 v0, 0x7f, v19
	v_cmp_ne_u32_e32 vcc, s42, v0
	v_mov_b32_e32 v1, 0x7f800001
	buffer_store_dword v1, off, s[0:3], s32 offset:100 ; 4-byte Folded Spill
	s_and_saveexec_b64 s[40:41], vcc
	s_cbranch_execz .LBB328_67
; %bb.66:                               ;   in Loop: Header=BB328_9 Depth=1
	v_and_b32_e32 v2, 7, v19
	v_lshrrev_b32_e32 v3, 3, v0
	v_cmp_gt_u32_e32 vcc, 8, v0
	v_ffbh_u32_e32 v0, v2
	v_min_u32_e32 v4, 32, v0
	v_subrev_u32_e32 v0, 28, v4
	v_lshlrev_b64 v[0:1], v0, v[19:20]
	v_sub_u32_e32 v1, 29, v4
	v_and_b32_e32 v0, 7, v0
	v_cndmask_b32_e32 v1, v3, v1, vcc
	v_cndmask_b32_e32 v0, v2, v0, vcc
	v_lshlrev_b32_e32 v2, 16, v8
	v_bfrev_b32_e32 v3, 60
	v_lshlrev_b32_e32 v0, 20, v0
	v_and_b32_e32 v2, 0x80000000, v2
	v_lshl_add_u32 v1, v1, 23, v3
	v_or3_b32 v0, v2, v1, v0
	buffer_store_dword v0, off, s[0:3], s32 offset:100 ; 4-byte Folded Spill
.LBB328_67:                             ;   in Loop: Header=BB328_9 Depth=1
	s_or_b64 exec, exec, s[40:41]
.LBB328_68:                             ;   in Loop: Header=BB328_9 Depth=1
	s_or_b64 exec, exec, s[28:29]
.LBB328_69:                             ;   in Loop: Header=BB328_9 Depth=1
	s_or_b64 exec, exec, s[26:27]
	v_lshrrev_b32_e32 v19, 16, v8
	v_mov_b32_e32 v0, 0
	v_cmp_ne_u16_sdwa s[28:29], v19, v0 src0_sel:BYTE_0 src1_sel:DWORD
	s_and_saveexec_b64 s[26:27], s[28:29]
	s_cbranch_execz .LBB328_75
; %bb.70:                               ;   in Loop: Header=BB328_9 Depth=1
	v_cmp_ne_u16_sdwa s[40:41], v19, s21 src0_sel:BYTE_0 src1_sel:DWORD
	v_bfrev_b32_e32 v0, 1
	buffer_store_dword v0, off, s[0:3], s32 offset:104 ; 4-byte Folded Spill
	s_and_saveexec_b64 s[28:29], s[40:41]
	s_cbranch_execz .LBB328_74
; %bb.71:                               ;   in Loop: Header=BB328_9 Depth=1
	v_bfe_u32 v0, v8, 16, 7
	v_cmp_ne_u32_e32 vcc, s42, v0
	v_mov_b32_e32 v1, 0x7f800001
	buffer_store_dword v1, off, s[0:3], s32 offset:104 ; 4-byte Folded Spill
	s_and_saveexec_b64 s[40:41], vcc
	s_cbranch_execz .LBB328_73
; %bb.72:                               ;   in Loop: Header=BB328_9 Depth=1
	v_and_b32_e32 v2, 7, v19
	v_lshrrev_b32_e32 v3, 3, v0
	v_cmp_gt_u32_e32 vcc, 8, v0
	v_ffbh_u32_e32 v0, v2
	v_min_u32_e32 v4, 32, v0
	v_subrev_u32_e32 v0, 28, v4
	v_lshlrev_b64 v[0:1], v0, v[19:20]
	v_sub_u32_e32 v1, 29, v4
	v_and_b32_e32 v0, 7, v0
	v_cndmask_b32_e32 v1, v3, v1, vcc
	v_cndmask_b32_e32 v0, v2, v0, vcc
	v_lshlrev_b32_e32 v2, 24, v19
	v_bfrev_b32_e32 v3, 60
	v_lshlrev_b32_e32 v0, 20, v0
	v_and_b32_e32 v2, 0x80000000, v2
	v_lshl_add_u32 v1, v1, 23, v3
	v_or3_b32 v0, v2, v1, v0
	buffer_store_dword v0, off, s[0:3], s32 offset:104 ; 4-byte Folded Spill
.LBB328_73:                             ;   in Loop: Header=BB328_9 Depth=1
	s_or_b64 exec, exec, s[40:41]
.LBB328_74:                             ;   in Loop: Header=BB328_9 Depth=1
	s_or_b64 exec, exec, s[28:29]
.LBB328_75:                             ;   in Loop: Header=BB328_9 Depth=1
	s_or_b64 exec, exec, s[26:27]
	v_mov_b32_e32 v0, 0
	v_cmp_lt_u32_e32 vcc, s43, v8
	buffer_store_dword v0, off, s[0:3], s32 offset:108 ; 4-byte Folded Spill
	v_mov_b32_e32 v0, 0
	buffer_store_dword v0, off, s[0:3], s32 offset:300 ; 4-byte Folded Spill
	s_and_saveexec_b64 s[26:27], vcc
	s_cbranch_execz .LBB328_81
; %bb.76:                               ;   in Loop: Header=BB328_9 Depth=1
	v_lshrrev_b32_e32 v19, 24, v8
	v_cmp_ne_u32_e32 vcc, s21, v19
	v_bfrev_b32_e32 v0, 1
	buffer_store_dword v0, off, s[0:3], s32 offset:300 ; 4-byte Folded Spill
	s_and_saveexec_b64 s[28:29], vcc
	s_cbranch_execz .LBB328_80
; %bb.77:                               ;   in Loop: Header=BB328_9 Depth=1
	v_bfe_u32 v0, v8, 24, 7
	v_cmp_ne_u32_e32 vcc, s42, v0
	v_mov_b32_e32 v1, 0x7f800001
	s_and_saveexec_b64 s[40:41], vcc
	s_cbranch_execz .LBB328_79
; %bb.78:                               ;   in Loop: Header=BB328_9 Depth=1
	v_and_b32_e32 v2, 7, v19
	v_lshrrev_b32_e32 v3, 3, v0
	v_cmp_gt_u32_e32 vcc, 8, v0
	v_ffbh_u32_e32 v0, v2
	v_min_u32_e32 v4, 32, v0
	v_subrev_u32_e32 v0, 28, v4
	v_lshlrev_b64 v[0:1], v0, v[19:20]
	v_sub_u32_e32 v1, 29, v4
	v_and_b32_e32 v0, 7, v0
	v_cndmask_b32_e32 v1, v3, v1, vcc
	v_cndmask_b32_e32 v0, v2, v0, vcc
	v_lshlrev_b32_e32 v2, 24, v19
	v_bfrev_b32_e32 v3, 60
	v_lshlrev_b32_e32 v0, 20, v0
	v_and_b32_e32 v2, 0x80000000, v2
	v_lshl_add_u32 v1, v1, 23, v3
	v_or3_b32 v1, v2, v1, v0
.LBB328_79:                             ;   in Loop: Header=BB328_9 Depth=1
	s_or_b64 exec, exec, s[40:41]
	buffer_store_dword v1, off, s[0:3], s32 offset:300 ; 4-byte Folded Spill
.LBB328_80:                             ;   in Loop: Header=BB328_9 Depth=1
	s_or_b64 exec, exec, s[28:29]
.LBB328_81:                             ;   in Loop: Header=BB328_9 Depth=1
	s_or_b64 exec, exec, s[26:27]
	flat_load_dword v8, v[16:17] offset:520
	v_mov_b32_e32 v0, 0
	s_waitcnt vmcnt(0) lgkmcnt(0)
	v_cmp_ne_u16_sdwa s[28:29], v8, v0 src0_sel:BYTE_0 src1_sel:DWORD
	s_and_saveexec_b64 s[26:27], s[28:29]
	s_cbranch_execz .LBB328_87
; %bb.82:                               ;   in Loop: Header=BB328_9 Depth=1
	v_cmp_ne_u16_sdwa s[40:41], v8, s21 src0_sel:BYTE_0 src1_sel:DWORD
	v_bfrev_b32_e32 v0, 1
	buffer_store_dword v0, off, s[0:3], s32 offset:108 ; 4-byte Folded Spill
	s_and_saveexec_b64 s[28:29], s[40:41]
	s_cbranch_execz .LBB328_86
; %bb.83:                               ;   in Loop: Header=BB328_9 Depth=1
	v_and_b32_e32 v0, 0x7f, v8
	v_cmp_ne_u32_e32 vcc, s42, v0
	v_mov_b32_e32 v1, 0x7f800001
	buffer_store_dword v1, off, s[0:3], s32 offset:108 ; 4-byte Folded Spill
	s_and_saveexec_b64 s[40:41], vcc
	s_cbranch_execz .LBB328_85
; %bb.84:                               ;   in Loop: Header=BB328_9 Depth=1
	v_and_b32_e32 v2, 7, v8
	v_lshrrev_b32_e32 v3, 3, v0
	v_cmp_gt_u32_e32 vcc, 8, v0
	v_ffbh_u32_e32 v0, v2
	v_min_u32_e32 v4, 32, v0
	v_subrev_u32_e32 v0, 28, v4
	v_lshlrev_b64 v[0:1], v0, v[8:9]
	v_sub_u32_e32 v1, 29, v4
	v_and_b32_e32 v0, 7, v0
	v_cndmask_b32_e32 v1, v3, v1, vcc
	v_cndmask_b32_e32 v0, v2, v0, vcc
	v_lshlrev_b32_e32 v2, 24, v8
	v_bfrev_b32_e32 v3, 60
	v_lshlrev_b32_e32 v0, 20, v0
	v_and_b32_e32 v2, 0x80000000, v2
	v_lshl_add_u32 v1, v1, 23, v3
	v_or3_b32 v0, v2, v1, v0
	buffer_store_dword v0, off, s[0:3], s32 offset:108 ; 4-byte Folded Spill
.LBB328_85:                             ;   in Loop: Header=BB328_9 Depth=1
	s_or_b64 exec, exec, s[40:41]
.LBB328_86:                             ;   in Loop: Header=BB328_9 Depth=1
	s_or_b64 exec, exec, s[28:29]
.LBB328_87:                             ;   in Loop: Header=BB328_9 Depth=1
	s_or_b64 exec, exec, s[26:27]
	v_lshrrev_b16_e32 v19, 8, v8
	v_mov_b32_e32 v0, 0
	v_cmp_ne_u16_e32 vcc, 0, v19
	buffer_store_dword v0, off, s[0:3], s32 offset:116 ; 4-byte Folded Spill
	v_mov_b32_e32 v0, 0
	buffer_store_dword v0, off, s[0:3], s32 offset:112 ; 4-byte Folded Spill
	s_and_saveexec_b64 s[26:27], vcc
	s_cbranch_execz .LBB328_93
; %bb.88:                               ;   in Loop: Header=BB328_9 Depth=1
	v_cmp_ne_u16_e32 vcc, s21, v19
	v_bfrev_b32_e32 v0, 1
	buffer_store_dword v0, off, s[0:3], s32 offset:112 ; 4-byte Folded Spill
	s_and_saveexec_b64 s[28:29], vcc
	s_cbranch_execz .LBB328_92
; %bb.89:                               ;   in Loop: Header=BB328_9 Depth=1
	v_and_b32_e32 v0, 0x7f, v19
	v_cmp_ne_u32_e32 vcc, s42, v0
	v_mov_b32_e32 v1, 0x7f800001
	buffer_store_dword v1, off, s[0:3], s32 offset:112 ; 4-byte Folded Spill
	s_and_saveexec_b64 s[40:41], vcc
	s_cbranch_execz .LBB328_91
; %bb.90:                               ;   in Loop: Header=BB328_9 Depth=1
	v_and_b32_e32 v2, 7, v19
	v_lshrrev_b32_e32 v3, 3, v0
	v_cmp_gt_u32_e32 vcc, 8, v0
	v_ffbh_u32_e32 v0, v2
	v_min_u32_e32 v4, 32, v0
	v_subrev_u32_e32 v0, 28, v4
	v_lshlrev_b64 v[0:1], v0, v[19:20]
	v_sub_u32_e32 v1, 29, v4
	v_and_b32_e32 v0, 7, v0
	v_cndmask_b32_e32 v1, v3, v1, vcc
	v_cndmask_b32_e32 v0, v2, v0, vcc
	v_lshlrev_b32_e32 v2, 16, v8
	v_bfrev_b32_e32 v3, 60
	v_lshlrev_b32_e32 v0, 20, v0
	v_and_b32_e32 v2, 0x80000000, v2
	v_lshl_add_u32 v1, v1, 23, v3
	v_or3_b32 v0, v2, v1, v0
	buffer_store_dword v0, off, s[0:3], s32 offset:112 ; 4-byte Folded Spill
.LBB328_91:                             ;   in Loop: Header=BB328_9 Depth=1
	s_or_b64 exec, exec, s[40:41]
.LBB328_92:                             ;   in Loop: Header=BB328_9 Depth=1
	s_or_b64 exec, exec, s[28:29]
.LBB328_93:                             ;   in Loop: Header=BB328_9 Depth=1
	s_or_b64 exec, exec, s[26:27]
	v_lshrrev_b32_e32 v19, 16, v8
	v_mov_b32_e32 v0, 0
	v_cmp_ne_u16_sdwa s[28:29], v19, v0 src0_sel:BYTE_0 src1_sel:DWORD
	s_and_saveexec_b64 s[26:27], s[28:29]
	s_cbranch_execz .LBB328_99
; %bb.94:                               ;   in Loop: Header=BB328_9 Depth=1
	v_cmp_ne_u16_sdwa s[40:41], v19, s21 src0_sel:BYTE_0 src1_sel:DWORD
	v_bfrev_b32_e32 v0, 1
	buffer_store_dword v0, off, s[0:3], s32 offset:116 ; 4-byte Folded Spill
	s_and_saveexec_b64 s[28:29], s[40:41]
	s_cbranch_execz .LBB328_98
; %bb.95:                               ;   in Loop: Header=BB328_9 Depth=1
	v_bfe_u32 v0, v8, 16, 7
	v_cmp_ne_u32_e32 vcc, s42, v0
	v_mov_b32_e32 v1, 0x7f800001
	buffer_store_dword v1, off, s[0:3], s32 offset:116 ; 4-byte Folded Spill
	s_and_saveexec_b64 s[40:41], vcc
	s_cbranch_execz .LBB328_97
; %bb.96:                               ;   in Loop: Header=BB328_9 Depth=1
	v_and_b32_e32 v2, 7, v19
	v_lshrrev_b32_e32 v3, 3, v0
	v_cmp_gt_u32_e32 vcc, 8, v0
	v_ffbh_u32_e32 v0, v2
	v_min_u32_e32 v4, 32, v0
	v_subrev_u32_e32 v0, 28, v4
	v_lshlrev_b64 v[0:1], v0, v[19:20]
	v_sub_u32_e32 v1, 29, v4
	v_and_b32_e32 v0, 7, v0
	v_cndmask_b32_e32 v1, v3, v1, vcc
	v_cndmask_b32_e32 v0, v2, v0, vcc
	v_lshlrev_b32_e32 v2, 24, v19
	v_bfrev_b32_e32 v3, 60
	v_lshlrev_b32_e32 v0, 20, v0
	v_and_b32_e32 v2, 0x80000000, v2
	v_lshl_add_u32 v1, v1, 23, v3
	v_or3_b32 v0, v2, v1, v0
	buffer_store_dword v0, off, s[0:3], s32 offset:116 ; 4-byte Folded Spill
.LBB328_97:                             ;   in Loop: Header=BB328_9 Depth=1
	s_or_b64 exec, exec, s[40:41]
.LBB328_98:                             ;   in Loop: Header=BB328_9 Depth=1
	s_or_b64 exec, exec, s[28:29]
.LBB328_99:                             ;   in Loop: Header=BB328_9 Depth=1
	s_or_b64 exec, exec, s[26:27]
	v_mov_b32_e32 v0, 0
	v_cmp_lt_u32_e32 vcc, s43, v8
	buffer_store_dword v0, off, s[0:3], s32 offset:120 ; 4-byte Folded Spill
	v_mov_b32_e32 v0, 0
	buffer_store_dword v0, off, s[0:3], s32 offset:304 ; 4-byte Folded Spill
	s_and_saveexec_b64 s[26:27], vcc
	s_cbranch_execz .LBB328_105
; %bb.100:                              ;   in Loop: Header=BB328_9 Depth=1
	v_lshrrev_b32_e32 v19, 24, v8
	v_cmp_ne_u32_e32 vcc, s21, v19
	v_bfrev_b32_e32 v0, 1
	buffer_store_dword v0, off, s[0:3], s32 offset:304 ; 4-byte Folded Spill
	s_and_saveexec_b64 s[28:29], vcc
	s_cbranch_execz .LBB328_104
; %bb.101:                              ;   in Loop: Header=BB328_9 Depth=1
	v_bfe_u32 v0, v8, 24, 7
	v_cmp_ne_u32_e32 vcc, s42, v0
	v_mov_b32_e32 v1, 0x7f800001
	s_and_saveexec_b64 s[40:41], vcc
	s_cbranch_execz .LBB328_103
; %bb.102:                              ;   in Loop: Header=BB328_9 Depth=1
	v_and_b32_e32 v2, 7, v19
	v_lshrrev_b32_e32 v3, 3, v0
	v_cmp_gt_u32_e32 vcc, 8, v0
	v_ffbh_u32_e32 v0, v2
	v_min_u32_e32 v4, 32, v0
	v_subrev_u32_e32 v0, 28, v4
	v_lshlrev_b64 v[0:1], v0, v[19:20]
	v_sub_u32_e32 v1, 29, v4
	v_and_b32_e32 v0, 7, v0
	v_cndmask_b32_e32 v1, v3, v1, vcc
	v_cndmask_b32_e32 v0, v2, v0, vcc
	v_lshlrev_b32_e32 v2, 24, v19
	v_bfrev_b32_e32 v3, 60
	v_lshlrev_b32_e32 v0, 20, v0
	v_and_b32_e32 v2, 0x80000000, v2
	v_lshl_add_u32 v1, v1, 23, v3
	v_or3_b32 v1, v2, v1, v0
.LBB328_103:                            ;   in Loop: Header=BB328_9 Depth=1
	s_or_b64 exec, exec, s[40:41]
	buffer_store_dword v1, off, s[0:3], s32 offset:304 ; 4-byte Folded Spill
.LBB328_104:                            ;   in Loop: Header=BB328_9 Depth=1
	s_or_b64 exec, exec, s[28:29]
.LBB328_105:                            ;   in Loop: Header=BB328_9 Depth=1
	s_or_b64 exec, exec, s[26:27]
	flat_load_dword v8, v[16:17] offset:1024
	v_mov_b32_e32 v0, 0
	s_waitcnt vmcnt(0) lgkmcnt(0)
	v_cmp_ne_u16_sdwa s[28:29], v8, v0 src0_sel:BYTE_0 src1_sel:DWORD
	s_and_saveexec_b64 s[26:27], s[28:29]
	s_cbranch_execz .LBB328_111
; %bb.106:                              ;   in Loop: Header=BB328_9 Depth=1
	v_cmp_ne_u16_sdwa s[40:41], v8, s21 src0_sel:BYTE_0 src1_sel:DWORD
	v_bfrev_b32_e32 v0, 1
	buffer_store_dword v0, off, s[0:3], s32 offset:120 ; 4-byte Folded Spill
	s_and_saveexec_b64 s[28:29], s[40:41]
	s_cbranch_execz .LBB328_110
; %bb.107:                              ;   in Loop: Header=BB328_9 Depth=1
	v_and_b32_e32 v0, 0x7f, v8
	v_cmp_ne_u32_e32 vcc, s42, v0
	v_mov_b32_e32 v1, 0x7f800001
	buffer_store_dword v1, off, s[0:3], s32 offset:120 ; 4-byte Folded Spill
	s_and_saveexec_b64 s[40:41], vcc
	s_cbranch_execz .LBB328_109
; %bb.108:                              ;   in Loop: Header=BB328_9 Depth=1
	v_and_b32_e32 v2, 7, v8
	v_lshrrev_b32_e32 v3, 3, v0
	v_cmp_gt_u32_e32 vcc, 8, v0
	v_ffbh_u32_e32 v0, v2
	v_min_u32_e32 v4, 32, v0
	v_subrev_u32_e32 v0, 28, v4
	v_lshlrev_b64 v[0:1], v0, v[8:9]
	v_sub_u32_e32 v1, 29, v4
	v_and_b32_e32 v0, 7, v0
	v_cndmask_b32_e32 v1, v3, v1, vcc
	v_cndmask_b32_e32 v0, v2, v0, vcc
	v_lshlrev_b32_e32 v2, 24, v8
	v_bfrev_b32_e32 v3, 60
	v_lshlrev_b32_e32 v0, 20, v0
	v_and_b32_e32 v2, 0x80000000, v2
	v_lshl_add_u32 v1, v1, 23, v3
	v_or3_b32 v0, v2, v1, v0
	buffer_store_dword v0, off, s[0:3], s32 offset:120 ; 4-byte Folded Spill
.LBB328_109:                            ;   in Loop: Header=BB328_9 Depth=1
	s_or_b64 exec, exec, s[40:41]
.LBB328_110:                            ;   in Loop: Header=BB328_9 Depth=1
	s_or_b64 exec, exec, s[28:29]
.LBB328_111:                            ;   in Loop: Header=BB328_9 Depth=1
	s_or_b64 exec, exec, s[26:27]
	v_lshrrev_b16_e32 v19, 8, v8
	v_mov_b32_e32 v0, 0
	v_cmp_ne_u16_e32 vcc, 0, v19
	buffer_store_dword v0, off, s[0:3], s32 offset:128 ; 4-byte Folded Spill
	v_mov_b32_e32 v0, 0
	buffer_store_dword v0, off, s[0:3], s32 offset:124 ; 4-byte Folded Spill
	s_and_saveexec_b64 s[26:27], vcc
	s_cbranch_execz .LBB328_117
; %bb.112:                              ;   in Loop: Header=BB328_9 Depth=1
	v_cmp_ne_u16_e32 vcc, s21, v19
	v_bfrev_b32_e32 v0, 1
	buffer_store_dword v0, off, s[0:3], s32 offset:124 ; 4-byte Folded Spill
	s_and_saveexec_b64 s[28:29], vcc
	s_cbranch_execz .LBB328_116
; %bb.113:                              ;   in Loop: Header=BB328_9 Depth=1
	v_and_b32_e32 v0, 0x7f, v19
	v_cmp_ne_u32_e32 vcc, s42, v0
	v_mov_b32_e32 v1, 0x7f800001
	buffer_store_dword v1, off, s[0:3], s32 offset:124 ; 4-byte Folded Spill
	s_and_saveexec_b64 s[40:41], vcc
	s_cbranch_execz .LBB328_115
; %bb.114:                              ;   in Loop: Header=BB328_9 Depth=1
	v_and_b32_e32 v2, 7, v19
	v_lshrrev_b32_e32 v3, 3, v0
	v_cmp_gt_u32_e32 vcc, 8, v0
	v_ffbh_u32_e32 v0, v2
	v_min_u32_e32 v4, 32, v0
	v_subrev_u32_e32 v0, 28, v4
	v_lshlrev_b64 v[0:1], v0, v[19:20]
	v_sub_u32_e32 v1, 29, v4
	v_and_b32_e32 v0, 7, v0
	v_cndmask_b32_e32 v1, v3, v1, vcc
	v_cndmask_b32_e32 v0, v2, v0, vcc
	v_lshlrev_b32_e32 v2, 16, v8
	v_bfrev_b32_e32 v3, 60
	v_lshlrev_b32_e32 v0, 20, v0
	v_and_b32_e32 v2, 0x80000000, v2
	v_lshl_add_u32 v1, v1, 23, v3
	v_or3_b32 v0, v2, v1, v0
	buffer_store_dword v0, off, s[0:3], s32 offset:124 ; 4-byte Folded Spill
.LBB328_115:                            ;   in Loop: Header=BB328_9 Depth=1
	s_or_b64 exec, exec, s[40:41]
.LBB328_116:                            ;   in Loop: Header=BB328_9 Depth=1
	s_or_b64 exec, exec, s[28:29]
.LBB328_117:                            ;   in Loop: Header=BB328_9 Depth=1
	s_or_b64 exec, exec, s[26:27]
	v_lshrrev_b32_e32 v19, 16, v8
	v_mov_b32_e32 v0, 0
	v_cmp_ne_u16_sdwa s[28:29], v19, v0 src0_sel:BYTE_0 src1_sel:DWORD
	s_and_saveexec_b64 s[26:27], s[28:29]
	s_cbranch_execz .LBB328_123
; %bb.118:                              ;   in Loop: Header=BB328_9 Depth=1
	v_cmp_ne_u16_sdwa s[40:41], v19, s21 src0_sel:BYTE_0 src1_sel:DWORD
	v_bfrev_b32_e32 v0, 1
	buffer_store_dword v0, off, s[0:3], s32 offset:128 ; 4-byte Folded Spill
	s_and_saveexec_b64 s[28:29], s[40:41]
	s_cbranch_execz .LBB328_122
; %bb.119:                              ;   in Loop: Header=BB328_9 Depth=1
	v_bfe_u32 v0, v8, 16, 7
	v_cmp_ne_u32_e32 vcc, s42, v0
	v_mov_b32_e32 v1, 0x7f800001
	buffer_store_dword v1, off, s[0:3], s32 offset:128 ; 4-byte Folded Spill
	s_and_saveexec_b64 s[40:41], vcc
	s_cbranch_execz .LBB328_121
; %bb.120:                              ;   in Loop: Header=BB328_9 Depth=1
	v_and_b32_e32 v2, 7, v19
	v_lshrrev_b32_e32 v3, 3, v0
	v_cmp_gt_u32_e32 vcc, 8, v0
	v_ffbh_u32_e32 v0, v2
	v_min_u32_e32 v4, 32, v0
	v_subrev_u32_e32 v0, 28, v4
	v_lshlrev_b64 v[0:1], v0, v[19:20]
	v_sub_u32_e32 v1, 29, v4
	v_and_b32_e32 v0, 7, v0
	v_cndmask_b32_e32 v1, v3, v1, vcc
	v_cndmask_b32_e32 v0, v2, v0, vcc
	v_lshlrev_b32_e32 v2, 24, v19
	v_bfrev_b32_e32 v3, 60
	v_lshlrev_b32_e32 v0, 20, v0
	v_and_b32_e32 v2, 0x80000000, v2
	v_lshl_add_u32 v1, v1, 23, v3
	v_or3_b32 v0, v2, v1, v0
	buffer_store_dword v0, off, s[0:3], s32 offset:128 ; 4-byte Folded Spill
.LBB328_121:                            ;   in Loop: Header=BB328_9 Depth=1
	s_or_b64 exec, exec, s[40:41]
.LBB328_122:                            ;   in Loop: Header=BB328_9 Depth=1
	s_or_b64 exec, exec, s[28:29]
.LBB328_123:                            ;   in Loop: Header=BB328_9 Depth=1
	s_or_b64 exec, exec, s[26:27]
	v_mov_b32_e32 v0, 0
	v_cmp_lt_u32_e32 vcc, s43, v8
	buffer_store_dword v0, off, s[0:3], s32 offset:132 ; 4-byte Folded Spill
	v_mov_b32_e32 v0, 0
	buffer_store_dword v0, off, s[0:3], s32 offset:308 ; 4-byte Folded Spill
	s_and_saveexec_b64 s[26:27], vcc
	s_cbranch_execz .LBB328_129
; %bb.124:                              ;   in Loop: Header=BB328_9 Depth=1
	v_lshrrev_b32_e32 v19, 24, v8
	v_cmp_ne_u32_e32 vcc, s21, v19
	v_bfrev_b32_e32 v0, 1
	buffer_store_dword v0, off, s[0:3], s32 offset:308 ; 4-byte Folded Spill
	s_and_saveexec_b64 s[28:29], vcc
	s_cbranch_execz .LBB328_128
; %bb.125:                              ;   in Loop: Header=BB328_9 Depth=1
	v_bfe_u32 v0, v8, 24, 7
	v_cmp_ne_u32_e32 vcc, s42, v0
	v_mov_b32_e32 v1, 0x7f800001
	s_and_saveexec_b64 s[40:41], vcc
	s_cbranch_execz .LBB328_127
; %bb.126:                              ;   in Loop: Header=BB328_9 Depth=1
	v_and_b32_e32 v2, 7, v19
	v_lshrrev_b32_e32 v3, 3, v0
	v_cmp_gt_u32_e32 vcc, 8, v0
	v_ffbh_u32_e32 v0, v2
	v_min_u32_e32 v4, 32, v0
	v_subrev_u32_e32 v0, 28, v4
	v_lshlrev_b64 v[0:1], v0, v[19:20]
	v_sub_u32_e32 v1, 29, v4
	v_and_b32_e32 v0, 7, v0
	v_cndmask_b32_e32 v1, v3, v1, vcc
	v_cndmask_b32_e32 v0, v2, v0, vcc
	v_lshlrev_b32_e32 v2, 24, v19
	v_bfrev_b32_e32 v3, 60
	v_lshlrev_b32_e32 v0, 20, v0
	v_and_b32_e32 v2, 0x80000000, v2
	v_lshl_add_u32 v1, v1, 23, v3
	v_or3_b32 v1, v2, v1, v0
.LBB328_127:                            ;   in Loop: Header=BB328_9 Depth=1
	s_or_b64 exec, exec, s[40:41]
	buffer_store_dword v1, off, s[0:3], s32 offset:308 ; 4-byte Folded Spill
.LBB328_128:                            ;   in Loop: Header=BB328_9 Depth=1
	s_or_b64 exec, exec, s[28:29]
.LBB328_129:                            ;   in Loop: Header=BB328_9 Depth=1
	s_or_b64 exec, exec, s[26:27]
	flat_load_dword v8, v[16:17] offset:1032
	v_mov_b32_e32 v0, 0
	s_waitcnt vmcnt(0) lgkmcnt(0)
	v_cmp_ne_u16_sdwa s[28:29], v8, v0 src0_sel:BYTE_0 src1_sel:DWORD
	s_and_saveexec_b64 s[26:27], s[28:29]
	s_cbranch_execz .LBB328_135
; %bb.130:                              ;   in Loop: Header=BB328_9 Depth=1
	v_cmp_ne_u16_sdwa s[40:41], v8, s21 src0_sel:BYTE_0 src1_sel:DWORD
	v_bfrev_b32_e32 v0, 1
	buffer_store_dword v0, off, s[0:3], s32 offset:132 ; 4-byte Folded Spill
	s_and_saveexec_b64 s[28:29], s[40:41]
	s_cbranch_execz .LBB328_134
; %bb.131:                              ;   in Loop: Header=BB328_9 Depth=1
	v_and_b32_e32 v0, 0x7f, v8
	v_cmp_ne_u32_e32 vcc, s42, v0
	v_mov_b32_e32 v1, 0x7f800001
	buffer_store_dword v1, off, s[0:3], s32 offset:132 ; 4-byte Folded Spill
	s_and_saveexec_b64 s[40:41], vcc
	s_cbranch_execz .LBB328_133
; %bb.132:                              ;   in Loop: Header=BB328_9 Depth=1
	v_and_b32_e32 v2, 7, v8
	v_lshrrev_b32_e32 v3, 3, v0
	v_cmp_gt_u32_e32 vcc, 8, v0
	v_ffbh_u32_e32 v0, v2
	v_min_u32_e32 v4, 32, v0
	v_subrev_u32_e32 v0, 28, v4
	v_lshlrev_b64 v[0:1], v0, v[8:9]
	v_sub_u32_e32 v1, 29, v4
	v_and_b32_e32 v0, 7, v0
	v_cndmask_b32_e32 v1, v3, v1, vcc
	v_cndmask_b32_e32 v0, v2, v0, vcc
	v_lshlrev_b32_e32 v2, 24, v8
	v_bfrev_b32_e32 v3, 60
	v_lshlrev_b32_e32 v0, 20, v0
	v_and_b32_e32 v2, 0x80000000, v2
	v_lshl_add_u32 v1, v1, 23, v3
	v_or3_b32 v0, v2, v1, v0
	buffer_store_dword v0, off, s[0:3], s32 offset:132 ; 4-byte Folded Spill
.LBB328_133:                            ;   in Loop: Header=BB328_9 Depth=1
	s_or_b64 exec, exec, s[40:41]
.LBB328_134:                            ;   in Loop: Header=BB328_9 Depth=1
	s_or_b64 exec, exec, s[28:29]
.LBB328_135:                            ;   in Loop: Header=BB328_9 Depth=1
	s_or_b64 exec, exec, s[26:27]
	v_lshrrev_b16_e32 v19, 8, v8
	v_mov_b32_e32 v0, 0
	v_cmp_ne_u16_e32 vcc, 0, v19
	buffer_store_dword v0, off, s[0:3], s32 offset:140 ; 4-byte Folded Spill
	v_mov_b32_e32 v0, 0
	buffer_store_dword v0, off, s[0:3], s32 offset:136 ; 4-byte Folded Spill
	s_and_saveexec_b64 s[26:27], vcc
	s_cbranch_execz .LBB328_141
; %bb.136:                              ;   in Loop: Header=BB328_9 Depth=1
	v_cmp_ne_u16_e32 vcc, s21, v19
	v_bfrev_b32_e32 v0, 1
	buffer_store_dword v0, off, s[0:3], s32 offset:136 ; 4-byte Folded Spill
	s_and_saveexec_b64 s[28:29], vcc
	s_cbranch_execz .LBB328_140
; %bb.137:                              ;   in Loop: Header=BB328_9 Depth=1
	v_and_b32_e32 v0, 0x7f, v19
	v_cmp_ne_u32_e32 vcc, s42, v0
	v_mov_b32_e32 v1, 0x7f800001
	buffer_store_dword v1, off, s[0:3], s32 offset:136 ; 4-byte Folded Spill
	s_and_saveexec_b64 s[40:41], vcc
	s_cbranch_execz .LBB328_139
; %bb.138:                              ;   in Loop: Header=BB328_9 Depth=1
	v_and_b32_e32 v2, 7, v19
	v_lshrrev_b32_e32 v3, 3, v0
	v_cmp_gt_u32_e32 vcc, 8, v0
	v_ffbh_u32_e32 v0, v2
	v_min_u32_e32 v4, 32, v0
	v_subrev_u32_e32 v0, 28, v4
	v_lshlrev_b64 v[0:1], v0, v[19:20]
	v_sub_u32_e32 v1, 29, v4
	v_and_b32_e32 v0, 7, v0
	v_cndmask_b32_e32 v1, v3, v1, vcc
	v_cndmask_b32_e32 v0, v2, v0, vcc
	v_lshlrev_b32_e32 v2, 16, v8
	v_bfrev_b32_e32 v3, 60
	v_lshlrev_b32_e32 v0, 20, v0
	v_and_b32_e32 v2, 0x80000000, v2
	v_lshl_add_u32 v1, v1, 23, v3
	v_or3_b32 v0, v2, v1, v0
	buffer_store_dword v0, off, s[0:3], s32 offset:136 ; 4-byte Folded Spill
.LBB328_139:                            ;   in Loop: Header=BB328_9 Depth=1
	s_or_b64 exec, exec, s[40:41]
.LBB328_140:                            ;   in Loop: Header=BB328_9 Depth=1
	s_or_b64 exec, exec, s[28:29]
.LBB328_141:                            ;   in Loop: Header=BB328_9 Depth=1
	s_or_b64 exec, exec, s[26:27]
	v_lshrrev_b32_e32 v19, 16, v8
	v_mov_b32_e32 v0, 0
	v_cmp_ne_u16_sdwa s[28:29], v19, v0 src0_sel:BYTE_0 src1_sel:DWORD
	s_and_saveexec_b64 s[26:27], s[28:29]
	s_cbranch_execz .LBB328_147
; %bb.142:                              ;   in Loop: Header=BB328_9 Depth=1
	v_cmp_ne_u16_sdwa s[40:41], v19, s21 src0_sel:BYTE_0 src1_sel:DWORD
	v_bfrev_b32_e32 v0, 1
	buffer_store_dword v0, off, s[0:3], s32 offset:140 ; 4-byte Folded Spill
	s_and_saveexec_b64 s[28:29], s[40:41]
	s_cbranch_execz .LBB328_146
; %bb.143:                              ;   in Loop: Header=BB328_9 Depth=1
	v_bfe_u32 v0, v8, 16, 7
	v_cmp_ne_u32_e32 vcc, s42, v0
	v_mov_b32_e32 v1, 0x7f800001
	buffer_store_dword v1, off, s[0:3], s32 offset:140 ; 4-byte Folded Spill
	s_and_saveexec_b64 s[40:41], vcc
	s_cbranch_execz .LBB328_145
; %bb.144:                              ;   in Loop: Header=BB328_9 Depth=1
	v_and_b32_e32 v2, 7, v19
	v_lshrrev_b32_e32 v3, 3, v0
	v_cmp_gt_u32_e32 vcc, 8, v0
	v_ffbh_u32_e32 v0, v2
	v_min_u32_e32 v4, 32, v0
	v_subrev_u32_e32 v0, 28, v4
	v_lshlrev_b64 v[0:1], v0, v[19:20]
	v_sub_u32_e32 v1, 29, v4
	v_and_b32_e32 v0, 7, v0
	v_cndmask_b32_e32 v1, v3, v1, vcc
	v_cndmask_b32_e32 v0, v2, v0, vcc
	v_lshlrev_b32_e32 v2, 24, v19
	v_bfrev_b32_e32 v3, 60
	v_lshlrev_b32_e32 v0, 20, v0
	v_and_b32_e32 v2, 0x80000000, v2
	v_lshl_add_u32 v1, v1, 23, v3
	v_or3_b32 v0, v2, v1, v0
	buffer_store_dword v0, off, s[0:3], s32 offset:140 ; 4-byte Folded Spill
.LBB328_145:                            ;   in Loop: Header=BB328_9 Depth=1
	s_or_b64 exec, exec, s[40:41]
.LBB328_146:                            ;   in Loop: Header=BB328_9 Depth=1
	s_or_b64 exec, exec, s[28:29]
.LBB328_147:                            ;   in Loop: Header=BB328_9 Depth=1
	s_or_b64 exec, exec, s[26:27]
	v_mov_b32_e32 v0, 0
	v_cmp_lt_u32_e32 vcc, s43, v8
	buffer_store_dword v0, off, s[0:3], s32 offset:144 ; 4-byte Folded Spill
	v_mov_b32_e32 v0, 0
	buffer_store_dword v0, off, s[0:3], s32 offset:312 ; 4-byte Folded Spill
	s_and_saveexec_b64 s[26:27], vcc
	s_cbranch_execz .LBB328_153
; %bb.148:                              ;   in Loop: Header=BB328_9 Depth=1
	v_lshrrev_b32_e32 v19, 24, v8
	v_cmp_ne_u32_e32 vcc, s21, v19
	v_bfrev_b32_e32 v0, 1
	buffer_store_dword v0, off, s[0:3], s32 offset:312 ; 4-byte Folded Spill
	s_and_saveexec_b64 s[28:29], vcc
	s_cbranch_execz .LBB328_152
; %bb.149:                              ;   in Loop: Header=BB328_9 Depth=1
	v_bfe_u32 v0, v8, 24, 7
	v_cmp_ne_u32_e32 vcc, s42, v0
	v_mov_b32_e32 v1, 0x7f800001
	s_and_saveexec_b64 s[40:41], vcc
	s_cbranch_execz .LBB328_151
; %bb.150:                              ;   in Loop: Header=BB328_9 Depth=1
	v_and_b32_e32 v2, 7, v19
	v_lshrrev_b32_e32 v3, 3, v0
	v_cmp_gt_u32_e32 vcc, 8, v0
	v_ffbh_u32_e32 v0, v2
	v_min_u32_e32 v4, 32, v0
	v_subrev_u32_e32 v0, 28, v4
	v_lshlrev_b64 v[0:1], v0, v[19:20]
	v_sub_u32_e32 v1, 29, v4
	v_and_b32_e32 v0, 7, v0
	v_cndmask_b32_e32 v1, v3, v1, vcc
	v_cndmask_b32_e32 v0, v2, v0, vcc
	v_lshlrev_b32_e32 v2, 24, v19
	v_bfrev_b32_e32 v3, 60
	v_lshlrev_b32_e32 v0, 20, v0
	v_and_b32_e32 v2, 0x80000000, v2
	v_lshl_add_u32 v1, v1, 23, v3
	v_or3_b32 v1, v2, v1, v0
.LBB328_151:                            ;   in Loop: Header=BB328_9 Depth=1
	s_or_b64 exec, exec, s[40:41]
	buffer_store_dword v1, off, s[0:3], s32 offset:312 ; 4-byte Folded Spill
.LBB328_152:                            ;   in Loop: Header=BB328_9 Depth=1
	s_or_b64 exec, exec, s[28:29]
.LBB328_153:                            ;   in Loop: Header=BB328_9 Depth=1
	s_or_b64 exec, exec, s[26:27]
	flat_load_dword v8, v[16:17] offset:1536
	v_mov_b32_e32 v0, 0
	s_waitcnt vmcnt(0) lgkmcnt(0)
	v_cmp_ne_u16_sdwa s[28:29], v8, v0 src0_sel:BYTE_0 src1_sel:DWORD
	s_and_saveexec_b64 s[26:27], s[28:29]
	s_cbranch_execz .LBB328_159
; %bb.154:                              ;   in Loop: Header=BB328_9 Depth=1
	v_cmp_ne_u16_sdwa s[40:41], v8, s21 src0_sel:BYTE_0 src1_sel:DWORD
	v_bfrev_b32_e32 v0, 1
	buffer_store_dword v0, off, s[0:3], s32 offset:144 ; 4-byte Folded Spill
	s_and_saveexec_b64 s[28:29], s[40:41]
	s_cbranch_execz .LBB328_158
; %bb.155:                              ;   in Loop: Header=BB328_9 Depth=1
	v_and_b32_e32 v0, 0x7f, v8
	v_cmp_ne_u32_e32 vcc, s42, v0
	v_mov_b32_e32 v1, 0x7f800001
	buffer_store_dword v1, off, s[0:3], s32 offset:144 ; 4-byte Folded Spill
	s_and_saveexec_b64 s[40:41], vcc
	s_cbranch_execz .LBB328_157
; %bb.156:                              ;   in Loop: Header=BB328_9 Depth=1
	v_and_b32_e32 v2, 7, v8
	v_lshrrev_b32_e32 v3, 3, v0
	v_cmp_gt_u32_e32 vcc, 8, v0
	v_ffbh_u32_e32 v0, v2
	v_min_u32_e32 v4, 32, v0
	v_subrev_u32_e32 v0, 28, v4
	v_lshlrev_b64 v[0:1], v0, v[8:9]
	v_sub_u32_e32 v1, 29, v4
	v_and_b32_e32 v0, 7, v0
	v_cndmask_b32_e32 v1, v3, v1, vcc
	v_cndmask_b32_e32 v0, v2, v0, vcc
	v_lshlrev_b32_e32 v2, 24, v8
	v_bfrev_b32_e32 v3, 60
	v_lshlrev_b32_e32 v0, 20, v0
	v_and_b32_e32 v2, 0x80000000, v2
	v_lshl_add_u32 v1, v1, 23, v3
	v_or3_b32 v0, v2, v1, v0
	buffer_store_dword v0, off, s[0:3], s32 offset:144 ; 4-byte Folded Spill
.LBB328_157:                            ;   in Loop: Header=BB328_9 Depth=1
	s_or_b64 exec, exec, s[40:41]
.LBB328_158:                            ;   in Loop: Header=BB328_9 Depth=1
	s_or_b64 exec, exec, s[28:29]
.LBB328_159:                            ;   in Loop: Header=BB328_9 Depth=1
	s_or_b64 exec, exec, s[26:27]
	v_lshrrev_b16_e32 v19, 8, v8
	v_mov_b32_e32 v0, 0
	v_cmp_ne_u16_e32 vcc, 0, v19
	buffer_store_dword v0, off, s[0:3], s32 offset:152 ; 4-byte Folded Spill
	v_mov_b32_e32 v0, 0
	buffer_store_dword v0, off, s[0:3], s32 offset:148 ; 4-byte Folded Spill
	s_and_saveexec_b64 s[26:27], vcc
	s_cbranch_execz .LBB328_165
; %bb.160:                              ;   in Loop: Header=BB328_9 Depth=1
	v_cmp_ne_u16_e32 vcc, s21, v19
	v_bfrev_b32_e32 v0, 1
	buffer_store_dword v0, off, s[0:3], s32 offset:148 ; 4-byte Folded Spill
	s_and_saveexec_b64 s[28:29], vcc
	s_cbranch_execz .LBB328_164
; %bb.161:                              ;   in Loop: Header=BB328_9 Depth=1
	v_and_b32_e32 v0, 0x7f, v19
	v_cmp_ne_u32_e32 vcc, s42, v0
	v_mov_b32_e32 v1, 0x7f800001
	buffer_store_dword v1, off, s[0:3], s32 offset:148 ; 4-byte Folded Spill
	s_and_saveexec_b64 s[40:41], vcc
	s_cbranch_execz .LBB328_163
; %bb.162:                              ;   in Loop: Header=BB328_9 Depth=1
	v_and_b32_e32 v2, 7, v19
	v_lshrrev_b32_e32 v3, 3, v0
	v_cmp_gt_u32_e32 vcc, 8, v0
	v_ffbh_u32_e32 v0, v2
	v_min_u32_e32 v4, 32, v0
	v_subrev_u32_e32 v0, 28, v4
	v_lshlrev_b64 v[0:1], v0, v[19:20]
	v_sub_u32_e32 v1, 29, v4
	v_and_b32_e32 v0, 7, v0
	v_cndmask_b32_e32 v1, v3, v1, vcc
	v_cndmask_b32_e32 v0, v2, v0, vcc
	v_lshlrev_b32_e32 v2, 16, v8
	v_bfrev_b32_e32 v3, 60
	v_lshlrev_b32_e32 v0, 20, v0
	v_and_b32_e32 v2, 0x80000000, v2
	v_lshl_add_u32 v1, v1, 23, v3
	v_or3_b32 v0, v2, v1, v0
	buffer_store_dword v0, off, s[0:3], s32 offset:148 ; 4-byte Folded Spill
.LBB328_163:                            ;   in Loop: Header=BB328_9 Depth=1
	s_or_b64 exec, exec, s[40:41]
.LBB328_164:                            ;   in Loop: Header=BB328_9 Depth=1
	s_or_b64 exec, exec, s[28:29]
.LBB328_165:                            ;   in Loop: Header=BB328_9 Depth=1
	s_or_b64 exec, exec, s[26:27]
	v_lshrrev_b32_e32 v19, 16, v8
	v_mov_b32_e32 v0, 0
	v_cmp_ne_u16_sdwa s[28:29], v19, v0 src0_sel:BYTE_0 src1_sel:DWORD
	s_and_saveexec_b64 s[26:27], s[28:29]
	s_cbranch_execz .LBB328_171
; %bb.166:                              ;   in Loop: Header=BB328_9 Depth=1
	v_cmp_ne_u16_sdwa s[40:41], v19, s21 src0_sel:BYTE_0 src1_sel:DWORD
	v_bfrev_b32_e32 v0, 1
	buffer_store_dword v0, off, s[0:3], s32 offset:152 ; 4-byte Folded Spill
	s_and_saveexec_b64 s[28:29], s[40:41]
	s_cbranch_execz .LBB328_170
; %bb.167:                              ;   in Loop: Header=BB328_9 Depth=1
	v_bfe_u32 v0, v8, 16, 7
	v_cmp_ne_u32_e32 vcc, s42, v0
	v_mov_b32_e32 v1, 0x7f800001
	buffer_store_dword v1, off, s[0:3], s32 offset:152 ; 4-byte Folded Spill
	s_and_saveexec_b64 s[40:41], vcc
	s_cbranch_execz .LBB328_169
; %bb.168:                              ;   in Loop: Header=BB328_9 Depth=1
	v_and_b32_e32 v2, 7, v19
	v_lshrrev_b32_e32 v3, 3, v0
	v_cmp_gt_u32_e32 vcc, 8, v0
	v_ffbh_u32_e32 v0, v2
	v_min_u32_e32 v4, 32, v0
	v_subrev_u32_e32 v0, 28, v4
	v_lshlrev_b64 v[0:1], v0, v[19:20]
	v_sub_u32_e32 v1, 29, v4
	v_and_b32_e32 v0, 7, v0
	v_cndmask_b32_e32 v1, v3, v1, vcc
	v_cndmask_b32_e32 v0, v2, v0, vcc
	v_lshlrev_b32_e32 v2, 24, v19
	v_bfrev_b32_e32 v3, 60
	v_lshlrev_b32_e32 v0, 20, v0
	v_and_b32_e32 v2, 0x80000000, v2
	v_lshl_add_u32 v1, v1, 23, v3
	v_or3_b32 v0, v2, v1, v0
	buffer_store_dword v0, off, s[0:3], s32 offset:152 ; 4-byte Folded Spill
.LBB328_169:                            ;   in Loop: Header=BB328_9 Depth=1
	s_or_b64 exec, exec, s[40:41]
.LBB328_170:                            ;   in Loop: Header=BB328_9 Depth=1
	s_or_b64 exec, exec, s[28:29]
.LBB328_171:                            ;   in Loop: Header=BB328_9 Depth=1
	s_or_b64 exec, exec, s[26:27]
	v_mov_b32_e32 v0, 0
	v_cmp_lt_u32_e32 vcc, s43, v8
	buffer_store_dword v0, off, s[0:3], s32 offset:156 ; 4-byte Folded Spill
	v_mov_b32_e32 v0, 0
	buffer_store_dword v0, off, s[0:3], s32 offset:316 ; 4-byte Folded Spill
	s_and_saveexec_b64 s[26:27], vcc
	s_cbranch_execz .LBB328_177
; %bb.172:                              ;   in Loop: Header=BB328_9 Depth=1
	v_lshrrev_b32_e32 v19, 24, v8
	v_cmp_ne_u32_e32 vcc, s21, v19
	v_bfrev_b32_e32 v0, 1
	buffer_store_dword v0, off, s[0:3], s32 offset:316 ; 4-byte Folded Spill
	s_and_saveexec_b64 s[28:29], vcc
	s_cbranch_execz .LBB328_176
; %bb.173:                              ;   in Loop: Header=BB328_9 Depth=1
	v_bfe_u32 v0, v8, 24, 7
	v_cmp_ne_u32_e32 vcc, s42, v0
	v_mov_b32_e32 v1, 0x7f800001
	s_and_saveexec_b64 s[40:41], vcc
	s_cbranch_execz .LBB328_175
; %bb.174:                              ;   in Loop: Header=BB328_9 Depth=1
	v_and_b32_e32 v2, 7, v19
	v_lshrrev_b32_e32 v3, 3, v0
	v_cmp_gt_u32_e32 vcc, 8, v0
	v_ffbh_u32_e32 v0, v2
	v_min_u32_e32 v4, 32, v0
	v_subrev_u32_e32 v0, 28, v4
	v_lshlrev_b64 v[0:1], v0, v[19:20]
	v_sub_u32_e32 v1, 29, v4
	v_and_b32_e32 v0, 7, v0
	v_cndmask_b32_e32 v1, v3, v1, vcc
	v_cndmask_b32_e32 v0, v2, v0, vcc
	v_lshlrev_b32_e32 v2, 24, v19
	v_bfrev_b32_e32 v3, 60
	v_lshlrev_b32_e32 v0, 20, v0
	v_and_b32_e32 v2, 0x80000000, v2
	v_lshl_add_u32 v1, v1, 23, v3
	v_or3_b32 v1, v2, v1, v0
.LBB328_175:                            ;   in Loop: Header=BB328_9 Depth=1
	s_or_b64 exec, exec, s[40:41]
	buffer_store_dword v1, off, s[0:3], s32 offset:316 ; 4-byte Folded Spill
.LBB328_176:                            ;   in Loop: Header=BB328_9 Depth=1
	s_or_b64 exec, exec, s[28:29]
.LBB328_177:                            ;   in Loop: Header=BB328_9 Depth=1
	s_or_b64 exec, exec, s[26:27]
	flat_load_dword v8, v[16:17] offset:1544
	v_mov_b32_e32 v0, 0
	s_waitcnt vmcnt(0) lgkmcnt(0)
	v_cmp_ne_u16_sdwa s[28:29], v8, v0 src0_sel:BYTE_0 src1_sel:DWORD
	s_and_saveexec_b64 s[26:27], s[28:29]
	s_cbranch_execz .LBB328_183
; %bb.178:                              ;   in Loop: Header=BB328_9 Depth=1
	v_cmp_ne_u16_sdwa s[40:41], v8, s21 src0_sel:BYTE_0 src1_sel:DWORD
	v_bfrev_b32_e32 v0, 1
	buffer_store_dword v0, off, s[0:3], s32 offset:156 ; 4-byte Folded Spill
	s_and_saveexec_b64 s[28:29], s[40:41]
	s_cbranch_execz .LBB328_182
; %bb.179:                              ;   in Loop: Header=BB328_9 Depth=1
	v_and_b32_e32 v0, 0x7f, v8
	v_cmp_ne_u32_e32 vcc, s42, v0
	v_mov_b32_e32 v1, 0x7f800001
	buffer_store_dword v1, off, s[0:3], s32 offset:156 ; 4-byte Folded Spill
	s_and_saveexec_b64 s[40:41], vcc
	s_cbranch_execz .LBB328_181
; %bb.180:                              ;   in Loop: Header=BB328_9 Depth=1
	v_and_b32_e32 v2, 7, v8
	v_lshrrev_b32_e32 v3, 3, v0
	v_cmp_gt_u32_e32 vcc, 8, v0
	v_ffbh_u32_e32 v0, v2
	v_min_u32_e32 v4, 32, v0
	v_subrev_u32_e32 v0, 28, v4
	v_lshlrev_b64 v[0:1], v0, v[8:9]
	v_sub_u32_e32 v1, 29, v4
	v_and_b32_e32 v0, 7, v0
	v_cndmask_b32_e32 v1, v3, v1, vcc
	v_cndmask_b32_e32 v0, v2, v0, vcc
	v_lshlrev_b32_e32 v2, 24, v8
	v_bfrev_b32_e32 v3, 60
	v_lshlrev_b32_e32 v0, 20, v0
	v_and_b32_e32 v2, 0x80000000, v2
	v_lshl_add_u32 v1, v1, 23, v3
	v_or3_b32 v0, v2, v1, v0
	buffer_store_dword v0, off, s[0:3], s32 offset:156 ; 4-byte Folded Spill
.LBB328_181:                            ;   in Loop: Header=BB328_9 Depth=1
	s_or_b64 exec, exec, s[40:41]
.LBB328_182:                            ;   in Loop: Header=BB328_9 Depth=1
	s_or_b64 exec, exec, s[28:29]
.LBB328_183:                            ;   in Loop: Header=BB328_9 Depth=1
	s_or_b64 exec, exec, s[26:27]
	v_lshrrev_b16_e32 v19, 8, v8
	v_mov_b32_e32 v0, 0
	v_cmp_ne_u16_e32 vcc, 0, v19
	buffer_store_dword v0, off, s[0:3], s32 offset:164 ; 4-byte Folded Spill
	v_mov_b32_e32 v0, 0
	buffer_store_dword v0, off, s[0:3], s32 offset:160 ; 4-byte Folded Spill
	s_and_saveexec_b64 s[26:27], vcc
	s_cbranch_execz .LBB328_189
; %bb.184:                              ;   in Loop: Header=BB328_9 Depth=1
	v_cmp_ne_u16_e32 vcc, s21, v19
	v_bfrev_b32_e32 v0, 1
	buffer_store_dword v0, off, s[0:3], s32 offset:160 ; 4-byte Folded Spill
	s_and_saveexec_b64 s[28:29], vcc
	s_cbranch_execz .LBB328_188
; %bb.185:                              ;   in Loop: Header=BB328_9 Depth=1
	v_and_b32_e32 v0, 0x7f, v19
	v_cmp_ne_u32_e32 vcc, s42, v0
	v_mov_b32_e32 v1, 0x7f800001
	buffer_store_dword v1, off, s[0:3], s32 offset:160 ; 4-byte Folded Spill
	s_and_saveexec_b64 s[40:41], vcc
	s_cbranch_execz .LBB328_187
; %bb.186:                              ;   in Loop: Header=BB328_9 Depth=1
	v_and_b32_e32 v2, 7, v19
	v_lshrrev_b32_e32 v3, 3, v0
	v_cmp_gt_u32_e32 vcc, 8, v0
	v_ffbh_u32_e32 v0, v2
	v_min_u32_e32 v4, 32, v0
	v_subrev_u32_e32 v0, 28, v4
	v_lshlrev_b64 v[0:1], v0, v[19:20]
	v_sub_u32_e32 v1, 29, v4
	v_and_b32_e32 v0, 7, v0
	v_cndmask_b32_e32 v1, v3, v1, vcc
	v_cndmask_b32_e32 v0, v2, v0, vcc
	v_lshlrev_b32_e32 v2, 16, v8
	v_bfrev_b32_e32 v3, 60
	v_lshlrev_b32_e32 v0, 20, v0
	v_and_b32_e32 v2, 0x80000000, v2
	v_lshl_add_u32 v1, v1, 23, v3
	v_or3_b32 v0, v2, v1, v0
	buffer_store_dword v0, off, s[0:3], s32 offset:160 ; 4-byte Folded Spill
.LBB328_187:                            ;   in Loop: Header=BB328_9 Depth=1
	s_or_b64 exec, exec, s[40:41]
.LBB328_188:                            ;   in Loop: Header=BB328_9 Depth=1
	s_or_b64 exec, exec, s[28:29]
.LBB328_189:                            ;   in Loop: Header=BB328_9 Depth=1
	s_or_b64 exec, exec, s[26:27]
	v_lshrrev_b32_e32 v19, 16, v8
	v_mov_b32_e32 v0, 0
	v_cmp_ne_u16_sdwa s[28:29], v19, v0 src0_sel:BYTE_0 src1_sel:DWORD
	s_and_saveexec_b64 s[26:27], s[28:29]
	s_cbranch_execz .LBB328_195
; %bb.190:                              ;   in Loop: Header=BB328_9 Depth=1
	v_cmp_ne_u16_sdwa s[40:41], v19, s21 src0_sel:BYTE_0 src1_sel:DWORD
	v_bfrev_b32_e32 v0, 1
	buffer_store_dword v0, off, s[0:3], s32 offset:164 ; 4-byte Folded Spill
	s_and_saveexec_b64 s[28:29], s[40:41]
	s_cbranch_execz .LBB328_194
; %bb.191:                              ;   in Loop: Header=BB328_9 Depth=1
	v_bfe_u32 v0, v8, 16, 7
	v_cmp_ne_u32_e32 vcc, s42, v0
	v_mov_b32_e32 v1, 0x7f800001
	buffer_store_dword v1, off, s[0:3], s32 offset:164 ; 4-byte Folded Spill
	s_and_saveexec_b64 s[40:41], vcc
	s_cbranch_execz .LBB328_193
; %bb.192:                              ;   in Loop: Header=BB328_9 Depth=1
	v_and_b32_e32 v2, 7, v19
	v_lshrrev_b32_e32 v3, 3, v0
	v_cmp_gt_u32_e32 vcc, 8, v0
	v_ffbh_u32_e32 v0, v2
	v_min_u32_e32 v4, 32, v0
	v_subrev_u32_e32 v0, 28, v4
	v_lshlrev_b64 v[0:1], v0, v[19:20]
	v_sub_u32_e32 v1, 29, v4
	v_and_b32_e32 v0, 7, v0
	v_cndmask_b32_e32 v1, v3, v1, vcc
	v_cndmask_b32_e32 v0, v2, v0, vcc
	v_lshlrev_b32_e32 v2, 24, v19
	v_bfrev_b32_e32 v3, 60
	v_lshlrev_b32_e32 v0, 20, v0
	v_and_b32_e32 v2, 0x80000000, v2
	v_lshl_add_u32 v1, v1, 23, v3
	v_or3_b32 v0, v2, v1, v0
	buffer_store_dword v0, off, s[0:3], s32 offset:164 ; 4-byte Folded Spill
.LBB328_193:                            ;   in Loop: Header=BB328_9 Depth=1
	s_or_b64 exec, exec, s[40:41]
.LBB328_194:                            ;   in Loop: Header=BB328_9 Depth=1
	s_or_b64 exec, exec, s[28:29]
.LBB328_195:                            ;   in Loop: Header=BB328_9 Depth=1
	s_or_b64 exec, exec, s[26:27]
	v_mov_b32_e32 v0, 0
	v_cmp_lt_u32_e32 vcc, s43, v8
	buffer_store_dword v0, off, s[0:3], s32 offset:168 ; 4-byte Folded Spill
	v_mov_b32_e32 v0, 0
	buffer_store_dword v0, off, s[0:3], s32 offset:320 ; 4-byte Folded Spill
	s_and_saveexec_b64 s[26:27], vcc
	s_cbranch_execz .LBB328_201
; %bb.196:                              ;   in Loop: Header=BB328_9 Depth=1
	v_lshrrev_b32_e32 v19, 24, v8
	v_cmp_ne_u32_e32 vcc, s21, v19
	v_bfrev_b32_e32 v0, 1
	buffer_store_dword v0, off, s[0:3], s32 offset:320 ; 4-byte Folded Spill
	s_and_saveexec_b64 s[28:29], vcc
	s_cbranch_execz .LBB328_200
; %bb.197:                              ;   in Loop: Header=BB328_9 Depth=1
	v_bfe_u32 v0, v8, 24, 7
	v_cmp_ne_u32_e32 vcc, s42, v0
	v_mov_b32_e32 v1, 0x7f800001
	s_and_saveexec_b64 s[40:41], vcc
	s_cbranch_execz .LBB328_199
; %bb.198:                              ;   in Loop: Header=BB328_9 Depth=1
	v_and_b32_e32 v2, 7, v19
	v_lshrrev_b32_e32 v3, 3, v0
	v_cmp_gt_u32_e32 vcc, 8, v0
	v_ffbh_u32_e32 v0, v2
	v_min_u32_e32 v4, 32, v0
	v_subrev_u32_e32 v0, 28, v4
	v_lshlrev_b64 v[0:1], v0, v[19:20]
	v_sub_u32_e32 v1, 29, v4
	v_and_b32_e32 v0, 7, v0
	v_cndmask_b32_e32 v1, v3, v1, vcc
	v_cndmask_b32_e32 v0, v2, v0, vcc
	v_lshlrev_b32_e32 v2, 24, v19
	v_bfrev_b32_e32 v3, 60
	v_lshlrev_b32_e32 v0, 20, v0
	v_and_b32_e32 v2, 0x80000000, v2
	v_lshl_add_u32 v1, v1, 23, v3
	v_or3_b32 v1, v2, v1, v0
.LBB328_199:                            ;   in Loop: Header=BB328_9 Depth=1
	s_or_b64 exec, exec, s[40:41]
	buffer_store_dword v1, off, s[0:3], s32 offset:320 ; 4-byte Folded Spill
.LBB328_200:                            ;   in Loop: Header=BB328_9 Depth=1
	s_or_b64 exec, exec, s[28:29]
.LBB328_201:                            ;   in Loop: Header=BB328_9 Depth=1
	s_or_b64 exec, exec, s[26:27]
	flat_load_dword v8, v[16:17] offset:2048
	v_mov_b32_e32 v0, 0
	s_waitcnt vmcnt(0) lgkmcnt(0)
	v_cmp_ne_u16_sdwa s[28:29], v8, v0 src0_sel:BYTE_0 src1_sel:DWORD
	s_and_saveexec_b64 s[26:27], s[28:29]
	s_cbranch_execz .LBB328_207
; %bb.202:                              ;   in Loop: Header=BB328_9 Depth=1
	v_cmp_ne_u16_sdwa s[40:41], v8, s21 src0_sel:BYTE_0 src1_sel:DWORD
	v_bfrev_b32_e32 v0, 1
	buffer_store_dword v0, off, s[0:3], s32 offset:168 ; 4-byte Folded Spill
	s_and_saveexec_b64 s[28:29], s[40:41]
	s_cbranch_execz .LBB328_206
; %bb.203:                              ;   in Loop: Header=BB328_9 Depth=1
	v_and_b32_e32 v0, 0x7f, v8
	v_cmp_ne_u32_e32 vcc, s42, v0
	v_mov_b32_e32 v1, 0x7f800001
	buffer_store_dword v1, off, s[0:3], s32 offset:168 ; 4-byte Folded Spill
	s_and_saveexec_b64 s[40:41], vcc
	s_cbranch_execz .LBB328_205
; %bb.204:                              ;   in Loop: Header=BB328_9 Depth=1
	v_and_b32_e32 v2, 7, v8
	v_lshrrev_b32_e32 v3, 3, v0
	v_cmp_gt_u32_e32 vcc, 8, v0
	v_ffbh_u32_e32 v0, v2
	v_min_u32_e32 v4, 32, v0
	v_subrev_u32_e32 v0, 28, v4
	v_lshlrev_b64 v[0:1], v0, v[8:9]
	v_sub_u32_e32 v1, 29, v4
	v_and_b32_e32 v0, 7, v0
	v_cndmask_b32_e32 v1, v3, v1, vcc
	v_cndmask_b32_e32 v0, v2, v0, vcc
	v_lshlrev_b32_e32 v2, 24, v8
	v_bfrev_b32_e32 v3, 60
	v_lshlrev_b32_e32 v0, 20, v0
	v_and_b32_e32 v2, 0x80000000, v2
	v_lshl_add_u32 v1, v1, 23, v3
	v_or3_b32 v0, v2, v1, v0
	buffer_store_dword v0, off, s[0:3], s32 offset:168 ; 4-byte Folded Spill
.LBB328_205:                            ;   in Loop: Header=BB328_9 Depth=1
	s_or_b64 exec, exec, s[40:41]
.LBB328_206:                            ;   in Loop: Header=BB328_9 Depth=1
	s_or_b64 exec, exec, s[28:29]
.LBB328_207:                            ;   in Loop: Header=BB328_9 Depth=1
	s_or_b64 exec, exec, s[26:27]
	v_lshrrev_b16_e32 v19, 8, v8
	v_mov_b32_e32 v0, 0
	v_cmp_ne_u16_e32 vcc, 0, v19
	buffer_store_dword v0, off, s[0:3], s32 offset:176 ; 4-byte Folded Spill
	v_mov_b32_e32 v0, 0
	buffer_store_dword v0, off, s[0:3], s32 offset:172 ; 4-byte Folded Spill
	s_and_saveexec_b64 s[26:27], vcc
	s_cbranch_execz .LBB328_213
; %bb.208:                              ;   in Loop: Header=BB328_9 Depth=1
	v_cmp_ne_u16_e32 vcc, s21, v19
	v_bfrev_b32_e32 v0, 1
	buffer_store_dword v0, off, s[0:3], s32 offset:172 ; 4-byte Folded Spill
	s_and_saveexec_b64 s[28:29], vcc
	s_cbranch_execz .LBB328_212
; %bb.209:                              ;   in Loop: Header=BB328_9 Depth=1
	v_and_b32_e32 v0, 0x7f, v19
	v_cmp_ne_u32_e32 vcc, s42, v0
	v_mov_b32_e32 v1, 0x7f800001
	buffer_store_dword v1, off, s[0:3], s32 offset:172 ; 4-byte Folded Spill
	s_and_saveexec_b64 s[40:41], vcc
	s_cbranch_execz .LBB328_211
; %bb.210:                              ;   in Loop: Header=BB328_9 Depth=1
	v_and_b32_e32 v2, 7, v19
	v_lshrrev_b32_e32 v3, 3, v0
	v_cmp_gt_u32_e32 vcc, 8, v0
	v_ffbh_u32_e32 v0, v2
	v_min_u32_e32 v4, 32, v0
	v_subrev_u32_e32 v0, 28, v4
	v_lshlrev_b64 v[0:1], v0, v[19:20]
	v_sub_u32_e32 v1, 29, v4
	v_and_b32_e32 v0, 7, v0
	v_cndmask_b32_e32 v1, v3, v1, vcc
	v_cndmask_b32_e32 v0, v2, v0, vcc
	v_lshlrev_b32_e32 v2, 16, v8
	v_bfrev_b32_e32 v3, 60
	v_lshlrev_b32_e32 v0, 20, v0
	v_and_b32_e32 v2, 0x80000000, v2
	v_lshl_add_u32 v1, v1, 23, v3
	v_or3_b32 v0, v2, v1, v0
	buffer_store_dword v0, off, s[0:3], s32 offset:172 ; 4-byte Folded Spill
.LBB328_211:                            ;   in Loop: Header=BB328_9 Depth=1
	s_or_b64 exec, exec, s[40:41]
.LBB328_212:                            ;   in Loop: Header=BB328_9 Depth=1
	s_or_b64 exec, exec, s[28:29]
.LBB328_213:                            ;   in Loop: Header=BB328_9 Depth=1
	s_or_b64 exec, exec, s[26:27]
	v_lshrrev_b32_e32 v19, 16, v8
	v_mov_b32_e32 v0, 0
	v_cmp_ne_u16_sdwa s[28:29], v19, v0 src0_sel:BYTE_0 src1_sel:DWORD
	s_and_saveexec_b64 s[26:27], s[28:29]
	s_cbranch_execz .LBB328_219
; %bb.214:                              ;   in Loop: Header=BB328_9 Depth=1
	v_cmp_ne_u16_sdwa s[40:41], v19, s21 src0_sel:BYTE_0 src1_sel:DWORD
	v_bfrev_b32_e32 v0, 1
	buffer_store_dword v0, off, s[0:3], s32 offset:176 ; 4-byte Folded Spill
	s_and_saveexec_b64 s[28:29], s[40:41]
	s_cbranch_execz .LBB328_218
; %bb.215:                              ;   in Loop: Header=BB328_9 Depth=1
	v_bfe_u32 v0, v8, 16, 7
	v_cmp_ne_u32_e32 vcc, s42, v0
	v_mov_b32_e32 v1, 0x7f800001
	buffer_store_dword v1, off, s[0:3], s32 offset:176 ; 4-byte Folded Spill
	s_and_saveexec_b64 s[40:41], vcc
	s_cbranch_execz .LBB328_217
; %bb.216:                              ;   in Loop: Header=BB328_9 Depth=1
	v_and_b32_e32 v2, 7, v19
	v_lshrrev_b32_e32 v3, 3, v0
	v_cmp_gt_u32_e32 vcc, 8, v0
	v_ffbh_u32_e32 v0, v2
	v_min_u32_e32 v4, 32, v0
	v_subrev_u32_e32 v0, 28, v4
	v_lshlrev_b64 v[0:1], v0, v[19:20]
	v_sub_u32_e32 v1, 29, v4
	v_and_b32_e32 v0, 7, v0
	v_cndmask_b32_e32 v1, v3, v1, vcc
	v_cndmask_b32_e32 v0, v2, v0, vcc
	v_lshlrev_b32_e32 v2, 24, v19
	v_bfrev_b32_e32 v3, 60
	v_lshlrev_b32_e32 v0, 20, v0
	v_and_b32_e32 v2, 0x80000000, v2
	v_lshl_add_u32 v1, v1, 23, v3
	v_or3_b32 v0, v2, v1, v0
	buffer_store_dword v0, off, s[0:3], s32 offset:176 ; 4-byte Folded Spill
.LBB328_217:                            ;   in Loop: Header=BB328_9 Depth=1
	s_or_b64 exec, exec, s[40:41]
.LBB328_218:                            ;   in Loop: Header=BB328_9 Depth=1
	s_or_b64 exec, exec, s[28:29]
.LBB328_219:                            ;   in Loop: Header=BB328_9 Depth=1
	s_or_b64 exec, exec, s[26:27]
	v_mov_b32_e32 v0, 0
	v_cmp_lt_u32_e32 vcc, s43, v8
	buffer_store_dword v0, off, s[0:3], s32 offset:180 ; 4-byte Folded Spill
	v_mov_b32_e32 v0, 0
	buffer_store_dword v0, off, s[0:3], s32 offset:324 ; 4-byte Folded Spill
	s_and_saveexec_b64 s[26:27], vcc
	s_cbranch_execz .LBB328_225
; %bb.220:                              ;   in Loop: Header=BB328_9 Depth=1
	v_lshrrev_b32_e32 v19, 24, v8
	v_cmp_ne_u32_e32 vcc, s21, v19
	v_bfrev_b32_e32 v0, 1
	buffer_store_dword v0, off, s[0:3], s32 offset:324 ; 4-byte Folded Spill
	s_and_saveexec_b64 s[28:29], vcc
	s_cbranch_execz .LBB328_224
; %bb.221:                              ;   in Loop: Header=BB328_9 Depth=1
	v_bfe_u32 v0, v8, 24, 7
	v_cmp_ne_u32_e32 vcc, s42, v0
	v_mov_b32_e32 v1, 0x7f800001
	s_and_saveexec_b64 s[40:41], vcc
	s_cbranch_execz .LBB328_223
; %bb.222:                              ;   in Loop: Header=BB328_9 Depth=1
	v_and_b32_e32 v2, 7, v19
	v_lshrrev_b32_e32 v3, 3, v0
	v_cmp_gt_u32_e32 vcc, 8, v0
	v_ffbh_u32_e32 v0, v2
	v_min_u32_e32 v4, 32, v0
	v_subrev_u32_e32 v0, 28, v4
	v_lshlrev_b64 v[0:1], v0, v[19:20]
	v_sub_u32_e32 v1, 29, v4
	v_and_b32_e32 v0, 7, v0
	v_cndmask_b32_e32 v1, v3, v1, vcc
	v_cndmask_b32_e32 v0, v2, v0, vcc
	v_lshlrev_b32_e32 v2, 24, v19
	v_bfrev_b32_e32 v3, 60
	v_lshlrev_b32_e32 v0, 20, v0
	v_and_b32_e32 v2, 0x80000000, v2
	v_lshl_add_u32 v1, v1, 23, v3
	v_or3_b32 v1, v2, v1, v0
.LBB328_223:                            ;   in Loop: Header=BB328_9 Depth=1
	s_or_b64 exec, exec, s[40:41]
	buffer_store_dword v1, off, s[0:3], s32 offset:324 ; 4-byte Folded Spill
.LBB328_224:                            ;   in Loop: Header=BB328_9 Depth=1
	s_or_b64 exec, exec, s[28:29]
.LBB328_225:                            ;   in Loop: Header=BB328_9 Depth=1
	s_or_b64 exec, exec, s[26:27]
	flat_load_dword v8, v[16:17] offset:2056
	v_mov_b32_e32 v0, 0
	s_waitcnt vmcnt(0) lgkmcnt(0)
	v_cmp_ne_u16_sdwa s[28:29], v8, v0 src0_sel:BYTE_0 src1_sel:DWORD
	s_and_saveexec_b64 s[26:27], s[28:29]
	s_cbranch_execz .LBB328_231
; %bb.226:                              ;   in Loop: Header=BB328_9 Depth=1
	v_cmp_ne_u16_sdwa s[40:41], v8, s21 src0_sel:BYTE_0 src1_sel:DWORD
	v_bfrev_b32_e32 v0, 1
	buffer_store_dword v0, off, s[0:3], s32 offset:180 ; 4-byte Folded Spill
	s_and_saveexec_b64 s[28:29], s[40:41]
	s_cbranch_execz .LBB328_230
; %bb.227:                              ;   in Loop: Header=BB328_9 Depth=1
	v_and_b32_e32 v0, 0x7f, v8
	v_cmp_ne_u32_e32 vcc, s42, v0
	v_mov_b32_e32 v1, 0x7f800001
	buffer_store_dword v1, off, s[0:3], s32 offset:180 ; 4-byte Folded Spill
	s_and_saveexec_b64 s[40:41], vcc
	s_cbranch_execz .LBB328_229
; %bb.228:                              ;   in Loop: Header=BB328_9 Depth=1
	v_and_b32_e32 v2, 7, v8
	v_lshrrev_b32_e32 v3, 3, v0
	v_cmp_gt_u32_e32 vcc, 8, v0
	v_ffbh_u32_e32 v0, v2
	v_min_u32_e32 v4, 32, v0
	v_subrev_u32_e32 v0, 28, v4
	v_lshlrev_b64 v[0:1], v0, v[8:9]
	v_sub_u32_e32 v1, 29, v4
	v_and_b32_e32 v0, 7, v0
	v_cndmask_b32_e32 v1, v3, v1, vcc
	v_cndmask_b32_e32 v0, v2, v0, vcc
	v_lshlrev_b32_e32 v2, 24, v8
	v_bfrev_b32_e32 v3, 60
	v_lshlrev_b32_e32 v0, 20, v0
	v_and_b32_e32 v2, 0x80000000, v2
	v_lshl_add_u32 v1, v1, 23, v3
	v_or3_b32 v0, v2, v1, v0
	buffer_store_dword v0, off, s[0:3], s32 offset:180 ; 4-byte Folded Spill
.LBB328_229:                            ;   in Loop: Header=BB328_9 Depth=1
	s_or_b64 exec, exec, s[40:41]
.LBB328_230:                            ;   in Loop: Header=BB328_9 Depth=1
	s_or_b64 exec, exec, s[28:29]
.LBB328_231:                            ;   in Loop: Header=BB328_9 Depth=1
	s_or_b64 exec, exec, s[26:27]
	v_lshrrev_b16_e32 v19, 8, v8
	v_mov_b32_e32 v0, 0
	v_cmp_ne_u16_e32 vcc, 0, v19
	buffer_store_dword v0, off, s[0:3], s32 offset:188 ; 4-byte Folded Spill
	v_mov_b32_e32 v0, 0
	buffer_store_dword v0, off, s[0:3], s32 offset:184 ; 4-byte Folded Spill
	s_and_saveexec_b64 s[26:27], vcc
	s_cbranch_execz .LBB328_237
; %bb.232:                              ;   in Loop: Header=BB328_9 Depth=1
	v_cmp_ne_u16_e32 vcc, s21, v19
	v_bfrev_b32_e32 v0, 1
	buffer_store_dword v0, off, s[0:3], s32 offset:184 ; 4-byte Folded Spill
	s_and_saveexec_b64 s[28:29], vcc
	s_cbranch_execz .LBB328_236
; %bb.233:                              ;   in Loop: Header=BB328_9 Depth=1
	v_and_b32_e32 v0, 0x7f, v19
	v_cmp_ne_u32_e32 vcc, s42, v0
	v_mov_b32_e32 v1, 0x7f800001
	buffer_store_dword v1, off, s[0:3], s32 offset:184 ; 4-byte Folded Spill
	s_and_saveexec_b64 s[40:41], vcc
	s_cbranch_execz .LBB328_235
; %bb.234:                              ;   in Loop: Header=BB328_9 Depth=1
	v_and_b32_e32 v2, 7, v19
	v_lshrrev_b32_e32 v3, 3, v0
	v_cmp_gt_u32_e32 vcc, 8, v0
	v_ffbh_u32_e32 v0, v2
	v_min_u32_e32 v4, 32, v0
	v_subrev_u32_e32 v0, 28, v4
	v_lshlrev_b64 v[0:1], v0, v[19:20]
	v_sub_u32_e32 v1, 29, v4
	v_and_b32_e32 v0, 7, v0
	v_cndmask_b32_e32 v1, v3, v1, vcc
	v_cndmask_b32_e32 v0, v2, v0, vcc
	v_lshlrev_b32_e32 v2, 16, v8
	v_bfrev_b32_e32 v3, 60
	v_lshlrev_b32_e32 v0, 20, v0
	v_and_b32_e32 v2, 0x80000000, v2
	v_lshl_add_u32 v1, v1, 23, v3
	v_or3_b32 v0, v2, v1, v0
	buffer_store_dword v0, off, s[0:3], s32 offset:184 ; 4-byte Folded Spill
.LBB328_235:                            ;   in Loop: Header=BB328_9 Depth=1
	s_or_b64 exec, exec, s[40:41]
.LBB328_236:                            ;   in Loop: Header=BB328_9 Depth=1
	s_or_b64 exec, exec, s[28:29]
.LBB328_237:                            ;   in Loop: Header=BB328_9 Depth=1
	s_or_b64 exec, exec, s[26:27]
	v_lshrrev_b32_e32 v19, 16, v8
	v_mov_b32_e32 v0, 0
	v_cmp_ne_u16_sdwa s[28:29], v19, v0 src0_sel:BYTE_0 src1_sel:DWORD
	s_and_saveexec_b64 s[26:27], s[28:29]
	s_cbranch_execz .LBB328_243
; %bb.238:                              ;   in Loop: Header=BB328_9 Depth=1
	v_cmp_ne_u16_sdwa s[40:41], v19, s21 src0_sel:BYTE_0 src1_sel:DWORD
	v_bfrev_b32_e32 v0, 1
	buffer_store_dword v0, off, s[0:3], s32 offset:188 ; 4-byte Folded Spill
	s_and_saveexec_b64 s[28:29], s[40:41]
	s_cbranch_execz .LBB328_242
; %bb.239:                              ;   in Loop: Header=BB328_9 Depth=1
	v_bfe_u32 v0, v8, 16, 7
	v_cmp_ne_u32_e32 vcc, s42, v0
	v_mov_b32_e32 v1, 0x7f800001
	buffer_store_dword v1, off, s[0:3], s32 offset:188 ; 4-byte Folded Spill
	s_and_saveexec_b64 s[40:41], vcc
	s_cbranch_execz .LBB328_241
; %bb.240:                              ;   in Loop: Header=BB328_9 Depth=1
	v_and_b32_e32 v2, 7, v19
	v_lshrrev_b32_e32 v3, 3, v0
	v_cmp_gt_u32_e32 vcc, 8, v0
	v_ffbh_u32_e32 v0, v2
	v_min_u32_e32 v4, 32, v0
	v_subrev_u32_e32 v0, 28, v4
	v_lshlrev_b64 v[0:1], v0, v[19:20]
	v_sub_u32_e32 v1, 29, v4
	v_and_b32_e32 v0, 7, v0
	v_cndmask_b32_e32 v1, v3, v1, vcc
	v_cndmask_b32_e32 v0, v2, v0, vcc
	v_lshlrev_b32_e32 v2, 24, v19
	v_bfrev_b32_e32 v3, 60
	v_lshlrev_b32_e32 v0, 20, v0
	v_and_b32_e32 v2, 0x80000000, v2
	v_lshl_add_u32 v1, v1, 23, v3
	v_or3_b32 v0, v2, v1, v0
	buffer_store_dword v0, off, s[0:3], s32 offset:188 ; 4-byte Folded Spill
.LBB328_241:                            ;   in Loop: Header=BB328_9 Depth=1
	s_or_b64 exec, exec, s[40:41]
.LBB328_242:                            ;   in Loop: Header=BB328_9 Depth=1
	s_or_b64 exec, exec, s[28:29]
.LBB328_243:                            ;   in Loop: Header=BB328_9 Depth=1
	s_or_b64 exec, exec, s[26:27]
	v_mov_b32_e32 v0, 0
	v_cmp_lt_u32_e32 vcc, s43, v8
	buffer_store_dword v0, off, s[0:3], s32 offset:192 ; 4-byte Folded Spill
	v_mov_b32_e32 v0, 0
	buffer_store_dword v0, off, s[0:3], s32 offset:328 ; 4-byte Folded Spill
	s_and_saveexec_b64 s[26:27], vcc
	s_cbranch_execz .LBB328_249
; %bb.244:                              ;   in Loop: Header=BB328_9 Depth=1
	v_lshrrev_b32_e32 v19, 24, v8
	v_cmp_ne_u32_e32 vcc, s21, v19
	v_bfrev_b32_e32 v0, 1
	buffer_store_dword v0, off, s[0:3], s32 offset:328 ; 4-byte Folded Spill
	s_and_saveexec_b64 s[28:29], vcc
	s_cbranch_execz .LBB328_248
; %bb.245:                              ;   in Loop: Header=BB328_9 Depth=1
	v_bfe_u32 v0, v8, 24, 7
	v_cmp_ne_u32_e32 vcc, s42, v0
	v_mov_b32_e32 v1, 0x7f800001
	s_and_saveexec_b64 s[40:41], vcc
	s_cbranch_execz .LBB328_247
; %bb.246:                              ;   in Loop: Header=BB328_9 Depth=1
	v_and_b32_e32 v2, 7, v19
	v_lshrrev_b32_e32 v3, 3, v0
	v_cmp_gt_u32_e32 vcc, 8, v0
	v_ffbh_u32_e32 v0, v2
	v_min_u32_e32 v4, 32, v0
	v_subrev_u32_e32 v0, 28, v4
	v_lshlrev_b64 v[0:1], v0, v[19:20]
	v_sub_u32_e32 v1, 29, v4
	v_and_b32_e32 v0, 7, v0
	v_cndmask_b32_e32 v1, v3, v1, vcc
	v_cndmask_b32_e32 v0, v2, v0, vcc
	v_lshlrev_b32_e32 v2, 24, v19
	v_bfrev_b32_e32 v3, 60
	v_lshlrev_b32_e32 v0, 20, v0
	v_and_b32_e32 v2, 0x80000000, v2
	v_lshl_add_u32 v1, v1, 23, v3
	v_or3_b32 v1, v2, v1, v0
.LBB328_247:                            ;   in Loop: Header=BB328_9 Depth=1
	s_or_b64 exec, exec, s[40:41]
	buffer_store_dword v1, off, s[0:3], s32 offset:328 ; 4-byte Folded Spill
.LBB328_248:                            ;   in Loop: Header=BB328_9 Depth=1
	s_or_b64 exec, exec, s[28:29]
.LBB328_249:                            ;   in Loop: Header=BB328_9 Depth=1
	s_or_b64 exec, exec, s[26:27]
	flat_load_dword v8, v[16:17] offset:2560
	v_mov_b32_e32 v0, 0
	s_waitcnt vmcnt(0) lgkmcnt(0)
	v_cmp_ne_u16_sdwa s[28:29], v8, v0 src0_sel:BYTE_0 src1_sel:DWORD
	s_and_saveexec_b64 s[26:27], s[28:29]
	s_cbranch_execz .LBB328_255
; %bb.250:                              ;   in Loop: Header=BB328_9 Depth=1
	v_cmp_ne_u16_sdwa s[40:41], v8, s21 src0_sel:BYTE_0 src1_sel:DWORD
	v_bfrev_b32_e32 v0, 1
	buffer_store_dword v0, off, s[0:3], s32 offset:192 ; 4-byte Folded Spill
	s_and_saveexec_b64 s[28:29], s[40:41]
	s_cbranch_execz .LBB328_254
; %bb.251:                              ;   in Loop: Header=BB328_9 Depth=1
	v_and_b32_e32 v0, 0x7f, v8
	v_cmp_ne_u32_e32 vcc, s42, v0
	v_mov_b32_e32 v1, 0x7f800001
	buffer_store_dword v1, off, s[0:3], s32 offset:192 ; 4-byte Folded Spill
	s_and_saveexec_b64 s[40:41], vcc
	s_cbranch_execz .LBB328_253
; %bb.252:                              ;   in Loop: Header=BB328_9 Depth=1
	v_and_b32_e32 v2, 7, v8
	v_lshrrev_b32_e32 v3, 3, v0
	v_cmp_gt_u32_e32 vcc, 8, v0
	v_ffbh_u32_e32 v0, v2
	v_min_u32_e32 v4, 32, v0
	v_subrev_u32_e32 v0, 28, v4
	v_lshlrev_b64 v[0:1], v0, v[8:9]
	v_sub_u32_e32 v1, 29, v4
	v_and_b32_e32 v0, 7, v0
	v_cndmask_b32_e32 v1, v3, v1, vcc
	v_cndmask_b32_e32 v0, v2, v0, vcc
	v_lshlrev_b32_e32 v2, 24, v8
	v_bfrev_b32_e32 v3, 60
	v_lshlrev_b32_e32 v0, 20, v0
	v_and_b32_e32 v2, 0x80000000, v2
	v_lshl_add_u32 v1, v1, 23, v3
	v_or3_b32 v0, v2, v1, v0
	buffer_store_dword v0, off, s[0:3], s32 offset:192 ; 4-byte Folded Spill
.LBB328_253:                            ;   in Loop: Header=BB328_9 Depth=1
	s_or_b64 exec, exec, s[40:41]
.LBB328_254:                            ;   in Loop: Header=BB328_9 Depth=1
	s_or_b64 exec, exec, s[28:29]
.LBB328_255:                            ;   in Loop: Header=BB328_9 Depth=1
	s_or_b64 exec, exec, s[26:27]
	v_lshrrev_b16_e32 v19, 8, v8
	v_mov_b32_e32 v0, 0
	v_cmp_ne_u16_e32 vcc, 0, v19
	buffer_store_dword v0, off, s[0:3], s32 offset:200 ; 4-byte Folded Spill
	v_mov_b32_e32 v0, 0
	buffer_store_dword v0, off, s[0:3], s32 offset:196 ; 4-byte Folded Spill
	s_and_saveexec_b64 s[26:27], vcc
	s_cbranch_execz .LBB328_261
; %bb.256:                              ;   in Loop: Header=BB328_9 Depth=1
	v_cmp_ne_u16_e32 vcc, s21, v19
	v_bfrev_b32_e32 v0, 1
	buffer_store_dword v0, off, s[0:3], s32 offset:196 ; 4-byte Folded Spill
	s_and_saveexec_b64 s[28:29], vcc
	s_cbranch_execz .LBB328_260
; %bb.257:                              ;   in Loop: Header=BB328_9 Depth=1
	v_and_b32_e32 v0, 0x7f, v19
	v_cmp_ne_u32_e32 vcc, s42, v0
	v_mov_b32_e32 v1, 0x7f800001
	buffer_store_dword v1, off, s[0:3], s32 offset:196 ; 4-byte Folded Spill
	s_and_saveexec_b64 s[40:41], vcc
	s_cbranch_execz .LBB328_259
; %bb.258:                              ;   in Loop: Header=BB328_9 Depth=1
	v_and_b32_e32 v2, 7, v19
	v_lshrrev_b32_e32 v3, 3, v0
	v_cmp_gt_u32_e32 vcc, 8, v0
	v_ffbh_u32_e32 v0, v2
	v_min_u32_e32 v4, 32, v0
	v_subrev_u32_e32 v0, 28, v4
	v_lshlrev_b64 v[0:1], v0, v[19:20]
	v_sub_u32_e32 v1, 29, v4
	v_and_b32_e32 v0, 7, v0
	v_cndmask_b32_e32 v1, v3, v1, vcc
	v_cndmask_b32_e32 v0, v2, v0, vcc
	v_lshlrev_b32_e32 v2, 16, v8
	v_bfrev_b32_e32 v3, 60
	v_lshlrev_b32_e32 v0, 20, v0
	v_and_b32_e32 v2, 0x80000000, v2
	v_lshl_add_u32 v1, v1, 23, v3
	v_or3_b32 v0, v2, v1, v0
	buffer_store_dword v0, off, s[0:3], s32 offset:196 ; 4-byte Folded Spill
.LBB328_259:                            ;   in Loop: Header=BB328_9 Depth=1
	s_or_b64 exec, exec, s[40:41]
.LBB328_260:                            ;   in Loop: Header=BB328_9 Depth=1
	s_or_b64 exec, exec, s[28:29]
.LBB328_261:                            ;   in Loop: Header=BB328_9 Depth=1
	s_or_b64 exec, exec, s[26:27]
	v_lshrrev_b32_e32 v19, 16, v8
	v_mov_b32_e32 v0, 0
	v_cmp_ne_u16_sdwa s[28:29], v19, v0 src0_sel:BYTE_0 src1_sel:DWORD
	s_and_saveexec_b64 s[26:27], s[28:29]
	s_cbranch_execz .LBB328_267
; %bb.262:                              ;   in Loop: Header=BB328_9 Depth=1
	v_cmp_ne_u16_sdwa s[40:41], v19, s21 src0_sel:BYTE_0 src1_sel:DWORD
	v_bfrev_b32_e32 v0, 1
	buffer_store_dword v0, off, s[0:3], s32 offset:200 ; 4-byte Folded Spill
	s_and_saveexec_b64 s[28:29], s[40:41]
	s_cbranch_execz .LBB328_266
; %bb.263:                              ;   in Loop: Header=BB328_9 Depth=1
	v_bfe_u32 v0, v8, 16, 7
	v_cmp_ne_u32_e32 vcc, s42, v0
	v_mov_b32_e32 v1, 0x7f800001
	buffer_store_dword v1, off, s[0:3], s32 offset:200 ; 4-byte Folded Spill
	s_and_saveexec_b64 s[40:41], vcc
	s_cbranch_execz .LBB328_265
; %bb.264:                              ;   in Loop: Header=BB328_9 Depth=1
	v_and_b32_e32 v2, 7, v19
	v_lshrrev_b32_e32 v3, 3, v0
	v_cmp_gt_u32_e32 vcc, 8, v0
	v_ffbh_u32_e32 v0, v2
	v_min_u32_e32 v4, 32, v0
	v_subrev_u32_e32 v0, 28, v4
	v_lshlrev_b64 v[0:1], v0, v[19:20]
	v_sub_u32_e32 v1, 29, v4
	v_and_b32_e32 v0, 7, v0
	v_cndmask_b32_e32 v1, v3, v1, vcc
	v_cndmask_b32_e32 v0, v2, v0, vcc
	v_lshlrev_b32_e32 v2, 24, v19
	v_bfrev_b32_e32 v3, 60
	v_lshlrev_b32_e32 v0, 20, v0
	v_and_b32_e32 v2, 0x80000000, v2
	v_lshl_add_u32 v1, v1, 23, v3
	v_or3_b32 v0, v2, v1, v0
	buffer_store_dword v0, off, s[0:3], s32 offset:200 ; 4-byte Folded Spill
.LBB328_265:                            ;   in Loop: Header=BB328_9 Depth=1
	s_or_b64 exec, exec, s[40:41]
.LBB328_266:                            ;   in Loop: Header=BB328_9 Depth=1
	s_or_b64 exec, exec, s[28:29]
.LBB328_267:                            ;   in Loop: Header=BB328_9 Depth=1
	s_or_b64 exec, exec, s[26:27]
	v_mov_b32_e32 v0, 0
	v_cmp_lt_u32_e32 vcc, s43, v8
	buffer_store_dword v0, off, s[0:3], s32 offset:204 ; 4-byte Folded Spill
	v_mov_b32_e32 v0, 0
	buffer_store_dword v0, off, s[0:3], s32 offset:332 ; 4-byte Folded Spill
	s_and_saveexec_b64 s[26:27], vcc
	s_cbranch_execz .LBB328_273
; %bb.268:                              ;   in Loop: Header=BB328_9 Depth=1
	v_lshrrev_b32_e32 v19, 24, v8
	v_cmp_ne_u32_e32 vcc, s21, v19
	v_bfrev_b32_e32 v0, 1
	buffer_store_dword v0, off, s[0:3], s32 offset:332 ; 4-byte Folded Spill
	s_and_saveexec_b64 s[28:29], vcc
	s_cbranch_execz .LBB328_272
; %bb.269:                              ;   in Loop: Header=BB328_9 Depth=1
	v_bfe_u32 v0, v8, 24, 7
	v_cmp_ne_u32_e32 vcc, s42, v0
	v_mov_b32_e32 v1, 0x7f800001
	s_and_saveexec_b64 s[40:41], vcc
	s_cbranch_execz .LBB328_271
; %bb.270:                              ;   in Loop: Header=BB328_9 Depth=1
	v_and_b32_e32 v2, 7, v19
	v_lshrrev_b32_e32 v3, 3, v0
	v_cmp_gt_u32_e32 vcc, 8, v0
	v_ffbh_u32_e32 v0, v2
	v_min_u32_e32 v4, 32, v0
	v_subrev_u32_e32 v0, 28, v4
	v_lshlrev_b64 v[0:1], v0, v[19:20]
	v_sub_u32_e32 v1, 29, v4
	v_and_b32_e32 v0, 7, v0
	v_cndmask_b32_e32 v1, v3, v1, vcc
	v_cndmask_b32_e32 v0, v2, v0, vcc
	v_lshlrev_b32_e32 v2, 24, v19
	v_bfrev_b32_e32 v3, 60
	v_lshlrev_b32_e32 v0, 20, v0
	v_and_b32_e32 v2, 0x80000000, v2
	v_lshl_add_u32 v1, v1, 23, v3
	v_or3_b32 v1, v2, v1, v0
.LBB328_271:                            ;   in Loop: Header=BB328_9 Depth=1
	s_or_b64 exec, exec, s[40:41]
	buffer_store_dword v1, off, s[0:3], s32 offset:332 ; 4-byte Folded Spill
.LBB328_272:                            ;   in Loop: Header=BB328_9 Depth=1
	s_or_b64 exec, exec, s[28:29]
.LBB328_273:                            ;   in Loop: Header=BB328_9 Depth=1
	s_or_b64 exec, exec, s[26:27]
	flat_load_dword v8, v[16:17] offset:2568
	v_mov_b32_e32 v0, 0
	s_waitcnt vmcnt(0) lgkmcnt(0)
	v_cmp_ne_u16_sdwa s[28:29], v8, v0 src0_sel:BYTE_0 src1_sel:DWORD
	s_and_saveexec_b64 s[26:27], s[28:29]
	s_cbranch_execz .LBB328_279
; %bb.274:                              ;   in Loop: Header=BB328_9 Depth=1
	v_cmp_ne_u16_sdwa s[40:41], v8, s21 src0_sel:BYTE_0 src1_sel:DWORD
	v_bfrev_b32_e32 v0, 1
	buffer_store_dword v0, off, s[0:3], s32 offset:204 ; 4-byte Folded Spill
	s_and_saveexec_b64 s[28:29], s[40:41]
	s_cbranch_execz .LBB328_278
; %bb.275:                              ;   in Loop: Header=BB328_9 Depth=1
	v_and_b32_e32 v0, 0x7f, v8
	v_cmp_ne_u32_e32 vcc, s42, v0
	v_mov_b32_e32 v1, 0x7f800001
	buffer_store_dword v1, off, s[0:3], s32 offset:204 ; 4-byte Folded Spill
	s_and_saveexec_b64 s[40:41], vcc
	s_cbranch_execz .LBB328_277
; %bb.276:                              ;   in Loop: Header=BB328_9 Depth=1
	v_and_b32_e32 v2, 7, v8
	v_lshrrev_b32_e32 v3, 3, v0
	v_cmp_gt_u32_e32 vcc, 8, v0
	v_ffbh_u32_e32 v0, v2
	v_min_u32_e32 v4, 32, v0
	v_subrev_u32_e32 v0, 28, v4
	v_lshlrev_b64 v[0:1], v0, v[8:9]
	v_sub_u32_e32 v1, 29, v4
	v_and_b32_e32 v0, 7, v0
	v_cndmask_b32_e32 v1, v3, v1, vcc
	v_cndmask_b32_e32 v0, v2, v0, vcc
	v_lshlrev_b32_e32 v2, 24, v8
	v_bfrev_b32_e32 v3, 60
	v_lshlrev_b32_e32 v0, 20, v0
	v_and_b32_e32 v2, 0x80000000, v2
	v_lshl_add_u32 v1, v1, 23, v3
	v_or3_b32 v0, v2, v1, v0
	buffer_store_dword v0, off, s[0:3], s32 offset:204 ; 4-byte Folded Spill
.LBB328_277:                            ;   in Loop: Header=BB328_9 Depth=1
	s_or_b64 exec, exec, s[40:41]
.LBB328_278:                            ;   in Loop: Header=BB328_9 Depth=1
	s_or_b64 exec, exec, s[28:29]
.LBB328_279:                            ;   in Loop: Header=BB328_9 Depth=1
	s_or_b64 exec, exec, s[26:27]
	v_lshrrev_b16_e32 v19, 8, v8
	v_mov_b32_e32 v0, 0
	v_cmp_ne_u16_e32 vcc, 0, v19
	buffer_store_dword v0, off, s[0:3], s32 offset:212 ; 4-byte Folded Spill
	v_mov_b32_e32 v0, 0
	buffer_store_dword v0, off, s[0:3], s32 offset:208 ; 4-byte Folded Spill
	s_and_saveexec_b64 s[26:27], vcc
	s_cbranch_execz .LBB328_285
; %bb.280:                              ;   in Loop: Header=BB328_9 Depth=1
	v_cmp_ne_u16_e32 vcc, s21, v19
	v_bfrev_b32_e32 v0, 1
	buffer_store_dword v0, off, s[0:3], s32 offset:208 ; 4-byte Folded Spill
	s_and_saveexec_b64 s[28:29], vcc
	s_cbranch_execz .LBB328_284
; %bb.281:                              ;   in Loop: Header=BB328_9 Depth=1
	v_and_b32_e32 v0, 0x7f, v19
	v_cmp_ne_u32_e32 vcc, s42, v0
	v_mov_b32_e32 v1, 0x7f800001
	buffer_store_dword v1, off, s[0:3], s32 offset:208 ; 4-byte Folded Spill
	s_and_saveexec_b64 s[40:41], vcc
	s_cbranch_execz .LBB328_283
; %bb.282:                              ;   in Loop: Header=BB328_9 Depth=1
	v_and_b32_e32 v2, 7, v19
	v_lshrrev_b32_e32 v3, 3, v0
	v_cmp_gt_u32_e32 vcc, 8, v0
	v_ffbh_u32_e32 v0, v2
	v_min_u32_e32 v4, 32, v0
	v_subrev_u32_e32 v0, 28, v4
	v_lshlrev_b64 v[0:1], v0, v[19:20]
	v_sub_u32_e32 v1, 29, v4
	v_and_b32_e32 v0, 7, v0
	v_cndmask_b32_e32 v1, v3, v1, vcc
	v_cndmask_b32_e32 v0, v2, v0, vcc
	v_lshlrev_b32_e32 v2, 16, v8
	v_bfrev_b32_e32 v3, 60
	v_lshlrev_b32_e32 v0, 20, v0
	v_and_b32_e32 v2, 0x80000000, v2
	v_lshl_add_u32 v1, v1, 23, v3
	v_or3_b32 v0, v2, v1, v0
	buffer_store_dword v0, off, s[0:3], s32 offset:208 ; 4-byte Folded Spill
.LBB328_283:                            ;   in Loop: Header=BB328_9 Depth=1
	s_or_b64 exec, exec, s[40:41]
.LBB328_284:                            ;   in Loop: Header=BB328_9 Depth=1
	s_or_b64 exec, exec, s[28:29]
.LBB328_285:                            ;   in Loop: Header=BB328_9 Depth=1
	s_or_b64 exec, exec, s[26:27]
	v_lshrrev_b32_e32 v19, 16, v8
	v_mov_b32_e32 v0, 0
	v_cmp_ne_u16_sdwa s[28:29], v19, v0 src0_sel:BYTE_0 src1_sel:DWORD
	s_and_saveexec_b64 s[26:27], s[28:29]
	s_cbranch_execz .LBB328_291
; %bb.286:                              ;   in Loop: Header=BB328_9 Depth=1
	v_cmp_ne_u16_sdwa s[40:41], v19, s21 src0_sel:BYTE_0 src1_sel:DWORD
	v_bfrev_b32_e32 v0, 1
	buffer_store_dword v0, off, s[0:3], s32 offset:212 ; 4-byte Folded Spill
	s_and_saveexec_b64 s[28:29], s[40:41]
	s_cbranch_execz .LBB328_290
; %bb.287:                              ;   in Loop: Header=BB328_9 Depth=1
	v_bfe_u32 v0, v8, 16, 7
	v_cmp_ne_u32_e32 vcc, s42, v0
	v_mov_b32_e32 v1, 0x7f800001
	buffer_store_dword v1, off, s[0:3], s32 offset:212 ; 4-byte Folded Spill
	s_and_saveexec_b64 s[40:41], vcc
	s_cbranch_execz .LBB328_289
; %bb.288:                              ;   in Loop: Header=BB328_9 Depth=1
	v_and_b32_e32 v2, 7, v19
	v_lshrrev_b32_e32 v3, 3, v0
	v_cmp_gt_u32_e32 vcc, 8, v0
	v_ffbh_u32_e32 v0, v2
	v_min_u32_e32 v4, 32, v0
	v_subrev_u32_e32 v0, 28, v4
	v_lshlrev_b64 v[0:1], v0, v[19:20]
	v_sub_u32_e32 v1, 29, v4
	v_and_b32_e32 v0, 7, v0
	v_cndmask_b32_e32 v1, v3, v1, vcc
	v_cndmask_b32_e32 v0, v2, v0, vcc
	v_lshlrev_b32_e32 v2, 24, v19
	v_bfrev_b32_e32 v3, 60
	v_lshlrev_b32_e32 v0, 20, v0
	v_and_b32_e32 v2, 0x80000000, v2
	v_lshl_add_u32 v1, v1, 23, v3
	v_or3_b32 v0, v2, v1, v0
	buffer_store_dword v0, off, s[0:3], s32 offset:212 ; 4-byte Folded Spill
.LBB328_289:                            ;   in Loop: Header=BB328_9 Depth=1
	s_or_b64 exec, exec, s[40:41]
.LBB328_290:                            ;   in Loop: Header=BB328_9 Depth=1
	s_or_b64 exec, exec, s[28:29]
.LBB328_291:                            ;   in Loop: Header=BB328_9 Depth=1
	s_or_b64 exec, exec, s[26:27]
	v_mov_b32_e32 v0, 0
	v_cmp_lt_u32_e32 vcc, s43, v8
	buffer_store_dword v0, off, s[0:3], s32 offset:216 ; 4-byte Folded Spill
	v_mov_b32_e32 v0, 0
	buffer_store_dword v0, off, s[0:3], s32 offset:336 ; 4-byte Folded Spill
	s_and_saveexec_b64 s[26:27], vcc
	s_cbranch_execz .LBB328_297
; %bb.292:                              ;   in Loop: Header=BB328_9 Depth=1
	v_lshrrev_b32_e32 v19, 24, v8
	v_cmp_ne_u32_e32 vcc, s21, v19
	v_bfrev_b32_e32 v0, 1
	buffer_store_dword v0, off, s[0:3], s32 offset:336 ; 4-byte Folded Spill
	s_and_saveexec_b64 s[28:29], vcc
	s_cbranch_execz .LBB328_296
; %bb.293:                              ;   in Loop: Header=BB328_9 Depth=1
	v_bfe_u32 v0, v8, 24, 7
	v_cmp_ne_u32_e32 vcc, s42, v0
	v_mov_b32_e32 v1, 0x7f800001
	s_and_saveexec_b64 s[40:41], vcc
	s_cbranch_execz .LBB328_295
; %bb.294:                              ;   in Loop: Header=BB328_9 Depth=1
	v_and_b32_e32 v2, 7, v19
	v_lshrrev_b32_e32 v3, 3, v0
	v_cmp_gt_u32_e32 vcc, 8, v0
	v_ffbh_u32_e32 v0, v2
	v_min_u32_e32 v4, 32, v0
	v_subrev_u32_e32 v0, 28, v4
	v_lshlrev_b64 v[0:1], v0, v[19:20]
	v_sub_u32_e32 v1, 29, v4
	v_and_b32_e32 v0, 7, v0
	v_cndmask_b32_e32 v1, v3, v1, vcc
	v_cndmask_b32_e32 v0, v2, v0, vcc
	v_lshlrev_b32_e32 v2, 24, v19
	v_bfrev_b32_e32 v3, 60
	v_lshlrev_b32_e32 v0, 20, v0
	v_and_b32_e32 v2, 0x80000000, v2
	v_lshl_add_u32 v1, v1, 23, v3
	v_or3_b32 v1, v2, v1, v0
.LBB328_295:                            ;   in Loop: Header=BB328_9 Depth=1
	s_or_b64 exec, exec, s[40:41]
	buffer_store_dword v1, off, s[0:3], s32 offset:336 ; 4-byte Folded Spill
.LBB328_296:                            ;   in Loop: Header=BB328_9 Depth=1
	s_or_b64 exec, exec, s[28:29]
.LBB328_297:                            ;   in Loop: Header=BB328_9 Depth=1
	s_or_b64 exec, exec, s[26:27]
	flat_load_dword v8, v[16:17] offset:3072
	v_mov_b32_e32 v0, 0
	s_waitcnt vmcnt(0) lgkmcnt(0)
	v_cmp_ne_u16_sdwa s[28:29], v8, v0 src0_sel:BYTE_0 src1_sel:DWORD
	s_and_saveexec_b64 s[26:27], s[28:29]
	s_cbranch_execz .LBB328_303
; %bb.298:                              ;   in Loop: Header=BB328_9 Depth=1
	v_cmp_ne_u16_sdwa s[40:41], v8, s21 src0_sel:BYTE_0 src1_sel:DWORD
	v_bfrev_b32_e32 v0, 1
	buffer_store_dword v0, off, s[0:3], s32 offset:216 ; 4-byte Folded Spill
	s_and_saveexec_b64 s[28:29], s[40:41]
	s_cbranch_execz .LBB328_302
; %bb.299:                              ;   in Loop: Header=BB328_9 Depth=1
	v_and_b32_e32 v0, 0x7f, v8
	v_cmp_ne_u32_e32 vcc, s42, v0
	v_mov_b32_e32 v1, 0x7f800001
	buffer_store_dword v1, off, s[0:3], s32 offset:216 ; 4-byte Folded Spill
	s_and_saveexec_b64 s[40:41], vcc
	s_cbranch_execz .LBB328_301
; %bb.300:                              ;   in Loop: Header=BB328_9 Depth=1
	v_and_b32_e32 v2, 7, v8
	v_lshrrev_b32_e32 v3, 3, v0
	v_cmp_gt_u32_e32 vcc, 8, v0
	v_ffbh_u32_e32 v0, v2
	v_min_u32_e32 v4, 32, v0
	v_subrev_u32_e32 v0, 28, v4
	v_lshlrev_b64 v[0:1], v0, v[8:9]
	v_sub_u32_e32 v1, 29, v4
	v_and_b32_e32 v0, 7, v0
	v_cndmask_b32_e32 v1, v3, v1, vcc
	v_cndmask_b32_e32 v0, v2, v0, vcc
	v_lshlrev_b32_e32 v2, 24, v8
	v_bfrev_b32_e32 v3, 60
	v_lshlrev_b32_e32 v0, 20, v0
	v_and_b32_e32 v2, 0x80000000, v2
	v_lshl_add_u32 v1, v1, 23, v3
	v_or3_b32 v0, v2, v1, v0
	buffer_store_dword v0, off, s[0:3], s32 offset:216 ; 4-byte Folded Spill
.LBB328_301:                            ;   in Loop: Header=BB328_9 Depth=1
	s_or_b64 exec, exec, s[40:41]
.LBB328_302:                            ;   in Loop: Header=BB328_9 Depth=1
	s_or_b64 exec, exec, s[28:29]
.LBB328_303:                            ;   in Loop: Header=BB328_9 Depth=1
	s_or_b64 exec, exec, s[26:27]
	v_lshrrev_b16_e32 v19, 8, v8
	v_mov_b32_e32 v0, 0
	v_cmp_ne_u16_e32 vcc, 0, v19
	buffer_store_dword v0, off, s[0:3], s32 offset:224 ; 4-byte Folded Spill
	v_mov_b32_e32 v0, 0
	buffer_store_dword v0, off, s[0:3], s32 offset:220 ; 4-byte Folded Spill
	s_and_saveexec_b64 s[26:27], vcc
	s_cbranch_execz .LBB328_309
; %bb.304:                              ;   in Loop: Header=BB328_9 Depth=1
	v_cmp_ne_u16_e32 vcc, s21, v19
	v_bfrev_b32_e32 v0, 1
	buffer_store_dword v0, off, s[0:3], s32 offset:220 ; 4-byte Folded Spill
	s_and_saveexec_b64 s[28:29], vcc
	s_cbranch_execz .LBB328_308
; %bb.305:                              ;   in Loop: Header=BB328_9 Depth=1
	v_and_b32_e32 v0, 0x7f, v19
	v_cmp_ne_u32_e32 vcc, s42, v0
	v_mov_b32_e32 v1, 0x7f800001
	buffer_store_dword v1, off, s[0:3], s32 offset:220 ; 4-byte Folded Spill
	s_and_saveexec_b64 s[40:41], vcc
	s_cbranch_execz .LBB328_307
; %bb.306:                              ;   in Loop: Header=BB328_9 Depth=1
	v_and_b32_e32 v2, 7, v19
	v_lshrrev_b32_e32 v3, 3, v0
	v_cmp_gt_u32_e32 vcc, 8, v0
	v_ffbh_u32_e32 v0, v2
	v_min_u32_e32 v4, 32, v0
	v_subrev_u32_e32 v0, 28, v4
	v_lshlrev_b64 v[0:1], v0, v[19:20]
	v_sub_u32_e32 v1, 29, v4
	v_and_b32_e32 v0, 7, v0
	v_cndmask_b32_e32 v1, v3, v1, vcc
	v_cndmask_b32_e32 v0, v2, v0, vcc
	v_lshlrev_b32_e32 v2, 16, v8
	v_bfrev_b32_e32 v3, 60
	v_lshlrev_b32_e32 v0, 20, v0
	v_and_b32_e32 v2, 0x80000000, v2
	v_lshl_add_u32 v1, v1, 23, v3
	v_or3_b32 v0, v2, v1, v0
	buffer_store_dword v0, off, s[0:3], s32 offset:220 ; 4-byte Folded Spill
.LBB328_307:                            ;   in Loop: Header=BB328_9 Depth=1
	s_or_b64 exec, exec, s[40:41]
.LBB328_308:                            ;   in Loop: Header=BB328_9 Depth=1
	s_or_b64 exec, exec, s[28:29]
.LBB328_309:                            ;   in Loop: Header=BB328_9 Depth=1
	s_or_b64 exec, exec, s[26:27]
	v_lshrrev_b32_e32 v19, 16, v8
	v_mov_b32_e32 v0, 0
	v_cmp_ne_u16_sdwa s[28:29], v19, v0 src0_sel:BYTE_0 src1_sel:DWORD
	s_and_saveexec_b64 s[26:27], s[28:29]
	s_cbranch_execz .LBB328_315
; %bb.310:                              ;   in Loop: Header=BB328_9 Depth=1
	v_cmp_ne_u16_sdwa s[40:41], v19, s21 src0_sel:BYTE_0 src1_sel:DWORD
	v_bfrev_b32_e32 v0, 1
	buffer_store_dword v0, off, s[0:3], s32 offset:224 ; 4-byte Folded Spill
	s_and_saveexec_b64 s[28:29], s[40:41]
	s_cbranch_execz .LBB328_314
; %bb.311:                              ;   in Loop: Header=BB328_9 Depth=1
	v_bfe_u32 v0, v8, 16, 7
	v_cmp_ne_u32_e32 vcc, s42, v0
	v_mov_b32_e32 v1, 0x7f800001
	buffer_store_dword v1, off, s[0:3], s32 offset:224 ; 4-byte Folded Spill
	s_and_saveexec_b64 s[40:41], vcc
	s_cbranch_execz .LBB328_313
; %bb.312:                              ;   in Loop: Header=BB328_9 Depth=1
	v_and_b32_e32 v2, 7, v19
	v_lshrrev_b32_e32 v3, 3, v0
	v_cmp_gt_u32_e32 vcc, 8, v0
	v_ffbh_u32_e32 v0, v2
	v_min_u32_e32 v4, 32, v0
	v_subrev_u32_e32 v0, 28, v4
	v_lshlrev_b64 v[0:1], v0, v[19:20]
	v_sub_u32_e32 v1, 29, v4
	v_and_b32_e32 v0, 7, v0
	v_cndmask_b32_e32 v1, v3, v1, vcc
	v_cndmask_b32_e32 v0, v2, v0, vcc
	v_lshlrev_b32_e32 v2, 24, v19
	v_bfrev_b32_e32 v3, 60
	v_lshlrev_b32_e32 v0, 20, v0
	v_and_b32_e32 v2, 0x80000000, v2
	v_lshl_add_u32 v1, v1, 23, v3
	v_or3_b32 v0, v2, v1, v0
	buffer_store_dword v0, off, s[0:3], s32 offset:224 ; 4-byte Folded Spill
.LBB328_313:                            ;   in Loop: Header=BB328_9 Depth=1
	s_or_b64 exec, exec, s[40:41]
.LBB328_314:                            ;   in Loop: Header=BB328_9 Depth=1
	s_or_b64 exec, exec, s[28:29]
.LBB328_315:                            ;   in Loop: Header=BB328_9 Depth=1
	s_or_b64 exec, exec, s[26:27]
	v_mov_b32_e32 v0, 0
	v_cmp_lt_u32_e32 vcc, s43, v8
	buffer_store_dword v0, off, s[0:3], s32 offset:228 ; 4-byte Folded Spill
	v_mov_b32_e32 v0, 0
	buffer_store_dword v0, off, s[0:3], s32 offset:340 ; 4-byte Folded Spill
	s_and_saveexec_b64 s[26:27], vcc
	s_cbranch_execz .LBB328_321
; %bb.316:                              ;   in Loop: Header=BB328_9 Depth=1
	v_lshrrev_b32_e32 v19, 24, v8
	v_cmp_ne_u32_e32 vcc, s21, v19
	v_bfrev_b32_e32 v0, 1
	buffer_store_dword v0, off, s[0:3], s32 offset:340 ; 4-byte Folded Spill
	s_and_saveexec_b64 s[28:29], vcc
	s_cbranch_execz .LBB328_320
; %bb.317:                              ;   in Loop: Header=BB328_9 Depth=1
	v_bfe_u32 v0, v8, 24, 7
	v_cmp_ne_u32_e32 vcc, s42, v0
	v_mov_b32_e32 v1, 0x7f800001
	s_and_saveexec_b64 s[40:41], vcc
	s_cbranch_execz .LBB328_319
; %bb.318:                              ;   in Loop: Header=BB328_9 Depth=1
	v_and_b32_e32 v2, 7, v19
	v_lshrrev_b32_e32 v3, 3, v0
	v_cmp_gt_u32_e32 vcc, 8, v0
	v_ffbh_u32_e32 v0, v2
	v_min_u32_e32 v4, 32, v0
	v_subrev_u32_e32 v0, 28, v4
	v_lshlrev_b64 v[0:1], v0, v[19:20]
	v_sub_u32_e32 v1, 29, v4
	v_and_b32_e32 v0, 7, v0
	v_cndmask_b32_e32 v1, v3, v1, vcc
	v_cndmask_b32_e32 v0, v2, v0, vcc
	v_lshlrev_b32_e32 v2, 24, v19
	v_bfrev_b32_e32 v3, 60
	v_lshlrev_b32_e32 v0, 20, v0
	v_and_b32_e32 v2, 0x80000000, v2
	v_lshl_add_u32 v1, v1, 23, v3
	v_or3_b32 v1, v2, v1, v0
.LBB328_319:                            ;   in Loop: Header=BB328_9 Depth=1
	s_or_b64 exec, exec, s[40:41]
	buffer_store_dword v1, off, s[0:3], s32 offset:340 ; 4-byte Folded Spill
.LBB328_320:                            ;   in Loop: Header=BB328_9 Depth=1
	s_or_b64 exec, exec, s[28:29]
.LBB328_321:                            ;   in Loop: Header=BB328_9 Depth=1
	s_or_b64 exec, exec, s[26:27]
	flat_load_dword v8, v[16:17] offset:3080
	v_mov_b32_e32 v0, 0
	s_waitcnt vmcnt(0) lgkmcnt(0)
	v_cmp_ne_u16_sdwa s[28:29], v8, v0 src0_sel:BYTE_0 src1_sel:DWORD
	s_and_saveexec_b64 s[26:27], s[28:29]
	s_cbranch_execz .LBB328_327
; %bb.322:                              ;   in Loop: Header=BB328_9 Depth=1
	v_cmp_ne_u16_sdwa s[40:41], v8, s21 src0_sel:BYTE_0 src1_sel:DWORD
	v_bfrev_b32_e32 v0, 1
	buffer_store_dword v0, off, s[0:3], s32 offset:228 ; 4-byte Folded Spill
	s_and_saveexec_b64 s[28:29], s[40:41]
	s_cbranch_execz .LBB328_326
; %bb.323:                              ;   in Loop: Header=BB328_9 Depth=1
	v_and_b32_e32 v0, 0x7f, v8
	v_cmp_ne_u32_e32 vcc, s42, v0
	v_mov_b32_e32 v1, 0x7f800001
	buffer_store_dword v1, off, s[0:3], s32 offset:228 ; 4-byte Folded Spill
	s_and_saveexec_b64 s[40:41], vcc
	s_cbranch_execz .LBB328_325
; %bb.324:                              ;   in Loop: Header=BB328_9 Depth=1
	v_and_b32_e32 v2, 7, v8
	v_lshrrev_b32_e32 v3, 3, v0
	v_cmp_gt_u32_e32 vcc, 8, v0
	v_ffbh_u32_e32 v0, v2
	v_min_u32_e32 v4, 32, v0
	v_subrev_u32_e32 v0, 28, v4
	v_lshlrev_b64 v[0:1], v0, v[8:9]
	v_sub_u32_e32 v1, 29, v4
	v_and_b32_e32 v0, 7, v0
	v_cndmask_b32_e32 v1, v3, v1, vcc
	v_cndmask_b32_e32 v0, v2, v0, vcc
	v_lshlrev_b32_e32 v2, 24, v8
	v_bfrev_b32_e32 v3, 60
	v_lshlrev_b32_e32 v0, 20, v0
	v_and_b32_e32 v2, 0x80000000, v2
	v_lshl_add_u32 v1, v1, 23, v3
	v_or3_b32 v0, v2, v1, v0
	buffer_store_dword v0, off, s[0:3], s32 offset:228 ; 4-byte Folded Spill
.LBB328_325:                            ;   in Loop: Header=BB328_9 Depth=1
	s_or_b64 exec, exec, s[40:41]
.LBB328_326:                            ;   in Loop: Header=BB328_9 Depth=1
	s_or_b64 exec, exec, s[28:29]
.LBB328_327:                            ;   in Loop: Header=BB328_9 Depth=1
	s_or_b64 exec, exec, s[26:27]
	v_lshrrev_b16_e32 v19, 8, v8
	v_mov_b32_e32 v0, 0
	v_cmp_ne_u16_e32 vcc, 0, v19
	buffer_store_dword v0, off, s[0:3], s32 offset:236 ; 4-byte Folded Spill
	v_mov_b32_e32 v0, 0
	buffer_store_dword v0, off, s[0:3], s32 offset:232 ; 4-byte Folded Spill
	s_and_saveexec_b64 s[26:27], vcc
	s_cbranch_execz .LBB328_333
; %bb.328:                              ;   in Loop: Header=BB328_9 Depth=1
	v_cmp_ne_u16_e32 vcc, s21, v19
	v_bfrev_b32_e32 v0, 1
	buffer_store_dword v0, off, s[0:3], s32 offset:232 ; 4-byte Folded Spill
	s_and_saveexec_b64 s[28:29], vcc
	s_cbranch_execz .LBB328_332
; %bb.329:                              ;   in Loop: Header=BB328_9 Depth=1
	v_and_b32_e32 v0, 0x7f, v19
	v_cmp_ne_u32_e32 vcc, s42, v0
	v_mov_b32_e32 v1, 0x7f800001
	buffer_store_dword v1, off, s[0:3], s32 offset:232 ; 4-byte Folded Spill
	s_and_saveexec_b64 s[40:41], vcc
	s_cbranch_execz .LBB328_331
; %bb.330:                              ;   in Loop: Header=BB328_9 Depth=1
	v_and_b32_e32 v2, 7, v19
	v_lshrrev_b32_e32 v3, 3, v0
	v_cmp_gt_u32_e32 vcc, 8, v0
	v_ffbh_u32_e32 v0, v2
	v_min_u32_e32 v4, 32, v0
	v_subrev_u32_e32 v0, 28, v4
	v_lshlrev_b64 v[0:1], v0, v[19:20]
	v_sub_u32_e32 v1, 29, v4
	v_and_b32_e32 v0, 7, v0
	v_cndmask_b32_e32 v1, v3, v1, vcc
	v_cndmask_b32_e32 v0, v2, v0, vcc
	v_lshlrev_b32_e32 v2, 16, v8
	v_bfrev_b32_e32 v3, 60
	v_lshlrev_b32_e32 v0, 20, v0
	v_and_b32_e32 v2, 0x80000000, v2
	v_lshl_add_u32 v1, v1, 23, v3
	v_or3_b32 v0, v2, v1, v0
	buffer_store_dword v0, off, s[0:3], s32 offset:232 ; 4-byte Folded Spill
.LBB328_331:                            ;   in Loop: Header=BB328_9 Depth=1
	s_or_b64 exec, exec, s[40:41]
.LBB328_332:                            ;   in Loop: Header=BB328_9 Depth=1
	s_or_b64 exec, exec, s[28:29]
.LBB328_333:                            ;   in Loop: Header=BB328_9 Depth=1
	s_or_b64 exec, exec, s[26:27]
	v_lshrrev_b32_e32 v19, 16, v8
	v_mov_b32_e32 v0, 0
	v_cmp_ne_u16_sdwa s[28:29], v19, v0 src0_sel:BYTE_0 src1_sel:DWORD
	s_and_saveexec_b64 s[26:27], s[28:29]
	s_cbranch_execz .LBB328_339
; %bb.334:                              ;   in Loop: Header=BB328_9 Depth=1
	v_cmp_ne_u16_sdwa s[40:41], v19, s21 src0_sel:BYTE_0 src1_sel:DWORD
	v_bfrev_b32_e32 v0, 1
	buffer_store_dword v0, off, s[0:3], s32 offset:236 ; 4-byte Folded Spill
	s_and_saveexec_b64 s[28:29], s[40:41]
	s_cbranch_execz .LBB328_338
; %bb.335:                              ;   in Loop: Header=BB328_9 Depth=1
	v_bfe_u32 v0, v8, 16, 7
	v_cmp_ne_u32_e32 vcc, s42, v0
	v_mov_b32_e32 v1, 0x7f800001
	buffer_store_dword v1, off, s[0:3], s32 offset:236 ; 4-byte Folded Spill
	s_and_saveexec_b64 s[40:41], vcc
	s_cbranch_execz .LBB328_337
; %bb.336:                              ;   in Loop: Header=BB328_9 Depth=1
	v_and_b32_e32 v2, 7, v19
	v_lshrrev_b32_e32 v3, 3, v0
	v_cmp_gt_u32_e32 vcc, 8, v0
	v_ffbh_u32_e32 v0, v2
	v_min_u32_e32 v4, 32, v0
	v_subrev_u32_e32 v0, 28, v4
	v_lshlrev_b64 v[0:1], v0, v[19:20]
	v_sub_u32_e32 v1, 29, v4
	v_and_b32_e32 v0, 7, v0
	v_cndmask_b32_e32 v1, v3, v1, vcc
	v_cndmask_b32_e32 v0, v2, v0, vcc
	v_lshlrev_b32_e32 v2, 24, v19
	v_bfrev_b32_e32 v3, 60
	v_lshlrev_b32_e32 v0, 20, v0
	v_and_b32_e32 v2, 0x80000000, v2
	v_lshl_add_u32 v1, v1, 23, v3
	v_or3_b32 v0, v2, v1, v0
	buffer_store_dword v0, off, s[0:3], s32 offset:236 ; 4-byte Folded Spill
.LBB328_337:                            ;   in Loop: Header=BB328_9 Depth=1
	s_or_b64 exec, exec, s[40:41]
.LBB328_338:                            ;   in Loop: Header=BB328_9 Depth=1
	s_or_b64 exec, exec, s[28:29]
.LBB328_339:                            ;   in Loop: Header=BB328_9 Depth=1
	s_or_b64 exec, exec, s[26:27]
	v_mov_b32_e32 v0, 0
	v_cmp_lt_u32_e32 vcc, s43, v8
	buffer_store_dword v0, off, s[0:3], s32 offset:240 ; 4-byte Folded Spill
	v_mov_b32_e32 v0, 0
	buffer_store_dword v0, off, s[0:3], s32 offset:344 ; 4-byte Folded Spill
	s_and_saveexec_b64 s[26:27], vcc
	s_cbranch_execz .LBB328_345
; %bb.340:                              ;   in Loop: Header=BB328_9 Depth=1
	v_lshrrev_b32_e32 v19, 24, v8
	v_cmp_ne_u32_e32 vcc, s21, v19
	v_bfrev_b32_e32 v0, 1
	buffer_store_dword v0, off, s[0:3], s32 offset:344 ; 4-byte Folded Spill
	s_and_saveexec_b64 s[28:29], vcc
	s_cbranch_execz .LBB328_344
; %bb.341:                              ;   in Loop: Header=BB328_9 Depth=1
	v_bfe_u32 v0, v8, 24, 7
	v_cmp_ne_u32_e32 vcc, s42, v0
	v_mov_b32_e32 v1, 0x7f800001
	s_and_saveexec_b64 s[40:41], vcc
	s_cbranch_execz .LBB328_343
; %bb.342:                              ;   in Loop: Header=BB328_9 Depth=1
	v_and_b32_e32 v2, 7, v19
	v_lshrrev_b32_e32 v3, 3, v0
	v_cmp_gt_u32_e32 vcc, 8, v0
	v_ffbh_u32_e32 v0, v2
	v_min_u32_e32 v4, 32, v0
	v_subrev_u32_e32 v0, 28, v4
	v_lshlrev_b64 v[0:1], v0, v[19:20]
	v_sub_u32_e32 v1, 29, v4
	v_and_b32_e32 v0, 7, v0
	v_cndmask_b32_e32 v1, v3, v1, vcc
	v_cndmask_b32_e32 v0, v2, v0, vcc
	v_lshlrev_b32_e32 v2, 24, v19
	v_bfrev_b32_e32 v3, 60
	v_lshlrev_b32_e32 v0, 20, v0
	v_and_b32_e32 v2, 0x80000000, v2
	v_lshl_add_u32 v1, v1, 23, v3
	v_or3_b32 v1, v2, v1, v0
.LBB328_343:                            ;   in Loop: Header=BB328_9 Depth=1
	s_or_b64 exec, exec, s[40:41]
	buffer_store_dword v1, off, s[0:3], s32 offset:344 ; 4-byte Folded Spill
.LBB328_344:                            ;   in Loop: Header=BB328_9 Depth=1
	s_or_b64 exec, exec, s[28:29]
.LBB328_345:                            ;   in Loop: Header=BB328_9 Depth=1
	s_or_b64 exec, exec, s[26:27]
	flat_load_dword v8, v[16:17] offset:3584
	v_mov_b32_e32 v0, 0
	s_waitcnt vmcnt(0) lgkmcnt(0)
	v_cmp_ne_u16_sdwa s[28:29], v8, v0 src0_sel:BYTE_0 src1_sel:DWORD
	s_and_saveexec_b64 s[26:27], s[28:29]
	s_cbranch_execz .LBB328_351
; %bb.346:                              ;   in Loop: Header=BB328_9 Depth=1
	v_cmp_ne_u16_sdwa s[40:41], v8, s21 src0_sel:BYTE_0 src1_sel:DWORD
	v_bfrev_b32_e32 v0, 1
	buffer_store_dword v0, off, s[0:3], s32 offset:240 ; 4-byte Folded Spill
	s_and_saveexec_b64 s[28:29], s[40:41]
	s_cbranch_execz .LBB328_350
; %bb.347:                              ;   in Loop: Header=BB328_9 Depth=1
	v_and_b32_e32 v0, 0x7f, v8
	v_cmp_ne_u32_e32 vcc, s42, v0
	v_mov_b32_e32 v1, 0x7f800001
	buffer_store_dword v1, off, s[0:3], s32 offset:240 ; 4-byte Folded Spill
	s_and_saveexec_b64 s[40:41], vcc
	s_cbranch_execz .LBB328_349
; %bb.348:                              ;   in Loop: Header=BB328_9 Depth=1
	v_and_b32_e32 v2, 7, v8
	v_lshrrev_b32_e32 v3, 3, v0
	v_cmp_gt_u32_e32 vcc, 8, v0
	v_ffbh_u32_e32 v0, v2
	v_min_u32_e32 v4, 32, v0
	v_subrev_u32_e32 v0, 28, v4
	v_lshlrev_b64 v[0:1], v0, v[8:9]
	v_sub_u32_e32 v1, 29, v4
	v_and_b32_e32 v0, 7, v0
	v_cndmask_b32_e32 v1, v3, v1, vcc
	v_cndmask_b32_e32 v0, v2, v0, vcc
	v_lshlrev_b32_e32 v2, 24, v8
	v_bfrev_b32_e32 v3, 60
	v_lshlrev_b32_e32 v0, 20, v0
	v_and_b32_e32 v2, 0x80000000, v2
	v_lshl_add_u32 v1, v1, 23, v3
	v_or3_b32 v0, v2, v1, v0
	buffer_store_dword v0, off, s[0:3], s32 offset:240 ; 4-byte Folded Spill
.LBB328_349:                            ;   in Loop: Header=BB328_9 Depth=1
	s_or_b64 exec, exec, s[40:41]
.LBB328_350:                            ;   in Loop: Header=BB328_9 Depth=1
	s_or_b64 exec, exec, s[28:29]
.LBB328_351:                            ;   in Loop: Header=BB328_9 Depth=1
	s_or_b64 exec, exec, s[26:27]
	v_lshrrev_b16_e32 v19, 8, v8
	v_mov_b32_e32 v0, 0
	v_cmp_ne_u16_e32 vcc, 0, v19
	buffer_store_dword v0, off, s[0:3], s32 offset:248 ; 4-byte Folded Spill
	v_mov_b32_e32 v0, 0
	buffer_store_dword v0, off, s[0:3], s32 offset:244 ; 4-byte Folded Spill
	s_and_saveexec_b64 s[26:27], vcc
	s_cbranch_execz .LBB328_357
; %bb.352:                              ;   in Loop: Header=BB328_9 Depth=1
	v_cmp_ne_u16_e32 vcc, s21, v19
	v_bfrev_b32_e32 v0, 1
	buffer_store_dword v0, off, s[0:3], s32 offset:244 ; 4-byte Folded Spill
	s_and_saveexec_b64 s[28:29], vcc
	s_cbranch_execz .LBB328_356
; %bb.353:                              ;   in Loop: Header=BB328_9 Depth=1
	v_and_b32_e32 v0, 0x7f, v19
	v_cmp_ne_u32_e32 vcc, s42, v0
	v_mov_b32_e32 v1, 0x7f800001
	buffer_store_dword v1, off, s[0:3], s32 offset:244 ; 4-byte Folded Spill
	s_and_saveexec_b64 s[40:41], vcc
	s_cbranch_execz .LBB328_355
; %bb.354:                              ;   in Loop: Header=BB328_9 Depth=1
	v_and_b32_e32 v2, 7, v19
	v_lshrrev_b32_e32 v3, 3, v0
	v_cmp_gt_u32_e32 vcc, 8, v0
	v_ffbh_u32_e32 v0, v2
	v_min_u32_e32 v4, 32, v0
	v_subrev_u32_e32 v0, 28, v4
	v_lshlrev_b64 v[0:1], v0, v[19:20]
	v_sub_u32_e32 v1, 29, v4
	v_and_b32_e32 v0, 7, v0
	v_cndmask_b32_e32 v1, v3, v1, vcc
	v_cndmask_b32_e32 v0, v2, v0, vcc
	v_lshlrev_b32_e32 v2, 16, v8
	v_bfrev_b32_e32 v3, 60
	v_lshlrev_b32_e32 v0, 20, v0
	v_and_b32_e32 v2, 0x80000000, v2
	v_lshl_add_u32 v1, v1, 23, v3
	v_or3_b32 v0, v2, v1, v0
	buffer_store_dword v0, off, s[0:3], s32 offset:244 ; 4-byte Folded Spill
.LBB328_355:                            ;   in Loop: Header=BB328_9 Depth=1
	s_or_b64 exec, exec, s[40:41]
.LBB328_356:                            ;   in Loop: Header=BB328_9 Depth=1
	s_or_b64 exec, exec, s[28:29]
.LBB328_357:                            ;   in Loop: Header=BB328_9 Depth=1
	s_or_b64 exec, exec, s[26:27]
	v_lshrrev_b32_e32 v19, 16, v8
	v_mov_b32_e32 v0, 0
	v_cmp_ne_u16_sdwa s[28:29], v19, v0 src0_sel:BYTE_0 src1_sel:DWORD
	s_and_saveexec_b64 s[26:27], s[28:29]
	s_cbranch_execz .LBB328_363
; %bb.358:                              ;   in Loop: Header=BB328_9 Depth=1
	v_cmp_ne_u16_sdwa s[40:41], v19, s21 src0_sel:BYTE_0 src1_sel:DWORD
	v_bfrev_b32_e32 v0, 1
	buffer_store_dword v0, off, s[0:3], s32 offset:248 ; 4-byte Folded Spill
	s_and_saveexec_b64 s[28:29], s[40:41]
	s_cbranch_execz .LBB328_362
; %bb.359:                              ;   in Loop: Header=BB328_9 Depth=1
	v_bfe_u32 v0, v8, 16, 7
	v_cmp_ne_u32_e32 vcc, s42, v0
	v_mov_b32_e32 v1, 0x7f800001
	buffer_store_dword v1, off, s[0:3], s32 offset:248 ; 4-byte Folded Spill
	s_and_saveexec_b64 s[40:41], vcc
	s_cbranch_execz .LBB328_361
; %bb.360:                              ;   in Loop: Header=BB328_9 Depth=1
	v_and_b32_e32 v2, 7, v19
	v_lshrrev_b32_e32 v3, 3, v0
	v_cmp_gt_u32_e32 vcc, 8, v0
	v_ffbh_u32_e32 v0, v2
	v_min_u32_e32 v4, 32, v0
	v_subrev_u32_e32 v0, 28, v4
	v_lshlrev_b64 v[0:1], v0, v[19:20]
	v_sub_u32_e32 v1, 29, v4
	v_and_b32_e32 v0, 7, v0
	v_cndmask_b32_e32 v1, v3, v1, vcc
	v_cndmask_b32_e32 v0, v2, v0, vcc
	v_lshlrev_b32_e32 v2, 24, v19
	v_bfrev_b32_e32 v3, 60
	v_lshlrev_b32_e32 v0, 20, v0
	v_and_b32_e32 v2, 0x80000000, v2
	v_lshl_add_u32 v1, v1, 23, v3
	v_or3_b32 v0, v2, v1, v0
	buffer_store_dword v0, off, s[0:3], s32 offset:248 ; 4-byte Folded Spill
.LBB328_361:                            ;   in Loop: Header=BB328_9 Depth=1
	s_or_b64 exec, exec, s[40:41]
.LBB328_362:                            ;   in Loop: Header=BB328_9 Depth=1
	s_or_b64 exec, exec, s[28:29]
.LBB328_363:                            ;   in Loop: Header=BB328_9 Depth=1
	s_or_b64 exec, exec, s[26:27]
	v_mov_b32_e32 v0, 0
	v_cmp_lt_u32_e32 vcc, s43, v8
	buffer_store_dword v0, off, s[0:3], s32 offset:252 ; 4-byte Folded Spill
	v_mov_b32_e32 v0, 0
	buffer_store_dword v0, off, s[0:3], s32 offset:348 ; 4-byte Folded Spill
	s_and_saveexec_b64 s[26:27], vcc
	s_cbranch_execz .LBB328_369
; %bb.364:                              ;   in Loop: Header=BB328_9 Depth=1
	v_lshrrev_b32_e32 v19, 24, v8
	v_cmp_ne_u32_e32 vcc, s21, v19
	v_bfrev_b32_e32 v0, 1
	buffer_store_dword v0, off, s[0:3], s32 offset:348 ; 4-byte Folded Spill
	s_and_saveexec_b64 s[28:29], vcc
	s_cbranch_execz .LBB328_368
; %bb.365:                              ;   in Loop: Header=BB328_9 Depth=1
	v_bfe_u32 v0, v8, 24, 7
	v_cmp_ne_u32_e32 vcc, s42, v0
	v_mov_b32_e32 v1, 0x7f800001
	s_and_saveexec_b64 s[40:41], vcc
	s_cbranch_execz .LBB328_367
; %bb.366:                              ;   in Loop: Header=BB328_9 Depth=1
	v_and_b32_e32 v2, 7, v19
	v_lshrrev_b32_e32 v3, 3, v0
	v_cmp_gt_u32_e32 vcc, 8, v0
	v_ffbh_u32_e32 v0, v2
	v_min_u32_e32 v4, 32, v0
	v_subrev_u32_e32 v0, 28, v4
	v_lshlrev_b64 v[0:1], v0, v[19:20]
	v_sub_u32_e32 v1, 29, v4
	v_and_b32_e32 v0, 7, v0
	v_cndmask_b32_e32 v1, v3, v1, vcc
	v_cndmask_b32_e32 v0, v2, v0, vcc
	v_lshlrev_b32_e32 v2, 24, v19
	v_bfrev_b32_e32 v3, 60
	v_lshlrev_b32_e32 v0, 20, v0
	v_and_b32_e32 v2, 0x80000000, v2
	v_lshl_add_u32 v1, v1, 23, v3
	v_or3_b32 v1, v2, v1, v0
.LBB328_367:                            ;   in Loop: Header=BB328_9 Depth=1
	s_or_b64 exec, exec, s[40:41]
	buffer_store_dword v1, off, s[0:3], s32 offset:348 ; 4-byte Folded Spill
.LBB328_368:                            ;   in Loop: Header=BB328_9 Depth=1
	s_or_b64 exec, exec, s[28:29]
.LBB328_369:                            ;   in Loop: Header=BB328_9 Depth=1
	s_or_b64 exec, exec, s[26:27]
	flat_load_dword v8, v[16:17] offset:3592
	v_mov_b32_e32 v0, 0
	s_waitcnt vmcnt(0) lgkmcnt(0)
	v_cmp_ne_u16_sdwa s[28:29], v8, v0 src0_sel:BYTE_0 src1_sel:DWORD
	s_and_saveexec_b64 s[26:27], s[28:29]
	s_cbranch_execz .LBB328_375
; %bb.370:                              ;   in Loop: Header=BB328_9 Depth=1
	v_cmp_ne_u16_sdwa s[40:41], v8, s21 src0_sel:BYTE_0 src1_sel:DWORD
	v_bfrev_b32_e32 v0, 1
	buffer_store_dword v0, off, s[0:3], s32 offset:252 ; 4-byte Folded Spill
	s_and_saveexec_b64 s[28:29], s[40:41]
	s_cbranch_execz .LBB328_374
; %bb.371:                              ;   in Loop: Header=BB328_9 Depth=1
	v_and_b32_e32 v0, 0x7f, v8
	v_cmp_ne_u32_e32 vcc, s42, v0
	v_mov_b32_e32 v1, 0x7f800001
	buffer_store_dword v1, off, s[0:3], s32 offset:252 ; 4-byte Folded Spill
	s_and_saveexec_b64 s[40:41], vcc
	s_cbranch_execz .LBB328_373
; %bb.372:                              ;   in Loop: Header=BB328_9 Depth=1
	v_and_b32_e32 v2, 7, v8
	v_lshrrev_b32_e32 v3, 3, v0
	v_cmp_gt_u32_e32 vcc, 8, v0
	v_ffbh_u32_e32 v0, v2
	v_min_u32_e32 v4, 32, v0
	v_subrev_u32_e32 v0, 28, v4
	v_lshlrev_b64 v[0:1], v0, v[8:9]
	v_sub_u32_e32 v1, 29, v4
	v_and_b32_e32 v0, 7, v0
	v_cndmask_b32_e32 v1, v3, v1, vcc
	v_cndmask_b32_e32 v0, v2, v0, vcc
	v_lshlrev_b32_e32 v2, 24, v8
	v_bfrev_b32_e32 v3, 60
	v_lshlrev_b32_e32 v0, 20, v0
	v_and_b32_e32 v2, 0x80000000, v2
	v_lshl_add_u32 v1, v1, 23, v3
	v_or3_b32 v0, v2, v1, v0
	buffer_store_dword v0, off, s[0:3], s32 offset:252 ; 4-byte Folded Spill
.LBB328_373:                            ;   in Loop: Header=BB328_9 Depth=1
	s_or_b64 exec, exec, s[40:41]
.LBB328_374:                            ;   in Loop: Header=BB328_9 Depth=1
	s_or_b64 exec, exec, s[28:29]
.LBB328_375:                            ;   in Loop: Header=BB328_9 Depth=1
	s_or_b64 exec, exec, s[26:27]
	v_lshrrev_b16_e32 v16, 8, v8
	v_mov_b32_e32 v0, 0
	v_cmp_ne_u16_e32 vcc, 0, v16
	buffer_store_dword v0, off, s[0:3], s32 offset:260 ; 4-byte Folded Spill
	v_mov_b32_e32 v0, 0
	buffer_store_dword v0, off, s[0:3], s32 offset:256 ; 4-byte Folded Spill
	s_and_saveexec_b64 s[26:27], vcc
	s_cbranch_execz .LBB328_381
; %bb.376:                              ;   in Loop: Header=BB328_9 Depth=1
	v_cmp_ne_u16_e32 vcc, s21, v16
	v_bfrev_b32_e32 v0, 1
	buffer_store_dword v0, off, s[0:3], s32 offset:256 ; 4-byte Folded Spill
	s_and_saveexec_b64 s[28:29], vcc
	s_cbranch_execz .LBB328_380
; %bb.377:                              ;   in Loop: Header=BB328_9 Depth=1
	v_and_b32_e32 v0, 0x7f, v16
	v_cmp_ne_u32_e32 vcc, s42, v0
	v_mov_b32_e32 v1, 0x7f800001
	buffer_store_dword v1, off, s[0:3], s32 offset:256 ; 4-byte Folded Spill
	s_and_saveexec_b64 s[40:41], vcc
	s_cbranch_execz .LBB328_379
; %bb.378:                              ;   in Loop: Header=BB328_9 Depth=1
	v_and_b32_e32 v2, 7, v16
	v_lshrrev_b32_e32 v3, 3, v0
	v_cmp_gt_u32_e32 vcc, 8, v0
	v_ffbh_u32_e32 v0, v2
	v_min_u32_e32 v4, 32, v0
	v_subrev_u32_e32 v0, 28, v4
	v_lshlrev_b64 v[0:1], v0, v[16:17]
	v_sub_u32_e32 v1, 29, v4
	v_and_b32_e32 v0, 7, v0
	v_cndmask_b32_e32 v1, v3, v1, vcc
	v_cndmask_b32_e32 v0, v2, v0, vcc
	v_lshlrev_b32_e32 v2, 16, v8
	v_bfrev_b32_e32 v3, 60
	v_lshlrev_b32_e32 v0, 20, v0
	v_and_b32_e32 v2, 0x80000000, v2
	v_lshl_add_u32 v1, v1, 23, v3
	v_or3_b32 v0, v2, v1, v0
	buffer_store_dword v0, off, s[0:3], s32 offset:256 ; 4-byte Folded Spill
.LBB328_379:                            ;   in Loop: Header=BB328_9 Depth=1
	s_or_b64 exec, exec, s[40:41]
.LBB328_380:                            ;   in Loop: Header=BB328_9 Depth=1
	s_or_b64 exec, exec, s[28:29]
.LBB328_381:                            ;   in Loop: Header=BB328_9 Depth=1
	s_or_b64 exec, exec, s[26:27]
	v_lshrrev_b32_e32 v16, 16, v8
	v_mov_b32_e32 v0, 0
	v_cmp_ne_u16_sdwa s[28:29], v16, v0 src0_sel:BYTE_0 src1_sel:DWORD
	s_and_saveexec_b64 s[26:27], s[28:29]
	s_cbranch_execz .LBB328_387
; %bb.382:                              ;   in Loop: Header=BB328_9 Depth=1
	v_cmp_ne_u16_sdwa s[40:41], v16, s21 src0_sel:BYTE_0 src1_sel:DWORD
	v_bfrev_b32_e32 v0, 1
	buffer_store_dword v0, off, s[0:3], s32 offset:260 ; 4-byte Folded Spill
	s_and_saveexec_b64 s[28:29], s[40:41]
	s_cbranch_execz .LBB328_386
; %bb.383:                              ;   in Loop: Header=BB328_9 Depth=1
	v_bfe_u32 v0, v8, 16, 7
	v_cmp_ne_u32_e32 vcc, s42, v0
	v_mov_b32_e32 v1, 0x7f800001
	buffer_store_dword v1, off, s[0:3], s32 offset:260 ; 4-byte Folded Spill
	s_and_saveexec_b64 s[40:41], vcc
	s_cbranch_execz .LBB328_385
; %bb.384:                              ;   in Loop: Header=BB328_9 Depth=1
	v_and_b32_e32 v2, 7, v16
	v_lshrrev_b32_e32 v3, 3, v0
	v_cmp_gt_u32_e32 vcc, 8, v0
	v_ffbh_u32_e32 v0, v2
	v_min_u32_e32 v4, 32, v0
	v_subrev_u32_e32 v0, 28, v4
	v_lshlrev_b64 v[0:1], v0, v[16:17]
	v_sub_u32_e32 v1, 29, v4
	v_and_b32_e32 v0, 7, v0
	v_cndmask_b32_e32 v1, v3, v1, vcc
	v_cndmask_b32_e32 v0, v2, v0, vcc
	v_lshlrev_b32_e32 v2, 24, v16
	v_bfrev_b32_e32 v3, 60
	v_lshlrev_b32_e32 v0, 20, v0
	v_and_b32_e32 v2, 0x80000000, v2
	v_lshl_add_u32 v1, v1, 23, v3
	v_or3_b32 v0, v2, v1, v0
	buffer_store_dword v0, off, s[0:3], s32 offset:260 ; 4-byte Folded Spill
.LBB328_385:                            ;   in Loop: Header=BB328_9 Depth=1
	s_or_b64 exec, exec, s[40:41]
.LBB328_386:                            ;   in Loop: Header=BB328_9 Depth=1
	s_or_b64 exec, exec, s[28:29]
.LBB328_387:                            ;   in Loop: Header=BB328_9 Depth=1
	s_or_b64 exec, exec, s[26:27]
	v_mov_b32_e32 v0, 0
	v_cmp_lt_u32_e32 vcc, s43, v8
	buffer_store_dword v0, off, s[0:3], s32 offset:264 ; 4-byte Folded Spill
	v_mov_b32_e32 v0, 0
	buffer_store_dword v0, off, s[0:3], s32 offset:352 ; 4-byte Folded Spill
	s_and_saveexec_b64 s[26:27], vcc
	s_cbranch_execz .LBB328_393
; %bb.388:                              ;   in Loop: Header=BB328_9 Depth=1
	v_lshrrev_b32_e32 v16, 24, v8
	v_cmp_ne_u32_e32 vcc, s21, v16
	v_bfrev_b32_e32 v0, 1
	buffer_store_dword v0, off, s[0:3], s32 offset:352 ; 4-byte Folded Spill
	s_and_saveexec_b64 s[28:29], vcc
	s_cbranch_execz .LBB328_392
; %bb.389:                              ;   in Loop: Header=BB328_9 Depth=1
	v_bfe_u32 v0, v8, 24, 7
	v_cmp_ne_u32_e32 vcc, s42, v0
	v_mov_b32_e32 v1, 0x7f800001
	s_and_saveexec_b64 s[40:41], vcc
	s_cbranch_execz .LBB328_391
; %bb.390:                              ;   in Loop: Header=BB328_9 Depth=1
	v_and_b32_e32 v2, 7, v16
	v_lshrrev_b32_e32 v3, 3, v0
	v_cmp_gt_u32_e32 vcc, 8, v0
	v_ffbh_u32_e32 v0, v2
	v_min_u32_e32 v4, 32, v0
	v_subrev_u32_e32 v0, 28, v4
	v_lshlrev_b64 v[0:1], v0, v[16:17]
	v_sub_u32_e32 v1, 29, v4
	v_and_b32_e32 v0, 7, v0
	v_cndmask_b32_e32 v1, v3, v1, vcc
	v_cndmask_b32_e32 v0, v2, v0, vcc
	v_lshlrev_b32_e32 v2, 24, v16
	v_bfrev_b32_e32 v3, 60
	v_lshlrev_b32_e32 v0, 20, v0
	v_and_b32_e32 v2, 0x80000000, v2
	v_lshl_add_u32 v1, v1, 23, v3
	v_or3_b32 v1, v2, v1, v0
.LBB328_391:                            ;   in Loop: Header=BB328_9 Depth=1
	s_or_b64 exec, exec, s[40:41]
	buffer_store_dword v1, off, s[0:3], s32 offset:352 ; 4-byte Folded Spill
.LBB328_392:                            ;   in Loop: Header=BB328_9 Depth=1
	s_or_b64 exec, exec, s[28:29]
.LBB328_393:                            ;   in Loop: Header=BB328_9 Depth=1
	s_or_b64 exec, exec, s[26:27]
	buffer_load_dword v2, off, s[0:3], s32 offset:64 ; 4-byte Folded Reload
	v_add_co_u32_e32 v0, vcc, 0x1000, v14
	v_addc_co_u32_e32 v1, vcc, 0, v15, vcc
	s_waitcnt vmcnt(0)
	v_add_co_u32_e32 v2, vcc, v0, v2
	v_addc_co_u32_e32 v3, vcc, 0, v1, vcc
	flat_load_dword v8, v[2:3]
	v_mov_b32_e32 v2, 0
	s_waitcnt vmcnt(0) lgkmcnt(0)
	v_cmp_ne_u16_sdwa s[28:29], v8, v2 src0_sel:BYTE_0 src1_sel:DWORD
	s_and_saveexec_b64 s[26:27], s[28:29]
	s_cbranch_execz .LBB328_399
; %bb.394:                              ;   in Loop: Header=BB328_9 Depth=1
	v_cmp_ne_u16_sdwa s[40:41], v8, s21 src0_sel:BYTE_0 src1_sel:DWORD
	v_bfrev_b32_e32 v2, 1
	buffer_store_dword v2, off, s[0:3], s32 offset:264 ; 4-byte Folded Spill
	s_and_saveexec_b64 s[28:29], s[40:41]
	s_cbranch_execz .LBB328_398
; %bb.395:                              ;   in Loop: Header=BB328_9 Depth=1
	v_and_b32_e32 v2, 0x7f, v8
	v_cmp_ne_u32_e32 vcc, s42, v2
	v_mov_b32_e32 v3, 0x7f800001
	buffer_store_dword v3, off, s[0:3], s32 offset:264 ; 4-byte Folded Spill
	s_and_saveexec_b64 s[40:41], vcc
	s_cbranch_execz .LBB328_397
; %bb.396:                              ;   in Loop: Header=BB328_9 Depth=1
	v_and_b32_e32 v4, 7, v8
	v_lshrrev_b32_e32 v5, 3, v2
	v_cmp_gt_u32_e32 vcc, 8, v2
	v_ffbh_u32_e32 v2, v4
	v_min_u32_e32 v6, 32, v2
	v_subrev_u32_e32 v2, 28, v6
	v_lshlrev_b64 v[2:3], v2, v[8:9]
	v_sub_u32_e32 v3, 29, v6
	v_and_b32_e32 v2, 7, v2
	v_cndmask_b32_e32 v3, v5, v3, vcc
	v_cndmask_b32_e32 v2, v4, v2, vcc
	v_lshlrev_b32_e32 v4, 24, v8
	v_bfrev_b32_e32 v5, 60
	v_lshlrev_b32_e32 v2, 20, v2
	v_and_b32_e32 v4, 0x80000000, v4
	v_lshl_add_u32 v3, v3, 23, v5
	v_or3_b32 v2, v4, v3, v2
	buffer_store_dword v2, off, s[0:3], s32 offset:264 ; 4-byte Folded Spill
.LBB328_397:                            ;   in Loop: Header=BB328_9 Depth=1
	s_or_b64 exec, exec, s[40:41]
.LBB328_398:                            ;   in Loop: Header=BB328_9 Depth=1
	s_or_b64 exec, exec, s[28:29]
.LBB328_399:                            ;   in Loop: Header=BB328_9 Depth=1
	s_or_b64 exec, exec, s[26:27]
	v_lshrrev_b16_e32 v16, 8, v8
	v_mov_b32_e32 v2, 0
	v_cmp_ne_u16_e32 vcc, 0, v16
	buffer_store_dword v2, off, s[0:3], s32 offset:272 ; 4-byte Folded Spill
	v_mov_b32_e32 v2, 0
	buffer_store_dword v2, off, s[0:3], s32 offset:268 ; 4-byte Folded Spill
	s_and_saveexec_b64 s[26:27], vcc
	s_cbranch_execz .LBB328_405
; %bb.400:                              ;   in Loop: Header=BB328_9 Depth=1
	v_cmp_ne_u16_e32 vcc, s21, v16
	v_bfrev_b32_e32 v2, 1
	buffer_store_dword v2, off, s[0:3], s32 offset:268 ; 4-byte Folded Spill
	s_and_saveexec_b64 s[28:29], vcc
	s_cbranch_execz .LBB328_404
; %bb.401:                              ;   in Loop: Header=BB328_9 Depth=1
	v_and_b32_e32 v2, 0x7f, v16
	v_cmp_ne_u32_e32 vcc, s42, v2
	v_mov_b32_e32 v3, 0x7f800001
	buffer_store_dword v3, off, s[0:3], s32 offset:268 ; 4-byte Folded Spill
	s_and_saveexec_b64 s[40:41], vcc
	s_cbranch_execz .LBB328_403
; %bb.402:                              ;   in Loop: Header=BB328_9 Depth=1
	v_and_b32_e32 v4, 7, v16
	v_lshrrev_b32_e32 v5, 3, v2
	v_cmp_gt_u32_e32 vcc, 8, v2
	v_ffbh_u32_e32 v2, v4
	v_min_u32_e32 v6, 32, v2
	v_subrev_u32_e32 v2, 28, v6
	v_lshlrev_b64 v[2:3], v2, v[16:17]
	v_sub_u32_e32 v3, 29, v6
	v_and_b32_e32 v2, 7, v2
	v_cndmask_b32_e32 v3, v5, v3, vcc
	v_cndmask_b32_e32 v2, v4, v2, vcc
	v_lshlrev_b32_e32 v4, 16, v8
	v_bfrev_b32_e32 v5, 60
	v_lshlrev_b32_e32 v2, 20, v2
	v_and_b32_e32 v4, 0x80000000, v4
	v_lshl_add_u32 v3, v3, 23, v5
	v_or3_b32 v2, v4, v3, v2
	buffer_store_dword v2, off, s[0:3], s32 offset:268 ; 4-byte Folded Spill
.LBB328_403:                            ;   in Loop: Header=BB328_9 Depth=1
	s_or_b64 exec, exec, s[40:41]
.LBB328_404:                            ;   in Loop: Header=BB328_9 Depth=1
	s_or_b64 exec, exec, s[28:29]
.LBB328_405:                            ;   in Loop: Header=BB328_9 Depth=1
	s_or_b64 exec, exec, s[26:27]
	v_lshrrev_b32_e32 v16, 16, v8
	v_mov_b32_e32 v2, 0
	v_cmp_ne_u16_sdwa s[28:29], v16, v2 src0_sel:BYTE_0 src1_sel:DWORD
	s_and_saveexec_b64 s[26:27], s[28:29]
	s_cbranch_execz .LBB328_411
; %bb.406:                              ;   in Loop: Header=BB328_9 Depth=1
	v_cmp_ne_u16_sdwa s[40:41], v16, s21 src0_sel:BYTE_0 src1_sel:DWORD
	v_bfrev_b32_e32 v2, 1
	buffer_store_dword v2, off, s[0:3], s32 offset:272 ; 4-byte Folded Spill
	s_and_saveexec_b64 s[28:29], s[40:41]
	s_cbranch_execz .LBB328_410
; %bb.407:                              ;   in Loop: Header=BB328_9 Depth=1
	v_bfe_u32 v2, v8, 16, 7
	v_cmp_ne_u32_e32 vcc, s42, v2
	v_mov_b32_e32 v3, 0x7f800001
	buffer_store_dword v3, off, s[0:3], s32 offset:272 ; 4-byte Folded Spill
	s_and_saveexec_b64 s[40:41], vcc
	s_cbranch_execz .LBB328_409
; %bb.408:                              ;   in Loop: Header=BB328_9 Depth=1
	v_and_b32_e32 v4, 7, v16
	v_lshrrev_b32_e32 v5, 3, v2
	v_cmp_gt_u32_e32 vcc, 8, v2
	v_ffbh_u32_e32 v2, v4
	v_min_u32_e32 v6, 32, v2
	v_subrev_u32_e32 v2, 28, v6
	v_lshlrev_b64 v[2:3], v2, v[16:17]
	v_sub_u32_e32 v3, 29, v6
	v_and_b32_e32 v2, 7, v2
	v_cndmask_b32_e32 v3, v5, v3, vcc
	v_cndmask_b32_e32 v2, v4, v2, vcc
	v_lshlrev_b32_e32 v4, 24, v16
	v_bfrev_b32_e32 v5, 60
	v_lshlrev_b32_e32 v2, 20, v2
	v_and_b32_e32 v4, 0x80000000, v4
	v_lshl_add_u32 v3, v3, 23, v5
	v_or3_b32 v2, v4, v3, v2
	buffer_store_dword v2, off, s[0:3], s32 offset:272 ; 4-byte Folded Spill
.LBB328_409:                            ;   in Loop: Header=BB328_9 Depth=1
	s_or_b64 exec, exec, s[40:41]
.LBB328_410:                            ;   in Loop: Header=BB328_9 Depth=1
	s_or_b64 exec, exec, s[28:29]
.LBB328_411:                            ;   in Loop: Header=BB328_9 Depth=1
	s_or_b64 exec, exec, s[26:27]
	v_mov_b32_e32 v2, 0
	v_cmp_lt_u32_e32 vcc, s43, v8
	buffer_store_dword v2, off, s[0:3], s32 offset:276 ; 4-byte Folded Spill
	v_mov_b32_e32 v2, 0
	buffer_store_dword v2, off, s[0:3], s32 offset:356 ; 4-byte Folded Spill
	s_and_saveexec_b64 s[26:27], vcc
	s_cbranch_execz .LBB328_417
; %bb.412:                              ;   in Loop: Header=BB328_9 Depth=1
	v_lshrrev_b32_e32 v16, 24, v8
	v_cmp_ne_u32_e32 vcc, s21, v16
	v_bfrev_b32_e32 v2, 1
	buffer_store_dword v2, off, s[0:3], s32 offset:356 ; 4-byte Folded Spill
	s_and_saveexec_b64 s[28:29], vcc
	s_cbranch_execz .LBB328_416
; %bb.413:                              ;   in Loop: Header=BB328_9 Depth=1
	v_bfe_u32 v2, v8, 24, 7
	v_cmp_ne_u32_e32 vcc, s42, v2
	v_mov_b32_e32 v3, 0x7f800001
	s_and_saveexec_b64 s[40:41], vcc
	s_cbranch_execz .LBB328_415
; %bb.414:                              ;   in Loop: Header=BB328_9 Depth=1
	v_and_b32_e32 v4, 7, v16
	v_lshrrev_b32_e32 v5, 3, v2
	v_cmp_gt_u32_e32 vcc, 8, v2
	v_ffbh_u32_e32 v2, v4
	v_min_u32_e32 v6, 32, v2
	v_subrev_u32_e32 v2, 28, v6
	v_lshlrev_b64 v[2:3], v2, v[16:17]
	v_sub_u32_e32 v3, 29, v6
	v_and_b32_e32 v2, 7, v2
	v_cndmask_b32_e32 v3, v5, v3, vcc
	v_cndmask_b32_e32 v2, v4, v2, vcc
	v_lshlrev_b32_e32 v4, 24, v16
	v_bfrev_b32_e32 v5, 60
	v_lshlrev_b32_e32 v2, 20, v2
	v_and_b32_e32 v4, 0x80000000, v4
	v_lshl_add_u32 v3, v3, 23, v5
	v_or3_b32 v3, v4, v3, v2
.LBB328_415:                            ;   in Loop: Header=BB328_9 Depth=1
	s_or_b64 exec, exec, s[40:41]
	buffer_store_dword v3, off, s[0:3], s32 offset:356 ; 4-byte Folded Spill
.LBB328_416:                            ;   in Loop: Header=BB328_9 Depth=1
	s_or_b64 exec, exec, s[28:29]
.LBB328_417:                            ;   in Loop: Header=BB328_9 Depth=1
	s_or_b64 exec, exec, s[26:27]
	buffer_load_dword v2, off, s[0:3], s32 offset:72 ; 4-byte Folded Reload
	s_waitcnt vmcnt(0)
	v_add_co_u32_e32 v0, vcc, v0, v2
	v_addc_co_u32_e32 v1, vcc, 0, v1, vcc
	flat_load_dword v8, v[0:1]
	v_mov_b32_e32 v0, 0
	s_waitcnt vmcnt(0) lgkmcnt(0)
	v_cmp_ne_u16_sdwa s[28:29], v8, v0 src0_sel:BYTE_0 src1_sel:DWORD
	s_and_saveexec_b64 s[26:27], s[28:29]
	s_cbranch_execz .LBB328_423
; %bb.418:                              ;   in Loop: Header=BB328_9 Depth=1
	v_cmp_ne_u16_sdwa s[40:41], v8, s21 src0_sel:BYTE_0 src1_sel:DWORD
	v_bfrev_b32_e32 v0, 1
	buffer_store_dword v0, off, s[0:3], s32 offset:276 ; 4-byte Folded Spill
	s_and_saveexec_b64 s[28:29], s[40:41]
	s_cbranch_execz .LBB328_422
; %bb.419:                              ;   in Loop: Header=BB328_9 Depth=1
	v_and_b32_e32 v0, 0x7f, v8
	v_cmp_ne_u32_e32 vcc, s42, v0
	v_mov_b32_e32 v1, 0x7f800001
	buffer_store_dword v1, off, s[0:3], s32 offset:276 ; 4-byte Folded Spill
	s_and_saveexec_b64 s[40:41], vcc
	s_cbranch_execz .LBB328_421
; %bb.420:                              ;   in Loop: Header=BB328_9 Depth=1
	v_and_b32_e32 v2, 7, v8
	v_lshrrev_b32_e32 v3, 3, v0
	v_cmp_gt_u32_e32 vcc, 8, v0
	v_ffbh_u32_e32 v0, v2
	v_min_u32_e32 v4, 32, v0
	v_subrev_u32_e32 v0, 28, v4
	v_lshlrev_b64 v[0:1], v0, v[8:9]
	v_sub_u32_e32 v1, 29, v4
	v_and_b32_e32 v0, 7, v0
	v_cndmask_b32_e32 v1, v3, v1, vcc
	v_cndmask_b32_e32 v0, v2, v0, vcc
	v_lshlrev_b32_e32 v2, 24, v8
	v_bfrev_b32_e32 v3, 60
	v_lshlrev_b32_e32 v0, 20, v0
	v_and_b32_e32 v2, 0x80000000, v2
	v_lshl_add_u32 v1, v1, 23, v3
	v_or3_b32 v0, v2, v1, v0
	buffer_store_dword v0, off, s[0:3], s32 offset:276 ; 4-byte Folded Spill
.LBB328_421:                            ;   in Loop: Header=BB328_9 Depth=1
	s_or_b64 exec, exec, s[40:41]
.LBB328_422:                            ;   in Loop: Header=BB328_9 Depth=1
	s_or_b64 exec, exec, s[28:29]
.LBB328_423:                            ;   in Loop: Header=BB328_9 Depth=1
	s_or_b64 exec, exec, s[26:27]
	v_lshrrev_b16_e32 v16, 8, v8
	v_mov_b32_e32 v0, 0
	v_cmp_ne_u16_e32 vcc, 0, v16
	buffer_store_dword v0, off, s[0:3], s32 offset:284 ; 4-byte Folded Spill
	v_mov_b32_e32 v0, 0
	buffer_store_dword v0, off, s[0:3], s32 offset:280 ; 4-byte Folded Spill
	s_and_saveexec_b64 s[26:27], vcc
	s_cbranch_execz .LBB328_429
; %bb.424:                              ;   in Loop: Header=BB328_9 Depth=1
	v_cmp_ne_u16_e32 vcc, s21, v16
	v_bfrev_b32_e32 v0, 1
	buffer_store_dword v0, off, s[0:3], s32 offset:280 ; 4-byte Folded Spill
	s_and_saveexec_b64 s[28:29], vcc
	s_cbranch_execz .LBB328_428
; %bb.425:                              ;   in Loop: Header=BB328_9 Depth=1
	v_and_b32_e32 v0, 0x7f, v16
	v_cmp_ne_u32_e32 vcc, s42, v0
	v_mov_b32_e32 v1, 0x7f800001
	buffer_store_dword v1, off, s[0:3], s32 offset:280 ; 4-byte Folded Spill
	s_and_saveexec_b64 s[40:41], vcc
	s_cbranch_execz .LBB328_427
; %bb.426:                              ;   in Loop: Header=BB328_9 Depth=1
	v_and_b32_e32 v2, 7, v16
	v_lshrrev_b32_e32 v3, 3, v0
	v_cmp_gt_u32_e32 vcc, 8, v0
	v_ffbh_u32_e32 v0, v2
	v_min_u32_e32 v4, 32, v0
	v_subrev_u32_e32 v0, 28, v4
	v_lshlrev_b64 v[0:1], v0, v[16:17]
	v_sub_u32_e32 v1, 29, v4
	v_and_b32_e32 v0, 7, v0
	v_cndmask_b32_e32 v1, v3, v1, vcc
	v_cndmask_b32_e32 v0, v2, v0, vcc
	v_lshlrev_b32_e32 v2, 16, v8
	v_bfrev_b32_e32 v3, 60
	v_lshlrev_b32_e32 v0, 20, v0
	v_and_b32_e32 v2, 0x80000000, v2
	v_lshl_add_u32 v1, v1, 23, v3
	v_or3_b32 v0, v2, v1, v0
	buffer_store_dword v0, off, s[0:3], s32 offset:280 ; 4-byte Folded Spill
.LBB328_427:                            ;   in Loop: Header=BB328_9 Depth=1
	s_or_b64 exec, exec, s[40:41]
.LBB328_428:                            ;   in Loop: Header=BB328_9 Depth=1
	s_or_b64 exec, exec, s[28:29]
.LBB328_429:                            ;   in Loop: Header=BB328_9 Depth=1
	s_or_b64 exec, exec, s[26:27]
	v_lshrrev_b32_e32 v16, 16, v8
	v_mov_b32_e32 v0, 0
	v_cmp_ne_u16_sdwa s[28:29], v16, v0 src0_sel:BYTE_0 src1_sel:DWORD
	s_and_saveexec_b64 s[26:27], s[28:29]
	s_cbranch_execz .LBB328_435
; %bb.430:                              ;   in Loop: Header=BB328_9 Depth=1
	v_cmp_ne_u16_sdwa s[40:41], v16, s21 src0_sel:BYTE_0 src1_sel:DWORD
	v_bfrev_b32_e32 v0, 1
	buffer_store_dword v0, off, s[0:3], s32 offset:284 ; 4-byte Folded Spill
	s_and_saveexec_b64 s[28:29], s[40:41]
	s_cbranch_execz .LBB328_434
; %bb.431:                              ;   in Loop: Header=BB328_9 Depth=1
	v_bfe_u32 v0, v8, 16, 7
	v_cmp_ne_u32_e32 vcc, s42, v0
	v_mov_b32_e32 v1, 0x7f800001
	buffer_store_dword v1, off, s[0:3], s32 offset:284 ; 4-byte Folded Spill
	s_and_saveexec_b64 s[40:41], vcc
	s_cbranch_execz .LBB328_433
; %bb.432:                              ;   in Loop: Header=BB328_9 Depth=1
	v_and_b32_e32 v2, 7, v16
	v_lshrrev_b32_e32 v3, 3, v0
	v_cmp_gt_u32_e32 vcc, 8, v0
	v_ffbh_u32_e32 v0, v2
	v_min_u32_e32 v4, 32, v0
	v_subrev_u32_e32 v0, 28, v4
	v_lshlrev_b64 v[0:1], v0, v[16:17]
	v_sub_u32_e32 v1, 29, v4
	v_and_b32_e32 v0, 7, v0
	v_cndmask_b32_e32 v1, v3, v1, vcc
	v_cndmask_b32_e32 v0, v2, v0, vcc
	v_lshlrev_b32_e32 v2, 24, v16
	v_bfrev_b32_e32 v3, 60
	v_lshlrev_b32_e32 v0, 20, v0
	v_and_b32_e32 v2, 0x80000000, v2
	v_lshl_add_u32 v1, v1, 23, v3
	v_or3_b32 v0, v2, v1, v0
	buffer_store_dword v0, off, s[0:3], s32 offset:284 ; 4-byte Folded Spill
.LBB328_433:                            ;   in Loop: Header=BB328_9 Depth=1
	s_or_b64 exec, exec, s[40:41]
.LBB328_434:                            ;   in Loop: Header=BB328_9 Depth=1
	s_or_b64 exec, exec, s[28:29]
.LBB328_435:                            ;   in Loop: Header=BB328_9 Depth=1
	s_or_b64 exec, exec, s[26:27]
	v_mov_b32_e32 v0, 0
	v_cmp_lt_u32_e32 vcc, s43, v8
	buffer_store_dword v0, off, s[0:3], s32 offset:288 ; 4-byte Folded Spill
	v_mov_b32_e32 v0, 0
	buffer_store_dword v0, off, s[0:3], s32 offset:360 ; 4-byte Folded Spill
	s_and_saveexec_b64 s[26:27], vcc
	s_cbranch_execz .LBB328_441
; %bb.436:                              ;   in Loop: Header=BB328_9 Depth=1
	v_lshrrev_b32_e32 v16, 24, v8
	v_cmp_ne_u32_e32 vcc, s21, v16
	v_bfrev_b32_e32 v0, 1
	buffer_store_dword v0, off, s[0:3], s32 offset:360 ; 4-byte Folded Spill
	s_and_saveexec_b64 s[28:29], vcc
	s_cbranch_execz .LBB328_440
; %bb.437:                              ;   in Loop: Header=BB328_9 Depth=1
	v_bfe_u32 v0, v8, 24, 7
	v_cmp_ne_u32_e32 vcc, s42, v0
	v_mov_b32_e32 v1, 0x7f800001
	s_and_saveexec_b64 s[40:41], vcc
	s_cbranch_execz .LBB328_439
; %bb.438:                              ;   in Loop: Header=BB328_9 Depth=1
	v_and_b32_e32 v2, 7, v16
	v_lshrrev_b32_e32 v3, 3, v0
	v_cmp_gt_u32_e32 vcc, 8, v0
	v_ffbh_u32_e32 v0, v2
	v_min_u32_e32 v4, 32, v0
	v_subrev_u32_e32 v0, 28, v4
	v_lshlrev_b64 v[0:1], v0, v[16:17]
	v_sub_u32_e32 v1, 29, v4
	v_and_b32_e32 v0, 7, v0
	v_cndmask_b32_e32 v1, v3, v1, vcc
	v_cndmask_b32_e32 v0, v2, v0, vcc
	v_lshlrev_b32_e32 v2, 24, v16
	v_bfrev_b32_e32 v3, 60
	v_lshlrev_b32_e32 v0, 20, v0
	v_and_b32_e32 v2, 0x80000000, v2
	v_lshl_add_u32 v1, v1, 23, v3
	v_or3_b32 v1, v2, v1, v0
.LBB328_439:                            ;   in Loop: Header=BB328_9 Depth=1
	s_or_b64 exec, exec, s[40:41]
	buffer_store_dword v1, off, s[0:3], s32 offset:360 ; 4-byte Folded Spill
.LBB328_440:                            ;   in Loop: Header=BB328_9 Depth=1
	s_or_b64 exec, exec, s[28:29]
.LBB328_441:                            ;   in Loop: Header=BB328_9 Depth=1
	s_or_b64 exec, exec, s[26:27]
	buffer_load_dword v2, off, s[0:3], s32 offset:64 ; 4-byte Folded Reload
	v_add_co_u32_e32 v0, vcc, 0x1200, v14
	v_addc_co_u32_e32 v1, vcc, 0, v15, vcc
	s_waitcnt vmcnt(0)
	v_add_co_u32_e32 v2, vcc, v0, v2
	v_addc_co_u32_e32 v3, vcc, 0, v1, vcc
	flat_load_dword v8, v[2:3]
	v_mov_b32_e32 v2, 0
	s_waitcnt vmcnt(0) lgkmcnt(0)
	v_cmp_ne_u16_sdwa s[28:29], v8, v2 src0_sel:BYTE_0 src1_sel:DWORD
	s_and_saveexec_b64 s[26:27], s[28:29]
	s_cbranch_execz .LBB328_447
; %bb.442:                              ;   in Loop: Header=BB328_9 Depth=1
	v_cmp_ne_u16_sdwa s[40:41], v8, s21 src0_sel:BYTE_0 src1_sel:DWORD
	v_bfrev_b32_e32 v2, 1
	buffer_store_dword v2, off, s[0:3], s32 offset:288 ; 4-byte Folded Spill
	s_and_saveexec_b64 s[28:29], s[40:41]
	s_cbranch_execz .LBB328_446
; %bb.443:                              ;   in Loop: Header=BB328_9 Depth=1
	v_and_b32_e32 v2, 0x7f, v8
	v_cmp_ne_u32_e32 vcc, s42, v2
	v_mov_b32_e32 v3, 0x7f800001
	buffer_store_dword v3, off, s[0:3], s32 offset:288 ; 4-byte Folded Spill
	s_and_saveexec_b64 s[40:41], vcc
	s_cbranch_execz .LBB328_445
; %bb.444:                              ;   in Loop: Header=BB328_9 Depth=1
	v_and_b32_e32 v4, 7, v8
	v_lshrrev_b32_e32 v5, 3, v2
	v_cmp_gt_u32_e32 vcc, 8, v2
	v_ffbh_u32_e32 v2, v4
	v_min_u32_e32 v6, 32, v2
	v_subrev_u32_e32 v2, 28, v6
	v_lshlrev_b64 v[2:3], v2, v[8:9]
	v_sub_u32_e32 v3, 29, v6
	v_and_b32_e32 v2, 7, v2
	v_cndmask_b32_e32 v3, v5, v3, vcc
	v_cndmask_b32_e32 v2, v4, v2, vcc
	v_lshlrev_b32_e32 v4, 24, v8
	v_bfrev_b32_e32 v5, 60
	v_lshlrev_b32_e32 v2, 20, v2
	v_and_b32_e32 v4, 0x80000000, v4
	v_lshl_add_u32 v3, v3, 23, v5
	v_or3_b32 v2, v4, v3, v2
	buffer_store_dword v2, off, s[0:3], s32 offset:288 ; 4-byte Folded Spill
.LBB328_445:                            ;   in Loop: Header=BB328_9 Depth=1
	s_or_b64 exec, exec, s[40:41]
.LBB328_446:                            ;   in Loop: Header=BB328_9 Depth=1
	s_or_b64 exec, exec, s[28:29]
.LBB328_447:                            ;   in Loop: Header=BB328_9 Depth=1
	s_or_b64 exec, exec, s[26:27]
	v_lshrrev_b16_e32 v16, 8, v8
	v_cmp_ne_u16_e32 vcc, 0, v16
	v_mov_b32_e32 v52, 0
	v_mov_b32_e32 v51, 0
	s_and_saveexec_b64 s[26:27], vcc
	s_cbranch_execz .LBB328_453
; %bb.448:                              ;   in Loop: Header=BB328_9 Depth=1
	v_cmp_ne_u16_e32 vcc, s21, v16
	v_bfrev_b32_e32 v51, 1
	s_and_saveexec_b64 s[28:29], vcc
	s_cbranch_execz .LBB328_452
; %bb.449:                              ;   in Loop: Header=BB328_9 Depth=1
	v_and_b32_e32 v2, 0x7f, v16
	v_cmp_ne_u32_e32 vcc, s42, v2
	v_mov_b32_e32 v51, 0x7f800001
	s_and_saveexec_b64 s[40:41], vcc
	s_cbranch_execz .LBB328_451
; %bb.450:                              ;   in Loop: Header=BB328_9 Depth=1
	v_and_b32_e32 v4, 7, v16
	v_lshrrev_b32_e32 v5, 3, v2
	v_cmp_gt_u32_e32 vcc, 8, v2
	v_ffbh_u32_e32 v2, v4
	v_min_u32_e32 v6, 32, v2
	v_subrev_u32_e32 v2, 28, v6
	v_lshlrev_b64 v[2:3], v2, v[16:17]
	v_sub_u32_e32 v3, 29, v6
	v_and_b32_e32 v2, 7, v2
	v_cndmask_b32_e32 v3, v5, v3, vcc
	v_cndmask_b32_e32 v2, v4, v2, vcc
	v_lshlrev_b32_e32 v4, 16, v8
	v_bfrev_b32_e32 v5, 60
	v_lshlrev_b32_e32 v2, 20, v2
	v_and_b32_e32 v4, 0x80000000, v4
	v_lshl_add_u32 v3, v3, 23, v5
	v_or3_b32 v51, v4, v3, v2
.LBB328_451:                            ;   in Loop: Header=BB328_9 Depth=1
	s_or_b64 exec, exec, s[40:41]
.LBB328_452:                            ;   in Loop: Header=BB328_9 Depth=1
	s_or_b64 exec, exec, s[28:29]
.LBB328_453:                            ;   in Loop: Header=BB328_9 Depth=1
	s_or_b64 exec, exec, s[26:27]
	v_lshrrev_b32_e32 v16, 16, v8
	v_mov_b32_e32 v2, 0
	v_cmp_ne_u16_sdwa s[28:29], v16, v2 src0_sel:BYTE_0 src1_sel:DWORD
	s_and_saveexec_b64 s[26:27], s[28:29]
	s_cbranch_execz .LBB328_459
; %bb.454:                              ;   in Loop: Header=BB328_9 Depth=1
	v_cmp_ne_u16_sdwa s[40:41], v16, s21 src0_sel:BYTE_0 src1_sel:DWORD
	v_bfrev_b32_e32 v52, 1
	s_and_saveexec_b64 s[28:29], s[40:41]
	s_cbranch_execz .LBB328_458
; %bb.455:                              ;   in Loop: Header=BB328_9 Depth=1
	v_bfe_u32 v2, v8, 16, 7
	v_cmp_ne_u32_e32 vcc, s42, v2
	v_mov_b32_e32 v52, 0x7f800001
	s_and_saveexec_b64 s[40:41], vcc
	s_cbranch_execz .LBB328_457
; %bb.456:                              ;   in Loop: Header=BB328_9 Depth=1
	v_and_b32_e32 v4, 7, v16
	v_lshrrev_b32_e32 v5, 3, v2
	v_cmp_gt_u32_e32 vcc, 8, v2
	v_ffbh_u32_e32 v2, v4
	v_min_u32_e32 v6, 32, v2
	v_subrev_u32_e32 v2, 28, v6
	v_lshlrev_b64 v[2:3], v2, v[16:17]
	v_sub_u32_e32 v3, 29, v6
	v_and_b32_e32 v2, 7, v2
	v_cndmask_b32_e32 v3, v5, v3, vcc
	v_cndmask_b32_e32 v2, v4, v2, vcc
	v_lshlrev_b32_e32 v4, 24, v16
	v_bfrev_b32_e32 v5, 60
	v_lshlrev_b32_e32 v2, 20, v2
	v_and_b32_e32 v4, 0x80000000, v4
	v_lshl_add_u32 v3, v3, 23, v5
	v_or3_b32 v52, v4, v3, v2
.LBB328_457:                            ;   in Loop: Header=BB328_9 Depth=1
	s_or_b64 exec, exec, s[40:41]
.LBB328_458:                            ;   in Loop: Header=BB328_9 Depth=1
	s_or_b64 exec, exec, s[28:29]
.LBB328_459:                            ;   in Loop: Header=BB328_9 Depth=1
	s_or_b64 exec, exec, s[26:27]
	v_cmp_lt_u32_e32 vcc, s43, v8
	v_mov_b32_e32 v53, 0
	v_mov_b32_e32 v50, 0
	s_and_saveexec_b64 s[26:27], vcc
	s_cbranch_execz .LBB328_465
; %bb.460:                              ;   in Loop: Header=BB328_9 Depth=1
	v_lshrrev_b32_e32 v16, 24, v8
	v_cmp_ne_u32_e32 vcc, s21, v16
	v_bfrev_b32_e32 v50, 1
	s_and_saveexec_b64 s[28:29], vcc
	s_cbranch_execz .LBB328_464
; %bb.461:                              ;   in Loop: Header=BB328_9 Depth=1
	v_bfe_u32 v2, v8, 24, 7
	v_cmp_ne_u32_e32 vcc, s42, v2
	v_mov_b32_e32 v50, 0x7f800001
	s_and_saveexec_b64 s[40:41], vcc
	s_cbranch_execz .LBB328_463
; %bb.462:                              ;   in Loop: Header=BB328_9 Depth=1
	v_and_b32_e32 v4, 7, v16
	v_lshrrev_b32_e32 v5, 3, v2
	v_cmp_gt_u32_e32 vcc, 8, v2
	v_ffbh_u32_e32 v2, v4
	v_min_u32_e32 v6, 32, v2
	v_subrev_u32_e32 v2, 28, v6
	v_lshlrev_b64 v[2:3], v2, v[16:17]
	v_sub_u32_e32 v3, 29, v6
	v_and_b32_e32 v2, 7, v2
	v_cndmask_b32_e32 v3, v5, v3, vcc
	v_cndmask_b32_e32 v2, v4, v2, vcc
	v_lshlrev_b32_e32 v4, 24, v16
	v_bfrev_b32_e32 v5, 60
	v_lshlrev_b32_e32 v2, 20, v2
	v_and_b32_e32 v4, 0x80000000, v4
	v_lshl_add_u32 v3, v3, 23, v5
	v_or3_b32 v50, v4, v3, v2
.LBB328_463:                            ;   in Loop: Header=BB328_9 Depth=1
	s_or_b64 exec, exec, s[40:41]
.LBB328_464:                            ;   in Loop: Header=BB328_9 Depth=1
	s_or_b64 exec, exec, s[28:29]
.LBB328_465:                            ;   in Loop: Header=BB328_9 Depth=1
	s_or_b64 exec, exec, s[26:27]
	buffer_load_dword v2, off, s[0:3], s32 offset:72 ; 4-byte Folded Reload
	s_waitcnt vmcnt(0)
	v_add_co_u32_e32 v0, vcc, v0, v2
	v_addc_co_u32_e32 v1, vcc, 0, v1, vcc
	flat_load_dword v8, v[0:1]
	v_mov_b32_e32 v0, 0
	s_waitcnt vmcnt(0) lgkmcnt(0)
	v_cmp_ne_u16_sdwa s[28:29], v8, v0 src0_sel:BYTE_0 src1_sel:DWORD
	s_and_saveexec_b64 s[26:27], s[28:29]
	s_cbranch_execz .LBB328_471
; %bb.466:                              ;   in Loop: Header=BB328_9 Depth=1
	v_cmp_ne_u16_sdwa s[40:41], v8, s21 src0_sel:BYTE_0 src1_sel:DWORD
	v_bfrev_b32_e32 v53, 1
	s_and_saveexec_b64 s[28:29], s[40:41]
	s_cbranch_execz .LBB328_470
; %bb.467:                              ;   in Loop: Header=BB328_9 Depth=1
	v_and_b32_e32 v0, 0x7f, v8
	v_cmp_ne_u32_e32 vcc, s42, v0
	v_mov_b32_e32 v53, 0x7f800001
	s_and_saveexec_b64 s[40:41], vcc
	s_cbranch_execz .LBB328_469
; %bb.468:                              ;   in Loop: Header=BB328_9 Depth=1
	v_and_b32_e32 v2, 7, v8
	v_lshrrev_b32_e32 v3, 3, v0
	v_cmp_gt_u32_e32 vcc, 8, v0
	v_ffbh_u32_e32 v0, v2
	v_min_u32_e32 v4, 32, v0
	v_subrev_u32_e32 v0, 28, v4
	v_lshlrev_b64 v[0:1], v0, v[8:9]
	v_sub_u32_e32 v1, 29, v4
	v_and_b32_e32 v0, 7, v0
	v_cndmask_b32_e32 v1, v3, v1, vcc
	v_cndmask_b32_e32 v0, v2, v0, vcc
	v_lshlrev_b32_e32 v2, 24, v8
	v_bfrev_b32_e32 v3, 60
	v_lshlrev_b32_e32 v0, 20, v0
	v_and_b32_e32 v2, 0x80000000, v2
	v_lshl_add_u32 v1, v1, 23, v3
	v_or3_b32 v53, v2, v1, v0
.LBB328_469:                            ;   in Loop: Header=BB328_9 Depth=1
	s_or_b64 exec, exec, s[40:41]
.LBB328_470:                            ;   in Loop: Header=BB328_9 Depth=1
	s_or_b64 exec, exec, s[28:29]
.LBB328_471:                            ;   in Loop: Header=BB328_9 Depth=1
	s_or_b64 exec, exec, s[26:27]
	v_lshrrev_b16_e32 v16, 8, v8
	v_cmp_ne_u16_e32 vcc, 0, v16
	v_mov_b32_e32 v11, 0
	v_mov_b32_e32 v36, 0
	s_and_saveexec_b64 s[26:27], vcc
	s_cbranch_execz .LBB328_477
; %bb.472:                              ;   in Loop: Header=BB328_9 Depth=1
	v_cmp_ne_u16_e32 vcc, s21, v16
	v_bfrev_b32_e32 v36, 1
	s_and_saveexec_b64 s[28:29], vcc
	s_cbranch_execz .LBB328_476
; %bb.473:                              ;   in Loop: Header=BB328_9 Depth=1
	v_and_b32_e32 v0, 0x7f, v16
	v_cmp_ne_u32_e32 vcc, s42, v0
	v_mov_b32_e32 v36, 0x7f800001
	s_and_saveexec_b64 s[40:41], vcc
	s_cbranch_execz .LBB328_475
; %bb.474:                              ;   in Loop: Header=BB328_9 Depth=1
	v_and_b32_e32 v2, 7, v16
	v_lshrrev_b32_e32 v3, 3, v0
	v_cmp_gt_u32_e32 vcc, 8, v0
	v_ffbh_u32_e32 v0, v2
	v_min_u32_e32 v4, 32, v0
	v_subrev_u32_e32 v0, 28, v4
	v_lshlrev_b64 v[0:1], v0, v[16:17]
	v_sub_u32_e32 v1, 29, v4
	v_and_b32_e32 v0, 7, v0
	v_cndmask_b32_e32 v1, v3, v1, vcc
	v_cndmask_b32_e32 v0, v2, v0, vcc
	v_lshlrev_b32_e32 v2, 16, v8
	v_bfrev_b32_e32 v3, 60
	v_lshlrev_b32_e32 v0, 20, v0
	v_and_b32_e32 v2, 0x80000000, v2
	v_lshl_add_u32 v1, v1, 23, v3
	v_or3_b32 v36, v2, v1, v0
.LBB328_475:                            ;   in Loop: Header=BB328_9 Depth=1
	s_or_b64 exec, exec, s[40:41]
.LBB328_476:                            ;   in Loop: Header=BB328_9 Depth=1
	s_or_b64 exec, exec, s[28:29]
.LBB328_477:                            ;   in Loop: Header=BB328_9 Depth=1
	s_or_b64 exec, exec, s[26:27]
	v_lshrrev_b32_e32 v16, 16, v8
	v_mov_b32_e32 v0, 0
	v_cmp_ne_u16_sdwa s[28:29], v16, v0 src0_sel:BYTE_0 src1_sel:DWORD
	s_and_saveexec_b64 s[26:27], s[28:29]
	s_cbranch_execz .LBB328_483
; %bb.478:                              ;   in Loop: Header=BB328_9 Depth=1
	v_cmp_ne_u16_sdwa s[40:41], v16, s21 src0_sel:BYTE_0 src1_sel:DWORD
	v_bfrev_b32_e32 v11, 1
	s_and_saveexec_b64 s[28:29], s[40:41]
	s_cbranch_execz .LBB328_482
; %bb.479:                              ;   in Loop: Header=BB328_9 Depth=1
	v_bfe_u32 v0, v8, 16, 7
	v_cmp_ne_u32_e32 vcc, s42, v0
	v_mov_b32_e32 v11, 0x7f800001
	s_and_saveexec_b64 s[40:41], vcc
	s_cbranch_execz .LBB328_481
; %bb.480:                              ;   in Loop: Header=BB328_9 Depth=1
	v_and_b32_e32 v2, 7, v16
	v_lshrrev_b32_e32 v3, 3, v0
	v_cmp_gt_u32_e32 vcc, 8, v0
	v_ffbh_u32_e32 v0, v2
	v_min_u32_e32 v4, 32, v0
	v_subrev_u32_e32 v0, 28, v4
	v_lshlrev_b64 v[0:1], v0, v[16:17]
	v_sub_u32_e32 v1, 29, v4
	v_and_b32_e32 v0, 7, v0
	v_cndmask_b32_e32 v1, v3, v1, vcc
	v_cndmask_b32_e32 v0, v2, v0, vcc
	v_lshlrev_b32_e32 v2, 24, v16
	v_bfrev_b32_e32 v3, 60
	v_lshlrev_b32_e32 v0, 20, v0
	v_and_b32_e32 v2, 0x80000000, v2
	v_lshl_add_u32 v1, v1, 23, v3
	v_or3_b32 v11, v2, v1, v0
.LBB328_481:                            ;   in Loop: Header=BB328_9 Depth=1
	s_or_b64 exec, exec, s[40:41]
.LBB328_482:                            ;   in Loop: Header=BB328_9 Depth=1
	s_or_b64 exec, exec, s[28:29]
.LBB328_483:                            ;   in Loop: Header=BB328_9 Depth=1
	s_or_b64 exec, exec, s[26:27]
	v_cmp_lt_u32_e32 vcc, s43, v8
	v_mov_b32_e32 v49, 0
	v_mov_b32_e32 v34, 0
	s_and_saveexec_b64 s[26:27], vcc
	s_cbranch_execz .LBB328_489
; %bb.484:                              ;   in Loop: Header=BB328_9 Depth=1
	v_lshrrev_b32_e32 v16, 24, v8
	v_cmp_ne_u32_e32 vcc, s21, v16
	v_bfrev_b32_e32 v34, 1
	s_and_saveexec_b64 s[28:29], vcc
	s_cbranch_execz .LBB328_488
; %bb.485:                              ;   in Loop: Header=BB328_9 Depth=1
	v_bfe_u32 v0, v8, 24, 7
	v_cmp_ne_u32_e32 vcc, s42, v0
	v_mov_b32_e32 v34, 0x7f800001
	s_and_saveexec_b64 s[40:41], vcc
	s_cbranch_execz .LBB328_487
; %bb.486:                              ;   in Loop: Header=BB328_9 Depth=1
	v_and_b32_e32 v2, 7, v16
	v_lshrrev_b32_e32 v3, 3, v0
	v_cmp_gt_u32_e32 vcc, 8, v0
	v_ffbh_u32_e32 v0, v2
	v_min_u32_e32 v4, 32, v0
	v_subrev_u32_e32 v0, 28, v4
	v_lshlrev_b64 v[0:1], v0, v[16:17]
	v_sub_u32_e32 v1, 29, v4
	v_and_b32_e32 v0, 7, v0
	v_cndmask_b32_e32 v1, v3, v1, vcc
	v_cndmask_b32_e32 v0, v2, v0, vcc
	v_lshlrev_b32_e32 v2, 24, v16
	v_bfrev_b32_e32 v3, 60
	v_lshlrev_b32_e32 v0, 20, v0
	v_and_b32_e32 v2, 0x80000000, v2
	v_lshl_add_u32 v1, v1, 23, v3
	v_or3_b32 v34, v2, v1, v0
.LBB328_487:                            ;   in Loop: Header=BB328_9 Depth=1
	s_or_b64 exec, exec, s[40:41]
.LBB328_488:                            ;   in Loop: Header=BB328_9 Depth=1
	s_or_b64 exec, exec, s[28:29]
.LBB328_489:                            ;   in Loop: Header=BB328_9 Depth=1
	s_or_b64 exec, exec, s[26:27]
	buffer_load_dword v2, off, s[0:3], s32 offset:64 ; 4-byte Folded Reload
	v_add_co_u32_e32 v0, vcc, 0x1400, v14
	v_addc_co_u32_e32 v1, vcc, 0, v15, vcc
	s_waitcnt vmcnt(0)
	v_add_co_u32_e32 v2, vcc, v0, v2
	v_addc_co_u32_e32 v3, vcc, 0, v1, vcc
	flat_load_dword v8, v[2:3]
	v_mov_b32_e32 v2, 0
	s_waitcnt vmcnt(0) lgkmcnt(0)
	v_cmp_ne_u16_sdwa s[28:29], v8, v2 src0_sel:BYTE_0 src1_sel:DWORD
	s_and_saveexec_b64 s[26:27], s[28:29]
	s_cbranch_execz .LBB328_495
; %bb.490:                              ;   in Loop: Header=BB328_9 Depth=1
	v_cmp_ne_u16_sdwa s[40:41], v8, s21 src0_sel:BYTE_0 src1_sel:DWORD
	v_bfrev_b32_e32 v49, 1
	s_and_saveexec_b64 s[28:29], s[40:41]
	s_cbranch_execz .LBB328_494
; %bb.491:                              ;   in Loop: Header=BB328_9 Depth=1
	v_and_b32_e32 v2, 0x7f, v8
	v_cmp_ne_u32_e32 vcc, s42, v2
	v_mov_b32_e32 v49, 0x7f800001
	s_and_saveexec_b64 s[40:41], vcc
	s_cbranch_execz .LBB328_493
; %bb.492:                              ;   in Loop: Header=BB328_9 Depth=1
	v_and_b32_e32 v4, 7, v8
	v_lshrrev_b32_e32 v5, 3, v2
	v_cmp_gt_u32_e32 vcc, 8, v2
	v_ffbh_u32_e32 v2, v4
	v_min_u32_e32 v6, 32, v2
	v_subrev_u32_e32 v2, 28, v6
	v_lshlrev_b64 v[2:3], v2, v[8:9]
	v_sub_u32_e32 v3, 29, v6
	v_and_b32_e32 v2, 7, v2
	v_cndmask_b32_e32 v3, v5, v3, vcc
	v_cndmask_b32_e32 v2, v4, v2, vcc
	v_lshlrev_b32_e32 v4, 24, v8
	v_bfrev_b32_e32 v5, 60
	v_lshlrev_b32_e32 v2, 20, v2
	v_and_b32_e32 v4, 0x80000000, v4
	v_lshl_add_u32 v3, v3, 23, v5
	v_or3_b32 v49, v4, v3, v2
.LBB328_493:                            ;   in Loop: Header=BB328_9 Depth=1
	s_or_b64 exec, exec, s[40:41]
.LBB328_494:                            ;   in Loop: Header=BB328_9 Depth=1
	s_or_b64 exec, exec, s[28:29]
.LBB328_495:                            ;   in Loop: Header=BB328_9 Depth=1
	s_or_b64 exec, exec, s[26:27]
	v_lshrrev_b16_e32 v16, 8, v8
	v_cmp_ne_u16_e32 vcc, 0, v16
	v_mov_b32_e32 v25, 0
	v_mov_b32_e32 v46, 0
	s_and_saveexec_b64 s[26:27], vcc
	s_cbranch_execz .LBB328_501
; %bb.496:                              ;   in Loop: Header=BB328_9 Depth=1
	v_cmp_ne_u16_e32 vcc, s21, v16
	v_bfrev_b32_e32 v46, 1
	s_and_saveexec_b64 s[28:29], vcc
	s_cbranch_execz .LBB328_500
; %bb.497:                              ;   in Loop: Header=BB328_9 Depth=1
	v_and_b32_e32 v2, 0x7f, v16
	v_cmp_ne_u32_e32 vcc, s42, v2
	v_mov_b32_e32 v46, 0x7f800001
	s_and_saveexec_b64 s[40:41], vcc
	s_cbranch_execz .LBB328_499
; %bb.498:                              ;   in Loop: Header=BB328_9 Depth=1
	v_and_b32_e32 v4, 7, v16
	v_lshrrev_b32_e32 v5, 3, v2
	v_cmp_gt_u32_e32 vcc, 8, v2
	v_ffbh_u32_e32 v2, v4
	v_min_u32_e32 v6, 32, v2
	v_subrev_u32_e32 v2, 28, v6
	v_lshlrev_b64 v[2:3], v2, v[16:17]
	v_sub_u32_e32 v3, 29, v6
	v_and_b32_e32 v2, 7, v2
	v_cndmask_b32_e32 v3, v5, v3, vcc
	v_cndmask_b32_e32 v2, v4, v2, vcc
	v_lshlrev_b32_e32 v4, 16, v8
	v_bfrev_b32_e32 v5, 60
	v_lshlrev_b32_e32 v2, 20, v2
	v_and_b32_e32 v4, 0x80000000, v4
	v_lshl_add_u32 v3, v3, 23, v5
	v_or3_b32 v46, v4, v3, v2
.LBB328_499:                            ;   in Loop: Header=BB328_9 Depth=1
	s_or_b64 exec, exec, s[40:41]
.LBB328_500:                            ;   in Loop: Header=BB328_9 Depth=1
	s_or_b64 exec, exec, s[28:29]
.LBB328_501:                            ;   in Loop: Header=BB328_9 Depth=1
	s_or_b64 exec, exec, s[26:27]
	v_lshrrev_b32_e32 v16, 16, v8
	v_mov_b32_e32 v2, 0
	v_cmp_ne_u16_sdwa s[28:29], v16, v2 src0_sel:BYTE_0 src1_sel:DWORD
	s_and_saveexec_b64 s[26:27], s[28:29]
	s_cbranch_execz .LBB328_507
; %bb.502:                              ;   in Loop: Header=BB328_9 Depth=1
	v_cmp_ne_u16_sdwa s[40:41], v16, s21 src0_sel:BYTE_0 src1_sel:DWORD
	v_bfrev_b32_e32 v25, 1
	s_and_saveexec_b64 s[28:29], s[40:41]
	s_cbranch_execz .LBB328_506
; %bb.503:                              ;   in Loop: Header=BB328_9 Depth=1
	v_bfe_u32 v2, v8, 16, 7
	v_cmp_ne_u32_e32 vcc, s42, v2
	v_mov_b32_e32 v25, 0x7f800001
	s_and_saveexec_b64 s[40:41], vcc
	s_cbranch_execz .LBB328_505
; %bb.504:                              ;   in Loop: Header=BB328_9 Depth=1
	v_and_b32_e32 v4, 7, v16
	v_lshrrev_b32_e32 v5, 3, v2
	v_cmp_gt_u32_e32 vcc, 8, v2
	v_ffbh_u32_e32 v2, v4
	v_min_u32_e32 v6, 32, v2
	v_subrev_u32_e32 v2, 28, v6
	v_lshlrev_b64 v[2:3], v2, v[16:17]
	v_sub_u32_e32 v3, 29, v6
	v_and_b32_e32 v2, 7, v2
	v_cndmask_b32_e32 v3, v5, v3, vcc
	v_cndmask_b32_e32 v2, v4, v2, vcc
	v_lshlrev_b32_e32 v4, 24, v16
	v_bfrev_b32_e32 v5, 60
	v_lshlrev_b32_e32 v2, 20, v2
	v_and_b32_e32 v4, 0x80000000, v4
	v_lshl_add_u32 v3, v3, 23, v5
	v_or3_b32 v25, v4, v3, v2
.LBB328_505:                            ;   in Loop: Header=BB328_9 Depth=1
	s_or_b64 exec, exec, s[40:41]
.LBB328_506:                            ;   in Loop: Header=BB328_9 Depth=1
	s_or_b64 exec, exec, s[28:29]
.LBB328_507:                            ;   in Loop: Header=BB328_9 Depth=1
	s_or_b64 exec, exec, s[26:27]
	v_cmp_lt_u32_e32 vcc, s43, v8
	v_mov_b32_e32 v56, 0
	v_mov_b32_e32 v47, 0
	s_and_saveexec_b64 s[26:27], vcc
	s_cbranch_execz .LBB328_513
; %bb.508:                              ;   in Loop: Header=BB328_9 Depth=1
	v_lshrrev_b32_e32 v16, 24, v8
	v_cmp_ne_u32_e32 vcc, s21, v16
	v_bfrev_b32_e32 v47, 1
	s_and_saveexec_b64 s[28:29], vcc
	s_cbranch_execz .LBB328_512
; %bb.509:                              ;   in Loop: Header=BB328_9 Depth=1
	v_bfe_u32 v2, v8, 24, 7
	v_cmp_ne_u32_e32 vcc, s42, v2
	v_mov_b32_e32 v47, 0x7f800001
	s_and_saveexec_b64 s[40:41], vcc
	s_cbranch_execz .LBB328_511
; %bb.510:                              ;   in Loop: Header=BB328_9 Depth=1
	v_and_b32_e32 v4, 7, v16
	v_lshrrev_b32_e32 v5, 3, v2
	v_cmp_gt_u32_e32 vcc, 8, v2
	v_ffbh_u32_e32 v2, v4
	v_min_u32_e32 v6, 32, v2
	v_subrev_u32_e32 v2, 28, v6
	v_lshlrev_b64 v[2:3], v2, v[16:17]
	v_sub_u32_e32 v3, 29, v6
	v_and_b32_e32 v2, 7, v2
	v_cndmask_b32_e32 v3, v5, v3, vcc
	v_cndmask_b32_e32 v2, v4, v2, vcc
	v_lshlrev_b32_e32 v4, 24, v16
	v_bfrev_b32_e32 v5, 60
	v_lshlrev_b32_e32 v2, 20, v2
	v_and_b32_e32 v4, 0x80000000, v4
	v_lshl_add_u32 v3, v3, 23, v5
	v_or3_b32 v47, v4, v3, v2
.LBB328_511:                            ;   in Loop: Header=BB328_9 Depth=1
	s_or_b64 exec, exec, s[40:41]
.LBB328_512:                            ;   in Loop: Header=BB328_9 Depth=1
	s_or_b64 exec, exec, s[28:29]
.LBB328_513:                            ;   in Loop: Header=BB328_9 Depth=1
	s_or_b64 exec, exec, s[26:27]
	buffer_load_dword v2, off, s[0:3], s32 offset:72 ; 4-byte Folded Reload
	s_waitcnt vmcnt(0)
	v_add_co_u32_e32 v0, vcc, v0, v2
	v_addc_co_u32_e32 v1, vcc, 0, v1, vcc
	flat_load_dword v8, v[0:1]
	v_mov_b32_e32 v0, 0
	s_waitcnt vmcnt(0) lgkmcnt(0)
	v_cmp_ne_u16_sdwa s[28:29], v8, v0 src0_sel:BYTE_0 src1_sel:DWORD
	s_and_saveexec_b64 s[26:27], s[28:29]
	s_cbranch_execz .LBB328_519
; %bb.514:                              ;   in Loop: Header=BB328_9 Depth=1
	v_cmp_ne_u16_sdwa s[40:41], v8, s21 src0_sel:BYTE_0 src1_sel:DWORD
	v_bfrev_b32_e32 v56, 1
	s_and_saveexec_b64 s[28:29], s[40:41]
	s_cbranch_execz .LBB328_518
; %bb.515:                              ;   in Loop: Header=BB328_9 Depth=1
	v_and_b32_e32 v0, 0x7f, v8
	v_cmp_ne_u32_e32 vcc, s42, v0
	v_mov_b32_e32 v56, 0x7f800001
	s_and_saveexec_b64 s[40:41], vcc
	s_cbranch_execz .LBB328_517
; %bb.516:                              ;   in Loop: Header=BB328_9 Depth=1
	v_and_b32_e32 v2, 7, v8
	v_lshrrev_b32_e32 v3, 3, v0
	v_cmp_gt_u32_e32 vcc, 8, v0
	v_ffbh_u32_e32 v0, v2
	v_min_u32_e32 v4, 32, v0
	v_subrev_u32_e32 v0, 28, v4
	v_lshlrev_b64 v[0:1], v0, v[8:9]
	v_sub_u32_e32 v1, 29, v4
	v_and_b32_e32 v0, 7, v0
	v_cndmask_b32_e32 v1, v3, v1, vcc
	v_cndmask_b32_e32 v0, v2, v0, vcc
	v_lshlrev_b32_e32 v2, 24, v8
	v_bfrev_b32_e32 v3, 60
	v_lshlrev_b32_e32 v0, 20, v0
	v_and_b32_e32 v2, 0x80000000, v2
	v_lshl_add_u32 v1, v1, 23, v3
	v_or3_b32 v56, v2, v1, v0
.LBB328_517:                            ;   in Loop: Header=BB328_9 Depth=1
	s_or_b64 exec, exec, s[40:41]
.LBB328_518:                            ;   in Loop: Header=BB328_9 Depth=1
	s_or_b64 exec, exec, s[28:29]
.LBB328_519:                            ;   in Loop: Header=BB328_9 Depth=1
	s_or_b64 exec, exec, s[26:27]
	v_lshrrev_b16_e32 v16, 8, v8
	v_cmp_ne_u16_e32 vcc, 0, v16
	v_mov_b32_e32 v24, 0
	v_mov_b32_e32 v31, 0
	s_and_saveexec_b64 s[26:27], vcc
	s_cbranch_execz .LBB328_525
; %bb.520:                              ;   in Loop: Header=BB328_9 Depth=1
	v_cmp_ne_u16_e32 vcc, s21, v16
	v_bfrev_b32_e32 v31, 1
	s_and_saveexec_b64 s[28:29], vcc
	s_cbranch_execz .LBB328_524
; %bb.521:                              ;   in Loop: Header=BB328_9 Depth=1
	v_and_b32_e32 v0, 0x7f, v16
	v_cmp_ne_u32_e32 vcc, s42, v0
	v_mov_b32_e32 v31, 0x7f800001
	s_and_saveexec_b64 s[40:41], vcc
	s_cbranch_execz .LBB328_523
; %bb.522:                              ;   in Loop: Header=BB328_9 Depth=1
	v_and_b32_e32 v2, 7, v16
	v_lshrrev_b32_e32 v3, 3, v0
	v_cmp_gt_u32_e32 vcc, 8, v0
	v_ffbh_u32_e32 v0, v2
	v_min_u32_e32 v4, 32, v0
	v_subrev_u32_e32 v0, 28, v4
	v_lshlrev_b64 v[0:1], v0, v[16:17]
	v_sub_u32_e32 v1, 29, v4
	v_and_b32_e32 v0, 7, v0
	v_cndmask_b32_e32 v1, v3, v1, vcc
	v_cndmask_b32_e32 v0, v2, v0, vcc
	v_lshlrev_b32_e32 v2, 16, v8
	v_bfrev_b32_e32 v3, 60
	v_lshlrev_b32_e32 v0, 20, v0
	v_and_b32_e32 v2, 0x80000000, v2
	v_lshl_add_u32 v1, v1, 23, v3
	v_or3_b32 v31, v2, v1, v0
.LBB328_523:                            ;   in Loop: Header=BB328_9 Depth=1
	s_or_b64 exec, exec, s[40:41]
.LBB328_524:                            ;   in Loop: Header=BB328_9 Depth=1
	s_or_b64 exec, exec, s[28:29]
.LBB328_525:                            ;   in Loop: Header=BB328_9 Depth=1
	s_or_b64 exec, exec, s[26:27]
	v_lshrrev_b32_e32 v16, 16, v8
	v_mov_b32_e32 v0, 0
	v_cmp_ne_u16_sdwa s[28:29], v16, v0 src0_sel:BYTE_0 src1_sel:DWORD
	s_and_saveexec_b64 s[26:27], s[28:29]
	s_cbranch_execz .LBB328_531
; %bb.526:                              ;   in Loop: Header=BB328_9 Depth=1
	v_cmp_ne_u16_sdwa s[40:41], v16, s21 src0_sel:BYTE_0 src1_sel:DWORD
	v_bfrev_b32_e32 v24, 1
	s_and_saveexec_b64 s[28:29], s[40:41]
	s_cbranch_execz .LBB328_530
; %bb.527:                              ;   in Loop: Header=BB328_9 Depth=1
	v_bfe_u32 v0, v8, 16, 7
	v_cmp_ne_u32_e32 vcc, s42, v0
	v_mov_b32_e32 v24, 0x7f800001
	s_and_saveexec_b64 s[40:41], vcc
	s_cbranch_execz .LBB328_529
; %bb.528:                              ;   in Loop: Header=BB328_9 Depth=1
	v_and_b32_e32 v2, 7, v16
	v_lshrrev_b32_e32 v3, 3, v0
	v_cmp_gt_u32_e32 vcc, 8, v0
	v_ffbh_u32_e32 v0, v2
	v_min_u32_e32 v4, 32, v0
	v_subrev_u32_e32 v0, 28, v4
	v_lshlrev_b64 v[0:1], v0, v[16:17]
	v_sub_u32_e32 v1, 29, v4
	v_and_b32_e32 v0, 7, v0
	v_cndmask_b32_e32 v1, v3, v1, vcc
	v_cndmask_b32_e32 v0, v2, v0, vcc
	v_lshlrev_b32_e32 v2, 24, v16
	v_bfrev_b32_e32 v3, 60
	v_lshlrev_b32_e32 v0, 20, v0
	v_and_b32_e32 v2, 0x80000000, v2
	v_lshl_add_u32 v1, v1, 23, v3
	v_or3_b32 v24, v2, v1, v0
.LBB328_529:                            ;   in Loop: Header=BB328_9 Depth=1
	s_or_b64 exec, exec, s[40:41]
.LBB328_530:                            ;   in Loop: Header=BB328_9 Depth=1
	s_or_b64 exec, exec, s[28:29]
.LBB328_531:                            ;   in Loop: Header=BB328_9 Depth=1
	s_or_b64 exec, exec, s[26:27]
	v_cmp_lt_u32_e32 vcc, s43, v8
	v_mov_b32_e32 v41, 0
	v_mov_b32_e32 v6, 0
	s_and_saveexec_b64 s[26:27], vcc
	s_cbranch_execz .LBB328_537
; %bb.532:                              ;   in Loop: Header=BB328_9 Depth=1
	v_lshrrev_b32_e32 v16, 24, v8
	v_cmp_ne_u32_e32 vcc, s21, v16
	v_bfrev_b32_e32 v6, 1
	s_and_saveexec_b64 s[28:29], vcc
	s_cbranch_execz .LBB328_536
; %bb.533:                              ;   in Loop: Header=BB328_9 Depth=1
	v_bfe_u32 v0, v8, 24, 7
	v_cmp_ne_u32_e32 vcc, s42, v0
	v_mov_b32_e32 v6, 0x7f800001
	s_and_saveexec_b64 s[40:41], vcc
	s_cbranch_execz .LBB328_535
; %bb.534:                              ;   in Loop: Header=BB328_9 Depth=1
	v_and_b32_e32 v2, 7, v16
	v_lshrrev_b32_e32 v3, 3, v0
	v_cmp_gt_u32_e32 vcc, 8, v0
	v_ffbh_u32_e32 v0, v2
	v_min_u32_e32 v4, 32, v0
	v_subrev_u32_e32 v0, 28, v4
	v_lshlrev_b64 v[0:1], v0, v[16:17]
	v_sub_u32_e32 v1, 29, v4
	v_and_b32_e32 v0, 7, v0
	v_cndmask_b32_e32 v1, v3, v1, vcc
	v_cndmask_b32_e32 v0, v2, v0, vcc
	v_lshlrev_b32_e32 v2, 24, v16
	v_bfrev_b32_e32 v3, 60
	v_lshlrev_b32_e32 v0, 20, v0
	v_and_b32_e32 v2, 0x80000000, v2
	v_lshl_add_u32 v1, v1, 23, v3
	v_or3_b32 v6, v2, v1, v0
.LBB328_535:                            ;   in Loop: Header=BB328_9 Depth=1
	s_or_b64 exec, exec, s[40:41]
.LBB328_536:                            ;   in Loop: Header=BB328_9 Depth=1
	s_or_b64 exec, exec, s[28:29]
.LBB328_537:                            ;   in Loop: Header=BB328_9 Depth=1
	s_or_b64 exec, exec, s[26:27]
	buffer_load_dword v2, off, s[0:3], s32 offset:64 ; 4-byte Folded Reload
	v_add_co_u32_e32 v0, vcc, 0x1600, v14
	v_addc_co_u32_e32 v1, vcc, 0, v15, vcc
	s_waitcnt vmcnt(0)
	v_add_co_u32_e32 v2, vcc, v0, v2
	v_addc_co_u32_e32 v3, vcc, 0, v1, vcc
	flat_load_dword v8, v[2:3]
	v_mov_b32_e32 v2, 0
	s_waitcnt vmcnt(0) lgkmcnt(0)
	v_cmp_ne_u16_sdwa s[28:29], v8, v2 src0_sel:BYTE_0 src1_sel:DWORD
	s_and_saveexec_b64 s[26:27], s[28:29]
	s_cbranch_execz .LBB328_543
; %bb.538:                              ;   in Loop: Header=BB328_9 Depth=1
	v_cmp_ne_u16_sdwa s[40:41], v8, s21 src0_sel:BYTE_0 src1_sel:DWORD
	v_bfrev_b32_e32 v41, 1
	s_and_saveexec_b64 s[28:29], s[40:41]
	s_cbranch_execz .LBB328_542
; %bb.539:                              ;   in Loop: Header=BB328_9 Depth=1
	v_and_b32_e32 v2, 0x7f, v8
	v_cmp_ne_u32_e32 vcc, s42, v2
	v_mov_b32_e32 v41, 0x7f800001
	s_and_saveexec_b64 s[40:41], vcc
	s_cbranch_execz .LBB328_541
; %bb.540:                              ;   in Loop: Header=BB328_9 Depth=1
	v_and_b32_e32 v4, 7, v8
	v_lshrrev_b32_e32 v5, 3, v2
	v_cmp_gt_u32_e32 vcc, 8, v2
	v_ffbh_u32_e32 v2, v4
	v_min_u32_e32 v7, 32, v2
	v_subrev_u32_e32 v2, 28, v7
	v_lshlrev_b64 v[2:3], v2, v[8:9]
	v_sub_u32_e32 v3, 29, v7
	v_and_b32_e32 v2, 7, v2
	v_cndmask_b32_e32 v3, v5, v3, vcc
	v_cndmask_b32_e32 v2, v4, v2, vcc
	v_lshlrev_b32_e32 v4, 24, v8
	v_bfrev_b32_e32 v5, 60
	v_lshlrev_b32_e32 v2, 20, v2
	v_and_b32_e32 v4, 0x80000000, v4
	v_lshl_add_u32 v3, v3, 23, v5
	v_or3_b32 v41, v4, v3, v2
.LBB328_541:                            ;   in Loop: Header=BB328_9 Depth=1
	s_or_b64 exec, exec, s[40:41]
.LBB328_542:                            ;   in Loop: Header=BB328_9 Depth=1
	s_or_b64 exec, exec, s[28:29]
.LBB328_543:                            ;   in Loop: Header=BB328_9 Depth=1
	s_or_b64 exec, exec, s[26:27]
	v_lshrrev_b16_e32 v16, 8, v8
	v_cmp_ne_u16_e32 vcc, 0, v16
	v_mov_b32_e32 v5, 0
	v_mov_b32_e32 v4, 0
	s_and_saveexec_b64 s[26:27], vcc
	s_cbranch_execz .LBB328_549
; %bb.544:                              ;   in Loop: Header=BB328_9 Depth=1
	v_cmp_ne_u16_e32 vcc, s21, v16
	v_bfrev_b32_e32 v4, 1
	s_and_saveexec_b64 s[28:29], vcc
	s_cbranch_execz .LBB328_548
; %bb.545:                              ;   in Loop: Header=BB328_9 Depth=1
	v_and_b32_e32 v2, 0x7f, v16
	v_cmp_ne_u32_e32 vcc, s42, v2
	v_mov_b32_e32 v4, 0x7f800001
	s_and_saveexec_b64 s[40:41], vcc
	s_cbranch_execz .LBB328_547
; %bb.546:                              ;   in Loop: Header=BB328_9 Depth=1
	v_and_b32_e32 v4, 7, v16
	v_lshrrev_b32_e32 v7, 3, v2
	v_cmp_gt_u32_e32 vcc, 8, v2
	v_ffbh_u32_e32 v2, v4
	v_min_u32_e32 v9, 32, v2
	v_subrev_u32_e32 v2, 28, v9
	v_lshlrev_b64 v[2:3], v2, v[16:17]
	v_sub_u32_e32 v3, 29, v9
	v_and_b32_e32 v2, 7, v2
	v_cndmask_b32_e32 v3, v7, v3, vcc
	v_cndmask_b32_e32 v2, v4, v2, vcc
	v_lshlrev_b32_e32 v4, 16, v8
	v_bfrev_b32_e32 v7, 60
	v_lshlrev_b32_e32 v2, 20, v2
	v_and_b32_e32 v4, 0x80000000, v4
	v_lshl_add_u32 v3, v3, 23, v7
	v_or3_b32 v4, v4, v3, v2
.LBB328_547:                            ;   in Loop: Header=BB328_9 Depth=1
	s_or_b64 exec, exec, s[40:41]
.LBB328_548:                            ;   in Loop: Header=BB328_9 Depth=1
	s_or_b64 exec, exec, s[28:29]
.LBB328_549:                            ;   in Loop: Header=BB328_9 Depth=1
	s_or_b64 exec, exec, s[26:27]
	v_lshrrev_b32_e32 v16, 16, v8
	v_mov_b32_e32 v2, 0
	v_cmp_ne_u16_sdwa s[28:29], v16, v2 src0_sel:BYTE_0 src1_sel:DWORD
	s_and_saveexec_b64 s[26:27], s[28:29]
	s_cbranch_execz .LBB328_555
; %bb.550:                              ;   in Loop: Header=BB328_9 Depth=1
	v_cmp_ne_u16_sdwa s[40:41], v16, s21 src0_sel:BYTE_0 src1_sel:DWORD
	v_bfrev_b32_e32 v5, 1
	s_and_saveexec_b64 s[28:29], s[40:41]
	s_cbranch_execz .LBB328_554
; %bb.551:                              ;   in Loop: Header=BB328_9 Depth=1
	v_bfe_u32 v2, v8, 16, 7
	v_cmp_ne_u32_e32 vcc, s42, v2
	v_mov_b32_e32 v5, 0x7f800001
	s_and_saveexec_b64 s[40:41], vcc
	s_cbranch_execz .LBB328_553
; %bb.552:                              ;   in Loop: Header=BB328_9 Depth=1
	v_and_b32_e32 v5, 7, v16
	v_lshrrev_b32_e32 v7, 3, v2
	v_cmp_gt_u32_e32 vcc, 8, v2
	v_ffbh_u32_e32 v2, v5
	v_min_u32_e32 v9, 32, v2
	v_subrev_u32_e32 v2, 28, v9
	v_lshlrev_b64 v[2:3], v2, v[16:17]
	v_sub_u32_e32 v3, 29, v9
	v_and_b32_e32 v2, 7, v2
	v_cndmask_b32_e32 v3, v7, v3, vcc
	v_cndmask_b32_e32 v2, v5, v2, vcc
	v_lshlrev_b32_e32 v5, 24, v16
	v_bfrev_b32_e32 v7, 60
	v_lshlrev_b32_e32 v2, 20, v2
	v_and_b32_e32 v5, 0x80000000, v5
	v_lshl_add_u32 v3, v3, 23, v7
	v_or3_b32 v5, v5, v3, v2
.LBB328_553:                            ;   in Loop: Header=BB328_9 Depth=1
	s_or_b64 exec, exec, s[40:41]
.LBB328_554:                            ;   in Loop: Header=BB328_9 Depth=1
	s_or_b64 exec, exec, s[28:29]
.LBB328_555:                            ;   in Loop: Header=BB328_9 Depth=1
	s_or_b64 exec, exec, s[26:27]
	v_cmp_lt_u32_e32 vcc, s43, v8
	v_mov_b32_e32 v33, 0
	v_mov_b32_e32 v37, 0
	s_and_saveexec_b64 s[26:27], vcc
	s_cbranch_execz .LBB328_561
; %bb.556:                              ;   in Loop: Header=BB328_9 Depth=1
	v_lshrrev_b32_e32 v16, 24, v8
	v_cmp_ne_u32_e32 vcc, s21, v16
	v_bfrev_b32_e32 v37, 1
	s_and_saveexec_b64 s[28:29], vcc
	s_cbranch_execz .LBB328_560
; %bb.557:                              ;   in Loop: Header=BB328_9 Depth=1
	v_bfe_u32 v2, v8, 24, 7
	v_cmp_ne_u32_e32 vcc, s42, v2
	v_mov_b32_e32 v37, 0x7f800001
	s_and_saveexec_b64 s[40:41], vcc
	s_cbranch_execz .LBB328_559
; %bb.558:                              ;   in Loop: Header=BB328_9 Depth=1
	v_and_b32_e32 v7, 7, v16
	v_lshrrev_b32_e32 v8, 3, v2
	v_cmp_gt_u32_e32 vcc, 8, v2
	v_ffbh_u32_e32 v2, v7
	v_min_u32_e32 v9, 32, v2
	v_subrev_u32_e32 v2, 28, v9
	v_lshlrev_b64 v[2:3], v2, v[16:17]
	v_sub_u32_e32 v3, 29, v9
	v_and_b32_e32 v2, 7, v2
	v_cndmask_b32_e32 v3, v8, v3, vcc
	v_cndmask_b32_e32 v2, v7, v2, vcc
	v_lshlrev_b32_e32 v7, 24, v16
	v_bfrev_b32_e32 v8, 60
	v_lshlrev_b32_e32 v2, 20, v2
	v_and_b32_e32 v7, 0x80000000, v7
	v_lshl_add_u32 v3, v3, 23, v8
	v_or3_b32 v37, v7, v3, v2
.LBB328_559:                            ;   in Loop: Header=BB328_9 Depth=1
	s_or_b64 exec, exec, s[40:41]
.LBB328_560:                            ;   in Loop: Header=BB328_9 Depth=1
	s_or_b64 exec, exec, s[28:29]
.LBB328_561:                            ;   in Loop: Header=BB328_9 Depth=1
	s_or_b64 exec, exec, s[26:27]
	buffer_load_dword v2, off, s[0:3], s32 offset:72 ; 4-byte Folded Reload
	s_waitcnt vmcnt(0)
	v_add_co_u32_e32 v0, vcc, v0, v2
	v_addc_co_u32_e32 v1, vcc, 0, v1, vcc
	flat_load_dword v8, v[0:1]
	v_mov_b32_e32 v0, 0
	s_waitcnt vmcnt(0) lgkmcnt(0)
	v_cmp_ne_u16_sdwa s[28:29], v8, v0 src0_sel:BYTE_0 src1_sel:DWORD
	s_and_saveexec_b64 s[26:27], s[28:29]
	s_cbranch_execz .LBB328_567
; %bb.562:                              ;   in Loop: Header=BB328_9 Depth=1
	v_cmp_ne_u16_sdwa s[40:41], v8, s21 src0_sel:BYTE_0 src1_sel:DWORD
	v_bfrev_b32_e32 v33, 1
	s_and_saveexec_b64 s[28:29], s[40:41]
	s_cbranch_execz .LBB328_566
; %bb.563:                              ;   in Loop: Header=BB328_9 Depth=1
	v_and_b32_e32 v0, 0x7f, v8
	v_cmp_ne_u32_e32 vcc, s42, v0
	v_mov_b32_e32 v33, 0x7f800001
	s_and_saveexec_b64 s[40:41], vcc
	s_cbranch_execz .LBB328_565
; %bb.564:                              ;   in Loop: Header=BB328_9 Depth=1
	v_and_b32_e32 v2, 7, v8
	v_lshrrev_b32_e32 v3, 3, v0
	v_cmp_gt_u32_e32 vcc, 8, v0
	v_ffbh_u32_e32 v0, v2
	v_min_u32_e32 v7, 32, v0
	v_subrev_u32_e32 v0, 28, v7
	v_lshlrev_b64 v[0:1], v0, v[8:9]
	v_sub_u32_e32 v1, 29, v7
	v_and_b32_e32 v0, 7, v0
	v_cndmask_b32_e32 v1, v3, v1, vcc
	v_cndmask_b32_e32 v0, v2, v0, vcc
	v_lshlrev_b32_e32 v2, 24, v8
	v_bfrev_b32_e32 v3, 60
	v_lshlrev_b32_e32 v0, 20, v0
	v_and_b32_e32 v2, 0x80000000, v2
	v_lshl_add_u32 v1, v1, 23, v3
	v_or3_b32 v33, v2, v1, v0
.LBB328_565:                            ;   in Loop: Header=BB328_9 Depth=1
	s_or_b64 exec, exec, s[40:41]
.LBB328_566:                            ;   in Loop: Header=BB328_9 Depth=1
	s_or_b64 exec, exec, s[28:29]
.LBB328_567:                            ;   in Loop: Header=BB328_9 Depth=1
	s_or_b64 exec, exec, s[26:27]
	v_lshrrev_b16_e32 v16, 8, v8
	v_cmp_ne_u16_e32 vcc, 0, v16
	v_mov_b32_e32 v62, 0
	v_mov_b32_e32 v13, 0
	s_and_saveexec_b64 s[26:27], vcc
	s_cbranch_execz .LBB328_573
; %bb.568:                              ;   in Loop: Header=BB328_9 Depth=1
	v_cmp_ne_u16_e32 vcc, s21, v16
	v_bfrev_b32_e32 v13, 1
	s_and_saveexec_b64 s[28:29], vcc
	s_cbranch_execz .LBB328_572
; %bb.569:                              ;   in Loop: Header=BB328_9 Depth=1
	v_and_b32_e32 v0, 0x7f, v16
	v_cmp_ne_u32_e32 vcc, s42, v0
	v_mov_b32_e32 v13, 0x7f800001
	s_and_saveexec_b64 s[40:41], vcc
	s_cbranch_execz .LBB328_571
; %bb.570:                              ;   in Loop: Header=BB328_9 Depth=1
	v_and_b32_e32 v2, 7, v16
	v_lshrrev_b32_e32 v3, 3, v0
	v_cmp_gt_u32_e32 vcc, 8, v0
	v_ffbh_u32_e32 v0, v2
	v_min_u32_e32 v7, 32, v0
	v_subrev_u32_e32 v0, 28, v7
	v_lshlrev_b64 v[0:1], v0, v[16:17]
	v_sub_u32_e32 v1, 29, v7
	v_and_b32_e32 v0, 7, v0
	v_cndmask_b32_e32 v1, v3, v1, vcc
	v_cndmask_b32_e32 v0, v2, v0, vcc
	v_lshlrev_b32_e32 v2, 16, v8
	v_bfrev_b32_e32 v3, 60
	v_lshlrev_b32_e32 v0, 20, v0
	v_and_b32_e32 v2, 0x80000000, v2
	v_lshl_add_u32 v1, v1, 23, v3
	v_or3_b32 v13, v2, v1, v0
.LBB328_571:                            ;   in Loop: Header=BB328_9 Depth=1
	s_or_b64 exec, exec, s[40:41]
.LBB328_572:                            ;   in Loop: Header=BB328_9 Depth=1
	s_or_b64 exec, exec, s[28:29]
.LBB328_573:                            ;   in Loop: Header=BB328_9 Depth=1
	s_or_b64 exec, exec, s[26:27]
	v_lshrrev_b32_e32 v16, 16, v8
	v_mov_b32_e32 v0, 0
	v_cmp_ne_u16_sdwa s[28:29], v16, v0 src0_sel:BYTE_0 src1_sel:DWORD
	s_and_saveexec_b64 s[26:27], s[28:29]
	s_cbranch_execz .LBB328_579
; %bb.574:                              ;   in Loop: Header=BB328_9 Depth=1
	v_cmp_ne_u16_sdwa s[40:41], v16, s21 src0_sel:BYTE_0 src1_sel:DWORD
	v_bfrev_b32_e32 v62, 1
	s_and_saveexec_b64 s[28:29], s[40:41]
	s_cbranch_execz .LBB328_578
; %bb.575:                              ;   in Loop: Header=BB328_9 Depth=1
	v_bfe_u32 v0, v8, 16, 7
	v_cmp_ne_u32_e32 vcc, s42, v0
	v_mov_b32_e32 v62, 0x7f800001
	s_and_saveexec_b64 s[40:41], vcc
	s_cbranch_execz .LBB328_577
; %bb.576:                              ;   in Loop: Header=BB328_9 Depth=1
	v_and_b32_e32 v2, 7, v16
	v_lshrrev_b32_e32 v3, 3, v0
	v_cmp_gt_u32_e32 vcc, 8, v0
	v_ffbh_u32_e32 v0, v2
	v_min_u32_e32 v7, 32, v0
	v_subrev_u32_e32 v0, 28, v7
	v_lshlrev_b64 v[0:1], v0, v[16:17]
	v_sub_u32_e32 v1, 29, v7
	v_and_b32_e32 v0, 7, v0
	v_cndmask_b32_e32 v1, v3, v1, vcc
	v_cndmask_b32_e32 v0, v2, v0, vcc
	v_lshlrev_b32_e32 v2, 24, v16
	v_bfrev_b32_e32 v3, 60
	v_lshlrev_b32_e32 v0, 20, v0
	v_and_b32_e32 v2, 0x80000000, v2
	v_lshl_add_u32 v1, v1, 23, v3
	v_or3_b32 v62, v2, v1, v0
.LBB328_577:                            ;   in Loop: Header=BB328_9 Depth=1
	s_or_b64 exec, exec, s[40:41]
.LBB328_578:                            ;   in Loop: Header=BB328_9 Depth=1
	s_or_b64 exec, exec, s[28:29]
.LBB328_579:                            ;   in Loop: Header=BB328_9 Depth=1
	s_or_b64 exec, exec, s[26:27]
	v_cmp_lt_u32_e32 vcc, s43, v8
	v_mov_b32_e32 v1, 0
	v_mov_b32_e32 v18, 0
	s_and_saveexec_b64 s[26:27], vcc
	s_cbranch_execz .LBB328_585
; %bb.580:                              ;   in Loop: Header=BB328_9 Depth=1
	v_lshrrev_b32_e32 v16, 24, v8
	v_cmp_ne_u32_e32 vcc, s21, v16
	v_bfrev_b32_e32 v18, 1
	s_and_saveexec_b64 s[28:29], vcc
	s_cbranch_execz .LBB328_584
; %bb.581:                              ;   in Loop: Header=BB328_9 Depth=1
	v_bfe_u32 v0, v8, 24, 7
	v_cmp_ne_u32_e32 vcc, s42, v0
	v_mov_b32_e32 v18, 0x7f800001
	s_and_saveexec_b64 s[40:41], vcc
	s_cbranch_execz .LBB328_583
; %bb.582:                              ;   in Loop: Header=BB328_9 Depth=1
	v_and_b32_e32 v7, 7, v16
	v_lshrrev_b32_e32 v8, 3, v0
	v_cmp_gt_u32_e32 vcc, 8, v0
	v_ffbh_u32_e32 v0, v7
	v_min_u32_e32 v0, 32, v0
	v_subrev_u32_e32 v2, 28, v0
	v_lshlrev_b64 v[2:3], v2, v[16:17]
	v_sub_u32_e32 v0, 29, v0
	v_and_b32_e32 v2, 7, v2
	v_cndmask_b32_e32 v0, v8, v0, vcc
	v_cndmask_b32_e32 v2, v7, v2, vcc
	v_lshlrev_b32_e32 v3, 24, v16
	v_bfrev_b32_e32 v7, 60
	v_lshlrev_b32_e32 v2, 20, v2
	v_and_b32_e32 v3, 0x80000000, v3
	v_lshl_add_u32 v0, v0, 23, v7
	v_or3_b32 v18, v3, v0, v2
.LBB328_583:                            ;   in Loop: Header=BB328_9 Depth=1
	s_or_b64 exec, exec, s[40:41]
.LBB328_584:                            ;   in Loop: Header=BB328_9 Depth=1
	s_or_b64 exec, exec, s[28:29]
.LBB328_585:                            ;   in Loop: Header=BB328_9 Depth=1
	s_or_b64 exec, exec, s[26:27]
	buffer_load_dword v2, off, s[0:3], s32 offset:64 ; 4-byte Folded Reload
	v_add_co_u32_e32 v0, vcc, 0x1800, v14
	v_addc_co_u32_e32 v7, vcc, 0, v15, vcc
	s_waitcnt vmcnt(0)
	v_add_co_u32_e32 v2, vcc, v0, v2
	v_addc_co_u32_e32 v3, vcc, 0, v7, vcc
	flat_load_dword v8, v[2:3]
	v_mov_b32_e32 v2, 0
	s_waitcnt vmcnt(0) lgkmcnt(0)
	v_cmp_ne_u16_sdwa s[28:29], v8, v2 src0_sel:BYTE_0 src1_sel:DWORD
	s_and_saveexec_b64 s[26:27], s[28:29]
	s_cbranch_execz .LBB328_591
; %bb.586:                              ;   in Loop: Header=BB328_9 Depth=1
	v_cmp_ne_u16_sdwa s[40:41], v8, s21 src0_sel:BYTE_0 src1_sel:DWORD
	v_bfrev_b32_e32 v1, 1
	s_and_saveexec_b64 s[28:29], s[40:41]
	s_cbranch_execz .LBB328_590
; %bb.587:                              ;   in Loop: Header=BB328_9 Depth=1
	v_and_b32_e32 v2, 0x7f, v8
	v_cmp_ne_u32_e32 vcc, s42, v2
	v_mov_b32_e32 v1, 0x7f800001
	s_and_saveexec_b64 s[40:41], vcc
	s_cbranch_execz .LBB328_589
; %bb.588:                              ;   in Loop: Header=BB328_9 Depth=1
	v_and_b32_e32 v3, 7, v8
	v_ffbh_u32_e32 v1, v3
	v_min_u32_e32 v10, 32, v1
	v_lshrrev_b32_e32 v9, 3, v2
	v_subrev_u32_e32 v1, 28, v10
	v_cmp_gt_u32_e32 vcc, 8, v2
	v_lshlrev_b64 v[1:2], v1, v[8:9]
	v_sub_u32_e32 v2, 29, v10
	v_and_b32_e32 v1, 7, v1
	v_cndmask_b32_e32 v2, v9, v2, vcc
	v_cndmask_b32_e32 v1, v3, v1, vcc
	v_lshlrev_b32_e32 v3, 24, v8
	v_bfrev_b32_e32 v9, 60
	v_lshlrev_b32_e32 v1, 20, v1
	v_and_b32_e32 v3, 0x80000000, v3
	v_lshl_add_u32 v2, v2, 23, v9
	v_or3_b32 v1, v3, v2, v1
.LBB328_589:                            ;   in Loop: Header=BB328_9 Depth=1
	s_or_b64 exec, exec, s[40:41]
.LBB328_590:                            ;   in Loop: Header=BB328_9 Depth=1
	s_or_b64 exec, exec, s[28:29]
.LBB328_591:                            ;   in Loop: Header=BB328_9 Depth=1
	s_or_b64 exec, exec, s[26:27]
	v_lshrrev_b16_e32 v16, 8, v8
	v_cmp_ne_u16_e32 vcc, 0, v16
	v_mov_b32_e32 v30, 0
	v_mov_b32_e32 v3, 0
	s_and_saveexec_b64 s[26:27], vcc
	s_cbranch_execz .LBB328_597
; %bb.592:                              ;   in Loop: Header=BB328_9 Depth=1
	v_cmp_ne_u16_e32 vcc, s21, v16
	v_bfrev_b32_e32 v3, 1
	s_and_saveexec_b64 s[28:29], vcc
	s_cbranch_execz .LBB328_596
; %bb.593:                              ;   in Loop: Header=BB328_9 Depth=1
	v_and_b32_e32 v2, 0x7f, v16
	v_cmp_ne_u32_e32 vcc, s42, v2
	v_mov_b32_e32 v3, 0x7f800001
	s_and_saveexec_b64 s[40:41], vcc
	s_cbranch_execz .LBB328_595
; %bb.594:                              ;   in Loop: Header=BB328_9 Depth=1
	v_and_b32_e32 v9, 7, v16
	v_lshrrev_b32_e32 v10, 3, v2
	v_cmp_gt_u32_e32 vcc, 8, v2
	v_ffbh_u32_e32 v2, v9
	v_min_u32_e32 v12, 32, v2
	v_subrev_u32_e32 v2, 28, v12
	v_lshlrev_b64 v[2:3], v2, v[16:17]
	v_sub_u32_e32 v3, 29, v12
	v_and_b32_e32 v2, 7, v2
	v_cndmask_b32_e32 v3, v10, v3, vcc
	v_cndmask_b32_e32 v2, v9, v2, vcc
	v_lshlrev_b32_e32 v9, 16, v8
	v_bfrev_b32_e32 v10, 60
	v_lshlrev_b32_e32 v2, 20, v2
	v_and_b32_e32 v9, 0x80000000, v9
	v_lshl_add_u32 v3, v3, 23, v10
	v_or3_b32 v3, v9, v3, v2
.LBB328_595:                            ;   in Loop: Header=BB328_9 Depth=1
	s_or_b64 exec, exec, s[40:41]
.LBB328_596:                            ;   in Loop: Header=BB328_9 Depth=1
	s_or_b64 exec, exec, s[28:29]
.LBB328_597:                            ;   in Loop: Header=BB328_9 Depth=1
	s_or_b64 exec, exec, s[26:27]
	v_lshrrev_b32_e32 v16, 16, v8
	v_mov_b32_e32 v2, 0
	v_cmp_ne_u16_sdwa s[28:29], v16, v2 src0_sel:BYTE_0 src1_sel:DWORD
	s_and_saveexec_b64 s[26:27], s[28:29]
	s_cbranch_execz .LBB328_603
; %bb.598:                              ;   in Loop: Header=BB328_9 Depth=1
	v_cmp_ne_u16_sdwa s[40:41], v16, s21 src0_sel:BYTE_0 src1_sel:DWORD
	v_bfrev_b32_e32 v30, 1
	s_and_saveexec_b64 s[28:29], s[40:41]
	s_cbranch_execz .LBB328_602
; %bb.599:                              ;   in Loop: Header=BB328_9 Depth=1
	v_bfe_u32 v2, v8, 16, 7
	v_cmp_ne_u32_e32 vcc, s42, v2
	v_mov_b32_e32 v30, 0x7f800001
	s_and_saveexec_b64 s[40:41], vcc
	s_cbranch_execz .LBB328_601
; %bb.600:                              ;   in Loop: Header=BB328_9 Depth=1
	v_and_b32_e32 v12, 7, v16
	v_lshrrev_b32_e32 v17, 3, v2
	v_cmp_gt_u32_e32 vcc, 8, v2
	v_ffbh_u32_e32 v2, v12
	v_min_u32_e32 v2, 32, v2
	v_subrev_u32_e32 v9, 28, v2
	v_lshlrev_b64 v[9:10], v9, v[16:17]
	v_sub_u32_e32 v2, 29, v2
	v_and_b32_e32 v9, 7, v9
	v_cndmask_b32_e32 v2, v17, v2, vcc
	v_cndmask_b32_e32 v9, v12, v9, vcc
	v_lshlrev_b32_e32 v10, 24, v16
	v_bfrev_b32_e32 v12, 60
	v_lshlrev_b32_e32 v9, 20, v9
	v_and_b32_e32 v10, 0x80000000, v10
	v_lshl_add_u32 v2, v2, 23, v12
	v_or3_b32 v30, v10, v2, v9
.LBB328_601:                            ;   in Loop: Header=BB328_9 Depth=1
	s_or_b64 exec, exec, s[40:41]
.LBB328_602:                            ;   in Loop: Header=BB328_9 Depth=1
	s_or_b64 exec, exec, s[28:29]
.LBB328_603:                            ;   in Loop: Header=BB328_9 Depth=1
	s_or_b64 exec, exec, s[26:27]
	v_cmp_lt_u32_e32 vcc, s43, v8
	v_mov_b32_e32 v19, 0
	v_mov_b32_e32 v2, 0
	s_and_saveexec_b64 s[26:27], vcc
	s_cbranch_execz .LBB328_609
; %bb.604:                              ;   in Loop: Header=BB328_9 Depth=1
	v_lshrrev_b32_e32 v16, 24, v8
	v_cmp_ne_u32_e32 vcc, s21, v16
	v_bfrev_b32_e32 v2, 1
	s_and_saveexec_b64 s[28:29], vcc
	s_cbranch_execz .LBB328_608
; %bb.605:                              ;   in Loop: Header=BB328_9 Depth=1
	v_bfe_u32 v8, v8, 24, 7
	v_cmp_ne_u32_e32 vcc, s42, v8
	v_mov_b32_e32 v2, 0x7f800001
	s_and_saveexec_b64 s[40:41], vcc
	s_cbranch_execz .LBB328_607
; %bb.606:                              ;   in Loop: Header=BB328_9 Depth=1
	v_and_b32_e32 v2, 7, v16
	v_lshrrev_b32_e32 v10, 3, v8
	v_cmp_gt_u32_e32 vcc, 8, v8
	v_ffbh_u32_e32 v8, v2
	v_min_u32_e32 v12, 32, v8
	v_subrev_u32_e32 v8, 28, v12
	v_lshlrev_b64 v[8:9], v8, v[16:17]
	v_sub_u32_e32 v9, 29, v12
	v_and_b32_e32 v8, 7, v8
	v_cndmask_b32_e32 v9, v10, v9, vcc
	v_cndmask_b32_e32 v2, v2, v8, vcc
	v_lshlrev_b32_e32 v8, 24, v16
	v_bfrev_b32_e32 v10, 60
	v_lshlrev_b32_e32 v2, 20, v2
	v_and_b32_e32 v8, 0x80000000, v8
	v_lshl_add_u32 v9, v9, 23, v10
	v_or3_b32 v2, v8, v9, v2
.LBB328_607:                            ;   in Loop: Header=BB328_9 Depth=1
	s_or_b64 exec, exec, s[40:41]
.LBB328_608:                            ;   in Loop: Header=BB328_9 Depth=1
	s_or_b64 exec, exec, s[28:29]
.LBB328_609:                            ;   in Loop: Header=BB328_9 Depth=1
	s_or_b64 exec, exec, s[26:27]
	buffer_load_dword v8, off, s[0:3], s32 offset:72 ; 4-byte Folded Reload
	s_waitcnt vmcnt(0)
	v_add_co_u32_e32 v8, vcc, v0, v8
	v_addc_co_u32_e32 v9, vcc, 0, v7, vcc
	flat_load_dword v8, v[8:9]
	v_mov_b32_e32 v0, 0
	s_waitcnt vmcnt(0) lgkmcnt(0)
	v_cmp_ne_u16_sdwa s[28:29], v8, v0 src0_sel:BYTE_0 src1_sel:DWORD
	s_and_saveexec_b64 s[26:27], s[28:29]
	s_cbranch_execz .LBB328_615
; %bb.610:                              ;   in Loop: Header=BB328_9 Depth=1
	v_cmp_ne_u16_sdwa s[40:41], v8, s21 src0_sel:BYTE_0 src1_sel:DWORD
	v_bfrev_b32_e32 v19, 1
	s_and_saveexec_b64 s[28:29], s[40:41]
	s_cbranch_execz .LBB328_614
; %bb.611:                              ;   in Loop: Header=BB328_9 Depth=1
	v_and_b32_e32 v0, 0x7f, v8
	v_cmp_ne_u32_e32 vcc, s42, v0
	v_mov_b32_e32 v19, 0x7f800001
	s_and_saveexec_b64 s[40:41], vcc
	s_cbranch_execz .LBB328_613
; %bb.612:                              ;   in Loop: Header=BB328_9 Depth=1
	v_and_b32_e32 v7, 7, v8
	v_lshrrev_b32_e32 v12, 3, v0
	v_cmp_gt_u32_e32 vcc, 8, v0
	v_ffbh_u32_e32 v0, v7
	v_min_u32_e32 v0, 32, v0
	v_subrev_u32_e32 v9, 28, v0
	v_lshlrev_b64 v[9:10], v9, v[8:9]
	v_sub_u32_e32 v0, 29, v0
	v_and_b32_e32 v9, 7, v9
	v_cndmask_b32_e32 v0, v12, v0, vcc
	v_cndmask_b32_e32 v7, v7, v9, vcc
	v_lshlrev_b32_e32 v9, 24, v8
	v_bfrev_b32_e32 v10, 60
	v_lshlrev_b32_e32 v7, 20, v7
	v_and_b32_e32 v9, 0x80000000, v9
	v_lshl_add_u32 v0, v0, 23, v10
	v_or3_b32 v19, v9, v0, v7
.LBB328_613:                            ;   in Loop: Header=BB328_9 Depth=1
	s_or_b64 exec, exec, s[40:41]
.LBB328_614:                            ;   in Loop: Header=BB328_9 Depth=1
	s_or_b64 exec, exec, s[28:29]
.LBB328_615:                            ;   in Loop: Header=BB328_9 Depth=1
	s_or_b64 exec, exec, s[26:27]
	v_lshrrev_b16_e32 v16, 8, v8
	v_cmp_ne_u16_e32 vcc, 0, v16
	v_mov_b32_e32 v17, 0
	v_mov_b32_e32 v0, 0
	s_and_saveexec_b64 s[26:27], vcc
	s_cbranch_execz .LBB328_621
; %bb.616:                              ;   in Loop: Header=BB328_9 Depth=1
	v_cmp_ne_u16_e32 vcc, s21, v16
	v_bfrev_b32_e32 v0, 1
	s_and_saveexec_b64 s[28:29], vcc
	s_cbranch_execz .LBB328_620
; %bb.617:                              ;   in Loop: Header=BB328_9 Depth=1
	v_and_b32_e32 v7, 0x7f, v16
	v_cmp_ne_u32_e32 vcc, s42, v7
	v_mov_b32_e32 v0, 0x7f800001
	s_and_saveexec_b64 s[40:41], vcc
	s_cbranch_execz .LBB328_619
; %bb.618:                              ;   in Loop: Header=BB328_9 Depth=1
	v_and_b32_e32 v0, 7, v16
	v_lshrrev_b32_e32 v12, 3, v7
	v_cmp_gt_u32_e32 vcc, 8, v7
	v_ffbh_u32_e32 v7, v0
	v_min_u32_e32 v7, 32, v7
	v_subrev_u32_e32 v9, 28, v7
	v_lshlrev_b64 v[9:10], v9, v[16:17]
	v_sub_u32_e32 v7, 29, v7
	v_and_b32_e32 v9, 7, v9
	v_cndmask_b32_e32 v7, v12, v7, vcc
	v_cndmask_b32_e32 v0, v0, v9, vcc
	v_lshlrev_b32_e32 v9, 16, v8
	v_bfrev_b32_e32 v10, 60
	v_lshlrev_b32_e32 v0, 20, v0
	v_and_b32_e32 v9, 0x80000000, v9
	v_lshl_add_u32 v7, v7, 23, v10
	v_or3_b32 v0, v9, v7, v0
.LBB328_619:                            ;   in Loop: Header=BB328_9 Depth=1
	s_or_b64 exec, exec, s[40:41]
.LBB328_620:                            ;   in Loop: Header=BB328_9 Depth=1
	s_or_b64 exec, exec, s[28:29]
.LBB328_621:                            ;   in Loop: Header=BB328_9 Depth=1
	s_or_b64 exec, exec, s[26:27]
	v_lshrrev_b32_e32 v16, 16, v8
	v_mov_b32_e32 v7, 0
	v_cmp_ne_u16_sdwa s[28:29], v16, v7 src0_sel:BYTE_0 src1_sel:DWORD
	s_and_saveexec_b64 s[26:27], s[28:29]
	s_cbranch_execz .LBB328_627
; %bb.622:                              ;   in Loop: Header=BB328_9 Depth=1
	v_cmp_ne_u16_sdwa s[40:41], v16, s21 src0_sel:BYTE_0 src1_sel:DWORD
	v_bfrev_b32_e32 v17, 1
	s_and_saveexec_b64 s[28:29], s[40:41]
	s_cbranch_execz .LBB328_626
; %bb.623:                              ;   in Loop: Header=BB328_9 Depth=1
	v_bfe_u32 v7, v8, 16, 7
	v_cmp_ne_u32_e32 vcc, s42, v7
	v_mov_b32_e32 v17, 0x7f800001
	s_and_saveexec_b64 s[40:41], vcc
	s_cbranch_execz .LBB328_625
; %bb.624:                              ;   in Loop: Header=BB328_9 Depth=1
	v_and_b32_e32 v12, 7, v16
	v_lshrrev_b32_e32 v17, 3, v7
	v_cmp_gt_u32_e32 vcc, 8, v7
	v_ffbh_u32_e32 v7, v12
	v_min_u32_e32 v7, 32, v7
	v_subrev_u32_e32 v9, 28, v7
	v_lshlrev_b64 v[9:10], v9, v[16:17]
	v_sub_u32_e32 v7, 29, v7
	v_and_b32_e32 v9, 7, v9
	v_cndmask_b32_e32 v7, v17, v7, vcc
	v_cndmask_b32_e32 v9, v12, v9, vcc
	v_lshlrev_b32_e32 v10, 24, v16
	v_bfrev_b32_e32 v12, 60
	v_lshlrev_b32_e32 v9, 20, v9
	v_and_b32_e32 v10, 0x80000000, v10
	v_lshl_add_u32 v7, v7, 23, v12
	v_or3_b32 v17, v10, v7, v9
.LBB328_625:                            ;   in Loop: Header=BB328_9 Depth=1
	s_or_b64 exec, exec, s[40:41]
.LBB328_626:                            ;   in Loop: Header=BB328_9 Depth=1
	s_or_b64 exec, exec, s[28:29]
.LBB328_627:                            ;   in Loop: Header=BB328_9 Depth=1
	s_or_b64 exec, exec, s[26:27]
	v_cmp_lt_u32_e32 vcc, s43, v8
	v_mov_b32_e32 v40, 0
	v_mov_b32_e32 v22, 0
	s_and_saveexec_b64 s[26:27], vcc
	s_cbranch_execz .LBB328_633
; %bb.628:                              ;   in Loop: Header=BB328_9 Depth=1
	v_lshrrev_b32_e32 v16, 24, v8
	v_cmp_ne_u32_e32 vcc, s21, v16
	v_bfrev_b32_e32 v22, 1
	s_and_saveexec_b64 s[28:29], vcc
	s_cbranch_execz .LBB328_632
; %bb.629:                              ;   in Loop: Header=BB328_9 Depth=1
	v_bfe_u32 v7, v8, 24, 7
	v_cmp_ne_u32_e32 vcc, s42, v7
	v_mov_b32_e32 v22, 0x7f800001
	s_and_saveexec_b64 s[40:41], vcc
	s_cbranch_execz .LBB328_631
; %bb.630:                              ;   in Loop: Header=BB328_9 Depth=1
	v_and_b32_e32 v9, 7, v16
	v_lshrrev_b32_e32 v10, 3, v7
	v_cmp_gt_u32_e32 vcc, 8, v7
	v_ffbh_u32_e32 v7, v9
	v_min_u32_e32 v12, 32, v7
	v_subrev_u32_e32 v7, 28, v12
	v_lshlrev_b64 v[7:8], v7, v[16:17]
	v_sub_u32_e32 v8, 29, v12
	v_and_b32_e32 v7, 7, v7
	v_cndmask_b32_e32 v8, v10, v8, vcc
	v_cndmask_b32_e32 v7, v9, v7, vcc
	v_lshlrev_b32_e32 v9, 24, v16
	v_bfrev_b32_e32 v10, 60
	v_lshlrev_b32_e32 v7, 20, v7
	v_and_b32_e32 v9, 0x80000000, v9
	v_lshl_add_u32 v8, v8, 23, v10
	v_or3_b32 v22, v9, v8, v7
.LBB328_631:                            ;   in Loop: Header=BB328_9 Depth=1
	s_or_b64 exec, exec, s[40:41]
.LBB328_632:                            ;   in Loop: Header=BB328_9 Depth=1
	s_or_b64 exec, exec, s[28:29]
.LBB328_633:                            ;   in Loop: Header=BB328_9 Depth=1
	s_or_b64 exec, exec, s[26:27]
	buffer_load_dword v8, off, s[0:3], s32 offset:64 ; 4-byte Folded Reload
	v_add_co_u32_e32 v7, vcc, 0x1a00, v14
	v_addc_co_u32_e32 v10, vcc, 0, v15, vcc
	s_waitcnt vmcnt(0)
	v_add_co_u32_e32 v8, vcc, v7, v8
	v_addc_co_u32_e32 v9, vcc, 0, v10, vcc
	flat_load_dword v8, v[8:9]
	v_mov_b32_e32 v9, 0
	s_waitcnt vmcnt(0) lgkmcnt(0)
	v_cmp_ne_u16_sdwa s[28:29], v8, v9 src0_sel:BYTE_0 src1_sel:DWORD
	s_and_saveexec_b64 s[26:27], s[28:29]
	s_cbranch_execz .LBB328_639
; %bb.634:                              ;   in Loop: Header=BB328_9 Depth=1
	v_cmp_ne_u16_sdwa s[40:41], v8, s21 src0_sel:BYTE_0 src1_sel:DWORD
	v_bfrev_b32_e32 v40, 1
	s_and_saveexec_b64 s[28:29], s[40:41]
	s_cbranch_execz .LBB328_638
; %bb.635:                              ;   in Loop: Header=BB328_9 Depth=1
	v_and_b32_e32 v9, 0x7f, v8
	v_cmp_ne_u32_e32 vcc, s42, v9
	v_mov_b32_e32 v40, 0x7f800001
	s_and_saveexec_b64 s[40:41], vcc
	s_cbranch_execz .LBB328_637
; %bb.636:                              ;   in Loop: Header=BB328_9 Depth=1
	v_and_b32_e32 v12, 7, v8
	v_lshrrev_b32_e32 v16, 3, v9
	v_cmp_gt_u32_e32 vcc, 8, v9
	v_ffbh_u32_e32 v9, v12
	v_min_u32_e32 v9, 32, v9
	v_subrev_u32_e32 v20, 28, v9
	v_lshlrev_b64 v[38:39], v20, v[8:9]
	v_sub_u32_e32 v9, 29, v9
	v_and_b32_e32 v20, 7, v38
	v_cndmask_b32_e32 v9, v16, v9, vcc
	v_cndmask_b32_e32 v12, v12, v20, vcc
	v_lshlrev_b32_e32 v16, 24, v8
	v_bfrev_b32_e32 v20, 60
	v_lshlrev_b32_e32 v12, 20, v12
	v_and_b32_e32 v16, 0x80000000, v16
	v_lshl_add_u32 v9, v9, 23, v20
	v_or3_b32 v40, v16, v9, v12
.LBB328_637:                            ;   in Loop: Header=BB328_9 Depth=1
	s_or_b64 exec, exec, s[40:41]
.LBB328_638:                            ;   in Loop: Header=BB328_9 Depth=1
	s_or_b64 exec, exec, s[28:29]
.LBB328_639:                            ;   in Loop: Header=BB328_9 Depth=1
	s_or_b64 exec, exec, s[26:27]
	v_lshrrev_b16_e32 v16, 8, v8
	v_cmp_ne_u16_e32 vcc, 0, v16
	v_mov_b32_e32 v20, 0
	v_mov_b32_e32 v43, 0
	s_and_saveexec_b64 s[26:27], vcc
	s_cbranch_execz .LBB328_645
; %bb.640:                              ;   in Loop: Header=BB328_9 Depth=1
	v_cmp_ne_u16_e32 vcc, s21, v16
	v_bfrev_b32_e32 v43, 1
	s_and_saveexec_b64 s[28:29], vcc
	s_cbranch_execz .LBB328_644
; %bb.641:                              ;   in Loop: Header=BB328_9 Depth=1
	v_and_b32_e32 v9, 0x7f, v16
	v_cmp_ne_u32_e32 vcc, s42, v9
	v_mov_b32_e32 v43, 0x7f800001
	s_and_saveexec_b64 s[40:41], vcc
	s_cbranch_execz .LBB328_643
; %bb.642:                              ;   in Loop: Header=BB328_9 Depth=1
	v_and_b32_e32 v12, 7, v16
	v_lshrrev_b32_e32 v23, 3, v9
	v_cmp_gt_u32_e32 vcc, 8, v9
	v_ffbh_u32_e32 v9, v12
	v_min_u32_e32 v9, 32, v9
	v_subrev_u32_e32 v27, 28, v9
	v_lshlrev_b64 v[38:39], v27, v[16:17]
	v_sub_u32_e32 v9, 29, v9
	v_and_b32_e32 v16, 7, v38
	v_cndmask_b32_e32 v9, v23, v9, vcc
	v_cndmask_b32_e32 v12, v12, v16, vcc
	v_lshlrev_b32_e32 v16, 16, v8
	v_bfrev_b32_e32 v21, 60
	v_lshlrev_b32_e32 v12, 20, v12
	v_and_b32_e32 v16, 0x80000000, v16
	v_lshl_add_u32 v9, v9, 23, v21
	v_or3_b32 v43, v16, v9, v12
.LBB328_643:                            ;   in Loop: Header=BB328_9 Depth=1
	s_or_b64 exec, exec, s[40:41]
.LBB328_644:                            ;   in Loop: Header=BB328_9 Depth=1
	s_or_b64 exec, exec, s[28:29]
.LBB328_645:                            ;   in Loop: Header=BB328_9 Depth=1
	s_or_b64 exec, exec, s[26:27]
	v_lshrrev_b32_e32 v16, 16, v8
	v_mov_b32_e32 v9, 0
	v_cmp_ne_u16_sdwa s[28:29], v16, v9 src0_sel:BYTE_0 src1_sel:DWORD
	s_and_saveexec_b64 s[26:27], s[28:29]
	s_cbranch_execz .LBB328_651
; %bb.646:                              ;   in Loop: Header=BB328_9 Depth=1
	v_cmp_ne_u16_sdwa s[40:41], v16, s21 src0_sel:BYTE_0 src1_sel:DWORD
	v_bfrev_b32_e32 v20, 1
	s_and_saveexec_b64 s[28:29], s[40:41]
	s_cbranch_execz .LBB328_650
; %bb.647:                              ;   in Loop: Header=BB328_9 Depth=1
	v_bfe_u32 v9, v8, 16, 7
	v_cmp_ne_u32_e32 vcc, s42, v9
	v_mov_b32_e32 v20, 0x7f800001
	s_and_saveexec_b64 s[40:41], vcc
	s_cbranch_execz .LBB328_649
; %bb.648:                              ;   in Loop: Header=BB328_9 Depth=1
	v_and_b32_e32 v12, 7, v16
	v_lshrrev_b32_e32 v20, 3, v9
	v_cmp_gt_u32_e32 vcc, 8, v9
	v_ffbh_u32_e32 v9, v12
	v_min_u32_e32 v9, 32, v9
	v_subrev_u32_e32 v23, 28, v9
	v_lshlrev_b64 v[38:39], v23, v[16:17]
	v_sub_u32_e32 v9, 29, v9
	v_and_b32_e32 v23, 7, v38
	v_cndmask_b32_e32 v9, v20, v9, vcc
	v_cndmask_b32_e32 v12, v12, v23, vcc
	v_lshlrev_b32_e32 v16, 24, v16
	v_bfrev_b32_e32 v20, 60
	v_lshlrev_b32_e32 v12, 20, v12
	v_and_b32_e32 v16, 0x80000000, v16
	v_lshl_add_u32 v9, v9, 23, v20
	v_or3_b32 v20, v16, v9, v12
.LBB328_649:                            ;   in Loop: Header=BB328_9 Depth=1
	s_or_b64 exec, exec, s[40:41]
.LBB328_650:                            ;   in Loop: Header=BB328_9 Depth=1
	s_or_b64 exec, exec, s[28:29]
.LBB328_651:                            ;   in Loop: Header=BB328_9 Depth=1
	s_or_b64 exec, exec, s[26:27]
	v_cmp_lt_u32_e32 vcc, s43, v8
	v_mov_b32_e32 v21, 0
	v_mov_b32_e32 v9, 0
	s_and_saveexec_b64 s[26:27], vcc
	s_cbranch_execz .LBB328_657
; %bb.652:                              ;   in Loop: Header=BB328_9 Depth=1
	v_lshrrev_b32_e32 v16, 24, v8
	v_cmp_ne_u32_e32 vcc, s21, v16
	v_bfrev_b32_e32 v9, 1
	s_and_saveexec_b64 s[28:29], vcc
	s_cbranch_execz .LBB328_656
; %bb.653:                              ;   in Loop: Header=BB328_9 Depth=1
	v_bfe_u32 v8, v8, 24, 7
	v_cmp_ne_u32_e32 vcc, s42, v8
	v_mov_b32_e32 v9, 0x7f800001
	s_and_saveexec_b64 s[40:41], vcc
	s_cbranch_execz .LBB328_655
; %bb.654:                              ;   in Loop: Header=BB328_9 Depth=1
	v_and_b32_e32 v12, 7, v16
	v_lshrrev_b32_e32 v23, 3, v8
	v_cmp_gt_u32_e32 vcc, 8, v8
	v_ffbh_u32_e32 v8, v12
	v_min_u32_e32 v27, 32, v8
	v_subrev_u32_e32 v8, 28, v27
	v_lshlrev_b64 v[8:9], v8, v[16:17]
	v_sub_u32_e32 v9, 29, v27
	v_and_b32_e32 v8, 7, v8
	v_cndmask_b32_e32 v9, v23, v9, vcc
	v_cndmask_b32_e32 v8, v12, v8, vcc
	v_lshlrev_b32_e32 v12, 24, v16
	v_bfrev_b32_e32 v16, 60
	v_lshlrev_b32_e32 v8, 20, v8
	v_and_b32_e32 v12, 0x80000000, v12
	v_lshl_add_u32 v9, v9, 23, v16
	v_or3_b32 v9, v12, v9, v8
.LBB328_655:                            ;   in Loop: Header=BB328_9 Depth=1
	s_or_b64 exec, exec, s[40:41]
.LBB328_656:                            ;   in Loop: Header=BB328_9 Depth=1
	s_or_b64 exec, exec, s[28:29]
.LBB328_657:                            ;   in Loop: Header=BB328_9 Depth=1
	s_or_b64 exec, exec, s[26:27]
	buffer_load_dword v8, off, s[0:3], s32 offset:72 ; 4-byte Folded Reload
	s_waitcnt vmcnt(0)
	v_add_co_u32_e32 v7, vcc, v7, v8
	v_addc_co_u32_e32 v8, vcc, 0, v10, vcc
	flat_load_dword v8, v[7:8]
	v_mov_b32_e32 v7, 0
	s_waitcnt vmcnt(0) lgkmcnt(0)
	v_cmp_ne_u16_sdwa s[28:29], v8, v7 src0_sel:BYTE_0 src1_sel:DWORD
	s_and_saveexec_b64 s[26:27], s[28:29]
	s_cbranch_execz .LBB328_663
; %bb.658:                              ;   in Loop: Header=BB328_9 Depth=1
	v_cmp_ne_u16_sdwa s[40:41], v8, s21 src0_sel:BYTE_0 src1_sel:DWORD
	v_bfrev_b32_e32 v21, 1
	s_and_saveexec_b64 s[28:29], s[40:41]
	s_cbranch_execz .LBB328_662
; %bb.659:                              ;   in Loop: Header=BB328_9 Depth=1
	v_and_b32_e32 v7, 0x7f, v8
	v_cmp_ne_u32_e32 vcc, s42, v7
	v_mov_b32_e32 v21, 0x7f800001
	s_and_saveexec_b64 s[40:41], vcc
	s_cbranch_execz .LBB328_661
; %bb.660:                              ;   in Loop: Header=BB328_9 Depth=1
	v_and_b32_e32 v10, 7, v8
	v_lshrrev_b32_e32 v12, 3, v7
	v_cmp_gt_u32_e32 vcc, 8, v7
	v_ffbh_u32_e32 v7, v10
	v_min_u32_e32 v7, 32, v7
	v_subrev_u32_e32 v16, 28, v7
	v_lshlrev_b64 v[38:39], v16, v[8:9]
	v_sub_u32_e32 v7, 29, v7
	v_and_b32_e32 v16, 7, v38
	v_cndmask_b32_e32 v7, v12, v7, vcc
	v_cndmask_b32_e32 v10, v10, v16, vcc
	v_lshlrev_b32_e32 v12, 24, v8
	v_bfrev_b32_e32 v16, 60
	v_lshlrev_b32_e32 v10, 20, v10
	v_and_b32_e32 v12, 0x80000000, v12
	v_lshl_add_u32 v7, v7, 23, v16
	v_or3_b32 v21, v12, v7, v10
.LBB328_661:                            ;   in Loop: Header=BB328_9 Depth=1
	s_or_b64 exec, exec, s[40:41]
.LBB328_662:                            ;   in Loop: Header=BB328_9 Depth=1
	s_or_b64 exec, exec, s[28:29]
.LBB328_663:                            ;   in Loop: Header=BB328_9 Depth=1
	s_or_b64 exec, exec, s[26:27]
	v_lshrrev_b16_e32 v16, 8, v8
	v_cmp_ne_u16_e32 vcc, 0, v16
	v_mov_b32_e32 v55, 0
	v_mov_b32_e32 v54, 0
	s_and_saveexec_b64 s[26:27], vcc
	s_cbranch_execz .LBB328_669
; %bb.664:                              ;   in Loop: Header=BB328_9 Depth=1
	v_cmp_ne_u16_e32 vcc, s21, v16
	v_bfrev_b32_e32 v54, 1
	s_and_saveexec_b64 s[28:29], vcc
	s_cbranch_execz .LBB328_668
; %bb.665:                              ;   in Loop: Header=BB328_9 Depth=1
	v_and_b32_e32 v7, 0x7f, v16
	v_cmp_ne_u32_e32 vcc, s42, v7
	v_mov_b32_e32 v54, 0x7f800001
	s_and_saveexec_b64 s[40:41], vcc
	s_cbranch_execz .LBB328_667
; %bb.666:                              ;   in Loop: Header=BB328_9 Depth=1
	v_and_b32_e32 v10, 7, v16
	v_lshrrev_b32_e32 v12, 3, v7
	v_cmp_gt_u32_e32 vcc, 8, v7
	v_ffbh_u32_e32 v7, v10
	v_min_u32_e32 v7, 32, v7
	v_subrev_u32_e32 v23, 28, v7
	v_lshlrev_b64 v[38:39], v23, v[16:17]
	v_sub_u32_e32 v7, 29, v7
	v_and_b32_e32 v16, 7, v38
	v_cndmask_b32_e32 v7, v12, v7, vcc
	v_cndmask_b32_e32 v10, v10, v16, vcc
	v_lshlrev_b32_e32 v12, 16, v8
	v_bfrev_b32_e32 v16, 60
	v_lshlrev_b32_e32 v10, 20, v10
	v_and_b32_e32 v12, 0x80000000, v12
	v_lshl_add_u32 v7, v7, 23, v16
	v_or3_b32 v54, v12, v7, v10
.LBB328_667:                            ;   in Loop: Header=BB328_9 Depth=1
	s_or_b64 exec, exec, s[40:41]
.LBB328_668:                            ;   in Loop: Header=BB328_9 Depth=1
	s_or_b64 exec, exec, s[28:29]
.LBB328_669:                            ;   in Loop: Header=BB328_9 Depth=1
	s_or_b64 exec, exec, s[26:27]
	v_lshrrev_b32_e32 v16, 16, v8
	v_mov_b32_e32 v7, 0
	v_cmp_ne_u16_sdwa s[28:29], v16, v7 src0_sel:BYTE_0 src1_sel:DWORD
	s_and_saveexec_b64 s[26:27], s[28:29]
	s_cbranch_execz .LBB328_675
; %bb.670:                              ;   in Loop: Header=BB328_9 Depth=1
	v_cmp_ne_u16_sdwa s[40:41], v16, s21 src0_sel:BYTE_0 src1_sel:DWORD
	v_bfrev_b32_e32 v55, 1
	s_and_saveexec_b64 s[28:29], s[40:41]
	s_cbranch_execz .LBB328_674
; %bb.671:                              ;   in Loop: Header=BB328_9 Depth=1
	v_bfe_u32 v7, v8, 16, 7
	v_cmp_ne_u32_e32 vcc, s42, v7
	v_mov_b32_e32 v55, 0x7f800001
	s_and_saveexec_b64 s[40:41], vcc
	s_cbranch_execz .LBB328_673
; %bb.672:                              ;   in Loop: Header=BB328_9 Depth=1
	v_and_b32_e32 v10, 7, v16
	v_lshrrev_b32_e32 v12, 3, v7
	v_cmp_gt_u32_e32 vcc, 8, v7
	v_ffbh_u32_e32 v7, v10
	v_min_u32_e32 v7, 32, v7
	v_subrev_u32_e32 v23, 28, v7
	v_lshlrev_b64 v[38:39], v23, v[16:17]
	v_sub_u32_e32 v7, 29, v7
	v_and_b32_e32 v23, 7, v38
	v_cndmask_b32_e32 v7, v12, v7, vcc
	v_cndmask_b32_e32 v10, v10, v23, vcc
	v_lshlrev_b32_e32 v12, 24, v16
	v_bfrev_b32_e32 v16, 60
	v_lshlrev_b32_e32 v10, 20, v10
	v_and_b32_e32 v12, 0x80000000, v12
	v_lshl_add_u32 v7, v7, 23, v16
	v_or3_b32 v55, v12, v7, v10
.LBB328_673:                            ;   in Loop: Header=BB328_9 Depth=1
	s_or_b64 exec, exec, s[40:41]
.LBB328_674:                            ;   in Loop: Header=BB328_9 Depth=1
	s_or_b64 exec, exec, s[28:29]
.LBB328_675:                            ;   in Loop: Header=BB328_9 Depth=1
	s_or_b64 exec, exec, s[26:27]
	v_cmp_lt_u32_e32 vcc, s43, v8
	v_mov_b32_e32 v38, 0
	v_mov_b32_e32 v27, 0
	s_and_saveexec_b64 s[26:27], vcc
	s_cbranch_execz .LBB328_681
; %bb.676:                              ;   in Loop: Header=BB328_9 Depth=1
	v_lshrrev_b32_e32 v16, 24, v8
	v_cmp_ne_u32_e32 vcc, s21, v16
	v_bfrev_b32_e32 v27, 1
	s_and_saveexec_b64 s[28:29], vcc
	s_cbranch_execz .LBB328_680
; %bb.677:                              ;   in Loop: Header=BB328_9 Depth=1
	v_bfe_u32 v7, v8, 24, 7
	v_cmp_ne_u32_e32 vcc, s42, v7
	v_mov_b32_e32 v27, 0x7f800001
	s_and_saveexec_b64 s[40:41], vcc
	s_cbranch_execz .LBB328_679
; %bb.678:                              ;   in Loop: Header=BB328_9 Depth=1
	v_and_b32_e32 v10, 7, v16
	v_lshrrev_b32_e32 v12, 3, v7
	v_cmp_gt_u32_e32 vcc, 8, v7
	v_ffbh_u32_e32 v7, v10
	v_min_u32_e32 v23, 32, v7
	v_subrev_u32_e32 v7, 28, v23
	v_lshlrev_b64 v[7:8], v7, v[16:17]
	v_sub_u32_e32 v8, 29, v23
	v_and_b32_e32 v7, 7, v7
	v_cndmask_b32_e32 v8, v12, v8, vcc
	v_cndmask_b32_e32 v7, v10, v7, vcc
	v_lshlrev_b32_e32 v10, 24, v16
	v_bfrev_b32_e32 v12, 60
	v_lshlrev_b32_e32 v7, 20, v7
	v_and_b32_e32 v10, 0x80000000, v10
	v_lshl_add_u32 v8, v8, 23, v12
	v_or3_b32 v27, v10, v8, v7
.LBB328_679:                            ;   in Loop: Header=BB328_9 Depth=1
	s_or_b64 exec, exec, s[40:41]
.LBB328_680:                            ;   in Loop: Header=BB328_9 Depth=1
	s_or_b64 exec, exec, s[28:29]
.LBB328_681:                            ;   in Loop: Header=BB328_9 Depth=1
	s_or_b64 exec, exec, s[26:27]
	buffer_load_dword v7, off, s[0:3], s32 offset:64 ; 4-byte Folded Reload
	v_add_co_u32_e32 v10, vcc, 0x1c00, v14
	v_addc_co_u32_e32 v12, vcc, 0, v15, vcc
	s_waitcnt vmcnt(0)
	v_add_co_u32_e32 v7, vcc, v10, v7
	v_addc_co_u32_e32 v8, vcc, 0, v12, vcc
	flat_load_dword v8, v[7:8]
	v_mov_b32_e32 v7, 0
	s_waitcnt vmcnt(0) lgkmcnt(0)
	v_cmp_ne_u16_sdwa s[28:29], v8, v7 src0_sel:BYTE_0 src1_sel:DWORD
	s_and_saveexec_b64 s[26:27], s[28:29]
	s_cbranch_execz .LBB328_687
; %bb.682:                              ;   in Loop: Header=BB328_9 Depth=1
	v_cmp_ne_u16_sdwa s[40:41], v8, s21 src0_sel:BYTE_0 src1_sel:DWORD
	v_bfrev_b32_e32 v38, 1
	s_and_saveexec_b64 s[28:29], s[40:41]
	s_cbranch_execz .LBB328_686
; %bb.683:                              ;   in Loop: Header=BB328_9 Depth=1
	v_and_b32_e32 v7, 0x7f, v8
	v_cmp_ne_u32_e32 vcc, s42, v7
	v_mov_b32_e32 v38, 0x7f800001
	s_and_saveexec_b64 s[40:41], vcc
	s_cbranch_execz .LBB328_685
; %bb.684:                              ;   in Loop: Header=BB328_9 Depth=1
	v_and_b32_e32 v16, 7, v8
	v_lshrrev_b32_e32 v23, 3, v7
	v_cmp_gt_u32_e32 vcc, 8, v7
	v_ffbh_u32_e32 v7, v16
	v_min_u32_e32 v7, 32, v7
	v_subrev_u32_e32 v29, 28, v7
	v_lshlrev_b64 v[38:39], v29, v[8:9]
	v_sub_u32_e32 v7, 29, v7
	v_and_b32_e32 v29, 7, v38
	v_cndmask_b32_e32 v7, v23, v7, vcc
	v_cndmask_b32_e32 v16, v16, v29, vcc
	v_lshlrev_b32_e32 v23, 24, v8
	v_bfrev_b32_e32 v29, 60
	v_lshlrev_b32_e32 v16, 20, v16
	v_and_b32_e32 v23, 0x80000000, v23
	v_lshl_add_u32 v7, v7, 23, v29
	v_or3_b32 v38, v23, v7, v16
.LBB328_685:                            ;   in Loop: Header=BB328_9 Depth=1
	s_or_b64 exec, exec, s[40:41]
.LBB328_686:                            ;   in Loop: Header=BB328_9 Depth=1
	s_or_b64 exec, exec, s[28:29]
.LBB328_687:                            ;   in Loop: Header=BB328_9 Depth=1
	s_or_b64 exec, exec, s[26:27]
	v_lshrrev_b16_e32 v16, 8, v8
	v_cmp_ne_u16_e32 vcc, 0, v16
	v_mov_b32_e32 v39, 0
	v_mov_b32_e32 v7, 0
	s_and_saveexec_b64 s[26:27], vcc
	s_cbranch_execz .LBB328_693
; %bb.688:                              ;   in Loop: Header=BB328_9 Depth=1
	v_cmp_ne_u16_e32 vcc, s21, v16
	v_bfrev_b32_e32 v7, 1
	s_and_saveexec_b64 s[28:29], vcc
	s_cbranch_execz .LBB328_692
; %bb.689:                              ;   in Loop: Header=BB328_9 Depth=1
	v_and_b32_e32 v23, 0x7f, v16
	v_cmp_ne_u32_e32 vcc, s42, v23
	v_mov_b32_e32 v7, 0x7f800001
	s_and_saveexec_b64 s[40:41], vcc
	s_cbranch_execz .LBB328_691
; %bb.690:                              ;   in Loop: Header=BB328_9 Depth=1
	v_and_b32_e32 v7, 7, v16
	v_lshrrev_b32_e32 v29, 3, v23
	v_cmp_gt_u32_e32 vcc, 8, v23
	v_ffbh_u32_e32 v23, v7
	v_min_u32_e32 v23, 32, v23
	v_subrev_u32_e32 v32, 28, v23
	v_lshlrev_b64 v[44:45], v32, v[16:17]
	v_sub_u32_e32 v16, 29, v23
	v_and_b32_e32 v23, 7, v44
	v_cndmask_b32_e32 v16, v29, v16, vcc
	v_cndmask_b32_e32 v7, v7, v23, vcc
	v_lshlrev_b32_e32 v23, 16, v8
	v_bfrev_b32_e32 v29, 60
	v_lshlrev_b32_e32 v7, 20, v7
	v_and_b32_e32 v23, 0x80000000, v23
	v_lshl_add_u32 v16, v16, 23, v29
	v_or3_b32 v7, v23, v16, v7
.LBB328_691:                            ;   in Loop: Header=BB328_9 Depth=1
	s_or_b64 exec, exec, s[40:41]
.LBB328_692:                            ;   in Loop: Header=BB328_9 Depth=1
	s_or_b64 exec, exec, s[28:29]
.LBB328_693:                            ;   in Loop: Header=BB328_9 Depth=1
	s_or_b64 exec, exec, s[26:27]
	v_lshrrev_b32_e32 v16, 16, v8
	v_mov_b32_e32 v23, 0
	v_cmp_ne_u16_sdwa s[28:29], v16, v23 src0_sel:BYTE_0 src1_sel:DWORD
	s_and_saveexec_b64 s[26:27], s[28:29]
	s_cbranch_execz .LBB328_699
; %bb.694:                              ;   in Loop: Header=BB328_9 Depth=1
	v_cmp_ne_u16_sdwa s[40:41], v16, s21 src0_sel:BYTE_0 src1_sel:DWORD
	v_bfrev_b32_e32 v39, 1
	s_and_saveexec_b64 s[28:29], s[40:41]
	s_cbranch_execz .LBB328_698
; %bb.695:                              ;   in Loop: Header=BB328_9 Depth=1
	v_bfe_u32 v23, v8, 16, 7
	v_cmp_ne_u32_e32 vcc, s42, v23
	v_mov_b32_e32 v39, 0x7f800001
	s_and_saveexec_b64 s[40:41], vcc
	s_cbranch_execz .LBB328_697
; %bb.696:                              ;   in Loop: Header=BB328_9 Depth=1
	v_and_b32_e32 v29, 7, v16
	v_lshrrev_b32_e32 v32, 3, v23
	v_cmp_gt_u32_e32 vcc, 8, v23
	v_ffbh_u32_e32 v23, v29
	v_min_u32_e32 v23, 32, v23
	v_subrev_u32_e32 v35, 28, v23
	v_lshlrev_b64 v[44:45], v35, v[16:17]
	v_sub_u32_e32 v23, 29, v23
	v_and_b32_e32 v35, 7, v44
	v_cndmask_b32_e32 v23, v32, v23, vcc
	v_cndmask_b32_e32 v29, v29, v35, vcc
	v_lshlrev_b32_e32 v16, 24, v16
	v_bfrev_b32_e32 v32, 60
	v_lshlrev_b32_e32 v29, 20, v29
	v_and_b32_e32 v16, 0x80000000, v16
	v_lshl_add_u32 v23, v23, 23, v32
	v_or3_b32 v39, v16, v23, v29
.LBB328_697:                            ;   in Loop: Header=BB328_9 Depth=1
	s_or_b64 exec, exec, s[40:41]
.LBB328_698:                            ;   in Loop: Header=BB328_9 Depth=1
	s_or_b64 exec, exec, s[28:29]
.LBB328_699:                            ;   in Loop: Header=BB328_9 Depth=1
	s_or_b64 exec, exec, s[26:27]
	v_cmp_lt_u32_e32 vcc, s43, v8
	v_mov_b32_e32 v32, 0
	v_mov_b32_e32 v35, 0
	s_and_saveexec_b64 s[26:27], vcc
	s_cbranch_execz .LBB328_705
; %bb.700:                              ;   in Loop: Header=BB328_9 Depth=1
	v_lshrrev_b32_e32 v16, 24, v8
	v_cmp_ne_u32_e32 vcc, s21, v16
	v_bfrev_b32_e32 v35, 1
	s_and_saveexec_b64 s[28:29], vcc
	s_cbranch_execz .LBB328_704
; %bb.701:                              ;   in Loop: Header=BB328_9 Depth=1
	v_bfe_u32 v8, v8, 24, 7
	v_cmp_ne_u32_e32 vcc, s42, v8
	v_mov_b32_e32 v35, 0x7f800001
	s_and_saveexec_b64 s[40:41], vcc
	s_cbranch_execz .LBB328_703
; %bb.702:                              ;   in Loop: Header=BB328_9 Depth=1
	v_and_b32_e32 v23, 7, v16
	v_lshrrev_b32_e32 v29, 3, v8
	v_cmp_gt_u32_e32 vcc, 8, v8
	v_ffbh_u32_e32 v8, v23
	v_min_u32_e32 v8, 32, v8
	v_subrev_u32_e32 v35, 28, v8
	v_lshlrev_b64 v[44:45], v35, v[16:17]
	v_sub_u32_e32 v8, 29, v8
	v_and_b32_e32 v35, 7, v44
	v_cndmask_b32_e32 v8, v29, v8, vcc
	v_cndmask_b32_e32 v23, v23, v35, vcc
	v_lshlrev_b32_e32 v16, 24, v16
	v_bfrev_b32_e32 v29, 60
	v_lshlrev_b32_e32 v23, 20, v23
	v_and_b32_e32 v16, 0x80000000, v16
	v_lshl_add_u32 v8, v8, 23, v29
	v_or3_b32 v35, v16, v8, v23
.LBB328_703:                            ;   in Loop: Header=BB328_9 Depth=1
	s_or_b64 exec, exec, s[40:41]
.LBB328_704:                            ;   in Loop: Header=BB328_9 Depth=1
	s_or_b64 exec, exec, s[28:29]
.LBB328_705:                            ;   in Loop: Header=BB328_9 Depth=1
	s_or_b64 exec, exec, s[26:27]
	buffer_load_dword v8, off, s[0:3], s32 offset:72 ; 4-byte Folded Reload
	s_waitcnt vmcnt(0)
	v_add_co_u32_e32 v44, vcc, v10, v8
	v_addc_co_u32_e32 v45, vcc, 0, v12, vcc
	flat_load_dword v8, v[44:45]
	v_mov_b32_e32 v10, 0
	s_waitcnt vmcnt(0) lgkmcnt(0)
	v_cmp_ne_u16_sdwa s[28:29], v8, v10 src0_sel:BYTE_0 src1_sel:DWORD
	s_and_saveexec_b64 s[26:27], s[28:29]
	s_cbranch_execz .LBB328_711
; %bb.706:                              ;   in Loop: Header=BB328_9 Depth=1
	v_cmp_ne_u16_sdwa s[40:41], v8, s21 src0_sel:BYTE_0 src1_sel:DWORD
	v_bfrev_b32_e32 v32, 1
	s_and_saveexec_b64 s[28:29], s[40:41]
	s_cbranch_execz .LBB328_710
; %bb.707:                              ;   in Loop: Header=BB328_9 Depth=1
	v_and_b32_e32 v10, 0x7f, v8
	v_cmp_ne_u32_e32 vcc, s42, v10
	v_mov_b32_e32 v32, 0x7f800001
	s_and_saveexec_b64 s[40:41], vcc
	s_cbranch_execz .LBB328_709
; %bb.708:                              ;   in Loop: Header=BB328_9 Depth=1
	v_and_b32_e32 v12, 7, v8
	v_lshrrev_b32_e32 v16, 3, v10
	v_cmp_gt_u32_e32 vcc, 8, v10
	v_ffbh_u32_e32 v10, v12
	v_min_u32_e32 v10, 32, v10
	v_subrev_u32_e32 v23, 28, v10
	v_lshlrev_b64 v[44:45], v23, v[8:9]
	v_sub_u32_e32 v10, 29, v10
	v_and_b32_e32 v23, 7, v44
	v_cndmask_b32_e32 v10, v16, v10, vcc
	v_cndmask_b32_e32 v12, v12, v23, vcc
	v_lshlrev_b32_e32 v16, 24, v8
	v_bfrev_b32_e32 v23, 60
	v_lshlrev_b32_e32 v12, 20, v12
	v_and_b32_e32 v16, 0x80000000, v16
	v_lshl_add_u32 v10, v10, 23, v23
	v_or3_b32 v32, v16, v10, v12
.LBB328_709:                            ;   in Loop: Header=BB328_9 Depth=1
	s_or_b64 exec, exec, s[40:41]
.LBB328_710:                            ;   in Loop: Header=BB328_9 Depth=1
	s_or_b64 exec, exec, s[28:29]
.LBB328_711:                            ;   in Loop: Header=BB328_9 Depth=1
	s_or_b64 exec, exec, s[26:27]
	v_lshrrev_b16_e32 v16, 8, v8
	v_cmp_ne_u16_e32 vcc, 0, v16
	v_mov_b32_e32 v12, 0
	v_mov_b32_e32 v10, 0
	s_and_saveexec_b64 s[26:27], vcc
	s_cbranch_execz .LBB328_717
; %bb.712:                              ;   in Loop: Header=BB328_9 Depth=1
	v_cmp_ne_u16_e32 vcc, s21, v16
	v_bfrev_b32_e32 v10, 1
	s_and_saveexec_b64 s[28:29], vcc
	s_cbranch_execz .LBB328_716
; %bb.713:                              ;   in Loop: Header=BB328_9 Depth=1
	v_and_b32_e32 v23, 0x7f, v16
	v_cmp_ne_u32_e32 vcc, s42, v23
	v_mov_b32_e32 v10, 0x7f800001
	s_and_saveexec_b64 s[40:41], vcc
	s_cbranch_execz .LBB328_715
; %bb.714:                              ;   in Loop: Header=BB328_9 Depth=1
	v_and_b32_e32 v10, 7, v16
	v_lshrrev_b32_e32 v29, 3, v23
	v_cmp_gt_u32_e32 vcc, 8, v23
	v_ffbh_u32_e32 v23, v10
	v_min_u32_e32 v23, 32, v23
	v_subrev_u32_e32 v48, 28, v23
	v_lshlrev_b64 v[44:45], v48, v[16:17]
	v_sub_u32_e32 v16, 29, v23
	v_and_b32_e32 v23, 7, v44
	v_cndmask_b32_e32 v16, v29, v16, vcc
	v_cndmask_b32_e32 v10, v10, v23, vcc
	v_lshlrev_b32_e32 v23, 16, v8
	v_bfrev_b32_e32 v29, 60
	v_lshlrev_b32_e32 v10, 20, v10
	v_and_b32_e32 v23, 0x80000000, v23
	v_lshl_add_u32 v16, v16, 23, v29
	v_or3_b32 v10, v23, v16, v10
.LBB328_715:                            ;   in Loop: Header=BB328_9 Depth=1
	s_or_b64 exec, exec, s[40:41]
.LBB328_716:                            ;   in Loop: Header=BB328_9 Depth=1
	s_or_b64 exec, exec, s[28:29]
.LBB328_717:                            ;   in Loop: Header=BB328_9 Depth=1
	s_or_b64 exec, exec, s[26:27]
	v_lshrrev_b32_e32 v16, 16, v8
	v_mov_b32_e32 v23, 0
	v_cmp_ne_u16_sdwa s[28:29], v16, v23 src0_sel:BYTE_0 src1_sel:DWORD
	s_and_saveexec_b64 s[26:27], s[28:29]
	s_cbranch_execz .LBB328_723
; %bb.718:                              ;   in Loop: Header=BB328_9 Depth=1
	v_cmp_ne_u16_sdwa s[40:41], v16, s21 src0_sel:BYTE_0 src1_sel:DWORD
	v_bfrev_b32_e32 v12, 1
	s_and_saveexec_b64 s[28:29], s[40:41]
	s_cbranch_execz .LBB328_722
; %bb.719:                              ;   in Loop: Header=BB328_9 Depth=1
	v_bfe_u32 v23, v8, 16, 7
	v_cmp_ne_u32_e32 vcc, s42, v23
	v_mov_b32_e32 v12, 0x7f800001
	s_and_saveexec_b64 s[40:41], vcc
	s_cbranch_execz .LBB328_721
; %bb.720:                              ;   in Loop: Header=BB328_9 Depth=1
	v_and_b32_e32 v12, 7, v16
	v_lshrrev_b32_e32 v29, 3, v23
	v_cmp_gt_u32_e32 vcc, 8, v23
	v_ffbh_u32_e32 v23, v12
	v_min_u32_e32 v23, 32, v23
	v_subrev_u32_e32 v48, 28, v23
	v_lshlrev_b64 v[44:45], v48, v[16:17]
	v_sub_u32_e32 v23, 29, v23
	v_and_b32_e32 v48, 7, v44
	v_cndmask_b32_e32 v23, v29, v23, vcc
	v_cndmask_b32_e32 v12, v12, v48, vcc
	v_lshlrev_b32_e32 v16, 24, v16
	v_bfrev_b32_e32 v29, 60
	v_lshlrev_b32_e32 v12, 20, v12
	v_and_b32_e32 v16, 0x80000000, v16
	v_lshl_add_u32 v23, v23, 23, v29
	v_or3_b32 v12, v16, v23, v12
.LBB328_721:                            ;   in Loop: Header=BB328_9 Depth=1
	s_or_b64 exec, exec, s[40:41]
.LBB328_722:                            ;   in Loop: Header=BB328_9 Depth=1
	s_or_b64 exec, exec, s[28:29]
.LBB328_723:                            ;   in Loop: Header=BB328_9 Depth=1
	s_or_b64 exec, exec, s[26:27]
	v_cmp_lt_u32_e32 vcc, s43, v8
	v_mov_b32_e32 v29, 0
	v_mov_b32_e32 v23, 0
	s_and_saveexec_b64 s[26:27], vcc
	s_cbranch_execz .LBB328_729
; %bb.724:                              ;   in Loop: Header=BB328_9 Depth=1
	v_lshrrev_b32_e32 v16, 24, v8
	v_cmp_ne_u32_e32 vcc, s21, v16
	v_bfrev_b32_e32 v23, 1
	s_and_saveexec_b64 s[28:29], vcc
	s_cbranch_execz .LBB328_728
; %bb.725:                              ;   in Loop: Header=BB328_9 Depth=1
	v_bfe_u32 v8, v8, 24, 7
	v_cmp_ne_u32_e32 vcc, s42, v8
	v_mov_b32_e32 v23, 0x7f800001
	s_and_saveexec_b64 s[40:41], vcc
	s_cbranch_execz .LBB328_727
; %bb.726:                              ;   in Loop: Header=BB328_9 Depth=1
	v_and_b32_e32 v23, 7, v16
	v_lshrrev_b32_e32 v48, 3, v8
	v_cmp_gt_u32_e32 vcc, 8, v8
	v_ffbh_u32_e32 v8, v23
	v_min_u32_e32 v8, 32, v8
	v_subrev_u32_e32 v44, 28, v8
	v_lshlrev_b64 v[44:45], v44, v[16:17]
	v_sub_u32_e32 v8, 29, v8
	v_and_b32_e32 v44, 7, v44
	v_cndmask_b32_e32 v8, v48, v8, vcc
	v_cndmask_b32_e32 v23, v23, v44, vcc
	v_lshlrev_b32_e32 v16, 24, v16
	v_bfrev_b32_e32 v48, 60
	v_lshlrev_b32_e32 v23, 20, v23
	v_and_b32_e32 v16, 0x80000000, v16
	v_lshl_add_u32 v8, v8, 23, v48
	v_or3_b32 v23, v16, v8, v23
.LBB328_727:                            ;   in Loop: Header=BB328_9 Depth=1
	s_or_b64 exec, exec, s[40:41]
.LBB328_728:                            ;   in Loop: Header=BB328_9 Depth=1
	s_or_b64 exec, exec, s[28:29]
.LBB328_729:                            ;   in Loop: Header=BB328_9 Depth=1
	s_or_b64 exec, exec, s[26:27]
	buffer_load_dword v8, off, s[0:3], s32 offset:64 ; 4-byte Folded Reload
	v_add_co_u32_e32 v48, vcc, 0x1e00, v14
	v_addc_co_u32_e32 v57, vcc, 0, v15, vcc
	s_waitcnt vmcnt(0)
	v_add_co_u32_e32 v14, vcc, v48, v8
	v_addc_co_u32_e32 v15, vcc, 0, v57, vcc
	flat_load_dword v8, v[14:15]
	v_mov_b32_e32 v14, 0
	s_waitcnt vmcnt(0) lgkmcnt(0)
	v_cmp_ne_u16_sdwa s[28:29], v8, v14 src0_sel:BYTE_0 src1_sel:DWORD
	s_and_saveexec_b64 s[26:27], s[28:29]
	s_cbranch_execz .LBB328_735
; %bb.730:                              ;   in Loop: Header=BB328_9 Depth=1
	v_cmp_ne_u16_sdwa s[40:41], v8, s21 src0_sel:BYTE_0 src1_sel:DWORD
	v_bfrev_b32_e32 v29, 1
	s_and_saveexec_b64 s[28:29], s[40:41]
	s_cbranch_execz .LBB328_734
; %bb.731:                              ;   in Loop: Header=BB328_9 Depth=1
	v_and_b32_e32 v14, 0x7f, v8
	v_cmp_ne_u32_e32 vcc, s42, v14
	v_mov_b32_e32 v29, 0x7f800001
	s_and_saveexec_b64 s[40:41], vcc
	s_cbranch_execz .LBB328_733
; %bb.732:                              ;   in Loop: Header=BB328_9 Depth=1
	v_and_b32_e32 v16, 7, v8
	v_lshrrev_b32_e32 v29, 3, v14
	v_cmp_gt_u32_e32 vcc, 8, v14
	v_ffbh_u32_e32 v14, v16
	v_min_u32_e32 v44, 32, v14
	v_subrev_u32_e32 v14, 28, v44
	v_lshlrev_b64 v[14:15], v14, v[8:9]
	v_sub_u32_e32 v15, 29, v44
	v_and_b32_e32 v14, 7, v14
	v_cndmask_b32_e32 v15, v29, v15, vcc
	v_cndmask_b32_e32 v14, v16, v14, vcc
	v_lshlrev_b32_e32 v16, 24, v8
	v_bfrev_b32_e32 v29, 60
	v_lshlrev_b32_e32 v14, 20, v14
	v_and_b32_e32 v16, 0x80000000, v16
	v_lshl_add_u32 v15, v15, 23, v29
	v_or3_b32 v29, v16, v15, v14
.LBB328_733:                            ;   in Loop: Header=BB328_9 Depth=1
	s_or_b64 exec, exec, s[40:41]
.LBB328_734:                            ;   in Loop: Header=BB328_9 Depth=1
	s_or_b64 exec, exec, s[28:29]
.LBB328_735:                            ;   in Loop: Header=BB328_9 Depth=1
	s_or_b64 exec, exec, s[26:27]
	v_lshrrev_b16_e32 v14, 8, v8
	v_cmp_ne_u16_e32 vcc, 0, v14
	v_mov_b32_e32 v16, 0
	v_mov_b32_e32 v15, 0
	s_and_saveexec_b64 s[26:27], vcc
	s_cbranch_execz .LBB328_741
; %bb.736:                              ;   in Loop: Header=BB328_9 Depth=1
	v_cmp_ne_u16_e32 vcc, s21, v14
	v_bfrev_b32_e32 v15, 1
	s_and_saveexec_b64 s[28:29], vcc
	s_cbranch_execz .LBB328_740
; %bb.737:                              ;   in Loop: Header=BB328_9 Depth=1
	v_and_b32_e32 v44, 0x7f, v14
	v_cmp_ne_u32_e32 vcc, s42, v44
	v_mov_b32_e32 v15, 0x7f800001
	s_and_saveexec_b64 s[40:41], vcc
	s_cbranch_execz .LBB328_739
; %bb.738:                              ;   in Loop: Header=BB328_9 Depth=1
	v_and_b32_e32 v45, 7, v14
	v_ffbh_u32_e32 v15, v45
	v_lshrrev_b32_e32 v58, 3, v44
	v_cmp_gt_u32_e32 vcc, 8, v44
	v_min_u32_e32 v44, 32, v15
	v_subrev_u32_e32 v15, 28, v44
	v_lshlrev_b64 v[14:15], v15, v[14:15]
	v_sub_u32_e32 v15, 29, v44
	v_and_b32_e32 v14, 7, v14
	v_cndmask_b32_e32 v15, v58, v15, vcc
	v_cndmask_b32_e32 v14, v45, v14, vcc
	v_lshlrev_b32_e32 v44, 16, v8
	v_bfrev_b32_e32 v42, 60
	v_lshlrev_b32_e32 v14, 20, v14
	v_and_b32_e32 v44, 0x80000000, v44
	v_lshl_add_u32 v15, v15, 23, v42
	v_or3_b32 v15, v44, v15, v14
.LBB328_739:                            ;   in Loop: Header=BB328_9 Depth=1
	s_or_b64 exec, exec, s[40:41]
.LBB328_740:                            ;   in Loop: Header=BB328_9 Depth=1
	s_or_b64 exec, exec, s[28:29]
.LBB328_741:                            ;   in Loop: Header=BB328_9 Depth=1
	s_or_b64 exec, exec, s[26:27]
	v_lshrrev_b32_e32 v14, 16, v8
	v_mov_b32_e32 v42, 0
	v_cmp_ne_u16_sdwa s[28:29], v14, v42 src0_sel:BYTE_0 src1_sel:DWORD
	s_and_saveexec_b64 s[26:27], s[28:29]
	s_cbranch_execz .LBB328_747
; %bb.742:                              ;   in Loop: Header=BB328_9 Depth=1
	v_cmp_ne_u16_sdwa s[40:41], v14, s21 src0_sel:BYTE_0 src1_sel:DWORD
	v_bfrev_b32_e32 v16, 1
	s_and_saveexec_b64 s[28:29], s[40:41]
	s_cbranch_execz .LBB328_746
; %bb.743:                              ;   in Loop: Header=BB328_9 Depth=1
	v_bfe_u32 v44, v8, 16, 7
	v_cmp_ne_u32_e32 vcc, s42, v44
	v_mov_b32_e32 v16, 0x7f800001
	s_and_saveexec_b64 s[40:41], vcc
	s_cbranch_execz .LBB328_745
; %bb.744:                              ;   in Loop: Header=BB328_9 Depth=1
	v_and_b32_e32 v16, 7, v14
	v_lshrrev_b32_e32 v58, 3, v44
	v_cmp_gt_u32_e32 vcc, 8, v44
	v_ffbh_u32_e32 v44, v16
	v_min_u32_e32 v59, 32, v44
	v_subrev_u32_e32 v44, 28, v59
	v_lshlrev_b64 v[44:45], v44, v[14:15]
	v_sub_u32_e32 v45, 29, v59
	v_and_b32_e32 v44, 7, v44
	v_cndmask_b32_e32 v45, v58, v45, vcc
	v_cndmask_b32_e32 v16, v16, v44, vcc
	v_lshlrev_b32_e32 v14, 24, v14
	v_bfrev_b32_e32 v42, 60
	v_lshlrev_b32_e32 v16, 20, v16
	v_and_b32_e32 v14, 0x80000000, v14
	v_lshl_add_u32 v44, v45, 23, v42
	v_or3_b32 v16, v14, v44, v16
.LBB328_745:                            ;   in Loop: Header=BB328_9 Depth=1
	s_or_b64 exec, exec, s[40:41]
.LBB328_746:                            ;   in Loop: Header=BB328_9 Depth=1
	s_or_b64 exec, exec, s[28:29]
.LBB328_747:                            ;   in Loop: Header=BB328_9 Depth=1
	s_or_b64 exec, exec, s[26:27]
	v_cmp_lt_u32_e32 vcc, s43, v8
	v_mov_b32_e32 v45, 0
	v_mov_b32_e32 v44, 0
	s_and_saveexec_b64 s[26:27], vcc
	s_cbranch_execz .LBB328_753
; %bb.748:                              ;   in Loop: Header=BB328_9 Depth=1
	v_lshrrev_b32_e32 v14, 24, v8
	v_cmp_ne_u32_e32 vcc, s21, v14
	v_bfrev_b32_e32 v44, 1
	s_and_saveexec_b64 s[28:29], vcc
	s_cbranch_execz .LBB328_752
; %bb.749:                              ;   in Loop: Header=BB328_9 Depth=1
	v_bfe_u32 v8, v8, 24, 7
	v_cmp_ne_u32_e32 vcc, s42, v8
	v_mov_b32_e32 v44, 0x7f800001
	s_and_saveexec_b64 s[40:41], vcc
	s_cbranch_execz .LBB328_751
; %bb.750:                              ;   in Loop: Header=BB328_9 Depth=1
	v_and_b32_e32 v44, 7, v14
	v_lshrrev_b32_e32 v60, 3, v8
	v_cmp_gt_u32_e32 vcc, 8, v8
	v_ffbh_u32_e32 v8, v44
	v_min_u32_e32 v8, 32, v8
	v_subrev_u32_e32 v58, 28, v8
	v_lshlrev_b64 v[58:59], v58, v[14:15]
	v_sub_u32_e32 v8, 29, v8
	v_and_b32_e32 v58, 7, v58
	v_cndmask_b32_e32 v8, v60, v8, vcc
	v_cndmask_b32_e32 v44, v44, v58, vcc
	v_lshlrev_b32_e32 v14, 24, v14
	v_bfrev_b32_e32 v42, 60
	v_lshlrev_b32_e32 v44, 20, v44
	v_and_b32_e32 v14, 0x80000000, v14
	v_lshl_add_u32 v8, v8, 23, v42
	v_or3_b32 v44, v14, v8, v44
.LBB328_751:                            ;   in Loop: Header=BB328_9 Depth=1
	s_or_b64 exec, exec, s[40:41]
.LBB328_752:                            ;   in Loop: Header=BB328_9 Depth=1
	s_or_b64 exec, exec, s[28:29]
.LBB328_753:                            ;   in Loop: Header=BB328_9 Depth=1
	s_or_b64 exec, exec, s[26:27]
	buffer_load_dword v8, off, s[0:3], s32 offset:72 ; 4-byte Folded Reload
	v_mov_b32_e32 v14, 0
	s_waitcnt vmcnt(0)
	v_add_co_u32_e32 v58, vcc, v48, v8
	v_addc_co_u32_e32 v59, vcc, 0, v57, vcc
	flat_load_dword v8, v[58:59]
	s_waitcnt vmcnt(0) lgkmcnt(0)
	v_cmp_ne_u16_sdwa s[28:29], v8, v14 src0_sel:BYTE_0 src1_sel:DWORD
	s_and_saveexec_b64 s[26:27], s[28:29]
	s_cbranch_execz .LBB328_759
; %bb.754:                              ;   in Loop: Header=BB328_9 Depth=1
	v_cmp_ne_u16_sdwa s[40:41], v8, s21 src0_sel:BYTE_0 src1_sel:DWORD
	v_bfrev_b32_e32 v45, 1
	s_and_saveexec_b64 s[28:29], s[40:41]
	s_cbranch_execz .LBB328_758
; %bb.755:                              ;   in Loop: Header=BB328_9 Depth=1
	v_and_b32_e32 v14, 0x7f, v8
	v_cmp_ne_u32_e32 vcc, s42, v14
	v_mov_b32_e32 v45, 0x7f800001
	s_and_saveexec_b64 s[40:41], vcc
	s_cbranch_execz .LBB328_757
; %bb.756:                              ;   in Loop: Header=BB328_9 Depth=1
	v_and_b32_e32 v48, 7, v8
	v_lshrrev_b32_e32 v45, 3, v14
	v_cmp_gt_u32_e32 vcc, 8, v14
	v_ffbh_u32_e32 v14, v48
	v_min_u32_e32 v14, 32, v14
	v_subrev_u32_e32 v57, 28, v14
	v_lshlrev_b64 v[57:58], v57, v[8:9]
	v_sub_u32_e32 v14, 29, v14
	v_and_b32_e32 v57, 7, v57
	v_cndmask_b32_e32 v14, v45, v14, vcc
	v_cndmask_b32_e32 v48, v48, v57, vcc
	v_lshlrev_b32_e32 v45, 24, v8
	v_bfrev_b32_e32 v42, 60
	v_lshlrev_b32_e32 v48, 20, v48
	v_and_b32_e32 v45, 0x80000000, v45
	v_lshl_add_u32 v14, v14, 23, v42
	v_or3_b32 v45, v45, v14, v48
.LBB328_757:                            ;   in Loop: Header=BB328_9 Depth=1
	s_or_b64 exec, exec, s[40:41]
.LBB328_758:                            ;   in Loop: Header=BB328_9 Depth=1
	s_or_b64 exec, exec, s[28:29]
.LBB328_759:                            ;   in Loop: Header=BB328_9 Depth=1
	s_or_b64 exec, exec, s[26:27]
	v_lshrrev_b16_e32 v14, 8, v8
	v_cmp_ne_u16_e32 vcc, 0, v14
	v_mov_b32_e32 v57, 0
	v_mov_b32_e32 v58, 0
	s_and_saveexec_b64 s[26:27], vcc
	s_cbranch_execz .LBB328_765
; %bb.760:                              ;   in Loop: Header=BB328_9 Depth=1
	v_cmp_ne_u16_e32 vcc, s21, v14
	v_bfrev_b32_e32 v58, 1
	s_and_saveexec_b64 s[28:29], vcc
	s_cbranch_execz .LBB328_764
; %bb.761:                              ;   in Loop: Header=BB328_9 Depth=1
	v_and_b32_e32 v48, 0x7f, v14
	v_cmp_ne_u32_e32 vcc, s42, v48
	v_mov_b32_e32 v58, 0x7f800001
	s_and_saveexec_b64 s[40:41], vcc
	s_cbranch_execz .LBB328_763
; %bb.762:                              ;   in Loop: Header=BB328_9 Depth=1
	v_and_b32_e32 v60, 7, v14
	v_mov_b32_e32 v42, v61
	v_lshrrev_b32_e32 v61, 3, v48
	v_cmp_gt_u32_e32 vcc, 8, v48
	v_ffbh_u32_e32 v48, v60
	v_min_u32_e32 v48, 32, v48
	v_subrev_u32_e32 v58, 28, v48
	v_lshlrev_b64 v[58:59], v58, v[14:15]
	v_sub_u32_e32 v14, 29, v48
	v_and_b32_e32 v48, 7, v58
	v_cndmask_b32_e32 v14, v61, v14, vcc
	v_mov_b32_e32 v61, v42
	v_cndmask_b32_e32 v48, v60, v48, vcc
	v_lshlrev_b32_e32 v58, 16, v8
	v_bfrev_b32_e32 v42, 60
	v_lshlrev_b32_e32 v48, 20, v48
	v_and_b32_e32 v58, 0x80000000, v58
	v_lshl_add_u32 v14, v14, 23, v42
	v_or3_b32 v58, v58, v14, v48
.LBB328_763:                            ;   in Loop: Header=BB328_9 Depth=1
	s_or_b64 exec, exec, s[40:41]
.LBB328_764:                            ;   in Loop: Header=BB328_9 Depth=1
	s_or_b64 exec, exec, s[28:29]
.LBB328_765:                            ;   in Loop: Header=BB328_9 Depth=1
	s_or_b64 exec, exec, s[26:27]
	v_lshrrev_b32_e32 v14, 16, v8
	v_mov_b32_e32 v48, 0
	v_cmp_ne_u16_sdwa s[28:29], v14, v48 src0_sel:BYTE_0 src1_sel:DWORD
	s_and_saveexec_b64 s[26:27], s[28:29]
	s_cbranch_execz .LBB328_771
; %bb.766:                              ;   in Loop: Header=BB328_9 Depth=1
	v_cmp_ne_u16_sdwa s[40:41], v14, s21 src0_sel:BYTE_0 src1_sel:DWORD
	v_bfrev_b32_e32 v57, 1
	s_and_saveexec_b64 s[28:29], s[40:41]
	s_cbranch_execz .LBB328_770
; %bb.767:                              ;   in Loop: Header=BB328_9 Depth=1
	v_bfe_u32 v48, v8, 16, 7
	v_cmp_ne_u32_e32 vcc, s42, v48
	v_mov_b32_e32 v57, 0x7f800001
	s_and_saveexec_b64 s[40:41], vcc
	s_cbranch_execz .LBB328_769
; %bb.768:                              ;   in Loop: Header=BB328_9 Depth=1
	v_and_b32_e32 v57, 7, v14
	v_mov_b32_e32 v42, v61
	v_lshrrev_b32_e32 v61, 3, v48
	v_cmp_gt_u32_e32 vcc, 8, v48
	v_ffbh_u32_e32 v48, v57
	v_min_u32_e32 v48, 32, v48
	v_subrev_u32_e32 v59, 28, v48
	v_lshlrev_b64 v[59:60], v59, v[14:15]
	v_sub_u32_e32 v48, 29, v48
	v_and_b32_e32 v59, 7, v59
	v_cndmask_b32_e32 v48, v61, v48, vcc
	v_mov_b32_e32 v61, v42
	v_cndmask_b32_e32 v57, v57, v59, vcc
	v_lshlrev_b32_e32 v14, 24, v14
	v_bfrev_b32_e32 v42, 60
	v_lshlrev_b32_e32 v57, 20, v57
	v_and_b32_e32 v14, 0x80000000, v14
	v_lshl_add_u32 v48, v48, 23, v42
	v_or3_b32 v57, v14, v48, v57
.LBB328_769:                            ;   in Loop: Header=BB328_9 Depth=1
	s_or_b64 exec, exec, s[40:41]
.LBB328_770:                            ;   in Loop: Header=BB328_9 Depth=1
	s_or_b64 exec, exec, s[28:29]
.LBB328_771:                            ;   in Loop: Header=BB328_9 Depth=1
	s_or_b64 exec, exec, s[26:27]
	v_cmp_lt_u32_e32 vcc, s43, v8
	v_mov_b32_e32 v48, 0
	buffer_store_dword v57, off, s[0:3], s32 offset:492 ; 4-byte Folded Spill
	buffer_store_dword v61, off, s[0:3], s32 offset:384 ; 4-byte Folded Spill
	s_and_saveexec_b64 s[26:27], vcc
	s_cbranch_execz .LBB328_777
; %bb.772:                              ;   in Loop: Header=BB328_9 Depth=1
	v_lshrrev_b32_e32 v14, 24, v8
	v_cmp_ne_u32_e32 vcc, s21, v14
	v_bfrev_b32_e32 v48, 1
	s_and_saveexec_b64 s[28:29], vcc
	s_cbranch_execz .LBB328_776
; %bb.773:                              ;   in Loop: Header=BB328_9 Depth=1
	v_bfe_u32 v8, v8, 24, 7
	v_cmp_ne_u32_e32 vcc, s42, v8
	v_mov_b32_e32 v48, 0x7f800001
	s_and_saveexec_b64 s[40:41], vcc
	s_cbranch_execz .LBB328_775
; %bb.774:                              ;   in Loop: Header=BB328_9 Depth=1
	v_and_b32_e32 v48, 7, v14
	v_lshrrev_b32_e32 v61, 3, v8
	v_cmp_gt_u32_e32 vcc, 8, v8
	v_ffbh_u32_e32 v8, v48
	v_min_u32_e32 v8, 32, v8
	v_subrev_u32_e32 v59, 28, v8
	v_lshlrev_b64 v[59:60], v59, v[14:15]
	v_sub_u32_e32 v8, 29, v8
	v_and_b32_e32 v59, 7, v59
	v_cndmask_b32_e32 v8, v61, v8, vcc
	v_cndmask_b32_e32 v48, v48, v59, vcc
	v_lshlrev_b32_e32 v14, 24, v14
	v_bfrev_b32_e32 v42, 60
	v_lshlrev_b32_e32 v48, 20, v48
	v_and_b32_e32 v14, 0x80000000, v14
	v_lshl_add_u32 v8, v8, 23, v42
	v_or3_b32 v48, v14, v8, v48
.LBB328_775:                            ;   in Loop: Header=BB328_9 Depth=1
	s_or_b64 exec, exec, s[40:41]
.LBB328_776:                            ;   in Loop: Header=BB328_9 Depth=1
	s_or_b64 exec, exec, s[28:29]
.LBB328_777:                            ;   in Loop: Header=BB328_9 Depth=1
	s_or_b64 exec, exec, s[26:27]
	v_mul_f32_e32 v8, v28, v58
	v_bfe_u32 v14, v8, 16, 1
	v_add3_u32 v14, v14, v8, s44
	v_or_b32_e32 v58, 0x400000, v8
	v_cmp_u_f32_e32 vcc, v8, v8
	v_cndmask_b32_e32 v8, v14, v58, vcc
	buffer_store_dword v8, off, s[0:3], s32 offset:388 ; 4-byte Folded Spill
	v_mul_f32_e32 v8, v28, v45
	v_bfe_u32 v14, v8, 16, 1
	v_add3_u32 v14, v14, v8, s44
	v_or_b32_e32 v45, 0x400000, v8
	v_cmp_u_f32_e32 vcc, v8, v8
	v_cndmask_b32_e32 v8, v14, v45, vcc
	buffer_store_dword v8, off, s[0:3], s32 offset:392 ; 4-byte Folded Spill
	;; [unrolled: 7-line block ×11, first 2 shown]
	v_mul_f32_e32 v8, v28, v35
	v_bfe_u32 v10, v8, 16, 1
	v_add3_u32 v10, v10, v8, s44
	v_or_b32_e32 v12, 0x400000, v8
	v_cmp_u_f32_e32 vcc, v8, v8
	v_cndmask_b32_e32 v8, v10, v12, vcc
	v_mul_f32_e32 v7, v28, v7
	buffer_store_dword v8, off, s[0:3], s32 offset:436 ; 4-byte Folded Spill
	v_bfe_u32 v8, v7, 16, 1
	v_add3_u32 v8, v8, v7, s44
	v_or_b32_e32 v10, 0x400000, v7
	v_cmp_u_f32_e32 vcc, v7, v7
	v_cndmask_b32_e32 v7, v8, v10, vcc
	buffer_store_dword v7, off, s[0:3], s32 offset:440 ; 4-byte Folded Spill
	v_mul_f32_e32 v7, v28, v38
	v_bfe_u32 v8, v7, 16, 1
	v_add3_u32 v8, v8, v7, s44
	v_or_b32_e32 v10, 0x400000, v7
	v_cmp_u_f32_e32 vcc, v7, v7
	v_cndmask_b32_e32 v7, v8, v10, vcc
	buffer_store_dword v7, off, s[0:3], s32 offset:444 ; 4-byte Folded Spill
	v_mul_f32_e32 v7, v28, v55
	;; [unrolled: 7-line block ×11, first 2 shown]
	v_bfe_u32 v8, v7, 16, 1
	v_add3_u32 v8, v8, v7, s44
	v_or_b32_e32 v9, 0x400000, v7
	v_cmp_u_f32_e32 vcc, v7, v7
	v_cndmask_b32_e32 v7, v8, v9, vcc
	v_mul_f32_e32 v0, v28, v0
	buffer_store_dword v7, off, s[0:3], s32 offset:484 ; 4-byte Folded Spill
	v_bfe_u32 v7, v0, 16, 1
	v_add3_u32 v7, v7, v0, s44
	v_or_b32_e32 v8, 0x400000, v0
	v_cmp_u_f32_e32 vcc, v0, v0
	v_cndmask_b32_e32 v0, v7, v8, vcc
	buffer_store_dword v0, off, s[0:3], s32 offset:488 ; 4-byte Folded Spill
	v_mul_f32_e32 v0, v28, v19
	v_bfe_u32 v7, v0, 16, 1
	v_add3_u32 v7, v7, v0, s44
	v_or_b32_e32 v8, 0x400000, v0
	v_cmp_u_f32_e32 vcc, v0, v0
	v_cndmask_b32_e32 v0, v7, v8, vcc
	buffer_store_dword v0, off, s[0:3], s32 offset:500 ; 4-byte Folded Spill
	v_mul_f32_e32 v0, v28, v30
	;; [unrolled: 7-line block ×28, first 2 shown]
	v_bfe_u32 v1, v0, 16, 1
	v_add3_u32 v1, v1, v0, s44
	v_or_b32_e32 v2, 0x400000, v0
	v_cmp_u_f32_e32 vcc, v0, v0
	v_cndmask_b32_e32 v0, v1, v2, vcc
	buffer_store_dword v0, off, s[0:3], s32 offset:608 ; 4-byte Folded Spill
	buffer_load_dword v0, off, s[0:3], s32 offset:288 ; 4-byte Folded Reload
	v_mov_b32_e32 v24, v48
	v_mul_f32_e32 v24, v28, v24
	buffer_load_dword v18, off, s[0:3], s32 offset:88 ; 4-byte Folded Reload
	s_waitcnt vmcnt(1)
	v_mul_f32_e32 v0, v28, v0
	v_bfe_u32 v1, v0, 16, 1
	v_add3_u32 v1, v1, v0, s44
	v_or_b32_e32 v2, 0x400000, v0
	v_cmp_u_f32_e32 vcc, v0, v0
	v_cndmask_b32_e32 v0, v1, v2, vcc
	buffer_store_dword v0, off, s[0:3], s32 offset:288 ; 4-byte Folded Spill
	buffer_load_dword v0, off, s[0:3], s32 offset:284 ; 4-byte Folded Reload
	s_waitcnt vmcnt(0)
	v_mul_f32_e32 v0, v28, v0
	v_bfe_u32 v1, v0, 16, 1
	v_add3_u32 v1, v1, v0, s44
	v_or_b32_e32 v2, 0x400000, v0
	v_cmp_u_f32_e32 vcc, v0, v0
	v_cndmask_b32_e32 v0, v1, v2, vcc
	buffer_store_dword v0, off, s[0:3], s32 offset:284 ; 4-byte Folded Spill
	buffer_load_dword v0, off, s[0:3], s32 offset:360 ; 4-byte Folded Reload
	s_waitcnt vmcnt(0)
	v_mul_f32_e32 v0, v28, v0
	v_bfe_u32 v1, v0, 16, 1
	v_add3_u32 v1, v1, v0, s44
	v_or_b32_e32 v2, 0x400000, v0
	v_cmp_u_f32_e32 vcc, v0, v0
	v_cndmask_b32_e32 v0, v1, v2, vcc
	buffer_store_dword v0, off, s[0:3], s32 offset:360 ; 4-byte Folded Spill
	buffer_load_dword v0, off, s[0:3], s32 offset:280 ; 4-byte Folded Reload
	s_waitcnt vmcnt(0)
	v_mul_f32_e32 v0, v28, v0
	v_bfe_u32 v1, v0, 16, 1
	v_add3_u32 v1, v1, v0, s44
	v_or_b32_e32 v2, 0x400000, v0
	v_cmp_u_f32_e32 vcc, v0, v0
	v_cndmask_b32_e32 v0, v1, v2, vcc
	buffer_store_dword v0, off, s[0:3], s32 offset:280 ; 4-byte Folded Spill
	buffer_load_dword v0, off, s[0:3], s32 offset:276 ; 4-byte Folded Reload
	s_waitcnt vmcnt(0)
	v_mul_f32_e32 v0, v28, v0
	v_bfe_u32 v1, v0, 16, 1
	v_add3_u32 v1, v1, v0, s44
	v_or_b32_e32 v2, 0x400000, v0
	v_cmp_u_f32_e32 vcc, v0, v0
	v_cndmask_b32_e32 v0, v1, v2, vcc
	buffer_store_dword v0, off, s[0:3], s32 offset:276 ; 4-byte Folded Spill
	buffer_load_dword v0, off, s[0:3], s32 offset:272 ; 4-byte Folded Reload
	s_waitcnt vmcnt(0)
	v_mul_f32_e32 v0, v28, v0
	v_bfe_u32 v1, v0, 16, 1
	v_add3_u32 v1, v1, v0, s44
	v_or_b32_e32 v2, 0x400000, v0
	v_cmp_u_f32_e32 vcc, v0, v0
	v_cndmask_b32_e32 v0, v1, v2, vcc
	buffer_store_dword v0, off, s[0:3], s32 offset:272 ; 4-byte Folded Spill
	buffer_load_dword v0, off, s[0:3], s32 offset:356 ; 4-byte Folded Reload
	s_waitcnt vmcnt(0)
	v_mul_f32_e32 v0, v28, v0
	v_bfe_u32 v1, v0, 16, 1
	v_add3_u32 v1, v1, v0, s44
	v_or_b32_e32 v2, 0x400000, v0
	v_cmp_u_f32_e32 vcc, v0, v0
	v_cndmask_b32_e32 v0, v1, v2, vcc
	buffer_store_dword v0, off, s[0:3], s32 offset:356 ; 4-byte Folded Spill
	buffer_load_dword v0, off, s[0:3], s32 offset:268 ; 4-byte Folded Reload
	s_waitcnt vmcnt(0)
	v_mul_f32_e32 v0, v28, v0
	v_bfe_u32 v1, v0, 16, 1
	v_add3_u32 v1, v1, v0, s44
	v_or_b32_e32 v2, 0x400000, v0
	v_cmp_u_f32_e32 vcc, v0, v0
	v_cndmask_b32_e32 v0, v1, v2, vcc
	buffer_store_dword v0, off, s[0:3], s32 offset:268 ; 4-byte Folded Spill
	buffer_load_dword v0, off, s[0:3], s32 offset:264 ; 4-byte Folded Reload
	s_waitcnt vmcnt(0)
	v_mul_f32_e32 v0, v28, v0
	v_bfe_u32 v1, v0, 16, 1
	v_add3_u32 v1, v1, v0, s44
	v_or_b32_e32 v2, 0x400000, v0
	v_cmp_u_f32_e32 vcc, v0, v0
	v_cndmask_b32_e32 v0, v1, v2, vcc
	buffer_store_dword v0, off, s[0:3], s32 offset:264 ; 4-byte Folded Spill
	buffer_load_dword v0, off, s[0:3], s32 offset:260 ; 4-byte Folded Reload
	s_waitcnt vmcnt(0)
	v_mul_f32_e32 v0, v28, v0
	v_bfe_u32 v1, v0, 16, 1
	v_add3_u32 v1, v1, v0, s44
	v_or_b32_e32 v2, 0x400000, v0
	v_cmp_u_f32_e32 vcc, v0, v0
	v_cndmask_b32_e32 v0, v1, v2, vcc
	buffer_store_dword v0, off, s[0:3], s32 offset:260 ; 4-byte Folded Spill
	buffer_load_dword v0, off, s[0:3], s32 offset:352 ; 4-byte Folded Reload
	s_waitcnt vmcnt(0)
	v_mul_f32_e32 v0, v28, v0
	v_bfe_u32 v1, v0, 16, 1
	v_add3_u32 v1, v1, v0, s44
	v_or_b32_e32 v2, 0x400000, v0
	v_cmp_u_f32_e32 vcc, v0, v0
	v_cndmask_b32_e32 v0, v1, v2, vcc
	buffer_store_dword v0, off, s[0:3], s32 offset:352 ; 4-byte Folded Spill
	buffer_load_dword v0, off, s[0:3], s32 offset:256 ; 4-byte Folded Reload
	s_waitcnt vmcnt(0)
	v_mul_f32_e32 v0, v28, v0
	v_bfe_u32 v1, v0, 16, 1
	v_add3_u32 v1, v1, v0, s44
	v_or_b32_e32 v2, 0x400000, v0
	v_cmp_u_f32_e32 vcc, v0, v0
	v_cndmask_b32_e32 v0, v1, v2, vcc
	buffer_store_dword v0, off, s[0:3], s32 offset:256 ; 4-byte Folded Spill
	buffer_load_dword v0, off, s[0:3], s32 offset:252 ; 4-byte Folded Reload
	s_waitcnt vmcnt(0)
	v_mul_f32_e32 v0, v28, v0
	v_bfe_u32 v1, v0, 16, 1
	v_add3_u32 v1, v1, v0, s44
	v_or_b32_e32 v2, 0x400000, v0
	v_cmp_u_f32_e32 vcc, v0, v0
	v_cndmask_b32_e32 v0, v1, v2, vcc
	buffer_store_dword v0, off, s[0:3], s32 offset:252 ; 4-byte Folded Spill
	buffer_load_dword v0, off, s[0:3], s32 offset:248 ; 4-byte Folded Reload
	s_waitcnt vmcnt(0)
	v_mul_f32_e32 v0, v28, v0
	v_bfe_u32 v1, v0, 16, 1
	v_add3_u32 v1, v1, v0, s44
	v_or_b32_e32 v2, 0x400000, v0
	v_cmp_u_f32_e32 vcc, v0, v0
	v_cndmask_b32_e32 v0, v1, v2, vcc
	buffer_store_dword v0, off, s[0:3], s32 offset:248 ; 4-byte Folded Spill
	buffer_load_dword v0, off, s[0:3], s32 offset:348 ; 4-byte Folded Reload
	s_waitcnt vmcnt(0)
	v_mul_f32_e32 v0, v28, v0
	v_bfe_u32 v1, v0, 16, 1
	v_add3_u32 v1, v1, v0, s44
	v_or_b32_e32 v2, 0x400000, v0
	v_cmp_u_f32_e32 vcc, v0, v0
	buffer_load_dword v0, off, s[0:3], s32 offset:244 ; 4-byte Folded Reload
	v_cndmask_b32_e32 v35, v1, v2, vcc
	s_waitcnt vmcnt(0)
	v_mul_f32_e32 v0, v28, v0
	v_bfe_u32 v1, v0, 16, 1
	v_add3_u32 v1, v1, v0, s44
	v_or_b32_e32 v2, 0x400000, v0
	v_cmp_u_f32_e32 vcc, v0, v0
	buffer_load_dword v0, off, s[0:3], s32 offset:240 ; 4-byte Folded Reload
	v_cndmask_b32_e32 v32, v1, v2, vcc
	;; [unrolled: 8-line block ×22, first 2 shown]
	s_waitcnt vmcnt(0)
	v_mul_f32_e32 v6, v28, v0
	buffer_load_dword v0, off, s[0:3], s32 offset:176 ; 4-byte Folded Reload
	v_bfe_u32 v9, v6, 16, 1
	v_add3_u32 v9, v9, v6, s44
	v_or_b32_e32 v11, 0x400000, v6
	v_cmp_u_f32_e32 vcc, v6, v6
	v_cndmask_b32_e32 v11, v9, v11, vcc
	s_waitcnt vmcnt(0)
	v_mul_f32_e32 v6, v28, v0
	buffer_load_dword v0, off, s[0:3], s32 offset:324 ; 4-byte Folded Reload
	v_bfe_u32 v9, v6, 16, 1
	v_add3_u32 v9, v9, v6, s44
	v_or_b32_e32 v13, 0x400000, v6
	v_cmp_u_f32_e32 vcc, v6, v6
	v_cndmask_b32_e32 v34, v9, v13, vcc
	s_waitcnt vmcnt(0)
	v_mul_f32_e32 v6, v28, v0
	buffer_load_dword v0, off, s[0:3], s32 offset:172 ; 4-byte Folded Reload
	v_bfe_u32 v9, v6, 16, 1
	v_add3_u32 v9, v9, v6, s44
	v_or_b32_e32 v13, 0x400000, v6
	v_cmp_u_f32_e32 vcc, v6, v6
	v_cndmask_b32_e32 v55, v9, v13, vcc
	s_waitcnt vmcnt(0)
	v_mul_f32_e32 v6, v28, v0
	buffer_load_dword v0, off, s[0:3], s32 offset:168 ; 4-byte Folded Reload
	v_bfe_u32 v9, v6, 16, 1
	v_add3_u32 v9, v9, v6, s44
	v_or_b32_e32 v13, 0x400000, v6
	v_cmp_u_f32_e32 vcc, v6, v6
	v_cndmask_b32_e32 v36, v9, v13, vcc
	s_waitcnt vmcnt(0)
	v_mul_f32_e32 v6, v28, v0
	buffer_load_dword v0, off, s[0:3], s32 offset:164 ; 4-byte Folded Reload
	v_bfe_u32 v9, v6, 16, 1
	v_add3_u32 v9, v9, v6, s44
	v_or_b32_e32 v13, 0x400000, v6
	v_cmp_u_f32_e32 vcc, v6, v6
	v_cndmask_b32_e32 v53, v9, v13, vcc
	s_waitcnt vmcnt(0)
	v_mul_f32_e32 v6, v28, v0
	buffer_load_dword v0, off, s[0:3], s32 offset:320 ; 4-byte Folded Reload
	v_bfe_u32 v9, v6, 16, 1
	v_add3_u32 v9, v9, v6, s44
	v_or_b32_e32 v13, 0x400000, v6
	v_cmp_u_f32_e32 vcc, v6, v6
	v_cndmask_b32_e32 v52, v9, v13, vcc
	s_waitcnt vmcnt(0)
	v_mul_f32_e32 v6, v28, v0
	buffer_load_dword v0, off, s[0:3], s32 offset:160 ; 4-byte Folded Reload
	v_bfe_u32 v9, v6, 16, 1
	v_add3_u32 v9, v9, v6, s44
	v_or_b32_e32 v13, 0x400000, v6
	v_cmp_u_f32_e32 vcc, v6, v6
	v_cndmask_b32_e32 v50, v9, v13, vcc
	s_waitcnt vmcnt(0)
	v_mul_f32_e32 v6, v28, v0
	buffer_load_dword v0, off, s[0:3], s32 offset:156 ; 4-byte Folded Reload
	v_bfe_u32 v9, v6, 16, 1
	v_add3_u32 v9, v9, v6, s44
	v_or_b32_e32 v13, 0x400000, v6
	v_cmp_u_f32_e32 vcc, v6, v6
	v_cndmask_b32_e32 v51, v9, v13, vcc
	s_waitcnt vmcnt(0)
	v_mul_f32_e32 v6, v28, v0
	buffer_load_dword v0, off, s[0:3], s32 offset:152 ; 4-byte Folded Reload
	v_bfe_u32 v9, v6, 16, 1
	v_add3_u32 v9, v9, v6, s44
	v_or_b32_e32 v13, 0x400000, v6
	v_cmp_u_f32_e32 vcc, v6, v6
	v_cndmask_b32_e32 v49, v9, v13, vcc
	s_waitcnt vmcnt(0)
	v_mul_f32_e32 v6, v28, v0
	buffer_load_dword v0, off, s[0:3], s32 offset:316 ; 4-byte Folded Reload
	v_bfe_u32 v9, v6, 16, 1
	v_add3_u32 v9, v9, v6, s44
	v_or_b32_e32 v13, 0x400000, v6
	v_cmp_u_f32_e32 vcc, v6, v6
	v_cndmask_b32_e32 v43, v9, v13, vcc
	s_waitcnt vmcnt(0)
	v_mul_f32_e32 v6, v28, v0
	buffer_load_dword v0, off, s[0:3], s32 offset:148 ; 4-byte Folded Reload
	v_bfe_u32 v9, v6, 16, 1
	v_add3_u32 v9, v9, v6, s44
	v_or_b32_e32 v13, 0x400000, v6
	v_cmp_u_f32_e32 vcc, v6, v6
	v_cndmask_b32_e32 v27, v9, v13, vcc
	s_waitcnt vmcnt(0)
	v_mul_f32_e32 v6, v28, v0
	buffer_load_dword v0, off, s[0:3], s32 offset:144 ; 4-byte Folded Reload
	v_bfe_u32 v9, v6, 16, 1
	v_add3_u32 v9, v9, v6, s44
	v_or_b32_e32 v13, 0x400000, v6
	v_cmp_u_f32_e32 vcc, v6, v6
	v_cndmask_b32_e32 v38, v9, v13, vcc
	s_waitcnt vmcnt(0)
	v_mul_f32_e32 v6, v28, v0
	buffer_load_dword v0, off, s[0:3], s32 offset:140 ; 4-byte Folded Reload
	v_bfe_u32 v9, v6, 16, 1
	v_add3_u32 v9, v9, v6, s44
	v_or_b32_e32 v13, 0x400000, v6
	v_cmp_u_f32_e32 vcc, v6, v6
	v_cndmask_b32_e32 v37, v9, v13, vcc
	s_waitcnt vmcnt(0)
	v_mul_f32_e32 v6, v28, v0
	buffer_load_dword v0, off, s[0:3], s32 offset:312 ; 4-byte Folded Reload
	v_bfe_u32 v9, v6, 16, 1
	v_add3_u32 v9, v9, v6, s44
	v_or_b32_e32 v13, 0x400000, v6
	v_cmp_u_f32_e32 vcc, v6, v6
	v_cndmask_b32_e32 v62, v9, v13, vcc
	s_waitcnt vmcnt(0)
	v_mul_f32_e32 v6, v28, v0
	buffer_load_dword v0, off, s[0:3], s32 offset:136 ; 4-byte Folded Reload
	v_bfe_u32 v9, v6, 16, 1
	v_add3_u32 v9, v9, v6, s44
	v_or_b32_e32 v13, 0x400000, v6
	v_cmp_u_f32_e32 vcc, v6, v6
	v_cndmask_b32_e32 v39, v9, v13, vcc
	s_waitcnt vmcnt(0)
	v_mul_f32_e32 v6, v28, v0
	buffer_load_dword v0, off, s[0:3], s32 offset:132 ; 4-byte Folded Reload
	v_bfe_u32 v9, v6, 16, 1
	v_add3_u32 v9, v9, v6, s44
	v_or_b32_e32 v13, 0x400000, v6
	v_cmp_u_f32_e32 vcc, v6, v6
	v_cndmask_b32_e32 v33, v9, v13, vcc
	s_waitcnt vmcnt(0)
	v_mul_f32_e32 v6, v28, v0
	buffer_load_dword v0, off, s[0:3], s32 offset:128 ; 4-byte Folded Reload
	v_bfe_u32 v9, v6, 16, 1
	v_add3_u32 v9, v9, v6, s44
	v_or_b32_e32 v13, 0x400000, v6
	v_cmp_u_f32_e32 vcc, v6, v6
	v_cndmask_b32_e32 v31, v9, v13, vcc
	s_waitcnt vmcnt(0)
	v_mul_f32_e32 v6, v28, v0
	buffer_load_dword v0, off, s[0:3], s32 offset:308 ; 4-byte Folded Reload
	v_bfe_u32 v9, v6, 16, 1
	v_add3_u32 v9, v9, v6, s44
	v_or_b32_e32 v13, 0x400000, v6
	v_cmp_u_f32_e32 vcc, v6, v6
	v_cndmask_b32_e32 v6, v9, v13, vcc
	s_waitcnt vmcnt(0)
	v_mul_f32_e32 v9, v28, v0
	buffer_load_dword v0, off, s[0:3], s32 offset:124 ; 4-byte Folded Reload
	v_bfe_u32 v13, v9, 16, 1
	v_add3_u32 v13, v13, v9, s44
	v_or_b32_e32 v22, 0x400000, v9
	v_cmp_u_f32_e32 vcc, v9, v9
	v_cndmask_b32_e32 v58, v13, v22, vcc
	s_waitcnt vmcnt(0)
	v_mul_f32_e32 v9, v28, v0
	buffer_load_dword v0, off, s[0:3], s32 offset:120 ; 4-byte Folded Reload
	v_bfe_u32 v13, v9, 16, 1
	v_add3_u32 v13, v13, v9, s44
	v_or_b32_e32 v22, 0x400000, v9
	v_cmp_u_f32_e32 vcc, v9, v9
	v_cndmask_b32_e32 v56, v13, v22, vcc
	s_waitcnt vmcnt(0)
	v_mul_f32_e32 v9, v28, v0
	buffer_load_dword v0, off, s[0:3], s32 offset:116 ; 4-byte Folded Reload
	v_bfe_u32 v13, v9, 16, 1
	v_add3_u32 v13, v13, v9, s44
	v_or_b32_e32 v22, 0x400000, v9
	v_cmp_u_f32_e32 vcc, v9, v9
	v_cndmask_b32_e32 v47, v13, v22, vcc
	s_waitcnt vmcnt(0)
	v_mul_f32_e32 v9, v28, v0
	buffer_load_dword v0, off, s[0:3], s32 offset:304 ; 4-byte Folded Reload
	v_bfe_u32 v13, v9, 16, 1
	v_add3_u32 v13, v13, v9, s44
	v_or_b32_e32 v22, 0x400000, v9
	v_cmp_u_f32_e32 vcc, v9, v9
	v_cndmask_b32_e32 v46, v13, v22, vcc
	s_waitcnt vmcnt(0)
	v_mul_f32_e32 v9, v28, v0
	buffer_load_dword v0, off, s[0:3], s32 offset:112 ; 4-byte Folded Reload
	v_bfe_u32 v13, v9, 16, 1
	v_add3_u32 v13, v13, v9, s44
	v_or_b32_e32 v22, 0x400000, v9
	v_cmp_u_f32_e32 vcc, v9, v9
	v_cndmask_b32_e32 v40, v13, v22, vcc
	s_waitcnt vmcnt(0)
	v_mul_f32_e32 v9, v28, v0
	buffer_load_dword v0, off, s[0:3], s32 offset:108 ; 4-byte Folded Reload
	v_bfe_u32 v13, v9, 16, 1
	v_add3_u32 v13, v13, v9, s44
	v_or_b32_e32 v22, 0x400000, v9
	v_cmp_u_f32_e32 vcc, v9, v9
	v_cndmask_b32_e32 v13, v13, v22, vcc
	s_waitcnt vmcnt(0)
	v_mul_f32_e32 v9, v28, v0
	buffer_load_dword v0, off, s[0:3], s32 offset:104 ; 4-byte Folded Reload
	v_bfe_u32 v22, v9, 16, 1
	v_add3_u32 v22, v22, v9, s44
	v_or_b32_e32 v25, 0x400000, v9
	v_cmp_u_f32_e32 vcc, v9, v9
	v_cndmask_b32_e32 v30, v22, v25, vcc
	s_waitcnt vmcnt(0)
	v_mul_f32_e32 v9, v28, v0
	buffer_load_dword v0, off, s[0:3], s32 offset:300 ; 4-byte Folded Reload
	v_bfe_u32 v22, v9, 16, 1
	v_add3_u32 v22, v22, v9, s44
	v_or_b32_e32 v25, 0x400000, v9
	v_cmp_u_f32_e32 vcc, v9, v9
	v_cndmask_b32_e32 v22, v22, v25, vcc
	s_waitcnt vmcnt(0)
	v_mul_f32_e32 v9, v28, v0
	buffer_load_dword v0, off, s[0:3], s32 offset:100 ; 4-byte Folded Reload
	v_bfe_u32 v25, v9, 16, 1
	v_add3_u32 v25, v25, v9, s44
	v_or_b32_e32 v54, 0x400000, v9
	v_cmp_u_f32_e32 vcc, v9, v9
	v_cndmask_b32_e32 v9, v25, v54, vcc
	s_waitcnt vmcnt(0)
	v_mul_f32_e32 v25, v28, v0
	buffer_load_dword v0, off, s[0:3], s32 offset:96 ; 4-byte Folded Reload
	v_bfe_u32 v54, v25, 16, 1
	v_add3_u32 v54, v54, v25, s44
	v_or_b32_e32 v45, 0x400000, v25
	v_cmp_u_f32_e32 vcc, v25, v25
	v_cndmask_b32_e32 v41, v54, v45, vcc
	s_waitcnt vmcnt(0)
	v_mul_f32_e32 v25, v28, v0
	buffer_load_dword v0, off, s[0:3], s32 offset:92 ; 4-byte Folded Reload
	v_bfe_u32 v54, v25, 16, 1
	v_add3_u32 v54, v54, v25, s44
	v_or_b32_e32 v45, 0x400000, v25
	v_cmp_u_f32_e32 vcc, v25, v25
	v_cndmask_b32_e32 v1, v54, v45, vcc
	s_waitcnt vmcnt(0)
	v_mul_f32_e32 v25, v28, v0
	buffer_load_dword v0, off, s[0:3], s32 offset:296 ; 4-byte Folded Reload
	v_bfe_u32 v54, v25, 16, 1
	v_add3_u32 v54, v54, v25, s44
	v_or_b32_e32 v45, 0x400000, v25
	v_cmp_u_f32_e32 vcc, v25, v25
	v_cndmask_b32_e32 v54, v54, v45, vcc
	s_waitcnt vmcnt(0)
	v_mul_f32_e32 v25, v28, v0
	v_bfe_u32 v45, v25, 16, 1
	v_add3_u32 v45, v45, v25, s44
	v_or_b32_e32 v57, 0x400000, v25
	v_cmp_u_f32_e32 vcc, v25, v25
	v_mul_f32_e32 v25, v28, v18
	buffer_load_dword v18, off, s[0:3], s32 offset:84 ; 4-byte Folded Reload
	v_cndmask_b32_e32 v0, v45, v57, vcc
	v_bfe_u32 v45, v25, 16, 1
	v_add3_u32 v45, v45, v25, s44
	v_or_b32_e32 v57, 0x400000, v25
	v_cmp_u_f32_e32 vcc, v25, v25
	v_cndmask_b32_e32 v25, v45, v57, vcc
	v_and_b32_e32 v0, 0xffff0000, v0
	s_waitcnt vmcnt(0)
	v_mul_f32_e32 v45, v28, v18
	buffer_load_dword v18, off, s[0:3], s32 offset:292 ; 4-byte Folded Reload
	v_bfe_u32 v57, v45, 16, 1
	v_add3_u32 v57, v57, v45, s44
	v_or_b32_e32 v48, 0x400000, v45
	v_cmp_u_f32_e32 vcc, v45, v45
	v_mul_f32_e32 v45, v28, v26
	v_cndmask_b32_e32 v48, v57, v48, vcc
	v_bfe_u32 v57, v45, 16, 1
	v_add3_u32 v57, v57, v45, s44
	v_or_b32_e32 v26, 0x400000, v45
	v_cmp_u_f32_e32 vcc, v45, v45
	v_cndmask_b32_e32 v45, v57, v26, vcc
	v_and_b32_e32 v48, 0xffff0000, v48
	s_waitcnt vmcnt(0)
	v_mul_f32_e32 v26, v28, v18
	v_bfe_u32 v57, v26, 16, 1
	v_add3_u32 v57, v57, v26, s44
	v_or_b32_e32 v18, 0x400000, v26
	v_cmp_u_f32_e32 vcc, v26, v26
	v_mul_f32_e32 v26, v28, v63
	v_cndmask_b32_e32 v18, v57, v18, vcc
	v_bfe_u32 v57, v26, 16, 1
	v_add3_u32 v57, v57, v26, s44
	v_or_b32_e32 v21, 0x400000, v26
	v_cmp_u_f32_e32 vcc, v26, v26
	buffer_load_dword v26, off, s[0:3], s32 offset:384 ; 4-byte Folded Reload
	v_cndmask_b32_e32 v21, v57, v21, vcc
	v_and_b32_e32 v21, 0xffff0000, v21
	v_and_b32_e32 v18, 0xffff0000, v18
	s_waitcnt vmcnt(0)
	v_mul_f32_e32 v26, v28, v26
	v_bfe_u32 v57, v26, 16, 1
	v_add3_u32 v57, v57, v26, s44
	v_or_b32_e32 v42, 0x400000, v26
	v_cmp_u_f32_e32 vcc, v26, v26
	buffer_load_dword v26, off, s[0:3], s32 offset:492 ; 4-byte Folded Reload
	v_cndmask_b32_e32 v42, v57, v42, vcc
	s_waitcnt vmcnt(0)
	v_mul_f32_e32 v26, v28, v26
	v_bfe_u32 v57, v26, 16, 1
	v_add3_u32 v57, v57, v26, s44
	v_or_b32_e32 v63, 0x400000, v26
	v_cmp_u_f32_e32 vcc, v26, v26
	v_bfe_u32 v26, v24, 16, 1
	v_cndmask_b32_e32 v57, v57, v63, vcc
	v_add3_u32 v26, v26, v24, s44
	v_or_b32_e32 v63, 0x400000, v24
	v_cmp_u_f32_e32 vcc, v24, v24
	v_and_b32_e32 v24, 0xffff0000, v42
	buffer_load_dword v42, off, s[0:3], s32 offset:640 ; 4-byte Folded Reload
	v_cndmask_b32_e32 v26, v26, v63, vcc
	s_waitcnt vmcnt(0)
	v_mul_f32_e32 v48, v42, v48
	buffer_load_dword v42, off, s[0:3], s32 offset:624 ; 4-byte Folded Reload
	s_waitcnt vmcnt(0)
	v_fmac_f32_e32 v48, v42, v24
	v_and_b32_e32 v24, 0xffff0000, v25
	buffer_load_dword v25, off, s[0:3], s32 offset:644 ; 4-byte Folded Reload
	s_waitcnt vmcnt(0)
	v_mul_f32_e32 v25, v25, v24
	buffer_load_dword v24, off, s[0:3], s32 offset:628 ; 4-byte Folded Reload
	s_waitcnt vmcnt(0)
	v_fmac_f32_e32 v25, v24, v21
	v_and_b32_e32 v24, 0xffff0000, v54
	buffer_load_dword v54, off, s[0:3], s32 offset:648 ; 4-byte Folded Reload
	v_and_b32_e32 v21, 0xffff0000, v45
	s_waitcnt vmcnt(0)
	v_mul_f32_e32 v45, v54, v24
	buffer_load_dword v24, off, s[0:3], s32 offset:632 ; 4-byte Folded Reload
	s_waitcnt vmcnt(0)
	v_fmac_f32_e32 v45, v24, v21
	buffer_load_dword v21, off, s[0:3], s32 offset:652 ; 4-byte Folded Reload
	s_waitcnt vmcnt(0)
	v_mul_f32_e32 v54, v21, v0
	buffer_load_dword v0, off, s[0:3], s32 offset:636 ; 4-byte Folded Reload
	s_waitcnt vmcnt(0)
	v_fmac_f32_e32 v54, v0, v18
	v_and_b32_e32 v0, 0xffff0000, v1
	buffer_load_dword v1, off, s[0:3], s32 offset:656 ; 4-byte Folded Reload
	s_waitcnt vmcnt(0)
	v_fmac_f32_e32 v48, v1, v0
	buffer_load_dword v1, off, s[0:3], s32 offset:660 ; 4-byte Folded Reload
	v_and_b32_e32 v0, 0xffff0000, v41
	s_waitcnt vmcnt(0)
	v_fmac_f32_e32 v25, v1, v0
	buffer_load_dword v1, off, s[0:3], s32 offset:664 ; 4-byte Folded Reload
	v_and_b32_e32 v0, 0xffff0000, v22
	;; [unrolled: 4-line block ×49, first 2 shown]
	s_waitcnt vmcnt(0)
	v_fmac_f32_e32 v25, v1, v0
	buffer_load_dword v0, off, s[0:3], s32 offset:248 ; 4-byte Folded Reload
	buffer_load_dword v1, off, s[0:3], s32 offset:856 ; 4-byte Folded Reload
	s_waitcnt vmcnt(1)
	v_and_b32_e32 v0, 0xffff0000, v0
	s_waitcnt vmcnt(0)
	v_fmac_f32_e32 v45, v1, v0
	buffer_load_dword v1, off, s[0:3], s32 offset:860 ; 4-byte Folded Reload
	v_and_b32_e32 v0, 0xffff0000, v35
	s_waitcnt vmcnt(0)
	v_fmac_f32_e32 v54, v1, v0
	buffer_load_dword v0, off, s[0:3], s32 offset:252 ; 4-byte Folded Reload
	buffer_load_dword v1, off, s[0:3], s32 offset:864 ; 4-byte Folded Reload
	s_waitcnt vmcnt(1)
	v_and_b32_e32 v0, 0xffff0000, v0
	s_waitcnt vmcnt(0)
	v_fmac_f32_e32 v48, v1, v0
	buffer_load_dword v0, off, s[0:3], s32 offset:256 ; 4-byte Folded Reload
	buffer_load_dword v1, off, s[0:3], s32 offset:868 ; 4-byte Folded Reload
	s_waitcnt vmcnt(1)
	;; [unrolled: 6-line block ×66, first 2 shown]
	v_and_b32_e32 v0, 0xffff0000, v0
	s_waitcnt vmcnt(0)
	v_fmac_f32_e32 v25, v1, v0
	buffer_load_dword v1, off, s[0:3], s32 offset:1128 ; 4-byte Folded Reload
	v_and_b32_e32 v0, 0xffff0000, v57
	s_waitcnt vmcnt(0)
	v_fmac_f32_e32 v45, v1, v0
	buffer_load_dword v1, off, s[0:3], s32 offset:1132 ; 4-byte Folded Reload
	;; [unrolled: 4-line block ×3, first 2 shown]
	v_add_f32_e32 v0, v48, v25
	v_add_f32_e32 v0, v0, v45
	;; [unrolled: 1-line block ×3, first 2 shown]
	s_waitcnt vmcnt(0)
	ds_bpermute_b32 v1, v1, v0
	s_mov_b64 s[26:27], exec
	buffer_load_dword v7, off, s[0:3], s32 offset:380 ; 4-byte Folded Reload
	s_and_b64 s[28:29], s[26:27], s[8:9]
	s_mov_b64 exec, s[28:29]
	s_cbranch_execz .LBB328_8
; %bb.778:                              ;   in Loop: Header=BB328_9 Depth=1
	buffer_load_dword v3, off, s[0:3], s32 offset:68 ; 4-byte Folded Reload
	buffer_load_dword v5, off, s[0:3], s32 offset:364 ; 4-byte Folded Reload
	s_waitcnt lgkmcnt(0)
	v_add_f32_e32 v0, v0, v1
	buffer_load_dword v1, off, s[0:3], s32 offset:1148 ; 4-byte Folded Reload
	s_load_dword s28, s[22:23], 0x0
	buffer_load_dword v4, off, s[0:3], s32 offset:1152 ; 4-byte Folded Reload
	s_waitcnt vmcnt(3)
	v_sub_u32_e32 v2, 1, v3
	s_waitcnt vmcnt(2)
	v_add_u32_e32 v2, v2, v5
	v_cvt_f32_i32_e32 v2, v2
	v_cmp_lt_i32_e32 vcc, v5, v3
	s_waitcnt vmcnt(1)
	v_mul_f32_e32 v1, v1, v2
	buffer_load_dword v2, off, s[0:3], s32 offset:368 ; 4-byte Folded Reload
	v_cndmask_b32_e64 v1, 0, v1, s[10:11]
	s_waitcnt vmcnt(1)
	v_fmac_f32_e32 v1, v4, v0
	v_cndmask_b32_e32 v0, 0, v1, vcc
	s_waitcnt vmcnt(0) lgkmcnt(0)
	v_add_u32_e32 v2, s28, v2
	ds_write_b32 v2, v0
	buffer_load_dword v2, off, s[0:3], s32 offset:612 ; 4-byte Folded Reload
	s_waitcnt vmcnt(0)
	v_max_f32_e32 v0, v2, v2
	v_max_f32_e32 v0, v0, v1
	v_cndmask_b32_e32 v2, v2, v0, vcc
	buffer_store_dword v2, off, s[0:3], s32 offset:612 ; 4-byte Folded Spill
	s_branch .LBB328_8
.LBB328_779:
	s_or_b64 exec, exec, s[24:25]
.LBB328_780:
	s_or_b64 exec, exec, s[12:13]
	buffer_load_dword v7, off, s[0:3], s32 offset:1160 ; 4-byte Folded Reload
	buffer_load_dword v8, off, s[0:3], s32 offset:1164 ; 4-byte Folded Reload
	;; [unrolled: 1-line block ×3, first 2 shown]
	s_waitcnt lgkmcnt(0)
	s_lshr_b32 s19, s19, 16
	s_waitcnt vmcnt(2)
	v_xor_b32_e32 v0, 32, v7
	s_waitcnt vmcnt(1)
	v_cmp_lt_i32_e32 vcc, v0, v8
	v_cndmask_b32_e32 v0, v7, v0, vcc
	v_lshlrev_b32_e32 v1, 2, v0
	s_waitcnt vmcnt(0)
	ds_bpermute_b32 v0, v1, v2
	v_xor_b32_e32 v3, 16, v7
	v_max_f32_e32 v2, v2, v2
	v_cmp_lt_i32_e32 vcc, v3, v8
	v_xor_b32_e32 v4, 8, v7
	s_waitcnt lgkmcnt(0)
	v_max_f32_e32 v0, v0, v0
	v_max_f32_e32 v0, v2, v0
	v_cndmask_b32_e32 v2, v7, v3, vcc
	v_lshlrev_b32_e32 v2, 2, v2
	ds_bpermute_b32 v3, v2, v0
	v_cmp_lt_i32_e32 vcc, v4, v8
	v_xor_b32_e32 v5, 4, v7
	v_xor_b32_e32 v6, 2, v7
	s_waitcnt lgkmcnt(0)
	v_max_f32_e32 v3, v3, v3
	v_max_f32_e32 v0, v0, v3
	v_cndmask_b32_e32 v3, v7, v4, vcc
	v_lshlrev_b32_e32 v3, 2, v3
	ds_bpermute_b32 v4, v3, v0
	v_cmp_lt_i32_e32 vcc, v5, v8
	s_waitcnt lgkmcnt(0)
	v_max_f32_e32 v4, v4, v4
	v_max_f32_e32 v0, v0, v4
	v_cndmask_b32_e32 v4, v7, v5, vcc
	v_lshlrev_b32_e32 v4, 2, v4
	ds_bpermute_b32 v5, v4, v0
	v_cmp_lt_i32_e32 vcc, v6, v8
	s_waitcnt lgkmcnt(0)
	v_max_f32_e32 v5, v5, v5
	v_max_f32_e32 v0, v0, v5
	v_cndmask_b32_e32 v5, v7, v6, vcc
	v_lshlrev_b32_e32 v17, 2, v5
	buffer_load_dword v5, off, s[0:3], s32 offset:1156 ; 4-byte Folded Reload
	ds_bpermute_b32 v6, v17, v0
	s_waitcnt vmcnt(0)
	v_and_b32_e32 v24, 63, v5
	buffer_load_dword v5, off, s[0:3], s32 offset:76 ; 4-byte Folded Reload
	v_cmp_eq_u32_e32 vcc, 0, v24
	s_waitcnt vmcnt(0)
	v_lshlrev_b32_e32 v5, 2, v5
	s_and_saveexec_b64 s[8:9], vcc
	s_cbranch_execz .LBB328_782
; %bb.781:
	s_waitcnt lgkmcnt(0)
	v_max_f32_e32 v6, v6, v6
	v_max_f32_e32 v0, v0, v0
	;; [unrolled: 1-line block ×3, first 2 shown]
	ds_write_b32 v5, v0 offset:512
.LBB328_782:
	s_or_b64 exec, exec, s[8:9]
	v_cmp_gt_u32_e64 s[8:9], 2, v24
	v_mov_b32_e32 v0, 0xff7fffff
	s_waitcnt lgkmcnt(0)
	v_lshlrev_b32_e32 v6, 2, v24
	s_barrier
	s_and_saveexec_b64 s[10:11], s[8:9]
; %bb.783:
	ds_read_b32 v0, v6 offset:512
; %bb.784:
	s_or_b64 exec, exec, s[10:11]
	buffer_load_dword v8, off, s[0:3], s32 offset:1160 ; 4-byte Folded Reload
	buffer_load_dword v9, off, s[0:3], s32 offset:1164 ; 4-byte Folded Reload
	s_waitcnt vmcnt(1)
	v_xor_b32_e32 v7, 1, v8
	s_waitcnt vmcnt(0)
	v_cmp_lt_i32_e64 s[10:11], v7, v9
	v_cndmask_b32_e64 v7, v8, v7, s[10:11]
	v_lshlrev_b32_e32 v23, 2, v7
	s_waitcnt lgkmcnt(0)
	ds_bpermute_b32 v7, v23, v0
	v_max_f32_e32 v0, v0, v0
	buffer_load_dword v8, off, s[0:3], s32 offset:68 ; 4-byte Folded Reload
	s_waitcnt lgkmcnt(0)
	v_max_f32_e32 v7, v7, v7
	v_max_f32_e32 v0, v0, v7
	buffer_load_dword v7, off, s[0:3], s32 offset:1196 ; 4-byte Folded Reload
	s_waitcnt vmcnt(0)
	v_lshlrev_b32_e32 v7, 2, v7
	ds_bpermute_b32 v7, v7, v0
	buffer_load_dword v0, off, s[0:3], s32 offset:80 ; 4-byte Folded Reload
	s_waitcnt vmcnt(0)
	v_lshlrev_b32_e32 v0, 5, v0
	v_min_i32_e32 v0, v0, v8
	buffer_load_dword v8, off, s[0:3], s32 offset:1156 ; 4-byte Folded Reload
	s_waitcnt vmcnt(0)
	v_cmp_lt_i32_e64 s[10:11], v8, v0
	v_mov_b32_e32 v8, 0
	s_and_saveexec_b64 s[22:23], s[10:11]
	s_cbranch_execz .LBB328_788
; %bb.785:
	buffer_load_dword v10, off, s[0:3], s32 offset:1156 ; 4-byte Folded Reload
	s_ashr_i32 s21, s20, 31
	s_lshl_b64 s[12:13], s[20:21], 2
	s_getpc_b64 s[24:25]
	s_add_u32 s24, s24, llvm.amdgcn.dynlds.offset.table@rel32@lo+4
	s_addc_u32 s25, s25, llvm.amdgcn.dynlds.offset.table@rel32@hi+12
	s_add_u32 s12, s24, s12
	s_addc_u32 s13, s25, s13
	s_load_dword s12, s[12:13], 0x0
	v_mov_b32_e32 v8, 0
	s_mov_b64 s[24:25], 0
	s_waitcnt vmcnt(0) lgkmcnt(0)
	v_lshl_add_u32 v9, v10, 2, s12
.LBB328_786:                            ; =>This Inner Loop Header: Depth=1
	ds_read_b32 v11, v9
	v_add_u32_e32 v10, 0x80, v10
	v_cmp_ge_i32_e64 s[12:13], v10, v0
	s_or_b64 s[24:25], s[12:13], s[24:25]
	s_waitcnt lgkmcnt(0)
	v_sub_f32_e32 v11, v11, v7
	v_mul_f32_e32 v11, 0x3fb8aa3b, v11
	v_exp_f32_e32 v11, v11
	ds_write_b32 v9, v11
	v_add_f32_e32 v8, v8, v11
	v_add_u32_e32 v9, 0x200, v9
	s_andn2_b64 exec, exec, s[24:25]
	s_cbranch_execnz .LBB328_786
; %bb.787:
	s_or_b64 exec, exec, s[24:25]
.LBB328_788:
	s_or_b64 exec, exec, s[22:23]
	ds_bpermute_b32 v1, v1, v8
	s_waitcnt lgkmcnt(0)
	v_add_f32_e32 v1, v8, v1
	ds_bpermute_b32 v2, v2, v1
	s_waitcnt lgkmcnt(0)
	v_add_f32_e32 v1, v1, v2
	;; [unrolled: 3-line block ×6, first 2 shown]
	s_and_saveexec_b64 s[12:13], vcc
; %bb.789:
	ds_write_b32 v5, v1 offset:520
; %bb.790:
	s_or_b64 exec, exec, s[12:13]
	s_waitcnt lgkmcnt(0)
	s_barrier
	s_and_saveexec_b64 s[12:13], s[8:9]
; %bb.791:
	ds_read_b32 v1, v6 offset:520
; %bb.792:
	s_or_b64 exec, exec, s[12:13]
	buffer_load_dword v3, off, s[0:3], s32 offset:1160 ; 4-byte Folded Reload
	s_waitcnt lgkmcnt(0)
	ds_bpermute_b32 v2, v23, v1
	s_waitcnt lgkmcnt(0)
	v_add_f32_e32 v1, v1, v2
	s_waitcnt vmcnt(0)
	v_lshlrev_b32_e32 v3, 2, v3
	v_and_b32_e32 v2, 0xffffff00, v3
	ds_bpermute_b32 v1, v2, v1
	s_and_saveexec_b64 s[8:9], s[10:11]
	s_cbranch_execz .LBB328_795
; %bb.793:
	s_waitcnt lgkmcnt(0)
	v_add_f32_e32 v2, 0x358637bd, v1
	v_div_scale_f32 v1, s[10:11], v2, v2, 1.0
	v_div_scale_f32 v3, vcc, 1.0, v2, 1.0
	s_ashr_i32 s21, s20, 31
	s_getpc_b64 s[10:11]
	s_add_u32 s10, s10, llvm.amdgcn.dynlds.offset.table@rel32@lo+4
	s_addc_u32 s11, s11, llvm.amdgcn.dynlds.offset.table@rel32@hi+12
	s_lshl_b64 s[12:13], s[20:21], 2
	s_add_u32 s10, s10, s12
	s_addc_u32 s11, s11, s13
	s_load_dword s12, s[10:11], 0x0
	s_mov_b64 s[10:11], 0
	v_rcp_f32_e32 v4, v1
	v_fma_f32 v5, -v1, v4, 1.0
	v_fmac_f32_e32 v4, v5, v4
	v_mul_f32_e32 v5, v3, v4
	v_fma_f32 v6, -v1, v5, v3
	v_fmac_f32_e32 v5, v6, v4
	v_fma_f32 v1, -v1, v5, v3
	v_div_fmas_f32 v3, v1, v4, v5
	buffer_load_dword v4, off, s[0:3], s32 offset:1156 ; 4-byte Folded Reload
	v_div_fixup_f32 v2, v3, v2, 1.0
	s_waitcnt vmcnt(0) lgkmcnt(0)
	v_lshl_add_u32 v1, v4, 2, s12
	v_mov_b32_e32 v3, v4
.LBB328_794:                            ; =>This Inner Loop Header: Depth=1
	ds_read_b32 v4, v1
	v_add_u32_e32 v3, 0x80, v3
	v_cmp_ge_i32_e32 vcc, v3, v0
	s_or_b64 s[10:11], vcc, s[10:11]
	s_waitcnt lgkmcnt(0)
	v_mul_f32_e32 v4, v2, v4
	ds_write_b32 v1, v4
	v_add_u32_e32 v1, 0x200, v1
	s_andn2_b64 exec, exec, s[10:11]
	s_cbranch_execnz .LBB328_794
.LBB328_795:
	s_or_b64 exec, exec, s[8:9]
	s_waitcnt lgkmcnt(0)
	s_barrier
	s_mov_b64 s[8:9], exec
	buffer_load_dword v0, off, s[0:3], s32 offset:1156 ; 4-byte Folded Reload
	s_and_b64 s[10:11], s[8:9], s[6:7]
	s_xor_b64 s[6:7], s[10:11], s[8:9]
	s_mov_b64 exec, s[10:11]
; %bb.796:
                                        ; implicit-def: $vgpr1
                                        ; kill: killed $vgpr1
	s_ashr_i32 s21, s20, 31
                                        ; implicit-def: $vgpr1
                                        ; kill: killed $vgpr1
                                        ; implicit-def: $vgpr1
                                        ; kill: killed $vgpr1
	;; [unrolled: 2-line block ×7, first 2 shown]
                                        ; implicit-def: $vgpr1_vgpr2
                                        ; kill: killed $vgpr1_vgpr2
                                        ; implicit-def: $vgpr1
                                        ; kill: killed $vgpr1
                                        ; implicit-def: $vgpr1
                                        ; kill: killed $vgpr1
	;; [unrolled: 2-line block ×3, first 2 shown]
                                        ; implicit-def: $vgpr1_vgpr2
                                        ; kill: killed $vgpr1_vgpr2
                                        ; implicit-def: $vgpr1
                                        ; kill: killed $vgpr1
; %bb.797:
	s_or_saveexec_b64 s[8:9], s[6:7]
	v_mov_b32_e32 v4, s20
	v_mov_b32_e32 v3, 0
	;; [unrolled: 1-line block ×3, first 2 shown]
	s_waitcnt vmcnt(0)
	v_and_b32_e32 v0, 3, v0
	v_mov_b32_e32 v13, 0
	v_mov_b32_e32 v14, 0
	;; [unrolled: 1-line block ×15, first 2 shown]
	buffer_store_dword v0, off, s[0:3], s32 offset:508 ; 4-byte Folded Spill
	s_xor_b64 exec, exec, s[8:9]
	s_cbranch_execz .LBB328_1601
; %bb.798:
	buffer_store_dword v23, off, s[0:3], s32 offset:520 ; 4-byte Folded Spill
	buffer_store_dword v17, off, s[0:3], s32 offset:516 ; 4-byte Folded Spill
	;; [unrolled: 1-line block ×3, first 2 shown]
	buffer_load_dword v0, off, s[0:3], s32 offset:1216 ; 4-byte Folded Reload
	buffer_load_dword v1, off, s[0:3], s32 offset:1220 ; 4-byte Folded Reload
	;; [unrolled: 1-line block ×3, first 2 shown]
	s_ashr_i32 s21, s20, 31
	s_lshl_b64 s[6:7], s[20:21], 2
	s_getpc_b64 s[12:13]
	s_add_u32 s12, s12, llvm.amdgcn.dynlds.offset.table@rel32@lo+4
	s_addc_u32 s13, s13, llvm.amdgcn.dynlds.offset.table@rel32@hi+12
	s_add_u32 s6, s12, s6
	s_addc_u32 s7, s13, s7
	s_mov_b32 s10, -1
	s_mov_b32 s11, 0xffffff
	v_mov_b32_e32 v15, 0
	s_mov_b64 s[12:13], 0
	s_movk_i32 s28, 0x80
	s_movk_i32 s29, 0x7f
	;; [unrolled: 1-line block ×3, first 2 shown]
	v_mov_b32_e32 v19, 0
	s_waitcnt vmcnt(1)
	flat_load_dword v40, v[0:1]
	s_nop 0
	buffer_load_dword v1, off, s[0:3], s32 offset:1212 ; 4-byte Folded Reload
	buffer_load_dword v2, off, s[0:3], s32 offset:1188 ; 4-byte Folded Reload
	s_waitcnt vmcnt(0)
	v_and_b32_e32 v0, 24, v3
	v_add_co_u32_e32 v1, vcc, v1, v2
	buffer_load_dword v2, off, s[0:3], s32 offset:1208 ; 4-byte Folded Reload
	buffer_load_dword v4, off, s[0:3], s32 offset:1192 ; 4-byte Folded Reload
	s_waitcnt vmcnt(0)
	v_addc_co_u32_e32 v2, vcc, v2, v4, vcc
	buffer_store_dword v1, off, s[0:3], s32 offset:492 ; 4-byte Folded Spill
	s_nop 0
	buffer_store_dword v2, off, s[0:3], s32 offset:496 ; 4-byte Folded Spill
	v_and_b32_e32 v1, 0x1f8, v3
	buffer_store_dword v1, off, s[0:3], s32 offset:500 ; 4-byte Folded Spill
	v_or_b32_e32 v1, 0x1e00, v3
	buffer_store_dword v1, off, s[0:3], s32 offset:504 ; 4-byte Folded Spill
	buffer_load_dword v1, off, s[0:3], s32 offset:1184 ; 4-byte Folded Reload
	s_load_dword s6, s[6:7], 0x0
	buffer_load_dword v2, off, s[0:3], s32 offset:1176 ; 4-byte Folded Reload
	buffer_load_dword v3, off, s[0:3], s32 offset:1180 ; 4-byte Folded Reload
	s_waitcnt vmcnt(0)
	v_and_b32_e32 v1, 60, v1
	v_add_co_u32_e32 v1, vcc, v1, v2
	v_addc_co_u32_e32 v2, vcc, 0, v3, vcc
	buffer_load_dword v3, off, s[0:3], s32 offset:1172 ; 4-byte Folded Reload
	s_waitcnt vmcnt(0)
	v_add_co_u32_e32 v44, vcc, v3, v1
	buffer_load_dword v1, off, s[0:3], s32 offset:1168 ; 4-byte Folded Reload
	s_waitcnt vmcnt(0)
	v_addc_co_u32_e32 v45, vcc, v1, v2, vcc
	buffer_load_dword v2, off, s[0:3], s32 offset:76 ; 4-byte Folded Reload
	s_waitcnt vmcnt(0)
	v_lshlrev_b32_e32 v1, 5, v2
	v_or3_b32 v49, v1, v0, 7
	buffer_load_dword v0, off, s[0:3], s32 offset:508 ; 4-byte Folded Reload
	s_waitcnt vmcnt(0)
	v_lshlrev_b32_e32 v0, 5, v0
	v_lshl_or_b32 v0, v2, 7, v0
	s_waitcnt lgkmcnt(0)
	v_add_u32_e32 v4, s6, v0
	v_mov_b32_e32 v0, 0
	buffer_store_dword v0, off, s[0:3], s32 offset:424 ; 4-byte Folded Spill
	v_mov_b32_e32 v0, 0
	buffer_store_dword v0, off, s[0:3], s32 offset:428 ; 4-byte Folded Spill
	v_mov_b32_e32 v0, 0
	buffer_store_dword v0, off, s[0:3], s32 offset:432 ; 4-byte Folded Spill
	v_mov_b32_e32 v0, 0
	buffer_store_dword v0, off, s[0:3], s32 offset:436 ; 4-byte Folded Spill
	v_mov_b32_e32 v0, 0
	buffer_store_dword v0, off, s[0:3], s32 offset:440 ; 4-byte Folded Spill
	v_mov_b32_e32 v0, 0
	buffer_store_dword v0, off, s[0:3], s32 offset:444 ; 4-byte Folded Spill
	v_mov_b32_e32 v0, 0
	buffer_store_dword v0, off, s[0:3], s32 offset:448 ; 4-byte Folded Spill
	v_mov_b32_e32 v0, 0
	buffer_store_dword v0, off, s[0:3], s32 offset:452 ; 4-byte Folded Spill
	v_mov_b32_e32 v0, 0
	buffer_store_dword v0, off, s[0:3], s32 offset:456 ; 4-byte Folded Spill
	v_mov_b32_e32 v0, 0
	buffer_store_dword v0, off, s[0:3], s32 offset:460 ; 4-byte Folded Spill
	v_mov_b32_e32 v0, 0
	buffer_store_dword v0, off, s[0:3], s32 offset:464 ; 4-byte Folded Spill
	v_mov_b32_e32 v0, 0
	buffer_store_dword v0, off, s[0:3], s32 offset:468 ; 4-byte Folded Spill
	v_mov_b32_e32 v0, 0
	buffer_store_dword v0, off, s[0:3], s32 offset:472 ; 4-byte Folded Spill
	v_mov_b32_e32 v0, 0
	buffer_store_dword v0, off, s[0:3], s32 offset:480 ; 4-byte Folded Spill
	v_mov_b32_e32 v0, 0
	buffer_store_dword v0, off, s[0:3], s32 offset:476 ; 4-byte Folded Spill
	s_branch .LBB328_800
.LBB328_799:                            ;   in Loop: Header=BB328_800 Depth=1
	s_or_b64 exec, exec, s[22:23]
	v_bfe_u32 v0, v6, 16, 1
	v_add3_u32 v0, v0, v6, s40
	v_or_b32_e32 v1, 0x400000, v6
	v_cmp_u_f32_e32 vcc, v6, v6
	v_cndmask_b32_e32 v25, v0, v1, vcc
	v_bfe_u32 v0, v7, 16, 1
	v_add3_u32 v0, v0, v7, s40
	v_or_b32_e32 v1, 0x400000, v7
	v_cmp_u_f32_e32 vcc, v7, v7
	v_cndmask_b32_e32 v31, v0, v1, vcc
	v_bfe_u32 v0, v8, 16, 1
	v_add3_u32 v0, v0, v8, s40
	v_or_b32_e32 v1, 0x400000, v8
	v_cmp_u_f32_e32 vcc, v8, v8
	v_cndmask_b32_e32 v6, v0, v1, vcc
	v_bfe_u32 v0, v9, 16, 1
	v_add3_u32 v0, v0, v9, s40
	v_or_b32_e32 v1, 0x400000, v9
	v_cmp_u_f32_e32 vcc, v9, v9
	v_cndmask_b32_e32 v7, v0, v1, vcc
	v_bfe_u32 v0, v2, 16, 1
	v_add3_u32 v0, v0, v2, s40
	v_or_b32_e32 v1, 0x400000, v2
	v_cmp_u_f32_e32 vcc, v2, v2
	v_cndmask_b32_e32 v8, v0, v1, vcc
	v_bfe_u32 v0, v3, 16, 1
	v_add3_u32 v0, v0, v3, s40
	v_or_b32_e32 v1, 0x400000, v3
	v_cmp_u_f32_e32 vcc, v3, v3
	v_cndmask_b32_e32 v10, v0, v1, vcc
	v_bfe_u32 v0, v4, 16, 1
	v_add3_u32 v0, v0, v4, s40
	v_or_b32_e32 v1, 0x400000, v4
	v_cmp_u_f32_e32 vcc, v4, v4
	v_cndmask_b32_e32 v9, v0, v1, vcc
	v_bfe_u32 v0, v5, 16, 1
	v_add3_u32 v0, v0, v5, s40
	v_or_b32_e32 v1, 0x400000, v5
	v_cmp_u_f32_e32 vcc, v5, v5
	v_cndmask_b32_e32 v0, v0, v1, vcc
	v_and_b32_e32 v2, 0xffff0000, v31
	v_lshlrev_b32_e32 v1, 16, v61
	v_mul_f32_e32 v1, v2, v1
	v_bfe_u32 v3, v1, 16, 1
	v_add3_u32 v3, v3, v1, s40
	v_or_b32_e32 v4, 0x400000, v1
	v_cmp_u_f32_e32 vcc, v1, v1
	v_cndmask_b32_e32 v1, v3, v4, vcc
	v_and_b32_e32 v5, 0xffff0000, v25
	v_lshlrev_b32_e32 v3, 16, v60
	v_mul_f32_e32 v3, v5, v3
	v_bfe_u32 v4, v3, 16, 1
	v_add3_u32 v4, v4, v3, s40
	v_or_b32_e32 v25, 0x400000, v3
	v_cmp_u_f32_e32 vcc, v3, v3
	v_cndmask_b32_e32 v25, v4, v25, vcc
	;; [unrolled: 8-line block ×4, first 2 shown]
	v_and_b32_e32 v4, 0xffff0000, v10
	v_lshlrev_b32_e32 v6, 16, v47
	v_mul_f32_e32 v6, v4, v6
	v_bfe_u32 v10, v6, 16, 1
	v_add3_u32 v10, v10, v6, s40
	v_or_b32_e32 v42, 0x400000, v6
	v_cmp_u_f32_e32 vcc, v6, v6
	v_and_b32_e32 v8, 0xffff0000, v8
	v_lshlrev_b32_e32 v6, 16, v46
	v_mul_f32_e32 v6, v8, v6
	v_cndmask_b32_e32 v10, v10, v42, vcc
	v_bfe_u32 v42, v6, 16, 1
	v_add3_u32 v42, v42, v6, s40
	v_or_b32_e32 v46, 0x400000, v6
	v_cmp_u_f32_e32 vcc, v6, v6
	v_and_b32_e32 v6, 0xffff0000, v0
	v_lshlrev_b32_e32 v0, 16, v58
	v_mul_f32_e32 v0, v6, v0
	v_cndmask_b32_e32 v42, v42, v46, vcc
	v_bfe_u32 v46, v0, 16, 1
	v_add3_u32 v46, v46, v0, s40
	v_or_b32_e32 v47, 0x400000, v0
	v_cmp_u_f32_e32 vcc, v0, v0
	v_cndmask_b32_e32 v0, v46, v47, vcc
	v_and_b32_e32 v9, 0xffff0000, v9
	v_lshlrev_b32_e32 v46, 16, v56
	v_and_b32_e32 v25, 0xffff0000, v25
	v_and_b32_e32 v1, 0xffff0000, v1
	v_mul_f32_e32 v46, v9, v46
	v_add_f32_e32 v1, v25, v1
	v_and_b32_e32 v25, 0xffff0000, v33
	v_and_b32_e32 v31, 0xffff0000, v31
	v_bfe_u32 v47, v46, 16, 1
	v_add_f32_e32 v25, v25, v31
	v_add3_u32 v47, v47, v46, s40
	v_or_b32_e32 v56, 0x400000, v46
	v_cmp_u_f32_e32 vcc, v46, v46
	v_add_f32_e32 v1, v1, v25
	v_and_b32_e32 v25, 0xffff0000, v42
	v_and_b32_e32 v10, 0xffff0000, v10
	v_cndmask_b32_e32 v46, v47, v56, vcc
	v_add_f32_e32 v10, v25, v10
	v_add_f32_e32 v1, v1, v10
	v_and_b32_e32 v10, 0xffff0000, v46
	v_and_b32_e32 v0, 0xffff0000, v0
	v_add_f32_e32 v0, v10, v0
	v_add_f32_e32 v0, v1, v0
	buffer_load_dword v1, off, s[0:3], s32 offset:424 ; 4-byte Folded Reload
	v_lshlrev_b32_e32 v22, 16, v22
	v_mul_f32_e32 v22, v8, v22
	v_lshlrev_b32_e32 v12, 16, v12
	v_mul_f32_e32 v12, v6, v12
	v_add_u32_e32 v49, 64, v49
	s_waitcnt vmcnt(0)
	v_add_f32_e32 v1, v1, v0
	v_lshlrev_b32_e32 v0, 16, v29
	v_mul_f32_e32 v0, v2, v0
	buffer_store_dword v1, off, s[0:3], s32 offset:424 ; 4-byte Folded Spill
	v_bfe_u32 v1, v0, 16, 1
	v_add3_u32 v1, v1, v0, s40
	v_or_b32_e32 v10, 0x400000, v0
	v_cmp_u_f32_e32 vcc, v0, v0
	v_cndmask_b32_e32 v0, v1, v10, vcc
	v_lshlrev_b32_e32 v1, 16, v13
	v_mul_f32_e32 v1, v5, v1
	v_bfe_u32 v10, v1, 16, 1
	v_add3_u32 v10, v10, v1, s40
	v_or_b32_e32 v13, 0x400000, v1
	v_cmp_u_f32_e32 vcc, v1, v1
	v_cndmask_b32_e32 v1, v10, v13, vcc
	v_lshlrev_b32_e32 v10, 16, v18
	v_mul_f32_e32 v10, v3, v10
	;; [unrolled: 7-line block ×4, first 2 shown]
	v_bfe_u32 v23, v18, 16, 1
	v_add3_u32 v23, v23, v18, s40
	v_or_b32_e32 v25, 0x400000, v18
	v_cmp_u_f32_e32 vcc, v18, v18
	v_cndmask_b32_e32 v18, v23, v25, vcc
	v_bfe_u32 v23, v22, 16, 1
	v_add3_u32 v23, v23, v22, s40
	v_or_b32_e32 v25, 0x400000, v22
	v_cmp_u_f32_e32 vcc, v22, v22
	v_cndmask_b32_e32 v22, v23, v25, vcc
	;; [unrolled: 5-line block ×3, first 2 shown]
	v_lshlrev_b32_e32 v23, 16, v41
	v_and_b32_e32 v1, 0xffff0000, v1
	v_and_b32_e32 v0, 0xffff0000, v0
	v_mul_f32_e32 v23, v9, v23
	v_add_f32_e32 v0, v1, v0
	v_and_b32_e32 v1, 0xffff0000, v13
	v_and_b32_e32 v10, 0xffff0000, v10
	v_bfe_u32 v25, v23, 16, 1
	v_add_f32_e32 v1, v1, v10
	v_add3_u32 v25, v25, v23, s40
	v_or_b32_e32 v29, 0x400000, v23
	v_cmp_u_f32_e32 vcc, v23, v23
	v_add_f32_e32 v0, v0, v1
	v_and_b32_e32 v1, 0xffff0000, v22
	v_and_b32_e32 v10, 0xffff0000, v18
	v_cndmask_b32_e32 v23, v25, v29, vcc
	v_add_f32_e32 v1, v1, v10
	v_add_f32_e32 v0, v0, v1
	v_and_b32_e32 v1, 0xffff0000, v23
	v_and_b32_e32 v10, 0xffff0000, v12
	v_add_f32_e32 v1, v1, v10
	v_add_f32_e32 v0, v0, v1
	buffer_load_dword v1, off, s[0:3], s32 offset:428 ; 4-byte Folded Reload
	s_waitcnt vmcnt(0)
	v_add_f32_e32 v1, v1, v0
	v_lshlrev_b32_e32 v0, 16, v34
	v_mul_f32_e32 v0, v2, v0
	buffer_store_dword v1, off, s[0:3], s32 offset:428 ; 4-byte Folded Spill
	v_bfe_u32 v1, v0, 16, 1
	v_add3_u32 v1, v1, v0, s40
	v_or_b32_e32 v10, 0x400000, v0
	v_cmp_u_f32_e32 vcc, v0, v0
	v_cndmask_b32_e32 v0, v1, v10, vcc
	v_lshlrev_b32_e32 v1, 16, v11
	v_mul_f32_e32 v1, v5, v1
	v_bfe_u32 v10, v1, 16, 1
	v_add3_u32 v10, v10, v1, s40
	v_or_b32_e32 v11, 0x400000, v1
	v_cmp_u_f32_e32 vcc, v1, v1
	v_cndmask_b32_e32 v1, v10, v11, vcc
	v_lshlrev_b32_e32 v10, 16, v53
	v_mul_f32_e32 v10, v3, v10
	;; [unrolled: 7-line block ×6, first 2 shown]
	v_bfe_u32 v22, v18, 16, 1
	v_add3_u32 v22, v22, v18, s40
	v_or_b32_e32 v23, 0x400000, v18
	v_cmp_u_f32_e32 vcc, v18, v18
	v_cndmask_b32_e32 v18, v22, v23, vcc
	v_lshlrev_b32_e32 v22, 16, v52
	v_and_b32_e32 v1, 0xffff0000, v1
	v_and_b32_e32 v0, 0xffff0000, v0
	v_mul_f32_e32 v22, v9, v22
	v_add_f32_e32 v0, v1, v0
	v_and_b32_e32 v1, 0xffff0000, v11
	v_and_b32_e32 v10, 0xffff0000, v10
	v_bfe_u32 v23, v22, 16, 1
	v_add_f32_e32 v1, v1, v10
	v_add3_u32 v23, v23, v22, s40
	v_or_b32_e32 v25, 0x400000, v22
	v_cmp_u_f32_e32 vcc, v22, v22
	v_add_f32_e32 v0, v0, v1
	v_and_b32_e32 v1, 0xffff0000, v13
	v_and_b32_e32 v10, 0xffff0000, v12
	v_cndmask_b32_e32 v22, v23, v25, vcc
	v_add_f32_e32 v1, v1, v10
	v_add_f32_e32 v0, v0, v1
	v_and_b32_e32 v1, 0xffff0000, v22
	v_and_b32_e32 v10, 0xffff0000, v18
	v_add_f32_e32 v1, v1, v10
	v_add_f32_e32 v0, v0, v1
	buffer_load_dword v1, off, s[0:3], s32 offset:432 ; 4-byte Folded Reload
	s_waitcnt vmcnt(0)
	v_add_f32_e32 v1, v1, v0
	v_lshlrev_b32_e32 v0, 16, v62
	v_mul_f32_e32 v0, v2, v0
	buffer_store_dword v1, off, s[0:3], s32 offset:432 ; 4-byte Folded Spill
	v_bfe_u32 v1, v0, 16, 1
	v_add3_u32 v1, v1, v0, s40
	v_or_b32_e32 v10, 0x400000, v0
	v_cmp_u_f32_e32 vcc, v0, v0
	v_cndmask_b32_e32 v0, v1, v10, vcc
	v_lshlrev_b32_e32 v1, 16, v27
	v_mul_f32_e32 v1, v5, v1
	v_bfe_u32 v10, v1, 16, 1
	v_add3_u32 v10, v10, v1, s40
	v_or_b32_e32 v11, 0x400000, v1
	v_cmp_u_f32_e32 vcc, v1, v1
	v_cndmask_b32_e32 v1, v10, v11, vcc
	v_lshlrev_b32_e32 v10, 16, v55
	v_mul_f32_e32 v10, v3, v10
	;; [unrolled: 7-line block ×6, first 2 shown]
	v_bfe_u32 v22, v18, 16, 1
	v_add3_u32 v22, v22, v18, s40
	v_or_b32_e32 v23, 0x400000, v18
	v_cmp_u_f32_e32 vcc, v18, v18
	v_cndmask_b32_e32 v18, v22, v23, vcc
	v_lshlrev_b32_e32 v22, 16, v54
	v_and_b32_e32 v1, 0xffff0000, v1
	v_and_b32_e32 v0, 0xffff0000, v0
	v_mul_f32_e32 v22, v9, v22
	v_add_f32_e32 v0, v1, v0
	v_and_b32_e32 v1, 0xffff0000, v11
	v_and_b32_e32 v10, 0xffff0000, v10
	v_bfe_u32 v23, v22, 16, 1
	v_add_f32_e32 v1, v1, v10
	v_add3_u32 v23, v23, v22, s40
	v_or_b32_e32 v25, 0x400000, v22
	v_cmp_u_f32_e32 vcc, v22, v22
	v_add_f32_e32 v0, v0, v1
	v_and_b32_e32 v1, 0xffff0000, v13
	v_and_b32_e32 v10, 0xffff0000, v12
	v_cndmask_b32_e32 v22, v23, v25, vcc
	v_add_f32_e32 v1, v1, v10
	v_add_f32_e32 v0, v0, v1
	v_and_b32_e32 v1, 0xffff0000, v22
	v_and_b32_e32 v10, 0xffff0000, v18
	v_add_f32_e32 v1, v1, v10
	v_add_f32_e32 v0, v0, v1
	buffer_load_dword v1, off, s[0:3], s32 offset:436 ; 4-byte Folded Reload
	s_waitcnt vmcnt(0)
	v_add_f32_e32 v1, v1, v0
	v_lshlrev_b32_e32 v0, 16, v24
	v_mul_f32_e32 v0, v2, v0
	buffer_store_dword v1, off, s[0:3], s32 offset:436 ; 4-byte Folded Spill
	v_bfe_u32 v1, v0, 16, 1
	v_add3_u32 v1, v1, v0, s40
	v_or_b32_e32 v10, 0x400000, v0
	v_cmp_u_f32_e32 vcc, v0, v0
	v_cndmask_b32_e32 v0, v1, v10, vcc
	v_lshlrev_b32_e32 v1, 16, v28
	v_mul_f32_e32 v1, v5, v1
	v_bfe_u32 v10, v1, 16, 1
	v_add3_u32 v10, v10, v1, s40
	v_or_b32_e32 v11, 0x400000, v1
	v_cmp_u_f32_e32 vcc, v1, v1
	v_cndmask_b32_e32 v1, v10, v11, vcc
	buffer_load_dword v10, off, s[0:3], s32 offset:412 ; 4-byte Folded Reload
	v_and_b32_e32 v1, 0xffff0000, v1
	v_and_b32_e32 v0, 0xffff0000, v0
	v_add_f32_e32 v0, v1, v0
	s_waitcnt vmcnt(0)
	v_lshlrev_b32_e32 v10, 16, v10
	v_mul_f32_e32 v10, v3, v10
	v_bfe_u32 v11, v10, 16, 1
	v_add3_u32 v11, v11, v10, s40
	v_or_b32_e32 v12, 0x400000, v10
	v_cmp_u_f32_e32 vcc, v10, v10
	v_cndmask_b32_e32 v10, v11, v12, vcc
	buffer_load_dword v11, off, s[0:3], s32 offset:408 ; 4-byte Folded Reload
	v_and_b32_e32 v10, 0xffff0000, v10
	s_waitcnt vmcnt(0)
	v_lshlrev_b32_e32 v11, 16, v11
	v_mul_f32_e32 v11, v7, v11
	v_bfe_u32 v12, v11, 16, 1
	v_add3_u32 v12, v12, v11, s40
	v_or_b32_e32 v13, 0x400000, v11
	v_cmp_u_f32_e32 vcc, v11, v11
	v_cndmask_b32_e32 v11, v12, v13, vcc
	buffer_load_dword v12, off, s[0:3], s32 offset:400 ; 4-byte Folded Reload
	v_and_b32_e32 v1, 0xffff0000, v11
	v_add_f32_e32 v1, v1, v10
	v_add_f32_e32 v0, v0, v1
	s_waitcnt vmcnt(0)
	v_lshlrev_b32_e32 v12, 16, v12
	v_mul_f32_e32 v12, v4, v12
	v_bfe_u32 v13, v12, 16, 1
	v_add3_u32 v13, v13, v12, s40
	v_or_b32_e32 v18, 0x400000, v12
	v_cmp_u_f32_e32 vcc, v12, v12
	v_cndmask_b32_e32 v12, v13, v18, vcc
	buffer_load_dword v13, off, s[0:3], s32 offset:396 ; 4-byte Folded Reload
	v_and_b32_e32 v10, 0xffff0000, v12
	s_waitcnt vmcnt(0)
	v_lshlrev_b32_e32 v13, 16, v13
	v_mul_f32_e32 v13, v8, v13
	v_bfe_u32 v18, v13, 16, 1
	v_add3_u32 v18, v18, v13, s40
	v_or_b32_e32 v22, 0x400000, v13
	v_cmp_u_f32_e32 vcc, v13, v13
	v_cndmask_b32_e32 v13, v18, v22, vcc
	buffer_load_dword v18, off, s[0:3], s32 offset:416 ; 4-byte Folded Reload
	v_and_b32_e32 v1, 0xffff0000, v13
	v_add_f32_e32 v1, v1, v10
	v_add_f32_e32 v0, v0, v1
	s_waitcnt vmcnt(0)
	v_lshlrev_b32_e32 v18, 16, v18
	v_mul_f32_e32 v18, v6, v18
	v_bfe_u32 v22, v18, 16, 1
	v_add3_u32 v22, v22, v18, s40
	v_or_b32_e32 v23, 0x400000, v18
	v_cmp_u_f32_e32 vcc, v18, v18
	v_cndmask_b32_e32 v18, v22, v23, vcc
	buffer_load_dword v22, off, s[0:3], s32 offset:404 ; 4-byte Folded Reload
	v_and_b32_e32 v10, 0xffff0000, v18
	s_waitcnt vmcnt(0)
	v_lshlrev_b32_e32 v22, 16, v22
	v_mul_f32_e32 v22, v9, v22
	v_bfe_u32 v23, v22, 16, 1
	v_add3_u32 v23, v23, v22, s40
	v_or_b32_e32 v24, 0x400000, v22
	v_cmp_u_f32_e32 vcc, v22, v22
	v_cndmask_b32_e32 v22, v23, v24, vcc
	v_and_b32_e32 v1, 0xffff0000, v22
	v_add_f32_e32 v1, v1, v10
	v_add_f32_e32 v0, v0, v1
	buffer_load_dword v1, off, s[0:3], s32 offset:440 ; 4-byte Folded Reload
	s_waitcnt vmcnt(0)
	v_add_f32_e32 v1, v1, v0
	buffer_load_dword v0, off, s[0:3], s32 offset:392 ; 4-byte Folded Reload
	s_waitcnt vmcnt(0)
	v_lshlrev_b32_e32 v0, 16, v0
	v_mul_f32_e32 v0, v2, v0
	buffer_store_dword v1, off, s[0:3], s32 offset:440 ; 4-byte Folded Spill
	v_bfe_u32 v1, v0, 16, 1
	v_add3_u32 v1, v1, v0, s40
	v_or_b32_e32 v10, 0x400000, v0
	v_cmp_u_f32_e32 vcc, v0, v0
	v_cndmask_b32_e32 v0, v1, v10, vcc
	buffer_load_dword v1, off, s[0:3], s32 offset:388 ; 4-byte Folded Reload
	v_and_b32_e32 v0, 0xffff0000, v0
	s_waitcnt vmcnt(0)
	v_lshlrev_b32_e32 v1, 16, v1
	v_mul_f32_e32 v1, v5, v1
	v_bfe_u32 v10, v1, 16, 1
	v_add3_u32 v10, v10, v1, s40
	v_or_b32_e32 v11, 0x400000, v1
	v_cmp_u_f32_e32 vcc, v1, v1
	v_cndmask_b32_e32 v1, v10, v11, vcc
	buffer_load_dword v10, off, s[0:3], s32 offset:380 ; 4-byte Folded Reload
	v_and_b32_e32 v1, 0xffff0000, v1
	v_add_f32_e32 v0, v1, v0
	s_waitcnt vmcnt(0)
	v_lshlrev_b32_e32 v10, 16, v10
	v_mul_f32_e32 v10, v3, v10
	v_bfe_u32 v11, v10, 16, 1
	v_add3_u32 v11, v11, v10, s40
	v_or_b32_e32 v12, 0x400000, v10
	v_cmp_u_f32_e32 vcc, v10, v10
	v_cndmask_b32_e32 v10, v11, v12, vcc
	buffer_load_dword v11, off, s[0:3], s32 offset:372 ; 4-byte Folded Reload
	v_and_b32_e32 v10, 0xffff0000, v10
	s_waitcnt vmcnt(0)
	v_lshlrev_b32_e32 v11, 16, v11
	v_mul_f32_e32 v11, v7, v11
	v_bfe_u32 v12, v11, 16, 1
	v_add3_u32 v12, v12, v11, s40
	v_or_b32_e32 v13, 0x400000, v11
	v_cmp_u_f32_e32 vcc, v11, v11
	v_cndmask_b32_e32 v11, v12, v13, vcc
	buffer_load_dword v12, off, s[0:3], s32 offset:364 ; 4-byte Folded Reload
	v_and_b32_e32 v1, 0xffff0000, v11
	v_add_f32_e32 v1, v1, v10
	v_add_f32_e32 v0, v0, v1
	s_waitcnt vmcnt(0)
	v_lshlrev_b32_e32 v12, 16, v12
	v_mul_f32_e32 v12, v4, v12
	v_bfe_u32 v13, v12, 16, 1
	v_add3_u32 v13, v13, v12, s40
	v_or_b32_e32 v18, 0x400000, v12
	v_cmp_u_f32_e32 vcc, v12, v12
	v_cndmask_b32_e32 v12, v13, v18, vcc
	buffer_load_dword v13, off, s[0:3], s32 offset:360 ; 4-byte Folded Reload
	v_and_b32_e32 v10, 0xffff0000, v12
	s_waitcnt vmcnt(0)
	v_lshlrev_b32_e32 v13, 16, v13
	v_mul_f32_e32 v13, v8, v13
	v_bfe_u32 v18, v13, 16, 1
	v_add3_u32 v18, v18, v13, s40
	v_or_b32_e32 v22, 0x400000, v13
	v_cmp_u_f32_e32 vcc, v13, v13
	v_cndmask_b32_e32 v13, v18, v22, vcc
	buffer_load_dword v18, off, s[0:3], s32 offset:384 ; 4-byte Folded Reload
	v_and_b32_e32 v1, 0xffff0000, v13
	v_add_f32_e32 v1, v1, v10
	v_add_f32_e32 v0, v0, v1
	s_waitcnt vmcnt(0)
	v_lshlrev_b32_e32 v18, 16, v18
	v_mul_f32_e32 v18, v6, v18
	v_bfe_u32 v22, v18, 16, 1
	v_add3_u32 v22, v22, v18, s40
	v_or_b32_e32 v23, 0x400000, v18
	v_cmp_u_f32_e32 vcc, v18, v18
	v_cndmask_b32_e32 v18, v22, v23, vcc
	buffer_load_dword v22, off, s[0:3], s32 offset:368 ; 4-byte Folded Reload
	v_and_b32_e32 v10, 0xffff0000, v18
	s_waitcnt vmcnt(0)
	v_lshlrev_b32_e32 v22, 16, v22
	v_mul_f32_e32 v22, v9, v22
	v_bfe_u32 v23, v22, 16, 1
	v_add3_u32 v23, v23, v22, s40
	v_or_b32_e32 v24, 0x400000, v22
	v_cmp_u_f32_e32 vcc, v22, v22
	v_cndmask_b32_e32 v22, v23, v24, vcc
	v_and_b32_e32 v1, 0xffff0000, v22
	v_add_f32_e32 v1, v1, v10
	v_add_f32_e32 v0, v0, v1
	buffer_load_dword v1, off, s[0:3], s32 offset:444 ; 4-byte Folded Reload
	s_waitcnt vmcnt(0)
	v_add_f32_e32 v1, v1, v0
	buffer_load_dword v0, off, s[0:3], s32 offset:356 ; 4-byte Folded Reload
	s_waitcnt vmcnt(0)
	v_lshlrev_b32_e32 v0, 16, v0
	v_mul_f32_e32 v0, v2, v0
	buffer_store_dword v1, off, s[0:3], s32 offset:444 ; 4-byte Folded Spill
	v_bfe_u32 v1, v0, 16, 1
	v_add3_u32 v1, v1, v0, s40
	v_or_b32_e32 v10, 0x400000, v0
	v_cmp_u_f32_e32 vcc, v0, v0
	v_cndmask_b32_e32 v0, v1, v10, vcc
	buffer_load_dword v1, off, s[0:3], s32 offset:352 ; 4-byte Folded Reload
	v_and_b32_e32 v0, 0xffff0000, v0
	s_waitcnt vmcnt(0)
	v_lshlrev_b32_e32 v1, 16, v1
	v_mul_f32_e32 v1, v5, v1
	v_bfe_u32 v10, v1, 16, 1
	v_add3_u32 v10, v10, v1, s40
	v_or_b32_e32 v11, 0x400000, v1
	v_cmp_u_f32_e32 vcc, v1, v1
	v_cndmask_b32_e32 v1, v10, v11, vcc
	buffer_load_dword v10, off, s[0:3], s32 offset:344 ; 4-byte Folded Reload
	v_and_b32_e32 v1, 0xffff0000, v1
	v_add_f32_e32 v0, v1, v0
	s_waitcnt vmcnt(0)
	v_lshlrev_b32_e32 v10, 16, v10
	v_mul_f32_e32 v10, v3, v10
	v_bfe_u32 v11, v10, 16, 1
	v_add3_u32 v11, v11, v10, s40
	v_or_b32_e32 v12, 0x400000, v10
	v_cmp_u_f32_e32 vcc, v10, v10
	v_cndmask_b32_e32 v10, v11, v12, vcc
	buffer_load_dword v11, off, s[0:3], s32 offset:340 ; 4-byte Folded Reload
	v_and_b32_e32 v10, 0xffff0000, v10
	s_waitcnt vmcnt(0)
	v_lshlrev_b32_e32 v11, 16, v11
	v_mul_f32_e32 v11, v7, v11
	v_bfe_u32 v12, v11, 16, 1
	v_add3_u32 v12, v12, v11, s40
	v_or_b32_e32 v13, 0x400000, v11
	v_cmp_u_f32_e32 vcc, v11, v11
	v_cndmask_b32_e32 v11, v12, v13, vcc
	buffer_load_dword v12, off, s[0:3], s32 offset:332 ; 4-byte Folded Reload
	v_and_b32_e32 v1, 0xffff0000, v11
	v_add_f32_e32 v1, v1, v10
	v_add_f32_e32 v0, v0, v1
	s_waitcnt vmcnt(0)
	v_lshlrev_b32_e32 v12, 16, v12
	v_mul_f32_e32 v12, v4, v12
	v_bfe_u32 v13, v12, 16, 1
	v_add3_u32 v13, v13, v12, s40
	v_or_b32_e32 v18, 0x400000, v12
	v_cmp_u_f32_e32 vcc, v12, v12
	v_cndmask_b32_e32 v12, v13, v18, vcc
	buffer_load_dword v13, off, s[0:3], s32 offset:328 ; 4-byte Folded Reload
	v_and_b32_e32 v10, 0xffff0000, v12
	s_waitcnt vmcnt(0)
	v_lshlrev_b32_e32 v13, 16, v13
	v_mul_f32_e32 v13, v8, v13
	v_bfe_u32 v18, v13, 16, 1
	v_add3_u32 v18, v18, v13, s40
	v_or_b32_e32 v22, 0x400000, v13
	v_cmp_u_f32_e32 vcc, v13, v13
	v_cndmask_b32_e32 v13, v18, v22, vcc
	buffer_load_dword v18, off, s[0:3], s32 offset:348 ; 4-byte Folded Reload
	v_and_b32_e32 v1, 0xffff0000, v13
	v_add_f32_e32 v1, v1, v10
	v_add_f32_e32 v0, v0, v1
	s_waitcnt vmcnt(0)
	v_lshlrev_b32_e32 v18, 16, v18
	v_mul_f32_e32 v18, v6, v18
	v_bfe_u32 v22, v18, 16, 1
	v_add3_u32 v22, v22, v18, s40
	v_or_b32_e32 v23, 0x400000, v18
	v_cmp_u_f32_e32 vcc, v18, v18
	v_cndmask_b32_e32 v18, v22, v23, vcc
	buffer_load_dword v22, off, s[0:3], s32 offset:336 ; 4-byte Folded Reload
	v_and_b32_e32 v10, 0xffff0000, v18
	s_waitcnt vmcnt(0)
	v_lshlrev_b32_e32 v22, 16, v22
	v_mul_f32_e32 v22, v9, v22
	v_bfe_u32 v23, v22, 16, 1
	v_add3_u32 v23, v23, v22, s40
	v_or_b32_e32 v24, 0x400000, v22
	v_cmp_u_f32_e32 vcc, v22, v22
	v_cndmask_b32_e32 v22, v23, v24, vcc
	v_and_b32_e32 v1, 0xffff0000, v22
	v_add_f32_e32 v1, v1, v10
	v_add_f32_e32 v0, v0, v1
	buffer_load_dword v1, off, s[0:3], s32 offset:448 ; 4-byte Folded Reload
	s_waitcnt vmcnt(0)
	v_add_f32_e32 v1, v1, v0
	buffer_load_dword v0, off, s[0:3], s32 offset:324 ; 4-byte Folded Reload
	s_waitcnt vmcnt(0)
	v_lshlrev_b32_e32 v0, 16, v0
	v_mul_f32_e32 v0, v2, v0
	buffer_store_dword v1, off, s[0:3], s32 offset:448 ; 4-byte Folded Spill
	v_bfe_u32 v1, v0, 16, 1
	v_add3_u32 v1, v1, v0, s40
	v_or_b32_e32 v10, 0x400000, v0
	v_cmp_u_f32_e32 vcc, v0, v0
	v_cndmask_b32_e32 v0, v1, v10, vcc
	buffer_load_dword v1, off, s[0:3], s32 offset:320 ; 4-byte Folded Reload
	v_and_b32_e32 v0, 0xffff0000, v0
	s_waitcnt vmcnt(0)
	v_lshlrev_b32_e32 v1, 16, v1
	v_mul_f32_e32 v1, v5, v1
	v_bfe_u32 v10, v1, 16, 1
	v_add3_u32 v10, v10, v1, s40
	v_or_b32_e32 v11, 0x400000, v1
	v_cmp_u_f32_e32 vcc, v1, v1
	v_cndmask_b32_e32 v1, v10, v11, vcc
	buffer_load_dword v10, off, s[0:3], s32 offset:312 ; 4-byte Folded Reload
	v_and_b32_e32 v1, 0xffff0000, v1
	v_add_f32_e32 v0, v1, v0
	s_waitcnt vmcnt(0)
	v_lshlrev_b32_e32 v10, 16, v10
	v_mul_f32_e32 v10, v3, v10
	v_bfe_u32 v11, v10, 16, 1
	v_add3_u32 v11, v11, v10, s40
	v_or_b32_e32 v12, 0x400000, v10
	v_cmp_u_f32_e32 vcc, v10, v10
	v_cndmask_b32_e32 v10, v11, v12, vcc
	buffer_load_dword v11, off, s[0:3], s32 offset:308 ; 4-byte Folded Reload
	v_and_b32_e32 v10, 0xffff0000, v10
	s_waitcnt vmcnt(0)
	v_lshlrev_b32_e32 v11, 16, v11
	v_mul_f32_e32 v11, v7, v11
	v_bfe_u32 v12, v11, 16, 1
	v_add3_u32 v12, v12, v11, s40
	v_or_b32_e32 v13, 0x400000, v11
	v_cmp_u_f32_e32 vcc, v11, v11
	v_cndmask_b32_e32 v11, v12, v13, vcc
	buffer_load_dword v12, off, s[0:3], s32 offset:300 ; 4-byte Folded Reload
	v_and_b32_e32 v1, 0xffff0000, v11
	v_add_f32_e32 v1, v1, v10
	v_add_f32_e32 v0, v0, v1
	s_waitcnt vmcnt(0)
	v_lshlrev_b32_e32 v12, 16, v12
	v_mul_f32_e32 v12, v4, v12
	v_bfe_u32 v13, v12, 16, 1
	v_add3_u32 v13, v13, v12, s40
	v_or_b32_e32 v18, 0x400000, v12
	v_cmp_u_f32_e32 vcc, v12, v12
	v_cndmask_b32_e32 v12, v13, v18, vcc
	buffer_load_dword v13, off, s[0:3], s32 offset:296 ; 4-byte Folded Reload
	v_and_b32_e32 v10, 0xffff0000, v12
	s_waitcnt vmcnt(0)
	v_lshlrev_b32_e32 v13, 16, v13
	v_mul_f32_e32 v13, v8, v13
	v_bfe_u32 v18, v13, 16, 1
	v_add3_u32 v18, v18, v13, s40
	v_or_b32_e32 v22, 0x400000, v13
	v_cmp_u_f32_e32 vcc, v13, v13
	v_cndmask_b32_e32 v13, v18, v22, vcc
	buffer_load_dword v18, off, s[0:3], s32 offset:316 ; 4-byte Folded Reload
	v_and_b32_e32 v1, 0xffff0000, v13
	v_add_f32_e32 v1, v1, v10
	v_add_f32_e32 v0, v0, v1
	s_waitcnt vmcnt(0)
	v_lshlrev_b32_e32 v18, 16, v18
	v_mul_f32_e32 v18, v6, v18
	v_bfe_u32 v22, v18, 16, 1
	v_add3_u32 v22, v22, v18, s40
	v_or_b32_e32 v23, 0x400000, v18
	v_cmp_u_f32_e32 vcc, v18, v18
	v_cndmask_b32_e32 v18, v22, v23, vcc
	buffer_load_dword v22, off, s[0:3], s32 offset:304 ; 4-byte Folded Reload
	v_and_b32_e32 v10, 0xffff0000, v18
	s_waitcnt vmcnt(0)
	v_lshlrev_b32_e32 v22, 16, v22
	v_mul_f32_e32 v22, v9, v22
	v_bfe_u32 v23, v22, 16, 1
	v_add3_u32 v23, v23, v22, s40
	v_or_b32_e32 v24, 0x400000, v22
	v_cmp_u_f32_e32 vcc, v22, v22
	v_cndmask_b32_e32 v22, v23, v24, vcc
	v_and_b32_e32 v1, 0xffff0000, v22
	v_add_f32_e32 v1, v1, v10
	v_add_f32_e32 v0, v0, v1
	buffer_load_dword v1, off, s[0:3], s32 offset:452 ; 4-byte Folded Reload
	s_waitcnt vmcnt(0)
	v_add_f32_e32 v1, v1, v0
	buffer_load_dword v0, off, s[0:3], s32 offset:292 ; 4-byte Folded Reload
	s_waitcnt vmcnt(0)
	v_lshlrev_b32_e32 v0, 16, v0
	v_mul_f32_e32 v0, v2, v0
	buffer_store_dword v1, off, s[0:3], s32 offset:452 ; 4-byte Folded Spill
	v_bfe_u32 v1, v0, 16, 1
	v_add3_u32 v1, v1, v0, s40
	v_or_b32_e32 v10, 0x400000, v0
	v_cmp_u_f32_e32 vcc, v0, v0
	v_cndmask_b32_e32 v0, v1, v10, vcc
	buffer_load_dword v1, off, s[0:3], s32 offset:288 ; 4-byte Folded Reload
	v_and_b32_e32 v0, 0xffff0000, v0
	s_waitcnt vmcnt(0)
	v_lshlrev_b32_e32 v1, 16, v1
	v_mul_f32_e32 v1, v5, v1
	v_bfe_u32 v10, v1, 16, 1
	v_add3_u32 v10, v10, v1, s40
	v_or_b32_e32 v11, 0x400000, v1
	v_cmp_u_f32_e32 vcc, v1, v1
	v_cndmask_b32_e32 v1, v10, v11, vcc
	buffer_load_dword v10, off, s[0:3], s32 offset:280 ; 4-byte Folded Reload
	v_and_b32_e32 v1, 0xffff0000, v1
	v_add_f32_e32 v0, v1, v0
	s_waitcnt vmcnt(0)
	v_lshlrev_b32_e32 v10, 16, v10
	v_mul_f32_e32 v10, v3, v10
	v_bfe_u32 v11, v10, 16, 1
	v_add3_u32 v11, v11, v10, s40
	v_or_b32_e32 v12, 0x400000, v10
	v_cmp_u_f32_e32 vcc, v10, v10
	v_cndmask_b32_e32 v10, v11, v12, vcc
	buffer_load_dword v11, off, s[0:3], s32 offset:276 ; 4-byte Folded Reload
	v_and_b32_e32 v10, 0xffff0000, v10
	s_waitcnt vmcnt(0)
	v_lshlrev_b32_e32 v11, 16, v11
	v_mul_f32_e32 v11, v7, v11
	v_bfe_u32 v12, v11, 16, 1
	v_add3_u32 v12, v12, v11, s40
	v_or_b32_e32 v13, 0x400000, v11
	v_cmp_u_f32_e32 vcc, v11, v11
	v_cndmask_b32_e32 v11, v12, v13, vcc
	buffer_load_dword v12, off, s[0:3], s32 offset:268 ; 4-byte Folded Reload
	v_and_b32_e32 v1, 0xffff0000, v11
	v_add_f32_e32 v1, v1, v10
	v_add_f32_e32 v0, v0, v1
	s_waitcnt vmcnt(0)
	v_lshlrev_b32_e32 v12, 16, v12
	v_mul_f32_e32 v12, v4, v12
	v_bfe_u32 v13, v12, 16, 1
	v_add3_u32 v13, v13, v12, s40
	v_or_b32_e32 v18, 0x400000, v12
	v_cmp_u_f32_e32 vcc, v12, v12
	v_cndmask_b32_e32 v12, v13, v18, vcc
	buffer_load_dword v13, off, s[0:3], s32 offset:264 ; 4-byte Folded Reload
	v_and_b32_e32 v10, 0xffff0000, v12
	s_waitcnt vmcnt(0)
	v_lshlrev_b32_e32 v13, 16, v13
	v_mul_f32_e32 v13, v8, v13
	v_bfe_u32 v18, v13, 16, 1
	v_add3_u32 v18, v18, v13, s40
	v_or_b32_e32 v22, 0x400000, v13
	v_cmp_u_f32_e32 vcc, v13, v13
	v_cndmask_b32_e32 v13, v18, v22, vcc
	buffer_load_dword v18, off, s[0:3], s32 offset:284 ; 4-byte Folded Reload
	v_and_b32_e32 v1, 0xffff0000, v13
	v_add_f32_e32 v1, v1, v10
	v_add_f32_e32 v0, v0, v1
	s_waitcnt vmcnt(0)
	v_lshlrev_b32_e32 v18, 16, v18
	v_mul_f32_e32 v18, v6, v18
	v_bfe_u32 v22, v18, 16, 1
	v_add3_u32 v22, v22, v18, s40
	v_or_b32_e32 v23, 0x400000, v18
	v_cmp_u_f32_e32 vcc, v18, v18
	v_cndmask_b32_e32 v18, v22, v23, vcc
	buffer_load_dword v22, off, s[0:3], s32 offset:272 ; 4-byte Folded Reload
	v_and_b32_e32 v10, 0xffff0000, v18
	s_waitcnt vmcnt(0)
	v_lshlrev_b32_e32 v22, 16, v22
	v_mul_f32_e32 v22, v9, v22
	v_bfe_u32 v23, v22, 16, 1
	v_add3_u32 v23, v23, v22, s40
	v_or_b32_e32 v24, 0x400000, v22
	v_cmp_u_f32_e32 vcc, v22, v22
	v_cndmask_b32_e32 v22, v23, v24, vcc
	v_and_b32_e32 v1, 0xffff0000, v22
	v_add_f32_e32 v1, v1, v10
	v_add_f32_e32 v0, v0, v1
	buffer_load_dword v1, off, s[0:3], s32 offset:456 ; 4-byte Folded Reload
	s_waitcnt vmcnt(0)
	v_add_f32_e32 v1, v1, v0
	buffer_load_dword v0, off, s[0:3], s32 offset:260 ; 4-byte Folded Reload
	s_waitcnt vmcnt(0)
	v_lshlrev_b32_e32 v0, 16, v0
	v_mul_f32_e32 v0, v2, v0
	buffer_store_dword v1, off, s[0:3], s32 offset:456 ; 4-byte Folded Spill
	v_bfe_u32 v1, v0, 16, 1
	v_add3_u32 v1, v1, v0, s40
	v_or_b32_e32 v10, 0x400000, v0
	v_cmp_u_f32_e32 vcc, v0, v0
	v_cndmask_b32_e32 v0, v1, v10, vcc
	buffer_load_dword v1, off, s[0:3], s32 offset:256 ; 4-byte Folded Reload
	v_and_b32_e32 v0, 0xffff0000, v0
	s_waitcnt vmcnt(0)
	v_lshlrev_b32_e32 v1, 16, v1
	v_mul_f32_e32 v1, v5, v1
	v_bfe_u32 v10, v1, 16, 1
	v_add3_u32 v10, v10, v1, s40
	v_or_b32_e32 v11, 0x400000, v1
	v_cmp_u_f32_e32 vcc, v1, v1
	v_cndmask_b32_e32 v1, v10, v11, vcc
	buffer_load_dword v10, off, s[0:3], s32 offset:248 ; 4-byte Folded Reload
	v_and_b32_e32 v1, 0xffff0000, v1
	v_add_f32_e32 v0, v1, v0
	s_waitcnt vmcnt(0)
	v_lshlrev_b32_e32 v10, 16, v10
	v_mul_f32_e32 v10, v3, v10
	v_bfe_u32 v11, v10, 16, 1
	v_add3_u32 v11, v11, v10, s40
	v_or_b32_e32 v12, 0x400000, v10
	v_cmp_u_f32_e32 vcc, v10, v10
	v_cndmask_b32_e32 v10, v11, v12, vcc
	buffer_load_dword v11, off, s[0:3], s32 offset:244 ; 4-byte Folded Reload
	v_and_b32_e32 v10, 0xffff0000, v10
	s_waitcnt vmcnt(0)
	v_lshlrev_b32_e32 v11, 16, v11
	v_mul_f32_e32 v11, v7, v11
	v_bfe_u32 v12, v11, 16, 1
	v_add3_u32 v12, v12, v11, s40
	v_or_b32_e32 v13, 0x400000, v11
	v_cmp_u_f32_e32 vcc, v11, v11
	v_cndmask_b32_e32 v11, v12, v13, vcc
	buffer_load_dword v12, off, s[0:3], s32 offset:236 ; 4-byte Folded Reload
	v_and_b32_e32 v1, 0xffff0000, v11
	v_add_f32_e32 v1, v1, v10
	v_add_f32_e32 v0, v0, v1
	s_waitcnt vmcnt(0)
	v_lshlrev_b32_e32 v12, 16, v12
	v_mul_f32_e32 v12, v4, v12
	v_bfe_u32 v13, v12, 16, 1
	v_add3_u32 v13, v13, v12, s40
	v_or_b32_e32 v18, 0x400000, v12
	v_cmp_u_f32_e32 vcc, v12, v12
	v_cndmask_b32_e32 v12, v13, v18, vcc
	buffer_load_dword v13, off, s[0:3], s32 offset:232 ; 4-byte Folded Reload
	v_and_b32_e32 v10, 0xffff0000, v12
	s_waitcnt vmcnt(0)
	v_lshlrev_b32_e32 v13, 16, v13
	v_mul_f32_e32 v13, v8, v13
	v_bfe_u32 v18, v13, 16, 1
	v_add3_u32 v18, v18, v13, s40
	v_or_b32_e32 v22, 0x400000, v13
	v_cmp_u_f32_e32 vcc, v13, v13
	v_cndmask_b32_e32 v13, v18, v22, vcc
	buffer_load_dword v18, off, s[0:3], s32 offset:252 ; 4-byte Folded Reload
	v_and_b32_e32 v1, 0xffff0000, v13
	v_add_f32_e32 v1, v1, v10
	v_add_f32_e32 v0, v0, v1
	s_waitcnt vmcnt(0)
	v_lshlrev_b32_e32 v18, 16, v18
	v_mul_f32_e32 v18, v6, v18
	v_bfe_u32 v22, v18, 16, 1
	v_add3_u32 v22, v22, v18, s40
	v_or_b32_e32 v23, 0x400000, v18
	v_cmp_u_f32_e32 vcc, v18, v18
	v_cndmask_b32_e32 v18, v22, v23, vcc
	buffer_load_dword v22, off, s[0:3], s32 offset:240 ; 4-byte Folded Reload
	v_and_b32_e32 v10, 0xffff0000, v18
	s_waitcnt vmcnt(0)
	v_lshlrev_b32_e32 v22, 16, v22
	v_mul_f32_e32 v22, v9, v22
	v_bfe_u32 v23, v22, 16, 1
	v_add3_u32 v23, v23, v22, s40
	v_or_b32_e32 v24, 0x400000, v22
	v_cmp_u_f32_e32 vcc, v22, v22
	v_cndmask_b32_e32 v22, v23, v24, vcc
	v_and_b32_e32 v1, 0xffff0000, v22
	v_add_f32_e32 v1, v1, v10
	v_add_f32_e32 v0, v0, v1
	buffer_load_dword v1, off, s[0:3], s32 offset:460 ; 4-byte Folded Reload
	s_waitcnt vmcnt(0)
	v_add_f32_e32 v1, v1, v0
	buffer_load_dword v0, off, s[0:3], s32 offset:228 ; 4-byte Folded Reload
	s_waitcnt vmcnt(0)
	v_lshlrev_b32_e32 v0, 16, v0
	v_mul_f32_e32 v0, v2, v0
	buffer_store_dword v1, off, s[0:3], s32 offset:460 ; 4-byte Folded Spill
	v_bfe_u32 v1, v0, 16, 1
	v_add3_u32 v1, v1, v0, s40
	v_or_b32_e32 v10, 0x400000, v0
	v_cmp_u_f32_e32 vcc, v0, v0
	v_cndmask_b32_e32 v0, v1, v10, vcc
	buffer_load_dword v1, off, s[0:3], s32 offset:224 ; 4-byte Folded Reload
	v_and_b32_e32 v0, 0xffff0000, v0
	s_waitcnt vmcnt(0)
	v_lshlrev_b32_e32 v1, 16, v1
	v_mul_f32_e32 v1, v5, v1
	v_bfe_u32 v10, v1, 16, 1
	v_add3_u32 v10, v10, v1, s40
	v_or_b32_e32 v11, 0x400000, v1
	v_cmp_u_f32_e32 vcc, v1, v1
	v_cndmask_b32_e32 v1, v10, v11, vcc
	buffer_load_dword v10, off, s[0:3], s32 offset:216 ; 4-byte Folded Reload
	v_and_b32_e32 v1, 0xffff0000, v1
	v_add_f32_e32 v0, v1, v0
	s_waitcnt vmcnt(0)
	v_lshlrev_b32_e32 v10, 16, v10
	v_mul_f32_e32 v10, v3, v10
	v_bfe_u32 v11, v10, 16, 1
	v_add3_u32 v11, v11, v10, s40
	v_or_b32_e32 v12, 0x400000, v10
	v_cmp_u_f32_e32 vcc, v10, v10
	v_cndmask_b32_e32 v10, v11, v12, vcc
	buffer_load_dword v11, off, s[0:3], s32 offset:212 ; 4-byte Folded Reload
	v_and_b32_e32 v10, 0xffff0000, v10
	s_waitcnt vmcnt(0)
	v_lshlrev_b32_e32 v11, 16, v11
	v_mul_f32_e32 v11, v7, v11
	v_bfe_u32 v12, v11, 16, 1
	v_add3_u32 v12, v12, v11, s40
	v_or_b32_e32 v13, 0x400000, v11
	v_cmp_u_f32_e32 vcc, v11, v11
	v_cndmask_b32_e32 v11, v12, v13, vcc
	buffer_load_dword v12, off, s[0:3], s32 offset:204 ; 4-byte Folded Reload
	v_and_b32_e32 v1, 0xffff0000, v11
	v_add_f32_e32 v1, v1, v10
	v_add_f32_e32 v0, v0, v1
	s_waitcnt vmcnt(0)
	v_lshlrev_b32_e32 v12, 16, v12
	v_mul_f32_e32 v12, v4, v12
	v_bfe_u32 v13, v12, 16, 1
	v_add3_u32 v13, v13, v12, s40
	v_or_b32_e32 v18, 0x400000, v12
	v_cmp_u_f32_e32 vcc, v12, v12
	v_cndmask_b32_e32 v12, v13, v18, vcc
	buffer_load_dword v13, off, s[0:3], s32 offset:200 ; 4-byte Folded Reload
	v_and_b32_e32 v10, 0xffff0000, v12
	s_waitcnt vmcnt(0)
	v_lshlrev_b32_e32 v13, 16, v13
	v_mul_f32_e32 v13, v8, v13
	v_bfe_u32 v18, v13, 16, 1
	v_add3_u32 v18, v18, v13, s40
	v_or_b32_e32 v22, 0x400000, v13
	v_cmp_u_f32_e32 vcc, v13, v13
	v_cndmask_b32_e32 v13, v18, v22, vcc
	buffer_load_dword v18, off, s[0:3], s32 offset:220 ; 4-byte Folded Reload
	v_and_b32_e32 v1, 0xffff0000, v13
	v_add_f32_e32 v1, v1, v10
	v_add_f32_e32 v0, v0, v1
	s_waitcnt vmcnt(0)
	v_lshlrev_b32_e32 v18, 16, v18
	v_mul_f32_e32 v18, v6, v18
	v_bfe_u32 v22, v18, 16, 1
	v_add3_u32 v22, v22, v18, s40
	v_or_b32_e32 v23, 0x400000, v18
	v_cmp_u_f32_e32 vcc, v18, v18
	v_cndmask_b32_e32 v18, v22, v23, vcc
	buffer_load_dword v22, off, s[0:3], s32 offset:208 ; 4-byte Folded Reload
	v_and_b32_e32 v10, 0xffff0000, v18
	s_waitcnt vmcnt(0)
	v_lshlrev_b32_e32 v22, 16, v22
	v_mul_f32_e32 v22, v9, v22
	v_bfe_u32 v23, v22, 16, 1
	v_add3_u32 v23, v23, v22, s40
	v_or_b32_e32 v24, 0x400000, v22
	v_cmp_u_f32_e32 vcc, v22, v22
	v_cndmask_b32_e32 v22, v23, v24, vcc
	v_and_b32_e32 v1, 0xffff0000, v22
	v_add_f32_e32 v1, v1, v10
	v_add_f32_e32 v0, v0, v1
	buffer_load_dword v1, off, s[0:3], s32 offset:464 ; 4-byte Folded Reload
	s_waitcnt vmcnt(0)
	v_add_f32_e32 v1, v1, v0
	buffer_load_dword v0, off, s[0:3], s32 offset:196 ; 4-byte Folded Reload
	s_waitcnt vmcnt(0)
	v_lshlrev_b32_e32 v0, 16, v0
	v_mul_f32_e32 v0, v2, v0
	buffer_store_dword v1, off, s[0:3], s32 offset:464 ; 4-byte Folded Spill
	v_bfe_u32 v1, v0, 16, 1
	v_add3_u32 v1, v1, v0, s40
	v_or_b32_e32 v10, 0x400000, v0
	v_cmp_u_f32_e32 vcc, v0, v0
	v_cndmask_b32_e32 v0, v1, v10, vcc
	buffer_load_dword v1, off, s[0:3], s32 offset:192 ; 4-byte Folded Reload
	v_and_b32_e32 v0, 0xffff0000, v0
	s_waitcnt vmcnt(0)
	v_lshlrev_b32_e32 v1, 16, v1
	v_mul_f32_e32 v1, v5, v1
	v_bfe_u32 v10, v1, 16, 1
	v_add3_u32 v10, v10, v1, s40
	v_or_b32_e32 v11, 0x400000, v1
	v_cmp_u_f32_e32 vcc, v1, v1
	v_cndmask_b32_e32 v1, v10, v11, vcc
	buffer_load_dword v10, off, s[0:3], s32 offset:184 ; 4-byte Folded Reload
	v_and_b32_e32 v1, 0xffff0000, v1
	v_add_f32_e32 v0, v1, v0
	s_waitcnt vmcnt(0)
	v_lshlrev_b32_e32 v10, 16, v10
	v_mul_f32_e32 v10, v3, v10
	v_bfe_u32 v11, v10, 16, 1
	v_add3_u32 v11, v11, v10, s40
	v_or_b32_e32 v12, 0x400000, v10
	v_cmp_u_f32_e32 vcc, v10, v10
	v_cndmask_b32_e32 v10, v11, v12, vcc
	buffer_load_dword v11, off, s[0:3], s32 offset:180 ; 4-byte Folded Reload
	v_and_b32_e32 v10, 0xffff0000, v10
	s_waitcnt vmcnt(0)
	v_lshlrev_b32_e32 v11, 16, v11
	v_mul_f32_e32 v11, v7, v11
	v_bfe_u32 v12, v11, 16, 1
	v_add3_u32 v12, v12, v11, s40
	v_or_b32_e32 v13, 0x400000, v11
	v_cmp_u_f32_e32 vcc, v11, v11
	v_cndmask_b32_e32 v11, v12, v13, vcc
	buffer_load_dword v12, off, s[0:3], s32 offset:172 ; 4-byte Folded Reload
	v_and_b32_e32 v1, 0xffff0000, v11
	v_add_f32_e32 v1, v1, v10
	v_add_f32_e32 v0, v0, v1
	s_waitcnt vmcnt(0)
	v_lshlrev_b32_e32 v12, 16, v12
	v_mul_f32_e32 v12, v4, v12
	v_bfe_u32 v13, v12, 16, 1
	v_add3_u32 v13, v13, v12, s40
	v_or_b32_e32 v18, 0x400000, v12
	v_cmp_u_f32_e32 vcc, v12, v12
	v_cndmask_b32_e32 v12, v13, v18, vcc
	buffer_load_dword v13, off, s[0:3], s32 offset:168 ; 4-byte Folded Reload
	v_and_b32_e32 v10, 0xffff0000, v12
	s_waitcnt vmcnt(0)
	v_lshlrev_b32_e32 v13, 16, v13
	v_mul_f32_e32 v13, v8, v13
	v_bfe_u32 v18, v13, 16, 1
	v_add3_u32 v18, v18, v13, s40
	v_or_b32_e32 v22, 0x400000, v13
	v_cmp_u_f32_e32 vcc, v13, v13
	v_cndmask_b32_e32 v13, v18, v22, vcc
	buffer_load_dword v18, off, s[0:3], s32 offset:188 ; 4-byte Folded Reload
	v_and_b32_e32 v1, 0xffff0000, v13
	v_add_f32_e32 v1, v1, v10
	v_add_f32_e32 v0, v0, v1
	s_waitcnt vmcnt(0)
	v_lshlrev_b32_e32 v18, 16, v18
	v_mul_f32_e32 v18, v6, v18
	v_bfe_u32 v22, v18, 16, 1
	v_add3_u32 v22, v22, v18, s40
	v_or_b32_e32 v23, 0x400000, v18
	v_cmp_u_f32_e32 vcc, v18, v18
	v_cndmask_b32_e32 v18, v22, v23, vcc
	buffer_load_dword v22, off, s[0:3], s32 offset:176 ; 4-byte Folded Reload
	v_and_b32_e32 v10, 0xffff0000, v18
	s_waitcnt vmcnt(0)
	v_lshlrev_b32_e32 v22, 16, v22
	v_mul_f32_e32 v22, v9, v22
	v_bfe_u32 v23, v22, 16, 1
	v_add3_u32 v23, v23, v22, s40
	v_or_b32_e32 v24, 0x400000, v22
	v_cmp_u_f32_e32 vcc, v22, v22
	v_cndmask_b32_e32 v22, v23, v24, vcc
	v_and_b32_e32 v1, 0xffff0000, v22
	v_add_f32_e32 v1, v1, v10
	v_add_f32_e32 v0, v0, v1
	buffer_load_dword v1, off, s[0:3], s32 offset:468 ; 4-byte Folded Reload
	s_waitcnt vmcnt(0)
	v_add_f32_e32 v1, v1, v0
	buffer_load_dword v0, off, s[0:3], s32 offset:164 ; 4-byte Folded Reload
	s_waitcnt vmcnt(0)
	v_lshlrev_b32_e32 v0, 16, v0
	v_mul_f32_e32 v0, v2, v0
	buffer_store_dword v1, off, s[0:3], s32 offset:468 ; 4-byte Folded Spill
	v_bfe_u32 v1, v0, 16, 1
	v_add3_u32 v1, v1, v0, s40
	v_or_b32_e32 v10, 0x400000, v0
	v_cmp_u_f32_e32 vcc, v0, v0
	v_cndmask_b32_e32 v0, v1, v10, vcc
	buffer_load_dword v1, off, s[0:3], s32 offset:160 ; 4-byte Folded Reload
	v_and_b32_e32 v0, 0xffff0000, v0
	s_waitcnt vmcnt(0)
	v_lshlrev_b32_e32 v1, 16, v1
	v_mul_f32_e32 v1, v5, v1
	v_bfe_u32 v10, v1, 16, 1
	v_add3_u32 v10, v10, v1, s40
	v_or_b32_e32 v11, 0x400000, v1
	v_cmp_u_f32_e32 vcc, v1, v1
	v_cndmask_b32_e32 v1, v10, v11, vcc
	buffer_load_dword v10, off, s[0:3], s32 offset:152 ; 4-byte Folded Reload
	v_and_b32_e32 v1, 0xffff0000, v1
	v_add_f32_e32 v0, v1, v0
	s_waitcnt vmcnt(0)
	v_lshlrev_b32_e32 v10, 16, v10
	v_mul_f32_e32 v10, v3, v10
	v_bfe_u32 v11, v10, 16, 1
	v_add3_u32 v11, v11, v10, s40
	v_or_b32_e32 v12, 0x400000, v10
	v_cmp_u_f32_e32 vcc, v10, v10
	v_cndmask_b32_e32 v10, v11, v12, vcc
	buffer_load_dword v11, off, s[0:3], s32 offset:148 ; 4-byte Folded Reload
	v_and_b32_e32 v10, 0xffff0000, v10
	s_waitcnt vmcnt(0)
	v_lshlrev_b32_e32 v11, 16, v11
	v_mul_f32_e32 v11, v7, v11
	v_bfe_u32 v12, v11, 16, 1
	v_add3_u32 v12, v12, v11, s40
	v_or_b32_e32 v13, 0x400000, v11
	v_cmp_u_f32_e32 vcc, v11, v11
	v_cndmask_b32_e32 v11, v12, v13, vcc
	buffer_load_dword v12, off, s[0:3], s32 offset:140 ; 4-byte Folded Reload
	v_and_b32_e32 v1, 0xffff0000, v11
	v_add_f32_e32 v1, v1, v10
	v_add_f32_e32 v0, v0, v1
	s_waitcnt vmcnt(0)
	v_lshlrev_b32_e32 v12, 16, v12
	v_mul_f32_e32 v12, v4, v12
	v_bfe_u32 v13, v12, 16, 1
	v_add3_u32 v13, v13, v12, s40
	v_or_b32_e32 v18, 0x400000, v12
	v_cmp_u_f32_e32 vcc, v12, v12
	v_cndmask_b32_e32 v12, v13, v18, vcc
	buffer_load_dword v13, off, s[0:3], s32 offset:136 ; 4-byte Folded Reload
	v_and_b32_e32 v10, 0xffff0000, v12
	s_waitcnt vmcnt(0)
	v_lshlrev_b32_e32 v13, 16, v13
	v_mul_f32_e32 v13, v8, v13
	v_bfe_u32 v18, v13, 16, 1
	v_add3_u32 v18, v18, v13, s40
	v_or_b32_e32 v22, 0x400000, v13
	v_cmp_u_f32_e32 vcc, v13, v13
	v_cndmask_b32_e32 v13, v18, v22, vcc
	buffer_load_dword v18, off, s[0:3], s32 offset:156 ; 4-byte Folded Reload
	v_and_b32_e32 v1, 0xffff0000, v13
	v_add_f32_e32 v1, v1, v10
	v_add_f32_e32 v0, v0, v1
	s_waitcnt vmcnt(0)
	v_lshlrev_b32_e32 v18, 16, v18
	v_mul_f32_e32 v18, v6, v18
	v_bfe_u32 v22, v18, 16, 1
	v_add3_u32 v22, v22, v18, s40
	v_or_b32_e32 v23, 0x400000, v18
	v_cmp_u_f32_e32 vcc, v18, v18
	v_cndmask_b32_e32 v18, v22, v23, vcc
	buffer_load_dword v22, off, s[0:3], s32 offset:144 ; 4-byte Folded Reload
	v_and_b32_e32 v10, 0xffff0000, v18
	s_waitcnt vmcnt(0)
	v_lshlrev_b32_e32 v22, 16, v22
	v_mul_f32_e32 v22, v9, v22
	v_bfe_u32 v23, v22, 16, 1
	v_add3_u32 v23, v23, v22, s40
	v_or_b32_e32 v24, 0x400000, v22
	v_cmp_u_f32_e32 vcc, v22, v22
	v_cndmask_b32_e32 v22, v23, v24, vcc
	v_and_b32_e32 v1, 0xffff0000, v22
	v_add_f32_e32 v1, v1, v10
	v_add_f32_e32 v0, v0, v1
	buffer_load_dword v1, off, s[0:3], s32 offset:472 ; 4-byte Folded Reload
	s_waitcnt vmcnt(0)
	v_add_f32_e32 v1, v1, v0
	buffer_load_dword v0, off, s[0:3], s32 offset:132 ; 4-byte Folded Reload
	s_waitcnt vmcnt(0)
	v_lshlrev_b32_e32 v0, 16, v0
	v_mul_f32_e32 v0, v2, v0
	buffer_store_dword v1, off, s[0:3], s32 offset:472 ; 4-byte Folded Spill
	v_bfe_u32 v1, v0, 16, 1
	v_add3_u32 v1, v1, v0, s40
	v_or_b32_e32 v10, 0x400000, v0
	v_cmp_u_f32_e32 vcc, v0, v0
	v_cndmask_b32_e32 v0, v1, v10, vcc
	buffer_load_dword v1, off, s[0:3], s32 offset:128 ; 4-byte Folded Reload
	v_and_b32_e32 v0, 0xffff0000, v0
	s_waitcnt vmcnt(0)
	v_lshlrev_b32_e32 v1, 16, v1
	v_mul_f32_e32 v1, v5, v1
	v_bfe_u32 v10, v1, 16, 1
	v_add3_u32 v10, v10, v1, s40
	v_or_b32_e32 v11, 0x400000, v1
	v_cmp_u_f32_e32 vcc, v1, v1
	v_cndmask_b32_e32 v1, v10, v11, vcc
	buffer_load_dword v10, off, s[0:3], s32 offset:120 ; 4-byte Folded Reload
	v_and_b32_e32 v1, 0xffff0000, v1
	v_add_f32_e32 v0, v1, v0
	s_waitcnt vmcnt(0)
	v_lshlrev_b32_e32 v10, 16, v10
	v_mul_f32_e32 v10, v3, v10
	v_bfe_u32 v11, v10, 16, 1
	v_add3_u32 v11, v11, v10, s40
	v_or_b32_e32 v12, 0x400000, v10
	v_cmp_u_f32_e32 vcc, v10, v10
	v_cndmask_b32_e32 v10, v11, v12, vcc
	buffer_load_dword v11, off, s[0:3], s32 offset:116 ; 4-byte Folded Reload
	v_and_b32_e32 v10, 0xffff0000, v10
	s_waitcnt vmcnt(0)
	v_lshlrev_b32_e32 v11, 16, v11
	v_mul_f32_e32 v11, v7, v11
	v_bfe_u32 v12, v11, 16, 1
	v_add3_u32 v12, v12, v11, s40
	v_or_b32_e32 v13, 0x400000, v11
	v_cmp_u_f32_e32 vcc, v11, v11
	v_cndmask_b32_e32 v11, v12, v13, vcc
	buffer_load_dword v12, off, s[0:3], s32 offset:108 ; 4-byte Folded Reload
	v_and_b32_e32 v1, 0xffff0000, v11
	v_add_f32_e32 v1, v1, v10
	v_add_f32_e32 v0, v0, v1
	s_waitcnt vmcnt(0)
	v_lshlrev_b32_e32 v12, 16, v12
	v_mul_f32_e32 v12, v4, v12
	v_bfe_u32 v13, v12, 16, 1
	v_add3_u32 v13, v13, v12, s40
	v_or_b32_e32 v18, 0x400000, v12
	v_cmp_u_f32_e32 vcc, v12, v12
	v_cndmask_b32_e32 v12, v13, v18, vcc
	buffer_load_dword v13, off, s[0:3], s32 offset:104 ; 4-byte Folded Reload
	v_and_b32_e32 v10, 0xffff0000, v12
	s_waitcnt vmcnt(0)
	v_lshlrev_b32_e32 v13, 16, v13
	v_mul_f32_e32 v13, v8, v13
	v_bfe_u32 v18, v13, 16, 1
	v_add3_u32 v18, v18, v13, s40
	v_or_b32_e32 v22, 0x400000, v13
	v_cmp_u_f32_e32 vcc, v13, v13
	v_cndmask_b32_e32 v13, v18, v22, vcc
	buffer_load_dword v18, off, s[0:3], s32 offset:124 ; 4-byte Folded Reload
	v_and_b32_e32 v1, 0xffff0000, v13
	v_add_f32_e32 v1, v1, v10
	v_add_f32_e32 v0, v0, v1
	s_waitcnt vmcnt(0)
	v_lshlrev_b32_e32 v18, 16, v18
	v_mul_f32_e32 v18, v6, v18
	v_bfe_u32 v22, v18, 16, 1
	v_add3_u32 v22, v22, v18, s40
	v_or_b32_e32 v23, 0x400000, v18
	v_cmp_u_f32_e32 vcc, v18, v18
	v_cndmask_b32_e32 v18, v22, v23, vcc
	buffer_load_dword v22, off, s[0:3], s32 offset:112 ; 4-byte Folded Reload
	v_and_b32_e32 v10, 0xffff0000, v18
	s_waitcnt vmcnt(0)
	v_lshlrev_b32_e32 v22, 16, v22
	v_mul_f32_e32 v22, v9, v22
	v_bfe_u32 v23, v22, 16, 1
	v_add3_u32 v23, v23, v22, s40
	v_or_b32_e32 v24, 0x400000, v22
	v_cmp_u_f32_e32 vcc, v22, v22
	v_cndmask_b32_e32 v22, v23, v24, vcc
	v_and_b32_e32 v1, 0xffff0000, v22
	v_add_f32_e32 v1, v1, v10
	v_add_f32_e32 v0, v0, v1
	buffer_load_dword v1, off, s[0:3], s32 offset:480 ; 4-byte Folded Reload
	s_waitcnt vmcnt(0)
	v_add_f32_e32 v1, v1, v0
	buffer_load_dword v0, off, s[0:3], s32 offset:96 ; 4-byte Folded Reload
	s_waitcnt vmcnt(0)
	v_lshlrev_b32_e32 v0, 16, v0
	v_mul_f32_e32 v0, v2, v0
	buffer_store_dword v1, off, s[0:3], s32 offset:480 ; 4-byte Folded Spill
	v_bfe_u32 v1, v0, 16, 1
	v_add3_u32 v1, v1, v0, s40
	v_or_b32_e32 v10, 0x400000, v0
	v_cmp_u_f32_e32 vcc, v0, v0
	v_cndmask_b32_e32 v0, v1, v10, vcc
	buffer_load_dword v1, off, s[0:3], s32 offset:100 ; 4-byte Folded Reload
	v_and_b32_e32 v0, 0xffff0000, v0
	s_waitcnt vmcnt(0)
	v_lshlrev_b32_e32 v1, 16, v1
	v_mul_f32_e32 v1, v5, v1
	v_bfe_u32 v10, v1, 16, 1
	v_add3_u32 v10, v10, v1, s40
	v_or_b32_e32 v11, 0x400000, v1
	v_cmp_u_f32_e32 vcc, v1, v1
	v_cndmask_b32_e32 v1, v10, v11, vcc
	buffer_load_dword v10, off, s[0:3], s32 offset:84 ; 4-byte Folded Reload
	v_and_b32_e32 v1, 0xffff0000, v1
	v_add_f32_e32 v0, v1, v0
	s_waitcnt vmcnt(0)
	v_lshlrev_b32_e32 v10, 16, v10
	v_mul_f32_e32 v10, v3, v10
	v_bfe_u32 v11, v10, 16, 1
	v_add3_u32 v11, v11, v10, s40
	v_or_b32_e32 v12, 0x400000, v10
	v_cmp_u_f32_e32 vcc, v10, v10
	v_cndmask_b32_e32 v10, v11, v12, vcc
	buffer_load_dword v11, off, s[0:3], s32 offset:88 ; 4-byte Folded Reload
	v_and_b32_e32 v10, 0xffff0000, v10
	s_waitcnt vmcnt(0)
	v_lshlrev_b32_e32 v11, 16, v11
	v_mul_f32_e32 v11, v7, v11
	v_bfe_u32 v12, v11, 16, 1
	v_add3_u32 v12, v12, v11, s40
	v_or_b32_e32 v13, 0x400000, v11
	v_cmp_u_f32_e32 vcc, v11, v11
	v_cndmask_b32_e32 v11, v12, v13, vcc
	v_lshlrev_b32_e32 v12, 16, v37
	v_mul_f32_e32 v12, v4, v12
	v_bfe_u32 v13, v12, 16, 1
	v_add3_u32 v13, v13, v12, s40
	v_or_b32_e32 v18, 0x400000, v12
	v_cmp_u_f32_e32 vcc, v12, v12
	v_cndmask_b32_e32 v12, v13, v18, vcc
	buffer_load_dword v13, off, s[0:3], s32 offset:64 ; 4-byte Folded Reload
	v_and_b32_e32 v1, 0xffff0000, v11
	v_add_f32_e32 v1, v1, v10
	v_add_f32_e32 v0, v0, v1
	v_and_b32_e32 v10, 0xffff0000, v12
	s_waitcnt vmcnt(0)
	v_lshlrev_b32_e32 v13, 16, v13
	v_mul_f32_e32 v13, v8, v13
	v_bfe_u32 v18, v13, 16, 1
	v_add3_u32 v18, v18, v13, s40
	v_or_b32_e32 v22, 0x400000, v13
	v_cmp_u_f32_e32 vcc, v13, v13
	v_cndmask_b32_e32 v13, v18, v22, vcc
	buffer_load_dword v18, off, s[0:3], s32 offset:92 ; 4-byte Folded Reload
	v_and_b32_e32 v1, 0xffff0000, v13
	v_add_f32_e32 v1, v1, v10
	v_add_f32_e32 v0, v0, v1
	s_waitcnt vmcnt(0)
	v_lshlrev_b32_e32 v18, 16, v18
	v_mul_f32_e32 v18, v6, v18
	v_bfe_u32 v22, v18, 16, 1
	v_add3_u32 v22, v22, v18, s40
	v_or_b32_e32 v23, 0x400000, v18
	v_cmp_u_f32_e32 vcc, v18, v18
	v_cndmask_b32_e32 v18, v22, v23, vcc
	buffer_load_dword v22, off, s[0:3], s32 offset:72 ; 4-byte Folded Reload
	v_and_b32_e32 v10, 0xffff0000, v18
	s_waitcnt vmcnt(0)
	v_lshlrev_b32_e32 v22, 16, v22
	v_mul_f32_e32 v22, v9, v22
	v_bfe_u32 v23, v22, 16, 1
	v_add3_u32 v23, v23, v22, s40
	v_or_b32_e32 v24, 0x400000, v22
	v_cmp_u_f32_e32 vcc, v22, v22
	v_cndmask_b32_e32 v22, v23, v24, vcc
	v_and_b32_e32 v1, 0xffff0000, v22
	v_add_f32_e32 v1, v1, v10
	v_add_f32_e32 v0, v0, v1
	buffer_load_dword v1, off, s[0:3], s32 offset:476 ; 4-byte Folded Reload
	s_waitcnt vmcnt(0)
	v_add_f32_e32 v1, v1, v0
	v_lshlrev_b32_e32 v0, 16, v26
	v_mul_f32_e32 v0, v5, v0
	buffer_store_dword v1, off, s[0:3], s32 offset:476 ; 4-byte Folded Spill
	v_bfe_u32 v1, v0, 16, 1
	v_add3_u32 v1, v1, v0, s40
	v_or_b32_e32 v5, 0x400000, v0
	v_cmp_u_f32_e32 vcc, v0, v0
	v_cndmask_b32_e32 v0, v1, v5, vcc
	v_lshlrev_b32_e32 v1, 16, v30
	v_mul_f32_e32 v1, v2, v1
	v_bfe_u32 v2, v1, 16, 1
	v_add3_u32 v2, v2, v1, s40
	v_or_b32_e32 v5, 0x400000, v1
	v_cmp_u_f32_e32 vcc, v1, v1
	v_cndmask_b32_e32 v1, v2, v5, vcc
	v_lshlrev_b32_e32 v2, 16, v21
	v_mul_f32_e32 v2, v7, v2
	;; [unrolled: 7-line block ×5, first 2 shown]
	v_bfe_u32 v7, v4, 16, 1
	v_add3_u32 v7, v7, v4, s40
	v_or_b32_e32 v8, 0x400000, v4
	v_cmp_u_f32_e32 vcc, v4, v4
	v_cndmask_b32_e32 v4, v7, v8, vcc
	v_lshlrev_b32_e32 v7, 16, v19
	buffer_load_dword v19, off, s[0:3], s32 offset:484 ; 4-byte Folded Reload
	v_mul_f32_e32 v7, v9, v7
	v_bfe_u32 v8, v7, 16, 1
	v_add3_u32 v8, v8, v7, s40
	v_or_b32_e32 v9, 0x400000, v7
	v_cmp_u_f32_e32 vcc, v7, v7
	v_cndmask_b32_e32 v7, v8, v9, vcc
	v_lshlrev_b32_e32 v8, 16, v20
	v_and_b32_e32 v1, 0xffff0000, v1
	v_and_b32_e32 v0, 0xffff0000, v0
	v_mul_f32_e32 v6, v6, v8
	v_add_f32_e32 v0, v0, v1
	v_and_b32_e32 v1, 0xffff0000, v3
	v_and_b32_e32 v2, 0xffff0000, v2
	v_bfe_u32 v8, v6, 16, 1
	v_add_f32_e32 v1, v2, v1
	v_add3_u32 v8, v8, v6, s40
	v_or_b32_e32 v9, 0x400000, v6
	v_cmp_u_f32_e32 vcc, v6, v6
	v_add_f32_e32 v0, v0, v1
	v_and_b32_e32 v1, 0xffff0000, v4
	v_and_b32_e32 v2, 0xffff0000, v5
	v_cndmask_b32_e32 v6, v8, v9, vcc
	v_add_f32_e32 v1, v2, v1
	v_add_f32_e32 v0, v0, v1
	v_and_b32_e32 v1, 0xffff0000, v6
	v_and_b32_e32 v2, 0xffff0000, v7
	v_add_f32_e32 v1, v2, v1
	v_add_f32_e32 v0, v0, v1
	buffer_load_dword v1, off, s[0:3], s32 offset:76 ; 4-byte Folded Reload
	buffer_load_dword v4, off, s[0:3], s32 offset:488 ; 4-byte Folded Reload
	v_add_co_u32_e32 v44, vcc, 8, v44
	v_addc_co_u32_e32 v45, vcc, 0, v45, vcc
	s_waitcnt vmcnt(2)
	v_add_f32_e32 v19, v19, v0
	buffer_load_dword v0, off, s[0:3], s32 offset:80 ; 4-byte Folded Reload
	s_waitcnt vmcnt(2)
	v_add_u32_e32 v1, 2, v1
	s_waitcnt vmcnt(1)
	v_add_u32_e32 v4, 0x100, v4
	buffer_store_dword v1, off, s[0:3], s32 offset:76 ; 4-byte Folded Spill
	s_waitcnt vmcnt(1)
	v_cmp_ge_i32_e32 vcc, v1, v0
	s_or_b64 s[12:13], vcc, s[12:13]
	s_andn2_b64 exec, exec, s[12:13]
	s_cbranch_execz .LBB328_1600
.LBB328_800:                            ; =>This Inner Loop Header: Depth=1
	buffer_store_dword v19, off, s[0:3], s32 offset:484 ; 4-byte Folded Spill
	flat_load_dword v0, v[44:45]
	buffer_load_dword v1, off, s[0:3], s32 offset:420 ; 4-byte Folded Reload
	buffer_load_dword v2, off, s[0:3], s32 offset:492 ; 4-byte Folded Reload
	;; [unrolled: 1-line block ×3, first 2 shown]
	ds_read2_b64 v[6:9], v4 offset1:1
	buffer_store_dword v4, off, s[0:3], s32 offset:488 ; 4-byte Folded Spill
	s_waitcnt vmcnt(0) lgkmcnt(0)
	v_mad_i64_i32 v[16:17], s[6:7], v0, v1, v[2:3]
	buffer_load_dword v0, off, s[0:3], s32 offset:500 ; 4-byte Folded Reload
	ds_read2_b64 v[2:5], v4 offset0:2 offset1:3
	s_waitcnt vmcnt(0)
	v_add_co_u32_e32 v19, vcc, v16, v0
	v_addc_co_u32_e32 v20, vcc, 0, v17, vcc
	flat_load_dwordx2 v[21:22], v[19:20]
	v_mov_b32_e32 v0, 0
	s_waitcnt vmcnt(0) lgkmcnt(0)
	v_cmp_ne_u16_sdwa s[22:23], v21, v15 src0_sel:BYTE_0 src1_sel:DWORD
	s_and_saveexec_b64 s[6:7], s[22:23]
	s_cbranch_execz .LBB328_806
; %bb.801:                              ;   in Loop: Header=BB328_800 Depth=1
	v_cmp_ne_u16_sdwa s[24:25], v21, s28 src0_sel:BYTE_0 src1_sel:DWORD
	v_bfrev_b32_e32 v0, 1
	s_and_saveexec_b64 s[22:23], s[24:25]
	s_cbranch_execz .LBB328_805
; %bb.802:                              ;   in Loop: Header=BB328_800 Depth=1
	v_and_b32_e32 v1, 0x7f, v21
	v_cmp_ne_u32_e32 vcc, s29, v1
	v_mov_b32_e32 v0, 0x7f800001
	s_and_saveexec_b64 s[24:25], vcc
	s_cbranch_execz .LBB328_804
; %bb.803:                              ;   in Loop: Header=BB328_800 Depth=1
	v_and_b32_e32 v0, 7, v21
	v_ffbh_u32_e32 v0, v0
	v_min_u32_e32 v0, 32, v0
	v_lshrrev_b32_e32 v10, 3, v1
	v_subrev_u32_e32 v11, 28, v0
	v_sub_u32_e32 v0, 29, v0
	v_cmp_gt_u32_e32 vcc, 8, v1
	v_cndmask_b32_e32 v10, v10, v0, vcc
	v_cndmask_b32_e32 v0, 0, v11, vcc
	v_lshlrev_b64 v[0:1], v0, v[21:22]
	v_lshlrev_b32_e32 v1, 24, v21
	v_lshlrev_b32_e32 v0, 20, v0
	v_bfrev_b32_e32 v11, 60
	v_and_b32_e32 v0, 0x700000, v0
	v_and_b32_e32 v1, 0x80000000, v1
	v_lshl_add_u32 v10, v10, 23, v11
	v_or3_b32 v0, v1, v10, v0
.LBB328_804:                            ;   in Loop: Header=BB328_800 Depth=1
	s_or_b64 exec, exec, s[24:25]
.LBB328_805:                            ;   in Loop: Header=BB328_800 Depth=1
	s_or_b64 exec, exec, s[22:23]
.LBB328_806:                            ;   in Loop: Header=BB328_800 Depth=1
	s_or_b64 exec, exec, s[6:7]
	v_lshrrev_b16_e32 v14, 8, v21
	v_cmp_ne_u16_e32 vcc, 0, v14
	v_mov_b32_e32 v12, 0
	v_mov_b32_e32 v1, 0
	s_and_saveexec_b64 s[6:7], vcc
	s_cbranch_execz .LBB328_812
; %bb.807:                              ;   in Loop: Header=BB328_800 Depth=1
	v_cmp_ne_u16_e32 vcc, s28, v14
	v_bfrev_b32_e32 v1, 1
	s_and_saveexec_b64 s[22:23], vcc
	s_cbranch_execz .LBB328_811
; %bb.808:                              ;   in Loop: Header=BB328_800 Depth=1
	v_and_b32_e32 v10, 0x7f, v14
	v_cmp_ne_u32_e32 vcc, s29, v10
	v_mov_b32_e32 v1, 0x7f800001
	s_and_saveexec_b64 s[24:25], vcc
	s_cbranch_execz .LBB328_810
; %bb.809:                              ;   in Loop: Header=BB328_800 Depth=1
	v_and_b32_e32 v1, 7, v14
	v_ffbh_u32_e32 v13, v1
	v_min_u32_e32 v18, 32, v13
	v_subrev_u32_e32 v13, 28, v18
	v_lshlrev_b64 v[13:14], v13, v[14:15]
	v_lshrrev_b32_e32 v11, 3, v10
	v_sub_u32_e32 v14, 29, v18
	v_and_b32_e32 v13, 7, v13
	v_cmp_gt_u32_e32 vcc, 8, v10
	v_cndmask_b32_e32 v10, v11, v14, vcc
	v_cndmask_b32_e32 v1, v1, v13, vcc
	v_lshlrev_b32_e32 v11, 16, v21
	v_bfrev_b32_e32 v13, 60
	v_lshlrev_b32_e32 v1, 20, v1
	v_and_b32_e32 v11, 0x80000000, v11
	v_lshl_add_u32 v10, v10, 23, v13
	v_or3_b32 v1, v11, v10, v1
.LBB328_810:                            ;   in Loop: Header=BB328_800 Depth=1
	s_or_b64 exec, exec, s[24:25]
.LBB328_811:                            ;   in Loop: Header=BB328_800 Depth=1
	s_or_b64 exec, exec, s[22:23]
.LBB328_812:                            ;   in Loop: Header=BB328_800 Depth=1
	s_or_b64 exec, exec, s[6:7]
	v_lshrrev_b32_e32 v14, 16, v21
	v_cmp_ne_u16_sdwa s[22:23], v14, v15 src0_sel:BYTE_0 src1_sel:DWORD
	s_and_saveexec_b64 s[6:7], s[22:23]
	s_cbranch_execz .LBB328_818
; %bb.813:                              ;   in Loop: Header=BB328_800 Depth=1
	v_cmp_ne_u16_sdwa s[24:25], v14, s28 src0_sel:BYTE_0 src1_sel:DWORD
	v_bfrev_b32_e32 v12, 1
	s_and_saveexec_b64 s[22:23], s[24:25]
	s_cbranch_execz .LBB328_817
; %bb.814:                              ;   in Loop: Header=BB328_800 Depth=1
	v_bfe_u32 v10, v21, 16, 7
	v_cmp_ne_u32_e32 vcc, s29, v10
	v_mov_b32_e32 v12, 0x7f800001
	s_and_saveexec_b64 s[24:25], vcc
	s_cbranch_execz .LBB328_816
; %bb.815:                              ;   in Loop: Header=BB328_800 Depth=1
	v_and_b32_e32 v13, 7, v14
	v_ffbh_u32_e32 v11, v13
	v_min_u32_e32 v23, 32, v11
	v_subrev_u32_e32 v11, 28, v23
	v_lshlrev_b64 v[11:12], v11, v[14:15]
	v_lshrrev_b32_e32 v18, 3, v10
	v_sub_u32_e32 v12, 29, v23
	v_and_b32_e32 v11, 7, v11
	v_cmp_gt_u32_e32 vcc, 8, v10
	v_cndmask_b32_e32 v10, v18, v12, vcc
	v_cndmask_b32_e32 v11, v13, v11, vcc
	v_lshlrev_b32_e32 v12, 24, v14
	v_bfrev_b32_e32 v13, 60
	v_lshlrev_b32_e32 v11, 20, v11
	v_and_b32_e32 v12, 0x80000000, v12
	v_lshl_add_u32 v10, v10, 23, v13
	v_or3_b32 v12, v12, v10, v11
.LBB328_816:                            ;   in Loop: Header=BB328_800 Depth=1
	s_or_b64 exec, exec, s[24:25]
.LBB328_817:                            ;   in Loop: Header=BB328_800 Depth=1
	s_or_b64 exec, exec, s[22:23]
.LBB328_818:                            ;   in Loop: Header=BB328_800 Depth=1
	s_or_b64 exec, exec, s[6:7]
	v_cmp_lt_u32_e32 vcc, s11, v21
	v_mov_b32_e32 v13, 0
	v_mov_b32_e32 v11, 0
	s_and_saveexec_b64 s[6:7], vcc
	s_cbranch_execz .LBB328_824
; %bb.819:                              ;   in Loop: Header=BB328_800 Depth=1
	v_lshrrev_b32_e32 v14, 24, v21
	v_cmp_ne_u32_e32 vcc, s28, v14
	v_bfrev_b32_e32 v11, 1
	s_and_saveexec_b64 s[22:23], vcc
	s_cbranch_execz .LBB328_823
; %bb.820:                              ;   in Loop: Header=BB328_800 Depth=1
	v_bfe_u32 v10, v21, 24, 7
	v_cmp_ne_u32_e32 vcc, s29, v10
	v_mov_b32_e32 v11, 0x7f800001
	s_and_saveexec_b64 s[24:25], vcc
	s_cbranch_execz .LBB328_822
; %bb.821:                              ;   in Loop: Header=BB328_800 Depth=1
	v_and_b32_e32 v18, 7, v14
	v_lshrrev_b32_e32 v23, 3, v10
	v_cmp_gt_u32_e32 vcc, 8, v10
	v_ffbh_u32_e32 v10, v18
	v_min_u32_e32 v24, 32, v10
	v_subrev_u32_e32 v10, 28, v24
	v_lshlrev_b64 v[10:11], v10, v[14:15]
	v_sub_u32_e32 v11, 29, v24
	v_and_b32_e32 v10, 7, v10
	v_cndmask_b32_e32 v11, v23, v11, vcc
	v_cndmask_b32_e32 v10, v18, v10, vcc
	v_lshlrev_b32_e32 v14, 24, v14
	v_bfrev_b32_e32 v18, 60
	v_lshlrev_b32_e32 v10, 20, v10
	v_and_b32_e32 v14, 0x80000000, v14
	v_lshl_add_u32 v11, v11, 23, v18
	v_or3_b32 v11, v14, v11, v10
.LBB328_822:                            ;   in Loop: Header=BB328_800 Depth=1
	s_or_b64 exec, exec, s[24:25]
.LBB328_823:                            ;   in Loop: Header=BB328_800 Depth=1
	s_or_b64 exec, exec, s[22:23]
.LBB328_824:                            ;   in Loop: Header=BB328_800 Depth=1
	s_or_b64 exec, exec, s[6:7]
	v_mov_b32_e32 v14, v22
	v_cmp_ne_u16_sdwa s[22:23], v22, v15 src0_sel:BYTE_0 src1_sel:DWORD
	s_and_saveexec_b64 s[6:7], s[22:23]
	s_cbranch_execz .LBB328_830
; %bb.825:                              ;   in Loop: Header=BB328_800 Depth=1
	v_cmp_ne_u16_sdwa s[24:25], v22, s28 src0_sel:BYTE_0 src1_sel:DWORD
	v_bfrev_b32_e32 v13, 1
	s_and_saveexec_b64 s[22:23], s[24:25]
	s_cbranch_execz .LBB328_829
; %bb.826:                              ;   in Loop: Header=BB328_800 Depth=1
	v_and_b32_e32 v10, 0x7f, v22
	v_cmp_ne_u32_e32 vcc, s29, v10
	v_mov_b32_e32 v13, 0x7f800001
	s_and_saveexec_b64 s[24:25], vcc
	s_cbranch_execz .LBB328_828
; %bb.827:                              ;   in Loop: Header=BB328_800 Depth=1
	v_and_b32_e32 v13, 7, v22
	v_ffbh_u32_e32 v13, v13
	v_min_u32_e32 v13, 32, v13
	v_lshrrev_b32_e32 v18, 3, v10
	v_subrev_u32_e32 v23, 28, v13
	v_sub_u32_e32 v13, 29, v13
	v_cmp_gt_u32_e32 vcc, 8, v10
	v_cndmask_b32_e32 v10, v18, v13, vcc
	v_cndmask_b32_e32 v13, 0, v23, vcc
	v_lshlrev_b64 v[23:24], v13, v[14:15]
	v_lshlrev_b32_e32 v18, 24, v14
	v_lshlrev_b32_e32 v13, 20, v23
	v_bfrev_b32_e32 v23, 60
	v_and_b32_e32 v13, 0x700000, v13
	v_and_b32_e32 v18, 0x80000000, v18
	v_lshl_add_u32 v10, v10, 23, v23
	v_or3_b32 v13, v18, v10, v13
.LBB328_828:                            ;   in Loop: Header=BB328_800 Depth=1
	s_or_b64 exec, exec, s[24:25]
.LBB328_829:                            ;   in Loop: Header=BB328_800 Depth=1
	s_or_b64 exec, exec, s[22:23]
.LBB328_830:                            ;   in Loop: Header=BB328_800 Depth=1
	s_or_b64 exec, exec, s[6:7]
	v_lshrrev_b16_e32 v23, 8, v14
	v_cmp_ne_u16_e32 vcc, 0, v23
	v_mov_b32_e32 v18, 0
	v_mov_b32_e32 v24, 0
	s_and_saveexec_b64 s[6:7], vcc
	s_cbranch_execz .LBB328_836
; %bb.831:                              ;   in Loop: Header=BB328_800 Depth=1
	v_cmp_ne_u16_e32 vcc, s28, v23
	v_bfrev_b32_e32 v24, 1
	s_and_saveexec_b64 s[22:23], vcc
	s_cbranch_execz .LBB328_835
; %bb.832:                              ;   in Loop: Header=BB328_800 Depth=1
	v_and_b32_e32 v10, 0x7f, v23
	v_cmp_ne_u32_e32 vcc, s29, v10
	v_mov_b32_e32 v24, 0x7f800001
	s_and_saveexec_b64 s[24:25], vcc
	s_cbranch_execz .LBB328_834
; %bb.833:                              ;   in Loop: Header=BB328_800 Depth=1
	v_and_b32_e32 v25, 7, v23
	v_lshrrev_b32_e32 v26, 3, v10
	v_cmp_gt_u32_e32 vcc, 8, v10
	v_ffbh_u32_e32 v10, v25
	v_min_u32_e32 v10, 32, v10
	v_subrev_u32_e32 v24, 28, v10
	v_lshlrev_b64 v[23:24], v24, v[23:24]
	v_sub_u32_e32 v10, 29, v10
	v_and_b32_e32 v23, 7, v23
	v_cndmask_b32_e32 v10, v26, v10, vcc
	v_cndmask_b32_e32 v23, v25, v23, vcc
	v_lshlrev_b32_e32 v14, 16, v14
	v_bfrev_b32_e32 v24, 60
	v_lshlrev_b32_e32 v23, 20, v23
	v_and_b32_e32 v14, 0x80000000, v14
	v_lshl_add_u32 v10, v10, 23, v24
	v_or3_b32 v24, v14, v10, v23
.LBB328_834:                            ;   in Loop: Header=BB328_800 Depth=1
	s_or_b64 exec, exec, s[24:25]
.LBB328_835:                            ;   in Loop: Header=BB328_800 Depth=1
	s_or_b64 exec, exec, s[22:23]
.LBB328_836:                            ;   in Loop: Header=BB328_800 Depth=1
	s_or_b64 exec, exec, s[6:7]
	v_lshrrev_b32_e32 v14, 16, v22
	v_cmp_ne_u16_sdwa s[22:23], v14, v15 src0_sel:BYTE_0 src1_sel:DWORD
	s_and_saveexec_b64 s[6:7], s[22:23]
	s_cbranch_execz .LBB328_842
; %bb.837:                              ;   in Loop: Header=BB328_800 Depth=1
	v_cmp_ne_u16_sdwa s[24:25], v14, s28 src0_sel:BYTE_0 src1_sel:DWORD
	v_bfrev_b32_e32 v18, 1
	s_and_saveexec_b64 s[22:23], s[24:25]
	s_cbranch_execz .LBB328_841
; %bb.838:                              ;   in Loop: Header=BB328_800 Depth=1
	v_bfe_u32 v10, v22, 16, 7
	v_cmp_ne_u32_e32 vcc, s29, v10
	v_mov_b32_e32 v18, 0x7f800001
	s_and_saveexec_b64 s[24:25], vcc
	s_cbranch_execz .LBB328_840
; %bb.839:                              ;   in Loop: Header=BB328_800 Depth=1
	v_and_b32_e32 v18, 7, v14
	v_lshrrev_b32_e32 v23, 3, v10
	v_cmp_gt_u32_e32 vcc, 8, v10
	v_ffbh_u32_e32 v10, v18
	v_min_u32_e32 v10, 32, v10
	v_subrev_u32_e32 v25, 28, v10
	v_lshlrev_b64 v[25:26], v25, v[14:15]
	v_sub_u32_e32 v10, 29, v10
	v_and_b32_e32 v25, 7, v25
	v_cndmask_b32_e32 v10, v23, v10, vcc
	v_cndmask_b32_e32 v18, v18, v25, vcc
	v_lshlrev_b32_e32 v14, 24, v14
	v_bfrev_b32_e32 v23, 60
	v_lshlrev_b32_e32 v18, 20, v18
	v_and_b32_e32 v14, 0x80000000, v14
	v_lshl_add_u32 v10, v10, 23, v23
	v_or3_b32 v18, v14, v10, v18
.LBB328_840:                            ;   in Loop: Header=BB328_800 Depth=1
	s_or_b64 exec, exec, s[24:25]
.LBB328_841:                            ;   in Loop: Header=BB328_800 Depth=1
	s_or_b64 exec, exec, s[22:23]
.LBB328_842:                            ;   in Loop: Header=BB328_800 Depth=1
	s_or_b64 exec, exec, s[6:7]
	v_cmp_lt_u64_e32 vcc, s[10:11], v[21:22]
	v_mov_b32_e32 v10, 0
	s_and_saveexec_b64 s[6:7], vcc
	s_cbranch_execz .LBB328_848
; %bb.843:                              ;   in Loop: Header=BB328_800 Depth=1
	v_lshrrev_b32_e32 v14, 24, v22
	v_cmp_ne_u32_e32 vcc, s28, v14
	v_bfrev_b32_e32 v10, 1
	s_and_saveexec_b64 s[22:23], vcc
	s_cbranch_execz .LBB328_847
; %bb.844:                              ;   in Loop: Header=BB328_800 Depth=1
	v_bfe_u32 v21, v22, 24, 7
	v_cmp_ne_u32_e32 vcc, s29, v21
	v_mov_b32_e32 v10, 0x7f800001
	s_and_saveexec_b64 s[24:25], vcc
	s_cbranch_execz .LBB328_846
; %bb.845:                              ;   in Loop: Header=BB328_800 Depth=1
	v_and_b32_e32 v10, 7, v14
	v_lshrrev_b32_e32 v23, 3, v21
	v_cmp_gt_u32_e32 vcc, 8, v21
	v_ffbh_u32_e32 v21, v10
	v_min_u32_e32 v25, 32, v21
	v_subrev_u32_e32 v21, 28, v25
	v_lshlrev_b64 v[21:22], v21, v[14:15]
	v_sub_u32_e32 v22, 29, v25
	v_and_b32_e32 v21, 7, v21
	v_cndmask_b32_e32 v22, v23, v22, vcc
	v_cndmask_b32_e32 v10, v10, v21, vcc
	v_lshlrev_b32_e32 v14, 24, v14
	v_bfrev_b32_e32 v21, 60
	v_lshlrev_b32_e32 v10, 20, v10
	v_and_b32_e32 v14, 0x80000000, v14
	v_lshl_add_u32 v21, v22, 23, v21
	v_or3_b32 v10, v14, v21, v10
.LBB328_846:                            ;   in Loop: Header=BB328_800 Depth=1
	s_or_b64 exec, exec, s[24:25]
.LBB328_847:                            ;   in Loop: Header=BB328_800 Depth=1
	s_or_b64 exec, exec, s[22:23]
.LBB328_848:                            ;   in Loop: Header=BB328_800 Depth=1
	s_or_b64 exec, exec, s[6:7]
	buffer_load_dword v14, off, s[0:3], s32 offset:80 ; 4-byte Folded Reload
	buffer_load_dword v21, off, s[0:3], s32 offset:76 ; 4-byte Folded Reload
	v_mul_f32_e32 v13, v40, v13
	v_mul_f32_e32 v11, v40, v11
	;; [unrolled: 1-line block ×4, first 2 shown]
	v_add_u32_e32 v63, -7, v49
	s_waitcnt vmcnt(1)
	v_add_u32_e32 v14, -1, v14
	s_waitcnt vmcnt(0)
	v_cmp_eq_u32_e64 s[6:7], v14, v21
	v_mul_f32_e32 v14, v40, v24
	v_bfe_u32 v21, v14, 16, 1
	v_add3_u32 v21, v21, v14, s40
	v_or_b32_e32 v22, 0x400000, v14
	v_cmp_u_f32_e32 vcc, v14, v14
	v_cndmask_b32_e32 v14, v21, v22, vcc
	v_lshrrev_b32_e32 v33, 16, v14
	v_bfe_u32 v14, v13, 16, 1
	v_add3_u32 v14, v14, v13, s40
	v_or_b32_e32 v21, 0x400000, v13
	v_cmp_u_f32_e32 vcc, v13, v13
	v_cndmask_b32_e32 v13, v14, v21, vcc
	v_lshrrev_b32_e32 v13, 16, v13
	buffer_store_dword v13, off, s[0:3], s32 offset:64 ; 4-byte Folded Spill
	v_bfe_u32 v13, v11, 16, 1
	v_add3_u32 v13, v13, v11, s40
	v_or_b32_e32 v14, 0x400000, v11
	v_cmp_u_f32_e32 vcc, v11, v11
	v_cndmask_b32_e32 v11, v13, v14, vcc
	v_lshrrev_b32_e32 v11, 16, v11
	buffer_store_dword v11, off, s[0:3], s32 offset:84 ; 4-byte Folded Spill
	v_mul_f32_e32 v11, v40, v12
	v_bfe_u32 v12, v11, 16, 1
	v_add3_u32 v12, v12, v11, s40
	v_or_b32_e32 v13, 0x400000, v11
	v_cmp_u_f32_e32 vcc, v11, v11
	v_cndmask_b32_e32 v11, v12, v13, vcc
	v_lshrrev_b32_e32 v11, 16, v11
	buffer_store_dword v11, off, s[0:3], s32 offset:88 ; 4-byte Folded Spill
	v_bfe_u32 v11, v1, 16, 1
	v_add3_u32 v11, v11, v1, s40
	v_or_b32_e32 v12, 0x400000, v1
	v_cmp_u_f32_e32 vcc, v1, v1
	v_cndmask_b32_e32 v1, v11, v12, vcc
	v_lshrrev_b32_e32 v1, 16, v1
	buffer_store_dword v1, off, s[0:3], s32 offset:96 ; 4-byte Folded Spill
	;; [unrolled: 7-line block ×3, first 2 shown]
	v_mul_f32_e32 v0, v40, v18
	v_bfe_u32 v1, v0, 16, 1
	v_add3_u32 v1, v1, v0, s40
	v_or_b32_e32 v11, 0x400000, v0
	v_cmp_u_f32_e32 vcc, v0, v0
	v_cndmask_b32_e32 v0, v1, v11, vcc
	v_lshrrev_b32_e32 v0, 16, v0
	buffer_store_dword v0, off, s[0:3], s32 offset:72 ; 4-byte Folded Spill
	v_mul_f32_e32 v0, v40, v10
	v_bfe_u32 v1, v0, 16, 1
	v_add3_u32 v1, v1, v0, s40
	v_or_b32_e32 v10, 0x400000, v0
	v_cmp_u_f32_e32 vcc, v0, v0
	v_cndmask_b32_e32 v0, v1, v10, vcc
	v_lshrrev_b32_e32 v0, 16, v0
	buffer_store_dword v0, off, s[0:3], s32 offset:92 ; 4-byte Folded Spill
	s_and_saveexec_b64 s[22:23], s[6:7]
	s_cbranch_execz .LBB328_850
; %bb.849:                              ;   in Loop: Header=BB328_800 Depth=1
	buffer_load_dword v0, off, s[0:3], s32 offset:68 ; 4-byte Folded Reload
	buffer_load_dword v1, off, s[0:3], s32 offset:100 ; 4-byte Folded Reload
	s_waitcnt vmcnt(1)
	v_cmp_lt_i32_e32 vcc, v63, v0
	s_waitcnt vmcnt(0)
	v_cndmask_b32_e32 v1, 0, v1, vcc
	buffer_store_dword v1, off, s[0:3], s32 offset:100 ; 4-byte Folded Spill
	v_add_u32_e32 v1, -6, v49
	v_cmp_lt_i32_e32 vcc, v1, v0
	buffer_load_dword v1, off, s[0:3], s32 offset:96 ; 4-byte Folded Reload
	s_waitcnt vmcnt(0)
	v_cndmask_b32_e32 v1, 0, v1, vcc
	buffer_store_dword v1, off, s[0:3], s32 offset:96 ; 4-byte Folded Spill
	v_add_u32_e32 v1, -5, v49
	v_cmp_lt_i32_e32 vcc, v1, v0
	buffer_load_dword v1, off, s[0:3], s32 offset:88 ; 4-byte Folded Reload
	s_waitcnt vmcnt(0)
	v_cndmask_b32_e32 v1, 0, v1, vcc
	buffer_store_dword v1, off, s[0:3], s32 offset:88 ; 4-byte Folded Spill
	v_add_u32_e32 v1, -4, v49
	v_cmp_lt_i32_e32 vcc, v1, v0
	buffer_load_dword v1, off, s[0:3], s32 offset:84 ; 4-byte Folded Reload
	s_waitcnt vmcnt(0)
	v_cndmask_b32_e32 v1, 0, v1, vcc
	buffer_store_dword v1, off, s[0:3], s32 offset:84 ; 4-byte Folded Spill
	v_add_u32_e32 v1, -3, v49
	v_cmp_lt_i32_e32 vcc, v1, v0
	buffer_load_dword v1, off, s[0:3], s32 offset:64 ; 4-byte Folded Reload
	s_waitcnt vmcnt(0)
	v_cndmask_b32_e32 v1, 0, v1, vcc
	buffer_store_dword v1, off, s[0:3], s32 offset:64 ; 4-byte Folded Spill
	v_add_u32_e32 v1, -2, v49
	v_cmp_lt_i32_e32 vcc, v1, v0
	v_add_u32_e32 v1, -1, v49
	v_cndmask_b32_e32 v33, 0, v33, vcc
	v_cmp_lt_i32_e32 vcc, v1, v0
	buffer_load_dword v1, off, s[0:3], s32 offset:72 ; 4-byte Folded Reload
	s_waitcnt vmcnt(0)
	v_cndmask_b32_e32 v1, 0, v1, vcc
	v_cmp_lt_i32_e32 vcc, v49, v0
	buffer_load_dword v0, off, s[0:3], s32 offset:92 ; 4-byte Folded Reload
	s_waitcnt vmcnt(0)
	v_cndmask_b32_e32 v0, 0, v0, vcc
	buffer_store_dword v1, off, s[0:3], s32 offset:72 ; 4-byte Folded Spill
	buffer_store_dword v0, off, s[0:3], s32 offset:92 ; 4-byte Folded Spill
.LBB328_850:                            ;   in Loop: Header=BB328_800 Depth=1
	s_or_b64 exec, exec, s[22:23]
	flat_load_dwordx2 v[21:22], v[19:20] offset:512
	v_mov_b32_e32 v1, 0
	v_mov_b32_e32 v0, 0
	s_waitcnt vmcnt(0) lgkmcnt(0)
	v_cmp_ne_u16_sdwa s[24:25], v21, v15 src0_sel:BYTE_0 src1_sel:DWORD
	s_and_saveexec_b64 s[22:23], s[24:25]
	s_cbranch_execz .LBB328_856
; %bb.851:                              ;   in Loop: Header=BB328_800 Depth=1
	v_cmp_ne_u16_sdwa s[26:27], v21, s28 src0_sel:BYTE_0 src1_sel:DWORD
	v_bfrev_b32_e32 v0, 1
	s_and_saveexec_b64 s[24:25], s[26:27]
	s_cbranch_execz .LBB328_855
; %bb.852:                              ;   in Loop: Header=BB328_800 Depth=1
	v_and_b32_e32 v10, 0x7f, v21
	v_cmp_ne_u32_e32 vcc, s29, v10
	v_mov_b32_e32 v0, 0x7f800001
	s_and_saveexec_b64 s[26:27], vcc
	s_cbranch_execz .LBB328_854
; %bb.853:                              ;   in Loop: Header=BB328_800 Depth=1
	v_and_b32_e32 v0, 7, v21
	v_ffbh_u32_e32 v0, v0
	v_min_u32_e32 v0, 32, v0
	v_lshrrev_b32_e32 v11, 3, v10
	v_cmp_gt_u32_e32 vcc, 8, v10
	v_subrev_u32_e32 v10, 28, v0
	v_sub_u32_e32 v0, 29, v0
	v_cndmask_b32_e32 v10, 0, v10, vcc
	v_cndmask_b32_e32 v0, v11, v0, vcc
	v_lshlrev_b64 v[10:11], v10, v[21:22]
	v_lshlrev_b32_e32 v11, 24, v21
	v_lshlrev_b32_e32 v10, 20, v10
	v_bfrev_b32_e32 v12, 60
	v_and_b32_e32 v10, 0x700000, v10
	v_and_b32_e32 v11, 0x80000000, v11
	v_lshl_add_u32 v0, v0, 23, v12
	v_or3_b32 v0, v11, v0, v10
.LBB328_854:                            ;   in Loop: Header=BB328_800 Depth=1
	s_or_b64 exec, exec, s[26:27]
.LBB328_855:                            ;   in Loop: Header=BB328_800 Depth=1
	s_or_b64 exec, exec, s[24:25]
.LBB328_856:                            ;   in Loop: Header=BB328_800 Depth=1
	s_or_b64 exec, exec, s[22:23]
	v_lshrrev_b16_e32 v14, 8, v21
	v_cmp_ne_u16_e32 vcc, 0, v14
	s_and_saveexec_b64 s[22:23], vcc
	s_cbranch_execz .LBB328_862
; %bb.857:                              ;   in Loop: Header=BB328_800 Depth=1
	v_cmp_ne_u16_e32 vcc, s28, v14
	v_bfrev_b32_e32 v1, 1
	s_and_saveexec_b64 s[24:25], vcc
	s_cbranch_execz .LBB328_861
; %bb.858:                              ;   in Loop: Header=BB328_800 Depth=1
	v_and_b32_e32 v10, 0x7f, v14
	v_cmp_ne_u32_e32 vcc, s29, v10
	v_mov_b32_e32 v1, 0x7f800001
	s_and_saveexec_b64 s[26:27], vcc
	s_cbranch_execz .LBB328_860
; %bb.859:                              ;   in Loop: Header=BB328_800 Depth=1
	v_and_b32_e32 v1, 7, v14
	v_lshrrev_b32_e32 v12, 3, v10
	v_cmp_gt_u32_e32 vcc, 8, v10
	v_ffbh_u32_e32 v10, v1
	v_min_u32_e32 v13, 32, v10
	v_subrev_u32_e32 v10, 28, v13
	v_lshlrev_b64 v[10:11], v10, v[14:15]
	v_sub_u32_e32 v11, 29, v13
	v_and_b32_e32 v10, 7, v10
	v_cndmask_b32_e32 v11, v12, v11, vcc
	v_cndmask_b32_e32 v1, v1, v10, vcc
	v_lshlrev_b32_e32 v10, 16, v21
	v_bfrev_b32_e32 v12, 60
	v_lshlrev_b32_e32 v1, 20, v1
	v_and_b32_e32 v10, 0x80000000, v10
	v_lshl_add_u32 v11, v11, 23, v12
	v_or3_b32 v1, v10, v11, v1
.LBB328_860:                            ;   in Loop: Header=BB328_800 Depth=1
	s_or_b64 exec, exec, s[26:27]
.LBB328_861:                            ;   in Loop: Header=BB328_800 Depth=1
	s_or_b64 exec, exec, s[24:25]
.LBB328_862:                            ;   in Loop: Header=BB328_800 Depth=1
	s_or_b64 exec, exec, s[22:23]
	v_lshrrev_b32_e32 v14, 16, v21
	v_cmp_ne_u16_sdwa s[24:25], v14, v15 src0_sel:BYTE_0 src1_sel:DWORD
	v_mov_b32_e32 v12, 0
	v_mov_b32_e32 v11, 0
	s_and_saveexec_b64 s[22:23], s[24:25]
	s_cbranch_execz .LBB328_868
; %bb.863:                              ;   in Loop: Header=BB328_800 Depth=1
	v_cmp_ne_u16_sdwa s[26:27], v14, s28 src0_sel:BYTE_0 src1_sel:DWORD
	v_bfrev_b32_e32 v11, 1
	s_and_saveexec_b64 s[24:25], s[26:27]
	s_cbranch_execz .LBB328_867
; %bb.864:                              ;   in Loop: Header=BB328_800 Depth=1
	v_bfe_u32 v10, v21, 16, 7
	v_cmp_ne_u32_e32 vcc, s29, v10
	v_mov_b32_e32 v11, 0x7f800001
	s_and_saveexec_b64 s[26:27], vcc
	s_cbranch_execz .LBB328_866
; %bb.865:                              ;   in Loop: Header=BB328_800 Depth=1
	v_and_b32_e32 v13, 7, v14
	v_lshrrev_b32_e32 v18, 3, v10
	v_cmp_gt_u32_e32 vcc, 8, v10
	v_ffbh_u32_e32 v10, v13
	v_min_u32_e32 v23, 32, v10
	v_subrev_u32_e32 v10, 28, v23
	v_lshlrev_b64 v[10:11], v10, v[14:15]
	v_sub_u32_e32 v11, 29, v23
	v_and_b32_e32 v10, 7, v10
	v_cndmask_b32_e32 v11, v18, v11, vcc
	v_cndmask_b32_e32 v10, v13, v10, vcc
	v_lshlrev_b32_e32 v13, 24, v14
	v_bfrev_b32_e32 v14, 60
	v_lshlrev_b32_e32 v10, 20, v10
	v_and_b32_e32 v13, 0x80000000, v13
	v_lshl_add_u32 v11, v11, 23, v14
	v_or3_b32 v11, v13, v11, v10
.LBB328_866:                            ;   in Loop: Header=BB328_800 Depth=1
	s_or_b64 exec, exec, s[26:27]
.LBB328_867:                            ;   in Loop: Header=BB328_800 Depth=1
	s_or_b64 exec, exec, s[24:25]
.LBB328_868:                            ;   in Loop: Header=BB328_800 Depth=1
	s_or_b64 exec, exec, s[22:23]
	v_cmp_lt_u32_e32 vcc, s11, v21
	s_and_saveexec_b64 s[22:23], vcc
	s_cbranch_execz .LBB328_874
; %bb.869:                              ;   in Loop: Header=BB328_800 Depth=1
	v_lshrrev_b32_e32 v14, 24, v21
	v_cmp_ne_u32_e32 vcc, s28, v14
	v_bfrev_b32_e32 v12, 1
	s_and_saveexec_b64 s[24:25], vcc
	s_cbranch_execz .LBB328_873
; %bb.870:                              ;   in Loop: Header=BB328_800 Depth=1
	v_bfe_u32 v10, v21, 24, 7
	v_cmp_ne_u32_e32 vcc, s29, v10
	v_mov_b32_e32 v12, 0x7f800001
	s_and_saveexec_b64 s[26:27], vcc
	s_cbranch_execz .LBB328_872
; %bb.871:                              ;   in Loop: Header=BB328_800 Depth=1
	v_and_b32_e32 v18, 7, v14
	v_lshrrev_b32_e32 v23, 3, v10
	v_cmp_gt_u32_e32 vcc, 8, v10
	v_ffbh_u32_e32 v10, v18
	v_min_u32_e32 v10, 32, v10
	v_subrev_u32_e32 v12, 28, v10
	v_lshlrev_b64 v[12:13], v12, v[14:15]
	v_sub_u32_e32 v10, 29, v10
	v_and_b32_e32 v12, 7, v12
	v_cndmask_b32_e32 v10, v23, v10, vcc
	v_cndmask_b32_e32 v12, v18, v12, vcc
	v_lshlrev_b32_e32 v13, 24, v14
	v_bfrev_b32_e32 v14, 60
	v_lshlrev_b32_e32 v12, 20, v12
	v_and_b32_e32 v13, 0x80000000, v13
	v_lshl_add_u32 v10, v10, 23, v14
	v_or3_b32 v12, v13, v10, v12
.LBB328_872:                            ;   in Loop: Header=BB328_800 Depth=1
	s_or_b64 exec, exec, s[26:27]
.LBB328_873:                            ;   in Loop: Header=BB328_800 Depth=1
	s_or_b64 exec, exec, s[24:25]
.LBB328_874:                            ;   in Loop: Header=BB328_800 Depth=1
	s_or_b64 exec, exec, s[22:23]
	v_mov_b32_e32 v14, v22
	v_cmp_ne_u16_sdwa s[24:25], v22, v15 src0_sel:BYTE_0 src1_sel:DWORD
	v_mov_b32_e32 v18, 0
	v_mov_b32_e32 v13, 0
	s_and_saveexec_b64 s[22:23], s[24:25]
	s_cbranch_execz .LBB328_880
; %bb.875:                              ;   in Loop: Header=BB328_800 Depth=1
	v_cmp_ne_u16_sdwa s[26:27], v22, s28 src0_sel:BYTE_0 src1_sel:DWORD
	v_bfrev_b32_e32 v13, 1
	s_and_saveexec_b64 s[24:25], s[26:27]
	s_cbranch_execz .LBB328_879
; %bb.876:                              ;   in Loop: Header=BB328_800 Depth=1
	v_and_b32_e32 v10, 0x7f, v22
	v_cmp_ne_u32_e32 vcc, s29, v10
	v_mov_b32_e32 v13, 0x7f800001
	s_and_saveexec_b64 s[26:27], vcc
	s_cbranch_execz .LBB328_878
; %bb.877:                              ;   in Loop: Header=BB328_800 Depth=1
	v_and_b32_e32 v13, 7, v22
	v_lshrrev_b32_e32 v23, 3, v10
	v_cmp_gt_u32_e32 vcc, 8, v10
	v_ffbh_u32_e32 v10, v13
	v_min_u32_e32 v10, 32, v10
	v_subrev_u32_e32 v13, 28, v10
	v_sub_u32_e32 v10, 29, v10
	v_cndmask_b32_e32 v13, 0, v13, vcc
	v_cndmask_b32_e32 v10, v23, v10, vcc
	v_lshlrev_b64 v[23:24], v13, v[14:15]
	v_bfrev_b32_e32 v24, 60
	v_lshlrev_b32_e32 v13, 20, v23
	v_lshlrev_b32_e32 v23, 24, v14
	v_and_b32_e32 v13, 0x700000, v13
	v_and_b32_e32 v23, 0x80000000, v23
	v_lshl_add_u32 v10, v10, 23, v24
	v_or3_b32 v13, v23, v10, v13
.LBB328_878:                            ;   in Loop: Header=BB328_800 Depth=1
	s_or_b64 exec, exec, s[26:27]
.LBB328_879:                            ;   in Loop: Header=BB328_800 Depth=1
	s_or_b64 exec, exec, s[24:25]
.LBB328_880:                            ;   in Loop: Header=BB328_800 Depth=1
	s_or_b64 exec, exec, s[22:23]
	v_lshrrev_b16_e32 v23, 8, v14
	v_cmp_ne_u16_e32 vcc, 0, v23
	s_and_saveexec_b64 s[22:23], vcc
	s_cbranch_execz .LBB328_886
; %bb.881:                              ;   in Loop: Header=BB328_800 Depth=1
	v_cmp_ne_u16_e32 vcc, s28, v23
	v_bfrev_b32_e32 v18, 1
	s_and_saveexec_b64 s[24:25], vcc
	s_cbranch_execz .LBB328_885
; %bb.882:                              ;   in Loop: Header=BB328_800 Depth=1
	v_and_b32_e32 v10, 0x7f, v23
	v_cmp_ne_u32_e32 vcc, s29, v10
	v_mov_b32_e32 v18, 0x7f800001
	s_and_saveexec_b64 s[26:27], vcc
	s_cbranch_execz .LBB328_884
; %bb.883:                              ;   in Loop: Header=BB328_800 Depth=1
	v_and_b32_e32 v18, 7, v23
	v_lshrrev_b32_e32 v25, 3, v10
	v_cmp_gt_u32_e32 vcc, 8, v10
	v_ffbh_u32_e32 v10, v18
	v_min_u32_e32 v10, 32, v10
	v_subrev_u32_e32 v24, 28, v10
	v_lshlrev_b64 v[23:24], v24, v[23:24]
	v_sub_u32_e32 v10, 29, v10
	v_and_b32_e32 v23, 7, v23
	v_cndmask_b32_e32 v10, v25, v10, vcc
	v_cndmask_b32_e32 v18, v18, v23, vcc
	v_lshlrev_b32_e32 v14, 16, v14
	v_bfrev_b32_e32 v23, 60
	v_lshlrev_b32_e32 v18, 20, v18
	v_and_b32_e32 v14, 0x80000000, v14
	v_lshl_add_u32 v10, v10, 23, v23
	v_or3_b32 v18, v14, v10, v18
.LBB328_884:                            ;   in Loop: Header=BB328_800 Depth=1
	s_or_b64 exec, exec, s[26:27]
.LBB328_885:                            ;   in Loop: Header=BB328_800 Depth=1
	s_or_b64 exec, exec, s[24:25]
.LBB328_886:                            ;   in Loop: Header=BB328_800 Depth=1
	s_or_b64 exec, exec, s[22:23]
	v_lshrrev_b32_e32 v14, 16, v22
	v_cmp_ne_u16_sdwa s[24:25], v14, v15 src0_sel:BYTE_0 src1_sel:DWORD
	v_mov_b32_e32 v10, 0
	v_mov_b32_e32 v23, 0
	s_and_saveexec_b64 s[22:23], s[24:25]
	s_cbranch_execz .LBB328_892
; %bb.887:                              ;   in Loop: Header=BB328_800 Depth=1
	v_cmp_ne_u16_sdwa s[26:27], v14, s28 src0_sel:BYTE_0 src1_sel:DWORD
	v_bfrev_b32_e32 v23, 1
	s_and_saveexec_b64 s[24:25], s[26:27]
	s_cbranch_execz .LBB328_891
; %bb.888:                              ;   in Loop: Header=BB328_800 Depth=1
	v_bfe_u32 v24, v22, 16, 7
	v_cmp_ne_u32_e32 vcc, s29, v24
	v_mov_b32_e32 v23, 0x7f800001
	s_and_saveexec_b64 s[26:27], vcc
	s_cbranch_execz .LBB328_890
; %bb.889:                              ;   in Loop: Header=BB328_800 Depth=1
	v_and_b32_e32 v25, 7, v14
	v_ffbh_u32_e32 v23, v25
	v_min_u32_e32 v27, 32, v23
	v_subrev_u32_e32 v23, 28, v27
	v_lshrrev_b32_e32 v26, 3, v24
	v_cmp_gt_u32_e32 vcc, 8, v24
	v_lshlrev_b64 v[23:24], v23, v[14:15]
	v_sub_u32_e32 v24, 29, v27
	v_and_b32_e32 v23, 7, v23
	v_cndmask_b32_e32 v24, v26, v24, vcc
	v_cndmask_b32_e32 v23, v25, v23, vcc
	v_lshlrev_b32_e32 v14, 24, v14
	v_bfrev_b32_e32 v25, 60
	v_lshlrev_b32_e32 v23, 20, v23
	v_and_b32_e32 v14, 0x80000000, v14
	v_lshl_add_u32 v24, v24, 23, v25
	v_or3_b32 v23, v14, v24, v23
.LBB328_890:                            ;   in Loop: Header=BB328_800 Depth=1
	s_or_b64 exec, exec, s[26:27]
.LBB328_891:                            ;   in Loop: Header=BB328_800 Depth=1
	s_or_b64 exec, exec, s[24:25]
.LBB328_892:                            ;   in Loop: Header=BB328_800 Depth=1
	s_or_b64 exec, exec, s[22:23]
	v_cmp_lt_u64_e32 vcc, s[10:11], v[21:22]
	s_and_saveexec_b64 s[22:23], vcc
	s_cbranch_execz .LBB328_898
; %bb.893:                              ;   in Loop: Header=BB328_800 Depth=1
	v_lshrrev_b32_e32 v14, 24, v22
	v_cmp_ne_u32_e32 vcc, s28, v14
	v_bfrev_b32_e32 v10, 1
	s_and_saveexec_b64 s[24:25], vcc
	s_cbranch_execz .LBB328_897
; %bb.894:                              ;   in Loop: Header=BB328_800 Depth=1
	v_bfe_u32 v21, v22, 24, 7
	v_cmp_ne_u32_e32 vcc, s29, v21
	v_mov_b32_e32 v10, 0x7f800001
	s_and_saveexec_b64 s[26:27], vcc
	s_cbranch_execz .LBB328_896
; %bb.895:                              ;   in Loop: Header=BB328_800 Depth=1
	v_and_b32_e32 v10, 7, v14
	v_lshrrev_b32_e32 v24, 3, v21
	v_cmp_gt_u32_e32 vcc, 8, v21
	v_ffbh_u32_e32 v21, v10
	v_min_u32_e32 v25, 32, v21
	v_subrev_u32_e32 v21, 28, v25
	v_lshlrev_b64 v[21:22], v21, v[14:15]
	v_sub_u32_e32 v22, 29, v25
	v_and_b32_e32 v21, 7, v21
	v_cndmask_b32_e32 v22, v24, v22, vcc
	v_cndmask_b32_e32 v10, v10, v21, vcc
	v_lshlrev_b32_e32 v14, 24, v14
	v_bfrev_b32_e32 v21, 60
	v_lshlrev_b32_e32 v10, 20, v10
	v_and_b32_e32 v14, 0x80000000, v14
	v_lshl_add_u32 v21, v22, 23, v21
	v_or3_b32 v10, v14, v21, v10
.LBB328_896:                            ;   in Loop: Header=BB328_800 Depth=1
	s_or_b64 exec, exec, s[26:27]
.LBB328_897:                            ;   in Loop: Header=BB328_800 Depth=1
	s_or_b64 exec, exec, s[24:25]
.LBB328_898:                            ;   in Loop: Header=BB328_800 Depth=1
	s_or_b64 exec, exec, s[22:23]
	v_mul_f32_e32 v14, v40, v18
	v_bfe_u32 v18, v14, 16, 1
	v_add3_u32 v18, v18, v14, s40
	v_or_b32_e32 v21, 0x400000, v14
	v_cmp_u_f32_e32 vcc, v14, v14
	v_cndmask_b32_e32 v14, v18, v21, vcc
	v_lshrrev_b32_e32 v14, 16, v14
	v_mul_f32_e32 v13, v40, v13
	buffer_store_dword v14, off, s[0:3], s32 offset:108 ; 4-byte Folded Spill
	v_bfe_u32 v14, v13, 16, 1
	v_add3_u32 v14, v14, v13, s40
	v_or_b32_e32 v18, 0x400000, v13
	v_cmp_u_f32_e32 vcc, v13, v13
	v_cndmask_b32_e32 v13, v14, v18, vcc
	v_lshrrev_b32_e32 v13, 16, v13
	v_mul_f32_e32 v12, v40, v12
	buffer_store_dword v13, off, s[0:3], s32 offset:104 ; 4-byte Folded Spill
	;; [unrolled: 8-line block ×5, first 2 shown]
	v_bfe_u32 v1, v0, 16, 1
	v_add3_u32 v1, v1, v0, s40
	v_or_b32_e32 v11, 0x400000, v0
	v_cmp_u_f32_e32 vcc, v0, v0
	v_cndmask_b32_e32 v0, v1, v11, vcc
	v_lshrrev_b32_e32 v0, 16, v0
	buffer_store_dword v0, off, s[0:3], s32 offset:128 ; 4-byte Folded Spill
	v_mul_f32_e32 v0, v40, v23
	v_bfe_u32 v1, v0, 16, 1
	v_add3_u32 v1, v1, v0, s40
	v_or_b32_e32 v11, 0x400000, v0
	v_cmp_u_f32_e32 vcc, v0, v0
	v_cndmask_b32_e32 v0, v1, v11, vcc
	v_lshrrev_b32_e32 v0, 16, v0
	buffer_store_dword v0, off, s[0:3], s32 offset:112 ; 4-byte Folded Spill
	v_mul_f32_e32 v0, v40, v10
	v_bfe_u32 v1, v0, 16, 1
	v_add3_u32 v1, v1, v0, s40
	v_or_b32_e32 v10, 0x400000, v0
	v_cmp_u_f32_e32 vcc, v0, v0
	v_cndmask_b32_e32 v0, v1, v10, vcc
	v_lshrrev_b32_e32 v0, 16, v0
	buffer_store_dword v0, off, s[0:3], s32 offset:124 ; 4-byte Folded Spill
	s_and_saveexec_b64 s[22:23], s[6:7]
	s_cbranch_execz .LBB328_900
; %bb.899:                              ;   in Loop: Header=BB328_800 Depth=1
	buffer_load_dword v0, off, s[0:3], s32 offset:68 ; 4-byte Folded Reload
	buffer_load_dword v1, off, s[0:3], s32 offset:128 ; 4-byte Folded Reload
	s_waitcnt vmcnt(1)
	v_cmp_lt_i32_e32 vcc, v63, v0
	s_waitcnt vmcnt(0)
	v_cndmask_b32_e32 v1, 0, v1, vcc
	buffer_store_dword v1, off, s[0:3], s32 offset:128 ; 4-byte Folded Spill
	v_add_u32_e32 v1, -6, v49
	v_cmp_lt_i32_e32 vcc, v1, v0
	buffer_load_dword v1, off, s[0:3], s32 offset:132 ; 4-byte Folded Reload
	s_waitcnt vmcnt(0)
	v_cndmask_b32_e32 v1, 0, v1, vcc
	buffer_store_dword v1, off, s[0:3], s32 offset:132 ; 4-byte Folded Spill
	v_add_u32_e32 v1, -5, v49
	v_cmp_lt_i32_e32 vcc, v1, v0
	buffer_load_dword v1, off, s[0:3], s32 offset:116 ; 4-byte Folded Reload
	;; [unrolled: 6-line block ×6, first 2 shown]
	s_waitcnt vmcnt(0)
	v_cndmask_b32_e32 v1, 0, v1, vcc
	v_cmp_lt_i32_e32 vcc, v49, v0
	buffer_load_dword v0, off, s[0:3], s32 offset:124 ; 4-byte Folded Reload
	s_waitcnt vmcnt(0)
	v_cndmask_b32_e32 v0, 0, v0, vcc
	buffer_store_dword v1, off, s[0:3], s32 offset:112 ; 4-byte Folded Spill
	buffer_store_dword v0, off, s[0:3], s32 offset:124 ; 4-byte Folded Spill
.LBB328_900:                            ;   in Loop: Header=BB328_800 Depth=1
	s_or_b64 exec, exec, s[22:23]
	flat_load_dwordx2 v[21:22], v[19:20] offset:1024
	v_mov_b32_e32 v1, 0
	v_mov_b32_e32 v0, 0
	s_waitcnt vmcnt(0) lgkmcnt(0)
	v_cmp_ne_u16_sdwa s[24:25], v21, v15 src0_sel:BYTE_0 src1_sel:DWORD
	s_and_saveexec_b64 s[22:23], s[24:25]
	s_cbranch_execz .LBB328_906
; %bb.901:                              ;   in Loop: Header=BB328_800 Depth=1
	v_cmp_ne_u16_sdwa s[26:27], v21, s28 src0_sel:BYTE_0 src1_sel:DWORD
	v_bfrev_b32_e32 v0, 1
	s_and_saveexec_b64 s[24:25], s[26:27]
	s_cbranch_execz .LBB328_905
; %bb.902:                              ;   in Loop: Header=BB328_800 Depth=1
	v_and_b32_e32 v10, 0x7f, v21
	v_cmp_ne_u32_e32 vcc, s29, v10
	v_mov_b32_e32 v0, 0x7f800001
	s_and_saveexec_b64 s[26:27], vcc
	s_cbranch_execz .LBB328_904
; %bb.903:                              ;   in Loop: Header=BB328_800 Depth=1
	v_and_b32_e32 v0, 7, v21
	v_ffbh_u32_e32 v0, v0
	v_min_u32_e32 v0, 32, v0
	v_lshrrev_b32_e32 v11, 3, v10
	v_cmp_gt_u32_e32 vcc, 8, v10
	v_subrev_u32_e32 v10, 28, v0
	v_sub_u32_e32 v0, 29, v0
	v_cndmask_b32_e32 v10, 0, v10, vcc
	v_cndmask_b32_e32 v0, v11, v0, vcc
	v_lshlrev_b64 v[10:11], v10, v[21:22]
	v_lshlrev_b32_e32 v11, 24, v21
	v_lshlrev_b32_e32 v10, 20, v10
	v_bfrev_b32_e32 v12, 60
	v_and_b32_e32 v10, 0x700000, v10
	v_and_b32_e32 v11, 0x80000000, v11
	v_lshl_add_u32 v0, v0, 23, v12
	v_or3_b32 v0, v11, v0, v10
.LBB328_904:                            ;   in Loop: Header=BB328_800 Depth=1
	s_or_b64 exec, exec, s[26:27]
.LBB328_905:                            ;   in Loop: Header=BB328_800 Depth=1
	s_or_b64 exec, exec, s[24:25]
.LBB328_906:                            ;   in Loop: Header=BB328_800 Depth=1
	s_or_b64 exec, exec, s[22:23]
	v_lshrrev_b16_e32 v14, 8, v21
	v_cmp_ne_u16_e32 vcc, 0, v14
	s_and_saveexec_b64 s[22:23], vcc
	s_cbranch_execz .LBB328_912
; %bb.907:                              ;   in Loop: Header=BB328_800 Depth=1
	v_cmp_ne_u16_e32 vcc, s28, v14
	v_bfrev_b32_e32 v1, 1
	s_and_saveexec_b64 s[24:25], vcc
	s_cbranch_execz .LBB328_911
; %bb.908:                              ;   in Loop: Header=BB328_800 Depth=1
	v_and_b32_e32 v10, 0x7f, v14
	v_cmp_ne_u32_e32 vcc, s29, v10
	v_mov_b32_e32 v1, 0x7f800001
	s_and_saveexec_b64 s[26:27], vcc
	s_cbranch_execz .LBB328_910
; %bb.909:                              ;   in Loop: Header=BB328_800 Depth=1
	v_and_b32_e32 v1, 7, v14
	v_lshrrev_b32_e32 v12, 3, v10
	v_cmp_gt_u32_e32 vcc, 8, v10
	v_ffbh_u32_e32 v10, v1
	v_min_u32_e32 v13, 32, v10
	v_subrev_u32_e32 v10, 28, v13
	v_lshlrev_b64 v[10:11], v10, v[14:15]
	v_sub_u32_e32 v11, 29, v13
	v_and_b32_e32 v10, 7, v10
	v_cndmask_b32_e32 v11, v12, v11, vcc
	v_cndmask_b32_e32 v1, v1, v10, vcc
	v_lshlrev_b32_e32 v10, 16, v21
	v_bfrev_b32_e32 v12, 60
	v_lshlrev_b32_e32 v1, 20, v1
	v_and_b32_e32 v10, 0x80000000, v10
	v_lshl_add_u32 v11, v11, 23, v12
	v_or3_b32 v1, v10, v11, v1
.LBB328_910:                            ;   in Loop: Header=BB328_800 Depth=1
	s_or_b64 exec, exec, s[26:27]
.LBB328_911:                            ;   in Loop: Header=BB328_800 Depth=1
	s_or_b64 exec, exec, s[24:25]
.LBB328_912:                            ;   in Loop: Header=BB328_800 Depth=1
	s_or_b64 exec, exec, s[22:23]
	v_lshrrev_b32_e32 v14, 16, v21
	v_cmp_ne_u16_sdwa s[24:25], v14, v15 src0_sel:BYTE_0 src1_sel:DWORD
	v_mov_b32_e32 v12, 0
	v_mov_b32_e32 v11, 0
	s_and_saveexec_b64 s[22:23], s[24:25]
	s_cbranch_execz .LBB328_918
; %bb.913:                              ;   in Loop: Header=BB328_800 Depth=1
	v_cmp_ne_u16_sdwa s[26:27], v14, s28 src0_sel:BYTE_0 src1_sel:DWORD
	v_bfrev_b32_e32 v11, 1
	s_and_saveexec_b64 s[24:25], s[26:27]
	s_cbranch_execz .LBB328_917
; %bb.914:                              ;   in Loop: Header=BB328_800 Depth=1
	v_bfe_u32 v10, v21, 16, 7
	v_cmp_ne_u32_e32 vcc, s29, v10
	v_mov_b32_e32 v11, 0x7f800001
	s_and_saveexec_b64 s[26:27], vcc
	s_cbranch_execz .LBB328_916
; %bb.915:                              ;   in Loop: Header=BB328_800 Depth=1
	v_and_b32_e32 v13, 7, v14
	v_lshrrev_b32_e32 v18, 3, v10
	v_cmp_gt_u32_e32 vcc, 8, v10
	v_ffbh_u32_e32 v10, v13
	v_min_u32_e32 v23, 32, v10
	v_subrev_u32_e32 v10, 28, v23
	v_lshlrev_b64 v[10:11], v10, v[14:15]
	v_sub_u32_e32 v11, 29, v23
	v_and_b32_e32 v10, 7, v10
	v_cndmask_b32_e32 v11, v18, v11, vcc
	v_cndmask_b32_e32 v10, v13, v10, vcc
	v_lshlrev_b32_e32 v13, 24, v14
	v_bfrev_b32_e32 v14, 60
	v_lshlrev_b32_e32 v10, 20, v10
	v_and_b32_e32 v13, 0x80000000, v13
	v_lshl_add_u32 v11, v11, 23, v14
	v_or3_b32 v11, v13, v11, v10
.LBB328_916:                            ;   in Loop: Header=BB328_800 Depth=1
	s_or_b64 exec, exec, s[26:27]
.LBB328_917:                            ;   in Loop: Header=BB328_800 Depth=1
	s_or_b64 exec, exec, s[24:25]
.LBB328_918:                            ;   in Loop: Header=BB328_800 Depth=1
	s_or_b64 exec, exec, s[22:23]
	v_cmp_lt_u32_e32 vcc, s11, v21
	s_and_saveexec_b64 s[22:23], vcc
	s_cbranch_execz .LBB328_924
; %bb.919:                              ;   in Loop: Header=BB328_800 Depth=1
	v_lshrrev_b32_e32 v14, 24, v21
	v_cmp_ne_u32_e32 vcc, s28, v14
	v_bfrev_b32_e32 v12, 1
	s_and_saveexec_b64 s[24:25], vcc
	s_cbranch_execz .LBB328_923
; %bb.920:                              ;   in Loop: Header=BB328_800 Depth=1
	v_bfe_u32 v10, v21, 24, 7
	v_cmp_ne_u32_e32 vcc, s29, v10
	v_mov_b32_e32 v12, 0x7f800001
	s_and_saveexec_b64 s[26:27], vcc
	s_cbranch_execz .LBB328_922
; %bb.921:                              ;   in Loop: Header=BB328_800 Depth=1
	v_and_b32_e32 v18, 7, v14
	v_lshrrev_b32_e32 v23, 3, v10
	v_cmp_gt_u32_e32 vcc, 8, v10
	v_ffbh_u32_e32 v10, v18
	v_min_u32_e32 v10, 32, v10
	v_subrev_u32_e32 v12, 28, v10
	v_lshlrev_b64 v[12:13], v12, v[14:15]
	v_sub_u32_e32 v10, 29, v10
	v_and_b32_e32 v12, 7, v12
	v_cndmask_b32_e32 v10, v23, v10, vcc
	v_cndmask_b32_e32 v12, v18, v12, vcc
	v_lshlrev_b32_e32 v13, 24, v14
	v_bfrev_b32_e32 v14, 60
	v_lshlrev_b32_e32 v12, 20, v12
	v_and_b32_e32 v13, 0x80000000, v13
	v_lshl_add_u32 v10, v10, 23, v14
	v_or3_b32 v12, v13, v10, v12
.LBB328_922:                            ;   in Loop: Header=BB328_800 Depth=1
	s_or_b64 exec, exec, s[26:27]
.LBB328_923:                            ;   in Loop: Header=BB328_800 Depth=1
	s_or_b64 exec, exec, s[24:25]
.LBB328_924:                            ;   in Loop: Header=BB328_800 Depth=1
	s_or_b64 exec, exec, s[22:23]
	v_mov_b32_e32 v14, v22
	v_cmp_ne_u16_sdwa s[24:25], v22, v15 src0_sel:BYTE_0 src1_sel:DWORD
	v_mov_b32_e32 v18, 0
	v_mov_b32_e32 v13, 0
	s_and_saveexec_b64 s[22:23], s[24:25]
	s_cbranch_execz .LBB328_930
; %bb.925:                              ;   in Loop: Header=BB328_800 Depth=1
	v_cmp_ne_u16_sdwa s[26:27], v22, s28 src0_sel:BYTE_0 src1_sel:DWORD
	v_bfrev_b32_e32 v13, 1
	s_and_saveexec_b64 s[24:25], s[26:27]
	s_cbranch_execz .LBB328_929
; %bb.926:                              ;   in Loop: Header=BB328_800 Depth=1
	v_and_b32_e32 v10, 0x7f, v22
	v_cmp_ne_u32_e32 vcc, s29, v10
	v_mov_b32_e32 v13, 0x7f800001
	s_and_saveexec_b64 s[26:27], vcc
	s_cbranch_execz .LBB328_928
; %bb.927:                              ;   in Loop: Header=BB328_800 Depth=1
	v_and_b32_e32 v13, 7, v22
	v_lshrrev_b32_e32 v23, 3, v10
	v_cmp_gt_u32_e32 vcc, 8, v10
	v_ffbh_u32_e32 v10, v13
	v_min_u32_e32 v10, 32, v10
	v_subrev_u32_e32 v13, 28, v10
	v_sub_u32_e32 v10, 29, v10
	v_cndmask_b32_e32 v13, 0, v13, vcc
	v_cndmask_b32_e32 v10, v23, v10, vcc
	v_lshlrev_b64 v[23:24], v13, v[14:15]
	v_bfrev_b32_e32 v24, 60
	v_lshlrev_b32_e32 v13, 20, v23
	v_lshlrev_b32_e32 v23, 24, v14
	v_and_b32_e32 v13, 0x700000, v13
	v_and_b32_e32 v23, 0x80000000, v23
	v_lshl_add_u32 v10, v10, 23, v24
	v_or3_b32 v13, v23, v10, v13
.LBB328_928:                            ;   in Loop: Header=BB328_800 Depth=1
	s_or_b64 exec, exec, s[26:27]
.LBB328_929:                            ;   in Loop: Header=BB328_800 Depth=1
	s_or_b64 exec, exec, s[24:25]
.LBB328_930:                            ;   in Loop: Header=BB328_800 Depth=1
	s_or_b64 exec, exec, s[22:23]
	v_lshrrev_b16_e32 v23, 8, v14
	v_cmp_ne_u16_e32 vcc, 0, v23
	s_and_saveexec_b64 s[22:23], vcc
	s_cbranch_execz .LBB328_936
; %bb.931:                              ;   in Loop: Header=BB328_800 Depth=1
	v_cmp_ne_u16_e32 vcc, s28, v23
	v_bfrev_b32_e32 v18, 1
	s_and_saveexec_b64 s[24:25], vcc
	s_cbranch_execz .LBB328_935
; %bb.932:                              ;   in Loop: Header=BB328_800 Depth=1
	v_and_b32_e32 v10, 0x7f, v23
	v_cmp_ne_u32_e32 vcc, s29, v10
	v_mov_b32_e32 v18, 0x7f800001
	s_and_saveexec_b64 s[26:27], vcc
	s_cbranch_execz .LBB328_934
; %bb.933:                              ;   in Loop: Header=BB328_800 Depth=1
	v_and_b32_e32 v18, 7, v23
	v_lshrrev_b32_e32 v25, 3, v10
	v_cmp_gt_u32_e32 vcc, 8, v10
	v_ffbh_u32_e32 v10, v18
	v_min_u32_e32 v10, 32, v10
	v_subrev_u32_e32 v24, 28, v10
	v_lshlrev_b64 v[23:24], v24, v[23:24]
	v_sub_u32_e32 v10, 29, v10
	v_and_b32_e32 v23, 7, v23
	v_cndmask_b32_e32 v10, v25, v10, vcc
	v_cndmask_b32_e32 v18, v18, v23, vcc
	v_lshlrev_b32_e32 v14, 16, v14
	v_bfrev_b32_e32 v23, 60
	v_lshlrev_b32_e32 v18, 20, v18
	v_and_b32_e32 v14, 0x80000000, v14
	v_lshl_add_u32 v10, v10, 23, v23
	v_or3_b32 v18, v14, v10, v18
.LBB328_934:                            ;   in Loop: Header=BB328_800 Depth=1
	s_or_b64 exec, exec, s[26:27]
.LBB328_935:                            ;   in Loop: Header=BB328_800 Depth=1
	s_or_b64 exec, exec, s[24:25]
.LBB328_936:                            ;   in Loop: Header=BB328_800 Depth=1
	s_or_b64 exec, exec, s[22:23]
	v_lshrrev_b32_e32 v14, 16, v22
	v_cmp_ne_u16_sdwa s[24:25], v14, v15 src0_sel:BYTE_0 src1_sel:DWORD
	v_mov_b32_e32 v10, 0
	v_mov_b32_e32 v23, 0
	s_and_saveexec_b64 s[22:23], s[24:25]
	s_cbranch_execz .LBB328_942
; %bb.937:                              ;   in Loop: Header=BB328_800 Depth=1
	v_cmp_ne_u16_sdwa s[26:27], v14, s28 src0_sel:BYTE_0 src1_sel:DWORD
	v_bfrev_b32_e32 v23, 1
	s_and_saveexec_b64 s[24:25], s[26:27]
	s_cbranch_execz .LBB328_941
; %bb.938:                              ;   in Loop: Header=BB328_800 Depth=1
	v_bfe_u32 v24, v22, 16, 7
	v_cmp_ne_u32_e32 vcc, s29, v24
	v_mov_b32_e32 v23, 0x7f800001
	s_and_saveexec_b64 s[26:27], vcc
	s_cbranch_execz .LBB328_940
; %bb.939:                              ;   in Loop: Header=BB328_800 Depth=1
	v_and_b32_e32 v25, 7, v14
	v_ffbh_u32_e32 v23, v25
	v_min_u32_e32 v27, 32, v23
	v_subrev_u32_e32 v23, 28, v27
	v_lshrrev_b32_e32 v26, 3, v24
	v_cmp_gt_u32_e32 vcc, 8, v24
	v_lshlrev_b64 v[23:24], v23, v[14:15]
	v_sub_u32_e32 v24, 29, v27
	v_and_b32_e32 v23, 7, v23
	v_cndmask_b32_e32 v24, v26, v24, vcc
	v_cndmask_b32_e32 v23, v25, v23, vcc
	v_lshlrev_b32_e32 v14, 24, v14
	v_bfrev_b32_e32 v25, 60
	v_lshlrev_b32_e32 v23, 20, v23
	v_and_b32_e32 v14, 0x80000000, v14
	v_lshl_add_u32 v24, v24, 23, v25
	v_or3_b32 v23, v14, v24, v23
.LBB328_940:                            ;   in Loop: Header=BB328_800 Depth=1
	s_or_b64 exec, exec, s[26:27]
.LBB328_941:                            ;   in Loop: Header=BB328_800 Depth=1
	s_or_b64 exec, exec, s[24:25]
.LBB328_942:                            ;   in Loop: Header=BB328_800 Depth=1
	s_or_b64 exec, exec, s[22:23]
	v_cmp_lt_u64_e32 vcc, s[10:11], v[21:22]
	s_and_saveexec_b64 s[22:23], vcc
	s_cbranch_execz .LBB328_948
; %bb.943:                              ;   in Loop: Header=BB328_800 Depth=1
	v_lshrrev_b32_e32 v14, 24, v22
	v_cmp_ne_u32_e32 vcc, s28, v14
	v_bfrev_b32_e32 v10, 1
	s_and_saveexec_b64 s[24:25], vcc
	s_cbranch_execz .LBB328_947
; %bb.944:                              ;   in Loop: Header=BB328_800 Depth=1
	v_bfe_u32 v21, v22, 24, 7
	v_cmp_ne_u32_e32 vcc, s29, v21
	v_mov_b32_e32 v10, 0x7f800001
	s_and_saveexec_b64 s[26:27], vcc
	s_cbranch_execz .LBB328_946
; %bb.945:                              ;   in Loop: Header=BB328_800 Depth=1
	v_and_b32_e32 v10, 7, v14
	v_lshrrev_b32_e32 v24, 3, v21
	v_cmp_gt_u32_e32 vcc, 8, v21
	v_ffbh_u32_e32 v21, v10
	v_min_u32_e32 v25, 32, v21
	v_subrev_u32_e32 v21, 28, v25
	v_lshlrev_b64 v[21:22], v21, v[14:15]
	v_sub_u32_e32 v22, 29, v25
	v_and_b32_e32 v21, 7, v21
	v_cndmask_b32_e32 v22, v24, v22, vcc
	v_cndmask_b32_e32 v10, v10, v21, vcc
	v_lshlrev_b32_e32 v14, 24, v14
	v_bfrev_b32_e32 v21, 60
	v_lshlrev_b32_e32 v10, 20, v10
	v_and_b32_e32 v14, 0x80000000, v14
	v_lshl_add_u32 v21, v22, 23, v21
	v_or3_b32 v10, v14, v21, v10
.LBB328_946:                            ;   in Loop: Header=BB328_800 Depth=1
	s_or_b64 exec, exec, s[26:27]
.LBB328_947:                            ;   in Loop: Header=BB328_800 Depth=1
	s_or_b64 exec, exec, s[24:25]
.LBB328_948:                            ;   in Loop: Header=BB328_800 Depth=1
	s_or_b64 exec, exec, s[22:23]
	v_mul_f32_e32 v14, v40, v18
	v_bfe_u32 v18, v14, 16, 1
	v_add3_u32 v18, v18, v14, s40
	v_or_b32_e32 v21, 0x400000, v14
	v_cmp_u_f32_e32 vcc, v14, v14
	v_cndmask_b32_e32 v14, v18, v21, vcc
	v_lshrrev_b32_e32 v14, 16, v14
	v_mul_f32_e32 v13, v40, v13
	buffer_store_dword v14, off, s[0:3], s32 offset:140 ; 4-byte Folded Spill
	v_bfe_u32 v14, v13, 16, 1
	v_add3_u32 v14, v14, v13, s40
	v_or_b32_e32 v18, 0x400000, v13
	v_cmp_u_f32_e32 vcc, v13, v13
	v_cndmask_b32_e32 v13, v14, v18, vcc
	v_lshrrev_b32_e32 v13, 16, v13
	v_mul_f32_e32 v12, v40, v12
	buffer_store_dword v13, off, s[0:3], s32 offset:136 ; 4-byte Folded Spill
	v_bfe_u32 v13, v12, 16, 1
	v_add3_u32 v13, v13, v12, s40
	v_or_b32_e32 v14, 0x400000, v12
	v_cmp_u_f32_e32 vcc, v12, v12
	v_cndmask_b32_e32 v12, v13, v14, vcc
	v_lshrrev_b32_e32 v12, 16, v12
	v_mul_f32_e32 v11, v40, v11
	buffer_store_dword v12, off, s[0:3], s32 offset:152 ; 4-byte Folded Spill
	v_bfe_u32 v12, v11, 16, 1
	v_add3_u32 v12, v12, v11, s40
	v_or_b32_e32 v13, 0x400000, v11
	v_cmp_u_f32_e32 vcc, v11, v11
	v_cndmask_b32_e32 v11, v12, v13, vcc
	v_lshrrev_b32_e32 v11, 16, v11
	v_mul_f32_e32 v1, v40, v1
	buffer_store_dword v11, off, s[0:3], s32 offset:148 ; 4-byte Folded Spill
	v_bfe_u32 v11, v1, 16, 1
	v_add3_u32 v11, v11, v1, s40
	v_or_b32_e32 v12, 0x400000, v1
	v_cmp_u_f32_e32 vcc, v1, v1
	v_cndmask_b32_e32 v1, v11, v12, vcc
	v_lshrrev_b32_e32 v1, 16, v1
	v_mul_f32_e32 v0, v40, v0
	buffer_store_dword v1, off, s[0:3], s32 offset:164 ; 4-byte Folded Spill
	v_bfe_u32 v1, v0, 16, 1
	v_add3_u32 v1, v1, v0, s40
	v_or_b32_e32 v11, 0x400000, v0
	v_cmp_u_f32_e32 vcc, v0, v0
	v_cndmask_b32_e32 v0, v1, v11, vcc
	v_lshrrev_b32_e32 v0, 16, v0
	buffer_store_dword v0, off, s[0:3], s32 offset:160 ; 4-byte Folded Spill
	v_mul_f32_e32 v0, v40, v23
	v_bfe_u32 v1, v0, 16, 1
	v_add3_u32 v1, v1, v0, s40
	v_or_b32_e32 v11, 0x400000, v0
	v_cmp_u_f32_e32 vcc, v0, v0
	v_cndmask_b32_e32 v0, v1, v11, vcc
	v_lshrrev_b32_e32 v0, 16, v0
	buffer_store_dword v0, off, s[0:3], s32 offset:144 ; 4-byte Folded Spill
	v_mul_f32_e32 v0, v40, v10
	v_bfe_u32 v1, v0, 16, 1
	v_add3_u32 v1, v1, v0, s40
	v_or_b32_e32 v10, 0x400000, v0
	v_cmp_u_f32_e32 vcc, v0, v0
	v_cndmask_b32_e32 v0, v1, v10, vcc
	v_lshrrev_b32_e32 v0, 16, v0
	buffer_store_dword v0, off, s[0:3], s32 offset:156 ; 4-byte Folded Spill
	s_and_saveexec_b64 s[22:23], s[6:7]
	s_cbranch_execz .LBB328_950
; %bb.949:                              ;   in Loop: Header=BB328_800 Depth=1
	buffer_load_dword v0, off, s[0:3], s32 offset:68 ; 4-byte Folded Reload
	buffer_load_dword v1, off, s[0:3], s32 offset:160 ; 4-byte Folded Reload
	s_waitcnt vmcnt(1)
	v_cmp_lt_i32_e32 vcc, v63, v0
	s_waitcnt vmcnt(0)
	v_cndmask_b32_e32 v1, 0, v1, vcc
	buffer_store_dword v1, off, s[0:3], s32 offset:160 ; 4-byte Folded Spill
	v_add_u32_e32 v1, -6, v49
	v_cmp_lt_i32_e32 vcc, v1, v0
	buffer_load_dword v1, off, s[0:3], s32 offset:164 ; 4-byte Folded Reload
	s_waitcnt vmcnt(0)
	v_cndmask_b32_e32 v1, 0, v1, vcc
	buffer_store_dword v1, off, s[0:3], s32 offset:164 ; 4-byte Folded Spill
	v_add_u32_e32 v1, -5, v49
	v_cmp_lt_i32_e32 vcc, v1, v0
	buffer_load_dword v1, off, s[0:3], s32 offset:148 ; 4-byte Folded Reload
	;; [unrolled: 6-line block ×6, first 2 shown]
	s_waitcnt vmcnt(0)
	v_cndmask_b32_e32 v1, 0, v1, vcc
	v_cmp_lt_i32_e32 vcc, v49, v0
	buffer_load_dword v0, off, s[0:3], s32 offset:156 ; 4-byte Folded Reload
	s_waitcnt vmcnt(0)
	v_cndmask_b32_e32 v0, 0, v0, vcc
	buffer_store_dword v1, off, s[0:3], s32 offset:144 ; 4-byte Folded Spill
	buffer_store_dword v0, off, s[0:3], s32 offset:156 ; 4-byte Folded Spill
.LBB328_950:                            ;   in Loop: Header=BB328_800 Depth=1
	s_or_b64 exec, exec, s[22:23]
	flat_load_dwordx2 v[21:22], v[19:20] offset:1536
	v_mov_b32_e32 v1, 0
	v_mov_b32_e32 v0, 0
	s_waitcnt vmcnt(0) lgkmcnt(0)
	v_cmp_ne_u16_sdwa s[24:25], v21, v15 src0_sel:BYTE_0 src1_sel:DWORD
	s_and_saveexec_b64 s[22:23], s[24:25]
	s_cbranch_execz .LBB328_956
; %bb.951:                              ;   in Loop: Header=BB328_800 Depth=1
	v_cmp_ne_u16_sdwa s[26:27], v21, s28 src0_sel:BYTE_0 src1_sel:DWORD
	v_bfrev_b32_e32 v0, 1
	s_and_saveexec_b64 s[24:25], s[26:27]
	s_cbranch_execz .LBB328_955
; %bb.952:                              ;   in Loop: Header=BB328_800 Depth=1
	v_and_b32_e32 v10, 0x7f, v21
	v_cmp_ne_u32_e32 vcc, s29, v10
	v_mov_b32_e32 v0, 0x7f800001
	s_and_saveexec_b64 s[26:27], vcc
	s_cbranch_execz .LBB328_954
; %bb.953:                              ;   in Loop: Header=BB328_800 Depth=1
	v_and_b32_e32 v0, 7, v21
	v_ffbh_u32_e32 v0, v0
	v_min_u32_e32 v0, 32, v0
	v_lshrrev_b32_e32 v11, 3, v10
	v_cmp_gt_u32_e32 vcc, 8, v10
	v_subrev_u32_e32 v10, 28, v0
	v_sub_u32_e32 v0, 29, v0
	v_cndmask_b32_e32 v10, 0, v10, vcc
	v_cndmask_b32_e32 v0, v11, v0, vcc
	v_lshlrev_b64 v[10:11], v10, v[21:22]
	v_lshlrev_b32_e32 v11, 24, v21
	v_lshlrev_b32_e32 v10, 20, v10
	v_bfrev_b32_e32 v12, 60
	v_and_b32_e32 v10, 0x700000, v10
	v_and_b32_e32 v11, 0x80000000, v11
	v_lshl_add_u32 v0, v0, 23, v12
	v_or3_b32 v0, v11, v0, v10
.LBB328_954:                            ;   in Loop: Header=BB328_800 Depth=1
	s_or_b64 exec, exec, s[26:27]
.LBB328_955:                            ;   in Loop: Header=BB328_800 Depth=1
	s_or_b64 exec, exec, s[24:25]
.LBB328_956:                            ;   in Loop: Header=BB328_800 Depth=1
	s_or_b64 exec, exec, s[22:23]
	v_lshrrev_b16_e32 v14, 8, v21
	v_cmp_ne_u16_e32 vcc, 0, v14
	s_and_saveexec_b64 s[22:23], vcc
	s_cbranch_execz .LBB328_962
; %bb.957:                              ;   in Loop: Header=BB328_800 Depth=1
	v_cmp_ne_u16_e32 vcc, s28, v14
	v_bfrev_b32_e32 v1, 1
	s_and_saveexec_b64 s[24:25], vcc
	s_cbranch_execz .LBB328_961
; %bb.958:                              ;   in Loop: Header=BB328_800 Depth=1
	v_and_b32_e32 v10, 0x7f, v14
	v_cmp_ne_u32_e32 vcc, s29, v10
	v_mov_b32_e32 v1, 0x7f800001
	s_and_saveexec_b64 s[26:27], vcc
	s_cbranch_execz .LBB328_960
; %bb.959:                              ;   in Loop: Header=BB328_800 Depth=1
	v_and_b32_e32 v1, 7, v14
	v_lshrrev_b32_e32 v12, 3, v10
	v_cmp_gt_u32_e32 vcc, 8, v10
	v_ffbh_u32_e32 v10, v1
	v_min_u32_e32 v13, 32, v10
	v_subrev_u32_e32 v10, 28, v13
	v_lshlrev_b64 v[10:11], v10, v[14:15]
	v_sub_u32_e32 v11, 29, v13
	v_and_b32_e32 v10, 7, v10
	v_cndmask_b32_e32 v11, v12, v11, vcc
	v_cndmask_b32_e32 v1, v1, v10, vcc
	v_lshlrev_b32_e32 v10, 16, v21
	v_bfrev_b32_e32 v12, 60
	v_lshlrev_b32_e32 v1, 20, v1
	v_and_b32_e32 v10, 0x80000000, v10
	v_lshl_add_u32 v11, v11, 23, v12
	v_or3_b32 v1, v10, v11, v1
.LBB328_960:                            ;   in Loop: Header=BB328_800 Depth=1
	s_or_b64 exec, exec, s[26:27]
.LBB328_961:                            ;   in Loop: Header=BB328_800 Depth=1
	s_or_b64 exec, exec, s[24:25]
.LBB328_962:                            ;   in Loop: Header=BB328_800 Depth=1
	s_or_b64 exec, exec, s[22:23]
	v_lshrrev_b32_e32 v14, 16, v21
	v_cmp_ne_u16_sdwa s[24:25], v14, v15 src0_sel:BYTE_0 src1_sel:DWORD
	v_mov_b32_e32 v12, 0
	v_mov_b32_e32 v11, 0
	s_and_saveexec_b64 s[22:23], s[24:25]
	s_cbranch_execz .LBB328_968
; %bb.963:                              ;   in Loop: Header=BB328_800 Depth=1
	v_cmp_ne_u16_sdwa s[26:27], v14, s28 src0_sel:BYTE_0 src1_sel:DWORD
	v_bfrev_b32_e32 v11, 1
	s_and_saveexec_b64 s[24:25], s[26:27]
	s_cbranch_execz .LBB328_967
; %bb.964:                              ;   in Loop: Header=BB328_800 Depth=1
	v_bfe_u32 v10, v21, 16, 7
	v_cmp_ne_u32_e32 vcc, s29, v10
	v_mov_b32_e32 v11, 0x7f800001
	s_and_saveexec_b64 s[26:27], vcc
	s_cbranch_execz .LBB328_966
; %bb.965:                              ;   in Loop: Header=BB328_800 Depth=1
	v_and_b32_e32 v13, 7, v14
	v_lshrrev_b32_e32 v18, 3, v10
	v_cmp_gt_u32_e32 vcc, 8, v10
	v_ffbh_u32_e32 v10, v13
	v_min_u32_e32 v23, 32, v10
	v_subrev_u32_e32 v10, 28, v23
	v_lshlrev_b64 v[10:11], v10, v[14:15]
	v_sub_u32_e32 v11, 29, v23
	v_and_b32_e32 v10, 7, v10
	v_cndmask_b32_e32 v11, v18, v11, vcc
	v_cndmask_b32_e32 v10, v13, v10, vcc
	v_lshlrev_b32_e32 v13, 24, v14
	v_bfrev_b32_e32 v14, 60
	v_lshlrev_b32_e32 v10, 20, v10
	v_and_b32_e32 v13, 0x80000000, v13
	v_lshl_add_u32 v11, v11, 23, v14
	v_or3_b32 v11, v13, v11, v10
.LBB328_966:                            ;   in Loop: Header=BB328_800 Depth=1
	s_or_b64 exec, exec, s[26:27]
.LBB328_967:                            ;   in Loop: Header=BB328_800 Depth=1
	s_or_b64 exec, exec, s[24:25]
.LBB328_968:                            ;   in Loop: Header=BB328_800 Depth=1
	s_or_b64 exec, exec, s[22:23]
	v_cmp_lt_u32_e32 vcc, s11, v21
	s_and_saveexec_b64 s[22:23], vcc
	s_cbranch_execz .LBB328_974
; %bb.969:                              ;   in Loop: Header=BB328_800 Depth=1
	v_lshrrev_b32_e32 v14, 24, v21
	v_cmp_ne_u32_e32 vcc, s28, v14
	v_bfrev_b32_e32 v12, 1
	s_and_saveexec_b64 s[24:25], vcc
	s_cbranch_execz .LBB328_973
; %bb.970:                              ;   in Loop: Header=BB328_800 Depth=1
	v_bfe_u32 v10, v21, 24, 7
	v_cmp_ne_u32_e32 vcc, s29, v10
	v_mov_b32_e32 v12, 0x7f800001
	s_and_saveexec_b64 s[26:27], vcc
	s_cbranch_execz .LBB328_972
; %bb.971:                              ;   in Loop: Header=BB328_800 Depth=1
	v_and_b32_e32 v18, 7, v14
	v_lshrrev_b32_e32 v23, 3, v10
	v_cmp_gt_u32_e32 vcc, 8, v10
	v_ffbh_u32_e32 v10, v18
	v_min_u32_e32 v10, 32, v10
	v_subrev_u32_e32 v12, 28, v10
	v_lshlrev_b64 v[12:13], v12, v[14:15]
	v_sub_u32_e32 v10, 29, v10
	v_and_b32_e32 v12, 7, v12
	v_cndmask_b32_e32 v10, v23, v10, vcc
	v_cndmask_b32_e32 v12, v18, v12, vcc
	v_lshlrev_b32_e32 v13, 24, v14
	v_bfrev_b32_e32 v14, 60
	v_lshlrev_b32_e32 v12, 20, v12
	v_and_b32_e32 v13, 0x80000000, v13
	v_lshl_add_u32 v10, v10, 23, v14
	v_or3_b32 v12, v13, v10, v12
.LBB328_972:                            ;   in Loop: Header=BB328_800 Depth=1
	s_or_b64 exec, exec, s[26:27]
.LBB328_973:                            ;   in Loop: Header=BB328_800 Depth=1
	s_or_b64 exec, exec, s[24:25]
.LBB328_974:                            ;   in Loop: Header=BB328_800 Depth=1
	s_or_b64 exec, exec, s[22:23]
	v_mov_b32_e32 v14, v22
	v_cmp_ne_u16_sdwa s[24:25], v22, v15 src0_sel:BYTE_0 src1_sel:DWORD
	v_mov_b32_e32 v18, 0
	v_mov_b32_e32 v13, 0
	s_and_saveexec_b64 s[22:23], s[24:25]
	s_cbranch_execz .LBB328_980
; %bb.975:                              ;   in Loop: Header=BB328_800 Depth=1
	v_cmp_ne_u16_sdwa s[26:27], v22, s28 src0_sel:BYTE_0 src1_sel:DWORD
	v_bfrev_b32_e32 v13, 1
	s_and_saveexec_b64 s[24:25], s[26:27]
	s_cbranch_execz .LBB328_979
; %bb.976:                              ;   in Loop: Header=BB328_800 Depth=1
	v_and_b32_e32 v10, 0x7f, v22
	v_cmp_ne_u32_e32 vcc, s29, v10
	v_mov_b32_e32 v13, 0x7f800001
	s_and_saveexec_b64 s[26:27], vcc
	s_cbranch_execz .LBB328_978
; %bb.977:                              ;   in Loop: Header=BB328_800 Depth=1
	v_and_b32_e32 v13, 7, v22
	v_lshrrev_b32_e32 v23, 3, v10
	v_cmp_gt_u32_e32 vcc, 8, v10
	v_ffbh_u32_e32 v10, v13
	v_min_u32_e32 v10, 32, v10
	v_subrev_u32_e32 v13, 28, v10
	v_sub_u32_e32 v10, 29, v10
	v_cndmask_b32_e32 v13, 0, v13, vcc
	v_cndmask_b32_e32 v10, v23, v10, vcc
	v_lshlrev_b64 v[23:24], v13, v[14:15]
	v_bfrev_b32_e32 v24, 60
	v_lshlrev_b32_e32 v13, 20, v23
	v_lshlrev_b32_e32 v23, 24, v14
	v_and_b32_e32 v13, 0x700000, v13
	v_and_b32_e32 v23, 0x80000000, v23
	v_lshl_add_u32 v10, v10, 23, v24
	v_or3_b32 v13, v23, v10, v13
.LBB328_978:                            ;   in Loop: Header=BB328_800 Depth=1
	s_or_b64 exec, exec, s[26:27]
.LBB328_979:                            ;   in Loop: Header=BB328_800 Depth=1
	s_or_b64 exec, exec, s[24:25]
.LBB328_980:                            ;   in Loop: Header=BB328_800 Depth=1
	s_or_b64 exec, exec, s[22:23]
	v_lshrrev_b16_e32 v23, 8, v14
	v_cmp_ne_u16_e32 vcc, 0, v23
	s_and_saveexec_b64 s[22:23], vcc
	s_cbranch_execz .LBB328_986
; %bb.981:                              ;   in Loop: Header=BB328_800 Depth=1
	v_cmp_ne_u16_e32 vcc, s28, v23
	v_bfrev_b32_e32 v18, 1
	s_and_saveexec_b64 s[24:25], vcc
	s_cbranch_execz .LBB328_985
; %bb.982:                              ;   in Loop: Header=BB328_800 Depth=1
	v_and_b32_e32 v10, 0x7f, v23
	v_cmp_ne_u32_e32 vcc, s29, v10
	v_mov_b32_e32 v18, 0x7f800001
	s_and_saveexec_b64 s[26:27], vcc
	s_cbranch_execz .LBB328_984
; %bb.983:                              ;   in Loop: Header=BB328_800 Depth=1
	v_and_b32_e32 v18, 7, v23
	v_lshrrev_b32_e32 v25, 3, v10
	v_cmp_gt_u32_e32 vcc, 8, v10
	v_ffbh_u32_e32 v10, v18
	v_min_u32_e32 v10, 32, v10
	v_subrev_u32_e32 v24, 28, v10
	v_lshlrev_b64 v[23:24], v24, v[23:24]
	v_sub_u32_e32 v10, 29, v10
	v_and_b32_e32 v23, 7, v23
	v_cndmask_b32_e32 v10, v25, v10, vcc
	v_cndmask_b32_e32 v18, v18, v23, vcc
	v_lshlrev_b32_e32 v14, 16, v14
	v_bfrev_b32_e32 v23, 60
	v_lshlrev_b32_e32 v18, 20, v18
	v_and_b32_e32 v14, 0x80000000, v14
	v_lshl_add_u32 v10, v10, 23, v23
	v_or3_b32 v18, v14, v10, v18
.LBB328_984:                            ;   in Loop: Header=BB328_800 Depth=1
	s_or_b64 exec, exec, s[26:27]
.LBB328_985:                            ;   in Loop: Header=BB328_800 Depth=1
	s_or_b64 exec, exec, s[24:25]
.LBB328_986:                            ;   in Loop: Header=BB328_800 Depth=1
	s_or_b64 exec, exec, s[22:23]
	v_lshrrev_b32_e32 v14, 16, v22
	v_cmp_ne_u16_sdwa s[24:25], v14, v15 src0_sel:BYTE_0 src1_sel:DWORD
	v_mov_b32_e32 v23, 0
	v_mov_b32_e32 v10, 0
	s_and_saveexec_b64 s[22:23], s[24:25]
	s_cbranch_execz .LBB328_992
; %bb.987:                              ;   in Loop: Header=BB328_800 Depth=1
	v_cmp_ne_u16_sdwa s[26:27], v14, s28 src0_sel:BYTE_0 src1_sel:DWORD
	v_bfrev_b32_e32 v10, 1
	s_and_saveexec_b64 s[24:25], s[26:27]
	s_cbranch_execz .LBB328_991
; %bb.988:                              ;   in Loop: Header=BB328_800 Depth=1
	v_bfe_u32 v24, v22, 16, 7
	v_cmp_ne_u32_e32 vcc, s29, v24
	v_mov_b32_e32 v10, 0x7f800001
	s_and_saveexec_b64 s[26:27], vcc
	s_cbranch_execz .LBB328_990
; %bb.989:                              ;   in Loop: Header=BB328_800 Depth=1
	v_and_b32_e32 v10, 7, v14
	v_lshrrev_b32_e32 v26, 3, v24
	v_cmp_gt_u32_e32 vcc, 8, v24
	v_ffbh_u32_e32 v24, v10
	v_min_u32_e32 v27, 32, v24
	v_subrev_u32_e32 v24, 28, v27
	v_lshlrev_b64 v[24:25], v24, v[14:15]
	v_sub_u32_e32 v25, 29, v27
	v_and_b32_e32 v24, 7, v24
	v_cndmask_b32_e32 v25, v26, v25, vcc
	v_cndmask_b32_e32 v10, v10, v24, vcc
	v_lshlrev_b32_e32 v14, 24, v14
	v_bfrev_b32_e32 v24, 60
	v_lshlrev_b32_e32 v10, 20, v10
	v_and_b32_e32 v14, 0x80000000, v14
	v_lshl_add_u32 v24, v25, 23, v24
	v_or3_b32 v10, v14, v24, v10
.LBB328_990:                            ;   in Loop: Header=BB328_800 Depth=1
	s_or_b64 exec, exec, s[26:27]
.LBB328_991:                            ;   in Loop: Header=BB328_800 Depth=1
	s_or_b64 exec, exec, s[24:25]
.LBB328_992:                            ;   in Loop: Header=BB328_800 Depth=1
	s_or_b64 exec, exec, s[22:23]
	v_cmp_lt_u64_e32 vcc, s[10:11], v[21:22]
	s_and_saveexec_b64 s[22:23], vcc
	s_cbranch_execz .LBB328_998
; %bb.993:                              ;   in Loop: Header=BB328_800 Depth=1
	v_lshrrev_b32_e32 v14, 24, v22
	v_cmp_ne_u32_e32 vcc, s28, v14
	v_bfrev_b32_e32 v23, 1
	s_and_saveexec_b64 s[24:25], vcc
	s_cbranch_execz .LBB328_997
; %bb.994:                              ;   in Loop: Header=BB328_800 Depth=1
	v_bfe_u32 v21, v22, 24, 7
	v_cmp_ne_u32_e32 vcc, s29, v21
	v_mov_b32_e32 v23, 0x7f800001
	s_and_saveexec_b64 s[26:27], vcc
	s_cbranch_execz .LBB328_996
; %bb.995:                              ;   in Loop: Header=BB328_800 Depth=1
	v_and_b32_e32 v23, 7, v14
	v_lshrrev_b32_e32 v24, 3, v21
	v_cmp_gt_u32_e32 vcc, 8, v21
	v_ffbh_u32_e32 v21, v23
	v_min_u32_e32 v25, 32, v21
	v_subrev_u32_e32 v21, 28, v25
	v_lshlrev_b64 v[21:22], v21, v[14:15]
	v_sub_u32_e32 v22, 29, v25
	v_and_b32_e32 v21, 7, v21
	v_cndmask_b32_e32 v22, v24, v22, vcc
	v_cndmask_b32_e32 v21, v23, v21, vcc
	v_lshlrev_b32_e32 v14, 24, v14
	v_bfrev_b32_e32 v23, 60
	v_lshlrev_b32_e32 v21, 20, v21
	v_and_b32_e32 v14, 0x80000000, v14
	v_lshl_add_u32 v22, v22, 23, v23
	v_or3_b32 v23, v14, v22, v21
.LBB328_996:                            ;   in Loop: Header=BB328_800 Depth=1
	s_or_b64 exec, exec, s[26:27]
.LBB328_997:                            ;   in Loop: Header=BB328_800 Depth=1
	s_or_b64 exec, exec, s[24:25]
.LBB328_998:                            ;   in Loop: Header=BB328_800 Depth=1
	s_or_b64 exec, exec, s[22:23]
	v_mul_f32_e32 v14, v40, v18
	v_bfe_u32 v18, v14, 16, 1
	v_add3_u32 v18, v18, v14, s40
	v_or_b32_e32 v21, 0x400000, v14
	v_cmp_u_f32_e32 vcc, v14, v14
	v_cndmask_b32_e32 v14, v18, v21, vcc
	v_lshrrev_b32_e32 v14, 16, v14
	v_mul_f32_e32 v13, v40, v13
	buffer_store_dword v14, off, s[0:3], s32 offset:172 ; 4-byte Folded Spill
	v_bfe_u32 v14, v13, 16, 1
	v_add3_u32 v14, v14, v13, s40
	v_or_b32_e32 v18, 0x400000, v13
	v_cmp_u_f32_e32 vcc, v13, v13
	v_cndmask_b32_e32 v13, v14, v18, vcc
	v_lshrrev_b32_e32 v13, 16, v13
	v_mul_f32_e32 v12, v40, v12
	buffer_store_dword v13, off, s[0:3], s32 offset:168 ; 4-byte Folded Spill
	;; [unrolled: 8-line block ×5, first 2 shown]
	v_bfe_u32 v1, v0, 16, 1
	v_add3_u32 v1, v1, v0, s40
	v_or_b32_e32 v11, 0x400000, v0
	v_cmp_u_f32_e32 vcc, v0, v0
	v_cndmask_b32_e32 v0, v1, v11, vcc
	v_lshrrev_b32_e32 v0, 16, v0
	buffer_store_dword v0, off, s[0:3], s32 offset:192 ; 4-byte Folded Spill
	v_mul_f32_e32 v0, v40, v10
	v_bfe_u32 v1, v0, 16, 1
	v_add3_u32 v1, v1, v0, s40
	v_or_b32_e32 v10, 0x400000, v0
	v_cmp_u_f32_e32 vcc, v0, v0
	v_cndmask_b32_e32 v0, v1, v10, vcc
	v_lshrrev_b32_e32 v0, 16, v0
	buffer_store_dword v0, off, s[0:3], s32 offset:176 ; 4-byte Folded Spill
	v_mul_f32_e32 v0, v40, v23
	v_bfe_u32 v1, v0, 16, 1
	v_add3_u32 v1, v1, v0, s40
	v_or_b32_e32 v10, 0x400000, v0
	v_cmp_u_f32_e32 vcc, v0, v0
	v_cndmask_b32_e32 v0, v1, v10, vcc
	v_lshrrev_b32_e32 v0, 16, v0
	buffer_store_dword v0, off, s[0:3], s32 offset:188 ; 4-byte Folded Spill
	s_and_saveexec_b64 s[22:23], s[6:7]
	s_cbranch_execz .LBB328_1000
; %bb.999:                              ;   in Loop: Header=BB328_800 Depth=1
	buffer_load_dword v0, off, s[0:3], s32 offset:68 ; 4-byte Folded Reload
	buffer_load_dword v1, off, s[0:3], s32 offset:192 ; 4-byte Folded Reload
	s_waitcnt vmcnt(1)
	v_cmp_lt_i32_e32 vcc, v63, v0
	s_waitcnt vmcnt(0)
	v_cndmask_b32_e32 v1, 0, v1, vcc
	buffer_store_dword v1, off, s[0:3], s32 offset:192 ; 4-byte Folded Spill
	v_add_u32_e32 v1, -6, v49
	v_cmp_lt_i32_e32 vcc, v1, v0
	buffer_load_dword v1, off, s[0:3], s32 offset:196 ; 4-byte Folded Reload
	s_waitcnt vmcnt(0)
	v_cndmask_b32_e32 v1, 0, v1, vcc
	buffer_store_dword v1, off, s[0:3], s32 offset:196 ; 4-byte Folded Spill
	v_add_u32_e32 v1, -5, v49
	v_cmp_lt_i32_e32 vcc, v1, v0
	buffer_load_dword v1, off, s[0:3], s32 offset:180 ; 4-byte Folded Reload
	s_waitcnt vmcnt(0)
	v_cndmask_b32_e32 v1, 0, v1, vcc
	buffer_store_dword v1, off, s[0:3], s32 offset:180 ; 4-byte Folded Spill
	v_add_u32_e32 v1, -4, v49
	v_cmp_lt_i32_e32 vcc, v1, v0
	buffer_load_dword v1, off, s[0:3], s32 offset:184 ; 4-byte Folded Reload
	s_waitcnt vmcnt(0)
	v_cndmask_b32_e32 v1, 0, v1, vcc
	buffer_store_dword v1, off, s[0:3], s32 offset:184 ; 4-byte Folded Spill
	v_add_u32_e32 v1, -3, v49
	v_cmp_lt_i32_e32 vcc, v1, v0
	buffer_load_dword v1, off, s[0:3], s32 offset:168 ; 4-byte Folded Reload
	s_waitcnt vmcnt(0)
	v_cndmask_b32_e32 v1, 0, v1, vcc
	buffer_store_dword v1, off, s[0:3], s32 offset:168 ; 4-byte Folded Spill
	v_add_u32_e32 v1, -2, v49
	v_cmp_lt_i32_e32 vcc, v1, v0
	buffer_load_dword v1, off, s[0:3], s32 offset:172 ; 4-byte Folded Reload
	s_waitcnt vmcnt(0)
	v_cndmask_b32_e32 v1, 0, v1, vcc
	buffer_store_dword v1, off, s[0:3], s32 offset:172 ; 4-byte Folded Spill
	v_add_u32_e32 v1, -1, v49
	v_cmp_lt_i32_e32 vcc, v1, v0
	buffer_load_dword v1, off, s[0:3], s32 offset:176 ; 4-byte Folded Reload
	s_waitcnt vmcnt(0)
	v_cndmask_b32_e32 v1, 0, v1, vcc
	v_cmp_lt_i32_e32 vcc, v49, v0
	buffer_load_dword v0, off, s[0:3], s32 offset:188 ; 4-byte Folded Reload
	s_waitcnt vmcnt(0)
	v_cndmask_b32_e32 v0, 0, v0, vcc
	buffer_store_dword v1, off, s[0:3], s32 offset:176 ; 4-byte Folded Spill
	buffer_store_dword v0, off, s[0:3], s32 offset:188 ; 4-byte Folded Spill
.LBB328_1000:                           ;   in Loop: Header=BB328_800 Depth=1
	s_or_b64 exec, exec, s[22:23]
	flat_load_dwordx2 v[21:22], v[19:20] offset:2048
	v_mov_b32_e32 v1, 0
	v_mov_b32_e32 v0, 0
	s_waitcnt vmcnt(0) lgkmcnt(0)
	v_cmp_ne_u16_sdwa s[24:25], v21, v15 src0_sel:BYTE_0 src1_sel:DWORD
	s_and_saveexec_b64 s[22:23], s[24:25]
	s_cbranch_execz .LBB328_1006
; %bb.1001:                             ;   in Loop: Header=BB328_800 Depth=1
	v_cmp_ne_u16_sdwa s[26:27], v21, s28 src0_sel:BYTE_0 src1_sel:DWORD
	v_bfrev_b32_e32 v0, 1
	s_and_saveexec_b64 s[24:25], s[26:27]
	s_cbranch_execz .LBB328_1005
; %bb.1002:                             ;   in Loop: Header=BB328_800 Depth=1
	v_and_b32_e32 v10, 0x7f, v21
	v_cmp_ne_u32_e32 vcc, s29, v10
	v_mov_b32_e32 v0, 0x7f800001
	s_and_saveexec_b64 s[26:27], vcc
	s_cbranch_execz .LBB328_1004
; %bb.1003:                             ;   in Loop: Header=BB328_800 Depth=1
	v_and_b32_e32 v0, 7, v21
	v_ffbh_u32_e32 v0, v0
	v_min_u32_e32 v0, 32, v0
	v_lshrrev_b32_e32 v11, 3, v10
	v_cmp_gt_u32_e32 vcc, 8, v10
	v_subrev_u32_e32 v10, 28, v0
	v_sub_u32_e32 v0, 29, v0
	v_cndmask_b32_e32 v10, 0, v10, vcc
	v_cndmask_b32_e32 v0, v11, v0, vcc
	v_lshlrev_b64 v[10:11], v10, v[21:22]
	v_lshlrev_b32_e32 v11, 24, v21
	v_lshlrev_b32_e32 v10, 20, v10
	v_bfrev_b32_e32 v12, 60
	v_and_b32_e32 v10, 0x700000, v10
	v_and_b32_e32 v11, 0x80000000, v11
	v_lshl_add_u32 v0, v0, 23, v12
	v_or3_b32 v0, v11, v0, v10
.LBB328_1004:                           ;   in Loop: Header=BB328_800 Depth=1
	s_or_b64 exec, exec, s[26:27]
.LBB328_1005:                           ;   in Loop: Header=BB328_800 Depth=1
	s_or_b64 exec, exec, s[24:25]
.LBB328_1006:                           ;   in Loop: Header=BB328_800 Depth=1
	s_or_b64 exec, exec, s[22:23]
	v_lshrrev_b16_e32 v14, 8, v21
	v_cmp_ne_u16_e32 vcc, 0, v14
	s_and_saveexec_b64 s[22:23], vcc
	s_cbranch_execz .LBB328_1012
; %bb.1007:                             ;   in Loop: Header=BB328_800 Depth=1
	v_cmp_ne_u16_e32 vcc, s28, v14
	v_bfrev_b32_e32 v1, 1
	s_and_saveexec_b64 s[24:25], vcc
	s_cbranch_execz .LBB328_1011
; %bb.1008:                             ;   in Loop: Header=BB328_800 Depth=1
	v_and_b32_e32 v10, 0x7f, v14
	v_cmp_ne_u32_e32 vcc, s29, v10
	v_mov_b32_e32 v1, 0x7f800001
	s_and_saveexec_b64 s[26:27], vcc
	s_cbranch_execz .LBB328_1010
; %bb.1009:                             ;   in Loop: Header=BB328_800 Depth=1
	v_and_b32_e32 v1, 7, v14
	v_lshrrev_b32_e32 v12, 3, v10
	v_cmp_gt_u32_e32 vcc, 8, v10
	v_ffbh_u32_e32 v10, v1
	v_min_u32_e32 v13, 32, v10
	v_subrev_u32_e32 v10, 28, v13
	v_lshlrev_b64 v[10:11], v10, v[14:15]
	v_sub_u32_e32 v11, 29, v13
	v_and_b32_e32 v10, 7, v10
	v_cndmask_b32_e32 v11, v12, v11, vcc
	v_cndmask_b32_e32 v1, v1, v10, vcc
	v_lshlrev_b32_e32 v10, 16, v21
	v_bfrev_b32_e32 v12, 60
	v_lshlrev_b32_e32 v1, 20, v1
	v_and_b32_e32 v10, 0x80000000, v10
	v_lshl_add_u32 v11, v11, 23, v12
	v_or3_b32 v1, v10, v11, v1
.LBB328_1010:                           ;   in Loop: Header=BB328_800 Depth=1
	s_or_b64 exec, exec, s[26:27]
.LBB328_1011:                           ;   in Loop: Header=BB328_800 Depth=1
	s_or_b64 exec, exec, s[24:25]
.LBB328_1012:                           ;   in Loop: Header=BB328_800 Depth=1
	s_or_b64 exec, exec, s[22:23]
	v_lshrrev_b32_e32 v14, 16, v21
	v_cmp_ne_u16_sdwa s[24:25], v14, v15 src0_sel:BYTE_0 src1_sel:DWORD
	v_mov_b32_e32 v12, 0
	v_mov_b32_e32 v11, 0
	s_and_saveexec_b64 s[22:23], s[24:25]
	s_cbranch_execz .LBB328_1018
; %bb.1013:                             ;   in Loop: Header=BB328_800 Depth=1
	v_cmp_ne_u16_sdwa s[26:27], v14, s28 src0_sel:BYTE_0 src1_sel:DWORD
	v_bfrev_b32_e32 v11, 1
	s_and_saveexec_b64 s[24:25], s[26:27]
	s_cbranch_execz .LBB328_1017
; %bb.1014:                             ;   in Loop: Header=BB328_800 Depth=1
	v_bfe_u32 v10, v21, 16, 7
	v_cmp_ne_u32_e32 vcc, s29, v10
	v_mov_b32_e32 v11, 0x7f800001
	s_and_saveexec_b64 s[26:27], vcc
	s_cbranch_execz .LBB328_1016
; %bb.1015:                             ;   in Loop: Header=BB328_800 Depth=1
	v_and_b32_e32 v13, 7, v14
	v_lshrrev_b32_e32 v18, 3, v10
	v_cmp_gt_u32_e32 vcc, 8, v10
	v_ffbh_u32_e32 v10, v13
	v_min_u32_e32 v23, 32, v10
	v_subrev_u32_e32 v10, 28, v23
	v_lshlrev_b64 v[10:11], v10, v[14:15]
	v_sub_u32_e32 v11, 29, v23
	v_and_b32_e32 v10, 7, v10
	v_cndmask_b32_e32 v11, v18, v11, vcc
	v_cndmask_b32_e32 v10, v13, v10, vcc
	v_lshlrev_b32_e32 v13, 24, v14
	v_bfrev_b32_e32 v14, 60
	v_lshlrev_b32_e32 v10, 20, v10
	v_and_b32_e32 v13, 0x80000000, v13
	v_lshl_add_u32 v11, v11, 23, v14
	v_or3_b32 v11, v13, v11, v10
.LBB328_1016:                           ;   in Loop: Header=BB328_800 Depth=1
	s_or_b64 exec, exec, s[26:27]
.LBB328_1017:                           ;   in Loop: Header=BB328_800 Depth=1
	s_or_b64 exec, exec, s[24:25]
.LBB328_1018:                           ;   in Loop: Header=BB328_800 Depth=1
	s_or_b64 exec, exec, s[22:23]
	v_cmp_lt_u32_e32 vcc, s11, v21
	s_and_saveexec_b64 s[22:23], vcc
	s_cbranch_execz .LBB328_1024
; %bb.1019:                             ;   in Loop: Header=BB328_800 Depth=1
	v_lshrrev_b32_e32 v14, 24, v21
	v_cmp_ne_u32_e32 vcc, s28, v14
	v_bfrev_b32_e32 v12, 1
	s_and_saveexec_b64 s[24:25], vcc
	s_cbranch_execz .LBB328_1023
; %bb.1020:                             ;   in Loop: Header=BB328_800 Depth=1
	v_bfe_u32 v10, v21, 24, 7
	v_cmp_ne_u32_e32 vcc, s29, v10
	v_mov_b32_e32 v12, 0x7f800001
	s_and_saveexec_b64 s[26:27], vcc
	s_cbranch_execz .LBB328_1022
; %bb.1021:                             ;   in Loop: Header=BB328_800 Depth=1
	v_and_b32_e32 v18, 7, v14
	v_lshrrev_b32_e32 v23, 3, v10
	v_cmp_gt_u32_e32 vcc, 8, v10
	v_ffbh_u32_e32 v10, v18
	v_min_u32_e32 v10, 32, v10
	v_subrev_u32_e32 v12, 28, v10
	v_lshlrev_b64 v[12:13], v12, v[14:15]
	v_sub_u32_e32 v10, 29, v10
	v_and_b32_e32 v12, 7, v12
	v_cndmask_b32_e32 v10, v23, v10, vcc
	v_cndmask_b32_e32 v12, v18, v12, vcc
	v_lshlrev_b32_e32 v13, 24, v14
	v_bfrev_b32_e32 v14, 60
	v_lshlrev_b32_e32 v12, 20, v12
	v_and_b32_e32 v13, 0x80000000, v13
	v_lshl_add_u32 v10, v10, 23, v14
	v_or3_b32 v12, v13, v10, v12
.LBB328_1022:                           ;   in Loop: Header=BB328_800 Depth=1
	s_or_b64 exec, exec, s[26:27]
.LBB328_1023:                           ;   in Loop: Header=BB328_800 Depth=1
	s_or_b64 exec, exec, s[24:25]
.LBB328_1024:                           ;   in Loop: Header=BB328_800 Depth=1
	s_or_b64 exec, exec, s[22:23]
	v_mov_b32_e32 v14, v22
	v_cmp_ne_u16_sdwa s[24:25], v22, v15 src0_sel:BYTE_0 src1_sel:DWORD
	v_mov_b32_e32 v18, 0
	v_mov_b32_e32 v13, 0
	s_and_saveexec_b64 s[22:23], s[24:25]
	s_cbranch_execz .LBB328_1030
; %bb.1025:                             ;   in Loop: Header=BB328_800 Depth=1
	v_cmp_ne_u16_sdwa s[26:27], v22, s28 src0_sel:BYTE_0 src1_sel:DWORD
	v_bfrev_b32_e32 v13, 1
	s_and_saveexec_b64 s[24:25], s[26:27]
	s_cbranch_execz .LBB328_1029
; %bb.1026:                             ;   in Loop: Header=BB328_800 Depth=1
	v_and_b32_e32 v10, 0x7f, v22
	v_cmp_ne_u32_e32 vcc, s29, v10
	v_mov_b32_e32 v13, 0x7f800001
	s_and_saveexec_b64 s[26:27], vcc
	s_cbranch_execz .LBB328_1028
; %bb.1027:                             ;   in Loop: Header=BB328_800 Depth=1
	v_and_b32_e32 v13, 7, v22
	v_lshrrev_b32_e32 v23, 3, v10
	v_cmp_gt_u32_e32 vcc, 8, v10
	v_ffbh_u32_e32 v10, v13
	v_min_u32_e32 v10, 32, v10
	v_subrev_u32_e32 v13, 28, v10
	v_sub_u32_e32 v10, 29, v10
	v_cndmask_b32_e32 v13, 0, v13, vcc
	v_cndmask_b32_e32 v10, v23, v10, vcc
	v_lshlrev_b64 v[23:24], v13, v[14:15]
	v_bfrev_b32_e32 v24, 60
	v_lshlrev_b32_e32 v13, 20, v23
	v_lshlrev_b32_e32 v23, 24, v14
	v_and_b32_e32 v13, 0x700000, v13
	v_and_b32_e32 v23, 0x80000000, v23
	v_lshl_add_u32 v10, v10, 23, v24
	v_or3_b32 v13, v23, v10, v13
.LBB328_1028:                           ;   in Loop: Header=BB328_800 Depth=1
	s_or_b64 exec, exec, s[26:27]
.LBB328_1029:                           ;   in Loop: Header=BB328_800 Depth=1
	s_or_b64 exec, exec, s[24:25]
.LBB328_1030:                           ;   in Loop: Header=BB328_800 Depth=1
	s_or_b64 exec, exec, s[22:23]
	v_lshrrev_b16_e32 v23, 8, v14
	v_cmp_ne_u16_e32 vcc, 0, v23
	s_and_saveexec_b64 s[22:23], vcc
	s_cbranch_execz .LBB328_1036
; %bb.1031:                             ;   in Loop: Header=BB328_800 Depth=1
	v_cmp_ne_u16_e32 vcc, s28, v23
	v_bfrev_b32_e32 v18, 1
	s_and_saveexec_b64 s[24:25], vcc
	s_cbranch_execz .LBB328_1035
; %bb.1032:                             ;   in Loop: Header=BB328_800 Depth=1
	v_and_b32_e32 v10, 0x7f, v23
	v_cmp_ne_u32_e32 vcc, s29, v10
	v_mov_b32_e32 v18, 0x7f800001
	s_and_saveexec_b64 s[26:27], vcc
	s_cbranch_execz .LBB328_1034
; %bb.1033:                             ;   in Loop: Header=BB328_800 Depth=1
	v_and_b32_e32 v18, 7, v23
	v_lshrrev_b32_e32 v25, 3, v10
	v_cmp_gt_u32_e32 vcc, 8, v10
	v_ffbh_u32_e32 v10, v18
	v_min_u32_e32 v10, 32, v10
	v_subrev_u32_e32 v24, 28, v10
	v_lshlrev_b64 v[23:24], v24, v[23:24]
	v_sub_u32_e32 v10, 29, v10
	v_and_b32_e32 v23, 7, v23
	v_cndmask_b32_e32 v10, v25, v10, vcc
	v_cndmask_b32_e32 v18, v18, v23, vcc
	v_lshlrev_b32_e32 v14, 16, v14
	v_bfrev_b32_e32 v23, 60
	v_lshlrev_b32_e32 v18, 20, v18
	v_and_b32_e32 v14, 0x80000000, v14
	v_lshl_add_u32 v10, v10, 23, v23
	v_or3_b32 v18, v14, v10, v18
.LBB328_1034:                           ;   in Loop: Header=BB328_800 Depth=1
	s_or_b64 exec, exec, s[26:27]
.LBB328_1035:                           ;   in Loop: Header=BB328_800 Depth=1
	s_or_b64 exec, exec, s[24:25]
.LBB328_1036:                           ;   in Loop: Header=BB328_800 Depth=1
	s_or_b64 exec, exec, s[22:23]
	v_lshrrev_b32_e32 v14, 16, v22
	v_cmp_ne_u16_sdwa s[24:25], v14, v15 src0_sel:BYTE_0 src1_sel:DWORD
	v_mov_b32_e32 v23, 0
	v_mov_b32_e32 v10, 0
	s_and_saveexec_b64 s[22:23], s[24:25]
	s_cbranch_execz .LBB328_1042
; %bb.1037:                             ;   in Loop: Header=BB328_800 Depth=1
	v_cmp_ne_u16_sdwa s[26:27], v14, s28 src0_sel:BYTE_0 src1_sel:DWORD
	v_bfrev_b32_e32 v10, 1
	s_and_saveexec_b64 s[24:25], s[26:27]
	s_cbranch_execz .LBB328_1041
; %bb.1038:                             ;   in Loop: Header=BB328_800 Depth=1
	v_bfe_u32 v24, v22, 16, 7
	v_cmp_ne_u32_e32 vcc, s29, v24
	v_mov_b32_e32 v10, 0x7f800001
	s_and_saveexec_b64 s[26:27], vcc
	s_cbranch_execz .LBB328_1040
; %bb.1039:                             ;   in Loop: Header=BB328_800 Depth=1
	v_and_b32_e32 v10, 7, v14
	v_lshrrev_b32_e32 v26, 3, v24
	v_cmp_gt_u32_e32 vcc, 8, v24
	v_ffbh_u32_e32 v24, v10
	v_min_u32_e32 v27, 32, v24
	v_subrev_u32_e32 v24, 28, v27
	v_lshlrev_b64 v[24:25], v24, v[14:15]
	v_sub_u32_e32 v25, 29, v27
	v_and_b32_e32 v24, 7, v24
	v_cndmask_b32_e32 v25, v26, v25, vcc
	v_cndmask_b32_e32 v10, v10, v24, vcc
	v_lshlrev_b32_e32 v14, 24, v14
	v_bfrev_b32_e32 v24, 60
	v_lshlrev_b32_e32 v10, 20, v10
	v_and_b32_e32 v14, 0x80000000, v14
	v_lshl_add_u32 v24, v25, 23, v24
	v_or3_b32 v10, v14, v24, v10
.LBB328_1040:                           ;   in Loop: Header=BB328_800 Depth=1
	s_or_b64 exec, exec, s[26:27]
.LBB328_1041:                           ;   in Loop: Header=BB328_800 Depth=1
	s_or_b64 exec, exec, s[24:25]
.LBB328_1042:                           ;   in Loop: Header=BB328_800 Depth=1
	s_or_b64 exec, exec, s[22:23]
	v_cmp_lt_u64_e32 vcc, s[10:11], v[21:22]
	s_and_saveexec_b64 s[22:23], vcc
	s_cbranch_execz .LBB328_1048
; %bb.1043:                             ;   in Loop: Header=BB328_800 Depth=1
	v_lshrrev_b32_e32 v14, 24, v22
	v_cmp_ne_u32_e32 vcc, s28, v14
	v_bfrev_b32_e32 v23, 1
	s_and_saveexec_b64 s[24:25], vcc
	s_cbranch_execz .LBB328_1047
; %bb.1044:                             ;   in Loop: Header=BB328_800 Depth=1
	v_bfe_u32 v21, v22, 24, 7
	v_cmp_ne_u32_e32 vcc, s29, v21
	v_mov_b32_e32 v23, 0x7f800001
	s_and_saveexec_b64 s[26:27], vcc
	s_cbranch_execz .LBB328_1046
; %bb.1045:                             ;   in Loop: Header=BB328_800 Depth=1
	v_and_b32_e32 v23, 7, v14
	v_lshrrev_b32_e32 v24, 3, v21
	v_cmp_gt_u32_e32 vcc, 8, v21
	v_ffbh_u32_e32 v21, v23
	v_min_u32_e32 v25, 32, v21
	v_subrev_u32_e32 v21, 28, v25
	v_lshlrev_b64 v[21:22], v21, v[14:15]
	v_sub_u32_e32 v22, 29, v25
	v_and_b32_e32 v21, 7, v21
	v_cndmask_b32_e32 v22, v24, v22, vcc
	v_cndmask_b32_e32 v21, v23, v21, vcc
	v_lshlrev_b32_e32 v14, 24, v14
	v_bfrev_b32_e32 v23, 60
	v_lshlrev_b32_e32 v21, 20, v21
	v_and_b32_e32 v14, 0x80000000, v14
	v_lshl_add_u32 v22, v22, 23, v23
	v_or3_b32 v23, v14, v22, v21
.LBB328_1046:                           ;   in Loop: Header=BB328_800 Depth=1
	s_or_b64 exec, exec, s[26:27]
.LBB328_1047:                           ;   in Loop: Header=BB328_800 Depth=1
	s_or_b64 exec, exec, s[24:25]
.LBB328_1048:                           ;   in Loop: Header=BB328_800 Depth=1
	s_or_b64 exec, exec, s[22:23]
	v_mul_f32_e32 v14, v40, v18
	v_bfe_u32 v18, v14, 16, 1
	v_add3_u32 v18, v18, v14, s40
	v_or_b32_e32 v21, 0x400000, v14
	v_cmp_u_f32_e32 vcc, v14, v14
	v_cndmask_b32_e32 v14, v18, v21, vcc
	v_lshrrev_b32_e32 v14, 16, v14
	v_mul_f32_e32 v13, v40, v13
	buffer_store_dword v14, off, s[0:3], s32 offset:204 ; 4-byte Folded Spill
	v_bfe_u32 v14, v13, 16, 1
	v_add3_u32 v14, v14, v13, s40
	v_or_b32_e32 v18, 0x400000, v13
	v_cmp_u_f32_e32 vcc, v13, v13
	v_cndmask_b32_e32 v13, v14, v18, vcc
	v_lshrrev_b32_e32 v13, 16, v13
	v_mul_f32_e32 v12, v40, v12
	buffer_store_dword v13, off, s[0:3], s32 offset:200 ; 4-byte Folded Spill
	;; [unrolled: 8-line block ×5, first 2 shown]
	v_bfe_u32 v1, v0, 16, 1
	v_add3_u32 v1, v1, v0, s40
	v_or_b32_e32 v11, 0x400000, v0
	v_cmp_u_f32_e32 vcc, v0, v0
	v_cndmask_b32_e32 v0, v1, v11, vcc
	v_lshrrev_b32_e32 v0, 16, v0
	buffer_store_dword v0, off, s[0:3], s32 offset:224 ; 4-byte Folded Spill
	v_mul_f32_e32 v0, v40, v10
	v_bfe_u32 v1, v0, 16, 1
	v_add3_u32 v1, v1, v0, s40
	v_or_b32_e32 v10, 0x400000, v0
	v_cmp_u_f32_e32 vcc, v0, v0
	v_cndmask_b32_e32 v0, v1, v10, vcc
	v_lshrrev_b32_e32 v0, 16, v0
	buffer_store_dword v0, off, s[0:3], s32 offset:208 ; 4-byte Folded Spill
	v_mul_f32_e32 v0, v40, v23
	v_bfe_u32 v1, v0, 16, 1
	v_add3_u32 v1, v1, v0, s40
	v_or_b32_e32 v10, 0x400000, v0
	v_cmp_u_f32_e32 vcc, v0, v0
	v_cndmask_b32_e32 v0, v1, v10, vcc
	v_lshrrev_b32_e32 v0, 16, v0
	buffer_store_dword v0, off, s[0:3], s32 offset:220 ; 4-byte Folded Spill
	s_and_saveexec_b64 s[22:23], s[6:7]
	s_cbranch_execz .LBB328_1050
; %bb.1049:                             ;   in Loop: Header=BB328_800 Depth=1
	buffer_load_dword v0, off, s[0:3], s32 offset:68 ; 4-byte Folded Reload
	buffer_load_dword v1, off, s[0:3], s32 offset:224 ; 4-byte Folded Reload
	s_waitcnt vmcnt(1)
	v_cmp_lt_i32_e32 vcc, v63, v0
	s_waitcnt vmcnt(0)
	v_cndmask_b32_e32 v1, 0, v1, vcc
	buffer_store_dword v1, off, s[0:3], s32 offset:224 ; 4-byte Folded Spill
	v_add_u32_e32 v1, -6, v49
	v_cmp_lt_i32_e32 vcc, v1, v0
	buffer_load_dword v1, off, s[0:3], s32 offset:228 ; 4-byte Folded Reload
	s_waitcnt vmcnt(0)
	v_cndmask_b32_e32 v1, 0, v1, vcc
	buffer_store_dword v1, off, s[0:3], s32 offset:228 ; 4-byte Folded Spill
	v_add_u32_e32 v1, -5, v49
	v_cmp_lt_i32_e32 vcc, v1, v0
	buffer_load_dword v1, off, s[0:3], s32 offset:212 ; 4-byte Folded Reload
	;; [unrolled: 6-line block ×6, first 2 shown]
	s_waitcnt vmcnt(0)
	v_cndmask_b32_e32 v1, 0, v1, vcc
	v_cmp_lt_i32_e32 vcc, v49, v0
	buffer_load_dword v0, off, s[0:3], s32 offset:220 ; 4-byte Folded Reload
	s_waitcnt vmcnt(0)
	v_cndmask_b32_e32 v0, 0, v0, vcc
	buffer_store_dword v1, off, s[0:3], s32 offset:208 ; 4-byte Folded Spill
	buffer_store_dword v0, off, s[0:3], s32 offset:220 ; 4-byte Folded Spill
.LBB328_1050:                           ;   in Loop: Header=BB328_800 Depth=1
	s_or_b64 exec, exec, s[22:23]
	flat_load_dwordx2 v[21:22], v[19:20] offset:2560
	v_mov_b32_e32 v1, 0
	v_mov_b32_e32 v0, 0
	s_waitcnt vmcnt(0) lgkmcnt(0)
	v_cmp_ne_u16_sdwa s[24:25], v21, v15 src0_sel:BYTE_0 src1_sel:DWORD
	s_and_saveexec_b64 s[22:23], s[24:25]
	s_cbranch_execz .LBB328_1056
; %bb.1051:                             ;   in Loop: Header=BB328_800 Depth=1
	v_cmp_ne_u16_sdwa s[26:27], v21, s28 src0_sel:BYTE_0 src1_sel:DWORD
	v_bfrev_b32_e32 v0, 1
	s_and_saveexec_b64 s[24:25], s[26:27]
	s_cbranch_execz .LBB328_1055
; %bb.1052:                             ;   in Loop: Header=BB328_800 Depth=1
	v_and_b32_e32 v10, 0x7f, v21
	v_cmp_ne_u32_e32 vcc, s29, v10
	v_mov_b32_e32 v0, 0x7f800001
	s_and_saveexec_b64 s[26:27], vcc
	s_cbranch_execz .LBB328_1054
; %bb.1053:                             ;   in Loop: Header=BB328_800 Depth=1
	v_and_b32_e32 v0, 7, v21
	v_ffbh_u32_e32 v0, v0
	v_min_u32_e32 v0, 32, v0
	v_lshrrev_b32_e32 v11, 3, v10
	v_cmp_gt_u32_e32 vcc, 8, v10
	v_subrev_u32_e32 v10, 28, v0
	v_sub_u32_e32 v0, 29, v0
	v_cndmask_b32_e32 v10, 0, v10, vcc
	v_cndmask_b32_e32 v0, v11, v0, vcc
	v_lshlrev_b64 v[10:11], v10, v[21:22]
	v_lshlrev_b32_e32 v11, 24, v21
	v_lshlrev_b32_e32 v10, 20, v10
	v_bfrev_b32_e32 v12, 60
	v_and_b32_e32 v10, 0x700000, v10
	v_and_b32_e32 v11, 0x80000000, v11
	v_lshl_add_u32 v0, v0, 23, v12
	v_or3_b32 v0, v11, v0, v10
.LBB328_1054:                           ;   in Loop: Header=BB328_800 Depth=1
	s_or_b64 exec, exec, s[26:27]
.LBB328_1055:                           ;   in Loop: Header=BB328_800 Depth=1
	s_or_b64 exec, exec, s[24:25]
.LBB328_1056:                           ;   in Loop: Header=BB328_800 Depth=1
	s_or_b64 exec, exec, s[22:23]
	v_lshrrev_b16_e32 v14, 8, v21
	v_cmp_ne_u16_e32 vcc, 0, v14
	s_and_saveexec_b64 s[22:23], vcc
	s_cbranch_execz .LBB328_1062
; %bb.1057:                             ;   in Loop: Header=BB328_800 Depth=1
	v_cmp_ne_u16_e32 vcc, s28, v14
	v_bfrev_b32_e32 v1, 1
	s_and_saveexec_b64 s[24:25], vcc
	s_cbranch_execz .LBB328_1061
; %bb.1058:                             ;   in Loop: Header=BB328_800 Depth=1
	v_and_b32_e32 v10, 0x7f, v14
	v_cmp_ne_u32_e32 vcc, s29, v10
	v_mov_b32_e32 v1, 0x7f800001
	s_and_saveexec_b64 s[26:27], vcc
	s_cbranch_execz .LBB328_1060
; %bb.1059:                             ;   in Loop: Header=BB328_800 Depth=1
	v_and_b32_e32 v1, 7, v14
	v_lshrrev_b32_e32 v12, 3, v10
	v_cmp_gt_u32_e32 vcc, 8, v10
	v_ffbh_u32_e32 v10, v1
	v_min_u32_e32 v13, 32, v10
	v_subrev_u32_e32 v10, 28, v13
	v_lshlrev_b64 v[10:11], v10, v[14:15]
	v_sub_u32_e32 v11, 29, v13
	v_and_b32_e32 v10, 7, v10
	v_cndmask_b32_e32 v11, v12, v11, vcc
	v_cndmask_b32_e32 v1, v1, v10, vcc
	v_lshlrev_b32_e32 v10, 16, v21
	v_bfrev_b32_e32 v12, 60
	v_lshlrev_b32_e32 v1, 20, v1
	v_and_b32_e32 v10, 0x80000000, v10
	v_lshl_add_u32 v11, v11, 23, v12
	v_or3_b32 v1, v10, v11, v1
.LBB328_1060:                           ;   in Loop: Header=BB328_800 Depth=1
	s_or_b64 exec, exec, s[26:27]
.LBB328_1061:                           ;   in Loop: Header=BB328_800 Depth=1
	s_or_b64 exec, exec, s[24:25]
.LBB328_1062:                           ;   in Loop: Header=BB328_800 Depth=1
	s_or_b64 exec, exec, s[22:23]
	v_lshrrev_b32_e32 v14, 16, v21
	v_cmp_ne_u16_sdwa s[24:25], v14, v15 src0_sel:BYTE_0 src1_sel:DWORD
	v_mov_b32_e32 v12, 0
	v_mov_b32_e32 v11, 0
	s_and_saveexec_b64 s[22:23], s[24:25]
	s_cbranch_execz .LBB328_1068
; %bb.1063:                             ;   in Loop: Header=BB328_800 Depth=1
	v_cmp_ne_u16_sdwa s[26:27], v14, s28 src0_sel:BYTE_0 src1_sel:DWORD
	v_bfrev_b32_e32 v11, 1
	s_and_saveexec_b64 s[24:25], s[26:27]
	s_cbranch_execz .LBB328_1067
; %bb.1064:                             ;   in Loop: Header=BB328_800 Depth=1
	v_bfe_u32 v10, v21, 16, 7
	v_cmp_ne_u32_e32 vcc, s29, v10
	v_mov_b32_e32 v11, 0x7f800001
	s_and_saveexec_b64 s[26:27], vcc
	s_cbranch_execz .LBB328_1066
; %bb.1065:                             ;   in Loop: Header=BB328_800 Depth=1
	v_and_b32_e32 v13, 7, v14
	v_lshrrev_b32_e32 v18, 3, v10
	v_cmp_gt_u32_e32 vcc, 8, v10
	v_ffbh_u32_e32 v10, v13
	v_min_u32_e32 v23, 32, v10
	v_subrev_u32_e32 v10, 28, v23
	v_lshlrev_b64 v[10:11], v10, v[14:15]
	v_sub_u32_e32 v11, 29, v23
	v_and_b32_e32 v10, 7, v10
	v_cndmask_b32_e32 v11, v18, v11, vcc
	v_cndmask_b32_e32 v10, v13, v10, vcc
	v_lshlrev_b32_e32 v13, 24, v14
	v_bfrev_b32_e32 v14, 60
	v_lshlrev_b32_e32 v10, 20, v10
	v_and_b32_e32 v13, 0x80000000, v13
	v_lshl_add_u32 v11, v11, 23, v14
	v_or3_b32 v11, v13, v11, v10
.LBB328_1066:                           ;   in Loop: Header=BB328_800 Depth=1
	s_or_b64 exec, exec, s[26:27]
.LBB328_1067:                           ;   in Loop: Header=BB328_800 Depth=1
	s_or_b64 exec, exec, s[24:25]
.LBB328_1068:                           ;   in Loop: Header=BB328_800 Depth=1
	s_or_b64 exec, exec, s[22:23]
	v_cmp_lt_u32_e32 vcc, s11, v21
	s_and_saveexec_b64 s[22:23], vcc
	s_cbranch_execz .LBB328_1074
; %bb.1069:                             ;   in Loop: Header=BB328_800 Depth=1
	v_lshrrev_b32_e32 v14, 24, v21
	v_cmp_ne_u32_e32 vcc, s28, v14
	v_bfrev_b32_e32 v12, 1
	s_and_saveexec_b64 s[24:25], vcc
	s_cbranch_execz .LBB328_1073
; %bb.1070:                             ;   in Loop: Header=BB328_800 Depth=1
	v_bfe_u32 v10, v21, 24, 7
	v_cmp_ne_u32_e32 vcc, s29, v10
	v_mov_b32_e32 v12, 0x7f800001
	s_and_saveexec_b64 s[26:27], vcc
	s_cbranch_execz .LBB328_1072
; %bb.1071:                             ;   in Loop: Header=BB328_800 Depth=1
	v_and_b32_e32 v18, 7, v14
	v_lshrrev_b32_e32 v23, 3, v10
	v_cmp_gt_u32_e32 vcc, 8, v10
	v_ffbh_u32_e32 v10, v18
	v_min_u32_e32 v10, 32, v10
	v_subrev_u32_e32 v12, 28, v10
	v_lshlrev_b64 v[12:13], v12, v[14:15]
	v_sub_u32_e32 v10, 29, v10
	v_and_b32_e32 v12, 7, v12
	v_cndmask_b32_e32 v10, v23, v10, vcc
	v_cndmask_b32_e32 v12, v18, v12, vcc
	v_lshlrev_b32_e32 v13, 24, v14
	v_bfrev_b32_e32 v14, 60
	v_lshlrev_b32_e32 v12, 20, v12
	v_and_b32_e32 v13, 0x80000000, v13
	v_lshl_add_u32 v10, v10, 23, v14
	v_or3_b32 v12, v13, v10, v12
.LBB328_1072:                           ;   in Loop: Header=BB328_800 Depth=1
	s_or_b64 exec, exec, s[26:27]
.LBB328_1073:                           ;   in Loop: Header=BB328_800 Depth=1
	s_or_b64 exec, exec, s[24:25]
.LBB328_1074:                           ;   in Loop: Header=BB328_800 Depth=1
	s_or_b64 exec, exec, s[22:23]
	v_mov_b32_e32 v14, v22
	v_cmp_ne_u16_sdwa s[24:25], v22, v15 src0_sel:BYTE_0 src1_sel:DWORD
	v_mov_b32_e32 v18, 0
	v_mov_b32_e32 v13, 0
	s_and_saveexec_b64 s[22:23], s[24:25]
	s_cbranch_execz .LBB328_1080
; %bb.1075:                             ;   in Loop: Header=BB328_800 Depth=1
	v_cmp_ne_u16_sdwa s[26:27], v22, s28 src0_sel:BYTE_0 src1_sel:DWORD
	v_bfrev_b32_e32 v13, 1
	s_and_saveexec_b64 s[24:25], s[26:27]
	s_cbranch_execz .LBB328_1079
; %bb.1076:                             ;   in Loop: Header=BB328_800 Depth=1
	v_and_b32_e32 v10, 0x7f, v22
	v_cmp_ne_u32_e32 vcc, s29, v10
	v_mov_b32_e32 v13, 0x7f800001
	s_and_saveexec_b64 s[26:27], vcc
	s_cbranch_execz .LBB328_1078
; %bb.1077:                             ;   in Loop: Header=BB328_800 Depth=1
	v_and_b32_e32 v13, 7, v22
	v_lshrrev_b32_e32 v23, 3, v10
	v_cmp_gt_u32_e32 vcc, 8, v10
	v_ffbh_u32_e32 v10, v13
	v_min_u32_e32 v10, 32, v10
	v_subrev_u32_e32 v13, 28, v10
	v_sub_u32_e32 v10, 29, v10
	v_cndmask_b32_e32 v13, 0, v13, vcc
	v_cndmask_b32_e32 v10, v23, v10, vcc
	v_lshlrev_b64 v[23:24], v13, v[14:15]
	v_bfrev_b32_e32 v24, 60
	v_lshlrev_b32_e32 v13, 20, v23
	v_lshlrev_b32_e32 v23, 24, v14
	v_and_b32_e32 v13, 0x700000, v13
	v_and_b32_e32 v23, 0x80000000, v23
	v_lshl_add_u32 v10, v10, 23, v24
	v_or3_b32 v13, v23, v10, v13
.LBB328_1078:                           ;   in Loop: Header=BB328_800 Depth=1
	s_or_b64 exec, exec, s[26:27]
.LBB328_1079:                           ;   in Loop: Header=BB328_800 Depth=1
	s_or_b64 exec, exec, s[24:25]
.LBB328_1080:                           ;   in Loop: Header=BB328_800 Depth=1
	s_or_b64 exec, exec, s[22:23]
	v_lshrrev_b16_e32 v23, 8, v14
	v_cmp_ne_u16_e32 vcc, 0, v23
	s_and_saveexec_b64 s[22:23], vcc
	s_cbranch_execz .LBB328_1086
; %bb.1081:                             ;   in Loop: Header=BB328_800 Depth=1
	v_cmp_ne_u16_e32 vcc, s28, v23
	v_bfrev_b32_e32 v18, 1
	s_and_saveexec_b64 s[24:25], vcc
	s_cbranch_execz .LBB328_1085
; %bb.1082:                             ;   in Loop: Header=BB328_800 Depth=1
	v_and_b32_e32 v10, 0x7f, v23
	v_cmp_ne_u32_e32 vcc, s29, v10
	v_mov_b32_e32 v18, 0x7f800001
	s_and_saveexec_b64 s[26:27], vcc
	s_cbranch_execz .LBB328_1084
; %bb.1083:                             ;   in Loop: Header=BB328_800 Depth=1
	v_and_b32_e32 v18, 7, v23
	v_lshrrev_b32_e32 v25, 3, v10
	v_cmp_gt_u32_e32 vcc, 8, v10
	v_ffbh_u32_e32 v10, v18
	v_min_u32_e32 v10, 32, v10
	v_subrev_u32_e32 v24, 28, v10
	v_lshlrev_b64 v[23:24], v24, v[23:24]
	v_sub_u32_e32 v10, 29, v10
	v_and_b32_e32 v23, 7, v23
	v_cndmask_b32_e32 v10, v25, v10, vcc
	v_cndmask_b32_e32 v18, v18, v23, vcc
	v_lshlrev_b32_e32 v14, 16, v14
	v_bfrev_b32_e32 v23, 60
	v_lshlrev_b32_e32 v18, 20, v18
	v_and_b32_e32 v14, 0x80000000, v14
	v_lshl_add_u32 v10, v10, 23, v23
	v_or3_b32 v18, v14, v10, v18
.LBB328_1084:                           ;   in Loop: Header=BB328_800 Depth=1
	s_or_b64 exec, exec, s[26:27]
.LBB328_1085:                           ;   in Loop: Header=BB328_800 Depth=1
	s_or_b64 exec, exec, s[24:25]
.LBB328_1086:                           ;   in Loop: Header=BB328_800 Depth=1
	s_or_b64 exec, exec, s[22:23]
	v_lshrrev_b32_e32 v14, 16, v22
	v_cmp_ne_u16_sdwa s[24:25], v14, v15 src0_sel:BYTE_0 src1_sel:DWORD
	v_mov_b32_e32 v23, 0
	v_mov_b32_e32 v10, 0
	s_and_saveexec_b64 s[22:23], s[24:25]
	s_cbranch_execz .LBB328_1092
; %bb.1087:                             ;   in Loop: Header=BB328_800 Depth=1
	v_cmp_ne_u16_sdwa s[26:27], v14, s28 src0_sel:BYTE_0 src1_sel:DWORD
	v_bfrev_b32_e32 v10, 1
	s_and_saveexec_b64 s[24:25], s[26:27]
	s_cbranch_execz .LBB328_1091
; %bb.1088:                             ;   in Loop: Header=BB328_800 Depth=1
	v_bfe_u32 v24, v22, 16, 7
	v_cmp_ne_u32_e32 vcc, s29, v24
	v_mov_b32_e32 v10, 0x7f800001
	s_and_saveexec_b64 s[26:27], vcc
	s_cbranch_execz .LBB328_1090
; %bb.1089:                             ;   in Loop: Header=BB328_800 Depth=1
	v_and_b32_e32 v10, 7, v14
	v_lshrrev_b32_e32 v26, 3, v24
	v_cmp_gt_u32_e32 vcc, 8, v24
	v_ffbh_u32_e32 v24, v10
	v_min_u32_e32 v27, 32, v24
	v_subrev_u32_e32 v24, 28, v27
	v_lshlrev_b64 v[24:25], v24, v[14:15]
	v_sub_u32_e32 v25, 29, v27
	v_and_b32_e32 v24, 7, v24
	v_cndmask_b32_e32 v25, v26, v25, vcc
	v_cndmask_b32_e32 v10, v10, v24, vcc
	v_lshlrev_b32_e32 v14, 24, v14
	v_bfrev_b32_e32 v24, 60
	v_lshlrev_b32_e32 v10, 20, v10
	v_and_b32_e32 v14, 0x80000000, v14
	v_lshl_add_u32 v24, v25, 23, v24
	v_or3_b32 v10, v14, v24, v10
.LBB328_1090:                           ;   in Loop: Header=BB328_800 Depth=1
	s_or_b64 exec, exec, s[26:27]
.LBB328_1091:                           ;   in Loop: Header=BB328_800 Depth=1
	s_or_b64 exec, exec, s[24:25]
.LBB328_1092:                           ;   in Loop: Header=BB328_800 Depth=1
	s_or_b64 exec, exec, s[22:23]
	v_cmp_lt_u64_e32 vcc, s[10:11], v[21:22]
	s_and_saveexec_b64 s[22:23], vcc
	s_cbranch_execz .LBB328_1098
; %bb.1093:                             ;   in Loop: Header=BB328_800 Depth=1
	v_lshrrev_b32_e32 v14, 24, v22
	v_cmp_ne_u32_e32 vcc, s28, v14
	v_bfrev_b32_e32 v23, 1
	s_and_saveexec_b64 s[24:25], vcc
	s_cbranch_execz .LBB328_1097
; %bb.1094:                             ;   in Loop: Header=BB328_800 Depth=1
	v_bfe_u32 v21, v22, 24, 7
	v_cmp_ne_u32_e32 vcc, s29, v21
	v_mov_b32_e32 v23, 0x7f800001
	s_and_saveexec_b64 s[26:27], vcc
	s_cbranch_execz .LBB328_1096
; %bb.1095:                             ;   in Loop: Header=BB328_800 Depth=1
	v_and_b32_e32 v23, 7, v14
	v_lshrrev_b32_e32 v24, 3, v21
	v_cmp_gt_u32_e32 vcc, 8, v21
	v_ffbh_u32_e32 v21, v23
	v_min_u32_e32 v25, 32, v21
	v_subrev_u32_e32 v21, 28, v25
	v_lshlrev_b64 v[21:22], v21, v[14:15]
	v_sub_u32_e32 v22, 29, v25
	v_and_b32_e32 v21, 7, v21
	v_cndmask_b32_e32 v22, v24, v22, vcc
	v_cndmask_b32_e32 v21, v23, v21, vcc
	v_lshlrev_b32_e32 v14, 24, v14
	v_bfrev_b32_e32 v23, 60
	v_lshlrev_b32_e32 v21, 20, v21
	v_and_b32_e32 v14, 0x80000000, v14
	v_lshl_add_u32 v22, v22, 23, v23
	v_or3_b32 v23, v14, v22, v21
.LBB328_1096:                           ;   in Loop: Header=BB328_800 Depth=1
	s_or_b64 exec, exec, s[26:27]
.LBB328_1097:                           ;   in Loop: Header=BB328_800 Depth=1
	s_or_b64 exec, exec, s[24:25]
.LBB328_1098:                           ;   in Loop: Header=BB328_800 Depth=1
	s_or_b64 exec, exec, s[22:23]
	v_mul_f32_e32 v14, v40, v18
	v_bfe_u32 v18, v14, 16, 1
	v_add3_u32 v18, v18, v14, s40
	v_or_b32_e32 v21, 0x400000, v14
	v_cmp_u_f32_e32 vcc, v14, v14
	v_cndmask_b32_e32 v14, v18, v21, vcc
	v_lshrrev_b32_e32 v14, 16, v14
	v_mul_f32_e32 v13, v40, v13
	buffer_store_dword v14, off, s[0:3], s32 offset:236 ; 4-byte Folded Spill
	v_bfe_u32 v14, v13, 16, 1
	v_add3_u32 v14, v14, v13, s40
	v_or_b32_e32 v18, 0x400000, v13
	v_cmp_u_f32_e32 vcc, v13, v13
	v_cndmask_b32_e32 v13, v14, v18, vcc
	v_lshrrev_b32_e32 v13, 16, v13
	v_mul_f32_e32 v12, v40, v12
	buffer_store_dword v13, off, s[0:3], s32 offset:232 ; 4-byte Folded Spill
	;; [unrolled: 8-line block ×5, first 2 shown]
	v_bfe_u32 v1, v0, 16, 1
	v_add3_u32 v1, v1, v0, s40
	v_or_b32_e32 v11, 0x400000, v0
	v_cmp_u_f32_e32 vcc, v0, v0
	v_cndmask_b32_e32 v0, v1, v11, vcc
	v_lshrrev_b32_e32 v0, 16, v0
	buffer_store_dword v0, off, s[0:3], s32 offset:256 ; 4-byte Folded Spill
	v_mul_f32_e32 v0, v40, v10
	v_bfe_u32 v1, v0, 16, 1
	v_add3_u32 v1, v1, v0, s40
	v_or_b32_e32 v10, 0x400000, v0
	v_cmp_u_f32_e32 vcc, v0, v0
	v_cndmask_b32_e32 v0, v1, v10, vcc
	v_lshrrev_b32_e32 v0, 16, v0
	buffer_store_dword v0, off, s[0:3], s32 offset:240 ; 4-byte Folded Spill
	v_mul_f32_e32 v0, v40, v23
	v_bfe_u32 v1, v0, 16, 1
	v_add3_u32 v1, v1, v0, s40
	v_or_b32_e32 v10, 0x400000, v0
	v_cmp_u_f32_e32 vcc, v0, v0
	v_cndmask_b32_e32 v0, v1, v10, vcc
	v_lshrrev_b32_e32 v0, 16, v0
	buffer_store_dword v0, off, s[0:3], s32 offset:252 ; 4-byte Folded Spill
	s_and_saveexec_b64 s[22:23], s[6:7]
	s_cbranch_execz .LBB328_1100
; %bb.1099:                             ;   in Loop: Header=BB328_800 Depth=1
	buffer_load_dword v0, off, s[0:3], s32 offset:68 ; 4-byte Folded Reload
	buffer_load_dword v1, off, s[0:3], s32 offset:256 ; 4-byte Folded Reload
	s_waitcnt vmcnt(1)
	v_cmp_lt_i32_e32 vcc, v63, v0
	s_waitcnt vmcnt(0)
	v_cndmask_b32_e32 v1, 0, v1, vcc
	buffer_store_dword v1, off, s[0:3], s32 offset:256 ; 4-byte Folded Spill
	v_add_u32_e32 v1, -6, v49
	v_cmp_lt_i32_e32 vcc, v1, v0
	buffer_load_dword v1, off, s[0:3], s32 offset:260 ; 4-byte Folded Reload
	s_waitcnt vmcnt(0)
	v_cndmask_b32_e32 v1, 0, v1, vcc
	buffer_store_dword v1, off, s[0:3], s32 offset:260 ; 4-byte Folded Spill
	v_add_u32_e32 v1, -5, v49
	v_cmp_lt_i32_e32 vcc, v1, v0
	buffer_load_dword v1, off, s[0:3], s32 offset:244 ; 4-byte Folded Reload
	s_waitcnt vmcnt(0)
	v_cndmask_b32_e32 v1, 0, v1, vcc
	buffer_store_dword v1, off, s[0:3], s32 offset:244 ; 4-byte Folded Spill
	v_add_u32_e32 v1, -4, v49
	v_cmp_lt_i32_e32 vcc, v1, v0
	buffer_load_dword v1, off, s[0:3], s32 offset:248 ; 4-byte Folded Reload
	s_waitcnt vmcnt(0)
	v_cndmask_b32_e32 v1, 0, v1, vcc
	buffer_store_dword v1, off, s[0:3], s32 offset:248 ; 4-byte Folded Spill
	v_add_u32_e32 v1, -3, v49
	v_cmp_lt_i32_e32 vcc, v1, v0
	buffer_load_dword v1, off, s[0:3], s32 offset:232 ; 4-byte Folded Reload
	s_waitcnt vmcnt(0)
	v_cndmask_b32_e32 v1, 0, v1, vcc
	buffer_store_dword v1, off, s[0:3], s32 offset:232 ; 4-byte Folded Spill
	v_add_u32_e32 v1, -2, v49
	v_cmp_lt_i32_e32 vcc, v1, v0
	buffer_load_dword v1, off, s[0:3], s32 offset:236 ; 4-byte Folded Reload
	s_waitcnt vmcnt(0)
	v_cndmask_b32_e32 v1, 0, v1, vcc
	buffer_store_dword v1, off, s[0:3], s32 offset:236 ; 4-byte Folded Spill
	v_add_u32_e32 v1, -1, v49
	v_cmp_lt_i32_e32 vcc, v1, v0
	buffer_load_dword v1, off, s[0:3], s32 offset:240 ; 4-byte Folded Reload
	s_waitcnt vmcnt(0)
	v_cndmask_b32_e32 v1, 0, v1, vcc
	v_cmp_lt_i32_e32 vcc, v49, v0
	buffer_load_dword v0, off, s[0:3], s32 offset:252 ; 4-byte Folded Reload
	s_waitcnt vmcnt(0)
	v_cndmask_b32_e32 v0, 0, v0, vcc
	buffer_store_dword v1, off, s[0:3], s32 offset:240 ; 4-byte Folded Spill
	buffer_store_dword v0, off, s[0:3], s32 offset:252 ; 4-byte Folded Spill
.LBB328_1100:                           ;   in Loop: Header=BB328_800 Depth=1
	s_or_b64 exec, exec, s[22:23]
	flat_load_dwordx2 v[21:22], v[19:20] offset:3072
	v_mov_b32_e32 v1, 0
	v_mov_b32_e32 v0, 0
	s_waitcnt vmcnt(0) lgkmcnt(0)
	v_cmp_ne_u16_sdwa s[24:25], v21, v15 src0_sel:BYTE_0 src1_sel:DWORD
	s_and_saveexec_b64 s[22:23], s[24:25]
	s_cbranch_execz .LBB328_1106
; %bb.1101:                             ;   in Loop: Header=BB328_800 Depth=1
	v_cmp_ne_u16_sdwa s[26:27], v21, s28 src0_sel:BYTE_0 src1_sel:DWORD
	v_bfrev_b32_e32 v0, 1
	s_and_saveexec_b64 s[24:25], s[26:27]
	s_cbranch_execz .LBB328_1105
; %bb.1102:                             ;   in Loop: Header=BB328_800 Depth=1
	v_and_b32_e32 v10, 0x7f, v21
	v_cmp_ne_u32_e32 vcc, s29, v10
	v_mov_b32_e32 v0, 0x7f800001
	s_and_saveexec_b64 s[26:27], vcc
	s_cbranch_execz .LBB328_1104
; %bb.1103:                             ;   in Loop: Header=BB328_800 Depth=1
	v_and_b32_e32 v0, 7, v21
	v_ffbh_u32_e32 v0, v0
	v_min_u32_e32 v0, 32, v0
	v_lshrrev_b32_e32 v11, 3, v10
	v_cmp_gt_u32_e32 vcc, 8, v10
	v_subrev_u32_e32 v10, 28, v0
	v_sub_u32_e32 v0, 29, v0
	v_cndmask_b32_e32 v10, 0, v10, vcc
	v_cndmask_b32_e32 v0, v11, v0, vcc
	v_lshlrev_b64 v[10:11], v10, v[21:22]
	v_lshlrev_b32_e32 v11, 24, v21
	v_lshlrev_b32_e32 v10, 20, v10
	v_bfrev_b32_e32 v12, 60
	v_and_b32_e32 v10, 0x700000, v10
	v_and_b32_e32 v11, 0x80000000, v11
	v_lshl_add_u32 v0, v0, 23, v12
	v_or3_b32 v0, v11, v0, v10
.LBB328_1104:                           ;   in Loop: Header=BB328_800 Depth=1
	s_or_b64 exec, exec, s[26:27]
.LBB328_1105:                           ;   in Loop: Header=BB328_800 Depth=1
	s_or_b64 exec, exec, s[24:25]
.LBB328_1106:                           ;   in Loop: Header=BB328_800 Depth=1
	s_or_b64 exec, exec, s[22:23]
	v_lshrrev_b16_e32 v14, 8, v21
	v_cmp_ne_u16_e32 vcc, 0, v14
	s_and_saveexec_b64 s[22:23], vcc
	s_cbranch_execz .LBB328_1112
; %bb.1107:                             ;   in Loop: Header=BB328_800 Depth=1
	v_cmp_ne_u16_e32 vcc, s28, v14
	v_bfrev_b32_e32 v1, 1
	s_and_saveexec_b64 s[24:25], vcc
	s_cbranch_execz .LBB328_1111
; %bb.1108:                             ;   in Loop: Header=BB328_800 Depth=1
	v_and_b32_e32 v10, 0x7f, v14
	v_cmp_ne_u32_e32 vcc, s29, v10
	v_mov_b32_e32 v1, 0x7f800001
	s_and_saveexec_b64 s[26:27], vcc
	s_cbranch_execz .LBB328_1110
; %bb.1109:                             ;   in Loop: Header=BB328_800 Depth=1
	v_and_b32_e32 v1, 7, v14
	v_lshrrev_b32_e32 v12, 3, v10
	v_cmp_gt_u32_e32 vcc, 8, v10
	v_ffbh_u32_e32 v10, v1
	v_min_u32_e32 v13, 32, v10
	v_subrev_u32_e32 v10, 28, v13
	v_lshlrev_b64 v[10:11], v10, v[14:15]
	v_sub_u32_e32 v11, 29, v13
	v_and_b32_e32 v10, 7, v10
	v_cndmask_b32_e32 v11, v12, v11, vcc
	v_cndmask_b32_e32 v1, v1, v10, vcc
	v_lshlrev_b32_e32 v10, 16, v21
	v_bfrev_b32_e32 v12, 60
	v_lshlrev_b32_e32 v1, 20, v1
	v_and_b32_e32 v10, 0x80000000, v10
	v_lshl_add_u32 v11, v11, 23, v12
	v_or3_b32 v1, v10, v11, v1
.LBB328_1110:                           ;   in Loop: Header=BB328_800 Depth=1
	s_or_b64 exec, exec, s[26:27]
.LBB328_1111:                           ;   in Loop: Header=BB328_800 Depth=1
	s_or_b64 exec, exec, s[24:25]
.LBB328_1112:                           ;   in Loop: Header=BB328_800 Depth=1
	s_or_b64 exec, exec, s[22:23]
	v_lshrrev_b32_e32 v14, 16, v21
	v_cmp_ne_u16_sdwa s[24:25], v14, v15 src0_sel:BYTE_0 src1_sel:DWORD
	v_mov_b32_e32 v12, 0
	v_mov_b32_e32 v11, 0
	s_and_saveexec_b64 s[22:23], s[24:25]
	s_cbranch_execz .LBB328_1118
; %bb.1113:                             ;   in Loop: Header=BB328_800 Depth=1
	v_cmp_ne_u16_sdwa s[26:27], v14, s28 src0_sel:BYTE_0 src1_sel:DWORD
	v_bfrev_b32_e32 v11, 1
	s_and_saveexec_b64 s[24:25], s[26:27]
	s_cbranch_execz .LBB328_1117
; %bb.1114:                             ;   in Loop: Header=BB328_800 Depth=1
	v_bfe_u32 v10, v21, 16, 7
	v_cmp_ne_u32_e32 vcc, s29, v10
	v_mov_b32_e32 v11, 0x7f800001
	s_and_saveexec_b64 s[26:27], vcc
	s_cbranch_execz .LBB328_1116
; %bb.1115:                             ;   in Loop: Header=BB328_800 Depth=1
	v_and_b32_e32 v13, 7, v14
	v_lshrrev_b32_e32 v18, 3, v10
	v_cmp_gt_u32_e32 vcc, 8, v10
	v_ffbh_u32_e32 v10, v13
	v_min_u32_e32 v23, 32, v10
	v_subrev_u32_e32 v10, 28, v23
	v_lshlrev_b64 v[10:11], v10, v[14:15]
	v_sub_u32_e32 v11, 29, v23
	v_and_b32_e32 v10, 7, v10
	v_cndmask_b32_e32 v11, v18, v11, vcc
	v_cndmask_b32_e32 v10, v13, v10, vcc
	v_lshlrev_b32_e32 v13, 24, v14
	v_bfrev_b32_e32 v14, 60
	v_lshlrev_b32_e32 v10, 20, v10
	v_and_b32_e32 v13, 0x80000000, v13
	v_lshl_add_u32 v11, v11, 23, v14
	v_or3_b32 v11, v13, v11, v10
.LBB328_1116:                           ;   in Loop: Header=BB328_800 Depth=1
	s_or_b64 exec, exec, s[26:27]
.LBB328_1117:                           ;   in Loop: Header=BB328_800 Depth=1
	s_or_b64 exec, exec, s[24:25]
.LBB328_1118:                           ;   in Loop: Header=BB328_800 Depth=1
	s_or_b64 exec, exec, s[22:23]
	v_cmp_lt_u32_e32 vcc, s11, v21
	s_and_saveexec_b64 s[22:23], vcc
	s_cbranch_execz .LBB328_1124
; %bb.1119:                             ;   in Loop: Header=BB328_800 Depth=1
	v_lshrrev_b32_e32 v14, 24, v21
	v_cmp_ne_u32_e32 vcc, s28, v14
	v_bfrev_b32_e32 v12, 1
	s_and_saveexec_b64 s[24:25], vcc
	s_cbranch_execz .LBB328_1123
; %bb.1120:                             ;   in Loop: Header=BB328_800 Depth=1
	v_bfe_u32 v10, v21, 24, 7
	v_cmp_ne_u32_e32 vcc, s29, v10
	v_mov_b32_e32 v12, 0x7f800001
	s_and_saveexec_b64 s[26:27], vcc
	s_cbranch_execz .LBB328_1122
; %bb.1121:                             ;   in Loop: Header=BB328_800 Depth=1
	v_and_b32_e32 v18, 7, v14
	v_lshrrev_b32_e32 v23, 3, v10
	v_cmp_gt_u32_e32 vcc, 8, v10
	v_ffbh_u32_e32 v10, v18
	v_min_u32_e32 v10, 32, v10
	v_subrev_u32_e32 v12, 28, v10
	v_lshlrev_b64 v[12:13], v12, v[14:15]
	v_sub_u32_e32 v10, 29, v10
	v_and_b32_e32 v12, 7, v12
	v_cndmask_b32_e32 v10, v23, v10, vcc
	v_cndmask_b32_e32 v12, v18, v12, vcc
	v_lshlrev_b32_e32 v13, 24, v14
	v_bfrev_b32_e32 v14, 60
	v_lshlrev_b32_e32 v12, 20, v12
	v_and_b32_e32 v13, 0x80000000, v13
	v_lshl_add_u32 v10, v10, 23, v14
	v_or3_b32 v12, v13, v10, v12
.LBB328_1122:                           ;   in Loop: Header=BB328_800 Depth=1
	s_or_b64 exec, exec, s[26:27]
.LBB328_1123:                           ;   in Loop: Header=BB328_800 Depth=1
	s_or_b64 exec, exec, s[24:25]
.LBB328_1124:                           ;   in Loop: Header=BB328_800 Depth=1
	s_or_b64 exec, exec, s[22:23]
	v_mov_b32_e32 v14, v22
	v_cmp_ne_u16_sdwa s[24:25], v22, v15 src0_sel:BYTE_0 src1_sel:DWORD
	v_mov_b32_e32 v18, 0
	v_mov_b32_e32 v13, 0
	s_and_saveexec_b64 s[22:23], s[24:25]
	s_cbranch_execz .LBB328_1130
; %bb.1125:                             ;   in Loop: Header=BB328_800 Depth=1
	v_cmp_ne_u16_sdwa s[26:27], v22, s28 src0_sel:BYTE_0 src1_sel:DWORD
	v_bfrev_b32_e32 v13, 1
	s_and_saveexec_b64 s[24:25], s[26:27]
	s_cbranch_execz .LBB328_1129
; %bb.1126:                             ;   in Loop: Header=BB328_800 Depth=1
	v_and_b32_e32 v10, 0x7f, v22
	v_cmp_ne_u32_e32 vcc, s29, v10
	v_mov_b32_e32 v13, 0x7f800001
	s_and_saveexec_b64 s[26:27], vcc
	s_cbranch_execz .LBB328_1128
; %bb.1127:                             ;   in Loop: Header=BB328_800 Depth=1
	v_and_b32_e32 v13, 7, v22
	v_lshrrev_b32_e32 v23, 3, v10
	v_cmp_gt_u32_e32 vcc, 8, v10
	v_ffbh_u32_e32 v10, v13
	v_min_u32_e32 v10, 32, v10
	v_subrev_u32_e32 v13, 28, v10
	v_sub_u32_e32 v10, 29, v10
	v_cndmask_b32_e32 v13, 0, v13, vcc
	v_cndmask_b32_e32 v10, v23, v10, vcc
	v_lshlrev_b64 v[23:24], v13, v[14:15]
	v_bfrev_b32_e32 v24, 60
	v_lshlrev_b32_e32 v13, 20, v23
	v_lshlrev_b32_e32 v23, 24, v14
	v_and_b32_e32 v13, 0x700000, v13
	v_and_b32_e32 v23, 0x80000000, v23
	v_lshl_add_u32 v10, v10, 23, v24
	v_or3_b32 v13, v23, v10, v13
.LBB328_1128:                           ;   in Loop: Header=BB328_800 Depth=1
	s_or_b64 exec, exec, s[26:27]
.LBB328_1129:                           ;   in Loop: Header=BB328_800 Depth=1
	s_or_b64 exec, exec, s[24:25]
.LBB328_1130:                           ;   in Loop: Header=BB328_800 Depth=1
	s_or_b64 exec, exec, s[22:23]
	v_lshrrev_b16_e32 v23, 8, v14
	v_cmp_ne_u16_e32 vcc, 0, v23
	s_and_saveexec_b64 s[22:23], vcc
	s_cbranch_execz .LBB328_1136
; %bb.1131:                             ;   in Loop: Header=BB328_800 Depth=1
	v_cmp_ne_u16_e32 vcc, s28, v23
	v_bfrev_b32_e32 v18, 1
	s_and_saveexec_b64 s[24:25], vcc
	s_cbranch_execz .LBB328_1135
; %bb.1132:                             ;   in Loop: Header=BB328_800 Depth=1
	v_and_b32_e32 v10, 0x7f, v23
	v_cmp_ne_u32_e32 vcc, s29, v10
	v_mov_b32_e32 v18, 0x7f800001
	s_and_saveexec_b64 s[26:27], vcc
	s_cbranch_execz .LBB328_1134
; %bb.1133:                             ;   in Loop: Header=BB328_800 Depth=1
	v_and_b32_e32 v18, 7, v23
	v_lshrrev_b32_e32 v25, 3, v10
	v_cmp_gt_u32_e32 vcc, 8, v10
	v_ffbh_u32_e32 v10, v18
	v_min_u32_e32 v10, 32, v10
	v_subrev_u32_e32 v24, 28, v10
	v_lshlrev_b64 v[23:24], v24, v[23:24]
	v_sub_u32_e32 v10, 29, v10
	v_and_b32_e32 v23, 7, v23
	v_cndmask_b32_e32 v10, v25, v10, vcc
	v_cndmask_b32_e32 v18, v18, v23, vcc
	v_lshlrev_b32_e32 v14, 16, v14
	v_bfrev_b32_e32 v23, 60
	v_lshlrev_b32_e32 v18, 20, v18
	v_and_b32_e32 v14, 0x80000000, v14
	v_lshl_add_u32 v10, v10, 23, v23
	v_or3_b32 v18, v14, v10, v18
.LBB328_1134:                           ;   in Loop: Header=BB328_800 Depth=1
	s_or_b64 exec, exec, s[26:27]
.LBB328_1135:                           ;   in Loop: Header=BB328_800 Depth=1
	s_or_b64 exec, exec, s[24:25]
.LBB328_1136:                           ;   in Loop: Header=BB328_800 Depth=1
	s_or_b64 exec, exec, s[22:23]
	v_lshrrev_b32_e32 v14, 16, v22
	v_cmp_ne_u16_sdwa s[24:25], v14, v15 src0_sel:BYTE_0 src1_sel:DWORD
	v_mov_b32_e32 v23, 0
	v_mov_b32_e32 v10, 0
	s_and_saveexec_b64 s[22:23], s[24:25]
	s_cbranch_execz .LBB328_1142
; %bb.1137:                             ;   in Loop: Header=BB328_800 Depth=1
	v_cmp_ne_u16_sdwa s[26:27], v14, s28 src0_sel:BYTE_0 src1_sel:DWORD
	v_bfrev_b32_e32 v10, 1
	s_and_saveexec_b64 s[24:25], s[26:27]
	s_cbranch_execz .LBB328_1141
; %bb.1138:                             ;   in Loop: Header=BB328_800 Depth=1
	v_bfe_u32 v24, v22, 16, 7
	v_cmp_ne_u32_e32 vcc, s29, v24
	v_mov_b32_e32 v10, 0x7f800001
	s_and_saveexec_b64 s[26:27], vcc
	s_cbranch_execz .LBB328_1140
; %bb.1139:                             ;   in Loop: Header=BB328_800 Depth=1
	v_and_b32_e32 v10, 7, v14
	v_lshrrev_b32_e32 v26, 3, v24
	v_cmp_gt_u32_e32 vcc, 8, v24
	v_ffbh_u32_e32 v24, v10
	v_min_u32_e32 v27, 32, v24
	v_subrev_u32_e32 v24, 28, v27
	v_lshlrev_b64 v[24:25], v24, v[14:15]
	v_sub_u32_e32 v25, 29, v27
	v_and_b32_e32 v24, 7, v24
	v_cndmask_b32_e32 v25, v26, v25, vcc
	v_cndmask_b32_e32 v10, v10, v24, vcc
	v_lshlrev_b32_e32 v14, 24, v14
	v_bfrev_b32_e32 v24, 60
	v_lshlrev_b32_e32 v10, 20, v10
	v_and_b32_e32 v14, 0x80000000, v14
	v_lshl_add_u32 v24, v25, 23, v24
	v_or3_b32 v10, v14, v24, v10
.LBB328_1140:                           ;   in Loop: Header=BB328_800 Depth=1
	s_or_b64 exec, exec, s[26:27]
.LBB328_1141:                           ;   in Loop: Header=BB328_800 Depth=1
	s_or_b64 exec, exec, s[24:25]
.LBB328_1142:                           ;   in Loop: Header=BB328_800 Depth=1
	s_or_b64 exec, exec, s[22:23]
	v_cmp_lt_u64_e32 vcc, s[10:11], v[21:22]
	s_and_saveexec_b64 s[22:23], vcc
	s_cbranch_execz .LBB328_1148
; %bb.1143:                             ;   in Loop: Header=BB328_800 Depth=1
	v_lshrrev_b32_e32 v14, 24, v22
	v_cmp_ne_u32_e32 vcc, s28, v14
	v_bfrev_b32_e32 v23, 1
	s_and_saveexec_b64 s[24:25], vcc
	s_cbranch_execz .LBB328_1147
; %bb.1144:                             ;   in Loop: Header=BB328_800 Depth=1
	v_bfe_u32 v21, v22, 24, 7
	v_cmp_ne_u32_e32 vcc, s29, v21
	v_mov_b32_e32 v23, 0x7f800001
	s_and_saveexec_b64 s[26:27], vcc
	s_cbranch_execz .LBB328_1146
; %bb.1145:                             ;   in Loop: Header=BB328_800 Depth=1
	v_and_b32_e32 v23, 7, v14
	v_lshrrev_b32_e32 v24, 3, v21
	v_cmp_gt_u32_e32 vcc, 8, v21
	v_ffbh_u32_e32 v21, v23
	v_min_u32_e32 v25, 32, v21
	v_subrev_u32_e32 v21, 28, v25
	v_lshlrev_b64 v[21:22], v21, v[14:15]
	v_sub_u32_e32 v22, 29, v25
	v_and_b32_e32 v21, 7, v21
	v_cndmask_b32_e32 v22, v24, v22, vcc
	v_cndmask_b32_e32 v21, v23, v21, vcc
	v_lshlrev_b32_e32 v14, 24, v14
	v_bfrev_b32_e32 v23, 60
	v_lshlrev_b32_e32 v21, 20, v21
	v_and_b32_e32 v14, 0x80000000, v14
	v_lshl_add_u32 v22, v22, 23, v23
	v_or3_b32 v23, v14, v22, v21
.LBB328_1146:                           ;   in Loop: Header=BB328_800 Depth=1
	s_or_b64 exec, exec, s[26:27]
.LBB328_1147:                           ;   in Loop: Header=BB328_800 Depth=1
	s_or_b64 exec, exec, s[24:25]
.LBB328_1148:                           ;   in Loop: Header=BB328_800 Depth=1
	s_or_b64 exec, exec, s[22:23]
	v_mul_f32_e32 v14, v40, v18
	v_bfe_u32 v18, v14, 16, 1
	v_add3_u32 v18, v18, v14, s40
	v_or_b32_e32 v21, 0x400000, v14
	v_cmp_u_f32_e32 vcc, v14, v14
	v_cndmask_b32_e32 v14, v18, v21, vcc
	v_lshrrev_b32_e32 v14, 16, v14
	v_mul_f32_e32 v13, v40, v13
	buffer_store_dword v14, off, s[0:3], s32 offset:268 ; 4-byte Folded Spill
	v_bfe_u32 v14, v13, 16, 1
	v_add3_u32 v14, v14, v13, s40
	v_or_b32_e32 v18, 0x400000, v13
	v_cmp_u_f32_e32 vcc, v13, v13
	v_cndmask_b32_e32 v13, v14, v18, vcc
	v_lshrrev_b32_e32 v13, 16, v13
	v_mul_f32_e32 v12, v40, v12
	buffer_store_dword v13, off, s[0:3], s32 offset:264 ; 4-byte Folded Spill
	;; [unrolled: 8-line block ×5, first 2 shown]
	v_bfe_u32 v1, v0, 16, 1
	v_add3_u32 v1, v1, v0, s40
	v_or_b32_e32 v11, 0x400000, v0
	v_cmp_u_f32_e32 vcc, v0, v0
	v_cndmask_b32_e32 v0, v1, v11, vcc
	v_lshrrev_b32_e32 v0, 16, v0
	buffer_store_dword v0, off, s[0:3], s32 offset:288 ; 4-byte Folded Spill
	v_mul_f32_e32 v0, v40, v10
	v_bfe_u32 v1, v0, 16, 1
	v_add3_u32 v1, v1, v0, s40
	v_or_b32_e32 v10, 0x400000, v0
	v_cmp_u_f32_e32 vcc, v0, v0
	v_cndmask_b32_e32 v0, v1, v10, vcc
	v_lshrrev_b32_e32 v0, 16, v0
	buffer_store_dword v0, off, s[0:3], s32 offset:272 ; 4-byte Folded Spill
	v_mul_f32_e32 v0, v40, v23
	v_bfe_u32 v1, v0, 16, 1
	v_add3_u32 v1, v1, v0, s40
	v_or_b32_e32 v10, 0x400000, v0
	v_cmp_u_f32_e32 vcc, v0, v0
	v_cndmask_b32_e32 v0, v1, v10, vcc
	v_lshrrev_b32_e32 v0, 16, v0
	buffer_store_dword v0, off, s[0:3], s32 offset:284 ; 4-byte Folded Spill
	s_and_saveexec_b64 s[22:23], s[6:7]
	s_cbranch_execz .LBB328_1150
; %bb.1149:                             ;   in Loop: Header=BB328_800 Depth=1
	buffer_load_dword v0, off, s[0:3], s32 offset:68 ; 4-byte Folded Reload
	buffer_load_dword v1, off, s[0:3], s32 offset:288 ; 4-byte Folded Reload
	s_waitcnt vmcnt(1)
	v_cmp_lt_i32_e32 vcc, v63, v0
	s_waitcnt vmcnt(0)
	v_cndmask_b32_e32 v1, 0, v1, vcc
	buffer_store_dword v1, off, s[0:3], s32 offset:288 ; 4-byte Folded Spill
	v_add_u32_e32 v1, -6, v49
	v_cmp_lt_i32_e32 vcc, v1, v0
	buffer_load_dword v1, off, s[0:3], s32 offset:292 ; 4-byte Folded Reload
	s_waitcnt vmcnt(0)
	v_cndmask_b32_e32 v1, 0, v1, vcc
	buffer_store_dword v1, off, s[0:3], s32 offset:292 ; 4-byte Folded Spill
	v_add_u32_e32 v1, -5, v49
	v_cmp_lt_i32_e32 vcc, v1, v0
	buffer_load_dword v1, off, s[0:3], s32 offset:276 ; 4-byte Folded Reload
	;; [unrolled: 6-line block ×6, first 2 shown]
	s_waitcnt vmcnt(0)
	v_cndmask_b32_e32 v1, 0, v1, vcc
	v_cmp_lt_i32_e32 vcc, v49, v0
	buffer_load_dword v0, off, s[0:3], s32 offset:284 ; 4-byte Folded Reload
	s_waitcnt vmcnt(0)
	v_cndmask_b32_e32 v0, 0, v0, vcc
	buffer_store_dword v1, off, s[0:3], s32 offset:272 ; 4-byte Folded Spill
	buffer_store_dword v0, off, s[0:3], s32 offset:284 ; 4-byte Folded Spill
.LBB328_1150:                           ;   in Loop: Header=BB328_800 Depth=1
	s_or_b64 exec, exec, s[22:23]
	flat_load_dwordx2 v[21:22], v[19:20] offset:3584
	v_mov_b32_e32 v1, 0
	v_mov_b32_e32 v0, 0
	s_waitcnt vmcnt(0) lgkmcnt(0)
	v_cmp_ne_u16_sdwa s[24:25], v21, v15 src0_sel:BYTE_0 src1_sel:DWORD
	s_and_saveexec_b64 s[22:23], s[24:25]
	s_cbranch_execz .LBB328_1156
; %bb.1151:                             ;   in Loop: Header=BB328_800 Depth=1
	v_cmp_ne_u16_sdwa s[26:27], v21, s28 src0_sel:BYTE_0 src1_sel:DWORD
	v_bfrev_b32_e32 v0, 1
	s_and_saveexec_b64 s[24:25], s[26:27]
	s_cbranch_execz .LBB328_1155
; %bb.1152:                             ;   in Loop: Header=BB328_800 Depth=1
	v_and_b32_e32 v10, 0x7f, v21
	v_cmp_ne_u32_e32 vcc, s29, v10
	v_mov_b32_e32 v0, 0x7f800001
	s_and_saveexec_b64 s[26:27], vcc
	s_cbranch_execz .LBB328_1154
; %bb.1153:                             ;   in Loop: Header=BB328_800 Depth=1
	v_and_b32_e32 v0, 7, v21
	v_ffbh_u32_e32 v0, v0
	v_min_u32_e32 v0, 32, v0
	v_lshrrev_b32_e32 v11, 3, v10
	v_cmp_gt_u32_e32 vcc, 8, v10
	v_subrev_u32_e32 v10, 28, v0
	v_sub_u32_e32 v0, 29, v0
	v_cndmask_b32_e32 v10, 0, v10, vcc
	v_cndmask_b32_e32 v0, v11, v0, vcc
	v_lshlrev_b64 v[10:11], v10, v[21:22]
	v_lshlrev_b32_e32 v11, 24, v21
	v_lshlrev_b32_e32 v10, 20, v10
	v_bfrev_b32_e32 v12, 60
	v_and_b32_e32 v10, 0x700000, v10
	v_and_b32_e32 v11, 0x80000000, v11
	v_lshl_add_u32 v0, v0, 23, v12
	v_or3_b32 v0, v11, v0, v10
.LBB328_1154:                           ;   in Loop: Header=BB328_800 Depth=1
	s_or_b64 exec, exec, s[26:27]
.LBB328_1155:                           ;   in Loop: Header=BB328_800 Depth=1
	s_or_b64 exec, exec, s[24:25]
.LBB328_1156:                           ;   in Loop: Header=BB328_800 Depth=1
	s_or_b64 exec, exec, s[22:23]
	v_lshrrev_b16_e32 v14, 8, v21
	v_cmp_ne_u16_e32 vcc, 0, v14
	s_and_saveexec_b64 s[22:23], vcc
	s_cbranch_execz .LBB328_1162
; %bb.1157:                             ;   in Loop: Header=BB328_800 Depth=1
	v_cmp_ne_u16_e32 vcc, s28, v14
	v_bfrev_b32_e32 v1, 1
	s_and_saveexec_b64 s[24:25], vcc
	s_cbranch_execz .LBB328_1161
; %bb.1158:                             ;   in Loop: Header=BB328_800 Depth=1
	v_and_b32_e32 v10, 0x7f, v14
	v_cmp_ne_u32_e32 vcc, s29, v10
	v_mov_b32_e32 v1, 0x7f800001
	s_and_saveexec_b64 s[26:27], vcc
	s_cbranch_execz .LBB328_1160
; %bb.1159:                             ;   in Loop: Header=BB328_800 Depth=1
	v_and_b32_e32 v1, 7, v14
	v_lshrrev_b32_e32 v12, 3, v10
	v_cmp_gt_u32_e32 vcc, 8, v10
	v_ffbh_u32_e32 v10, v1
	v_min_u32_e32 v13, 32, v10
	v_subrev_u32_e32 v10, 28, v13
	v_lshlrev_b64 v[10:11], v10, v[14:15]
	v_sub_u32_e32 v11, 29, v13
	v_and_b32_e32 v10, 7, v10
	v_cndmask_b32_e32 v11, v12, v11, vcc
	v_cndmask_b32_e32 v1, v1, v10, vcc
	v_lshlrev_b32_e32 v10, 16, v21
	v_bfrev_b32_e32 v12, 60
	v_lshlrev_b32_e32 v1, 20, v1
	v_and_b32_e32 v10, 0x80000000, v10
	v_lshl_add_u32 v11, v11, 23, v12
	v_or3_b32 v1, v10, v11, v1
.LBB328_1160:                           ;   in Loop: Header=BB328_800 Depth=1
	s_or_b64 exec, exec, s[26:27]
.LBB328_1161:                           ;   in Loop: Header=BB328_800 Depth=1
	s_or_b64 exec, exec, s[24:25]
.LBB328_1162:                           ;   in Loop: Header=BB328_800 Depth=1
	s_or_b64 exec, exec, s[22:23]
	v_lshrrev_b32_e32 v14, 16, v21
	v_cmp_ne_u16_sdwa s[24:25], v14, v15 src0_sel:BYTE_0 src1_sel:DWORD
	v_mov_b32_e32 v12, 0
	v_mov_b32_e32 v11, 0
	s_and_saveexec_b64 s[22:23], s[24:25]
	s_cbranch_execz .LBB328_1168
; %bb.1163:                             ;   in Loop: Header=BB328_800 Depth=1
	v_cmp_ne_u16_sdwa s[26:27], v14, s28 src0_sel:BYTE_0 src1_sel:DWORD
	v_bfrev_b32_e32 v11, 1
	s_and_saveexec_b64 s[24:25], s[26:27]
	s_cbranch_execz .LBB328_1167
; %bb.1164:                             ;   in Loop: Header=BB328_800 Depth=1
	v_bfe_u32 v10, v21, 16, 7
	v_cmp_ne_u32_e32 vcc, s29, v10
	v_mov_b32_e32 v11, 0x7f800001
	s_and_saveexec_b64 s[26:27], vcc
	s_cbranch_execz .LBB328_1166
; %bb.1165:                             ;   in Loop: Header=BB328_800 Depth=1
	v_and_b32_e32 v13, 7, v14
	v_lshrrev_b32_e32 v18, 3, v10
	v_cmp_gt_u32_e32 vcc, 8, v10
	v_ffbh_u32_e32 v10, v13
	v_min_u32_e32 v23, 32, v10
	v_subrev_u32_e32 v10, 28, v23
	v_lshlrev_b64 v[10:11], v10, v[14:15]
	v_sub_u32_e32 v11, 29, v23
	v_and_b32_e32 v10, 7, v10
	v_cndmask_b32_e32 v11, v18, v11, vcc
	v_cndmask_b32_e32 v10, v13, v10, vcc
	v_lshlrev_b32_e32 v13, 24, v14
	v_bfrev_b32_e32 v14, 60
	v_lshlrev_b32_e32 v10, 20, v10
	v_and_b32_e32 v13, 0x80000000, v13
	v_lshl_add_u32 v11, v11, 23, v14
	v_or3_b32 v11, v13, v11, v10
.LBB328_1166:                           ;   in Loop: Header=BB328_800 Depth=1
	s_or_b64 exec, exec, s[26:27]
.LBB328_1167:                           ;   in Loop: Header=BB328_800 Depth=1
	s_or_b64 exec, exec, s[24:25]
.LBB328_1168:                           ;   in Loop: Header=BB328_800 Depth=1
	s_or_b64 exec, exec, s[22:23]
	v_cmp_lt_u32_e32 vcc, s11, v21
	s_and_saveexec_b64 s[22:23], vcc
	s_cbranch_execz .LBB328_1174
; %bb.1169:                             ;   in Loop: Header=BB328_800 Depth=1
	v_lshrrev_b32_e32 v14, 24, v21
	v_cmp_ne_u32_e32 vcc, s28, v14
	v_bfrev_b32_e32 v12, 1
	s_and_saveexec_b64 s[24:25], vcc
	s_cbranch_execz .LBB328_1173
; %bb.1170:                             ;   in Loop: Header=BB328_800 Depth=1
	v_bfe_u32 v10, v21, 24, 7
	v_cmp_ne_u32_e32 vcc, s29, v10
	v_mov_b32_e32 v12, 0x7f800001
	s_and_saveexec_b64 s[26:27], vcc
	s_cbranch_execz .LBB328_1172
; %bb.1171:                             ;   in Loop: Header=BB328_800 Depth=1
	v_and_b32_e32 v18, 7, v14
	v_lshrrev_b32_e32 v23, 3, v10
	v_cmp_gt_u32_e32 vcc, 8, v10
	v_ffbh_u32_e32 v10, v18
	v_min_u32_e32 v10, 32, v10
	v_subrev_u32_e32 v12, 28, v10
	v_lshlrev_b64 v[12:13], v12, v[14:15]
	v_sub_u32_e32 v10, 29, v10
	v_and_b32_e32 v12, 7, v12
	v_cndmask_b32_e32 v10, v23, v10, vcc
	v_cndmask_b32_e32 v12, v18, v12, vcc
	v_lshlrev_b32_e32 v13, 24, v14
	v_bfrev_b32_e32 v14, 60
	v_lshlrev_b32_e32 v12, 20, v12
	v_and_b32_e32 v13, 0x80000000, v13
	v_lshl_add_u32 v10, v10, 23, v14
	v_or3_b32 v12, v13, v10, v12
.LBB328_1172:                           ;   in Loop: Header=BB328_800 Depth=1
	s_or_b64 exec, exec, s[26:27]
.LBB328_1173:                           ;   in Loop: Header=BB328_800 Depth=1
	s_or_b64 exec, exec, s[24:25]
.LBB328_1174:                           ;   in Loop: Header=BB328_800 Depth=1
	s_or_b64 exec, exec, s[22:23]
	v_mov_b32_e32 v14, v22
	v_cmp_ne_u16_sdwa s[24:25], v22, v15 src0_sel:BYTE_0 src1_sel:DWORD
	v_mov_b32_e32 v18, 0
	v_mov_b32_e32 v13, 0
	s_and_saveexec_b64 s[22:23], s[24:25]
	s_cbranch_execz .LBB328_1180
; %bb.1175:                             ;   in Loop: Header=BB328_800 Depth=1
	v_cmp_ne_u16_sdwa s[26:27], v22, s28 src0_sel:BYTE_0 src1_sel:DWORD
	v_bfrev_b32_e32 v13, 1
	s_and_saveexec_b64 s[24:25], s[26:27]
	s_cbranch_execz .LBB328_1179
; %bb.1176:                             ;   in Loop: Header=BB328_800 Depth=1
	v_and_b32_e32 v10, 0x7f, v22
	v_cmp_ne_u32_e32 vcc, s29, v10
	v_mov_b32_e32 v13, 0x7f800001
	s_and_saveexec_b64 s[26:27], vcc
	s_cbranch_execz .LBB328_1178
; %bb.1177:                             ;   in Loop: Header=BB328_800 Depth=1
	v_and_b32_e32 v13, 7, v22
	v_lshrrev_b32_e32 v23, 3, v10
	v_cmp_gt_u32_e32 vcc, 8, v10
	v_ffbh_u32_e32 v10, v13
	v_min_u32_e32 v10, 32, v10
	v_subrev_u32_e32 v13, 28, v10
	v_sub_u32_e32 v10, 29, v10
	v_cndmask_b32_e32 v13, 0, v13, vcc
	v_cndmask_b32_e32 v10, v23, v10, vcc
	v_lshlrev_b64 v[23:24], v13, v[14:15]
	v_bfrev_b32_e32 v24, 60
	v_lshlrev_b32_e32 v13, 20, v23
	v_lshlrev_b32_e32 v23, 24, v14
	v_and_b32_e32 v13, 0x700000, v13
	v_and_b32_e32 v23, 0x80000000, v23
	v_lshl_add_u32 v10, v10, 23, v24
	v_or3_b32 v13, v23, v10, v13
.LBB328_1178:                           ;   in Loop: Header=BB328_800 Depth=1
	s_or_b64 exec, exec, s[26:27]
.LBB328_1179:                           ;   in Loop: Header=BB328_800 Depth=1
	s_or_b64 exec, exec, s[24:25]
.LBB328_1180:                           ;   in Loop: Header=BB328_800 Depth=1
	s_or_b64 exec, exec, s[22:23]
	v_lshrrev_b16_e32 v23, 8, v14
	v_cmp_ne_u16_e32 vcc, 0, v23
	s_and_saveexec_b64 s[22:23], vcc
	s_cbranch_execz .LBB328_1186
; %bb.1181:                             ;   in Loop: Header=BB328_800 Depth=1
	v_cmp_ne_u16_e32 vcc, s28, v23
	v_bfrev_b32_e32 v18, 1
	s_and_saveexec_b64 s[24:25], vcc
	s_cbranch_execz .LBB328_1185
; %bb.1182:                             ;   in Loop: Header=BB328_800 Depth=1
	v_and_b32_e32 v10, 0x7f, v23
	v_cmp_ne_u32_e32 vcc, s29, v10
	v_mov_b32_e32 v18, 0x7f800001
	s_and_saveexec_b64 s[26:27], vcc
	s_cbranch_execz .LBB328_1184
; %bb.1183:                             ;   in Loop: Header=BB328_800 Depth=1
	v_and_b32_e32 v18, 7, v23
	v_lshrrev_b32_e32 v25, 3, v10
	v_cmp_gt_u32_e32 vcc, 8, v10
	v_ffbh_u32_e32 v10, v18
	v_min_u32_e32 v10, 32, v10
	v_subrev_u32_e32 v24, 28, v10
	v_lshlrev_b64 v[23:24], v24, v[23:24]
	v_sub_u32_e32 v10, 29, v10
	v_and_b32_e32 v23, 7, v23
	v_cndmask_b32_e32 v10, v25, v10, vcc
	v_cndmask_b32_e32 v18, v18, v23, vcc
	v_lshlrev_b32_e32 v14, 16, v14
	v_bfrev_b32_e32 v23, 60
	v_lshlrev_b32_e32 v18, 20, v18
	v_and_b32_e32 v14, 0x80000000, v14
	v_lshl_add_u32 v10, v10, 23, v23
	v_or3_b32 v18, v14, v10, v18
.LBB328_1184:                           ;   in Loop: Header=BB328_800 Depth=1
	s_or_b64 exec, exec, s[26:27]
.LBB328_1185:                           ;   in Loop: Header=BB328_800 Depth=1
	s_or_b64 exec, exec, s[24:25]
.LBB328_1186:                           ;   in Loop: Header=BB328_800 Depth=1
	s_or_b64 exec, exec, s[22:23]
	v_lshrrev_b32_e32 v14, 16, v22
	v_cmp_ne_u16_sdwa s[24:25], v14, v15 src0_sel:BYTE_0 src1_sel:DWORD
	v_mov_b32_e32 v23, 0
	v_mov_b32_e32 v10, 0
	s_and_saveexec_b64 s[22:23], s[24:25]
	s_cbranch_execz .LBB328_1192
; %bb.1187:                             ;   in Loop: Header=BB328_800 Depth=1
	v_cmp_ne_u16_sdwa s[26:27], v14, s28 src0_sel:BYTE_0 src1_sel:DWORD
	v_bfrev_b32_e32 v10, 1
	s_and_saveexec_b64 s[24:25], s[26:27]
	s_cbranch_execz .LBB328_1191
; %bb.1188:                             ;   in Loop: Header=BB328_800 Depth=1
	v_bfe_u32 v24, v22, 16, 7
	v_cmp_ne_u32_e32 vcc, s29, v24
	v_mov_b32_e32 v10, 0x7f800001
	s_and_saveexec_b64 s[26:27], vcc
	s_cbranch_execz .LBB328_1190
; %bb.1189:                             ;   in Loop: Header=BB328_800 Depth=1
	v_and_b32_e32 v10, 7, v14
	v_lshrrev_b32_e32 v26, 3, v24
	v_cmp_gt_u32_e32 vcc, 8, v24
	v_ffbh_u32_e32 v24, v10
	v_min_u32_e32 v27, 32, v24
	v_subrev_u32_e32 v24, 28, v27
	v_lshlrev_b64 v[24:25], v24, v[14:15]
	v_sub_u32_e32 v25, 29, v27
	v_and_b32_e32 v24, 7, v24
	v_cndmask_b32_e32 v25, v26, v25, vcc
	v_cndmask_b32_e32 v10, v10, v24, vcc
	v_lshlrev_b32_e32 v14, 24, v14
	v_bfrev_b32_e32 v24, 60
	v_lshlrev_b32_e32 v10, 20, v10
	v_and_b32_e32 v14, 0x80000000, v14
	v_lshl_add_u32 v24, v25, 23, v24
	v_or3_b32 v10, v14, v24, v10
.LBB328_1190:                           ;   in Loop: Header=BB328_800 Depth=1
	s_or_b64 exec, exec, s[26:27]
.LBB328_1191:                           ;   in Loop: Header=BB328_800 Depth=1
	s_or_b64 exec, exec, s[24:25]
.LBB328_1192:                           ;   in Loop: Header=BB328_800 Depth=1
	s_or_b64 exec, exec, s[22:23]
	v_cmp_lt_u64_e32 vcc, s[10:11], v[21:22]
	s_and_saveexec_b64 s[22:23], vcc
	s_cbranch_execz .LBB328_1198
; %bb.1193:                             ;   in Loop: Header=BB328_800 Depth=1
	v_lshrrev_b32_e32 v14, 24, v22
	v_cmp_ne_u32_e32 vcc, s28, v14
	v_bfrev_b32_e32 v23, 1
	s_and_saveexec_b64 s[24:25], vcc
	s_cbranch_execz .LBB328_1197
; %bb.1194:                             ;   in Loop: Header=BB328_800 Depth=1
	v_bfe_u32 v21, v22, 24, 7
	v_cmp_ne_u32_e32 vcc, s29, v21
	v_mov_b32_e32 v23, 0x7f800001
	s_and_saveexec_b64 s[26:27], vcc
	s_cbranch_execz .LBB328_1196
; %bb.1195:                             ;   in Loop: Header=BB328_800 Depth=1
	v_and_b32_e32 v23, 7, v14
	v_lshrrev_b32_e32 v24, 3, v21
	v_cmp_gt_u32_e32 vcc, 8, v21
	v_ffbh_u32_e32 v21, v23
	v_min_u32_e32 v25, 32, v21
	v_subrev_u32_e32 v21, 28, v25
	v_lshlrev_b64 v[21:22], v21, v[14:15]
	v_sub_u32_e32 v22, 29, v25
	v_and_b32_e32 v21, 7, v21
	v_cndmask_b32_e32 v22, v24, v22, vcc
	v_cndmask_b32_e32 v21, v23, v21, vcc
	v_lshlrev_b32_e32 v14, 24, v14
	v_bfrev_b32_e32 v23, 60
	v_lshlrev_b32_e32 v21, 20, v21
	v_and_b32_e32 v14, 0x80000000, v14
	v_lshl_add_u32 v22, v22, 23, v23
	v_or3_b32 v23, v14, v22, v21
.LBB328_1196:                           ;   in Loop: Header=BB328_800 Depth=1
	s_or_b64 exec, exec, s[26:27]
.LBB328_1197:                           ;   in Loop: Header=BB328_800 Depth=1
	s_or_b64 exec, exec, s[24:25]
.LBB328_1198:                           ;   in Loop: Header=BB328_800 Depth=1
	s_or_b64 exec, exec, s[22:23]
	v_mul_f32_e32 v14, v40, v18
	v_bfe_u32 v18, v14, 16, 1
	v_add3_u32 v18, v18, v14, s40
	v_or_b32_e32 v21, 0x400000, v14
	v_cmp_u_f32_e32 vcc, v14, v14
	v_cndmask_b32_e32 v14, v18, v21, vcc
	v_lshrrev_b32_e32 v14, 16, v14
	v_mul_f32_e32 v13, v40, v13
	buffer_store_dword v14, off, s[0:3], s32 offset:300 ; 4-byte Folded Spill
	v_bfe_u32 v14, v13, 16, 1
	v_add3_u32 v14, v14, v13, s40
	v_or_b32_e32 v18, 0x400000, v13
	v_cmp_u_f32_e32 vcc, v13, v13
	v_cndmask_b32_e32 v13, v14, v18, vcc
	v_lshrrev_b32_e32 v13, 16, v13
	v_mul_f32_e32 v12, v40, v12
	buffer_store_dword v13, off, s[0:3], s32 offset:296 ; 4-byte Folded Spill
	;; [unrolled: 8-line block ×5, first 2 shown]
	v_bfe_u32 v1, v0, 16, 1
	v_add3_u32 v1, v1, v0, s40
	v_or_b32_e32 v11, 0x400000, v0
	v_cmp_u_f32_e32 vcc, v0, v0
	v_cndmask_b32_e32 v0, v1, v11, vcc
	v_lshrrev_b32_e32 v0, 16, v0
	buffer_store_dword v0, off, s[0:3], s32 offset:320 ; 4-byte Folded Spill
	v_mul_f32_e32 v0, v40, v10
	v_bfe_u32 v1, v0, 16, 1
	v_add3_u32 v1, v1, v0, s40
	v_or_b32_e32 v10, 0x400000, v0
	v_cmp_u_f32_e32 vcc, v0, v0
	v_cndmask_b32_e32 v0, v1, v10, vcc
	v_lshrrev_b32_e32 v0, 16, v0
	buffer_store_dword v0, off, s[0:3], s32 offset:304 ; 4-byte Folded Spill
	v_mul_f32_e32 v0, v40, v23
	v_bfe_u32 v1, v0, 16, 1
	v_add3_u32 v1, v1, v0, s40
	v_or_b32_e32 v10, 0x400000, v0
	v_cmp_u_f32_e32 vcc, v0, v0
	v_cndmask_b32_e32 v0, v1, v10, vcc
	v_lshrrev_b32_e32 v0, 16, v0
	buffer_store_dword v0, off, s[0:3], s32 offset:316 ; 4-byte Folded Spill
	s_and_saveexec_b64 s[22:23], s[6:7]
	s_cbranch_execz .LBB328_1200
; %bb.1199:                             ;   in Loop: Header=BB328_800 Depth=1
	buffer_load_dword v0, off, s[0:3], s32 offset:68 ; 4-byte Folded Reload
	buffer_load_dword v1, off, s[0:3], s32 offset:320 ; 4-byte Folded Reload
	s_waitcnt vmcnt(1)
	v_cmp_lt_i32_e32 vcc, v63, v0
	s_waitcnt vmcnt(0)
	v_cndmask_b32_e32 v1, 0, v1, vcc
	buffer_store_dword v1, off, s[0:3], s32 offset:320 ; 4-byte Folded Spill
	v_add_u32_e32 v1, -6, v49
	v_cmp_lt_i32_e32 vcc, v1, v0
	buffer_load_dword v1, off, s[0:3], s32 offset:324 ; 4-byte Folded Reload
	s_waitcnt vmcnt(0)
	v_cndmask_b32_e32 v1, 0, v1, vcc
	buffer_store_dword v1, off, s[0:3], s32 offset:324 ; 4-byte Folded Spill
	v_add_u32_e32 v1, -5, v49
	v_cmp_lt_i32_e32 vcc, v1, v0
	buffer_load_dword v1, off, s[0:3], s32 offset:308 ; 4-byte Folded Reload
	;; [unrolled: 6-line block ×6, first 2 shown]
	s_waitcnt vmcnt(0)
	v_cndmask_b32_e32 v1, 0, v1, vcc
	v_cmp_lt_i32_e32 vcc, v49, v0
	buffer_load_dword v0, off, s[0:3], s32 offset:316 ; 4-byte Folded Reload
	s_waitcnt vmcnt(0)
	v_cndmask_b32_e32 v0, 0, v0, vcc
	buffer_store_dword v1, off, s[0:3], s32 offset:304 ; 4-byte Folded Spill
	buffer_store_dword v0, off, s[0:3], s32 offset:316 ; 4-byte Folded Spill
.LBB328_1200:                           ;   in Loop: Header=BB328_800 Depth=1
	s_or_b64 exec, exec, s[22:23]
	v_add_co_u32_e32 v0, vcc, 0x1000, v19
	v_addc_co_u32_e32 v1, vcc, 0, v20, vcc
	flat_load_dwordx2 v[21:22], v[0:1]
	v_mov_b32_e32 v1, 0
	v_mov_b32_e32 v0, 0
	s_waitcnt vmcnt(0) lgkmcnt(0)
	v_cmp_ne_u16_sdwa s[24:25], v21, v15 src0_sel:BYTE_0 src1_sel:DWORD
	s_and_saveexec_b64 s[22:23], s[24:25]
	s_cbranch_execz .LBB328_1206
; %bb.1201:                             ;   in Loop: Header=BB328_800 Depth=1
	v_cmp_ne_u16_sdwa s[26:27], v21, s28 src0_sel:BYTE_0 src1_sel:DWORD
	v_bfrev_b32_e32 v0, 1
	s_and_saveexec_b64 s[24:25], s[26:27]
	s_cbranch_execz .LBB328_1205
; %bb.1202:                             ;   in Loop: Header=BB328_800 Depth=1
	v_and_b32_e32 v10, 0x7f, v21
	v_cmp_ne_u32_e32 vcc, s29, v10
	v_mov_b32_e32 v0, 0x7f800001
	s_and_saveexec_b64 s[26:27], vcc
	s_cbranch_execz .LBB328_1204
; %bb.1203:                             ;   in Loop: Header=BB328_800 Depth=1
	v_and_b32_e32 v0, 7, v21
	v_ffbh_u32_e32 v0, v0
	v_min_u32_e32 v0, 32, v0
	v_lshrrev_b32_e32 v11, 3, v10
	v_cmp_gt_u32_e32 vcc, 8, v10
	v_subrev_u32_e32 v10, 28, v0
	v_sub_u32_e32 v0, 29, v0
	v_cndmask_b32_e32 v10, 0, v10, vcc
	v_cndmask_b32_e32 v0, v11, v0, vcc
	v_lshlrev_b64 v[10:11], v10, v[21:22]
	v_lshlrev_b32_e32 v11, 24, v21
	v_lshlrev_b32_e32 v10, 20, v10
	v_bfrev_b32_e32 v12, 60
	v_and_b32_e32 v10, 0x700000, v10
	v_and_b32_e32 v11, 0x80000000, v11
	v_lshl_add_u32 v0, v0, 23, v12
	v_or3_b32 v0, v11, v0, v10
.LBB328_1204:                           ;   in Loop: Header=BB328_800 Depth=1
	s_or_b64 exec, exec, s[26:27]
.LBB328_1205:                           ;   in Loop: Header=BB328_800 Depth=1
	s_or_b64 exec, exec, s[24:25]
.LBB328_1206:                           ;   in Loop: Header=BB328_800 Depth=1
	s_or_b64 exec, exec, s[22:23]
	v_lshrrev_b16_e32 v14, 8, v21
	v_cmp_ne_u16_e32 vcc, 0, v14
	s_and_saveexec_b64 s[22:23], vcc
	s_cbranch_execz .LBB328_1212
; %bb.1207:                             ;   in Loop: Header=BB328_800 Depth=1
	v_cmp_ne_u16_e32 vcc, s28, v14
	v_bfrev_b32_e32 v1, 1
	s_and_saveexec_b64 s[24:25], vcc
	s_cbranch_execz .LBB328_1211
; %bb.1208:                             ;   in Loop: Header=BB328_800 Depth=1
	v_and_b32_e32 v10, 0x7f, v14
	v_cmp_ne_u32_e32 vcc, s29, v10
	v_mov_b32_e32 v1, 0x7f800001
	s_and_saveexec_b64 s[26:27], vcc
	s_cbranch_execz .LBB328_1210
; %bb.1209:                             ;   in Loop: Header=BB328_800 Depth=1
	v_and_b32_e32 v1, 7, v14
	v_lshrrev_b32_e32 v12, 3, v10
	v_cmp_gt_u32_e32 vcc, 8, v10
	v_ffbh_u32_e32 v10, v1
	v_min_u32_e32 v13, 32, v10
	v_subrev_u32_e32 v10, 28, v13
	v_lshlrev_b64 v[10:11], v10, v[14:15]
	v_sub_u32_e32 v11, 29, v13
	v_and_b32_e32 v10, 7, v10
	v_cndmask_b32_e32 v11, v12, v11, vcc
	v_cndmask_b32_e32 v1, v1, v10, vcc
	v_lshlrev_b32_e32 v10, 16, v21
	v_bfrev_b32_e32 v12, 60
	v_lshlrev_b32_e32 v1, 20, v1
	v_and_b32_e32 v10, 0x80000000, v10
	v_lshl_add_u32 v11, v11, 23, v12
	v_or3_b32 v1, v10, v11, v1
.LBB328_1210:                           ;   in Loop: Header=BB328_800 Depth=1
	s_or_b64 exec, exec, s[26:27]
.LBB328_1211:                           ;   in Loop: Header=BB328_800 Depth=1
	s_or_b64 exec, exec, s[24:25]
.LBB328_1212:                           ;   in Loop: Header=BB328_800 Depth=1
	s_or_b64 exec, exec, s[22:23]
	v_lshrrev_b32_e32 v14, 16, v21
	v_cmp_ne_u16_sdwa s[24:25], v14, v15 src0_sel:BYTE_0 src1_sel:DWORD
	v_mov_b32_e32 v12, 0
	v_mov_b32_e32 v11, 0
	s_and_saveexec_b64 s[22:23], s[24:25]
	s_cbranch_execz .LBB328_1218
; %bb.1213:                             ;   in Loop: Header=BB328_800 Depth=1
	v_cmp_ne_u16_sdwa s[26:27], v14, s28 src0_sel:BYTE_0 src1_sel:DWORD
	v_bfrev_b32_e32 v11, 1
	s_and_saveexec_b64 s[24:25], s[26:27]
	s_cbranch_execz .LBB328_1217
; %bb.1214:                             ;   in Loop: Header=BB328_800 Depth=1
	v_bfe_u32 v10, v21, 16, 7
	v_cmp_ne_u32_e32 vcc, s29, v10
	v_mov_b32_e32 v11, 0x7f800001
	s_and_saveexec_b64 s[26:27], vcc
	s_cbranch_execz .LBB328_1216
; %bb.1215:                             ;   in Loop: Header=BB328_800 Depth=1
	v_and_b32_e32 v13, 7, v14
	v_lshrrev_b32_e32 v18, 3, v10
	v_cmp_gt_u32_e32 vcc, 8, v10
	v_ffbh_u32_e32 v10, v13
	v_min_u32_e32 v23, 32, v10
	v_subrev_u32_e32 v10, 28, v23
	v_lshlrev_b64 v[10:11], v10, v[14:15]
	v_sub_u32_e32 v11, 29, v23
	v_and_b32_e32 v10, 7, v10
	v_cndmask_b32_e32 v11, v18, v11, vcc
	v_cndmask_b32_e32 v10, v13, v10, vcc
	v_lshlrev_b32_e32 v13, 24, v14
	v_bfrev_b32_e32 v14, 60
	v_lshlrev_b32_e32 v10, 20, v10
	v_and_b32_e32 v13, 0x80000000, v13
	v_lshl_add_u32 v11, v11, 23, v14
	v_or3_b32 v11, v13, v11, v10
.LBB328_1216:                           ;   in Loop: Header=BB328_800 Depth=1
	s_or_b64 exec, exec, s[26:27]
.LBB328_1217:                           ;   in Loop: Header=BB328_800 Depth=1
	s_or_b64 exec, exec, s[24:25]
.LBB328_1218:                           ;   in Loop: Header=BB328_800 Depth=1
	s_or_b64 exec, exec, s[22:23]
	v_cmp_lt_u32_e32 vcc, s11, v21
	s_and_saveexec_b64 s[22:23], vcc
	s_cbranch_execz .LBB328_1224
; %bb.1219:                             ;   in Loop: Header=BB328_800 Depth=1
	v_lshrrev_b32_e32 v14, 24, v21
	v_cmp_ne_u32_e32 vcc, s28, v14
	v_bfrev_b32_e32 v12, 1
	s_and_saveexec_b64 s[24:25], vcc
	s_cbranch_execz .LBB328_1223
; %bb.1220:                             ;   in Loop: Header=BB328_800 Depth=1
	v_bfe_u32 v10, v21, 24, 7
	v_cmp_ne_u32_e32 vcc, s29, v10
	v_mov_b32_e32 v12, 0x7f800001
	s_and_saveexec_b64 s[26:27], vcc
	s_cbranch_execz .LBB328_1222
; %bb.1221:                             ;   in Loop: Header=BB328_800 Depth=1
	v_and_b32_e32 v18, 7, v14
	v_lshrrev_b32_e32 v23, 3, v10
	v_cmp_gt_u32_e32 vcc, 8, v10
	v_ffbh_u32_e32 v10, v18
	v_min_u32_e32 v10, 32, v10
	v_subrev_u32_e32 v12, 28, v10
	v_lshlrev_b64 v[12:13], v12, v[14:15]
	v_sub_u32_e32 v10, 29, v10
	v_and_b32_e32 v12, 7, v12
	v_cndmask_b32_e32 v10, v23, v10, vcc
	v_cndmask_b32_e32 v12, v18, v12, vcc
	v_lshlrev_b32_e32 v13, 24, v14
	v_bfrev_b32_e32 v14, 60
	v_lshlrev_b32_e32 v12, 20, v12
	v_and_b32_e32 v13, 0x80000000, v13
	v_lshl_add_u32 v10, v10, 23, v14
	v_or3_b32 v12, v13, v10, v12
.LBB328_1222:                           ;   in Loop: Header=BB328_800 Depth=1
	s_or_b64 exec, exec, s[26:27]
.LBB328_1223:                           ;   in Loop: Header=BB328_800 Depth=1
	s_or_b64 exec, exec, s[24:25]
.LBB328_1224:                           ;   in Loop: Header=BB328_800 Depth=1
	s_or_b64 exec, exec, s[22:23]
	v_mov_b32_e32 v14, v22
	v_cmp_ne_u16_sdwa s[24:25], v22, v15 src0_sel:BYTE_0 src1_sel:DWORD
	v_mov_b32_e32 v18, 0
	v_mov_b32_e32 v13, 0
	s_and_saveexec_b64 s[22:23], s[24:25]
	s_cbranch_execz .LBB328_1230
; %bb.1225:                             ;   in Loop: Header=BB328_800 Depth=1
	v_cmp_ne_u16_sdwa s[26:27], v22, s28 src0_sel:BYTE_0 src1_sel:DWORD
	v_bfrev_b32_e32 v13, 1
	s_and_saveexec_b64 s[24:25], s[26:27]
	s_cbranch_execz .LBB328_1229
; %bb.1226:                             ;   in Loop: Header=BB328_800 Depth=1
	v_and_b32_e32 v10, 0x7f, v22
	v_cmp_ne_u32_e32 vcc, s29, v10
	v_mov_b32_e32 v13, 0x7f800001
	s_and_saveexec_b64 s[26:27], vcc
	s_cbranch_execz .LBB328_1228
; %bb.1227:                             ;   in Loop: Header=BB328_800 Depth=1
	v_and_b32_e32 v13, 7, v22
	v_lshrrev_b32_e32 v23, 3, v10
	v_cmp_gt_u32_e32 vcc, 8, v10
	v_ffbh_u32_e32 v10, v13
	v_min_u32_e32 v10, 32, v10
	v_subrev_u32_e32 v13, 28, v10
	v_sub_u32_e32 v10, 29, v10
	v_cndmask_b32_e32 v13, 0, v13, vcc
	v_cndmask_b32_e32 v10, v23, v10, vcc
	v_lshlrev_b64 v[23:24], v13, v[14:15]
	v_bfrev_b32_e32 v24, 60
	v_lshlrev_b32_e32 v13, 20, v23
	v_lshlrev_b32_e32 v23, 24, v14
	v_and_b32_e32 v13, 0x700000, v13
	v_and_b32_e32 v23, 0x80000000, v23
	v_lshl_add_u32 v10, v10, 23, v24
	v_or3_b32 v13, v23, v10, v13
.LBB328_1228:                           ;   in Loop: Header=BB328_800 Depth=1
	s_or_b64 exec, exec, s[26:27]
.LBB328_1229:                           ;   in Loop: Header=BB328_800 Depth=1
	s_or_b64 exec, exec, s[24:25]
.LBB328_1230:                           ;   in Loop: Header=BB328_800 Depth=1
	s_or_b64 exec, exec, s[22:23]
	v_lshrrev_b16_e32 v23, 8, v14
	v_cmp_ne_u16_e32 vcc, 0, v23
	s_and_saveexec_b64 s[22:23], vcc
	s_cbranch_execz .LBB328_1236
; %bb.1231:                             ;   in Loop: Header=BB328_800 Depth=1
	v_cmp_ne_u16_e32 vcc, s28, v23
	v_bfrev_b32_e32 v18, 1
	s_and_saveexec_b64 s[24:25], vcc
	s_cbranch_execz .LBB328_1235
; %bb.1232:                             ;   in Loop: Header=BB328_800 Depth=1
	v_and_b32_e32 v10, 0x7f, v23
	v_cmp_ne_u32_e32 vcc, s29, v10
	v_mov_b32_e32 v18, 0x7f800001
	s_and_saveexec_b64 s[26:27], vcc
	s_cbranch_execz .LBB328_1234
; %bb.1233:                             ;   in Loop: Header=BB328_800 Depth=1
	v_and_b32_e32 v18, 7, v23
	v_lshrrev_b32_e32 v25, 3, v10
	v_cmp_gt_u32_e32 vcc, 8, v10
	v_ffbh_u32_e32 v10, v18
	v_min_u32_e32 v10, 32, v10
	v_subrev_u32_e32 v24, 28, v10
	v_lshlrev_b64 v[23:24], v24, v[23:24]
	v_sub_u32_e32 v10, 29, v10
	v_and_b32_e32 v23, 7, v23
	v_cndmask_b32_e32 v10, v25, v10, vcc
	v_cndmask_b32_e32 v18, v18, v23, vcc
	v_lshlrev_b32_e32 v14, 16, v14
	v_bfrev_b32_e32 v23, 60
	v_lshlrev_b32_e32 v18, 20, v18
	v_and_b32_e32 v14, 0x80000000, v14
	v_lshl_add_u32 v10, v10, 23, v23
	v_or3_b32 v18, v14, v10, v18
.LBB328_1234:                           ;   in Loop: Header=BB328_800 Depth=1
	s_or_b64 exec, exec, s[26:27]
.LBB328_1235:                           ;   in Loop: Header=BB328_800 Depth=1
	s_or_b64 exec, exec, s[24:25]
.LBB328_1236:                           ;   in Loop: Header=BB328_800 Depth=1
	s_or_b64 exec, exec, s[22:23]
	v_lshrrev_b32_e32 v14, 16, v22
	v_cmp_ne_u16_sdwa s[24:25], v14, v15 src0_sel:BYTE_0 src1_sel:DWORD
	v_mov_b32_e32 v23, 0
	v_mov_b32_e32 v10, 0
	s_and_saveexec_b64 s[22:23], s[24:25]
	s_cbranch_execz .LBB328_1242
; %bb.1237:                             ;   in Loop: Header=BB328_800 Depth=1
	v_cmp_ne_u16_sdwa s[26:27], v14, s28 src0_sel:BYTE_0 src1_sel:DWORD
	v_bfrev_b32_e32 v10, 1
	s_and_saveexec_b64 s[24:25], s[26:27]
	s_cbranch_execz .LBB328_1241
; %bb.1238:                             ;   in Loop: Header=BB328_800 Depth=1
	v_bfe_u32 v24, v22, 16, 7
	v_cmp_ne_u32_e32 vcc, s29, v24
	v_mov_b32_e32 v10, 0x7f800001
	s_and_saveexec_b64 s[26:27], vcc
	s_cbranch_execz .LBB328_1240
; %bb.1239:                             ;   in Loop: Header=BB328_800 Depth=1
	v_and_b32_e32 v10, 7, v14
	v_lshrrev_b32_e32 v26, 3, v24
	v_cmp_gt_u32_e32 vcc, 8, v24
	v_ffbh_u32_e32 v24, v10
	v_min_u32_e32 v27, 32, v24
	v_subrev_u32_e32 v24, 28, v27
	v_lshlrev_b64 v[24:25], v24, v[14:15]
	v_sub_u32_e32 v25, 29, v27
	v_and_b32_e32 v24, 7, v24
	v_cndmask_b32_e32 v25, v26, v25, vcc
	v_cndmask_b32_e32 v10, v10, v24, vcc
	v_lshlrev_b32_e32 v14, 24, v14
	v_bfrev_b32_e32 v24, 60
	v_lshlrev_b32_e32 v10, 20, v10
	v_and_b32_e32 v14, 0x80000000, v14
	v_lshl_add_u32 v24, v25, 23, v24
	v_or3_b32 v10, v14, v24, v10
.LBB328_1240:                           ;   in Loop: Header=BB328_800 Depth=1
	s_or_b64 exec, exec, s[26:27]
.LBB328_1241:                           ;   in Loop: Header=BB328_800 Depth=1
	s_or_b64 exec, exec, s[24:25]
.LBB328_1242:                           ;   in Loop: Header=BB328_800 Depth=1
	s_or_b64 exec, exec, s[22:23]
	v_cmp_lt_u64_e32 vcc, s[10:11], v[21:22]
	s_and_saveexec_b64 s[22:23], vcc
	s_cbranch_execz .LBB328_1248
; %bb.1243:                             ;   in Loop: Header=BB328_800 Depth=1
	v_lshrrev_b32_e32 v14, 24, v22
	v_cmp_ne_u32_e32 vcc, s28, v14
	v_bfrev_b32_e32 v23, 1
	s_and_saveexec_b64 s[24:25], vcc
	s_cbranch_execz .LBB328_1247
; %bb.1244:                             ;   in Loop: Header=BB328_800 Depth=1
	v_bfe_u32 v21, v22, 24, 7
	v_cmp_ne_u32_e32 vcc, s29, v21
	v_mov_b32_e32 v23, 0x7f800001
	s_and_saveexec_b64 s[26:27], vcc
	s_cbranch_execz .LBB328_1246
; %bb.1245:                             ;   in Loop: Header=BB328_800 Depth=1
	v_and_b32_e32 v23, 7, v14
	v_lshrrev_b32_e32 v24, 3, v21
	v_cmp_gt_u32_e32 vcc, 8, v21
	v_ffbh_u32_e32 v21, v23
	v_min_u32_e32 v25, 32, v21
	v_subrev_u32_e32 v21, 28, v25
	v_lshlrev_b64 v[21:22], v21, v[14:15]
	v_sub_u32_e32 v22, 29, v25
	v_and_b32_e32 v21, 7, v21
	v_cndmask_b32_e32 v22, v24, v22, vcc
	v_cndmask_b32_e32 v21, v23, v21, vcc
	v_lshlrev_b32_e32 v14, 24, v14
	v_bfrev_b32_e32 v23, 60
	v_lshlrev_b32_e32 v21, 20, v21
	v_and_b32_e32 v14, 0x80000000, v14
	v_lshl_add_u32 v22, v22, 23, v23
	v_or3_b32 v23, v14, v22, v21
.LBB328_1246:                           ;   in Loop: Header=BB328_800 Depth=1
	s_or_b64 exec, exec, s[26:27]
.LBB328_1247:                           ;   in Loop: Header=BB328_800 Depth=1
	s_or_b64 exec, exec, s[24:25]
.LBB328_1248:                           ;   in Loop: Header=BB328_800 Depth=1
	s_or_b64 exec, exec, s[22:23]
	v_mul_f32_e32 v14, v40, v18
	v_bfe_u32 v18, v14, 16, 1
	v_add3_u32 v18, v18, v14, s40
	v_or_b32_e32 v21, 0x400000, v14
	v_cmp_u_f32_e32 vcc, v14, v14
	v_cndmask_b32_e32 v14, v18, v21, vcc
	v_lshrrev_b32_e32 v14, 16, v14
	v_mul_f32_e32 v13, v40, v13
	buffer_store_dword v14, off, s[0:3], s32 offset:332 ; 4-byte Folded Spill
	v_bfe_u32 v14, v13, 16, 1
	v_add3_u32 v14, v14, v13, s40
	v_or_b32_e32 v18, 0x400000, v13
	v_cmp_u_f32_e32 vcc, v13, v13
	v_cndmask_b32_e32 v13, v14, v18, vcc
	v_lshrrev_b32_e32 v13, 16, v13
	v_mul_f32_e32 v12, v40, v12
	buffer_store_dword v13, off, s[0:3], s32 offset:328 ; 4-byte Folded Spill
	;; [unrolled: 8-line block ×5, first 2 shown]
	v_bfe_u32 v1, v0, 16, 1
	v_add3_u32 v1, v1, v0, s40
	v_or_b32_e32 v11, 0x400000, v0
	v_cmp_u_f32_e32 vcc, v0, v0
	v_cndmask_b32_e32 v0, v1, v11, vcc
	v_lshrrev_b32_e32 v0, 16, v0
	buffer_store_dword v0, off, s[0:3], s32 offset:352 ; 4-byte Folded Spill
	v_mul_f32_e32 v0, v40, v10
	v_bfe_u32 v1, v0, 16, 1
	v_add3_u32 v1, v1, v0, s40
	v_or_b32_e32 v10, 0x400000, v0
	v_cmp_u_f32_e32 vcc, v0, v0
	v_cndmask_b32_e32 v0, v1, v10, vcc
	v_lshrrev_b32_e32 v0, 16, v0
	buffer_store_dword v0, off, s[0:3], s32 offset:336 ; 4-byte Folded Spill
	v_mul_f32_e32 v0, v40, v23
	v_bfe_u32 v1, v0, 16, 1
	v_add3_u32 v1, v1, v0, s40
	v_or_b32_e32 v10, 0x400000, v0
	v_cmp_u_f32_e32 vcc, v0, v0
	v_cndmask_b32_e32 v0, v1, v10, vcc
	v_lshrrev_b32_e32 v0, 16, v0
	buffer_store_dword v0, off, s[0:3], s32 offset:348 ; 4-byte Folded Spill
	s_and_saveexec_b64 s[22:23], s[6:7]
	s_cbranch_execz .LBB328_1250
; %bb.1249:                             ;   in Loop: Header=BB328_800 Depth=1
	buffer_load_dword v0, off, s[0:3], s32 offset:68 ; 4-byte Folded Reload
	buffer_load_dword v1, off, s[0:3], s32 offset:352 ; 4-byte Folded Reload
	s_waitcnt vmcnt(1)
	v_cmp_lt_i32_e32 vcc, v63, v0
	s_waitcnt vmcnt(0)
	v_cndmask_b32_e32 v1, 0, v1, vcc
	buffer_store_dword v1, off, s[0:3], s32 offset:352 ; 4-byte Folded Spill
	v_add_u32_e32 v1, -6, v49
	v_cmp_lt_i32_e32 vcc, v1, v0
	buffer_load_dword v1, off, s[0:3], s32 offset:356 ; 4-byte Folded Reload
	s_waitcnt vmcnt(0)
	v_cndmask_b32_e32 v1, 0, v1, vcc
	buffer_store_dword v1, off, s[0:3], s32 offset:356 ; 4-byte Folded Spill
	v_add_u32_e32 v1, -5, v49
	v_cmp_lt_i32_e32 vcc, v1, v0
	buffer_load_dword v1, off, s[0:3], s32 offset:340 ; 4-byte Folded Reload
	;; [unrolled: 6-line block ×6, first 2 shown]
	s_waitcnt vmcnt(0)
	v_cndmask_b32_e32 v1, 0, v1, vcc
	v_cmp_lt_i32_e32 vcc, v49, v0
	buffer_load_dword v0, off, s[0:3], s32 offset:348 ; 4-byte Folded Reload
	s_waitcnt vmcnt(0)
	v_cndmask_b32_e32 v0, 0, v0, vcc
	buffer_store_dword v1, off, s[0:3], s32 offset:336 ; 4-byte Folded Spill
	buffer_store_dword v0, off, s[0:3], s32 offset:348 ; 4-byte Folded Spill
.LBB328_1250:                           ;   in Loop: Header=BB328_800 Depth=1
	s_or_b64 exec, exec, s[22:23]
	v_add_co_u32_e32 v0, vcc, 0x1000, v19
	v_addc_co_u32_e32 v1, vcc, 0, v20, vcc
	flat_load_dwordx2 v[21:22], v[0:1] offset:512
	v_mov_b32_e32 v1, 0
	v_mov_b32_e32 v0, 0
	s_waitcnt vmcnt(0) lgkmcnt(0)
	v_cmp_ne_u16_sdwa s[24:25], v21, v15 src0_sel:BYTE_0 src1_sel:DWORD
	s_and_saveexec_b64 s[22:23], s[24:25]
	s_cbranch_execz .LBB328_1256
; %bb.1251:                             ;   in Loop: Header=BB328_800 Depth=1
	v_cmp_ne_u16_sdwa s[26:27], v21, s28 src0_sel:BYTE_0 src1_sel:DWORD
	v_bfrev_b32_e32 v0, 1
	s_and_saveexec_b64 s[24:25], s[26:27]
	s_cbranch_execz .LBB328_1255
; %bb.1252:                             ;   in Loop: Header=BB328_800 Depth=1
	v_and_b32_e32 v10, 0x7f, v21
	v_cmp_ne_u32_e32 vcc, s29, v10
	v_mov_b32_e32 v0, 0x7f800001
	s_and_saveexec_b64 s[26:27], vcc
	s_cbranch_execz .LBB328_1254
; %bb.1253:                             ;   in Loop: Header=BB328_800 Depth=1
	v_and_b32_e32 v0, 7, v21
	v_ffbh_u32_e32 v0, v0
	v_min_u32_e32 v0, 32, v0
	v_lshrrev_b32_e32 v11, 3, v10
	v_cmp_gt_u32_e32 vcc, 8, v10
	v_subrev_u32_e32 v10, 28, v0
	v_sub_u32_e32 v0, 29, v0
	v_cndmask_b32_e32 v10, 0, v10, vcc
	v_cndmask_b32_e32 v0, v11, v0, vcc
	v_lshlrev_b64 v[10:11], v10, v[21:22]
	v_lshlrev_b32_e32 v11, 24, v21
	v_lshlrev_b32_e32 v10, 20, v10
	v_bfrev_b32_e32 v12, 60
	v_and_b32_e32 v10, 0x700000, v10
	v_and_b32_e32 v11, 0x80000000, v11
	v_lshl_add_u32 v0, v0, 23, v12
	v_or3_b32 v0, v11, v0, v10
.LBB328_1254:                           ;   in Loop: Header=BB328_800 Depth=1
	s_or_b64 exec, exec, s[26:27]
.LBB328_1255:                           ;   in Loop: Header=BB328_800 Depth=1
	s_or_b64 exec, exec, s[24:25]
.LBB328_1256:                           ;   in Loop: Header=BB328_800 Depth=1
	s_or_b64 exec, exec, s[22:23]
	v_lshrrev_b16_e32 v14, 8, v21
	v_cmp_ne_u16_e32 vcc, 0, v14
	s_and_saveexec_b64 s[22:23], vcc
	s_cbranch_execz .LBB328_1262
; %bb.1257:                             ;   in Loop: Header=BB328_800 Depth=1
	v_cmp_ne_u16_e32 vcc, s28, v14
	v_bfrev_b32_e32 v1, 1
	s_and_saveexec_b64 s[24:25], vcc
	s_cbranch_execz .LBB328_1261
; %bb.1258:                             ;   in Loop: Header=BB328_800 Depth=1
	v_and_b32_e32 v10, 0x7f, v14
	v_cmp_ne_u32_e32 vcc, s29, v10
	v_mov_b32_e32 v1, 0x7f800001
	s_and_saveexec_b64 s[26:27], vcc
	s_cbranch_execz .LBB328_1260
; %bb.1259:                             ;   in Loop: Header=BB328_800 Depth=1
	v_and_b32_e32 v1, 7, v14
	v_lshrrev_b32_e32 v12, 3, v10
	v_cmp_gt_u32_e32 vcc, 8, v10
	v_ffbh_u32_e32 v10, v1
	v_min_u32_e32 v13, 32, v10
	v_subrev_u32_e32 v10, 28, v13
	v_lshlrev_b64 v[10:11], v10, v[14:15]
	v_sub_u32_e32 v11, 29, v13
	v_and_b32_e32 v10, 7, v10
	v_cndmask_b32_e32 v11, v12, v11, vcc
	v_cndmask_b32_e32 v1, v1, v10, vcc
	v_lshlrev_b32_e32 v10, 16, v21
	v_bfrev_b32_e32 v12, 60
	v_lshlrev_b32_e32 v1, 20, v1
	v_and_b32_e32 v10, 0x80000000, v10
	v_lshl_add_u32 v11, v11, 23, v12
	v_or3_b32 v1, v10, v11, v1
.LBB328_1260:                           ;   in Loop: Header=BB328_800 Depth=1
	s_or_b64 exec, exec, s[26:27]
.LBB328_1261:                           ;   in Loop: Header=BB328_800 Depth=1
	s_or_b64 exec, exec, s[24:25]
.LBB328_1262:                           ;   in Loop: Header=BB328_800 Depth=1
	s_or_b64 exec, exec, s[22:23]
	v_lshrrev_b32_e32 v14, 16, v21
	v_cmp_ne_u16_sdwa s[24:25], v14, v15 src0_sel:BYTE_0 src1_sel:DWORD
	v_mov_b32_e32 v12, 0
	v_mov_b32_e32 v11, 0
	s_and_saveexec_b64 s[22:23], s[24:25]
	s_cbranch_execz .LBB328_1268
; %bb.1263:                             ;   in Loop: Header=BB328_800 Depth=1
	v_cmp_ne_u16_sdwa s[26:27], v14, s28 src0_sel:BYTE_0 src1_sel:DWORD
	v_bfrev_b32_e32 v11, 1
	s_and_saveexec_b64 s[24:25], s[26:27]
	s_cbranch_execz .LBB328_1267
; %bb.1264:                             ;   in Loop: Header=BB328_800 Depth=1
	v_bfe_u32 v10, v21, 16, 7
	v_cmp_ne_u32_e32 vcc, s29, v10
	v_mov_b32_e32 v11, 0x7f800001
	s_and_saveexec_b64 s[26:27], vcc
	s_cbranch_execz .LBB328_1266
; %bb.1265:                             ;   in Loop: Header=BB328_800 Depth=1
	v_and_b32_e32 v13, 7, v14
	v_lshrrev_b32_e32 v18, 3, v10
	v_cmp_gt_u32_e32 vcc, 8, v10
	v_ffbh_u32_e32 v10, v13
	v_min_u32_e32 v23, 32, v10
	v_subrev_u32_e32 v10, 28, v23
	v_lshlrev_b64 v[10:11], v10, v[14:15]
	v_sub_u32_e32 v11, 29, v23
	v_and_b32_e32 v10, 7, v10
	v_cndmask_b32_e32 v11, v18, v11, vcc
	v_cndmask_b32_e32 v10, v13, v10, vcc
	v_lshlrev_b32_e32 v13, 24, v14
	v_bfrev_b32_e32 v14, 60
	v_lshlrev_b32_e32 v10, 20, v10
	v_and_b32_e32 v13, 0x80000000, v13
	v_lshl_add_u32 v11, v11, 23, v14
	v_or3_b32 v11, v13, v11, v10
.LBB328_1266:                           ;   in Loop: Header=BB328_800 Depth=1
	s_or_b64 exec, exec, s[26:27]
.LBB328_1267:                           ;   in Loop: Header=BB328_800 Depth=1
	s_or_b64 exec, exec, s[24:25]
.LBB328_1268:                           ;   in Loop: Header=BB328_800 Depth=1
	s_or_b64 exec, exec, s[22:23]
	v_cmp_lt_u32_e32 vcc, s11, v21
	s_and_saveexec_b64 s[22:23], vcc
	s_cbranch_execz .LBB328_1274
; %bb.1269:                             ;   in Loop: Header=BB328_800 Depth=1
	v_lshrrev_b32_e32 v14, 24, v21
	v_cmp_ne_u32_e32 vcc, s28, v14
	v_bfrev_b32_e32 v12, 1
	s_and_saveexec_b64 s[24:25], vcc
	s_cbranch_execz .LBB328_1273
; %bb.1270:                             ;   in Loop: Header=BB328_800 Depth=1
	v_bfe_u32 v10, v21, 24, 7
	v_cmp_ne_u32_e32 vcc, s29, v10
	v_mov_b32_e32 v12, 0x7f800001
	s_and_saveexec_b64 s[26:27], vcc
	s_cbranch_execz .LBB328_1272
; %bb.1271:                             ;   in Loop: Header=BB328_800 Depth=1
	v_and_b32_e32 v18, 7, v14
	v_lshrrev_b32_e32 v23, 3, v10
	v_cmp_gt_u32_e32 vcc, 8, v10
	v_ffbh_u32_e32 v10, v18
	v_min_u32_e32 v10, 32, v10
	v_subrev_u32_e32 v12, 28, v10
	v_lshlrev_b64 v[12:13], v12, v[14:15]
	v_sub_u32_e32 v10, 29, v10
	v_and_b32_e32 v12, 7, v12
	v_cndmask_b32_e32 v10, v23, v10, vcc
	v_cndmask_b32_e32 v12, v18, v12, vcc
	v_lshlrev_b32_e32 v13, 24, v14
	v_bfrev_b32_e32 v14, 60
	v_lshlrev_b32_e32 v12, 20, v12
	v_and_b32_e32 v13, 0x80000000, v13
	v_lshl_add_u32 v10, v10, 23, v14
	v_or3_b32 v12, v13, v10, v12
.LBB328_1272:                           ;   in Loop: Header=BB328_800 Depth=1
	s_or_b64 exec, exec, s[26:27]
.LBB328_1273:                           ;   in Loop: Header=BB328_800 Depth=1
	s_or_b64 exec, exec, s[24:25]
.LBB328_1274:                           ;   in Loop: Header=BB328_800 Depth=1
	s_or_b64 exec, exec, s[22:23]
	v_mov_b32_e32 v14, v22
	v_cmp_ne_u16_sdwa s[24:25], v22, v15 src0_sel:BYTE_0 src1_sel:DWORD
	v_mov_b32_e32 v18, 0
	v_mov_b32_e32 v13, 0
	s_and_saveexec_b64 s[22:23], s[24:25]
	s_cbranch_execz .LBB328_1280
; %bb.1275:                             ;   in Loop: Header=BB328_800 Depth=1
	v_cmp_ne_u16_sdwa s[26:27], v22, s28 src0_sel:BYTE_0 src1_sel:DWORD
	v_bfrev_b32_e32 v13, 1
	s_and_saveexec_b64 s[24:25], s[26:27]
	s_cbranch_execz .LBB328_1279
; %bb.1276:                             ;   in Loop: Header=BB328_800 Depth=1
	v_and_b32_e32 v10, 0x7f, v22
	v_cmp_ne_u32_e32 vcc, s29, v10
	v_mov_b32_e32 v13, 0x7f800001
	s_and_saveexec_b64 s[26:27], vcc
	s_cbranch_execz .LBB328_1278
; %bb.1277:                             ;   in Loop: Header=BB328_800 Depth=1
	v_and_b32_e32 v13, 7, v22
	v_lshrrev_b32_e32 v23, 3, v10
	v_cmp_gt_u32_e32 vcc, 8, v10
	v_ffbh_u32_e32 v10, v13
	v_min_u32_e32 v10, 32, v10
	v_subrev_u32_e32 v13, 28, v10
	v_sub_u32_e32 v10, 29, v10
	v_cndmask_b32_e32 v13, 0, v13, vcc
	v_cndmask_b32_e32 v10, v23, v10, vcc
	v_lshlrev_b64 v[23:24], v13, v[14:15]
	v_bfrev_b32_e32 v24, 60
	v_lshlrev_b32_e32 v13, 20, v23
	v_lshlrev_b32_e32 v23, 24, v14
	v_and_b32_e32 v13, 0x700000, v13
	v_and_b32_e32 v23, 0x80000000, v23
	v_lshl_add_u32 v10, v10, 23, v24
	v_or3_b32 v13, v23, v10, v13
.LBB328_1278:                           ;   in Loop: Header=BB328_800 Depth=1
	s_or_b64 exec, exec, s[26:27]
.LBB328_1279:                           ;   in Loop: Header=BB328_800 Depth=1
	s_or_b64 exec, exec, s[24:25]
.LBB328_1280:                           ;   in Loop: Header=BB328_800 Depth=1
	s_or_b64 exec, exec, s[22:23]
	v_lshrrev_b16_e32 v23, 8, v14
	v_cmp_ne_u16_e32 vcc, 0, v23
	s_and_saveexec_b64 s[22:23], vcc
	s_cbranch_execz .LBB328_1286
; %bb.1281:                             ;   in Loop: Header=BB328_800 Depth=1
	v_cmp_ne_u16_e32 vcc, s28, v23
	v_bfrev_b32_e32 v18, 1
	s_and_saveexec_b64 s[24:25], vcc
	s_cbranch_execz .LBB328_1285
; %bb.1282:                             ;   in Loop: Header=BB328_800 Depth=1
	v_and_b32_e32 v10, 0x7f, v23
	v_cmp_ne_u32_e32 vcc, s29, v10
	v_mov_b32_e32 v18, 0x7f800001
	s_and_saveexec_b64 s[26:27], vcc
	s_cbranch_execz .LBB328_1284
; %bb.1283:                             ;   in Loop: Header=BB328_800 Depth=1
	v_and_b32_e32 v18, 7, v23
	v_lshrrev_b32_e32 v25, 3, v10
	v_cmp_gt_u32_e32 vcc, 8, v10
	v_ffbh_u32_e32 v10, v18
	v_min_u32_e32 v10, 32, v10
	v_subrev_u32_e32 v24, 28, v10
	v_lshlrev_b64 v[23:24], v24, v[23:24]
	v_sub_u32_e32 v10, 29, v10
	v_and_b32_e32 v23, 7, v23
	v_cndmask_b32_e32 v10, v25, v10, vcc
	v_cndmask_b32_e32 v18, v18, v23, vcc
	v_lshlrev_b32_e32 v14, 16, v14
	v_bfrev_b32_e32 v23, 60
	v_lshlrev_b32_e32 v18, 20, v18
	v_and_b32_e32 v14, 0x80000000, v14
	v_lshl_add_u32 v10, v10, 23, v23
	v_or3_b32 v18, v14, v10, v18
.LBB328_1284:                           ;   in Loop: Header=BB328_800 Depth=1
	s_or_b64 exec, exec, s[26:27]
.LBB328_1285:                           ;   in Loop: Header=BB328_800 Depth=1
	s_or_b64 exec, exec, s[24:25]
.LBB328_1286:                           ;   in Loop: Header=BB328_800 Depth=1
	s_or_b64 exec, exec, s[22:23]
	v_lshrrev_b32_e32 v14, 16, v22
	v_cmp_ne_u16_sdwa s[24:25], v14, v15 src0_sel:BYTE_0 src1_sel:DWORD
	v_mov_b32_e32 v23, 0
	v_mov_b32_e32 v10, 0
	s_and_saveexec_b64 s[22:23], s[24:25]
	s_cbranch_execz .LBB328_1292
; %bb.1287:                             ;   in Loop: Header=BB328_800 Depth=1
	v_cmp_ne_u16_sdwa s[26:27], v14, s28 src0_sel:BYTE_0 src1_sel:DWORD
	v_bfrev_b32_e32 v10, 1
	s_and_saveexec_b64 s[24:25], s[26:27]
	s_cbranch_execz .LBB328_1291
; %bb.1288:                             ;   in Loop: Header=BB328_800 Depth=1
	v_bfe_u32 v24, v22, 16, 7
	v_cmp_ne_u32_e32 vcc, s29, v24
	v_mov_b32_e32 v10, 0x7f800001
	s_and_saveexec_b64 s[26:27], vcc
	s_cbranch_execz .LBB328_1290
; %bb.1289:                             ;   in Loop: Header=BB328_800 Depth=1
	v_and_b32_e32 v10, 7, v14
	v_lshrrev_b32_e32 v26, 3, v24
	v_cmp_gt_u32_e32 vcc, 8, v24
	v_ffbh_u32_e32 v24, v10
	v_min_u32_e32 v27, 32, v24
	v_subrev_u32_e32 v24, 28, v27
	v_lshlrev_b64 v[24:25], v24, v[14:15]
	v_sub_u32_e32 v25, 29, v27
	v_and_b32_e32 v24, 7, v24
	v_cndmask_b32_e32 v25, v26, v25, vcc
	v_cndmask_b32_e32 v10, v10, v24, vcc
	v_lshlrev_b32_e32 v14, 24, v14
	v_bfrev_b32_e32 v24, 60
	v_lshlrev_b32_e32 v10, 20, v10
	v_and_b32_e32 v14, 0x80000000, v14
	v_lshl_add_u32 v24, v25, 23, v24
	v_or3_b32 v10, v14, v24, v10
.LBB328_1290:                           ;   in Loop: Header=BB328_800 Depth=1
	s_or_b64 exec, exec, s[26:27]
.LBB328_1291:                           ;   in Loop: Header=BB328_800 Depth=1
	s_or_b64 exec, exec, s[24:25]
.LBB328_1292:                           ;   in Loop: Header=BB328_800 Depth=1
	s_or_b64 exec, exec, s[22:23]
	v_cmp_lt_u64_e32 vcc, s[10:11], v[21:22]
	s_and_saveexec_b64 s[22:23], vcc
	s_cbranch_execz .LBB328_1298
; %bb.1293:                             ;   in Loop: Header=BB328_800 Depth=1
	v_lshrrev_b32_e32 v14, 24, v22
	v_cmp_ne_u32_e32 vcc, s28, v14
	v_bfrev_b32_e32 v23, 1
	s_and_saveexec_b64 s[24:25], vcc
	s_cbranch_execz .LBB328_1297
; %bb.1294:                             ;   in Loop: Header=BB328_800 Depth=1
	v_bfe_u32 v21, v22, 24, 7
	v_cmp_ne_u32_e32 vcc, s29, v21
	v_mov_b32_e32 v23, 0x7f800001
	s_and_saveexec_b64 s[26:27], vcc
	s_cbranch_execz .LBB328_1296
; %bb.1295:                             ;   in Loop: Header=BB328_800 Depth=1
	v_and_b32_e32 v23, 7, v14
	v_lshrrev_b32_e32 v24, 3, v21
	v_cmp_gt_u32_e32 vcc, 8, v21
	v_ffbh_u32_e32 v21, v23
	v_min_u32_e32 v25, 32, v21
	v_subrev_u32_e32 v21, 28, v25
	v_lshlrev_b64 v[21:22], v21, v[14:15]
	v_sub_u32_e32 v22, 29, v25
	v_and_b32_e32 v21, 7, v21
	v_cndmask_b32_e32 v22, v24, v22, vcc
	v_cndmask_b32_e32 v21, v23, v21, vcc
	v_lshlrev_b32_e32 v14, 24, v14
	v_bfrev_b32_e32 v23, 60
	v_lshlrev_b32_e32 v21, 20, v21
	v_and_b32_e32 v14, 0x80000000, v14
	v_lshl_add_u32 v22, v22, 23, v23
	v_or3_b32 v23, v14, v22, v21
.LBB328_1296:                           ;   in Loop: Header=BB328_800 Depth=1
	s_or_b64 exec, exec, s[26:27]
.LBB328_1297:                           ;   in Loop: Header=BB328_800 Depth=1
	s_or_b64 exec, exec, s[24:25]
.LBB328_1298:                           ;   in Loop: Header=BB328_800 Depth=1
	s_or_b64 exec, exec, s[22:23]
	v_mul_f32_e32 v14, v40, v18
	v_bfe_u32 v18, v14, 16, 1
	v_add3_u32 v18, v18, v14, s40
	v_or_b32_e32 v21, 0x400000, v14
	v_cmp_u_f32_e32 vcc, v14, v14
	v_cndmask_b32_e32 v14, v18, v21, vcc
	v_lshrrev_b32_e32 v14, 16, v14
	v_mul_f32_e32 v13, v40, v13
	buffer_store_dword v14, off, s[0:3], s32 offset:364 ; 4-byte Folded Spill
	v_bfe_u32 v14, v13, 16, 1
	v_add3_u32 v14, v14, v13, s40
	v_or_b32_e32 v18, 0x400000, v13
	v_cmp_u_f32_e32 vcc, v13, v13
	v_cndmask_b32_e32 v13, v14, v18, vcc
	v_lshrrev_b32_e32 v13, 16, v13
	v_mul_f32_e32 v12, v40, v12
	buffer_store_dword v13, off, s[0:3], s32 offset:360 ; 4-byte Folded Spill
	v_bfe_u32 v13, v12, 16, 1
	v_add3_u32 v13, v13, v12, s40
	v_or_b32_e32 v14, 0x400000, v12
	v_cmp_u_f32_e32 vcc, v12, v12
	v_cndmask_b32_e32 v12, v13, v14, vcc
	v_lshrrev_b32_e32 v12, 16, v12
	v_mul_f32_e32 v11, v40, v11
	buffer_store_dword v12, off, s[0:3], s32 offset:380 ; 4-byte Folded Spill
	v_bfe_u32 v12, v11, 16, 1
	v_add3_u32 v12, v12, v11, s40
	v_or_b32_e32 v13, 0x400000, v11
	v_cmp_u_f32_e32 vcc, v11, v11
	v_cndmask_b32_e32 v11, v12, v13, vcc
	v_lshrrev_b32_e32 v11, 16, v11
	v_mul_f32_e32 v1, v40, v1
	buffer_store_dword v11, off, s[0:3], s32 offset:372 ; 4-byte Folded Spill
	v_bfe_u32 v11, v1, 16, 1
	v_add3_u32 v11, v11, v1, s40
	v_or_b32_e32 v12, 0x400000, v1
	v_cmp_u_f32_e32 vcc, v1, v1
	v_cndmask_b32_e32 v1, v11, v12, vcc
	v_lshrrev_b32_e32 v1, 16, v1
	v_mul_f32_e32 v0, v40, v0
	buffer_store_dword v1, off, s[0:3], s32 offset:392 ; 4-byte Folded Spill
	v_bfe_u32 v1, v0, 16, 1
	v_add3_u32 v1, v1, v0, s40
	v_or_b32_e32 v11, 0x400000, v0
	v_cmp_u_f32_e32 vcc, v0, v0
	v_cndmask_b32_e32 v0, v1, v11, vcc
	v_lshrrev_b32_e32 v0, 16, v0
	buffer_store_dword v0, off, s[0:3], s32 offset:388 ; 4-byte Folded Spill
	v_mul_f32_e32 v0, v40, v10
	v_bfe_u32 v1, v0, 16, 1
	v_add3_u32 v1, v1, v0, s40
	v_or_b32_e32 v10, 0x400000, v0
	v_cmp_u_f32_e32 vcc, v0, v0
	v_cndmask_b32_e32 v0, v1, v10, vcc
	v_lshrrev_b32_e32 v0, 16, v0
	buffer_store_dword v0, off, s[0:3], s32 offset:368 ; 4-byte Folded Spill
	v_mul_f32_e32 v0, v40, v23
	v_bfe_u32 v1, v0, 16, 1
	v_add3_u32 v1, v1, v0, s40
	v_or_b32_e32 v10, 0x400000, v0
	v_cmp_u_f32_e32 vcc, v0, v0
	v_cndmask_b32_e32 v0, v1, v10, vcc
	v_lshrrev_b32_e32 v0, 16, v0
	buffer_store_dword v0, off, s[0:3], s32 offset:384 ; 4-byte Folded Spill
	s_and_saveexec_b64 s[22:23], s[6:7]
	s_cbranch_execz .LBB328_1300
; %bb.1299:                             ;   in Loop: Header=BB328_800 Depth=1
	buffer_load_dword v0, off, s[0:3], s32 offset:68 ; 4-byte Folded Reload
	buffer_load_dword v1, off, s[0:3], s32 offset:388 ; 4-byte Folded Reload
	s_waitcnt vmcnt(1)
	v_cmp_lt_i32_e32 vcc, v63, v0
	s_waitcnt vmcnt(0)
	v_cndmask_b32_e32 v1, 0, v1, vcc
	buffer_store_dword v1, off, s[0:3], s32 offset:388 ; 4-byte Folded Spill
	v_add_u32_e32 v1, -6, v49
	v_cmp_lt_i32_e32 vcc, v1, v0
	buffer_load_dword v1, off, s[0:3], s32 offset:392 ; 4-byte Folded Reload
	s_waitcnt vmcnt(0)
	v_cndmask_b32_e32 v1, 0, v1, vcc
	buffer_store_dword v1, off, s[0:3], s32 offset:392 ; 4-byte Folded Spill
	v_add_u32_e32 v1, -5, v49
	v_cmp_lt_i32_e32 vcc, v1, v0
	buffer_load_dword v1, off, s[0:3], s32 offset:372 ; 4-byte Folded Reload
	;; [unrolled: 6-line block ×6, first 2 shown]
	s_waitcnt vmcnt(0)
	v_cndmask_b32_e32 v1, 0, v1, vcc
	v_cmp_lt_i32_e32 vcc, v49, v0
	buffer_load_dword v0, off, s[0:3], s32 offset:384 ; 4-byte Folded Reload
	s_waitcnt vmcnt(0)
	v_cndmask_b32_e32 v0, 0, v0, vcc
	buffer_store_dword v1, off, s[0:3], s32 offset:368 ; 4-byte Folded Spill
	buffer_store_dword v0, off, s[0:3], s32 offset:384 ; 4-byte Folded Spill
.LBB328_1300:                           ;   in Loop: Header=BB328_800 Depth=1
	s_or_b64 exec, exec, s[22:23]
	v_add_co_u32_e32 v0, vcc, 0x1000, v19
	v_addc_co_u32_e32 v1, vcc, 0, v20, vcc
	flat_load_dwordx2 v[21:22], v[0:1] offset:1024
	v_mov_b32_e32 v12, 0
	v_mov_b32_e32 v0, 0
	s_waitcnt vmcnt(0) lgkmcnt(0)
	v_cmp_ne_u16_sdwa s[24:25], v21, v15 src0_sel:BYTE_0 src1_sel:DWORD
	s_and_saveexec_b64 s[22:23], s[24:25]
	s_cbranch_execz .LBB328_1306
; %bb.1301:                             ;   in Loop: Header=BB328_800 Depth=1
	v_cmp_ne_u16_sdwa s[26:27], v21, s28 src0_sel:BYTE_0 src1_sel:DWORD
	v_bfrev_b32_e32 v0, 1
	s_and_saveexec_b64 s[24:25], s[26:27]
	s_cbranch_execz .LBB328_1305
; %bb.1302:                             ;   in Loop: Header=BB328_800 Depth=1
	v_and_b32_e32 v1, 0x7f, v21
	v_cmp_ne_u32_e32 vcc, s29, v1
	v_mov_b32_e32 v0, 0x7f800001
	s_and_saveexec_b64 s[26:27], vcc
	s_cbranch_execz .LBB328_1304
; %bb.1303:                             ;   in Loop: Header=BB328_800 Depth=1
	v_and_b32_e32 v0, 7, v21
	v_ffbh_u32_e32 v0, v0
	v_min_u32_e32 v0, 32, v0
	v_lshrrev_b32_e32 v10, 3, v1
	v_cmp_gt_u32_e32 vcc, 8, v1
	v_subrev_u32_e32 v1, 28, v0
	v_sub_u32_e32 v0, 29, v0
	v_cndmask_b32_e32 v10, v10, v0, vcc
	v_cndmask_b32_e32 v0, 0, v1, vcc
	v_lshlrev_b64 v[0:1], v0, v[21:22]
	v_lshlrev_b32_e32 v1, 24, v21
	v_lshlrev_b32_e32 v0, 20, v0
	v_bfrev_b32_e32 v11, 60
	v_and_b32_e32 v0, 0x700000, v0
	v_and_b32_e32 v1, 0x80000000, v1
	v_lshl_add_u32 v10, v10, 23, v11
	v_or3_b32 v0, v1, v10, v0
.LBB328_1304:                           ;   in Loop: Header=BB328_800 Depth=1
	s_or_b64 exec, exec, s[26:27]
.LBB328_1305:                           ;   in Loop: Header=BB328_800 Depth=1
	s_or_b64 exec, exec, s[24:25]
.LBB328_1306:                           ;   in Loop: Header=BB328_800 Depth=1
	s_or_b64 exec, exec, s[22:23]
	v_lshrrev_b16_e32 v14, 8, v21
	v_cmp_ne_u16_e32 vcc, 0, v14
	s_and_saveexec_b64 s[22:23], vcc
	s_cbranch_execz .LBB328_1312
; %bb.1307:                             ;   in Loop: Header=BB328_800 Depth=1
	v_cmp_ne_u16_e32 vcc, s28, v14
	v_bfrev_b32_e32 v12, 1
	s_and_saveexec_b64 s[24:25], vcc
	s_cbranch_execz .LBB328_1311
; %bb.1308:                             ;   in Loop: Header=BB328_800 Depth=1
	v_and_b32_e32 v1, 0x7f, v14
	v_cmp_ne_u32_e32 vcc, s29, v1
	v_mov_b32_e32 v12, 0x7f800001
	s_and_saveexec_b64 s[26:27], vcc
	s_cbranch_execz .LBB328_1310
; %bb.1309:                             ;   in Loop: Header=BB328_800 Depth=1
	v_and_b32_e32 v12, 7, v14
	v_lshrrev_b32_e32 v13, 3, v1
	v_cmp_gt_u32_e32 vcc, 8, v1
	v_ffbh_u32_e32 v1, v12
	v_min_u32_e32 v1, 32, v1
	v_subrev_u32_e32 v10, 28, v1
	v_lshlrev_b64 v[10:11], v10, v[14:15]
	v_sub_u32_e32 v1, 29, v1
	v_and_b32_e32 v10, 7, v10
	v_cndmask_b32_e32 v1, v13, v1, vcc
	v_cndmask_b32_e32 v10, v12, v10, vcc
	v_lshlrev_b32_e32 v11, 16, v21
	v_bfrev_b32_e32 v12, 60
	v_lshlrev_b32_e32 v10, 20, v10
	v_and_b32_e32 v11, 0x80000000, v11
	v_lshl_add_u32 v1, v1, 23, v12
	v_or3_b32 v12, v11, v1, v10
.LBB328_1310:                           ;   in Loop: Header=BB328_800 Depth=1
	s_or_b64 exec, exec, s[26:27]
.LBB328_1311:                           ;   in Loop: Header=BB328_800 Depth=1
	s_or_b64 exec, exec, s[24:25]
.LBB328_1312:                           ;   in Loop: Header=BB328_800 Depth=1
	s_or_b64 exec, exec, s[22:23]
	v_lshrrev_b32_e32 v14, 16, v21
	v_cmp_ne_u16_sdwa s[24:25], v14, v15 src0_sel:BYTE_0 src1_sel:DWORD
	v_mov_b32_e32 v1, 0
	v_mov_b32_e32 v11, 0
	s_and_saveexec_b64 s[22:23], s[24:25]
	s_cbranch_execz .LBB328_1318
; %bb.1313:                             ;   in Loop: Header=BB328_800 Depth=1
	v_cmp_ne_u16_sdwa s[26:27], v14, s28 src0_sel:BYTE_0 src1_sel:DWORD
	v_bfrev_b32_e32 v11, 1
	s_and_saveexec_b64 s[24:25], s[26:27]
	s_cbranch_execz .LBB328_1317
; %bb.1314:                             ;   in Loop: Header=BB328_800 Depth=1
	v_bfe_u32 v10, v21, 16, 7
	v_cmp_ne_u32_e32 vcc, s29, v10
	v_mov_b32_e32 v11, 0x7f800001
	s_and_saveexec_b64 s[26:27], vcc
	s_cbranch_execz .LBB328_1316
; %bb.1315:                             ;   in Loop: Header=BB328_800 Depth=1
	v_and_b32_e32 v13, 7, v14
	v_lshrrev_b32_e32 v18, 3, v10
	v_cmp_gt_u32_e32 vcc, 8, v10
	v_ffbh_u32_e32 v10, v13
	v_min_u32_e32 v23, 32, v10
	v_subrev_u32_e32 v10, 28, v23
	v_lshlrev_b64 v[10:11], v10, v[14:15]
	v_sub_u32_e32 v11, 29, v23
	v_and_b32_e32 v10, 7, v10
	v_cndmask_b32_e32 v11, v18, v11, vcc
	v_cndmask_b32_e32 v10, v13, v10, vcc
	v_lshlrev_b32_e32 v13, 24, v14
	v_bfrev_b32_e32 v14, 60
	v_lshlrev_b32_e32 v10, 20, v10
	v_and_b32_e32 v13, 0x80000000, v13
	v_lshl_add_u32 v11, v11, 23, v14
	v_or3_b32 v11, v13, v11, v10
.LBB328_1316:                           ;   in Loop: Header=BB328_800 Depth=1
	s_or_b64 exec, exec, s[26:27]
.LBB328_1317:                           ;   in Loop: Header=BB328_800 Depth=1
	s_or_b64 exec, exec, s[24:25]
.LBB328_1318:                           ;   in Loop: Header=BB328_800 Depth=1
	s_or_b64 exec, exec, s[22:23]
	v_cmp_lt_u32_e32 vcc, s11, v21
	s_and_saveexec_b64 s[22:23], vcc
	s_cbranch_execz .LBB328_1324
; %bb.1319:                             ;   in Loop: Header=BB328_800 Depth=1
	v_lshrrev_b32_e32 v14, 24, v21
	v_cmp_ne_u32_e32 vcc, s28, v14
	v_bfrev_b32_e32 v1, 1
	s_and_saveexec_b64 s[24:25], vcc
	s_cbranch_execz .LBB328_1323
; %bb.1320:                             ;   in Loop: Header=BB328_800 Depth=1
	v_bfe_u32 v10, v21, 24, 7
	v_cmp_ne_u32_e32 vcc, s29, v10
	v_mov_b32_e32 v1, 0x7f800001
	s_and_saveexec_b64 s[26:27], vcc
	s_cbranch_execz .LBB328_1322
; %bb.1321:                             ;   in Loop: Header=BB328_800 Depth=1
	v_and_b32_e32 v1, 7, v14
	v_lshrrev_b32_e32 v13, 3, v10
	v_cmp_gt_u32_e32 vcc, 8, v10
	v_ffbh_u32_e32 v10, v1
	v_min_u32_e32 v10, 32, v10
	v_subrev_u32_e32 v18, 28, v10
	v_lshlrev_b64 v[23:24], v18, v[14:15]
	v_sub_u32_e32 v10, 29, v10
	v_and_b32_e32 v18, 7, v23
	v_cndmask_b32_e32 v10, v13, v10, vcc
	v_cndmask_b32_e32 v1, v1, v18, vcc
	v_lshlrev_b32_e32 v13, 24, v14
	v_bfrev_b32_e32 v14, 60
	v_lshlrev_b32_e32 v1, 20, v1
	v_and_b32_e32 v13, 0x80000000, v13
	v_lshl_add_u32 v10, v10, 23, v14
	v_or3_b32 v1, v13, v10, v1
.LBB328_1322:                           ;   in Loop: Header=BB328_800 Depth=1
	s_or_b64 exec, exec, s[26:27]
.LBB328_1323:                           ;   in Loop: Header=BB328_800 Depth=1
	s_or_b64 exec, exec, s[24:25]
.LBB328_1324:                           ;   in Loop: Header=BB328_800 Depth=1
	s_or_b64 exec, exec, s[22:23]
	v_mov_b32_e32 v14, v22
	v_cmp_ne_u16_sdwa s[24:25], v22, v15 src0_sel:BYTE_0 src1_sel:DWORD
	v_mov_b32_e32 v18, 0
	v_mov_b32_e32 v13, 0
	s_and_saveexec_b64 s[22:23], s[24:25]
	s_cbranch_execz .LBB328_1330
; %bb.1325:                             ;   in Loop: Header=BB328_800 Depth=1
	v_cmp_ne_u16_sdwa s[26:27], v22, s28 src0_sel:BYTE_0 src1_sel:DWORD
	v_bfrev_b32_e32 v13, 1
	s_and_saveexec_b64 s[24:25], s[26:27]
	s_cbranch_execz .LBB328_1329
; %bb.1326:                             ;   in Loop: Header=BB328_800 Depth=1
	v_and_b32_e32 v10, 0x7f, v22
	v_cmp_ne_u32_e32 vcc, s29, v10
	v_mov_b32_e32 v13, 0x7f800001
	s_and_saveexec_b64 s[26:27], vcc
	s_cbranch_execz .LBB328_1328
; %bb.1327:                             ;   in Loop: Header=BB328_800 Depth=1
	v_and_b32_e32 v13, 7, v22
	v_lshrrev_b32_e32 v23, 3, v10
	v_cmp_gt_u32_e32 vcc, 8, v10
	v_ffbh_u32_e32 v10, v13
	v_min_u32_e32 v10, 32, v10
	v_subrev_u32_e32 v13, 28, v10
	v_sub_u32_e32 v10, 29, v10
	v_cndmask_b32_e32 v13, 0, v13, vcc
	v_cndmask_b32_e32 v10, v23, v10, vcc
	v_lshlrev_b64 v[23:24], v13, v[14:15]
	v_bfrev_b32_e32 v24, 60
	v_lshlrev_b32_e32 v13, 20, v23
	v_lshlrev_b32_e32 v23, 24, v14
	v_and_b32_e32 v13, 0x700000, v13
	v_and_b32_e32 v23, 0x80000000, v23
	v_lshl_add_u32 v10, v10, 23, v24
	v_or3_b32 v13, v23, v10, v13
.LBB328_1328:                           ;   in Loop: Header=BB328_800 Depth=1
	s_or_b64 exec, exec, s[26:27]
.LBB328_1329:                           ;   in Loop: Header=BB328_800 Depth=1
	s_or_b64 exec, exec, s[24:25]
.LBB328_1330:                           ;   in Loop: Header=BB328_800 Depth=1
	s_or_b64 exec, exec, s[22:23]
	v_lshrrev_b16_e32 v23, 8, v14
	v_cmp_ne_u16_e32 vcc, 0, v23
	s_and_saveexec_b64 s[22:23], vcc
	s_cbranch_execz .LBB328_1336
; %bb.1331:                             ;   in Loop: Header=BB328_800 Depth=1
	v_cmp_ne_u16_e32 vcc, s28, v23
	v_bfrev_b32_e32 v18, 1
	s_and_saveexec_b64 s[24:25], vcc
	s_cbranch_execz .LBB328_1335
; %bb.1332:                             ;   in Loop: Header=BB328_800 Depth=1
	v_and_b32_e32 v10, 0x7f, v23
	v_cmp_ne_u32_e32 vcc, s29, v10
	v_mov_b32_e32 v18, 0x7f800001
	s_and_saveexec_b64 s[26:27], vcc
	s_cbranch_execz .LBB328_1334
; %bb.1333:                             ;   in Loop: Header=BB328_800 Depth=1
	v_and_b32_e32 v18, 7, v23
	v_lshrrev_b32_e32 v25, 3, v10
	v_cmp_gt_u32_e32 vcc, 8, v10
	v_ffbh_u32_e32 v10, v18
	v_min_u32_e32 v10, 32, v10
	v_subrev_u32_e32 v24, 28, v10
	v_lshlrev_b64 v[23:24], v24, v[23:24]
	v_sub_u32_e32 v10, 29, v10
	v_and_b32_e32 v23, 7, v23
	v_cndmask_b32_e32 v10, v25, v10, vcc
	v_cndmask_b32_e32 v18, v18, v23, vcc
	v_lshlrev_b32_e32 v14, 16, v14
	v_bfrev_b32_e32 v23, 60
	v_lshlrev_b32_e32 v18, 20, v18
	v_and_b32_e32 v14, 0x80000000, v14
	v_lshl_add_u32 v10, v10, 23, v23
	v_or3_b32 v18, v14, v10, v18
.LBB328_1334:                           ;   in Loop: Header=BB328_800 Depth=1
	s_or_b64 exec, exec, s[26:27]
.LBB328_1335:                           ;   in Loop: Header=BB328_800 Depth=1
	s_or_b64 exec, exec, s[24:25]
.LBB328_1336:                           ;   in Loop: Header=BB328_800 Depth=1
	s_or_b64 exec, exec, s[22:23]
	v_lshrrev_b32_e32 v14, 16, v22
	v_cmp_ne_u16_sdwa s[24:25], v14, v15 src0_sel:BYTE_0 src1_sel:DWORD
	v_mov_b32_e32 v23, 0
	v_mov_b32_e32 v10, 0
	s_and_saveexec_b64 s[22:23], s[24:25]
	s_cbranch_execz .LBB328_1342
; %bb.1337:                             ;   in Loop: Header=BB328_800 Depth=1
	v_cmp_ne_u16_sdwa s[26:27], v14, s28 src0_sel:BYTE_0 src1_sel:DWORD
	v_bfrev_b32_e32 v10, 1
	s_and_saveexec_b64 s[24:25], s[26:27]
	s_cbranch_execz .LBB328_1341
; %bb.1338:                             ;   in Loop: Header=BB328_800 Depth=1
	v_bfe_u32 v24, v22, 16, 7
	v_cmp_ne_u32_e32 vcc, s29, v24
	v_mov_b32_e32 v10, 0x7f800001
	s_and_saveexec_b64 s[26:27], vcc
	s_cbranch_execz .LBB328_1340
; %bb.1339:                             ;   in Loop: Header=BB328_800 Depth=1
	v_and_b32_e32 v10, 7, v14
	v_lshrrev_b32_e32 v26, 3, v24
	v_cmp_gt_u32_e32 vcc, 8, v24
	v_ffbh_u32_e32 v24, v10
	v_min_u32_e32 v27, 32, v24
	v_subrev_u32_e32 v24, 28, v27
	v_lshlrev_b64 v[24:25], v24, v[14:15]
	v_sub_u32_e32 v25, 29, v27
	v_and_b32_e32 v24, 7, v24
	v_cndmask_b32_e32 v25, v26, v25, vcc
	v_cndmask_b32_e32 v10, v10, v24, vcc
	v_lshlrev_b32_e32 v14, 24, v14
	v_bfrev_b32_e32 v24, 60
	v_lshlrev_b32_e32 v10, 20, v10
	v_and_b32_e32 v14, 0x80000000, v14
	v_lshl_add_u32 v24, v25, 23, v24
	v_or3_b32 v10, v14, v24, v10
.LBB328_1340:                           ;   in Loop: Header=BB328_800 Depth=1
	s_or_b64 exec, exec, s[26:27]
.LBB328_1341:                           ;   in Loop: Header=BB328_800 Depth=1
	s_or_b64 exec, exec, s[24:25]
.LBB328_1342:                           ;   in Loop: Header=BB328_800 Depth=1
	s_or_b64 exec, exec, s[22:23]
	v_cmp_lt_u64_e32 vcc, s[10:11], v[21:22]
	s_and_saveexec_b64 s[22:23], vcc
	s_cbranch_execz .LBB328_1348
; %bb.1343:                             ;   in Loop: Header=BB328_800 Depth=1
	v_lshrrev_b32_e32 v14, 24, v22
	v_cmp_ne_u32_e32 vcc, s28, v14
	v_bfrev_b32_e32 v23, 1
	s_and_saveexec_b64 s[24:25], vcc
	s_cbranch_execz .LBB328_1347
; %bb.1344:                             ;   in Loop: Header=BB328_800 Depth=1
	v_bfe_u32 v21, v22, 24, 7
	v_cmp_ne_u32_e32 vcc, s29, v21
	v_mov_b32_e32 v23, 0x7f800001
	s_and_saveexec_b64 s[26:27], vcc
	s_cbranch_execz .LBB328_1346
; %bb.1345:                             ;   in Loop: Header=BB328_800 Depth=1
	v_and_b32_e32 v23, 7, v14
	v_lshrrev_b32_e32 v24, 3, v21
	v_cmp_gt_u32_e32 vcc, 8, v21
	v_ffbh_u32_e32 v21, v23
	v_min_u32_e32 v25, 32, v21
	v_subrev_u32_e32 v21, 28, v25
	v_lshlrev_b64 v[21:22], v21, v[14:15]
	v_sub_u32_e32 v22, 29, v25
	v_and_b32_e32 v21, 7, v21
	v_cndmask_b32_e32 v22, v24, v22, vcc
	v_cndmask_b32_e32 v21, v23, v21, vcc
	v_lshlrev_b32_e32 v14, 24, v14
	v_bfrev_b32_e32 v23, 60
	v_lshlrev_b32_e32 v21, 20, v21
	v_and_b32_e32 v14, 0x80000000, v14
	v_lshl_add_u32 v22, v22, 23, v23
	v_or3_b32 v23, v14, v22, v21
.LBB328_1346:                           ;   in Loop: Header=BB328_800 Depth=1
	s_or_b64 exec, exec, s[26:27]
.LBB328_1347:                           ;   in Loop: Header=BB328_800 Depth=1
	s_or_b64 exec, exec, s[24:25]
.LBB328_1348:                           ;   in Loop: Header=BB328_800 Depth=1
	s_or_b64 exec, exec, s[22:23]
	v_mul_f32_e32 v14, v40, v18
	v_bfe_u32 v18, v14, 16, 1
	v_add3_u32 v18, v18, v14, s40
	v_or_b32_e32 v21, 0x400000, v14
	v_cmp_u_f32_e32 vcc, v14, v14
	v_cndmask_b32_e32 v14, v18, v21, vcc
	v_lshrrev_b32_e32 v14, 16, v14
	v_mul_f32_e32 v13, v40, v13
	buffer_store_dword v14, off, s[0:3], s32 offset:400 ; 4-byte Folded Spill
	v_bfe_u32 v14, v13, 16, 1
	v_add3_u32 v14, v14, v13, s40
	v_or_b32_e32 v18, 0x400000, v13
	v_cmp_u_f32_e32 vcc, v13, v13
	v_cndmask_b32_e32 v13, v14, v18, vcc
	v_lshrrev_b32_e32 v13, 16, v13
	v_mul_f32_e32 v1, v40, v1
	buffer_store_dword v13, off, s[0:3], s32 offset:396 ; 4-byte Folded Spill
	v_bfe_u32 v13, v1, 16, 1
	v_add3_u32 v13, v13, v1, s40
	v_or_b32_e32 v14, 0x400000, v1
	v_cmp_u_f32_e32 vcc, v1, v1
	v_cndmask_b32_e32 v1, v13, v14, vcc
	v_lshrrev_b32_e32 v1, 16, v1
	buffer_store_dword v1, off, s[0:3], s32 offset:412 ; 4-byte Folded Spill
	v_mul_f32_e32 v1, v40, v11
	v_bfe_u32 v11, v1, 16, 1
	v_add3_u32 v11, v11, v1, s40
	v_or_b32_e32 v13, 0x400000, v1
	v_cmp_u_f32_e32 vcc, v1, v1
	v_cndmask_b32_e32 v1, v11, v13, vcc
	v_lshrrev_b32_e32 v1, 16, v1
	buffer_store_dword v1, off, s[0:3], s32 offset:408 ; 4-byte Folded Spill
	v_mul_f32_e32 v1, v40, v12
	v_bfe_u32 v11, v1, 16, 1
	v_add3_u32 v11, v11, v1, s40
	v_or_b32_e32 v12, 0x400000, v1
	v_cmp_u_f32_e32 vcc, v1, v1
	v_cndmask_b32_e32 v1, v11, v12, vcc
	v_mul_f32_e32 v0, v40, v0
	v_lshrrev_b32_e32 v24, 16, v1
	v_bfe_u32 v1, v0, 16, 1
	v_add3_u32 v1, v1, v0, s40
	v_or_b32_e32 v11, 0x400000, v0
	v_cmp_u_f32_e32 vcc, v0, v0
	v_cndmask_b32_e32 v0, v1, v11, vcc
	v_lshrrev_b32_e32 v28, 16, v0
	v_mul_f32_e32 v0, v40, v10
	v_bfe_u32 v1, v0, 16, 1
	v_add3_u32 v1, v1, v0, s40
	v_or_b32_e32 v10, 0x400000, v0
	v_cmp_u_f32_e32 vcc, v0, v0
	v_cndmask_b32_e32 v0, v1, v10, vcc
	v_lshrrev_b32_e32 v0, 16, v0
	buffer_store_dword v0, off, s[0:3], s32 offset:404 ; 4-byte Folded Spill
	v_mul_f32_e32 v0, v40, v23
	v_bfe_u32 v1, v0, 16, 1
	v_add3_u32 v1, v1, v0, s40
	v_or_b32_e32 v10, 0x400000, v0
	v_cmp_u_f32_e32 vcc, v0, v0
	v_cndmask_b32_e32 v0, v1, v10, vcc
	v_lshrrev_b32_e32 v0, 16, v0
	buffer_store_dword v0, off, s[0:3], s32 offset:416 ; 4-byte Folded Spill
	s_and_saveexec_b64 s[22:23], s[6:7]
	s_cbranch_execz .LBB328_1350
; %bb.1349:                             ;   in Loop: Header=BB328_800 Depth=1
	buffer_load_dword v0, off, s[0:3], s32 offset:68 ; 4-byte Folded Reload
	v_add_u32_e32 v1, -6, v49
	s_waitcnt vmcnt(0)
	v_cmp_lt_i32_e32 vcc, v63, v0
	v_cndmask_b32_e32 v28, 0, v28, vcc
	v_cmp_lt_i32_e32 vcc, v1, v0
	v_add_u32_e32 v1, -5, v49
	v_cndmask_b32_e32 v24, 0, v24, vcc
	v_cmp_lt_i32_e32 vcc, v1, v0
	buffer_load_dword v1, off, s[0:3], s32 offset:408 ; 4-byte Folded Reload
	s_waitcnt vmcnt(0)
	v_cndmask_b32_e32 v1, 0, v1, vcc
	buffer_store_dword v1, off, s[0:3], s32 offset:408 ; 4-byte Folded Spill
	v_add_u32_e32 v1, -4, v49
	v_cmp_lt_i32_e32 vcc, v1, v0
	buffer_load_dword v1, off, s[0:3], s32 offset:412 ; 4-byte Folded Reload
	s_waitcnt vmcnt(0)
	v_cndmask_b32_e32 v1, 0, v1, vcc
	buffer_store_dword v1, off, s[0:3], s32 offset:412 ; 4-byte Folded Spill
	v_add_u32_e32 v1, -3, v49
	;; [unrolled: 6-line block ×4, first 2 shown]
	v_cmp_lt_i32_e32 vcc, v1, v0
	buffer_load_dword v1, off, s[0:3], s32 offset:404 ; 4-byte Folded Reload
	s_waitcnt vmcnt(0)
	v_cndmask_b32_e32 v1, 0, v1, vcc
	v_cmp_lt_i32_e32 vcc, v49, v0
	buffer_load_dword v0, off, s[0:3], s32 offset:416 ; 4-byte Folded Reload
	s_waitcnt vmcnt(0)
	v_cndmask_b32_e32 v0, 0, v0, vcc
	buffer_store_dword v1, off, s[0:3], s32 offset:404 ; 4-byte Folded Spill
	buffer_store_dword v0, off, s[0:3], s32 offset:416 ; 4-byte Folded Spill
.LBB328_1350:                           ;   in Loop: Header=BB328_800 Depth=1
	s_or_b64 exec, exec, s[22:23]
	v_add_co_u32_e32 v10, vcc, 0x1000, v19
	v_addc_co_u32_e32 v11, vcc, 0, v20, vcc
	flat_load_dwordx2 v[21:22], v[10:11] offset:1536
	v_mov_b32_e32 v13, 0
	v_mov_b32_e32 v12, 0
	s_waitcnt vmcnt(0) lgkmcnt(0)
	v_cmp_ne_u16_sdwa s[24:25], v21, v15 src0_sel:BYTE_0 src1_sel:DWORD
	s_and_saveexec_b64 s[22:23], s[24:25]
	s_cbranch_execz .LBB328_1356
; %bb.1351:                             ;   in Loop: Header=BB328_800 Depth=1
	v_cmp_ne_u16_sdwa s[26:27], v21, s28 src0_sel:BYTE_0 src1_sel:DWORD
	v_bfrev_b32_e32 v12, 1
	s_and_saveexec_b64 s[24:25], s[26:27]
	s_cbranch_execz .LBB328_1355
; %bb.1352:                             ;   in Loop: Header=BB328_800 Depth=1
	v_and_b32_e32 v10, 0x7f, v21
	v_cmp_ne_u32_e32 vcc, s29, v10
	v_mov_b32_e32 v12, 0x7f800001
	s_and_saveexec_b64 s[26:27], vcc
	s_cbranch_execz .LBB328_1354
; %bb.1353:                             ;   in Loop: Header=BB328_800 Depth=1
	v_and_b32_e32 v0, 7, v21
	v_ffbh_u32_e32 v0, v0
	v_min_u32_e32 v0, 32, v0
	v_lshrrev_b32_e32 v1, 3, v10
	v_cmp_gt_u32_e32 vcc, 8, v10
	v_subrev_u32_e32 v10, 28, v0
	v_sub_u32_e32 v0, 29, v0
	v_cndmask_b32_e32 v0, v1, v0, vcc
	v_cndmask_b32_e32 v1, 0, v10, vcc
	v_lshlrev_b64 v[10:11], v1, v[21:22]
	v_bfrev_b32_e32 v11, 60
	v_lshlrev_b32_e32 v1, 20, v10
	v_lshlrev_b32_e32 v10, 24, v21
	v_and_b32_e32 v1, 0x700000, v1
	v_and_b32_e32 v10, 0x80000000, v10
	v_lshl_add_u32 v0, v0, 23, v11
	v_or3_b32 v12, v10, v0, v1
.LBB328_1354:                           ;   in Loop: Header=BB328_800 Depth=1
	s_or_b64 exec, exec, s[26:27]
.LBB328_1355:                           ;   in Loop: Header=BB328_800 Depth=1
	s_or_b64 exec, exec, s[24:25]
.LBB328_1356:                           ;   in Loop: Header=BB328_800 Depth=1
	s_or_b64 exec, exec, s[22:23]
	v_lshrrev_b16_e32 v14, 8, v21
	v_cmp_ne_u16_e32 vcc, 0, v14
	s_and_saveexec_b64 s[22:23], vcc
	s_cbranch_execz .LBB328_1362
; %bb.1357:                             ;   in Loop: Header=BB328_800 Depth=1
	v_cmp_ne_u16_e32 vcc, s28, v14
	v_bfrev_b32_e32 v13, 1
	s_and_saveexec_b64 s[24:25], vcc
	s_cbranch_execz .LBB328_1361
; %bb.1358:                             ;   in Loop: Header=BB328_800 Depth=1
	v_and_b32_e32 v10, 0x7f, v14
	v_cmp_ne_u32_e32 vcc, s29, v10
	v_mov_b32_e32 v13, 0x7f800001
	s_and_saveexec_b64 s[26:27], vcc
	s_cbranch_execz .LBB328_1360
; %bb.1359:                             ;   in Loop: Header=BB328_800 Depth=1
	v_and_b32_e32 v0, 7, v14
	v_lshrrev_b32_e32 v1, 3, v10
	v_cmp_gt_u32_e32 vcc, 8, v10
	v_ffbh_u32_e32 v10, v0
	v_min_u32_e32 v13, 32, v10
	v_subrev_u32_e32 v10, 28, v13
	v_lshlrev_b64 v[10:11], v10, v[14:15]
	v_sub_u32_e32 v11, 29, v13
	v_and_b32_e32 v10, 7, v10
	v_cndmask_b32_e32 v1, v1, v11, vcc
	v_cndmask_b32_e32 v0, v0, v10, vcc
	v_lshlrev_b32_e32 v10, 16, v21
	v_bfrev_b32_e32 v11, 60
	v_lshlrev_b32_e32 v0, 20, v0
	v_and_b32_e32 v10, 0x80000000, v10
	v_lshl_add_u32 v1, v1, 23, v11
	v_or3_b32 v13, v10, v1, v0
.LBB328_1360:                           ;   in Loop: Header=BB328_800 Depth=1
	s_or_b64 exec, exec, s[26:27]
.LBB328_1361:                           ;   in Loop: Header=BB328_800 Depth=1
	s_or_b64 exec, exec, s[24:25]
.LBB328_1362:                           ;   in Loop: Header=BB328_800 Depth=1
	s_or_b64 exec, exec, s[22:23]
	v_lshrrev_b32_e32 v14, 16, v21
	v_cmp_ne_u16_sdwa s[24:25], v14, v15 src0_sel:BYTE_0 src1_sel:DWORD
	v_mov_b32_e32 v18, 0
	v_mov_b32_e32 v11, 0
	s_and_saveexec_b64 s[22:23], s[24:25]
	s_cbranch_execz .LBB328_1368
; %bb.1363:                             ;   in Loop: Header=BB328_800 Depth=1
	v_cmp_ne_u16_sdwa s[26:27], v14, s28 src0_sel:BYTE_0 src1_sel:DWORD
	v_bfrev_b32_e32 v11, 1
	s_and_saveexec_b64 s[24:25], s[26:27]
	s_cbranch_execz .LBB328_1367
; %bb.1364:                             ;   in Loop: Header=BB328_800 Depth=1
	v_bfe_u32 v10, v21, 16, 7
	v_cmp_ne_u32_e32 vcc, s29, v10
	v_mov_b32_e32 v11, 0x7f800001
	s_and_saveexec_b64 s[26:27], vcc
	s_cbranch_execz .LBB328_1366
; %bb.1365:                             ;   in Loop: Header=BB328_800 Depth=1
	v_and_b32_e32 v0, 7, v14
	v_lshrrev_b32_e32 v1, 3, v10
	v_cmp_gt_u32_e32 vcc, 8, v10
	v_ffbh_u32_e32 v10, v0
	v_min_u32_e32 v23, 32, v10
	v_subrev_u32_e32 v10, 28, v23
	v_lshlrev_b64 v[10:11], v10, v[14:15]
	v_sub_u32_e32 v11, 29, v23
	v_and_b32_e32 v10, 7, v10
	v_cndmask_b32_e32 v1, v1, v11, vcc
	v_cndmask_b32_e32 v0, v0, v10, vcc
	v_lshlrev_b32_e32 v10, 24, v14
	v_bfrev_b32_e32 v11, 60
	v_lshlrev_b32_e32 v0, 20, v0
	v_and_b32_e32 v10, 0x80000000, v10
	v_lshl_add_u32 v1, v1, 23, v11
	v_or3_b32 v11, v10, v1, v0
.LBB328_1366:                           ;   in Loop: Header=BB328_800 Depth=1
	s_or_b64 exec, exec, s[26:27]
.LBB328_1367:                           ;   in Loop: Header=BB328_800 Depth=1
	s_or_b64 exec, exec, s[24:25]
.LBB328_1368:                           ;   in Loop: Header=BB328_800 Depth=1
	s_or_b64 exec, exec, s[22:23]
	v_cmp_lt_u32_e32 vcc, s11, v21
	s_and_saveexec_b64 s[22:23], vcc
	s_cbranch_execz .LBB328_1374
; %bb.1369:                             ;   in Loop: Header=BB328_800 Depth=1
	v_lshrrev_b32_e32 v14, 24, v21
	v_cmp_ne_u32_e32 vcc, s28, v14
	v_bfrev_b32_e32 v18, 1
	s_and_saveexec_b64 s[24:25], vcc
	s_cbranch_execz .LBB328_1373
; %bb.1370:                             ;   in Loop: Header=BB328_800 Depth=1
	v_bfe_u32 v10, v21, 24, 7
	v_cmp_ne_u32_e32 vcc, s29, v10
	v_mov_b32_e32 v18, 0x7f800001
	s_and_saveexec_b64 s[26:27], vcc
	s_cbranch_execz .LBB328_1372
; %bb.1371:                             ;   in Loop: Header=BB328_800 Depth=1
	v_and_b32_e32 v0, 7, v14
	v_lshrrev_b32_e32 v1, 3, v10
	v_cmp_gt_u32_e32 vcc, 8, v10
	v_ffbh_u32_e32 v10, v0
	v_min_u32_e32 v10, 32, v10
	v_subrev_u32_e32 v18, 28, v10
	v_lshlrev_b64 v[25:26], v18, v[14:15]
	v_sub_u32_e32 v10, 29, v10
	v_and_b32_e32 v18, 7, v25
	v_cndmask_b32_e32 v1, v1, v10, vcc
	v_cndmask_b32_e32 v0, v0, v18, vcc
	v_lshlrev_b32_e32 v10, 24, v14
	v_bfrev_b32_e32 v14, 60
	v_lshlrev_b32_e32 v0, 20, v0
	v_and_b32_e32 v10, 0x80000000, v10
	v_lshl_add_u32 v1, v1, 23, v14
	v_or3_b32 v18, v10, v1, v0
.LBB328_1372:                           ;   in Loop: Header=BB328_800 Depth=1
	s_or_b64 exec, exec, s[26:27]
.LBB328_1373:                           ;   in Loop: Header=BB328_800 Depth=1
	s_or_b64 exec, exec, s[24:25]
.LBB328_1374:                           ;   in Loop: Header=BB328_800 Depth=1
	s_or_b64 exec, exec, s[22:23]
	v_mov_b32_e32 v14, v22
	v_cmp_ne_u16_sdwa s[24:25], v22, v15 src0_sel:BYTE_0 src1_sel:DWORD
	v_mov_b32_e32 v27, 0
	v_mov_b32_e32 v26, 0
	s_and_saveexec_b64 s[22:23], s[24:25]
	s_cbranch_execz .LBB328_1380
; %bb.1375:                             ;   in Loop: Header=BB328_800 Depth=1
	v_cmp_ne_u16_sdwa s[26:27], v22, s28 src0_sel:BYTE_0 src1_sel:DWORD
	v_bfrev_b32_e32 v26, 1
	s_and_saveexec_b64 s[24:25], s[26:27]
	s_cbranch_execz .LBB328_1379
; %bb.1376:                             ;   in Loop: Header=BB328_800 Depth=1
	v_and_b32_e32 v10, 0x7f, v22
	v_cmp_ne_u32_e32 vcc, s29, v10
	v_mov_b32_e32 v26, 0x7f800001
	s_and_saveexec_b64 s[26:27], vcc
	s_cbranch_execz .LBB328_1378
; %bb.1377:                             ;   in Loop: Header=BB328_800 Depth=1
	v_and_b32_e32 v0, 7, v22
	v_ffbh_u32_e32 v0, v0
	v_min_u32_e32 v0, 32, v0
	v_lshrrev_b32_e32 v1, 3, v10
	v_cmp_gt_u32_e32 vcc, 8, v10
	v_subrev_u32_e32 v10, 28, v0
	v_sub_u32_e32 v0, 29, v0
	v_cndmask_b32_e32 v0, v1, v0, vcc
	v_cndmask_b32_e32 v1, 0, v10, vcc
	v_lshlrev_b64 v[25:26], v1, v[14:15]
	v_lshlrev_b32_e32 v10, 24, v14
	v_lshlrev_b32_e32 v1, 20, v25
	v_bfrev_b32_e32 v23, 60
	v_and_b32_e32 v1, 0x700000, v1
	v_and_b32_e32 v10, 0x80000000, v10
	v_lshl_add_u32 v0, v0, 23, v23
	v_or3_b32 v26, v10, v0, v1
.LBB328_1378:                           ;   in Loop: Header=BB328_800 Depth=1
	s_or_b64 exec, exec, s[26:27]
.LBB328_1379:                           ;   in Loop: Header=BB328_800 Depth=1
	s_or_b64 exec, exec, s[24:25]
.LBB328_1380:                           ;   in Loop: Header=BB328_800 Depth=1
	s_or_b64 exec, exec, s[22:23]
	v_lshrrev_b16_e32 v23, 8, v14
	v_cmp_ne_u16_e32 vcc, 0, v23
	s_and_saveexec_b64 s[22:23], vcc
	s_cbranch_execz .LBB328_1386
; %bb.1381:                             ;   in Loop: Header=BB328_800 Depth=1
	v_cmp_ne_u16_e32 vcc, s28, v23
	v_bfrev_b32_e32 v27, 1
	s_and_saveexec_b64 s[24:25], vcc
	s_cbranch_execz .LBB328_1385
; %bb.1382:                             ;   in Loop: Header=BB328_800 Depth=1
	v_and_b32_e32 v10, 0x7f, v23
	v_cmp_ne_u32_e32 vcc, s29, v10
	v_mov_b32_e32 v27, 0x7f800001
	s_and_saveexec_b64 s[26:27], vcc
	s_cbranch_execz .LBB328_1384
; %bb.1383:                             ;   in Loop: Header=BB328_800 Depth=1
	v_and_b32_e32 v0, 7, v23
	v_lshrrev_b32_e32 v1, 3, v10
	v_cmp_gt_u32_e32 vcc, 8, v10
	v_ffbh_u32_e32 v10, v0
	v_min_u32_e32 v10, 32, v10
	v_subrev_u32_e32 v25, 28, v10
	v_lshlrev_b64 v[29:30], v25, v[23:24]
	v_sub_u32_e32 v10, 29, v10
	v_and_b32_e32 v23, 7, v29
	v_cndmask_b32_e32 v1, v1, v10, vcc
	v_cndmask_b32_e32 v0, v0, v23, vcc
	v_lshlrev_b32_e32 v10, 16, v14
	v_bfrev_b32_e32 v14, 60
	v_lshlrev_b32_e32 v0, 20, v0
	v_and_b32_e32 v10, 0x80000000, v10
	v_lshl_add_u32 v1, v1, 23, v14
	v_or3_b32 v27, v10, v1, v0
.LBB328_1384:                           ;   in Loop: Header=BB328_800 Depth=1
	s_or_b64 exec, exec, s[26:27]
.LBB328_1385:                           ;   in Loop: Header=BB328_800 Depth=1
	s_or_b64 exec, exec, s[24:25]
.LBB328_1386:                           ;   in Loop: Header=BB328_800 Depth=1
	s_or_b64 exec, exec, s[22:23]
	v_lshrrev_b32_e32 v14, 16, v22
	v_cmp_ne_u16_sdwa s[24:25], v14, v15 src0_sel:BYTE_0 src1_sel:DWORD
	v_mov_b32_e32 v23, 0
	v_mov_b32_e32 v10, 0
	s_and_saveexec_b64 s[22:23], s[24:25]
	s_cbranch_execz .LBB328_1392
; %bb.1387:                             ;   in Loop: Header=BB328_800 Depth=1
	v_cmp_ne_u16_sdwa s[26:27], v14, s28 src0_sel:BYTE_0 src1_sel:DWORD
	v_bfrev_b32_e32 v10, 1
	s_and_saveexec_b64 s[24:25], s[26:27]
	s_cbranch_execz .LBB328_1391
; %bb.1388:                             ;   in Loop: Header=BB328_800 Depth=1
	v_bfe_u32 v25, v22, 16, 7
	v_cmp_ne_u32_e32 vcc, s29, v25
	v_mov_b32_e32 v10, 0x7f800001
	s_and_saveexec_b64 s[26:27], vcc
	s_cbranch_execz .LBB328_1390
; %bb.1389:                             ;   in Loop: Header=BB328_800 Depth=1
	v_and_b32_e32 v0, 7, v14
	v_ffbh_u32_e32 v10, v0
	v_min_u32_e32 v10, 32, v10
	v_lshrrev_b32_e32 v1, 3, v25
	v_cmp_gt_u32_e32 vcc, 8, v25
	v_subrev_u32_e32 v25, 28, v10
	v_lshlrev_b64 v[29:30], v25, v[14:15]
	v_sub_u32_e32 v10, 29, v10
	v_and_b32_e32 v25, 7, v29
	v_cndmask_b32_e32 v1, v1, v10, vcc
	v_cndmask_b32_e32 v0, v0, v25, vcc
	v_lshlrev_b32_e32 v10, 24, v14
	v_bfrev_b32_e32 v14, 60
	v_lshlrev_b32_e32 v0, 20, v0
	v_and_b32_e32 v10, 0x80000000, v10
	v_lshl_add_u32 v1, v1, 23, v14
	v_or3_b32 v10, v10, v1, v0
.LBB328_1390:                           ;   in Loop: Header=BB328_800 Depth=1
	s_or_b64 exec, exec, s[26:27]
.LBB328_1391:                           ;   in Loop: Header=BB328_800 Depth=1
	s_or_b64 exec, exec, s[24:25]
.LBB328_1392:                           ;   in Loop: Header=BB328_800 Depth=1
	s_or_b64 exec, exec, s[22:23]
	v_cmp_lt_u64_e32 vcc, s[10:11], v[21:22]
	s_and_saveexec_b64 s[22:23], vcc
	s_cbranch_execz .LBB328_1398
; %bb.1393:                             ;   in Loop: Header=BB328_800 Depth=1
	v_lshrrev_b32_e32 v14, 24, v22
	v_cmp_ne_u32_e32 vcc, s28, v14
	v_bfrev_b32_e32 v23, 1
	s_and_saveexec_b64 s[24:25], vcc
	s_cbranch_execz .LBB328_1397
; %bb.1394:                             ;   in Loop: Header=BB328_800 Depth=1
	v_bfe_u32 v21, v22, 24, 7
	v_cmp_ne_u32_e32 vcc, s29, v21
	v_mov_b32_e32 v23, 0x7f800001
	s_and_saveexec_b64 s[26:27], vcc
	s_cbranch_execz .LBB328_1396
; %bb.1395:                             ;   in Loop: Header=BB328_800 Depth=1
	v_and_b32_e32 v0, 7, v14
	v_lshrrev_b32_e32 v1, 3, v21
	v_cmp_gt_u32_e32 vcc, 8, v21
	v_ffbh_u32_e32 v21, v0
	v_min_u32_e32 v23, 32, v21
	v_subrev_u32_e32 v21, 28, v23
	v_lshlrev_b64 v[21:22], v21, v[14:15]
	v_sub_u32_e32 v22, 29, v23
	v_and_b32_e32 v21, 7, v21
	v_cndmask_b32_e32 v1, v1, v22, vcc
	v_cndmask_b32_e32 v0, v0, v21, vcc
	v_lshlrev_b32_e32 v14, 24, v14
	v_bfrev_b32_e32 v21, 60
	v_lshlrev_b32_e32 v0, 20, v0
	v_and_b32_e32 v14, 0x80000000, v14
	v_lshl_add_u32 v1, v1, 23, v21
	v_or3_b32 v23, v14, v1, v0
.LBB328_1396:                           ;   in Loop: Header=BB328_800 Depth=1
	s_or_b64 exec, exec, s[26:27]
.LBB328_1397:                           ;   in Loop: Header=BB328_800 Depth=1
	s_or_b64 exec, exec, s[24:25]
.LBB328_1398:                           ;   in Loop: Header=BB328_800 Depth=1
	s_or_b64 exec, exec, s[22:23]
	v_mul_f32_e32 v0, v40, v27
	v_bfe_u32 v1, v0, 16, 1
	v_add3_u32 v1, v1, v0, s40
	v_or_b32_e32 v14, 0x400000, v0
	v_cmp_u_f32_e32 vcc, v0, v0
	v_cndmask_b32_e32 v0, v1, v14, vcc
	v_lshrrev_b32_e32 v39, 16, v0
	v_mul_f32_e32 v0, v40, v26
	v_bfe_u32 v1, v0, 16, 1
	v_add3_u32 v1, v1, v0, s40
	v_or_b32_e32 v14, 0x400000, v0
	v_cmp_u_f32_e32 vcc, v0, v0
	v_cndmask_b32_e32 v0, v1, v14, vcc
	v_lshrrev_b32_e32 v32, 16, v0
	;; [unrolled: 7-line block ×8, first 2 shown]
	s_and_saveexec_b64 s[22:23], s[6:7]
	s_cbranch_execz .LBB328_1400
; %bb.1399:                             ;   in Loop: Header=BB328_800 Depth=1
	buffer_load_dword v0, off, s[0:3], s32 offset:68 ; 4-byte Folded Reload
	v_add_u32_e32 v1, -6, v49
	s_waitcnt vmcnt(0)
	v_cmp_lt_i32_e32 vcc, v63, v0
	v_cndmask_b32_e32 v27, 0, v27, vcc
	v_cmp_lt_i32_e32 vcc, v1, v0
	v_add_u32_e32 v1, -5, v49
	v_cndmask_b32_e32 v62, 0, v62, vcc
	v_cmp_lt_i32_e32 vcc, v1, v0
	v_add_u32_e32 v1, -4, v49
	;; [unrolled: 3-line block ×5, first 2 shown]
	v_cndmask_b32_e32 v39, 0, v39, vcc
	v_cmp_lt_i32_e32 vcc, v1, v0
	v_cndmask_b32_e32 v54, 0, v54, vcc
	v_cmp_lt_i32_e32 vcc, v49, v0
	v_cndmask_b32_e32 v38, 0, v38, vcc
.LBB328_1400:                           ;   in Loop: Header=BB328_800 Depth=1
	s_or_b64 exec, exec, s[22:23]
	v_add_co_u32_e32 v10, vcc, 0x1000, v19
	v_addc_co_u32_e32 v11, vcc, 0, v20, vcc
	flat_load_dwordx2 v[21:22], v[10:11] offset:2048
	v_mov_b32_e32 v13, 0
	v_mov_b32_e32 v12, 0
	s_waitcnt vmcnt(0) lgkmcnt(0)
	v_cmp_ne_u16_sdwa s[24:25], v21, v15 src0_sel:BYTE_0 src1_sel:DWORD
	s_and_saveexec_b64 s[22:23], s[24:25]
	s_cbranch_execz .LBB328_1406
; %bb.1401:                             ;   in Loop: Header=BB328_800 Depth=1
	v_cmp_ne_u16_sdwa s[26:27], v21, s28 src0_sel:BYTE_0 src1_sel:DWORD
	v_bfrev_b32_e32 v12, 1
	s_and_saveexec_b64 s[24:25], s[26:27]
	s_cbranch_execz .LBB328_1405
; %bb.1402:                             ;   in Loop: Header=BB328_800 Depth=1
	v_and_b32_e32 v10, 0x7f, v21
	v_cmp_ne_u32_e32 vcc, s29, v10
	v_mov_b32_e32 v12, 0x7f800001
	s_and_saveexec_b64 s[26:27], vcc
	s_cbranch_execz .LBB328_1404
; %bb.1403:                             ;   in Loop: Header=BB328_800 Depth=1
	v_and_b32_e32 v0, 7, v21
	v_ffbh_u32_e32 v0, v0
	v_min_u32_e32 v0, 32, v0
	v_lshrrev_b32_e32 v1, 3, v10
	v_cmp_gt_u32_e32 vcc, 8, v10
	v_subrev_u32_e32 v10, 28, v0
	v_sub_u32_e32 v0, 29, v0
	v_cndmask_b32_e32 v0, v1, v0, vcc
	v_cndmask_b32_e32 v1, 0, v10, vcc
	v_lshlrev_b64 v[10:11], v1, v[21:22]
	v_bfrev_b32_e32 v11, 60
	v_lshlrev_b32_e32 v1, 20, v10
	v_lshlrev_b32_e32 v10, 24, v21
	v_and_b32_e32 v1, 0x700000, v1
	v_and_b32_e32 v10, 0x80000000, v10
	v_lshl_add_u32 v0, v0, 23, v11
	v_or3_b32 v12, v10, v0, v1
.LBB328_1404:                           ;   in Loop: Header=BB328_800 Depth=1
	s_or_b64 exec, exec, s[26:27]
.LBB328_1405:                           ;   in Loop: Header=BB328_800 Depth=1
	s_or_b64 exec, exec, s[24:25]
.LBB328_1406:                           ;   in Loop: Header=BB328_800 Depth=1
	s_or_b64 exec, exec, s[22:23]
	v_lshrrev_b16_e32 v14, 8, v21
	v_cmp_ne_u16_e32 vcc, 0, v14
	s_and_saveexec_b64 s[22:23], vcc
	s_cbranch_execz .LBB328_1412
; %bb.1407:                             ;   in Loop: Header=BB328_800 Depth=1
	v_cmp_ne_u16_e32 vcc, s28, v14
	v_bfrev_b32_e32 v13, 1
	s_and_saveexec_b64 s[24:25], vcc
	s_cbranch_execz .LBB328_1411
; %bb.1408:                             ;   in Loop: Header=BB328_800 Depth=1
	v_and_b32_e32 v10, 0x7f, v14
	v_cmp_ne_u32_e32 vcc, s29, v10
	v_mov_b32_e32 v13, 0x7f800001
	s_and_saveexec_b64 s[26:27], vcc
	s_cbranch_execz .LBB328_1410
; %bb.1409:                             ;   in Loop: Header=BB328_800 Depth=1
	v_and_b32_e32 v0, 7, v14
	v_lshrrev_b32_e32 v1, 3, v10
	v_cmp_gt_u32_e32 vcc, 8, v10
	v_ffbh_u32_e32 v10, v0
	v_min_u32_e32 v13, 32, v10
	v_subrev_u32_e32 v10, 28, v13
	v_lshlrev_b64 v[10:11], v10, v[14:15]
	v_sub_u32_e32 v11, 29, v13
	v_and_b32_e32 v10, 7, v10
	v_cndmask_b32_e32 v1, v1, v11, vcc
	v_cndmask_b32_e32 v0, v0, v10, vcc
	v_lshlrev_b32_e32 v10, 16, v21
	v_bfrev_b32_e32 v11, 60
	v_lshlrev_b32_e32 v0, 20, v0
	v_and_b32_e32 v10, 0x80000000, v10
	v_lshl_add_u32 v1, v1, 23, v11
	v_or3_b32 v13, v10, v1, v0
.LBB328_1410:                           ;   in Loop: Header=BB328_800 Depth=1
	s_or_b64 exec, exec, s[26:27]
.LBB328_1411:                           ;   in Loop: Header=BB328_800 Depth=1
	s_or_b64 exec, exec, s[24:25]
.LBB328_1412:                           ;   in Loop: Header=BB328_800 Depth=1
	s_or_b64 exec, exec, s[22:23]
	v_lshrrev_b32_e32 v14, 16, v21
	v_cmp_ne_u16_sdwa s[24:25], v14, v15 src0_sel:BYTE_0 src1_sel:DWORD
	v_mov_b32_e32 v18, 0
	v_mov_b32_e32 v11, 0
	s_and_saveexec_b64 s[22:23], s[24:25]
	s_cbranch_execz .LBB328_1418
; %bb.1413:                             ;   in Loop: Header=BB328_800 Depth=1
	v_cmp_ne_u16_sdwa s[26:27], v14, s28 src0_sel:BYTE_0 src1_sel:DWORD
	v_bfrev_b32_e32 v11, 1
	s_and_saveexec_b64 s[24:25], s[26:27]
	s_cbranch_execz .LBB328_1417
; %bb.1414:                             ;   in Loop: Header=BB328_800 Depth=1
	v_bfe_u32 v10, v21, 16, 7
	v_cmp_ne_u32_e32 vcc, s29, v10
	v_mov_b32_e32 v11, 0x7f800001
	s_and_saveexec_b64 s[26:27], vcc
	s_cbranch_execz .LBB328_1416
; %bb.1415:                             ;   in Loop: Header=BB328_800 Depth=1
	v_and_b32_e32 v0, 7, v14
	v_lshrrev_b32_e32 v1, 3, v10
	v_cmp_gt_u32_e32 vcc, 8, v10
	v_ffbh_u32_e32 v10, v0
	v_min_u32_e32 v23, 32, v10
	v_subrev_u32_e32 v10, 28, v23
	v_lshlrev_b64 v[10:11], v10, v[14:15]
	v_sub_u32_e32 v11, 29, v23
	v_and_b32_e32 v10, 7, v10
	v_cndmask_b32_e32 v1, v1, v11, vcc
	v_cndmask_b32_e32 v0, v0, v10, vcc
	v_lshlrev_b32_e32 v10, 24, v14
	v_bfrev_b32_e32 v11, 60
	v_lshlrev_b32_e32 v0, 20, v0
	v_and_b32_e32 v10, 0x80000000, v10
	v_lshl_add_u32 v1, v1, 23, v11
	v_or3_b32 v11, v10, v1, v0
.LBB328_1416:                           ;   in Loop: Header=BB328_800 Depth=1
	s_or_b64 exec, exec, s[26:27]
.LBB328_1417:                           ;   in Loop: Header=BB328_800 Depth=1
	s_or_b64 exec, exec, s[24:25]
.LBB328_1418:                           ;   in Loop: Header=BB328_800 Depth=1
	s_or_b64 exec, exec, s[22:23]
	v_cmp_lt_u32_e32 vcc, s11, v21
	s_and_saveexec_b64 s[22:23], vcc
	s_cbranch_execz .LBB328_1424
; %bb.1419:                             ;   in Loop: Header=BB328_800 Depth=1
	v_lshrrev_b32_e32 v14, 24, v21
	v_cmp_ne_u32_e32 vcc, s28, v14
	v_bfrev_b32_e32 v18, 1
	s_and_saveexec_b64 s[24:25], vcc
	s_cbranch_execz .LBB328_1423
; %bb.1420:                             ;   in Loop: Header=BB328_800 Depth=1
	v_bfe_u32 v10, v21, 24, 7
	v_cmp_ne_u32_e32 vcc, s29, v10
	v_mov_b32_e32 v18, 0x7f800001
	s_and_saveexec_b64 s[26:27], vcc
	s_cbranch_execz .LBB328_1422
; %bb.1421:                             ;   in Loop: Header=BB328_800 Depth=1
	v_and_b32_e32 v0, 7, v14
	v_lshrrev_b32_e32 v1, 3, v10
	v_cmp_gt_u32_e32 vcc, 8, v10
	v_ffbh_u32_e32 v10, v0
	v_min_u32_e32 v10, 32, v10
	v_subrev_u32_e32 v18, 28, v10
	v_lshlrev_b64 v[25:26], v18, v[14:15]
	v_sub_u32_e32 v10, 29, v10
	v_and_b32_e32 v18, 7, v25
	v_cndmask_b32_e32 v1, v1, v10, vcc
	v_cndmask_b32_e32 v0, v0, v18, vcc
	v_lshlrev_b32_e32 v10, 24, v14
	v_bfrev_b32_e32 v14, 60
	v_lshlrev_b32_e32 v0, 20, v0
	v_and_b32_e32 v10, 0x80000000, v10
	v_lshl_add_u32 v1, v1, 23, v14
	v_or3_b32 v18, v10, v1, v0
.LBB328_1422:                           ;   in Loop: Header=BB328_800 Depth=1
	s_or_b64 exec, exec, s[26:27]
.LBB328_1423:                           ;   in Loop: Header=BB328_800 Depth=1
	s_or_b64 exec, exec, s[24:25]
.LBB328_1424:                           ;   in Loop: Header=BB328_800 Depth=1
	s_or_b64 exec, exec, s[22:23]
	v_mov_b32_e32 v14, v22
	v_cmp_ne_u16_sdwa s[24:25], v22, v15 src0_sel:BYTE_0 src1_sel:DWORD
	v_mov_b32_e32 v29, 0
	v_mov_b32_e32 v26, 0
	s_and_saveexec_b64 s[22:23], s[24:25]
	s_cbranch_execz .LBB328_1430
; %bb.1425:                             ;   in Loop: Header=BB328_800 Depth=1
	v_cmp_ne_u16_sdwa s[26:27], v22, s28 src0_sel:BYTE_0 src1_sel:DWORD
	v_bfrev_b32_e32 v26, 1
	s_and_saveexec_b64 s[24:25], s[26:27]
	s_cbranch_execz .LBB328_1429
; %bb.1426:                             ;   in Loop: Header=BB328_800 Depth=1
	v_and_b32_e32 v10, 0x7f, v22
	v_cmp_ne_u32_e32 vcc, s29, v10
	v_mov_b32_e32 v26, 0x7f800001
	s_and_saveexec_b64 s[26:27], vcc
	s_cbranch_execz .LBB328_1428
; %bb.1427:                             ;   in Loop: Header=BB328_800 Depth=1
	v_and_b32_e32 v0, 7, v22
	v_ffbh_u32_e32 v0, v0
	v_min_u32_e32 v0, 32, v0
	v_lshrrev_b32_e32 v1, 3, v10
	v_cmp_gt_u32_e32 vcc, 8, v10
	v_subrev_u32_e32 v10, 28, v0
	v_sub_u32_e32 v0, 29, v0
	v_cndmask_b32_e32 v0, v1, v0, vcc
	v_cndmask_b32_e32 v1, 0, v10, vcc
	v_lshlrev_b64 v[25:26], v1, v[14:15]
	v_lshlrev_b32_e32 v10, 24, v14
	v_lshlrev_b32_e32 v1, 20, v25
	v_bfrev_b32_e32 v23, 60
	v_and_b32_e32 v1, 0x700000, v1
	v_and_b32_e32 v10, 0x80000000, v10
	v_lshl_add_u32 v0, v0, 23, v23
	v_or3_b32 v26, v10, v0, v1
.LBB328_1428:                           ;   in Loop: Header=BB328_800 Depth=1
	s_or_b64 exec, exec, s[26:27]
.LBB328_1429:                           ;   in Loop: Header=BB328_800 Depth=1
	s_or_b64 exec, exec, s[24:25]
.LBB328_1430:                           ;   in Loop: Header=BB328_800 Depth=1
	s_or_b64 exec, exec, s[22:23]
	v_lshrrev_b16_e32 v23, 8, v14
	v_cmp_ne_u16_e32 vcc, 0, v23
	s_and_saveexec_b64 s[22:23], vcc
	s_cbranch_execz .LBB328_1436
; %bb.1431:                             ;   in Loop: Header=BB328_800 Depth=1
	v_cmp_ne_u16_e32 vcc, s28, v23
	v_bfrev_b32_e32 v29, 1
	s_and_saveexec_b64 s[24:25], vcc
	s_cbranch_execz .LBB328_1435
; %bb.1432:                             ;   in Loop: Header=BB328_800 Depth=1
	v_and_b32_e32 v10, 0x7f, v23
	v_cmp_ne_u32_e32 vcc, s29, v10
	v_mov_b32_e32 v29, 0x7f800001
	s_and_saveexec_b64 s[26:27], vcc
	s_cbranch_execz .LBB328_1434
; %bb.1433:                             ;   in Loop: Header=BB328_800 Depth=1
	v_and_b32_e32 v0, 7, v23
	v_lshrrev_b32_e32 v1, 3, v10
	v_cmp_gt_u32_e32 vcc, 8, v10
	v_ffbh_u32_e32 v10, v0
	v_min_u32_e32 v10, 32, v10
	v_subrev_u32_e32 v25, 28, v10
	v_lshlrev_b64 v[29:30], v25, v[23:24]
	v_sub_u32_e32 v10, 29, v10
	v_and_b32_e32 v23, 7, v29
	v_cndmask_b32_e32 v1, v1, v10, vcc
	v_cndmask_b32_e32 v0, v0, v23, vcc
	v_lshlrev_b32_e32 v10, 16, v14
	v_bfrev_b32_e32 v14, 60
	v_lshlrev_b32_e32 v0, 20, v0
	v_and_b32_e32 v10, 0x80000000, v10
	v_lshl_add_u32 v1, v1, 23, v14
	v_or3_b32 v29, v10, v1, v0
.LBB328_1434:                           ;   in Loop: Header=BB328_800 Depth=1
	s_or_b64 exec, exec, s[26:27]
.LBB328_1435:                           ;   in Loop: Header=BB328_800 Depth=1
	s_or_b64 exec, exec, s[24:25]
.LBB328_1436:                           ;   in Loop: Header=BB328_800 Depth=1
	s_or_b64 exec, exec, s[22:23]
	v_lshrrev_b32_e32 v14, 16, v22
	v_cmp_ne_u16_sdwa s[24:25], v14, v15 src0_sel:BYTE_0 src1_sel:DWORD
	v_mov_b32_e32 v23, 0
	v_mov_b32_e32 v10, 0
	s_and_saveexec_b64 s[22:23], s[24:25]
	s_cbranch_execz .LBB328_1442
; %bb.1437:                             ;   in Loop: Header=BB328_800 Depth=1
	v_cmp_ne_u16_sdwa s[26:27], v14, s28 src0_sel:BYTE_0 src1_sel:DWORD
	v_bfrev_b32_e32 v10, 1
	s_and_saveexec_b64 s[24:25], s[26:27]
	s_cbranch_execz .LBB328_1441
; %bb.1438:                             ;   in Loop: Header=BB328_800 Depth=1
	v_bfe_u32 v25, v22, 16, 7
	v_cmp_ne_u32_e32 vcc, s29, v25
	v_mov_b32_e32 v10, 0x7f800001
	s_and_saveexec_b64 s[26:27], vcc
	s_cbranch_execz .LBB328_1440
; %bb.1439:                             ;   in Loop: Header=BB328_800 Depth=1
	v_and_b32_e32 v0, 7, v14
	v_ffbh_u32_e32 v10, v0
	v_min_u32_e32 v10, 32, v10
	v_lshrrev_b32_e32 v1, 3, v25
	v_cmp_gt_u32_e32 vcc, 8, v25
	v_subrev_u32_e32 v25, 28, v10
	v_lshlrev_b64 v[30:31], v25, v[14:15]
	v_sub_u32_e32 v10, 29, v10
	v_and_b32_e32 v25, 7, v30
	v_cndmask_b32_e32 v1, v1, v10, vcc
	v_cndmask_b32_e32 v0, v0, v25, vcc
	v_lshlrev_b32_e32 v10, 24, v14
	v_bfrev_b32_e32 v14, 60
	v_lshlrev_b32_e32 v0, 20, v0
	v_and_b32_e32 v10, 0x80000000, v10
	v_lshl_add_u32 v1, v1, 23, v14
	v_or3_b32 v10, v10, v1, v0
.LBB328_1440:                           ;   in Loop: Header=BB328_800 Depth=1
	s_or_b64 exec, exec, s[26:27]
.LBB328_1441:                           ;   in Loop: Header=BB328_800 Depth=1
	s_or_b64 exec, exec, s[24:25]
.LBB328_1442:                           ;   in Loop: Header=BB328_800 Depth=1
	s_or_b64 exec, exec, s[22:23]
	v_cmp_lt_u64_e32 vcc, s[10:11], v[21:22]
	s_and_saveexec_b64 s[22:23], vcc
	s_cbranch_execz .LBB328_1448
; %bb.1443:                             ;   in Loop: Header=BB328_800 Depth=1
	v_lshrrev_b32_e32 v14, 24, v22
	v_cmp_ne_u32_e32 vcc, s28, v14
	v_bfrev_b32_e32 v23, 1
	s_and_saveexec_b64 s[24:25], vcc
	s_cbranch_execz .LBB328_1447
; %bb.1444:                             ;   in Loop: Header=BB328_800 Depth=1
	v_bfe_u32 v21, v22, 24, 7
	v_cmp_ne_u32_e32 vcc, s29, v21
	v_mov_b32_e32 v23, 0x7f800001
	s_and_saveexec_b64 s[26:27], vcc
	s_cbranch_execz .LBB328_1446
; %bb.1445:                             ;   in Loop: Header=BB328_800 Depth=1
	v_and_b32_e32 v0, 7, v14
	v_lshrrev_b32_e32 v1, 3, v21
	v_cmp_gt_u32_e32 vcc, 8, v21
	v_ffbh_u32_e32 v21, v0
	v_min_u32_e32 v23, 32, v21
	v_subrev_u32_e32 v21, 28, v23
	v_lshlrev_b64 v[21:22], v21, v[14:15]
	v_sub_u32_e32 v22, 29, v23
	v_and_b32_e32 v21, 7, v21
	v_cndmask_b32_e32 v1, v1, v22, vcc
	v_cndmask_b32_e32 v0, v0, v21, vcc
	v_lshlrev_b32_e32 v14, 24, v14
	v_bfrev_b32_e32 v21, 60
	v_lshlrev_b32_e32 v0, 20, v0
	v_and_b32_e32 v14, 0x80000000, v14
	v_lshl_add_u32 v1, v1, 23, v21
	v_or3_b32 v23, v14, v1, v0
.LBB328_1446:                           ;   in Loop: Header=BB328_800 Depth=1
	s_or_b64 exec, exec, s[26:27]
.LBB328_1447:                           ;   in Loop: Header=BB328_800 Depth=1
	s_or_b64 exec, exec, s[24:25]
.LBB328_1448:                           ;   in Loop: Header=BB328_800 Depth=1
	s_or_b64 exec, exec, s[22:23]
	v_mul_f32_e32 v0, v40, v29
	v_bfe_u32 v1, v0, 16, 1
	v_add3_u32 v1, v1, v0, s40
	v_or_b32_e32 v14, 0x400000, v0
	v_cmp_u_f32_e32 vcc, v0, v0
	v_cndmask_b32_e32 v0, v1, v14, vcc
	v_lshrrev_b32_e32 v51, 16, v0
	v_mul_f32_e32 v0, v40, v26
	v_bfe_u32 v1, v0, 16, 1
	v_add3_u32 v1, v1, v0, s40
	v_or_b32_e32 v14, 0x400000, v0
	v_cmp_u_f32_e32 vcc, v0, v0
	v_cndmask_b32_e32 v0, v1, v14, vcc
	v_lshrrev_b32_e32 v48, 16, v0
	;; [unrolled: 7-line block ×8, first 2 shown]
	s_and_saveexec_b64 s[22:23], s[6:7]
	s_cbranch_execz .LBB328_1450
; %bb.1449:                             ;   in Loop: Header=BB328_800 Depth=1
	buffer_load_dword v0, off, s[0:3], s32 offset:68 ; 4-byte Folded Reload
	v_add_u32_e32 v1, -6, v49
	s_waitcnt vmcnt(0)
	v_cmp_lt_i32_e32 vcc, v63, v0
	v_cndmask_b32_e32 v11, 0, v11, vcc
	v_cmp_lt_i32_e32 vcc, v1, v0
	v_add_u32_e32 v1, -5, v49
	v_cndmask_b32_e32 v34, 0, v34, vcc
	v_cmp_lt_i32_e32 vcc, v1, v0
	v_add_u32_e32 v1, -4, v49
	;; [unrolled: 3-line block ×5, first 2 shown]
	v_cndmask_b32_e32 v51, 0, v51, vcc
	v_cmp_lt_i32_e32 vcc, v1, v0
	v_cndmask_b32_e32 v52, 0, v52, vcc
	v_cmp_lt_i32_e32 vcc, v49, v0
	v_cndmask_b32_e32 v36, 0, v36, vcc
.LBB328_1450:                           ;   in Loop: Header=BB328_800 Depth=1
	s_or_b64 exec, exec, s[22:23]
	v_add_co_u32_e32 v12, vcc, 0x1000, v19
	v_addc_co_u32_e32 v13, vcc, 0, v20, vcc
	flat_load_dwordx2 v[21:22], v[12:13] offset:2560
	v_mov_b32_e32 v13, 0
	v_mov_b32_e32 v12, 0
	s_waitcnt vmcnt(0) lgkmcnt(0)
	v_cmp_ne_u16_sdwa s[24:25], v21, v15 src0_sel:BYTE_0 src1_sel:DWORD
	s_and_saveexec_b64 s[22:23], s[24:25]
	s_cbranch_execz .LBB328_1456
; %bb.1451:                             ;   in Loop: Header=BB328_800 Depth=1
	v_cmp_ne_u16_sdwa s[26:27], v21, s28 src0_sel:BYTE_0 src1_sel:DWORD
	v_bfrev_b32_e32 v12, 1
	s_and_saveexec_b64 s[24:25], s[26:27]
	s_cbranch_execz .LBB328_1455
; %bb.1452:                             ;   in Loop: Header=BB328_800 Depth=1
	v_and_b32_e32 v10, 0x7f, v21
	v_cmp_ne_u32_e32 vcc, s29, v10
	v_mov_b32_e32 v12, 0x7f800001
	s_and_saveexec_b64 s[26:27], vcc
	s_cbranch_execz .LBB328_1454
; %bb.1453:                             ;   in Loop: Header=BB328_800 Depth=1
	v_and_b32_e32 v0, 7, v21
	v_ffbh_u32_e32 v0, v0
	v_min_u32_e32 v0, 32, v0
	v_lshrrev_b32_e32 v1, 3, v10
	v_cmp_gt_u32_e32 vcc, 8, v10
	v_subrev_u32_e32 v10, 28, v0
	v_sub_u32_e32 v0, 29, v0
	v_cndmask_b32_e32 v0, v1, v0, vcc
	v_cndmask_b32_e32 v1, 0, v10, vcc
	v_lshlrev_b64 v[25:26], v1, v[21:22]
	v_lshlrev_b32_e32 v10, 24, v21
	v_lshlrev_b32_e32 v1, 20, v25
	v_bfrev_b32_e32 v12, 60
	v_and_b32_e32 v1, 0x700000, v1
	v_and_b32_e32 v10, 0x80000000, v10
	v_lshl_add_u32 v0, v0, 23, v12
	v_or3_b32 v12, v10, v0, v1
.LBB328_1454:                           ;   in Loop: Header=BB328_800 Depth=1
	s_or_b64 exec, exec, s[26:27]
.LBB328_1455:                           ;   in Loop: Header=BB328_800 Depth=1
	s_or_b64 exec, exec, s[24:25]
.LBB328_1456:                           ;   in Loop: Header=BB328_800 Depth=1
	s_or_b64 exec, exec, s[22:23]
	v_lshrrev_b16_e32 v14, 8, v21
	v_cmp_ne_u16_e32 vcc, 0, v14
	s_and_saveexec_b64 s[22:23], vcc
	s_cbranch_execz .LBB328_1462
; %bb.1457:                             ;   in Loop: Header=BB328_800 Depth=1
	v_cmp_ne_u16_e32 vcc, s28, v14
	v_bfrev_b32_e32 v13, 1
	s_and_saveexec_b64 s[24:25], vcc
	s_cbranch_execz .LBB328_1461
; %bb.1458:                             ;   in Loop: Header=BB328_800 Depth=1
	v_and_b32_e32 v10, 0x7f, v14
	v_cmp_ne_u32_e32 vcc, s29, v10
	v_mov_b32_e32 v13, 0x7f800001
	s_and_saveexec_b64 s[26:27], vcc
	s_cbranch_execz .LBB328_1460
; %bb.1459:                             ;   in Loop: Header=BB328_800 Depth=1
	v_and_b32_e32 v0, 7, v14
	v_lshrrev_b32_e32 v1, 3, v10
	v_cmp_gt_u32_e32 vcc, 8, v10
	v_ffbh_u32_e32 v10, v0
	v_min_u32_e32 v10, 32, v10
	v_subrev_u32_e32 v13, 28, v10
	v_lshlrev_b64 v[13:14], v13, v[14:15]
	v_sub_u32_e32 v10, 29, v10
	v_and_b32_e32 v13, 7, v13
	v_cndmask_b32_e32 v1, v1, v10, vcc
	v_cndmask_b32_e32 v0, v0, v13, vcc
	v_lshlrev_b32_e32 v10, 16, v21
	v_bfrev_b32_e32 v13, 60
	v_lshlrev_b32_e32 v0, 20, v0
	v_and_b32_e32 v10, 0x80000000, v10
	v_lshl_add_u32 v1, v1, 23, v13
	v_or3_b32 v13, v10, v1, v0
.LBB328_1460:                           ;   in Loop: Header=BB328_800 Depth=1
	s_or_b64 exec, exec, s[26:27]
.LBB328_1461:                           ;   in Loop: Header=BB328_800 Depth=1
	s_or_b64 exec, exec, s[24:25]
.LBB328_1462:                           ;   in Loop: Header=BB328_800 Depth=1
	s_or_b64 exec, exec, s[22:23]
	v_lshrrev_b32_e32 v14, 16, v21
	v_cmp_ne_u16_sdwa s[24:25], v14, v15 src0_sel:BYTE_0 src1_sel:DWORD
	v_mov_b32_e32 v18, 0
	v_mov_b32_e32 v26, 0
	s_and_saveexec_b64 s[22:23], s[24:25]
	s_cbranch_execz .LBB328_1468
; %bb.1463:                             ;   in Loop: Header=BB328_800 Depth=1
	v_cmp_ne_u16_sdwa s[26:27], v14, s28 src0_sel:BYTE_0 src1_sel:DWORD
	v_bfrev_b32_e32 v26, 1
	s_and_saveexec_b64 s[24:25], s[26:27]
	s_cbranch_execz .LBB328_1467
; %bb.1464:                             ;   in Loop: Header=BB328_800 Depth=1
	v_bfe_u32 v10, v21, 16, 7
	v_cmp_ne_u32_e32 vcc, s29, v10
	v_mov_b32_e32 v26, 0x7f800001
	s_and_saveexec_b64 s[26:27], vcc
	s_cbranch_execz .LBB328_1466
; %bb.1465:                             ;   in Loop: Header=BB328_800 Depth=1
	v_and_b32_e32 v0, 7, v14
	v_lshrrev_b32_e32 v1, 3, v10
	v_cmp_gt_u32_e32 vcc, 8, v10
	v_ffbh_u32_e32 v10, v0
	v_min_u32_e32 v10, 32, v10
	v_subrev_u32_e32 v23, 28, v10
	v_lshlrev_b64 v[25:26], v23, v[14:15]
	v_sub_u32_e32 v10, 29, v10
	v_and_b32_e32 v23, 7, v25
	v_cndmask_b32_e32 v1, v1, v10, vcc
	v_cndmask_b32_e32 v0, v0, v23, vcc
	v_lshlrev_b32_e32 v10, 24, v14
	v_bfrev_b32_e32 v14, 60
	v_lshlrev_b32_e32 v0, 20, v0
	v_and_b32_e32 v10, 0x80000000, v10
	v_lshl_add_u32 v1, v1, 23, v14
	v_or3_b32 v26, v10, v1, v0
.LBB328_1466:                           ;   in Loop: Header=BB328_800 Depth=1
	s_or_b64 exec, exec, s[26:27]
.LBB328_1467:                           ;   in Loop: Header=BB328_800 Depth=1
	s_or_b64 exec, exec, s[24:25]
.LBB328_1468:                           ;   in Loop: Header=BB328_800 Depth=1
	s_or_b64 exec, exec, s[22:23]
	v_cmp_lt_u32_e32 vcc, s11, v21
	s_and_saveexec_b64 s[22:23], vcc
	s_cbranch_execz .LBB328_1474
; %bb.1469:                             ;   in Loop: Header=BB328_800 Depth=1
	v_lshrrev_b32_e32 v14, 24, v21
	v_cmp_ne_u32_e32 vcc, s28, v14
	v_bfrev_b32_e32 v18, 1
	s_and_saveexec_b64 s[24:25], vcc
	s_cbranch_execz .LBB328_1473
; %bb.1470:                             ;   in Loop: Header=BB328_800 Depth=1
	v_bfe_u32 v10, v21, 24, 7
	v_cmp_ne_u32_e32 vcc, s29, v10
	v_mov_b32_e32 v18, 0x7f800001
	s_and_saveexec_b64 s[26:27], vcc
	s_cbranch_execz .LBB328_1472
; %bb.1471:                             ;   in Loop: Header=BB328_800 Depth=1
	v_and_b32_e32 v0, 7, v14
	v_lshrrev_b32_e32 v1, 3, v10
	v_cmp_gt_u32_e32 vcc, 8, v10
	v_ffbh_u32_e32 v10, v0
	v_min_u32_e32 v10, 32, v10
	v_subrev_u32_e32 v18, 28, v10
	v_lshlrev_b64 v[29:30], v18, v[14:15]
	v_sub_u32_e32 v10, 29, v10
	v_and_b32_e32 v18, 7, v29
	v_cndmask_b32_e32 v1, v1, v10, vcc
	v_cndmask_b32_e32 v0, v0, v18, vcc
	v_lshlrev_b32_e32 v10, 24, v14
	v_bfrev_b32_e32 v14, 60
	v_lshlrev_b32_e32 v0, 20, v0
	v_and_b32_e32 v10, 0x80000000, v10
	v_lshl_add_u32 v1, v1, 23, v14
	v_or3_b32 v18, v10, v1, v0
.LBB328_1472:                           ;   in Loop: Header=BB328_800 Depth=1
	s_or_b64 exec, exec, s[26:27]
.LBB328_1473:                           ;   in Loop: Header=BB328_800 Depth=1
	s_or_b64 exec, exec, s[24:25]
.LBB328_1474:                           ;   in Loop: Header=BB328_800 Depth=1
	s_or_b64 exec, exec, s[22:23]
	v_mov_b32_e32 v14, v22
	v_cmp_ne_u16_sdwa s[24:25], v22, v15 src0_sel:BYTE_0 src1_sel:DWORD
	v_mov_b32_e32 v30, 0
	v_mov_b32_e32 v29, 0
	s_and_saveexec_b64 s[22:23], s[24:25]
	s_cbranch_execz .LBB328_1480
; %bb.1475:                             ;   in Loop: Header=BB328_800 Depth=1
	v_cmp_ne_u16_sdwa s[26:27], v22, s28 src0_sel:BYTE_0 src1_sel:DWORD
	v_bfrev_b32_e32 v29, 1
	s_and_saveexec_b64 s[24:25], s[26:27]
	s_cbranch_execz .LBB328_1479
; %bb.1476:                             ;   in Loop: Header=BB328_800 Depth=1
	v_and_b32_e32 v10, 0x7f, v22
	v_cmp_ne_u32_e32 vcc, s29, v10
	v_mov_b32_e32 v29, 0x7f800001
	s_and_saveexec_b64 s[26:27], vcc
	s_cbranch_execz .LBB328_1478
; %bb.1477:                             ;   in Loop: Header=BB328_800 Depth=1
	v_and_b32_e32 v0, 7, v22
	v_ffbh_u32_e32 v0, v0
	v_min_u32_e32 v0, 32, v0
	v_lshrrev_b32_e32 v1, 3, v10
	v_cmp_gt_u32_e32 vcc, 8, v10
	v_subrev_u32_e32 v10, 28, v0
	v_sub_u32_e32 v0, 29, v0
	v_cndmask_b32_e32 v0, v1, v0, vcc
	v_cndmask_b32_e32 v1, 0, v10, vcc
	v_lshlrev_b64 v[41:42], v1, v[14:15]
	v_lshlrev_b32_e32 v10, 24, v14
	v_lshlrev_b32_e32 v1, 20, v41
	v_bfrev_b32_e32 v23, 60
	v_and_b32_e32 v1, 0x700000, v1
	v_and_b32_e32 v10, 0x80000000, v10
	v_lshl_add_u32 v0, v0, 23, v23
	v_or3_b32 v29, v10, v0, v1
.LBB328_1478:                           ;   in Loop: Header=BB328_800 Depth=1
	s_or_b64 exec, exec, s[26:27]
.LBB328_1479:                           ;   in Loop: Header=BB328_800 Depth=1
	s_or_b64 exec, exec, s[24:25]
.LBB328_1480:                           ;   in Loop: Header=BB328_800 Depth=1
	s_or_b64 exec, exec, s[22:23]
	v_lshrrev_b16_e32 v23, 8, v14
	v_cmp_ne_u16_e32 vcc, 0, v23
	s_and_saveexec_b64 s[22:23], vcc
	s_cbranch_execz .LBB328_1486
; %bb.1481:                             ;   in Loop: Header=BB328_800 Depth=1
	v_cmp_ne_u16_e32 vcc, s28, v23
	v_bfrev_b32_e32 v30, 1
	s_and_saveexec_b64 s[24:25], vcc
	s_cbranch_execz .LBB328_1485
; %bb.1482:                             ;   in Loop: Header=BB328_800 Depth=1
	v_and_b32_e32 v10, 0x7f, v23
	v_cmp_ne_u32_e32 vcc, s29, v10
	v_mov_b32_e32 v30, 0x7f800001
	s_and_saveexec_b64 s[26:27], vcc
	s_cbranch_execz .LBB328_1484
; %bb.1483:                             ;   in Loop: Header=BB328_800 Depth=1
	v_and_b32_e32 v0, 7, v23
	v_lshrrev_b32_e32 v1, 3, v10
	v_cmp_gt_u32_e32 vcc, 8, v10
	v_ffbh_u32_e32 v10, v0
	v_min_u32_e32 v10, 32, v10
	v_subrev_u32_e32 v25, 28, v10
	v_lshlrev_b64 v[30:31], v25, v[23:24]
	v_sub_u32_e32 v10, 29, v10
	v_and_b32_e32 v23, 7, v30
	v_cndmask_b32_e32 v1, v1, v10, vcc
	v_cndmask_b32_e32 v0, v0, v23, vcc
	v_lshlrev_b32_e32 v10, 16, v14
	v_bfrev_b32_e32 v14, 60
	v_lshlrev_b32_e32 v0, 20, v0
	v_and_b32_e32 v10, 0x80000000, v10
	v_lshl_add_u32 v1, v1, 23, v14
	v_or3_b32 v30, v10, v1, v0
.LBB328_1484:                           ;   in Loop: Header=BB328_800 Depth=1
	s_or_b64 exec, exec, s[26:27]
.LBB328_1485:                           ;   in Loop: Header=BB328_800 Depth=1
	s_or_b64 exec, exec, s[24:25]
.LBB328_1486:                           ;   in Loop: Header=BB328_800 Depth=1
	s_or_b64 exec, exec, s[22:23]
	v_lshrrev_b32_e32 v14, 16, v22
	v_cmp_ne_u16_sdwa s[24:25], v14, v15 src0_sel:BYTE_0 src1_sel:DWORD
	v_mov_b32_e32 v25, 0
	v_mov_b32_e32 v10, 0
	s_and_saveexec_b64 s[22:23], s[24:25]
	s_cbranch_execz .LBB328_1492
; %bb.1487:                             ;   in Loop: Header=BB328_800 Depth=1
	v_cmp_ne_u16_sdwa s[26:27], v14, s28 src0_sel:BYTE_0 src1_sel:DWORD
	v_bfrev_b32_e32 v10, 1
	s_and_saveexec_b64 s[24:25], s[26:27]
	s_cbranch_execz .LBB328_1491
; %bb.1488:                             ;   in Loop: Header=BB328_800 Depth=1
	v_bfe_u32 v23, v22, 16, 7
	v_cmp_ne_u32_e32 vcc, s29, v23
	v_mov_b32_e32 v10, 0x7f800001
	s_and_saveexec_b64 s[26:27], vcc
	s_cbranch_execz .LBB328_1490
; %bb.1489:                             ;   in Loop: Header=BB328_800 Depth=1
	v_and_b32_e32 v0, 7, v14
	v_ffbh_u32_e32 v10, v0
	v_min_u32_e32 v10, 32, v10
	v_lshrrev_b32_e32 v1, 3, v23
	v_cmp_gt_u32_e32 vcc, 8, v23
	v_subrev_u32_e32 v23, 28, v10
	v_lshlrev_b64 v[41:42], v23, v[14:15]
	v_sub_u32_e32 v10, 29, v10
	v_and_b32_e32 v23, 7, v41
	v_cndmask_b32_e32 v1, v1, v10, vcc
	v_cndmask_b32_e32 v0, v0, v23, vcc
	v_lshlrev_b32_e32 v10, 24, v14
	v_bfrev_b32_e32 v14, 60
	v_lshlrev_b32_e32 v0, 20, v0
	v_and_b32_e32 v10, 0x80000000, v10
	v_lshl_add_u32 v1, v1, 23, v14
	v_or3_b32 v10, v10, v1, v0
.LBB328_1490:                           ;   in Loop: Header=BB328_800 Depth=1
	s_or_b64 exec, exec, s[26:27]
.LBB328_1491:                           ;   in Loop: Header=BB328_800 Depth=1
	s_or_b64 exec, exec, s[24:25]
.LBB328_1492:                           ;   in Loop: Header=BB328_800 Depth=1
	s_or_b64 exec, exec, s[22:23]
	v_cmp_lt_u64_e32 vcc, s[10:11], v[21:22]
	s_and_saveexec_b64 s[22:23], vcc
	s_cbranch_execz .LBB328_1498
; %bb.1493:                             ;   in Loop: Header=BB328_800 Depth=1
	v_lshrrev_b32_e32 v14, 24, v22
	v_cmp_ne_u32_e32 vcc, s28, v14
	v_bfrev_b32_e32 v25, 1
	s_and_saveexec_b64 s[24:25], vcc
	s_cbranch_execz .LBB328_1497
; %bb.1494:                             ;   in Loop: Header=BB328_800 Depth=1
	v_bfe_u32 v21, v22, 24, 7
	v_cmp_ne_u32_e32 vcc, s29, v21
	v_mov_b32_e32 v25, 0x7f800001
	s_and_saveexec_b64 s[26:27], vcc
	s_cbranch_execz .LBB328_1496
; %bb.1495:                             ;   in Loop: Header=BB328_800 Depth=1
	v_and_b32_e32 v0, 7, v14
	v_lshrrev_b32_e32 v1, 3, v21
	v_cmp_gt_u32_e32 vcc, 8, v21
	v_ffbh_u32_e32 v21, v0
	v_min_u32_e32 v23, 32, v21
	v_subrev_u32_e32 v21, 28, v23
	v_lshlrev_b64 v[21:22], v21, v[14:15]
	v_sub_u32_e32 v22, 29, v23
	v_and_b32_e32 v21, 7, v21
	v_cndmask_b32_e32 v1, v1, v22, vcc
	v_cndmask_b32_e32 v0, v0, v21, vcc
	v_lshlrev_b32_e32 v14, 24, v14
	v_bfrev_b32_e32 v21, 60
	v_lshlrev_b32_e32 v0, 20, v0
	v_and_b32_e32 v14, 0x80000000, v14
	v_lshl_add_u32 v1, v1, 23, v21
	v_or3_b32 v25, v14, v1, v0
.LBB328_1496:                           ;   in Loop: Header=BB328_800 Depth=1
	s_or_b64 exec, exec, s[26:27]
.LBB328_1497:                           ;   in Loop: Header=BB328_800 Depth=1
	s_or_b64 exec, exec, s[24:25]
.LBB328_1498:                           ;   in Loop: Header=BB328_800 Depth=1
	s_or_b64 exec, exec, s[22:23]
	v_mul_f32_e32 v0, v40, v30
	v_bfe_u32 v1, v0, 16, 1
	v_add3_u32 v1, v1, v0, s40
	v_or_b32_e32 v14, 0x400000, v0
	v_cmp_u_f32_e32 vcc, v0, v0
	v_cndmask_b32_e32 v0, v1, v14, vcc
	v_lshrrev_b32_e32 v23, 16, v0
	v_mul_f32_e32 v0, v40, v29
	v_bfe_u32 v1, v0, 16, 1
	v_add3_u32 v1, v1, v0, s40
	v_or_b32_e32 v14, 0x400000, v0
	v_cmp_u_f32_e32 vcc, v0, v0
	v_cndmask_b32_e32 v0, v1, v14, vcc
	v_lshrrev_b32_e32 v22, 16, v0
	;; [unrolled: 7-line block ×8, first 2 shown]
	s_and_saveexec_b64 s[22:23], s[6:7]
	s_cbranch_execz .LBB328_1500
; %bb.1499:                             ;   in Loop: Header=BB328_800 Depth=1
	buffer_load_dword v0, off, s[0:3], s32 offset:68 ; 4-byte Folded Reload
	v_add_u32_e32 v1, -6, v49
	s_waitcnt vmcnt(0)
	v_cmp_lt_i32_e32 vcc, v63, v0
	v_cndmask_b32_e32 v13, 0, v13, vcc
	v_cmp_lt_i32_e32 vcc, v1, v0
	v_add_u32_e32 v1, -5, v49
	v_cndmask_b32_e32 v29, 0, v29, vcc
	v_cmp_lt_i32_e32 vcc, v1, v0
	v_add_u32_e32 v1, -4, v49
	;; [unrolled: 3-line block ×5, first 2 shown]
	v_cndmask_b32_e32 v23, 0, v23, vcc
	v_cmp_lt_i32_e32 vcc, v1, v0
	v_cndmask_b32_e32 v41, 0, v41, vcc
	v_cmp_lt_i32_e32 vcc, v49, v0
	v_cndmask_b32_e32 v12, 0, v12, vcc
.LBB328_1500:                           ;   in Loop: Header=BB328_800 Depth=1
	s_or_b64 exec, exec, s[22:23]
	v_add_co_u32_e32 v19, vcc, 0x1000, v19
	v_addc_co_u32_e32 v20, vcc, 0, v20, vcc
	flat_load_dwordx2 v[19:20], v[19:20] offset:3072
	v_mov_b32_e32 v30, 0
	v_mov_b32_e32 v26, 0
	s_waitcnt vmcnt(0) lgkmcnt(0)
	v_cmp_ne_u16_sdwa s[24:25], v19, v15 src0_sel:BYTE_0 src1_sel:DWORD
	s_and_saveexec_b64 s[22:23], s[24:25]
	s_cbranch_execz .LBB328_1506
; %bb.1501:                             ;   in Loop: Header=BB328_800 Depth=1
	v_cmp_ne_u16_sdwa s[26:27], v19, s28 src0_sel:BYTE_0 src1_sel:DWORD
	v_bfrev_b32_e32 v26, 1
	s_and_saveexec_b64 s[24:25], s[26:27]
	s_cbranch_execz .LBB328_1505
; %bb.1502:                             ;   in Loop: Header=BB328_800 Depth=1
	v_and_b32_e32 v10, 0x7f, v19
	v_cmp_ne_u32_e32 vcc, s29, v10
	v_mov_b32_e32 v26, 0x7f800001
	s_and_saveexec_b64 s[26:27], vcc
	s_cbranch_execz .LBB328_1504
; %bb.1503:                             ;   in Loop: Header=BB328_800 Depth=1
	v_and_b32_e32 v0, 7, v19
	v_ffbh_u32_e32 v0, v0
	v_min_u32_e32 v0, 32, v0
	v_lshrrev_b32_e32 v1, 3, v10
	v_cmp_gt_u32_e32 vcc, 8, v10
	v_subrev_u32_e32 v10, 28, v0
	v_sub_u32_e32 v0, 29, v0
	v_cndmask_b32_e32 v0, v1, v0, vcc
	v_cndmask_b32_e32 v1, 0, v10, vcc
	v_lshlrev_b64 v[25:26], v1, v[19:20]
	v_lshlrev_b32_e32 v10, 24, v19
	v_lshlrev_b32_e32 v1, 20, v25
	v_bfrev_b32_e32 v14, 60
	v_and_b32_e32 v1, 0x700000, v1
	v_and_b32_e32 v10, 0x80000000, v10
	v_lshl_add_u32 v0, v0, 23, v14
	v_or3_b32 v26, v10, v0, v1
.LBB328_1504:                           ;   in Loop: Header=BB328_800 Depth=1
	s_or_b64 exec, exec, s[26:27]
.LBB328_1505:                           ;   in Loop: Header=BB328_800 Depth=1
	s_or_b64 exec, exec, s[24:25]
.LBB328_1506:                           ;   in Loop: Header=BB328_800 Depth=1
	s_or_b64 exec, exec, s[22:23]
	v_lshrrev_b16_e32 v14, 8, v19
	v_cmp_ne_u16_e32 vcc, 0, v14
	s_and_saveexec_b64 s[22:23], vcc
	s_cbranch_execz .LBB328_1512
; %bb.1507:                             ;   in Loop: Header=BB328_800 Depth=1
	v_cmp_ne_u16_e32 vcc, s28, v14
	v_bfrev_b32_e32 v30, 1
	s_and_saveexec_b64 s[24:25], vcc
	s_cbranch_execz .LBB328_1511
; %bb.1508:                             ;   in Loop: Header=BB328_800 Depth=1
	v_and_b32_e32 v10, 0x7f, v14
	v_cmp_ne_u32_e32 vcc, s29, v10
	v_mov_b32_e32 v30, 0x7f800001
	s_and_saveexec_b64 s[26:27], vcc
	s_cbranch_execz .LBB328_1510
; %bb.1509:                             ;   in Loop: Header=BB328_800 Depth=1
	v_and_b32_e32 v0, 7, v14
	v_lshrrev_b32_e32 v1, 3, v10
	v_cmp_gt_u32_e32 vcc, 8, v10
	v_ffbh_u32_e32 v10, v0
	v_min_u32_e32 v10, 32, v10
	v_subrev_u32_e32 v21, 28, v10
	v_lshlrev_b64 v[30:31], v21, v[14:15]
	v_sub_u32_e32 v10, 29, v10
	v_and_b32_e32 v14, 7, v30
	v_cndmask_b32_e32 v1, v1, v10, vcc
	v_cndmask_b32_e32 v0, v0, v14, vcc
	v_lshlrev_b32_e32 v10, 16, v19
	v_bfrev_b32_e32 v14, 60
	v_lshlrev_b32_e32 v0, 20, v0
	v_and_b32_e32 v10, 0x80000000, v10
	v_lshl_add_u32 v1, v1, 23, v14
	v_or3_b32 v30, v10, v1, v0
.LBB328_1510:                           ;   in Loop: Header=BB328_800 Depth=1
	s_or_b64 exec, exec, s[26:27]
.LBB328_1511:                           ;   in Loop: Header=BB328_800 Depth=1
	s_or_b64 exec, exec, s[24:25]
.LBB328_1512:                           ;   in Loop: Header=BB328_800 Depth=1
	s_or_b64 exec, exec, s[22:23]
	v_lshrrev_b32_e32 v14, 16, v19
	v_cmp_ne_u16_sdwa s[24:25], v14, v15 src0_sel:BYTE_0 src1_sel:DWORD
	v_mov_b32_e32 v57, 0
	v_mov_b32_e32 v56, 0
	s_and_saveexec_b64 s[22:23], s[24:25]
	s_cbranch_execz .LBB328_1518
; %bb.1513:                             ;   in Loop: Header=BB328_800 Depth=1
	v_cmp_ne_u16_sdwa s[26:27], v14, s28 src0_sel:BYTE_0 src1_sel:DWORD
	v_bfrev_b32_e32 v56, 1
	s_and_saveexec_b64 s[24:25], s[26:27]
	s_cbranch_execz .LBB328_1517
; %bb.1514:                             ;   in Loop: Header=BB328_800 Depth=1
	v_bfe_u32 v10, v19, 16, 7
	v_cmp_ne_u32_e32 vcc, s29, v10
	v_mov_b32_e32 v56, 0x7f800001
	s_and_saveexec_b64 s[26:27], vcc
	s_cbranch_execz .LBB328_1516
; %bb.1515:                             ;   in Loop: Header=BB328_800 Depth=1
	v_and_b32_e32 v0, 7, v14
	v_lshrrev_b32_e32 v1, 3, v10
	v_cmp_gt_u32_e32 vcc, 8, v10
	v_ffbh_u32_e32 v10, v0
	v_min_u32_e32 v10, 32, v10
	v_subrev_u32_e32 v21, 28, v10
	v_lshlrev_b64 v[46:47], v21, v[14:15]
	v_sub_u32_e32 v10, 29, v10
	v_and_b32_e32 v21, 7, v46
	v_cndmask_b32_e32 v1, v1, v10, vcc
	v_cndmask_b32_e32 v0, v0, v21, vcc
	v_lshlrev_b32_e32 v10, 24, v14
	v_bfrev_b32_e32 v14, 60
	v_lshlrev_b32_e32 v0, 20, v0
	v_and_b32_e32 v10, 0x80000000, v10
	v_lshl_add_u32 v1, v1, 23, v14
	v_or3_b32 v56, v10, v1, v0
.LBB328_1516:                           ;   in Loop: Header=BB328_800 Depth=1
	s_or_b64 exec, exec, s[26:27]
.LBB328_1517:                           ;   in Loop: Header=BB328_800 Depth=1
	s_or_b64 exec, exec, s[24:25]
.LBB328_1518:                           ;   in Loop: Header=BB328_800 Depth=1
	s_or_b64 exec, exec, s[22:23]
	v_cmp_lt_u32_e32 vcc, s11, v19
	s_and_saveexec_b64 s[22:23], vcc
	s_cbranch_execz .LBB328_1524
; %bb.1519:                             ;   in Loop: Header=BB328_800 Depth=1
	v_lshrrev_b32_e32 v14, 24, v19
	v_cmp_ne_u32_e32 vcc, s28, v14
	v_bfrev_b32_e32 v57, 1
	s_and_saveexec_b64 s[24:25], vcc
	s_cbranch_execz .LBB328_1523
; %bb.1520:                             ;   in Loop: Header=BB328_800 Depth=1
	v_bfe_u32 v10, v19, 24, 7
	v_cmp_ne_u32_e32 vcc, s29, v10
	v_mov_b32_e32 v57, 0x7f800001
	s_and_saveexec_b64 s[26:27], vcc
	s_cbranch_execz .LBB328_1522
; %bb.1521:                             ;   in Loop: Header=BB328_800 Depth=1
	v_and_b32_e32 v0, 7, v14
	v_lshrrev_b32_e32 v1, 3, v10
	v_cmp_gt_u32_e32 vcc, 8, v10
	v_ffbh_u32_e32 v10, v0
	v_min_u32_e32 v10, 32, v10
	v_subrev_u32_e32 v21, 28, v10
	v_lshlrev_b64 v[46:47], v21, v[14:15]
	v_sub_u32_e32 v10, 29, v10
	v_and_b32_e32 v21, 7, v46
	v_cndmask_b32_e32 v1, v1, v10, vcc
	v_cndmask_b32_e32 v0, v0, v21, vcc
	v_lshlrev_b32_e32 v10, 24, v14
	v_bfrev_b32_e32 v14, 60
	v_lshlrev_b32_e32 v0, 20, v0
	v_and_b32_e32 v10, 0x80000000, v10
	v_lshl_add_u32 v1, v1, 23, v14
	v_or3_b32 v57, v10, v1, v0
.LBB328_1522:                           ;   in Loop: Header=BB328_800 Depth=1
	s_or_b64 exec, exec, s[26:27]
.LBB328_1523:                           ;   in Loop: Header=BB328_800 Depth=1
	s_or_b64 exec, exec, s[24:25]
.LBB328_1524:                           ;   in Loop: Header=BB328_800 Depth=1
	s_or_b64 exec, exec, s[22:23]
	v_mov_b32_e32 v14, v20
	v_cmp_ne_u16_sdwa s[24:25], v20, v15 src0_sel:BYTE_0 src1_sel:DWORD
	v_mov_b32_e32 v46, 0
	v_mov_b32_e32 v31, 0
	s_and_saveexec_b64 s[22:23], s[24:25]
	s_cbranch_execz .LBB328_1530
; %bb.1525:                             ;   in Loop: Header=BB328_800 Depth=1
	v_cmp_ne_u16_sdwa s[26:27], v20, s28 src0_sel:BYTE_0 src1_sel:DWORD
	v_bfrev_b32_e32 v31, 1
	s_and_saveexec_b64 s[24:25], s[26:27]
	s_cbranch_execz .LBB328_1529
; %bb.1526:                             ;   in Loop: Header=BB328_800 Depth=1
	v_and_b32_e32 v10, 0x7f, v20
	v_cmp_ne_u32_e32 vcc, s29, v10
	v_mov_b32_e32 v31, 0x7f800001
	s_and_saveexec_b64 s[26:27], vcc
	s_cbranch_execz .LBB328_1528
; %bb.1527:                             ;   in Loop: Header=BB328_800 Depth=1
	v_and_b32_e32 v0, 7, v20
	v_ffbh_u32_e32 v0, v0
	v_min_u32_e32 v0, 32, v0
	v_lshrrev_b32_e32 v1, 3, v10
	v_cmp_gt_u32_e32 vcc, 8, v10
	v_subrev_u32_e32 v10, 28, v0
	v_sub_u32_e32 v0, 29, v0
	v_cndmask_b32_e32 v0, v1, v0, vcc
	v_cndmask_b32_e32 v1, 0, v10, vcc
	v_lshlrev_b64 v[58:59], v1, v[14:15]
	v_lshlrev_b32_e32 v10, 24, v14
	v_lshlrev_b32_e32 v1, 20, v58
	v_bfrev_b32_e32 v21, 60
	v_and_b32_e32 v1, 0x700000, v1
	v_and_b32_e32 v10, 0x80000000, v10
	v_lshl_add_u32 v0, v0, 23, v21
	v_or3_b32 v31, v10, v0, v1
.LBB328_1528:                           ;   in Loop: Header=BB328_800 Depth=1
	s_or_b64 exec, exec, s[26:27]
.LBB328_1529:                           ;   in Loop: Header=BB328_800 Depth=1
	s_or_b64 exec, exec, s[24:25]
.LBB328_1530:                           ;   in Loop: Header=BB328_800 Depth=1
	s_or_b64 exec, exec, s[22:23]
	v_lshrrev_b16_e32 v21, 8, v14
	v_cmp_ne_u16_e32 vcc, 0, v21
	s_and_saveexec_b64 s[22:23], vcc
	s_cbranch_execz .LBB328_1536
; %bb.1531:                             ;   in Loop: Header=BB328_800 Depth=1
	v_cmp_ne_u16_e32 vcc, s28, v21
	v_bfrev_b32_e32 v46, 1
	s_and_saveexec_b64 s[24:25], vcc
	s_cbranch_execz .LBB328_1535
; %bb.1532:                             ;   in Loop: Header=BB328_800 Depth=1
	v_and_b32_e32 v10, 0x7f, v21
	v_cmp_ne_u32_e32 vcc, s29, v10
	v_mov_b32_e32 v46, 0x7f800001
	s_and_saveexec_b64 s[26:27], vcc
	s_cbranch_execz .LBB328_1534
; %bb.1533:                             ;   in Loop: Header=BB328_800 Depth=1
	v_and_b32_e32 v0, 7, v21
	v_lshrrev_b32_e32 v1, 3, v10
	v_cmp_gt_u32_e32 vcc, 8, v10
	v_ffbh_u32_e32 v10, v0
	v_min_u32_e32 v10, 32, v10
	v_subrev_u32_e32 v25, 28, v10
	v_lshlrev_b64 v[46:47], v25, v[21:22]
	v_sub_u32_e32 v10, 29, v10
	v_and_b32_e32 v21, 7, v46
	v_cndmask_b32_e32 v1, v1, v10, vcc
	v_cndmask_b32_e32 v0, v0, v21, vcc
	v_lshlrev_b32_e32 v10, 16, v14
	v_bfrev_b32_e32 v14, 60
	v_lshlrev_b32_e32 v0, 20, v0
	v_and_b32_e32 v10, 0x80000000, v10
	v_lshl_add_u32 v1, v1, 23, v14
	v_or3_b32 v46, v10, v1, v0
.LBB328_1534:                           ;   in Loop: Header=BB328_800 Depth=1
	s_or_b64 exec, exec, s[26:27]
.LBB328_1535:                           ;   in Loop: Header=BB328_800 Depth=1
	s_or_b64 exec, exec, s[24:25]
.LBB328_1536:                           ;   in Loop: Header=BB328_800 Depth=1
	s_or_b64 exec, exec, s[22:23]
	v_lshrrev_b32_e32 v14, 16, v20
	v_cmp_ne_u16_sdwa s[24:25], v14, v15 src0_sel:BYTE_0 src1_sel:DWORD
	v_mov_b32_e32 v21, 0
	v_mov_b32_e32 v10, 0
	s_and_saveexec_b64 s[22:23], s[24:25]
	s_cbranch_execz .LBB328_1542
; %bb.1537:                             ;   in Loop: Header=BB328_800 Depth=1
	v_cmp_ne_u16_sdwa s[26:27], v14, s28 src0_sel:BYTE_0 src1_sel:DWORD
	v_bfrev_b32_e32 v10, 1
	s_and_saveexec_b64 s[24:25], s[26:27]
	s_cbranch_execz .LBB328_1541
; %bb.1538:                             ;   in Loop: Header=BB328_800 Depth=1
	v_bfe_u32 v25, v20, 16, 7
	v_cmp_ne_u32_e32 vcc, s29, v25
	v_mov_b32_e32 v10, 0x7f800001
	s_and_saveexec_b64 s[26:27], vcc
	s_cbranch_execz .LBB328_1540
; %bb.1539:                             ;   in Loop: Header=BB328_800 Depth=1
	v_and_b32_e32 v0, 7, v14
	v_ffbh_u32_e32 v10, v0
	v_min_u32_e32 v10, 32, v10
	v_lshrrev_b32_e32 v1, 3, v25
	v_cmp_gt_u32_e32 vcc, 8, v25
	v_subrev_u32_e32 v25, 28, v10
	v_lshlrev_b64 v[58:59], v25, v[14:15]
	v_sub_u32_e32 v10, 29, v10
	v_and_b32_e32 v25, 7, v58
	v_cndmask_b32_e32 v1, v1, v10, vcc
	v_cndmask_b32_e32 v0, v0, v25, vcc
	v_lshlrev_b32_e32 v10, 24, v14
	v_bfrev_b32_e32 v14, 60
	v_lshlrev_b32_e32 v0, 20, v0
	v_and_b32_e32 v10, 0x80000000, v10
	v_lshl_add_u32 v1, v1, 23, v14
	v_or3_b32 v10, v10, v1, v0
.LBB328_1540:                           ;   in Loop: Header=BB328_800 Depth=1
	s_or_b64 exec, exec, s[26:27]
.LBB328_1541:                           ;   in Loop: Header=BB328_800 Depth=1
	s_or_b64 exec, exec, s[24:25]
.LBB328_1542:                           ;   in Loop: Header=BB328_800 Depth=1
	s_or_b64 exec, exec, s[22:23]
	v_cmp_lt_u64_e32 vcc, s[10:11], v[19:20]
	s_and_saveexec_b64 s[22:23], vcc
	s_cbranch_execz .LBB328_1548
; %bb.1543:                             ;   in Loop: Header=BB328_800 Depth=1
	v_lshrrev_b32_e32 v14, 24, v20
	v_cmp_ne_u32_e32 vcc, s28, v14
	v_bfrev_b32_e32 v21, 1
	s_and_saveexec_b64 s[24:25], vcc
	s_cbranch_execz .LBB328_1547
; %bb.1544:                             ;   in Loop: Header=BB328_800 Depth=1
	v_bfe_u32 v19, v20, 24, 7
	v_cmp_ne_u32_e32 vcc, s29, v19
	v_mov_b32_e32 v21, 0x7f800001
	s_and_saveexec_b64 s[26:27], vcc
	s_cbranch_execz .LBB328_1546
; %bb.1545:                             ;   in Loop: Header=BB328_800 Depth=1
	v_and_b32_e32 v0, 7, v14
	v_lshrrev_b32_e32 v1, 3, v19
	v_cmp_gt_u32_e32 vcc, 8, v19
	v_ffbh_u32_e32 v19, v0
	v_min_u32_e32 v21, 32, v19
	v_subrev_u32_e32 v19, 28, v21
	v_lshlrev_b64 v[19:20], v19, v[14:15]
	v_sub_u32_e32 v20, 29, v21
	v_and_b32_e32 v19, 7, v19
	v_cndmask_b32_e32 v1, v1, v20, vcc
	v_cndmask_b32_e32 v0, v0, v19, vcc
	v_lshlrev_b32_e32 v14, 24, v14
	v_bfrev_b32_e32 v19, 60
	v_lshlrev_b32_e32 v0, 20, v0
	v_and_b32_e32 v14, 0x80000000, v14
	v_lshl_add_u32 v1, v1, 23, v19
	v_or3_b32 v21, v14, v1, v0
.LBB328_1546:                           ;   in Loop: Header=BB328_800 Depth=1
	s_or_b64 exec, exec, s[26:27]
.LBB328_1547:                           ;   in Loop: Header=BB328_800 Depth=1
	s_or_b64 exec, exec, s[24:25]
.LBB328_1548:                           ;   in Loop: Header=BB328_800 Depth=1
	s_or_b64 exec, exec, s[22:23]
	v_mul_f32_e32 v0, v40, v46
	v_bfe_u32 v1, v0, 16, 1
	v_add3_u32 v1, v1, v0, s40
	v_or_b32_e32 v14, 0x400000, v0
	v_cmp_u_f32_e32 vcc, v0, v0
	v_cndmask_b32_e32 v0, v1, v14, vcc
	v_lshrrev_b32_e32 v47, 16, v0
	v_mul_f32_e32 v0, v40, v31
	v_bfe_u32 v1, v0, 16, 1
	v_add3_u32 v1, v1, v0, s40
	v_or_b32_e32 v14, 0x400000, v0
	v_cmp_u_f32_e32 vcc, v0, v0
	v_cndmask_b32_e32 v0, v1, v14, vcc
	v_lshrrev_b32_e32 v46, 16, v0
	;; [unrolled: 7-line block ×8, first 2 shown]
	s_and_saveexec_b64 s[22:23], s[6:7]
	s_cbranch_execz .LBB328_1550
; %bb.1549:                             ;   in Loop: Header=BB328_800 Depth=1
	buffer_load_dword v0, off, s[0:3], s32 offset:68 ; 4-byte Folded Reload
	v_add_u32_e32 v1, -6, v49
	s_waitcnt vmcnt(0)
	v_cmp_lt_i32_e32 vcc, v63, v0
	v_cndmask_b32_e32 v60, 0, v60, vcc
	v_cmp_lt_i32_e32 vcc, v1, v0
	v_add_u32_e32 v1, -5, v49
	v_cndmask_b32_e32 v61, 0, v61, vcc
	v_cmp_lt_i32_e32 vcc, v1, v0
	v_add_u32_e32 v1, -4, v49
	;; [unrolled: 3-line block ×5, first 2 shown]
	v_cndmask_b32_e32 v47, 0, v47, vcc
	v_cmp_lt_i32_e32 vcc, v1, v0
	v_cndmask_b32_e32 v56, 0, v56, vcc
	v_cmp_lt_i32_e32 vcc, v49, v0
	v_cndmask_b32_e32 v58, 0, v58, vcc
.LBB328_1550:                           ;   in Loop: Header=BB328_800 Depth=1
	s_or_b64 exec, exec, s[22:23]
	buffer_load_dword v0, off, s[0:3], s32 offset:504 ; 4-byte Folded Reload
	v_mov_b32_e32 v26, 0
	v_mov_b32_e32 v20, 0
	s_waitcnt vmcnt(0)
	v_add_co_u32_e32 v16, vcc, v16, v0
	v_addc_co_u32_e32 v17, vcc, 0, v17, vcc
	flat_load_dwordx2 v[16:17], v[16:17]
	s_waitcnt vmcnt(0) lgkmcnt(0)
	v_cmp_ne_u16_sdwa s[24:25], v16, v15 src0_sel:BYTE_0 src1_sel:DWORD
	s_and_saveexec_b64 s[22:23], s[24:25]
	s_cbranch_execz .LBB328_1556
; %bb.1551:                             ;   in Loop: Header=BB328_800 Depth=1
	v_cmp_ne_u16_sdwa s[26:27], v16, s28 src0_sel:BYTE_0 src1_sel:DWORD
	v_bfrev_b32_e32 v20, 1
	s_and_saveexec_b64 s[24:25], s[26:27]
	s_cbranch_execz .LBB328_1555
; %bb.1552:                             ;   in Loop: Header=BB328_800 Depth=1
	v_and_b32_e32 v10, 0x7f, v16
	v_cmp_ne_u32_e32 vcc, s29, v10
	v_mov_b32_e32 v20, 0x7f800001
	s_and_saveexec_b64 s[26:27], vcc
	s_cbranch_execz .LBB328_1554
; %bb.1553:                             ;   in Loop: Header=BB328_800 Depth=1
	v_and_b32_e32 v0, 7, v16
	v_ffbh_u32_e32 v0, v0
	v_min_u32_e32 v0, 32, v0
	v_lshrrev_b32_e32 v1, 3, v10
	v_cmp_gt_u32_e32 vcc, 8, v10
	v_subrev_u32_e32 v10, 28, v0
	v_sub_u32_e32 v0, 29, v0
	v_cndmask_b32_e32 v0, v1, v0, vcc
	v_cndmask_b32_e32 v1, 0, v10, vcc
	v_lshlrev_b64 v[19:20], v1, v[16:17]
	v_lshlrev_b32_e32 v10, 24, v16
	v_lshlrev_b32_e32 v1, 20, v19
	v_bfrev_b32_e32 v14, 60
	v_and_b32_e32 v1, 0x700000, v1
	v_and_b32_e32 v10, 0x80000000, v10
	v_lshl_add_u32 v0, v0, 23, v14
	v_or3_b32 v20, v10, v0, v1
.LBB328_1554:                           ;   in Loop: Header=BB328_800 Depth=1
	s_or_b64 exec, exec, s[26:27]
.LBB328_1555:                           ;   in Loop: Header=BB328_800 Depth=1
	s_or_b64 exec, exec, s[24:25]
.LBB328_1556:                           ;   in Loop: Header=BB328_800 Depth=1
	s_or_b64 exec, exec, s[22:23]
	v_lshrrev_b16_e32 v14, 8, v16
	v_cmp_ne_u16_e32 vcc, 0, v14
	s_and_saveexec_b64 s[22:23], vcc
	s_cbranch_execz .LBB328_1562
; %bb.1557:                             ;   in Loop: Header=BB328_800 Depth=1
	v_cmp_ne_u16_e32 vcc, s28, v14
	v_bfrev_b32_e32 v26, 1
	s_and_saveexec_b64 s[24:25], vcc
	s_cbranch_execz .LBB328_1561
; %bb.1558:                             ;   in Loop: Header=BB328_800 Depth=1
	v_and_b32_e32 v10, 0x7f, v14
	v_cmp_ne_u32_e32 vcc, s29, v10
	v_mov_b32_e32 v26, 0x7f800001
	s_and_saveexec_b64 s[26:27], vcc
	s_cbranch_execz .LBB328_1560
; %bb.1559:                             ;   in Loop: Header=BB328_800 Depth=1
	v_and_b32_e32 v0, 7, v14
	v_lshrrev_b32_e32 v1, 3, v10
	v_cmp_gt_u32_e32 vcc, 8, v10
	v_ffbh_u32_e32 v10, v0
	v_min_u32_e32 v10, 32, v10
	v_subrev_u32_e32 v19, 28, v10
	v_lshlrev_b64 v[25:26], v19, v[14:15]
	v_sub_u32_e32 v10, 29, v10
	v_and_b32_e32 v14, 7, v25
	v_cndmask_b32_e32 v1, v1, v10, vcc
	v_cndmask_b32_e32 v0, v0, v14, vcc
	v_lshlrev_b32_e32 v10, 16, v16
	v_bfrev_b32_e32 v14, 60
	v_lshlrev_b32_e32 v0, 20, v0
	v_and_b32_e32 v10, 0x80000000, v10
	v_lshl_add_u32 v1, v1, 23, v14
	v_or3_b32 v26, v10, v1, v0
.LBB328_1560:                           ;   in Loop: Header=BB328_800 Depth=1
	s_or_b64 exec, exec, s[26:27]
.LBB328_1561:                           ;   in Loop: Header=BB328_800 Depth=1
	s_or_b64 exec, exec, s[24:25]
.LBB328_1562:                           ;   in Loop: Header=BB328_800 Depth=1
	s_or_b64 exec, exec, s[22:23]
	v_lshrrev_b32_e32 v14, 16, v16
	v_cmp_ne_u16_sdwa s[24:25], v14, v15 src0_sel:BYTE_0 src1_sel:DWORD
	v_mov_b32_e32 v30, 0
	v_mov_b32_e32 v21, 0
	s_and_saveexec_b64 s[22:23], s[24:25]
	s_cbranch_execz .LBB328_1568
; %bb.1563:                             ;   in Loop: Header=BB328_800 Depth=1
	v_cmp_ne_u16_sdwa s[26:27], v14, s28 src0_sel:BYTE_0 src1_sel:DWORD
	v_bfrev_b32_e32 v21, 1
	s_and_saveexec_b64 s[24:25], s[26:27]
	s_cbranch_execz .LBB328_1567
; %bb.1564:                             ;   in Loop: Header=BB328_800 Depth=1
	v_bfe_u32 v10, v16, 16, 7
	v_cmp_ne_u32_e32 vcc, s29, v10
	v_mov_b32_e32 v21, 0x7f800001
	s_and_saveexec_b64 s[26:27], vcc
	s_cbranch_execz .LBB328_1566
; %bb.1565:                             ;   in Loop: Header=BB328_800 Depth=1
	v_and_b32_e32 v19, 7, v14
	v_ffbh_u32_e32 v0, v19
	v_lshrrev_b32_e32 v21, 3, v10
	v_cmp_gt_u32_e32 vcc, 8, v10
	v_min_u32_e32 v10, 32, v0
	v_subrev_u32_e32 v0, 28, v10
	v_lshlrev_b64 v[0:1], v0, v[14:15]
	v_sub_u32_e32 v1, 29, v10
	v_and_b32_e32 v0, 7, v0
	v_cndmask_b32_e32 v1, v21, v1, vcc
	v_cndmask_b32_e32 v0, v19, v0, vcc
	v_lshlrev_b32_e32 v10, 24, v14
	v_bfrev_b32_e32 v14, 60
	v_lshlrev_b32_e32 v0, 20, v0
	v_and_b32_e32 v10, 0x80000000, v10
	v_lshl_add_u32 v1, v1, 23, v14
	v_or3_b32 v21, v10, v1, v0
.LBB328_1566:                           ;   in Loop: Header=BB328_800 Depth=1
	s_or_b64 exec, exec, s[26:27]
.LBB328_1567:                           ;   in Loop: Header=BB328_800 Depth=1
	s_or_b64 exec, exec, s[24:25]
.LBB328_1568:                           ;   in Loop: Header=BB328_800 Depth=1
	s_or_b64 exec, exec, s[22:23]
	v_cmp_lt_u32_e32 vcc, s11, v16
	s_and_saveexec_b64 s[22:23], vcc
	s_cbranch_execz .LBB328_1574
; %bb.1569:                             ;   in Loop: Header=BB328_800 Depth=1
	v_lshrrev_b32_e32 v14, 24, v16
	v_cmp_ne_u32_e32 vcc, s28, v14
	v_bfrev_b32_e32 v30, 1
	s_and_saveexec_b64 s[24:25], vcc
	s_cbranch_execz .LBB328_1573
; %bb.1570:                             ;   in Loop: Header=BB328_800 Depth=1
	v_bfe_u32 v10, v16, 24, 7
	v_cmp_ne_u32_e32 vcc, s29, v10
	v_mov_b32_e32 v30, 0x7f800001
	s_and_saveexec_b64 s[26:27], vcc
	s_cbranch_execz .LBB328_1572
; %bb.1571:                             ;   in Loop: Header=BB328_800 Depth=1
	v_and_b32_e32 v19, 7, v14
	v_ffbh_u32_e32 v0, v19
	v_lshrrev_b32_e32 v25, 3, v10
	v_cmp_gt_u32_e32 vcc, 8, v10
	v_min_u32_e32 v10, 32, v0
	v_subrev_u32_e32 v0, 28, v10
	v_lshlrev_b64 v[0:1], v0, v[14:15]
	v_sub_u32_e32 v1, 29, v10
	v_and_b32_e32 v0, 7, v0
	v_cndmask_b32_e32 v1, v25, v1, vcc
	v_cndmask_b32_e32 v0, v19, v0, vcc
	v_lshlrev_b32_e32 v10, 24, v14
	v_bfrev_b32_e32 v14, 60
	v_lshlrev_b32_e32 v0, 20, v0
	v_and_b32_e32 v10, 0x80000000, v10
	v_lshl_add_u32 v1, v1, 23, v14
	v_or3_b32 v30, v10, v1, v0
.LBB328_1572:                           ;   in Loop: Header=BB328_800 Depth=1
	s_or_b64 exec, exec, s[26:27]
.LBB328_1573:                           ;   in Loop: Header=BB328_800 Depth=1
	s_or_b64 exec, exec, s[24:25]
.LBB328_1574:                           ;   in Loop: Header=BB328_800 Depth=1
	s_or_b64 exec, exec, s[22:23]
	v_mov_b32_e32 v14, v17
	v_cmp_ne_u16_sdwa s[24:25], v17, v15 src0_sel:BYTE_0 src1_sel:DWORD
	v_mov_b32_e32 v25, 0
	v_mov_b32_e32 v31, 0
	s_and_saveexec_b64 s[22:23], s[24:25]
	s_cbranch_execz .LBB328_1580
; %bb.1575:                             ;   in Loop: Header=BB328_800 Depth=1
	v_cmp_ne_u16_sdwa s[26:27], v17, s28 src0_sel:BYTE_0 src1_sel:DWORD
	v_bfrev_b32_e32 v31, 1
	s_and_saveexec_b64 s[24:25], s[26:27]
	s_cbranch_execz .LBB328_1579
; %bb.1576:                             ;   in Loop: Header=BB328_800 Depth=1
	v_and_b32_e32 v10, 0x7f, v17
	v_cmp_ne_u32_e32 vcc, s29, v10
	v_mov_b32_e32 v31, 0x7f800001
	s_and_saveexec_b64 s[26:27], vcc
	s_cbranch_execz .LBB328_1578
; %bb.1577:                             ;   in Loop: Header=BB328_800 Depth=1
	v_and_b32_e32 v0, 7, v17
	v_ffbh_u32_e32 v0, v0
	v_min_u32_e32 v0, 32, v0
	v_lshrrev_b32_e32 v1, 3, v10
	v_cmp_gt_u32_e32 vcc, 8, v10
	v_subrev_u32_e32 v10, 28, v0
	v_sub_u32_e32 v0, 29, v0
	v_cndmask_b32_e32 v19, v1, v0, vcc
	v_cndmask_b32_e32 v0, 0, v10, vcc
	v_lshlrev_b64 v[0:1], v0, v[14:15]
	v_lshlrev_b32_e32 v1, 24, v14
	v_lshlrev_b32_e32 v0, 20, v0
	v_bfrev_b32_e32 v10, 60
	v_and_b32_e32 v0, 0x700000, v0
	v_and_b32_e32 v1, 0x80000000, v1
	v_lshl_add_u32 v10, v19, 23, v10
	v_or3_b32 v31, v1, v10, v0
.LBB328_1578:                           ;   in Loop: Header=BB328_800 Depth=1
	s_or_b64 exec, exec, s[26:27]
.LBB328_1579:                           ;   in Loop: Header=BB328_800 Depth=1
	s_or_b64 exec, exec, s[24:25]
.LBB328_1580:                           ;   in Loop: Header=BB328_800 Depth=1
	s_or_b64 exec, exec, s[22:23]
	v_lshrrev_b16_e32 v19, 8, v14
	v_cmp_ne_u16_e32 vcc, 0, v19
	s_and_saveexec_b64 s[22:23], vcc
	s_cbranch_execz .LBB328_1586
; %bb.1581:                             ;   in Loop: Header=BB328_800 Depth=1
	v_cmp_ne_u16_e32 vcc, s28, v19
	v_bfrev_b32_e32 v25, 1
	s_and_saveexec_b64 s[24:25], vcc
	s_cbranch_execz .LBB328_1585
; %bb.1582:                             ;   in Loop: Header=BB328_800 Depth=1
	v_and_b32_e32 v10, 0x7f, v19
	v_cmp_ne_u32_e32 vcc, s29, v10
	v_mov_b32_e32 v25, 0x7f800001
	s_and_saveexec_b64 s[26:27], vcc
	s_cbranch_execz .LBB328_1584
; %bb.1583:                             ;   in Loop: Header=BB328_800 Depth=1
	v_and_b32_e32 v25, 7, v19
	v_ffbh_u32_e32 v0, v25
	v_lshrrev_b32_e32 v42, 3, v10
	v_cmp_gt_u32_e32 vcc, 8, v10
	v_min_u32_e32 v10, 32, v0
	v_subrev_u32_e32 v0, 28, v10
	v_lshlrev_b64 v[0:1], v0, v[19:20]
	v_sub_u32_e32 v1, 29, v10
	v_and_b32_e32 v0, 7, v0
	v_cndmask_b32_e32 v1, v42, v1, vcc
	v_cndmask_b32_e32 v0, v25, v0, vcc
	v_lshlrev_b32_e32 v10, 16, v14
	v_bfrev_b32_e32 v14, 60
	v_lshlrev_b32_e32 v0, 20, v0
	v_and_b32_e32 v10, 0x80000000, v10
	v_lshl_add_u32 v1, v1, 23, v14
	v_or3_b32 v25, v10, v1, v0
.LBB328_1584:                           ;   in Loop: Header=BB328_800 Depth=1
	s_or_b64 exec, exec, s[26:27]
.LBB328_1585:                           ;   in Loop: Header=BB328_800 Depth=1
	s_or_b64 exec, exec, s[24:25]
.LBB328_1586:                           ;   in Loop: Header=BB328_800 Depth=1
	s_or_b64 exec, exec, s[22:23]
	v_lshrrev_b32_e32 v14, 16, v17
	v_cmp_ne_u16_sdwa s[24:25], v14, v15 src0_sel:BYTE_0 src1_sel:DWORD
	v_mov_b32_e32 v10, 0
	v_mov_b32_e32 v19, 0
	s_and_saveexec_b64 s[22:23], s[24:25]
	s_cbranch_execz .LBB328_1592
; %bb.1587:                             ;   in Loop: Header=BB328_800 Depth=1
	v_cmp_ne_u16_sdwa s[26:27], v14, s28 src0_sel:BYTE_0 src1_sel:DWORD
	v_bfrev_b32_e32 v19, 1
	s_and_saveexec_b64 s[24:25], s[26:27]
	s_cbranch_execz .LBB328_1591
; %bb.1588:                             ;   in Loop: Header=BB328_800 Depth=1
	v_bfe_u32 v42, v17, 16, 7
	v_cmp_ne_u32_e32 vcc, s29, v42
	v_mov_b32_e32 v19, 0x7f800001
	s_and_saveexec_b64 s[26:27], vcc
	s_cbranch_execz .LBB328_1590
; %bb.1589:                             ;   in Loop: Header=BB328_800 Depth=1
	v_and_b32_e32 v19, 7, v14
	v_ffbh_u32_e32 v0, v19
	v_mov_b32_e32 v37, v33
	v_lshrrev_b32_e32 v33, 3, v42
	v_cmp_gt_u32_e32 vcc, 8, v42
	v_min_u32_e32 v42, 32, v0
	v_subrev_u32_e32 v0, 28, v42
	v_lshlrev_b64 v[0:1], v0, v[14:15]
	v_sub_u32_e32 v1, 29, v42
	v_and_b32_e32 v0, 7, v0
	v_cndmask_b32_e32 v1, v33, v1, vcc
	v_cndmask_b32_e32 v0, v19, v0, vcc
	v_lshlrev_b32_e32 v14, 24, v14
	v_bfrev_b32_e32 v19, 60
	v_lshlrev_b32_e32 v0, 20, v0
	v_and_b32_e32 v14, 0x80000000, v14
	v_lshl_add_u32 v1, v1, 23, v19
	v_mov_b32_e32 v33, v37
	v_or3_b32 v19, v14, v1, v0
.LBB328_1590:                           ;   in Loop: Header=BB328_800 Depth=1
	s_or_b64 exec, exec, s[26:27]
.LBB328_1591:                           ;   in Loop: Header=BB328_800 Depth=1
	s_or_b64 exec, exec, s[24:25]
.LBB328_1592:                           ;   in Loop: Header=BB328_800 Depth=1
	s_or_b64 exec, exec, s[22:23]
	v_cmp_lt_u64_e32 vcc, s[10:11], v[16:17]
	s_and_saveexec_b64 s[22:23], vcc
	s_cbranch_execz .LBB328_1598
; %bb.1593:                             ;   in Loop: Header=BB328_800 Depth=1
	v_lshrrev_b32_e32 v14, 24, v17
	v_cmp_ne_u32_e32 vcc, s28, v14
	v_bfrev_b32_e32 v10, 1
	s_and_saveexec_b64 s[24:25], vcc
	s_cbranch_execz .LBB328_1597
; %bb.1594:                             ;   in Loop: Header=BB328_800 Depth=1
	v_bfe_u32 v16, v17, 24, 7
	v_cmp_ne_u32_e32 vcc, s29, v16
	v_mov_b32_e32 v10, 0x7f800001
	s_and_saveexec_b64 s[26:27], vcc
	s_cbranch_execz .LBB328_1596
; %bb.1595:                             ;   in Loop: Header=BB328_800 Depth=1
	v_and_b32_e32 v10, 7, v14
	v_ffbh_u32_e32 v0, v10
	v_lshrrev_b32_e32 v17, 3, v16
	v_cmp_gt_u32_e32 vcc, 8, v16
	v_min_u32_e32 v16, 32, v0
	v_subrev_u32_e32 v0, 28, v16
	v_lshlrev_b64 v[0:1], v0, v[14:15]
	v_sub_u32_e32 v1, 29, v16
	v_and_b32_e32 v0, 7, v0
	v_cndmask_b32_e32 v1, v17, v1, vcc
	v_cndmask_b32_e32 v0, v10, v0, vcc
	v_lshlrev_b32_e32 v10, 24, v14
	v_bfrev_b32_e32 v14, 60
	v_lshlrev_b32_e32 v0, 20, v0
	v_and_b32_e32 v10, 0x80000000, v10
	v_lshl_add_u32 v1, v1, 23, v14
	v_or3_b32 v10, v10, v1, v0
.LBB328_1596:                           ;   in Loop: Header=BB328_800 Depth=1
	s_or_b64 exec, exec, s[26:27]
.LBB328_1597:                           ;   in Loop: Header=BB328_800 Depth=1
	s_or_b64 exec, exec, s[24:25]
.LBB328_1598:                           ;   in Loop: Header=BB328_800 Depth=1
	s_or_b64 exec, exec, s[22:23]
	v_mul_f32_e32 v0, v40, v25
	v_bfe_u32 v1, v0, 16, 1
	v_add3_u32 v1, v1, v0, s40
	v_or_b32_e32 v14, 0x400000, v0
	v_cmp_u_f32_e32 vcc, v0, v0
	v_cndmask_b32_e32 v0, v1, v14, vcc
	v_lshrrev_b32_e32 v14, 16, v0
	v_mul_f32_e32 v0, v40, v31
	v_bfe_u32 v1, v0, 16, 1
	v_add3_u32 v1, v1, v0, s40
	v_or_b32_e32 v16, 0x400000, v0
	v_cmp_u_f32_e32 vcc, v0, v0
	v_cndmask_b32_e32 v0, v1, v16, vcc
	v_lshrrev_b32_e32 v16, 16, v0
	;; [unrolled: 7-line block ×7, first 2 shown]
	v_mul_f32_e32 v0, v40, v10
	v_bfe_u32 v1, v0, 16, 1
	v_add3_u32 v1, v1, v0, s40
	v_or_b32_e32 v10, 0x400000, v0
	v_cmp_u_f32_e32 vcc, v0, v0
	v_cndmask_b32_e32 v0, v1, v10, vcc
	v_mov_b32_e32 v37, v33
	v_lshrrev_b32_e32 v20, 16, v0
	s_and_saveexec_b64 s[22:23], s[6:7]
	s_cbranch_execz .LBB328_799
; %bb.1599:                             ;   in Loop: Header=BB328_800 Depth=1
	buffer_load_dword v0, off, s[0:3], s32 offset:68 ; 4-byte Folded Reload
	v_add_u32_e32 v1, -6, v49
	s_waitcnt vmcnt(0)
	v_cmp_lt_i32_e32 vcc, v63, v0
	v_cndmask_b32_e32 v26, 0, v26, vcc
	v_cmp_lt_i32_e32 vcc, v1, v0
	v_add_u32_e32 v1, -5, v49
	v_cndmask_b32_e32 v30, 0, v30, vcc
	v_cmp_lt_i32_e32 vcc, v1, v0
	v_add_u32_e32 v1, -4, v49
	;; [unrolled: 3-line block ×5, first 2 shown]
	v_cndmask_b32_e32 v14, 0, v14, vcc
	v_cmp_lt_i32_e32 vcc, v1, v0
	v_cndmask_b32_e32 v19, 0, v19, vcc
	v_cmp_lt_i32_e32 vcc, v49, v0
	v_cndmask_b32_e32 v20, 0, v20, vcc
	s_branch .LBB328_799
.LBB328_1600:
	s_or_b64 exec, exec, s[12:13]
	buffer_load_dword v24, off, s[0:3], s32 offset:512 ; 4-byte Folded Reload
	buffer_load_dword v17, off, s[0:3], s32 offset:516 ; 4-byte Folded Reload
	;; [unrolled: 1-line block ×18, first 2 shown]
	v_mov_b32_e32 v4, s20
	v_mov_b32_e32 v5, s21
.LBB328_1601:
	s_or_b64 exec, exec, s[8:9]
	v_lshlrev_b64 v[0:1], 2, v[4:5]
	s_getpc_b64 s[6:7]
	s_add_u32 s6, s6, llvm.amdgcn.dynlds.offset.table@rel32@lo+4
	s_addc_u32 s7, s7, llvm.amdgcn.dynlds.offset.table@rel32@hi+12
	v_mov_b32_e32 v2, s7
	v_add_co_u32_e32 v0, vcc, s6, v0
	v_addc_co_u32_e32 v1, vcc, v2, v1, vcc
	s_waitcnt vmcnt(0)
	s_barrier
	global_load_dword v18, v[0:1], off
	ds_bpermute_b32 v0, v17, v3
	ds_bpermute_b32 v1, v17, v13
	;; [unrolled: 1-line block ×3, first 2 shown]
	s_waitcnt lgkmcnt(2)
	v_add_f32_e32 v0, v3, v0
	ds_bpermute_b32 v2, v23, v0
	s_waitcnt lgkmcnt(2)
	v_add_f32_e32 v1, v13, v1
	ds_bpermute_b32 v3, v23, v1
	;; [unrolled: 3-line block ×4, first 2 shown]
	v_add_f32_e32 v2, v14, v4
	ds_bpermute_b32 v3, v23, v2
	s_waitcnt lgkmcnt(2)
	v_add_f32_e32 v0, v12, v0
	ds_bpermute_b32 v4, v23, v0
	s_waitcnt lgkmcnt(2)
	;; [unrolled: 3-line block ×14, first 2 shown]
	v_add_f32_e32 v1, v7, v1
	ds_bpermute_b32 v7, v23, v1
	ds_bpermute_b32 v16, v17, v25
	s_waitcnt lgkmcnt(3)
	v_add_f32_e32 v8, v2, v3
	s_waitcnt lgkmcnt(2)
	v_add_f32_e32 v5, v0, v4
	ds_bpermute_b32 v0, v17, v22
	s_waitcnt lgkmcnt(2)
	v_add_f32_e32 v3, v1, v7
	s_waitcnt lgkmcnt(1)
	v_add_f32_e32 v1, v25, v16
	ds_bpermute_b32 v4, v17, v20
	ds_bpermute_b32 v7, v17, v21
	s_waitcnt lgkmcnt(2)
	v_add_f32_e32 v0, v22, v0
	ds_bpermute_b32 v16, v23, v0
	ds_bpermute_b32 v17, v17, v19
	v_mov_b32_e32 v25, v19
	s_waitcnt lgkmcnt(3)
	v_add_f32_e32 v19, v20, v4
	s_waitcnt lgkmcnt(2)
	v_add_f32_e32 v21, v21, v7
	;; [unrolled: 2-line block ×3, first 2 shown]
	buffer_load_dword v16, off, s[0:3], s32 offset:1156 ; 4-byte Folded Reload
	s_waitcnt lgkmcnt(0)
	v_add_f32_e32 v17, v25, v17
	ds_bpermute_b32 v2, v23, v1
	ds_bpermute_b32 v20, v23, v19
	;; [unrolled: 1-line block ×4, first 2 shown]
	s_waitcnt lgkmcnt(3)
	v_add_f32_e32 v7, v1, v2
	s_waitcnt lgkmcnt(2)
	v_add_f32_e32 v2, v19, v20
	;; [unrolled: 2-line block ×4, first 2 shown]
	s_waitcnt vmcnt(0)
	v_and_b32_e32 v17, 0x3c3, v16
	v_cmp_eq_u32_e32 vcc, 64, v17
	s_and_saveexec_b64 s[6:7], vcc
	s_cbranch_execz .LBB328_1603
; %bb.1602:
	v_add_u32_e32 v16, v18, v24
	ds_write2_b32 v16, v15, v13 offset1:16
	ds_write2_b32 v16, v14, v12 offset0:32 offset1:48
	ds_write2_b32 v16, v10, v11 offset0:64 offset1:80
	;; [unrolled: 1-line block ×7, first 2 shown]
.LBB328_1603:
	s_or_b64 exec, exec, s[6:7]
	buffer_load_dword v16, off, s[0:3], s32 offset:1156 ; 4-byte Folded Reload
	s_waitcnt vmcnt(0) lgkmcnt(0)
	s_barrier
	v_lshrrev_b32_e32 v16, 2, v16
	s_and_saveexec_b64 s[6:7], s[4:5]
	s_cbranch_execz .LBB328_1622
; %bb.1604:
	buffer_load_dword v19, off, s[0:3], s32 offset:508 ; 4-byte Folded Reload
	v_lshl_add_u32 v18, v16, 2, v18
	s_waitcnt vmcnt(0)
	v_cmp_eq_u32_e32 vcc, 0, v19
	s_and_saveexec_b64 s[4:5], vcc
	s_cbranch_execnz .LBB328_1625
; %bb.1605:
	s_or_b64 exec, exec, s[4:5]
	s_and_saveexec_b64 s[4:5], vcc
	s_cbranch_execnz .LBB328_1626
.LBB328_1606:
	s_or_b64 exec, exec, s[4:5]
	s_and_saveexec_b64 s[4:5], vcc
	s_cbranch_execnz .LBB328_1627
.LBB328_1607:
	s_or_b64 exec, exec, s[4:5]
	s_and_saveexec_b64 s[4:5], vcc
	s_cbranch_execnz .LBB328_1628
.LBB328_1608:
	s_or_b64 exec, exec, s[4:5]
	s_and_saveexec_b64 s[4:5], vcc
	s_cbranch_execnz .LBB328_1629
.LBB328_1609:
	s_or_b64 exec, exec, s[4:5]
	s_and_saveexec_b64 s[4:5], vcc
	s_cbranch_execnz .LBB328_1630
.LBB328_1610:
	s_or_b64 exec, exec, s[4:5]
	s_and_saveexec_b64 s[4:5], vcc
	s_cbranch_execnz .LBB328_1631
.LBB328_1611:
	s_or_b64 exec, exec, s[4:5]
	s_and_saveexec_b64 s[4:5], vcc
	s_cbranch_execnz .LBB328_1632
.LBB328_1612:
	s_or_b64 exec, exec, s[4:5]
	s_and_saveexec_b64 s[4:5], vcc
	s_cbranch_execnz .LBB328_1633
.LBB328_1613:
	s_or_b64 exec, exec, s[4:5]
	s_and_saveexec_b64 s[4:5], vcc
	s_cbranch_execnz .LBB328_1634
.LBB328_1614:
	s_or_b64 exec, exec, s[4:5]
	s_and_saveexec_b64 s[4:5], vcc
	s_cbranch_execnz .LBB328_1635
.LBB328_1615:
	s_or_b64 exec, exec, s[4:5]
	s_and_saveexec_b64 s[4:5], vcc
	s_cbranch_execnz .LBB328_1636
.LBB328_1616:
	s_or_b64 exec, exec, s[4:5]
	s_and_saveexec_b64 s[4:5], vcc
	s_cbranch_execnz .LBB328_1637
.LBB328_1617:
	s_or_b64 exec, exec, s[4:5]
	s_and_saveexec_b64 s[4:5], vcc
	s_cbranch_execnz .LBB328_1638
.LBB328_1618:
	s_or_b64 exec, exec, s[4:5]
	s_and_saveexec_b64 s[4:5], vcc
	s_cbranch_execnz .LBB328_1639
.LBB328_1619:
	s_or_b64 exec, exec, s[4:5]
	s_and_saveexec_b64 s[4:5], vcc
	s_cbranch_execz .LBB328_1621
.LBB328_1620:
	ds_read_b32 v18, v18 offset:960
	s_waitcnt lgkmcnt(0)
	v_add_f32_e32 v0, v18, v0
.LBB328_1621:
	s_or_b64 exec, exec, s[4:5]
.LBB328_1622:
	s_or_b64 exec, exec, s[6:7]
	v_cmp_eq_u32_e32 vcc, 0, v17
	s_barrier
	s_and_saveexec_b64 s[4:5], vcc
	s_cbranch_execz .LBB328_1624
; %bb.1623:
	buffer_load_dword v18, off, s[0:3], s32 offset:1204 ; 4-byte Folded Reload
	buffer_load_dword v19, off, s[0:3], s32 offset:1200 ; 4-byte Folded Reload
	s_and_b32 s6, 0xffff, s19
	s_cmp_lg_u32 s6, 0
	s_cselect_b64 s[6:7], -1, 0
	s_cmp_lg_u64 s[6:7], 0
	s_addc_u32 s8, s17, 0
	s_mul_i32 s6, s16, s8
	s_mul_i32 s6, s6, s15
	s_lshl_b32 s6, s6, 8
	s_ashr_i32 s7, s6, 31
	s_lshl_b64 s[6:7], s[6:7], 1
	v_mov_b32_e32 v17, s7
	v_lshlrev_b32_e32 v16, 1, v16
	s_waitcnt vmcnt(1)
	v_add_co_u32_e32 v18, vcc, s6, v18
	s_mul_i32 s6, s18, s8
	s_ashr_i32 s7, s6, 31
	s_waitcnt vmcnt(0)
	v_addc_co_u32_e32 v17, vcc, v19, v17, vcc
	s_lshl_b64 s[6:7], s[6:7], 1
	v_add_co_u32_e32 v18, vcc, s6, v18
	s_lshl_b32 s6, s14, 8
	v_mov_b32_e32 v19, s7
	s_ashr_i32 s7, s6, 31
	v_addc_co_u32_e32 v17, vcc, v17, v19, vcc
	s_lshl_b64 s[6:7], s[6:7], 1
	v_mov_b32_e32 v19, s7
	v_add_co_u32_e32 v18, vcc, s6, v18
	v_addc_co_u32_e32 v17, vcc, v17, v19, vcc
	v_add_co_u32_e32 v16, vcc, v18, v16
	v_addc_co_u32_e32 v17, vcc, 0, v17, vcc
	v_bfe_u32 v18, v15, 16, 1
	s_movk_i32 s6, 0x7fff
	v_add3_u32 v18, v18, v15, s6
	v_or_b32_e32 v19, 0x400000, v15
	v_cmp_u_f32_e32 vcc, v15, v15
	v_cndmask_b32_e32 v15, v18, v19, vcc
	flat_store_short_d16_hi v[16:17], v15
	v_bfe_u32 v15, v13, 16, 1
	v_add3_u32 v15, v15, v13, s6
	v_or_b32_e32 v18, 0x400000, v13
	v_cmp_u_f32_e32 vcc, v13, v13
	v_cndmask_b32_e32 v13, v15, v18, vcc
	flat_store_short_d16_hi v[16:17], v13 offset:32
	v_bfe_u32 v13, v14, 16, 1
	v_add3_u32 v13, v13, v14, s6
	v_or_b32_e32 v15, 0x400000, v14
	v_cmp_u_f32_e32 vcc, v14, v14
	v_cndmask_b32_e32 v13, v13, v15, vcc
	flat_store_short_d16_hi v[16:17], v13 offset:64
	v_bfe_u32 v13, v12, 16, 1
	v_add3_u32 v13, v13, v12, s6
	v_or_b32_e32 v14, 0x400000, v12
	v_cmp_u_f32_e32 vcc, v12, v12
	v_cndmask_b32_e32 v12, v13, v14, vcc
	flat_store_short_d16_hi v[16:17], v12 offset:96
	v_bfe_u32 v12, v10, 16, 1
	v_add3_u32 v12, v12, v10, s6
	v_or_b32_e32 v13, 0x400000, v10
	v_cmp_u_f32_e32 vcc, v10, v10
	v_cndmask_b32_e32 v10, v12, v13, vcc
	flat_store_short_d16_hi v[16:17], v10 offset:128
	v_bfe_u32 v10, v11, 16, 1
	v_add3_u32 v10, v10, v11, s6
	v_or_b32_e32 v12, 0x400000, v11
	v_cmp_u_f32_e32 vcc, v11, v11
	v_cndmask_b32_e32 v10, v10, v12, vcc
	flat_store_short_d16_hi v[16:17], v10 offset:160
	v_bfe_u32 v10, v9, 16, 1
	v_add3_u32 v10, v10, v9, s6
	v_or_b32_e32 v11, 0x400000, v9
	v_cmp_u_f32_e32 vcc, v9, v9
	v_cndmask_b32_e32 v9, v10, v11, vcc
	flat_store_short_d16_hi v[16:17], v9 offset:192
	v_bfe_u32 v9, v6, 16, 1
	v_add3_u32 v9, v9, v6, s6
	v_or_b32_e32 v10, 0x400000, v6
	v_cmp_u_f32_e32 vcc, v6, v6
	v_cndmask_b32_e32 v6, v9, v10, vcc
	flat_store_short_d16_hi v[16:17], v6 offset:224
	v_bfe_u32 v6, v8, 16, 1
	v_add3_u32 v6, v6, v8, s6
	v_or_b32_e32 v9, 0x400000, v8
	v_cmp_u_f32_e32 vcc, v8, v8
	v_cndmask_b32_e32 v6, v6, v9, vcc
	flat_store_short_d16_hi v[16:17], v6 offset:256
	v_bfe_u32 v6, v5, 16, 1
	v_add3_u32 v6, v6, v5, s6
	v_or_b32_e32 v8, 0x400000, v5
	v_cmp_u_f32_e32 vcc, v5, v5
	v_cndmask_b32_e32 v5, v6, v8, vcc
	flat_store_short_d16_hi v[16:17], v5 offset:288
	v_bfe_u32 v5, v3, 16, 1
	v_add3_u32 v5, v5, v3, s6
	v_or_b32_e32 v6, 0x400000, v3
	v_cmp_u_f32_e32 vcc, v3, v3
	v_cndmask_b32_e32 v3, v5, v6, vcc
	flat_store_short_d16_hi v[16:17], v3 offset:320
	v_bfe_u32 v3, v7, 16, 1
	v_add3_u32 v3, v3, v7, s6
	v_or_b32_e32 v5, 0x400000, v7
	v_cmp_u_f32_e32 vcc, v7, v7
	v_cndmask_b32_e32 v3, v3, v5, vcc
	flat_store_short_d16_hi v[16:17], v3 offset:352
	v_bfe_u32 v3, v4, 16, 1
	v_add3_u32 v3, v3, v4, s6
	v_or_b32_e32 v5, 0x400000, v4
	v_cmp_u_f32_e32 vcc, v4, v4
	v_cndmask_b32_e32 v3, v3, v5, vcc
	flat_store_short_d16_hi v[16:17], v3 offset:384
	v_bfe_u32 v3, v2, 16, 1
	v_add3_u32 v3, v3, v2, s6
	v_or_b32_e32 v4, 0x400000, v2
	v_cmp_u_f32_e32 vcc, v2, v2
	v_cndmask_b32_e32 v2, v3, v4, vcc
	flat_store_short_d16_hi v[16:17], v2 offset:416
	v_bfe_u32 v2, v1, 16, 1
	v_add3_u32 v2, v2, v1, s6
	v_or_b32_e32 v3, 0x400000, v1
	v_cmp_u_f32_e32 vcc, v1, v1
	v_cndmask_b32_e32 v1, v2, v3, vcc
	flat_store_short_d16_hi v[16:17], v1 offset:448
	v_bfe_u32 v1, v0, 16, 1
	v_add3_u32 v1, v1, v0, s6
	v_or_b32_e32 v2, 0x400000, v0
	v_cmp_u_f32_e32 vcc, v0, v0
	v_cndmask_b32_e32 v0, v1, v2, vcc
	flat_store_short_d16_hi v[16:17], v0 offset:480
.LBB328_1624:
	s_or_b64 exec, exec, s[4:5]
	buffer_load_dword v63, off, s[0:3], s32 ; 4-byte Folded Reload
	buffer_load_dword v62, off, s[0:3], s32 offset:4 ; 4-byte Folded Reload
	buffer_load_dword v61, off, s[0:3], s32 offset:8 ; 4-byte Folded Reload
	;; [unrolled: 1-line block ×15, first 2 shown]
	s_waitcnt vmcnt(0) lgkmcnt(0)
	s_setpc_b64 s[30:31]
.LBB328_1625:
	ds_read_b32 v19, v18
	s_waitcnt lgkmcnt(0)
	v_add_f32_e32 v15, v19, v15
	s_or_b64 exec, exec, s[4:5]
	s_and_saveexec_b64 s[4:5], vcc
	s_cbranch_execz .LBB328_1606
.LBB328_1626:
	ds_read_b32 v19, v18 offset:64
	s_waitcnt lgkmcnt(0)
	v_add_f32_e32 v13, v19, v13
	s_or_b64 exec, exec, s[4:5]
	s_and_saveexec_b64 s[4:5], vcc
	s_cbranch_execz .LBB328_1607
.LBB328_1627:
	ds_read_b32 v19, v18 offset:128
	s_waitcnt lgkmcnt(0)
	v_add_f32_e32 v14, v19, v14
	s_or_b64 exec, exec, s[4:5]
	s_and_saveexec_b64 s[4:5], vcc
	s_cbranch_execz .LBB328_1608
.LBB328_1628:
	ds_read_b32 v19, v18 offset:192
	s_waitcnt lgkmcnt(0)
	v_add_f32_e32 v12, v19, v12
	s_or_b64 exec, exec, s[4:5]
	s_and_saveexec_b64 s[4:5], vcc
	s_cbranch_execz .LBB328_1609
.LBB328_1629:
	ds_read_b32 v19, v18 offset:256
	s_waitcnt lgkmcnt(0)
	v_add_f32_e32 v10, v19, v10
	s_or_b64 exec, exec, s[4:5]
	s_and_saveexec_b64 s[4:5], vcc
	s_cbranch_execz .LBB328_1610
.LBB328_1630:
	ds_read_b32 v19, v18 offset:320
	s_waitcnt lgkmcnt(0)
	v_add_f32_e32 v11, v19, v11
	s_or_b64 exec, exec, s[4:5]
	s_and_saveexec_b64 s[4:5], vcc
	s_cbranch_execz .LBB328_1611
.LBB328_1631:
	ds_read_b32 v19, v18 offset:384
	s_waitcnt lgkmcnt(0)
	v_add_f32_e32 v9, v19, v9
	s_or_b64 exec, exec, s[4:5]
	s_and_saveexec_b64 s[4:5], vcc
	s_cbranch_execz .LBB328_1612
.LBB328_1632:
	ds_read_b32 v19, v18 offset:448
	s_waitcnt lgkmcnt(0)
	v_add_f32_e32 v6, v19, v6
	s_or_b64 exec, exec, s[4:5]
	s_and_saveexec_b64 s[4:5], vcc
	s_cbranch_execz .LBB328_1613
.LBB328_1633:
	ds_read_b32 v19, v18 offset:512
	s_waitcnt lgkmcnt(0)
	v_add_f32_e32 v8, v19, v8
	s_or_b64 exec, exec, s[4:5]
	s_and_saveexec_b64 s[4:5], vcc
	s_cbranch_execz .LBB328_1614
.LBB328_1634:
	ds_read_b32 v19, v18 offset:576
	s_waitcnt lgkmcnt(0)
	v_add_f32_e32 v5, v19, v5
	s_or_b64 exec, exec, s[4:5]
	s_and_saveexec_b64 s[4:5], vcc
	s_cbranch_execz .LBB328_1615
.LBB328_1635:
	ds_read_b32 v19, v18 offset:640
	s_waitcnt lgkmcnt(0)
	v_add_f32_e32 v3, v19, v3
	s_or_b64 exec, exec, s[4:5]
	s_and_saveexec_b64 s[4:5], vcc
	s_cbranch_execz .LBB328_1616
.LBB328_1636:
	ds_read_b32 v19, v18 offset:704
	s_waitcnt lgkmcnt(0)
	v_add_f32_e32 v7, v19, v7
	s_or_b64 exec, exec, s[4:5]
	s_and_saveexec_b64 s[4:5], vcc
	s_cbranch_execz .LBB328_1617
.LBB328_1637:
	ds_read_b32 v19, v18 offset:768
	s_waitcnt lgkmcnt(0)
	v_add_f32_e32 v4, v19, v4
	s_or_b64 exec, exec, s[4:5]
	s_and_saveexec_b64 s[4:5], vcc
	s_cbranch_execz .LBB328_1618
.LBB328_1638:
	ds_read_b32 v19, v18 offset:832
	s_waitcnt lgkmcnt(0)
	v_add_f32_e32 v2, v19, v2
	s_or_b64 exec, exec, s[4:5]
	s_and_saveexec_b64 s[4:5], vcc
	s_cbranch_execz .LBB328_1619
.LBB328_1639:
	ds_read_b32 v19, v18 offset:896
	s_waitcnt lgkmcnt(0)
	v_add_f32_e32 v1, v19, v1
	s_or_b64 exec, exec, s[4:5]
	s_and_saveexec_b64 s[4:5], vcc
	s_cbranch_execnz .LBB328_1620
	s_branch .LBB328_1621
.Lfunc_end328:
	.size	_ZN4vllm22paged_attention_kernelI14__hip_bfloat16hLi256ELi32ELi128ELNS_18Fp8KVCacheDataTypeE1ELb0ELi0EEEvPfS3_PT_PKS4_PKT0_SA_ifPKiSC_iPKfiiiSE_SE_iiiii, .Lfunc_end328-_ZN4vllm22paged_attention_kernelI14__hip_bfloat16hLi256ELi32ELi128ELNS_18Fp8KVCacheDataTypeE1ELb0ELi0EEEvPfS3_PT_PKS4_PKT0_SA_ifPKiSC_iPKfiiiSE_SE_iiiii
                                        ; -- End function
	.set .L_ZN4vllm22paged_attention_kernelI14__hip_bfloat16hLi256ELi32ELi128ELNS_18Fp8KVCacheDataTypeE1ELb0ELi0EEEvPfS3_PT_PKS4_PKT0_SA_ifPKiSC_iPKfiiiSE_SE_iiiii.num_vgpr, 64
	.set .L_ZN4vllm22paged_attention_kernelI14__hip_bfloat16hLi256ELi32ELi128ELNS_18Fp8KVCacheDataTypeE1ELb0ELi0EEEvPfS3_PT_PKS4_PKT0_SA_ifPKiSC_iPKfiiiSE_SE_iiiii.num_agpr, 0
	.set .L_ZN4vllm22paged_attention_kernelI14__hip_bfloat16hLi256ELi32ELi128ELNS_18Fp8KVCacheDataTypeE1ELb0ELi0EEEvPfS3_PT_PKS4_PKT0_SA_ifPKiSC_iPKfiiiSE_SE_iiiii.numbered_sgpr, 45
	.set .L_ZN4vllm22paged_attention_kernelI14__hip_bfloat16hLi256ELi32ELi128ELNS_18Fp8KVCacheDataTypeE1ELb0ELi0EEEvPfS3_PT_PKS4_PKT0_SA_ifPKiSC_iPKfiiiSE_SE_iiiii.num_named_barrier, 0
	.set .L_ZN4vllm22paged_attention_kernelI14__hip_bfloat16hLi256ELi32ELi128ELNS_18Fp8KVCacheDataTypeE1ELb0ELi0EEEvPfS3_PT_PKS4_PKT0_SA_ifPKiSC_iPKfiiiSE_SE_iiiii.private_seg_size, 1232
	.set .L_ZN4vllm22paged_attention_kernelI14__hip_bfloat16hLi256ELi32ELi128ELNS_18Fp8KVCacheDataTypeE1ELb0ELi0EEEvPfS3_PT_PKS4_PKT0_SA_ifPKiSC_iPKfiiiSE_SE_iiiii.uses_vcc, 1
	.set .L_ZN4vllm22paged_attention_kernelI14__hip_bfloat16hLi256ELi32ELi128ELNS_18Fp8KVCacheDataTypeE1ELb0ELi0EEEvPfS3_PT_PKS4_PKT0_SA_ifPKiSC_iPKfiiiSE_SE_iiiii.uses_flat_scratch, 0
	.set .L_ZN4vllm22paged_attention_kernelI14__hip_bfloat16hLi256ELi32ELi128ELNS_18Fp8KVCacheDataTypeE1ELb0ELi0EEEvPfS3_PT_PKS4_PKT0_SA_ifPKiSC_iPKfiiiSE_SE_iiiii.has_dyn_sized_stack, 0
	.set .L_ZN4vllm22paged_attention_kernelI14__hip_bfloat16hLi256ELi32ELi128ELNS_18Fp8KVCacheDataTypeE1ELb0ELi0EEEvPfS3_PT_PKS4_PKT0_SA_ifPKiSC_iPKfiiiSE_SE_iiiii.has_recursion, 0
	.set .L_ZN4vllm22paged_attention_kernelI14__hip_bfloat16hLi256ELi32ELi128ELNS_18Fp8KVCacheDataTypeE1ELb0ELi0EEEvPfS3_PT_PKS4_PKT0_SA_ifPKiSC_iPKfiiiSE_SE_iiiii.has_indirect_call, 0
	.section	.AMDGPU.csdata,"",@progbits
; Function info:
; codeLenInByte = 81292
; TotalNumSgprs: 49
; NumVgprs: 64
; ScratchSize: 1232
; MemoryBound: 0
	.section	.text._ZN4vllm25paged_attention_v1_kernelI14__hip_bfloat16hLi256ELi32ELi128ELNS_18Fp8KVCacheDataTypeE1ELb0EEEvPT_PKS3_PKT0_S9_ifPKiSB_iPKfiiiSD_SD_iiiii,"axG",@progbits,_ZN4vllm25paged_attention_v1_kernelI14__hip_bfloat16hLi256ELi32ELi128ELNS_18Fp8KVCacheDataTypeE1ELb0EEEvPT_PKS3_PKT0_S9_ifPKiSB_iPKfiiiSD_SD_iiiii,comdat
	.protected	_ZN4vllm25paged_attention_v1_kernelI14__hip_bfloat16hLi256ELi32ELi128ELNS_18Fp8KVCacheDataTypeE1ELb0EEEvPT_PKS3_PKT0_S9_ifPKiSB_iPKfiiiSD_SD_iiiii ; -- Begin function _ZN4vllm25paged_attention_v1_kernelI14__hip_bfloat16hLi256ELi32ELi128ELNS_18Fp8KVCacheDataTypeE1ELb0EEEvPT_PKS3_PKT0_S9_ifPKiSB_iPKfiiiSD_SD_iiiii
	.globl	_ZN4vllm25paged_attention_v1_kernelI14__hip_bfloat16hLi256ELi32ELi128ELNS_18Fp8KVCacheDataTypeE1ELb0EEEvPT_PKS3_PKT0_S9_ifPKiSB_iPKfiiiSD_SD_iiiii
	.p2align	8
	.type	_ZN4vllm25paged_attention_v1_kernelI14__hip_bfloat16hLi256ELi32ELi128ELNS_18Fp8KVCacheDataTypeE1ELb0EEEvPT_PKS3_PKT0_S9_ifPKiSB_iPKfiiiSD_SD_iiiii,@function
_ZN4vllm25paged_attention_v1_kernelI14__hip_bfloat16hLi256ELi32ELi128ELNS_18Fp8KVCacheDataTypeE1ELb0EEEvPT_PKS3_PKT0_S9_ifPKiSB_iPKfiiiSD_SD_iiiii: ; @_ZN4vllm25paged_attention_v1_kernelI14__hip_bfloat16hLi256ELi32ELi128ELNS_18Fp8KVCacheDataTypeE1ELb0EEEvPT_PKS3_PKT0_S9_ifPKiSB_iPKfiiiSD_SD_iiiii
; %bb.0:
	s_load_dwordx8 s[16:23], s[4:5], 0x0
	s_load_dwordx4 s[36:39], s[4:5], 0x20
	s_load_dwordx2 s[10:11], s[4:5], 0x30
	s_load_dword s33, s[4:5], 0x38
	s_load_dwordx2 s[34:35], s[4:5], 0x40
	s_load_dwordx8 s[24:31], s[4:5], 0x48
	s_add_u32 s0, s0, s9
	s_addc_u32 s1, s1, 0
	s_mov_b32 s14, s8
	s_add_u32 s8, s4, 0x80
	s_addc_u32 s9, s5, 0
	s_getpc_b64 s[4:5]
	s_add_u32 s4, s4, _ZN4vllm22paged_attention_kernelI14__hip_bfloat16hLi256ELi32ELi128ELNS_18Fp8KVCacheDataTypeE1ELb0ELi0EEEvPfS3_PT_PKS4_PKT0_SA_ifPKiSC_iPKfiiiSE_SE_iiiii@rel32@lo+4
	s_addc_u32 s5, s5, _ZN4vllm22paged_attention_kernelI14__hip_bfloat16hLi256ELi32ELi128ELNS_18Fp8KVCacheDataTypeE1ELb0ELi0EEEvPfS3_PT_PKS4_PKT0_SA_ifPKiSC_iPKfiiiSE_SE_iiiii@rel32@hi+12
	s_mov_b32 s12, s6
	s_mov_b32 s13, s7
	;; [unrolled: 1-line block ×3, first 2 shown]
	v_mov_b32_e32 v31, v0
	s_waitcnt lgkmcnt(0)
	v_mov_b32_e32 v0, s16
	v_mov_b32_e32 v1, s17
	;; [unrolled: 1-line block ×24, first 2 shown]
	s_mov_b32 s32, 0
	s_swappc_b64 s[30:31], s[4:5]
	s_endpgm
	.section	.rodata,"a",@progbits
	.p2align	6, 0x0
	.amdhsa_kernel _ZN4vllm25paged_attention_v1_kernelI14__hip_bfloat16hLi256ELi32ELi128ELNS_18Fp8KVCacheDataTypeE1ELb0EEEvPT_PKS3_PKT0_S9_ifPKiSB_iPKfiiiSD_SD_iiiii
		.amdhsa_group_segment_fixed_size 528
		.amdhsa_private_segment_fixed_size 1232
		.amdhsa_kernarg_size 384
		.amdhsa_user_sgpr_count 6
		.amdhsa_user_sgpr_private_segment_buffer 1
		.amdhsa_user_sgpr_dispatch_ptr 0
		.amdhsa_user_sgpr_queue_ptr 0
		.amdhsa_user_sgpr_kernarg_segment_ptr 1
		.amdhsa_user_sgpr_dispatch_id 0
		.amdhsa_user_sgpr_flat_scratch_init 0
		.amdhsa_user_sgpr_private_segment_size 0
		.amdhsa_uses_dynamic_stack 0
		.amdhsa_system_sgpr_private_segment_wavefront_offset 1
		.amdhsa_system_sgpr_workgroup_id_x 1
		.amdhsa_system_sgpr_workgroup_id_y 1
		.amdhsa_system_sgpr_workgroup_id_z 1
		.amdhsa_system_sgpr_workgroup_info 0
		.amdhsa_system_vgpr_workitem_id 0
		.amdhsa_next_free_vgpr 64
		.amdhsa_next_free_sgpr 45
		.amdhsa_reserve_vcc 1
		.amdhsa_reserve_flat_scratch 0
		.amdhsa_float_round_mode_32 0
		.amdhsa_float_round_mode_16_64 0
		.amdhsa_float_denorm_mode_32 3
		.amdhsa_float_denorm_mode_16_64 3
		.amdhsa_dx10_clamp 1
		.amdhsa_ieee_mode 1
		.amdhsa_fp16_overflow 0
		.amdhsa_exception_fp_ieee_invalid_op 0
		.amdhsa_exception_fp_denorm_src 0
		.amdhsa_exception_fp_ieee_div_zero 0
		.amdhsa_exception_fp_ieee_overflow 0
		.amdhsa_exception_fp_ieee_underflow 0
		.amdhsa_exception_fp_ieee_inexact 0
		.amdhsa_exception_int_div_zero 0
	.end_amdhsa_kernel
	.section	.text._ZN4vllm25paged_attention_v1_kernelI14__hip_bfloat16hLi256ELi32ELi128ELNS_18Fp8KVCacheDataTypeE1ELb0EEEvPT_PKS3_PKT0_S9_ifPKiSB_iPKfiiiSD_SD_iiiii,"axG",@progbits,_ZN4vllm25paged_attention_v1_kernelI14__hip_bfloat16hLi256ELi32ELi128ELNS_18Fp8KVCacheDataTypeE1ELb0EEEvPT_PKS3_PKT0_S9_ifPKiSB_iPKfiiiSD_SD_iiiii,comdat
.Lfunc_end329:
	.size	_ZN4vllm25paged_attention_v1_kernelI14__hip_bfloat16hLi256ELi32ELi128ELNS_18Fp8KVCacheDataTypeE1ELb0EEEvPT_PKS3_PKT0_S9_ifPKiSB_iPKfiiiSD_SD_iiiii, .Lfunc_end329-_ZN4vllm25paged_attention_v1_kernelI14__hip_bfloat16hLi256ELi32ELi128ELNS_18Fp8KVCacheDataTypeE1ELb0EEEvPT_PKS3_PKT0_S9_ifPKiSB_iPKfiiiSD_SD_iiiii
                                        ; -- End function
	.set _ZN4vllm25paged_attention_v1_kernelI14__hip_bfloat16hLi256ELi32ELi128ELNS_18Fp8KVCacheDataTypeE1ELb0EEEvPT_PKS3_PKT0_S9_ifPKiSB_iPKfiiiSD_SD_iiiii.num_vgpr, max(32, .L_ZN4vllm22paged_attention_kernelI14__hip_bfloat16hLi256ELi32ELi128ELNS_18Fp8KVCacheDataTypeE1ELb0ELi0EEEvPfS3_PT_PKS4_PKT0_SA_ifPKiSC_iPKfiiiSE_SE_iiiii.num_vgpr)
	.set _ZN4vllm25paged_attention_v1_kernelI14__hip_bfloat16hLi256ELi32ELi128ELNS_18Fp8KVCacheDataTypeE1ELb0EEEvPT_PKS3_PKT0_S9_ifPKiSB_iPKfiiiSD_SD_iiiii.num_agpr, max(0, .L_ZN4vllm22paged_attention_kernelI14__hip_bfloat16hLi256ELi32ELi128ELNS_18Fp8KVCacheDataTypeE1ELb0ELi0EEEvPfS3_PT_PKS4_PKT0_SA_ifPKiSC_iPKfiiiSE_SE_iiiii.num_agpr)
	.set _ZN4vllm25paged_attention_v1_kernelI14__hip_bfloat16hLi256ELi32ELi128ELNS_18Fp8KVCacheDataTypeE1ELb0EEEvPT_PKS3_PKT0_S9_ifPKiSB_iPKfiiiSD_SD_iiiii.numbered_sgpr, max(40, .L_ZN4vllm22paged_attention_kernelI14__hip_bfloat16hLi256ELi32ELi128ELNS_18Fp8KVCacheDataTypeE1ELb0ELi0EEEvPfS3_PT_PKS4_PKT0_SA_ifPKiSC_iPKfiiiSE_SE_iiiii.numbered_sgpr)
	.set _ZN4vllm25paged_attention_v1_kernelI14__hip_bfloat16hLi256ELi32ELi128ELNS_18Fp8KVCacheDataTypeE1ELb0EEEvPT_PKS3_PKT0_S9_ifPKiSB_iPKfiiiSD_SD_iiiii.num_named_barrier, max(0, .L_ZN4vllm22paged_attention_kernelI14__hip_bfloat16hLi256ELi32ELi128ELNS_18Fp8KVCacheDataTypeE1ELb0ELi0EEEvPfS3_PT_PKS4_PKT0_SA_ifPKiSC_iPKfiiiSE_SE_iiiii.num_named_barrier)
	.set _ZN4vllm25paged_attention_v1_kernelI14__hip_bfloat16hLi256ELi32ELi128ELNS_18Fp8KVCacheDataTypeE1ELb0EEEvPT_PKS3_PKT0_S9_ifPKiSB_iPKfiiiSD_SD_iiiii.private_seg_size, 0+max(.L_ZN4vllm22paged_attention_kernelI14__hip_bfloat16hLi256ELi32ELi128ELNS_18Fp8KVCacheDataTypeE1ELb0ELi0EEEvPfS3_PT_PKS4_PKT0_SA_ifPKiSC_iPKfiiiSE_SE_iiiii.private_seg_size)
	.set _ZN4vllm25paged_attention_v1_kernelI14__hip_bfloat16hLi256ELi32ELi128ELNS_18Fp8KVCacheDataTypeE1ELb0EEEvPT_PKS3_PKT0_S9_ifPKiSB_iPKfiiiSD_SD_iiiii.uses_vcc, or(1, .L_ZN4vllm22paged_attention_kernelI14__hip_bfloat16hLi256ELi32ELi128ELNS_18Fp8KVCacheDataTypeE1ELb0ELi0EEEvPfS3_PT_PKS4_PKT0_SA_ifPKiSC_iPKfiiiSE_SE_iiiii.uses_vcc)
	.set _ZN4vllm25paged_attention_v1_kernelI14__hip_bfloat16hLi256ELi32ELi128ELNS_18Fp8KVCacheDataTypeE1ELb0EEEvPT_PKS3_PKT0_S9_ifPKiSB_iPKfiiiSD_SD_iiiii.uses_flat_scratch, or(0, .L_ZN4vllm22paged_attention_kernelI14__hip_bfloat16hLi256ELi32ELi128ELNS_18Fp8KVCacheDataTypeE1ELb0ELi0EEEvPfS3_PT_PKS4_PKT0_SA_ifPKiSC_iPKfiiiSE_SE_iiiii.uses_flat_scratch)
	.set _ZN4vllm25paged_attention_v1_kernelI14__hip_bfloat16hLi256ELi32ELi128ELNS_18Fp8KVCacheDataTypeE1ELb0EEEvPT_PKS3_PKT0_S9_ifPKiSB_iPKfiiiSD_SD_iiiii.has_dyn_sized_stack, or(0, .L_ZN4vllm22paged_attention_kernelI14__hip_bfloat16hLi256ELi32ELi128ELNS_18Fp8KVCacheDataTypeE1ELb0ELi0EEEvPfS3_PT_PKS4_PKT0_SA_ifPKiSC_iPKfiiiSE_SE_iiiii.has_dyn_sized_stack)
	.set _ZN4vllm25paged_attention_v1_kernelI14__hip_bfloat16hLi256ELi32ELi128ELNS_18Fp8KVCacheDataTypeE1ELb0EEEvPT_PKS3_PKT0_S9_ifPKiSB_iPKfiiiSD_SD_iiiii.has_recursion, or(0, .L_ZN4vllm22paged_attention_kernelI14__hip_bfloat16hLi256ELi32ELi128ELNS_18Fp8KVCacheDataTypeE1ELb0ELi0EEEvPfS3_PT_PKS4_PKT0_SA_ifPKiSC_iPKfiiiSE_SE_iiiii.has_recursion)
	.set _ZN4vllm25paged_attention_v1_kernelI14__hip_bfloat16hLi256ELi32ELi128ELNS_18Fp8KVCacheDataTypeE1ELb0EEEvPT_PKS3_PKT0_S9_ifPKiSB_iPKfiiiSD_SD_iiiii.has_indirect_call, or(0, .L_ZN4vllm22paged_attention_kernelI14__hip_bfloat16hLi256ELi32ELi128ELNS_18Fp8KVCacheDataTypeE1ELb0ELi0EEEvPfS3_PT_PKS4_PKT0_SA_ifPKiSC_iPKfiiiSE_SE_iiiii.has_indirect_call)
	.section	.AMDGPU.csdata,"",@progbits
; Kernel info:
; codeLenInByte = 220
; TotalNumSgprs: 49
; NumVgprs: 64
; ScratchSize: 1232
; MemoryBound: 0
; FloatMode: 240
; IeeeMode: 1
; LDSByteSize: 528 bytes/workgroup (compile time only)
; SGPRBlocks: 6
; VGPRBlocks: 15
; NumSGPRsForWavesPerEU: 49
; NumVGPRsForWavesPerEU: 64
; Occupancy: 4
; WaveLimiterHint : 1
; COMPUTE_PGM_RSRC2:SCRATCH_EN: 1
; COMPUTE_PGM_RSRC2:USER_SGPR: 6
; COMPUTE_PGM_RSRC2:TRAP_HANDLER: 0
; COMPUTE_PGM_RSRC2:TGID_X_EN: 1
; COMPUTE_PGM_RSRC2:TGID_Y_EN: 1
; COMPUTE_PGM_RSRC2:TGID_Z_EN: 1
; COMPUTE_PGM_RSRC2:TIDIG_COMP_CNT: 0
	.section	.AMDGPU.gpr_maximums,"",@progbits
	.set amdgpu.max_num_vgpr, 64
	.set amdgpu.max_num_agpr, 0
	.set amdgpu.max_num_sgpr, 48
	.section	.AMDGPU.csdata,"",@progbits
	.type	__hip_cuid_8efc6e177d500fa4,@object ; @__hip_cuid_8efc6e177d500fa4
	.section	.bss,"aw",@nobits
	.globl	__hip_cuid_8efc6e177d500fa4
__hip_cuid_8efc6e177d500fa4:
	.byte	0                               ; 0x0
	.size	__hip_cuid_8efc6e177d500fa4, 1

	.type	llvm.amdgcn.dynlds.offset.table,@object ; @llvm.amdgcn.dynlds.offset.table
	.section	.data.rel.ro,"aw",@progbits
	.p2align	4, 0x0
llvm.amdgcn.dynlds.offset.table:
	.long	528
	.long	528
	;; [unrolled: 1-line block ×6, first 2 shown]
	.size	llvm.amdgcn.dynlds.offset.table, 24

	.ident	"AMD clang version 22.0.0git (https://github.com/RadeonOpenCompute/llvm-project roc-7.2.4 26084 f58b06dce1f9c15707c5f808fd002e18c2accf7e)"
	.section	".note.GNU-stack","",@progbits
	.addrsig
	.addrsig_sym __hip_cuid_8efc6e177d500fa4
	.amdgpu_metadata
---
amdhsa.kernels:
  - .args:
      - .actual_access:  write_only
        .address_space:  global
        .offset:         0
        .size:           8
        .value_kind:     global_buffer
      - .actual_access:  read_only
        .address_space:  global
        .offset:         8
        .size:           8
        .value_kind:     global_buffer
      - .actual_access:  read_only
        .address_space:  global
        .offset:         16
        .size:           8
        .value_kind:     global_buffer
      - .actual_access:  read_only
        .address_space:  global
        .offset:         24
        .size:           8
        .value_kind:     global_buffer
      - .offset:         32
        .size:           4
        .value_kind:     by_value
      - .offset:         36
        .size:           4
        .value_kind:     by_value
      - .actual_access:  read_only
        .address_space:  global
        .offset:         40
        .size:           8
        .value_kind:     global_buffer
      - .actual_access:  read_only
        .address_space:  global
        .offset:         48
        .size:           8
        .value_kind:     global_buffer
      - .offset:         56
        .size:           4
        .value_kind:     by_value
      - .actual_access:  read_only
        .address_space:  global
        .offset:         64
        .size:           8
        .value_kind:     global_buffer
      - .offset:         72
        .size:           4
        .value_kind:     by_value
      - .offset:         76
        .size:           4
        .value_kind:     by_value
      - .offset:         80
        .size:           4
        .value_kind:     by_value
      - .address_space:  global
        .offset:         88
        .size:           8
        .value_kind:     global_buffer
      - .address_space:  global
        .offset:         96
        .size:           8
        .value_kind:     global_buffer
      - .offset:         104
        .size:           4
        .value_kind:     by_value
      - .offset:         108
        .size:           4
        .value_kind:     by_value
      - .offset:         112
        .size:           4
        .value_kind:     by_value
      - .offset:         116
        .size:           4
        .value_kind:     by_value
      - .offset:         120
        .size:           4
        .value_kind:     by_value
      - .offset:         128
        .size:           4
        .value_kind:     hidden_block_count_x
      - .offset:         132
        .size:           4
        .value_kind:     hidden_block_count_y
      - .offset:         136
        .size:           4
        .value_kind:     hidden_block_count_z
      - .offset:         140
        .size:           2
        .value_kind:     hidden_group_size_x
      - .offset:         142
        .size:           2
        .value_kind:     hidden_group_size_y
      - .offset:         144
        .size:           2
        .value_kind:     hidden_group_size_z
      - .offset:         146
        .size:           2
        .value_kind:     hidden_remainder_x
      - .offset:         148
        .size:           2
        .value_kind:     hidden_remainder_y
      - .offset:         150
        .size:           2
        .value_kind:     hidden_remainder_z
      - .offset:         168
        .size:           8
        .value_kind:     hidden_global_offset_x
      - .offset:         176
        .size:           8
        .value_kind:     hidden_global_offset_y
      - .offset:         184
        .size:           8
        .value_kind:     hidden_global_offset_z
      - .offset:         192
        .size:           2
        .value_kind:     hidden_grid_dims
      - .offset:         248
        .size:           4
        .value_kind:     hidden_dynamic_lds_size
    .group_segment_fixed_size: 144
    .kernarg_segment_align: 8
    .kernarg_segment_size: 384
    .language:       OpenCL C
    .language_version:
      - 2
      - 0
    .max_flat_workgroup_size: 1024
    .name:           _ZN4vllm25paged_attention_v1_kernelIffLi32ELi8ELi128ELNS_18Fp8KVCacheDataTypeE0ELb1EEEvPT_PKS2_PKT0_S8_ifPKiSA_iPKfiiiSC_SC_iiiii
    .private_segment_fixed_size: 0
    .sgpr_count:     48
    .sgpr_spill_count: 0
    .symbol:         _ZN4vllm25paged_attention_v1_kernelIffLi32ELi8ELi128ELNS_18Fp8KVCacheDataTypeE0ELb1EEEvPT_PKS2_PKT0_S8_ifPKiSA_iPKfiiiSC_SC_iiiii.kd
    .uniform_work_group_size: 1
    .uses_dynamic_stack: false
    .vgpr_count:     33
    .vgpr_spill_count: 0
    .wavefront_size: 64
  - .args:
      - .actual_access:  write_only
        .address_space:  global
        .offset:         0
        .size:           8
        .value_kind:     global_buffer
      - .actual_access:  read_only
        .address_space:  global
        .offset:         8
        .size:           8
        .value_kind:     global_buffer
      - .actual_access:  read_only
        .address_space:  global
        .offset:         16
        .size:           8
        .value_kind:     global_buffer
      - .actual_access:  read_only
        .address_space:  global
        .offset:         24
        .size:           8
        .value_kind:     global_buffer
      - .offset:         32
        .size:           4
        .value_kind:     by_value
      - .offset:         36
        .size:           4
        .value_kind:     by_value
      - .actual_access:  read_only
        .address_space:  global
        .offset:         40
        .size:           8
        .value_kind:     global_buffer
      - .actual_access:  read_only
        .address_space:  global
        .offset:         48
        .size:           8
        .value_kind:     global_buffer
      - .offset:         56
        .size:           4
        .value_kind:     by_value
      - .actual_access:  read_only
        .address_space:  global
        .offset:         64
        .size:           8
        .value_kind:     global_buffer
      - .offset:         72
        .size:           4
        .value_kind:     by_value
      - .offset:         76
        .size:           4
        .value_kind:     by_value
      - .offset:         80
        .size:           4
        .value_kind:     by_value
      - .address_space:  global
        .offset:         88
        .size:           8
        .value_kind:     global_buffer
      - .address_space:  global
        .offset:         96
        .size:           8
        .value_kind:     global_buffer
      - .offset:         104
        .size:           4
        .value_kind:     by_value
      - .offset:         108
        .size:           4
        .value_kind:     by_value
      - .offset:         112
        .size:           4
        .value_kind:     by_value
      - .offset:         116
        .size:           4
        .value_kind:     by_value
      - .offset:         120
        .size:           4
        .value_kind:     by_value
      - .offset:         128
        .size:           4
        .value_kind:     hidden_block_count_x
      - .offset:         132
        .size:           4
        .value_kind:     hidden_block_count_y
      - .offset:         136
        .size:           4
        .value_kind:     hidden_block_count_z
      - .offset:         140
        .size:           2
        .value_kind:     hidden_group_size_x
      - .offset:         142
        .size:           2
        .value_kind:     hidden_group_size_y
      - .offset:         144
        .size:           2
        .value_kind:     hidden_group_size_z
      - .offset:         146
        .size:           2
        .value_kind:     hidden_remainder_x
      - .offset:         148
        .size:           2
        .value_kind:     hidden_remainder_y
      - .offset:         150
        .size:           2
        .value_kind:     hidden_remainder_z
      - .offset:         168
        .size:           8
        .value_kind:     hidden_global_offset_x
      - .offset:         176
        .size:           8
        .value_kind:     hidden_global_offset_y
      - .offset:         184
        .size:           8
        .value_kind:     hidden_global_offset_z
      - .offset:         192
        .size:           2
        .value_kind:     hidden_grid_dims
      - .offset:         248
        .size:           4
        .value_kind:     hidden_dynamic_lds_size
    .group_segment_fixed_size: 272
    .kernarg_segment_align: 8
    .kernarg_segment_size: 384
    .language:       OpenCL C
    .language_version:
      - 2
      - 0
    .max_flat_workgroup_size: 1024
    .name:           _ZN4vllm25paged_attention_v1_kernelIffLi64ELi8ELi128ELNS_18Fp8KVCacheDataTypeE0ELb1EEEvPT_PKS2_PKT0_S8_ifPKiSA_iPKfiiiSC_SC_iiiii
    .private_segment_fixed_size: 0
    .sgpr_count:     50
    .sgpr_spill_count: 0
    .symbol:         _ZN4vllm25paged_attention_v1_kernelIffLi64ELi8ELi128ELNS_18Fp8KVCacheDataTypeE0ELb1EEEvPT_PKS2_PKT0_S8_ifPKiSA_iPKfiiiSC_SC_iiiii.kd
    .uniform_work_group_size: 1
    .uses_dynamic_stack: false
    .vgpr_count:     41
    .vgpr_spill_count: 0
    .wavefront_size: 64
  - .args:
      - .actual_access:  write_only
        .address_space:  global
        .offset:         0
        .size:           8
        .value_kind:     global_buffer
      - .actual_access:  read_only
        .address_space:  global
        .offset:         8
        .size:           8
        .value_kind:     global_buffer
      - .actual_access:  read_only
        .address_space:  global
        .offset:         16
        .size:           8
        .value_kind:     global_buffer
      - .actual_access:  read_only
        .address_space:  global
        .offset:         24
        .size:           8
        .value_kind:     global_buffer
      - .offset:         32
        .size:           4
        .value_kind:     by_value
      - .offset:         36
        .size:           4
        .value_kind:     by_value
      - .actual_access:  read_only
        .address_space:  global
        .offset:         40
        .size:           8
        .value_kind:     global_buffer
      - .actual_access:  read_only
        .address_space:  global
        .offset:         48
        .size:           8
        .value_kind:     global_buffer
      - .offset:         56
        .size:           4
        .value_kind:     by_value
      - .actual_access:  read_only
        .address_space:  global
        .offset:         64
        .size:           8
        .value_kind:     global_buffer
      - .offset:         72
        .size:           4
        .value_kind:     by_value
      - .offset:         76
        .size:           4
        .value_kind:     by_value
      - .offset:         80
        .size:           4
        .value_kind:     by_value
      - .address_space:  global
        .offset:         88
        .size:           8
        .value_kind:     global_buffer
      - .address_space:  global
        .offset:         96
        .size:           8
        .value_kind:     global_buffer
      - .offset:         104
        .size:           4
        .value_kind:     by_value
      - .offset:         108
        .size:           4
        .value_kind:     by_value
      - .offset:         112
        .size:           4
        .value_kind:     by_value
      - .offset:         116
        .size:           4
        .value_kind:     by_value
      - .offset:         120
        .size:           4
        .value_kind:     by_value
      - .offset:         128
        .size:           4
        .value_kind:     hidden_block_count_x
      - .offset:         132
        .size:           4
        .value_kind:     hidden_block_count_y
      - .offset:         136
        .size:           4
        .value_kind:     hidden_block_count_z
      - .offset:         140
        .size:           2
        .value_kind:     hidden_group_size_x
      - .offset:         142
        .size:           2
        .value_kind:     hidden_group_size_y
      - .offset:         144
        .size:           2
        .value_kind:     hidden_group_size_z
      - .offset:         146
        .size:           2
        .value_kind:     hidden_remainder_x
      - .offset:         148
        .size:           2
        .value_kind:     hidden_remainder_y
      - .offset:         150
        .size:           2
        .value_kind:     hidden_remainder_z
      - .offset:         168
        .size:           8
        .value_kind:     hidden_global_offset_x
      - .offset:         176
        .size:           8
        .value_kind:     hidden_global_offset_y
      - .offset:         184
        .size:           8
        .value_kind:     hidden_global_offset_z
      - .offset:         192
        .size:           2
        .value_kind:     hidden_grid_dims
      - .offset:         248
        .size:           4
        .value_kind:     hidden_dynamic_lds_size
    .group_segment_fixed_size: 336
    .kernarg_segment_align: 8
    .kernarg_segment_size: 384
    .language:       OpenCL C
    .language_version:
      - 2
      - 0
    .max_flat_workgroup_size: 1024
    .name:           _ZN4vllm25paged_attention_v1_kernelIffLi80ELi8ELi128ELNS_18Fp8KVCacheDataTypeE0ELb1EEEvPT_PKS2_PKT0_S8_ifPKiSA_iPKfiiiSC_SC_iiiii
    .private_segment_fixed_size: 0
    .sgpr_count:     48
    .sgpr_spill_count: 0
    .symbol:         _ZN4vllm25paged_attention_v1_kernelIffLi80ELi8ELi128ELNS_18Fp8KVCacheDataTypeE0ELb1EEEvPT_PKS2_PKT0_S8_ifPKiSA_iPKfiiiSC_SC_iiiii.kd
    .uniform_work_group_size: 1
    .uses_dynamic_stack: false
    .vgpr_count:     45
    .vgpr_spill_count: 0
    .wavefront_size: 64
  - .args:
      - .actual_access:  write_only
        .address_space:  global
        .offset:         0
        .size:           8
        .value_kind:     global_buffer
      - .actual_access:  read_only
        .address_space:  global
        .offset:         8
        .size:           8
        .value_kind:     global_buffer
      - .actual_access:  read_only
        .address_space:  global
        .offset:         16
        .size:           8
        .value_kind:     global_buffer
      - .actual_access:  read_only
        .address_space:  global
        .offset:         24
        .size:           8
        .value_kind:     global_buffer
      - .offset:         32
        .size:           4
        .value_kind:     by_value
      - .offset:         36
        .size:           4
        .value_kind:     by_value
      - .actual_access:  read_only
        .address_space:  global
        .offset:         40
        .size:           8
        .value_kind:     global_buffer
      - .actual_access:  read_only
        .address_space:  global
        .offset:         48
        .size:           8
        .value_kind:     global_buffer
      - .offset:         56
        .size:           4
        .value_kind:     by_value
      - .actual_access:  read_only
        .address_space:  global
        .offset:         64
        .size:           8
        .value_kind:     global_buffer
      - .offset:         72
        .size:           4
        .value_kind:     by_value
      - .offset:         76
        .size:           4
        .value_kind:     by_value
      - .offset:         80
        .size:           4
        .value_kind:     by_value
      - .address_space:  global
        .offset:         88
        .size:           8
        .value_kind:     global_buffer
      - .address_space:  global
        .offset:         96
        .size:           8
        .value_kind:     global_buffer
      - .offset:         104
        .size:           4
        .value_kind:     by_value
      - .offset:         108
        .size:           4
        .value_kind:     by_value
      - .offset:         112
        .size:           4
        .value_kind:     by_value
      - .offset:         116
        .size:           4
        .value_kind:     by_value
      - .offset:         120
        .size:           4
        .value_kind:     by_value
      - .offset:         128
        .size:           4
        .value_kind:     hidden_block_count_x
      - .offset:         132
        .size:           4
        .value_kind:     hidden_block_count_y
      - .offset:         136
        .size:           4
        .value_kind:     hidden_block_count_z
      - .offset:         140
        .size:           2
        .value_kind:     hidden_group_size_x
      - .offset:         142
        .size:           2
        .value_kind:     hidden_group_size_y
      - .offset:         144
        .size:           2
        .value_kind:     hidden_group_size_z
      - .offset:         146
        .size:           2
        .value_kind:     hidden_remainder_x
      - .offset:         148
        .size:           2
        .value_kind:     hidden_remainder_y
      - .offset:         150
        .size:           2
        .value_kind:     hidden_remainder_z
      - .offset:         168
        .size:           8
        .value_kind:     hidden_global_offset_x
      - .offset:         176
        .size:           8
        .value_kind:     hidden_global_offset_y
      - .offset:         184
        .size:           8
        .value_kind:     hidden_global_offset_z
      - .offset:         192
        .size:           2
        .value_kind:     hidden_grid_dims
      - .offset:         248
        .size:           4
        .value_kind:     hidden_dynamic_lds_size
    .group_segment_fixed_size: 400
    .kernarg_segment_align: 8
    .kernarg_segment_size: 384
    .language:       OpenCL C
    .language_version:
      - 2
      - 0
    .max_flat_workgroup_size: 1024
    .name:           _ZN4vllm25paged_attention_v1_kernelIffLi96ELi8ELi128ELNS_18Fp8KVCacheDataTypeE0ELb1EEEvPT_PKS2_PKT0_S8_ifPKiSA_iPKfiiiSC_SC_iiiii
    .private_segment_fixed_size: 0
    .sgpr_count:     48
    .sgpr_spill_count: 0
    .symbol:         _ZN4vllm25paged_attention_v1_kernelIffLi96ELi8ELi128ELNS_18Fp8KVCacheDataTypeE0ELb1EEEvPT_PKS2_PKT0_S8_ifPKiSA_iPKfiiiSC_SC_iiiii.kd
    .uniform_work_group_size: 1
    .uses_dynamic_stack: false
    .vgpr_count:     49
    .vgpr_spill_count: 0
    .wavefront_size: 64
  - .args:
      - .actual_access:  write_only
        .address_space:  global
        .offset:         0
        .size:           8
        .value_kind:     global_buffer
      - .actual_access:  read_only
        .address_space:  global
        .offset:         8
        .size:           8
        .value_kind:     global_buffer
      - .actual_access:  read_only
        .address_space:  global
        .offset:         16
        .size:           8
        .value_kind:     global_buffer
      - .actual_access:  read_only
        .address_space:  global
        .offset:         24
        .size:           8
        .value_kind:     global_buffer
      - .offset:         32
        .size:           4
        .value_kind:     by_value
      - .offset:         36
        .size:           4
        .value_kind:     by_value
      - .actual_access:  read_only
        .address_space:  global
        .offset:         40
        .size:           8
        .value_kind:     global_buffer
      - .actual_access:  read_only
        .address_space:  global
        .offset:         48
        .size:           8
        .value_kind:     global_buffer
      - .offset:         56
        .size:           4
        .value_kind:     by_value
      - .actual_access:  read_only
        .address_space:  global
        .offset:         64
        .size:           8
        .value_kind:     global_buffer
      - .offset:         72
        .size:           4
        .value_kind:     by_value
      - .offset:         76
        .size:           4
        .value_kind:     by_value
      - .offset:         80
        .size:           4
        .value_kind:     by_value
      - .address_space:  global
        .offset:         88
        .size:           8
        .value_kind:     global_buffer
      - .address_space:  global
        .offset:         96
        .size:           8
        .value_kind:     global_buffer
      - .offset:         104
        .size:           4
        .value_kind:     by_value
      - .offset:         108
        .size:           4
        .value_kind:     by_value
      - .offset:         112
        .size:           4
        .value_kind:     by_value
      - .offset:         116
        .size:           4
        .value_kind:     by_value
      - .offset:         120
        .size:           4
        .value_kind:     by_value
      - .offset:         128
        .size:           4
        .value_kind:     hidden_block_count_x
      - .offset:         132
        .size:           4
        .value_kind:     hidden_block_count_y
      - .offset:         136
        .size:           4
        .value_kind:     hidden_block_count_z
      - .offset:         140
        .size:           2
        .value_kind:     hidden_group_size_x
      - .offset:         142
        .size:           2
        .value_kind:     hidden_group_size_y
      - .offset:         144
        .size:           2
        .value_kind:     hidden_group_size_z
      - .offset:         146
        .size:           2
        .value_kind:     hidden_remainder_x
      - .offset:         148
        .size:           2
        .value_kind:     hidden_remainder_y
      - .offset:         150
        .size:           2
        .value_kind:     hidden_remainder_z
      - .offset:         168
        .size:           8
        .value_kind:     hidden_global_offset_x
      - .offset:         176
        .size:           8
        .value_kind:     hidden_global_offset_y
      - .offset:         184
        .size:           8
        .value_kind:     hidden_global_offset_z
      - .offset:         192
        .size:           2
        .value_kind:     hidden_grid_dims
      - .offset:         248
        .size:           4
        .value_kind:     hidden_dynamic_lds_size
    .group_segment_fixed_size: 464
    .kernarg_segment_align: 8
    .kernarg_segment_size: 384
    .language:       OpenCL C
    .language_version:
      - 2
      - 0
    .max_flat_workgroup_size: 1024
    .name:           _ZN4vllm25paged_attention_v1_kernelIffLi112ELi8ELi128ELNS_18Fp8KVCacheDataTypeE0ELb1EEEvPT_PKS2_PKT0_S8_ifPKiSA_iPKfiiiSC_SC_iiiii
    .private_segment_fixed_size: 0
    .sgpr_count:     48
    .sgpr_spill_count: 0
    .symbol:         _ZN4vllm25paged_attention_v1_kernelIffLi112ELi8ELi128ELNS_18Fp8KVCacheDataTypeE0ELb1EEEvPT_PKS2_PKT0_S8_ifPKiSA_iPKfiiiSC_SC_iiiii.kd
    .uniform_work_group_size: 1
    .uses_dynamic_stack: false
    .vgpr_count:     53
    .vgpr_spill_count: 0
    .wavefront_size: 64
  - .args:
      - .actual_access:  write_only
        .address_space:  global
        .offset:         0
        .size:           8
        .value_kind:     global_buffer
      - .actual_access:  read_only
        .address_space:  global
        .offset:         8
        .size:           8
        .value_kind:     global_buffer
      - .actual_access:  read_only
        .address_space:  global
        .offset:         16
        .size:           8
        .value_kind:     global_buffer
      - .actual_access:  read_only
        .address_space:  global
        .offset:         24
        .size:           8
        .value_kind:     global_buffer
      - .offset:         32
        .size:           4
        .value_kind:     by_value
      - .offset:         36
        .size:           4
        .value_kind:     by_value
      - .actual_access:  read_only
        .address_space:  global
        .offset:         40
        .size:           8
        .value_kind:     global_buffer
      - .actual_access:  read_only
        .address_space:  global
        .offset:         48
        .size:           8
        .value_kind:     global_buffer
      - .offset:         56
        .size:           4
        .value_kind:     by_value
      - .actual_access:  read_only
        .address_space:  global
        .offset:         64
        .size:           8
        .value_kind:     global_buffer
      - .offset:         72
        .size:           4
        .value_kind:     by_value
      - .offset:         76
        .size:           4
        .value_kind:     by_value
      - .offset:         80
        .size:           4
        .value_kind:     by_value
      - .address_space:  global
        .offset:         88
        .size:           8
        .value_kind:     global_buffer
      - .address_space:  global
        .offset:         96
        .size:           8
        .value_kind:     global_buffer
      - .offset:         104
        .size:           4
        .value_kind:     by_value
      - .offset:         108
        .size:           4
        .value_kind:     by_value
      - .offset:         112
        .size:           4
        .value_kind:     by_value
      - .offset:         116
        .size:           4
        .value_kind:     by_value
      - .offset:         120
        .size:           4
        .value_kind:     by_value
      - .offset:         128
        .size:           4
        .value_kind:     hidden_block_count_x
      - .offset:         132
        .size:           4
        .value_kind:     hidden_block_count_y
      - .offset:         136
        .size:           4
        .value_kind:     hidden_block_count_z
      - .offset:         140
        .size:           2
        .value_kind:     hidden_group_size_x
      - .offset:         142
        .size:           2
        .value_kind:     hidden_group_size_y
      - .offset:         144
        .size:           2
        .value_kind:     hidden_group_size_z
      - .offset:         146
        .size:           2
        .value_kind:     hidden_remainder_x
      - .offset:         148
        .size:           2
        .value_kind:     hidden_remainder_y
      - .offset:         150
        .size:           2
        .value_kind:     hidden_remainder_z
      - .offset:         168
        .size:           8
        .value_kind:     hidden_global_offset_x
      - .offset:         176
        .size:           8
        .value_kind:     hidden_global_offset_y
      - .offset:         184
        .size:           8
        .value_kind:     hidden_global_offset_z
      - .offset:         192
        .size:           2
        .value_kind:     hidden_grid_dims
      - .offset:         248
        .size:           4
        .value_kind:     hidden_dynamic_lds_size
    .group_segment_fixed_size: 496
    .kernarg_segment_align: 8
    .kernarg_segment_size: 384
    .language:       OpenCL C
    .language_version:
      - 2
      - 0
    .max_flat_workgroup_size: 1024
    .name:           _ZN4vllm25paged_attention_v1_kernelIffLi120ELi8ELi128ELNS_18Fp8KVCacheDataTypeE0ELb1EEEvPT_PKS2_PKT0_S8_ifPKiSA_iPKfiiiSC_SC_iiiii
    .private_segment_fixed_size: 0
    .sgpr_count:     48
    .sgpr_spill_count: 0
    .symbol:         _ZN4vllm25paged_attention_v1_kernelIffLi120ELi8ELi128ELNS_18Fp8KVCacheDataTypeE0ELb1EEEvPT_PKS2_PKT0_S8_ifPKiSA_iPKfiiiSC_SC_iiiii.kd
    .uniform_work_group_size: 1
    .uses_dynamic_stack: false
    .vgpr_count:     55
    .vgpr_spill_count: 0
    .wavefront_size: 64
  - .args:
      - .actual_access:  write_only
        .address_space:  global
        .offset:         0
        .size:           8
        .value_kind:     global_buffer
      - .actual_access:  read_only
        .address_space:  global
        .offset:         8
        .size:           8
        .value_kind:     global_buffer
      - .actual_access:  read_only
        .address_space:  global
        .offset:         16
        .size:           8
        .value_kind:     global_buffer
      - .actual_access:  read_only
        .address_space:  global
        .offset:         24
        .size:           8
        .value_kind:     global_buffer
      - .offset:         32
        .size:           4
        .value_kind:     by_value
      - .offset:         36
        .size:           4
        .value_kind:     by_value
      - .actual_access:  read_only
        .address_space:  global
        .offset:         40
        .size:           8
        .value_kind:     global_buffer
      - .actual_access:  read_only
        .address_space:  global
        .offset:         48
        .size:           8
        .value_kind:     global_buffer
      - .offset:         56
        .size:           4
        .value_kind:     by_value
      - .actual_access:  read_only
        .address_space:  global
        .offset:         64
        .size:           8
        .value_kind:     global_buffer
      - .offset:         72
        .size:           4
        .value_kind:     by_value
      - .offset:         76
        .size:           4
        .value_kind:     by_value
      - .offset:         80
        .size:           4
        .value_kind:     by_value
      - .address_space:  global
        .offset:         88
        .size:           8
        .value_kind:     global_buffer
      - .address_space:  global
        .offset:         96
        .size:           8
        .value_kind:     global_buffer
      - .offset:         104
        .size:           4
        .value_kind:     by_value
      - .offset:         108
        .size:           4
        .value_kind:     by_value
      - .offset:         112
        .size:           4
        .value_kind:     by_value
      - .offset:         116
        .size:           4
        .value_kind:     by_value
      - .offset:         120
        .size:           4
        .value_kind:     by_value
      - .offset:         128
        .size:           4
        .value_kind:     hidden_block_count_x
      - .offset:         132
        .size:           4
        .value_kind:     hidden_block_count_y
      - .offset:         136
        .size:           4
        .value_kind:     hidden_block_count_z
      - .offset:         140
        .size:           2
        .value_kind:     hidden_group_size_x
      - .offset:         142
        .size:           2
        .value_kind:     hidden_group_size_y
      - .offset:         144
        .size:           2
        .value_kind:     hidden_group_size_z
      - .offset:         146
        .size:           2
        .value_kind:     hidden_remainder_x
      - .offset:         148
        .size:           2
        .value_kind:     hidden_remainder_y
      - .offset:         150
        .size:           2
        .value_kind:     hidden_remainder_z
      - .offset:         168
        .size:           8
        .value_kind:     hidden_global_offset_x
      - .offset:         176
        .size:           8
        .value_kind:     hidden_global_offset_y
      - .offset:         184
        .size:           8
        .value_kind:     hidden_global_offset_z
      - .offset:         192
        .size:           2
        .value_kind:     hidden_grid_dims
      - .offset:         248
        .size:           4
        .value_kind:     hidden_dynamic_lds_size
    .group_segment_fixed_size: 528
    .kernarg_segment_align: 8
    .kernarg_segment_size: 384
    .language:       OpenCL C
    .language_version:
      - 2
      - 0
    .max_flat_workgroup_size: 1024
    .name:           _ZN4vllm25paged_attention_v1_kernelIffLi128ELi8ELi128ELNS_18Fp8KVCacheDataTypeE0ELb1EEEvPT_PKS2_PKT0_S8_ifPKiSA_iPKfiiiSC_SC_iiiii
    .private_segment_fixed_size: 0
    .sgpr_count:     48
    .sgpr_spill_count: 0
    .symbol:         _ZN4vllm25paged_attention_v1_kernelIffLi128ELi8ELi128ELNS_18Fp8KVCacheDataTypeE0ELb1EEEvPT_PKS2_PKT0_S8_ifPKiSA_iPKfiiiSC_SC_iiiii.kd
    .uniform_work_group_size: 1
    .uses_dynamic_stack: false
    .vgpr_count:     57
    .vgpr_spill_count: 0
    .wavefront_size: 64
  - .args:
      - .actual_access:  write_only
        .address_space:  global
        .offset:         0
        .size:           8
        .value_kind:     global_buffer
      - .actual_access:  read_only
        .address_space:  global
        .offset:         8
        .size:           8
        .value_kind:     global_buffer
      - .actual_access:  read_only
        .address_space:  global
        .offset:         16
        .size:           8
        .value_kind:     global_buffer
      - .actual_access:  read_only
        .address_space:  global
        .offset:         24
        .size:           8
        .value_kind:     global_buffer
      - .offset:         32
        .size:           4
        .value_kind:     by_value
      - .offset:         36
        .size:           4
        .value_kind:     by_value
      - .actual_access:  read_only
        .address_space:  global
        .offset:         40
        .size:           8
        .value_kind:     global_buffer
      - .actual_access:  read_only
        .address_space:  global
        .offset:         48
        .size:           8
        .value_kind:     global_buffer
      - .offset:         56
        .size:           4
        .value_kind:     by_value
      - .actual_access:  read_only
        .address_space:  global
        .offset:         64
        .size:           8
        .value_kind:     global_buffer
      - .offset:         72
        .size:           4
        .value_kind:     by_value
      - .offset:         76
        .size:           4
        .value_kind:     by_value
      - .offset:         80
        .size:           4
        .value_kind:     by_value
      - .address_space:  global
        .offset:         88
        .size:           8
        .value_kind:     global_buffer
      - .address_space:  global
        .offset:         96
        .size:           8
        .value_kind:     global_buffer
      - .offset:         104
        .size:           4
        .value_kind:     by_value
      - .offset:         108
        .size:           4
        .value_kind:     by_value
      - .offset:         112
        .size:           4
        .value_kind:     by_value
      - .offset:         116
        .size:           4
        .value_kind:     by_value
      - .offset:         120
        .size:           4
        .value_kind:     by_value
      - .offset:         128
        .size:           4
        .value_kind:     hidden_block_count_x
      - .offset:         132
        .size:           4
        .value_kind:     hidden_block_count_y
      - .offset:         136
        .size:           4
        .value_kind:     hidden_block_count_z
      - .offset:         140
        .size:           2
        .value_kind:     hidden_group_size_x
      - .offset:         142
        .size:           2
        .value_kind:     hidden_group_size_y
      - .offset:         144
        .size:           2
        .value_kind:     hidden_group_size_z
      - .offset:         146
        .size:           2
        .value_kind:     hidden_remainder_x
      - .offset:         148
        .size:           2
        .value_kind:     hidden_remainder_y
      - .offset:         150
        .size:           2
        .value_kind:     hidden_remainder_z
      - .offset:         168
        .size:           8
        .value_kind:     hidden_global_offset_x
      - .offset:         176
        .size:           8
        .value_kind:     hidden_global_offset_y
      - .offset:         184
        .size:           8
        .value_kind:     hidden_global_offset_z
      - .offset:         192
        .size:           2
        .value_kind:     hidden_grid_dims
      - .offset:         248
        .size:           4
        .value_kind:     hidden_dynamic_lds_size
    .group_segment_fixed_size: 784
    .kernarg_segment_align: 8
    .kernarg_segment_size: 384
    .language:       OpenCL C
    .language_version:
      - 2
      - 0
    .max_flat_workgroup_size: 1024
    .name:           _ZN4vllm25paged_attention_v1_kernelIffLi192ELi8ELi128ELNS_18Fp8KVCacheDataTypeE0ELb1EEEvPT_PKS2_PKT0_S8_ifPKiSA_iPKfiiiSC_SC_iiiii
    .private_segment_fixed_size: 0
    .sgpr_count:     49
    .sgpr_spill_count: 0
    .symbol:         _ZN4vllm25paged_attention_v1_kernelIffLi192ELi8ELi128ELNS_18Fp8KVCacheDataTypeE0ELb1EEEvPT_PKS2_PKT0_S8_ifPKiSA_iPKfiiiSC_SC_iiiii.kd
    .uniform_work_group_size: 1
    .uses_dynamic_stack: false
    .vgpr_count:     51
    .vgpr_spill_count: 0
    .wavefront_size: 64
  - .args:
      - .actual_access:  write_only
        .address_space:  global
        .offset:         0
        .size:           8
        .value_kind:     global_buffer
      - .actual_access:  read_only
        .address_space:  global
        .offset:         8
        .size:           8
        .value_kind:     global_buffer
      - .actual_access:  read_only
        .address_space:  global
        .offset:         16
        .size:           8
        .value_kind:     global_buffer
      - .actual_access:  read_only
        .address_space:  global
        .offset:         24
        .size:           8
        .value_kind:     global_buffer
      - .offset:         32
        .size:           4
        .value_kind:     by_value
      - .offset:         36
        .size:           4
        .value_kind:     by_value
      - .actual_access:  read_only
        .address_space:  global
        .offset:         40
        .size:           8
        .value_kind:     global_buffer
      - .actual_access:  read_only
        .address_space:  global
        .offset:         48
        .size:           8
        .value_kind:     global_buffer
      - .offset:         56
        .size:           4
        .value_kind:     by_value
      - .actual_access:  read_only
        .address_space:  global
        .offset:         64
        .size:           8
        .value_kind:     global_buffer
      - .offset:         72
        .size:           4
        .value_kind:     by_value
      - .offset:         76
        .size:           4
        .value_kind:     by_value
      - .offset:         80
        .size:           4
        .value_kind:     by_value
      - .address_space:  global
        .offset:         88
        .size:           8
        .value_kind:     global_buffer
      - .address_space:  global
        .offset:         96
        .size:           8
        .value_kind:     global_buffer
      - .offset:         104
        .size:           4
        .value_kind:     by_value
      - .offset:         108
        .size:           4
        .value_kind:     by_value
      - .offset:         112
        .size:           4
        .value_kind:     by_value
      - .offset:         116
        .size:           4
        .value_kind:     by_value
      - .offset:         120
        .size:           4
        .value_kind:     by_value
      - .offset:         128
        .size:           4
        .value_kind:     hidden_block_count_x
      - .offset:         132
        .size:           4
        .value_kind:     hidden_block_count_y
      - .offset:         136
        .size:           4
        .value_kind:     hidden_block_count_z
      - .offset:         140
        .size:           2
        .value_kind:     hidden_group_size_x
      - .offset:         142
        .size:           2
        .value_kind:     hidden_group_size_y
      - .offset:         144
        .size:           2
        .value_kind:     hidden_group_size_z
      - .offset:         146
        .size:           2
        .value_kind:     hidden_remainder_x
      - .offset:         148
        .size:           2
        .value_kind:     hidden_remainder_y
      - .offset:         150
        .size:           2
        .value_kind:     hidden_remainder_z
      - .offset:         168
        .size:           8
        .value_kind:     hidden_global_offset_x
      - .offset:         176
        .size:           8
        .value_kind:     hidden_global_offset_y
      - .offset:         184
        .size:           8
        .value_kind:     hidden_global_offset_z
      - .offset:         192
        .size:           2
        .value_kind:     hidden_grid_dims
      - .offset:         248
        .size:           4
        .value_kind:     hidden_dynamic_lds_size
    .group_segment_fixed_size: 1040
    .kernarg_segment_align: 8
    .kernarg_segment_size: 384
    .language:       OpenCL C
    .language_version:
      - 2
      - 0
    .max_flat_workgroup_size: 1024
    .name:           _ZN4vllm25paged_attention_v1_kernelIffLi256ELi8ELi128ELNS_18Fp8KVCacheDataTypeE0ELb1EEEvPT_PKS2_PKT0_S8_ifPKiSA_iPKfiiiSC_SC_iiiii
    .private_segment_fixed_size: 0
    .sgpr_count:     49
    .sgpr_spill_count: 0
    .symbol:         _ZN4vllm25paged_attention_v1_kernelIffLi256ELi8ELi128ELNS_18Fp8KVCacheDataTypeE0ELb1EEEvPT_PKS2_PKT0_S8_ifPKiSA_iPKfiiiSC_SC_iiiii.kd
    .uniform_work_group_size: 1
    .uses_dynamic_stack: false
    .vgpr_count:     61
    .vgpr_spill_count: 0
    .wavefront_size: 64
  - .args:
      - .actual_access:  write_only
        .address_space:  global
        .offset:         0
        .size:           8
        .value_kind:     global_buffer
      - .actual_access:  read_only
        .address_space:  global
        .offset:         8
        .size:           8
        .value_kind:     global_buffer
      - .actual_access:  read_only
        .address_space:  global
        .offset:         16
        .size:           8
        .value_kind:     global_buffer
      - .actual_access:  read_only
        .address_space:  global
        .offset:         24
        .size:           8
        .value_kind:     global_buffer
      - .offset:         32
        .size:           4
        .value_kind:     by_value
      - .offset:         36
        .size:           4
        .value_kind:     by_value
      - .actual_access:  read_only
        .address_space:  global
        .offset:         40
        .size:           8
        .value_kind:     global_buffer
      - .actual_access:  read_only
        .address_space:  global
        .offset:         48
        .size:           8
        .value_kind:     global_buffer
      - .offset:         56
        .size:           4
        .value_kind:     by_value
      - .actual_access:  read_only
        .address_space:  global
        .offset:         64
        .size:           8
        .value_kind:     global_buffer
      - .offset:         72
        .size:           4
        .value_kind:     by_value
      - .offset:         76
        .size:           4
        .value_kind:     by_value
      - .offset:         80
        .size:           4
        .value_kind:     by_value
      - .address_space:  global
        .offset:         88
        .size:           8
        .value_kind:     global_buffer
      - .address_space:  global
        .offset:         96
        .size:           8
        .value_kind:     global_buffer
      - .offset:         104
        .size:           4
        .value_kind:     by_value
      - .offset:         108
        .size:           4
        .value_kind:     by_value
      - .offset:         112
        .size:           4
        .value_kind:     by_value
      - .offset:         116
        .size:           4
        .value_kind:     by_value
      - .offset:         120
        .size:           4
        .value_kind:     by_value
      - .offset:         128
        .size:           4
        .value_kind:     hidden_block_count_x
      - .offset:         132
        .size:           4
        .value_kind:     hidden_block_count_y
      - .offset:         136
        .size:           4
        .value_kind:     hidden_block_count_z
      - .offset:         140
        .size:           2
        .value_kind:     hidden_group_size_x
      - .offset:         142
        .size:           2
        .value_kind:     hidden_group_size_y
      - .offset:         144
        .size:           2
        .value_kind:     hidden_group_size_z
      - .offset:         146
        .size:           2
        .value_kind:     hidden_remainder_x
      - .offset:         148
        .size:           2
        .value_kind:     hidden_remainder_y
      - .offset:         150
        .size:           2
        .value_kind:     hidden_remainder_z
      - .offset:         168
        .size:           8
        .value_kind:     hidden_global_offset_x
      - .offset:         176
        .size:           8
        .value_kind:     hidden_global_offset_y
      - .offset:         184
        .size:           8
        .value_kind:     hidden_global_offset_z
      - .offset:         192
        .size:           2
        .value_kind:     hidden_grid_dims
      - .offset:         248
        .size:           4
        .value_kind:     hidden_dynamic_lds_size
    .group_segment_fixed_size: 144
    .kernarg_segment_align: 8
    .kernarg_segment_size: 384
    .language:       OpenCL C
    .language_version:
      - 2
      - 0
    .max_flat_workgroup_size: 1024
    .name:           _ZN4vllm25paged_attention_v1_kernelIffLi32ELi8ELi128ELNS_18Fp8KVCacheDataTypeE0ELb0EEEvPT_PKS2_PKT0_S8_ifPKiSA_iPKfiiiSC_SC_iiiii
    .private_segment_fixed_size: 0
    .sgpr_count:     38
    .sgpr_spill_count: 0
    .symbol:         _ZN4vllm25paged_attention_v1_kernelIffLi32ELi8ELi128ELNS_18Fp8KVCacheDataTypeE0ELb0EEEvPT_PKS2_PKT0_S8_ifPKiSA_iPKfiiiSC_SC_iiiii.kd
    .uniform_work_group_size: 1
    .uses_dynamic_stack: false
    .vgpr_count:     29
    .vgpr_spill_count: 0
    .wavefront_size: 64
  - .args:
      - .actual_access:  write_only
        .address_space:  global
        .offset:         0
        .size:           8
        .value_kind:     global_buffer
      - .actual_access:  read_only
        .address_space:  global
        .offset:         8
        .size:           8
        .value_kind:     global_buffer
      - .actual_access:  read_only
        .address_space:  global
        .offset:         16
        .size:           8
        .value_kind:     global_buffer
      - .actual_access:  read_only
        .address_space:  global
        .offset:         24
        .size:           8
        .value_kind:     global_buffer
      - .offset:         32
        .size:           4
        .value_kind:     by_value
      - .offset:         36
        .size:           4
        .value_kind:     by_value
      - .actual_access:  read_only
        .address_space:  global
        .offset:         40
        .size:           8
        .value_kind:     global_buffer
      - .actual_access:  read_only
        .address_space:  global
        .offset:         48
        .size:           8
        .value_kind:     global_buffer
      - .offset:         56
        .size:           4
        .value_kind:     by_value
      - .actual_access:  read_only
        .address_space:  global
        .offset:         64
        .size:           8
        .value_kind:     global_buffer
      - .offset:         72
        .size:           4
        .value_kind:     by_value
      - .offset:         76
        .size:           4
        .value_kind:     by_value
      - .offset:         80
        .size:           4
        .value_kind:     by_value
      - .address_space:  global
        .offset:         88
        .size:           8
        .value_kind:     global_buffer
      - .address_space:  global
        .offset:         96
        .size:           8
        .value_kind:     global_buffer
      - .offset:         104
        .size:           4
        .value_kind:     by_value
      - .offset:         108
        .size:           4
        .value_kind:     by_value
      - .offset:         112
        .size:           4
        .value_kind:     by_value
      - .offset:         116
        .size:           4
        .value_kind:     by_value
      - .offset:         120
        .size:           4
        .value_kind:     by_value
      - .offset:         128
        .size:           4
        .value_kind:     hidden_block_count_x
      - .offset:         132
        .size:           4
        .value_kind:     hidden_block_count_y
      - .offset:         136
        .size:           4
        .value_kind:     hidden_block_count_z
      - .offset:         140
        .size:           2
        .value_kind:     hidden_group_size_x
      - .offset:         142
        .size:           2
        .value_kind:     hidden_group_size_y
      - .offset:         144
        .size:           2
        .value_kind:     hidden_group_size_z
      - .offset:         146
        .size:           2
        .value_kind:     hidden_remainder_x
      - .offset:         148
        .size:           2
        .value_kind:     hidden_remainder_y
      - .offset:         150
        .size:           2
        .value_kind:     hidden_remainder_z
      - .offset:         168
        .size:           8
        .value_kind:     hidden_global_offset_x
      - .offset:         176
        .size:           8
        .value_kind:     hidden_global_offset_y
      - .offset:         184
        .size:           8
        .value_kind:     hidden_global_offset_z
      - .offset:         192
        .size:           2
        .value_kind:     hidden_grid_dims
      - .offset:         248
        .size:           4
        .value_kind:     hidden_dynamic_lds_size
    .group_segment_fixed_size: 272
    .kernarg_segment_align: 8
    .kernarg_segment_size: 384
    .language:       OpenCL C
    .language_version:
      - 2
      - 0
    .max_flat_workgroup_size: 1024
    .name:           _ZN4vllm25paged_attention_v1_kernelIffLi64ELi8ELi128ELNS_18Fp8KVCacheDataTypeE0ELb0EEEvPT_PKS2_PKT0_S8_ifPKiSA_iPKfiiiSC_SC_iiiii
    .private_segment_fixed_size: 0
    .sgpr_count:     40
    .sgpr_spill_count: 0
    .symbol:         _ZN4vllm25paged_attention_v1_kernelIffLi64ELi8ELi128ELNS_18Fp8KVCacheDataTypeE0ELb0EEEvPT_PKS2_PKT0_S8_ifPKiSA_iPKfiiiSC_SC_iiiii.kd
    .uniform_work_group_size: 1
    .uses_dynamic_stack: false
    .vgpr_count:     36
    .vgpr_spill_count: 0
    .wavefront_size: 64
  - .args:
      - .actual_access:  write_only
        .address_space:  global
        .offset:         0
        .size:           8
        .value_kind:     global_buffer
      - .actual_access:  read_only
        .address_space:  global
        .offset:         8
        .size:           8
        .value_kind:     global_buffer
      - .actual_access:  read_only
        .address_space:  global
        .offset:         16
        .size:           8
        .value_kind:     global_buffer
      - .actual_access:  read_only
        .address_space:  global
        .offset:         24
        .size:           8
        .value_kind:     global_buffer
      - .offset:         32
        .size:           4
        .value_kind:     by_value
      - .offset:         36
        .size:           4
        .value_kind:     by_value
      - .actual_access:  read_only
        .address_space:  global
        .offset:         40
        .size:           8
        .value_kind:     global_buffer
      - .actual_access:  read_only
        .address_space:  global
        .offset:         48
        .size:           8
        .value_kind:     global_buffer
      - .offset:         56
        .size:           4
        .value_kind:     by_value
      - .actual_access:  read_only
        .address_space:  global
        .offset:         64
        .size:           8
        .value_kind:     global_buffer
      - .offset:         72
        .size:           4
        .value_kind:     by_value
      - .offset:         76
        .size:           4
        .value_kind:     by_value
      - .offset:         80
        .size:           4
        .value_kind:     by_value
      - .address_space:  global
        .offset:         88
        .size:           8
        .value_kind:     global_buffer
      - .address_space:  global
        .offset:         96
        .size:           8
        .value_kind:     global_buffer
      - .offset:         104
        .size:           4
        .value_kind:     by_value
      - .offset:         108
        .size:           4
        .value_kind:     by_value
      - .offset:         112
        .size:           4
        .value_kind:     by_value
      - .offset:         116
        .size:           4
        .value_kind:     by_value
      - .offset:         120
        .size:           4
        .value_kind:     by_value
      - .offset:         128
        .size:           4
        .value_kind:     hidden_block_count_x
      - .offset:         132
        .size:           4
        .value_kind:     hidden_block_count_y
      - .offset:         136
        .size:           4
        .value_kind:     hidden_block_count_z
      - .offset:         140
        .size:           2
        .value_kind:     hidden_group_size_x
      - .offset:         142
        .size:           2
        .value_kind:     hidden_group_size_y
      - .offset:         144
        .size:           2
        .value_kind:     hidden_group_size_z
      - .offset:         146
        .size:           2
        .value_kind:     hidden_remainder_x
      - .offset:         148
        .size:           2
        .value_kind:     hidden_remainder_y
      - .offset:         150
        .size:           2
        .value_kind:     hidden_remainder_z
      - .offset:         168
        .size:           8
        .value_kind:     hidden_global_offset_x
      - .offset:         176
        .size:           8
        .value_kind:     hidden_global_offset_y
      - .offset:         184
        .size:           8
        .value_kind:     hidden_global_offset_z
      - .offset:         192
        .size:           2
        .value_kind:     hidden_grid_dims
      - .offset:         248
        .size:           4
        .value_kind:     hidden_dynamic_lds_size
    .group_segment_fixed_size: 336
    .kernarg_segment_align: 8
    .kernarg_segment_size: 384
    .language:       OpenCL C
    .language_version:
      - 2
      - 0
    .max_flat_workgroup_size: 1024
    .name:           _ZN4vllm25paged_attention_v1_kernelIffLi80ELi8ELi128ELNS_18Fp8KVCacheDataTypeE0ELb0EEEvPT_PKS2_PKT0_S8_ifPKiSA_iPKfiiiSC_SC_iiiii
    .private_segment_fixed_size: 0
    .sgpr_count:     38
    .sgpr_spill_count: 0
    .symbol:         _ZN4vllm25paged_attention_v1_kernelIffLi80ELi8ELi128ELNS_18Fp8KVCacheDataTypeE0ELb0EEEvPT_PKS2_PKT0_S8_ifPKiSA_iPKfiiiSC_SC_iiiii.kd
    .uniform_work_group_size: 1
    .uses_dynamic_stack: false
    .vgpr_count:     40
    .vgpr_spill_count: 0
    .wavefront_size: 64
  - .args:
      - .actual_access:  write_only
        .address_space:  global
        .offset:         0
        .size:           8
        .value_kind:     global_buffer
      - .actual_access:  read_only
        .address_space:  global
        .offset:         8
        .size:           8
        .value_kind:     global_buffer
      - .actual_access:  read_only
        .address_space:  global
        .offset:         16
        .size:           8
        .value_kind:     global_buffer
      - .actual_access:  read_only
        .address_space:  global
        .offset:         24
        .size:           8
        .value_kind:     global_buffer
      - .offset:         32
        .size:           4
        .value_kind:     by_value
      - .offset:         36
        .size:           4
        .value_kind:     by_value
      - .actual_access:  read_only
        .address_space:  global
        .offset:         40
        .size:           8
        .value_kind:     global_buffer
      - .actual_access:  read_only
        .address_space:  global
        .offset:         48
        .size:           8
        .value_kind:     global_buffer
      - .offset:         56
        .size:           4
        .value_kind:     by_value
      - .actual_access:  read_only
        .address_space:  global
        .offset:         64
        .size:           8
        .value_kind:     global_buffer
      - .offset:         72
        .size:           4
        .value_kind:     by_value
      - .offset:         76
        .size:           4
        .value_kind:     by_value
      - .offset:         80
        .size:           4
        .value_kind:     by_value
      - .address_space:  global
        .offset:         88
        .size:           8
        .value_kind:     global_buffer
      - .address_space:  global
        .offset:         96
        .size:           8
        .value_kind:     global_buffer
      - .offset:         104
        .size:           4
        .value_kind:     by_value
      - .offset:         108
        .size:           4
        .value_kind:     by_value
      - .offset:         112
        .size:           4
        .value_kind:     by_value
      - .offset:         116
        .size:           4
        .value_kind:     by_value
      - .offset:         120
        .size:           4
        .value_kind:     by_value
      - .offset:         128
        .size:           4
        .value_kind:     hidden_block_count_x
      - .offset:         132
        .size:           4
        .value_kind:     hidden_block_count_y
      - .offset:         136
        .size:           4
        .value_kind:     hidden_block_count_z
      - .offset:         140
        .size:           2
        .value_kind:     hidden_group_size_x
      - .offset:         142
        .size:           2
        .value_kind:     hidden_group_size_y
      - .offset:         144
        .size:           2
        .value_kind:     hidden_group_size_z
      - .offset:         146
        .size:           2
        .value_kind:     hidden_remainder_x
      - .offset:         148
        .size:           2
        .value_kind:     hidden_remainder_y
      - .offset:         150
        .size:           2
        .value_kind:     hidden_remainder_z
      - .offset:         168
        .size:           8
        .value_kind:     hidden_global_offset_x
      - .offset:         176
        .size:           8
        .value_kind:     hidden_global_offset_y
      - .offset:         184
        .size:           8
        .value_kind:     hidden_global_offset_z
      - .offset:         192
        .size:           2
        .value_kind:     hidden_grid_dims
      - .offset:         248
        .size:           4
        .value_kind:     hidden_dynamic_lds_size
    .group_segment_fixed_size: 400
    .kernarg_segment_align: 8
    .kernarg_segment_size: 384
    .language:       OpenCL C
    .language_version:
      - 2
      - 0
    .max_flat_workgroup_size: 1024
    .name:           _ZN4vllm25paged_attention_v1_kernelIffLi96ELi8ELi128ELNS_18Fp8KVCacheDataTypeE0ELb0EEEvPT_PKS2_PKT0_S8_ifPKiSA_iPKfiiiSC_SC_iiiii
    .private_segment_fixed_size: 0
    .sgpr_count:     38
    .sgpr_spill_count: 0
    .symbol:         _ZN4vllm25paged_attention_v1_kernelIffLi96ELi8ELi128ELNS_18Fp8KVCacheDataTypeE0ELb0EEEvPT_PKS2_PKT0_S8_ifPKiSA_iPKfiiiSC_SC_iiiii.kd
    .uniform_work_group_size: 1
    .uses_dynamic_stack: false
    .vgpr_count:     44
    .vgpr_spill_count: 0
    .wavefront_size: 64
  - .args:
      - .actual_access:  write_only
        .address_space:  global
        .offset:         0
        .size:           8
        .value_kind:     global_buffer
      - .actual_access:  read_only
        .address_space:  global
        .offset:         8
        .size:           8
        .value_kind:     global_buffer
      - .actual_access:  read_only
        .address_space:  global
        .offset:         16
        .size:           8
        .value_kind:     global_buffer
      - .actual_access:  read_only
        .address_space:  global
        .offset:         24
        .size:           8
        .value_kind:     global_buffer
      - .offset:         32
        .size:           4
        .value_kind:     by_value
      - .offset:         36
        .size:           4
        .value_kind:     by_value
      - .actual_access:  read_only
        .address_space:  global
        .offset:         40
        .size:           8
        .value_kind:     global_buffer
      - .actual_access:  read_only
        .address_space:  global
        .offset:         48
        .size:           8
        .value_kind:     global_buffer
      - .offset:         56
        .size:           4
        .value_kind:     by_value
      - .actual_access:  read_only
        .address_space:  global
        .offset:         64
        .size:           8
        .value_kind:     global_buffer
      - .offset:         72
        .size:           4
        .value_kind:     by_value
      - .offset:         76
        .size:           4
        .value_kind:     by_value
      - .offset:         80
        .size:           4
        .value_kind:     by_value
      - .address_space:  global
        .offset:         88
        .size:           8
        .value_kind:     global_buffer
      - .address_space:  global
        .offset:         96
        .size:           8
        .value_kind:     global_buffer
      - .offset:         104
        .size:           4
        .value_kind:     by_value
      - .offset:         108
        .size:           4
        .value_kind:     by_value
      - .offset:         112
        .size:           4
        .value_kind:     by_value
      - .offset:         116
        .size:           4
        .value_kind:     by_value
      - .offset:         120
        .size:           4
        .value_kind:     by_value
      - .offset:         128
        .size:           4
        .value_kind:     hidden_block_count_x
      - .offset:         132
        .size:           4
        .value_kind:     hidden_block_count_y
      - .offset:         136
        .size:           4
        .value_kind:     hidden_block_count_z
      - .offset:         140
        .size:           2
        .value_kind:     hidden_group_size_x
      - .offset:         142
        .size:           2
        .value_kind:     hidden_group_size_y
      - .offset:         144
        .size:           2
        .value_kind:     hidden_group_size_z
      - .offset:         146
        .size:           2
        .value_kind:     hidden_remainder_x
      - .offset:         148
        .size:           2
        .value_kind:     hidden_remainder_y
      - .offset:         150
        .size:           2
        .value_kind:     hidden_remainder_z
      - .offset:         168
        .size:           8
        .value_kind:     hidden_global_offset_x
      - .offset:         176
        .size:           8
        .value_kind:     hidden_global_offset_y
      - .offset:         184
        .size:           8
        .value_kind:     hidden_global_offset_z
      - .offset:         192
        .size:           2
        .value_kind:     hidden_grid_dims
      - .offset:         248
        .size:           4
        .value_kind:     hidden_dynamic_lds_size
    .group_segment_fixed_size: 464
    .kernarg_segment_align: 8
    .kernarg_segment_size: 384
    .language:       OpenCL C
    .language_version:
      - 2
      - 0
    .max_flat_workgroup_size: 1024
    .name:           _ZN4vllm25paged_attention_v1_kernelIffLi112ELi8ELi128ELNS_18Fp8KVCacheDataTypeE0ELb0EEEvPT_PKS2_PKT0_S8_ifPKiSA_iPKfiiiSC_SC_iiiii
    .private_segment_fixed_size: 0
    .sgpr_count:     38
    .sgpr_spill_count: 0
    .symbol:         _ZN4vllm25paged_attention_v1_kernelIffLi112ELi8ELi128ELNS_18Fp8KVCacheDataTypeE0ELb0EEEvPT_PKS2_PKT0_S8_ifPKiSA_iPKfiiiSC_SC_iiiii.kd
    .uniform_work_group_size: 1
    .uses_dynamic_stack: false
    .vgpr_count:     48
    .vgpr_spill_count: 0
    .wavefront_size: 64
  - .args:
      - .actual_access:  write_only
        .address_space:  global
        .offset:         0
        .size:           8
        .value_kind:     global_buffer
      - .actual_access:  read_only
        .address_space:  global
        .offset:         8
        .size:           8
        .value_kind:     global_buffer
      - .actual_access:  read_only
        .address_space:  global
        .offset:         16
        .size:           8
        .value_kind:     global_buffer
      - .actual_access:  read_only
        .address_space:  global
        .offset:         24
        .size:           8
        .value_kind:     global_buffer
      - .offset:         32
        .size:           4
        .value_kind:     by_value
      - .offset:         36
        .size:           4
        .value_kind:     by_value
      - .actual_access:  read_only
        .address_space:  global
        .offset:         40
        .size:           8
        .value_kind:     global_buffer
      - .actual_access:  read_only
        .address_space:  global
        .offset:         48
        .size:           8
        .value_kind:     global_buffer
      - .offset:         56
        .size:           4
        .value_kind:     by_value
      - .actual_access:  read_only
        .address_space:  global
        .offset:         64
        .size:           8
        .value_kind:     global_buffer
      - .offset:         72
        .size:           4
        .value_kind:     by_value
      - .offset:         76
        .size:           4
        .value_kind:     by_value
      - .offset:         80
        .size:           4
        .value_kind:     by_value
      - .address_space:  global
        .offset:         88
        .size:           8
        .value_kind:     global_buffer
      - .address_space:  global
        .offset:         96
        .size:           8
        .value_kind:     global_buffer
      - .offset:         104
        .size:           4
        .value_kind:     by_value
      - .offset:         108
        .size:           4
        .value_kind:     by_value
      - .offset:         112
        .size:           4
        .value_kind:     by_value
      - .offset:         116
        .size:           4
        .value_kind:     by_value
      - .offset:         120
        .size:           4
        .value_kind:     by_value
      - .offset:         128
        .size:           4
        .value_kind:     hidden_block_count_x
      - .offset:         132
        .size:           4
        .value_kind:     hidden_block_count_y
      - .offset:         136
        .size:           4
        .value_kind:     hidden_block_count_z
      - .offset:         140
        .size:           2
        .value_kind:     hidden_group_size_x
      - .offset:         142
        .size:           2
        .value_kind:     hidden_group_size_y
      - .offset:         144
        .size:           2
        .value_kind:     hidden_group_size_z
      - .offset:         146
        .size:           2
        .value_kind:     hidden_remainder_x
      - .offset:         148
        .size:           2
        .value_kind:     hidden_remainder_y
      - .offset:         150
        .size:           2
        .value_kind:     hidden_remainder_z
      - .offset:         168
        .size:           8
        .value_kind:     hidden_global_offset_x
      - .offset:         176
        .size:           8
        .value_kind:     hidden_global_offset_y
      - .offset:         184
        .size:           8
        .value_kind:     hidden_global_offset_z
      - .offset:         192
        .size:           2
        .value_kind:     hidden_grid_dims
      - .offset:         248
        .size:           4
        .value_kind:     hidden_dynamic_lds_size
    .group_segment_fixed_size: 496
    .kernarg_segment_align: 8
    .kernarg_segment_size: 384
    .language:       OpenCL C
    .language_version:
      - 2
      - 0
    .max_flat_workgroup_size: 1024
    .name:           _ZN4vllm25paged_attention_v1_kernelIffLi120ELi8ELi128ELNS_18Fp8KVCacheDataTypeE0ELb0EEEvPT_PKS2_PKT0_S8_ifPKiSA_iPKfiiiSC_SC_iiiii
    .private_segment_fixed_size: 0
    .sgpr_count:     38
    .sgpr_spill_count: 0
    .symbol:         _ZN4vllm25paged_attention_v1_kernelIffLi120ELi8ELi128ELNS_18Fp8KVCacheDataTypeE0ELb0EEEvPT_PKS2_PKT0_S8_ifPKiSA_iPKfiiiSC_SC_iiiii.kd
    .uniform_work_group_size: 1
    .uses_dynamic_stack: false
    .vgpr_count:     50
    .vgpr_spill_count: 0
    .wavefront_size: 64
  - .args:
      - .actual_access:  write_only
        .address_space:  global
        .offset:         0
        .size:           8
        .value_kind:     global_buffer
      - .actual_access:  read_only
        .address_space:  global
        .offset:         8
        .size:           8
        .value_kind:     global_buffer
      - .actual_access:  read_only
        .address_space:  global
        .offset:         16
        .size:           8
        .value_kind:     global_buffer
      - .actual_access:  read_only
        .address_space:  global
        .offset:         24
        .size:           8
        .value_kind:     global_buffer
      - .offset:         32
        .size:           4
        .value_kind:     by_value
      - .offset:         36
        .size:           4
        .value_kind:     by_value
      - .actual_access:  read_only
        .address_space:  global
        .offset:         40
        .size:           8
        .value_kind:     global_buffer
      - .actual_access:  read_only
        .address_space:  global
        .offset:         48
        .size:           8
        .value_kind:     global_buffer
      - .offset:         56
        .size:           4
        .value_kind:     by_value
      - .actual_access:  read_only
        .address_space:  global
        .offset:         64
        .size:           8
        .value_kind:     global_buffer
      - .offset:         72
        .size:           4
        .value_kind:     by_value
      - .offset:         76
        .size:           4
        .value_kind:     by_value
      - .offset:         80
        .size:           4
        .value_kind:     by_value
      - .address_space:  global
        .offset:         88
        .size:           8
        .value_kind:     global_buffer
      - .address_space:  global
        .offset:         96
        .size:           8
        .value_kind:     global_buffer
      - .offset:         104
        .size:           4
        .value_kind:     by_value
      - .offset:         108
        .size:           4
        .value_kind:     by_value
      - .offset:         112
        .size:           4
        .value_kind:     by_value
      - .offset:         116
        .size:           4
        .value_kind:     by_value
      - .offset:         120
        .size:           4
        .value_kind:     by_value
      - .offset:         128
        .size:           4
        .value_kind:     hidden_block_count_x
      - .offset:         132
        .size:           4
        .value_kind:     hidden_block_count_y
      - .offset:         136
        .size:           4
        .value_kind:     hidden_block_count_z
      - .offset:         140
        .size:           2
        .value_kind:     hidden_group_size_x
      - .offset:         142
        .size:           2
        .value_kind:     hidden_group_size_y
      - .offset:         144
        .size:           2
        .value_kind:     hidden_group_size_z
      - .offset:         146
        .size:           2
        .value_kind:     hidden_remainder_x
      - .offset:         148
        .size:           2
        .value_kind:     hidden_remainder_y
      - .offset:         150
        .size:           2
        .value_kind:     hidden_remainder_z
      - .offset:         168
        .size:           8
        .value_kind:     hidden_global_offset_x
      - .offset:         176
        .size:           8
        .value_kind:     hidden_global_offset_y
      - .offset:         184
        .size:           8
        .value_kind:     hidden_global_offset_z
      - .offset:         192
        .size:           2
        .value_kind:     hidden_grid_dims
      - .offset:         248
        .size:           4
        .value_kind:     hidden_dynamic_lds_size
    .group_segment_fixed_size: 528
    .kernarg_segment_align: 8
    .kernarg_segment_size: 384
    .language:       OpenCL C
    .language_version:
      - 2
      - 0
    .max_flat_workgroup_size: 1024
    .name:           _ZN4vllm25paged_attention_v1_kernelIffLi128ELi8ELi128ELNS_18Fp8KVCacheDataTypeE0ELb0EEEvPT_PKS2_PKT0_S8_ifPKiSA_iPKfiiiSC_SC_iiiii
    .private_segment_fixed_size: 0
    .sgpr_count:     38
    .sgpr_spill_count: 0
    .symbol:         _ZN4vllm25paged_attention_v1_kernelIffLi128ELi8ELi128ELNS_18Fp8KVCacheDataTypeE0ELb0EEEvPT_PKS2_PKT0_S8_ifPKiSA_iPKfiiiSC_SC_iiiii.kd
    .uniform_work_group_size: 1
    .uses_dynamic_stack: false
    .vgpr_count:     52
    .vgpr_spill_count: 0
    .wavefront_size: 64
  - .args:
      - .actual_access:  write_only
        .address_space:  global
        .offset:         0
        .size:           8
        .value_kind:     global_buffer
      - .actual_access:  read_only
        .address_space:  global
        .offset:         8
        .size:           8
        .value_kind:     global_buffer
      - .actual_access:  read_only
        .address_space:  global
        .offset:         16
        .size:           8
        .value_kind:     global_buffer
      - .actual_access:  read_only
        .address_space:  global
        .offset:         24
        .size:           8
        .value_kind:     global_buffer
      - .offset:         32
        .size:           4
        .value_kind:     by_value
      - .offset:         36
        .size:           4
        .value_kind:     by_value
      - .actual_access:  read_only
        .address_space:  global
        .offset:         40
        .size:           8
        .value_kind:     global_buffer
      - .actual_access:  read_only
        .address_space:  global
        .offset:         48
        .size:           8
        .value_kind:     global_buffer
      - .offset:         56
        .size:           4
        .value_kind:     by_value
      - .actual_access:  read_only
        .address_space:  global
        .offset:         64
        .size:           8
        .value_kind:     global_buffer
      - .offset:         72
        .size:           4
        .value_kind:     by_value
      - .offset:         76
        .size:           4
        .value_kind:     by_value
      - .offset:         80
        .size:           4
        .value_kind:     by_value
      - .address_space:  global
        .offset:         88
        .size:           8
        .value_kind:     global_buffer
      - .address_space:  global
        .offset:         96
        .size:           8
        .value_kind:     global_buffer
      - .offset:         104
        .size:           4
        .value_kind:     by_value
      - .offset:         108
        .size:           4
        .value_kind:     by_value
      - .offset:         112
        .size:           4
        .value_kind:     by_value
      - .offset:         116
        .size:           4
        .value_kind:     by_value
      - .offset:         120
        .size:           4
        .value_kind:     by_value
      - .offset:         128
        .size:           4
        .value_kind:     hidden_block_count_x
      - .offset:         132
        .size:           4
        .value_kind:     hidden_block_count_y
      - .offset:         136
        .size:           4
        .value_kind:     hidden_block_count_z
      - .offset:         140
        .size:           2
        .value_kind:     hidden_group_size_x
      - .offset:         142
        .size:           2
        .value_kind:     hidden_group_size_y
      - .offset:         144
        .size:           2
        .value_kind:     hidden_group_size_z
      - .offset:         146
        .size:           2
        .value_kind:     hidden_remainder_x
      - .offset:         148
        .size:           2
        .value_kind:     hidden_remainder_y
      - .offset:         150
        .size:           2
        .value_kind:     hidden_remainder_z
      - .offset:         168
        .size:           8
        .value_kind:     hidden_global_offset_x
      - .offset:         176
        .size:           8
        .value_kind:     hidden_global_offset_y
      - .offset:         184
        .size:           8
        .value_kind:     hidden_global_offset_z
      - .offset:         192
        .size:           2
        .value_kind:     hidden_grid_dims
      - .offset:         248
        .size:           4
        .value_kind:     hidden_dynamic_lds_size
    .group_segment_fixed_size: 784
    .kernarg_segment_align: 8
    .kernarg_segment_size: 384
    .language:       OpenCL C
    .language_version:
      - 2
      - 0
    .max_flat_workgroup_size: 1024
    .name:           _ZN4vllm25paged_attention_v1_kernelIffLi192ELi8ELi128ELNS_18Fp8KVCacheDataTypeE0ELb0EEEvPT_PKS2_PKT0_S8_ifPKiSA_iPKfiiiSC_SC_iiiii
    .private_segment_fixed_size: 0
    .sgpr_count:     39
    .sgpr_spill_count: 0
    .symbol:         _ZN4vllm25paged_attention_v1_kernelIffLi192ELi8ELi128ELNS_18Fp8KVCacheDataTypeE0ELb0EEEvPT_PKS2_PKT0_S8_ifPKiSA_iPKfiiiSC_SC_iiiii.kd
    .uniform_work_group_size: 1
    .uses_dynamic_stack: false
    .vgpr_count:     64
    .vgpr_spill_count: 0
    .wavefront_size: 64
  - .args:
      - .actual_access:  write_only
        .address_space:  global
        .offset:         0
        .size:           8
        .value_kind:     global_buffer
      - .actual_access:  read_only
        .address_space:  global
        .offset:         8
        .size:           8
        .value_kind:     global_buffer
      - .actual_access:  read_only
        .address_space:  global
        .offset:         16
        .size:           8
        .value_kind:     global_buffer
      - .actual_access:  read_only
        .address_space:  global
        .offset:         24
        .size:           8
        .value_kind:     global_buffer
      - .offset:         32
        .size:           4
        .value_kind:     by_value
      - .offset:         36
        .size:           4
        .value_kind:     by_value
      - .actual_access:  read_only
        .address_space:  global
        .offset:         40
        .size:           8
        .value_kind:     global_buffer
      - .actual_access:  read_only
        .address_space:  global
        .offset:         48
        .size:           8
        .value_kind:     global_buffer
      - .offset:         56
        .size:           4
        .value_kind:     by_value
      - .actual_access:  read_only
        .address_space:  global
        .offset:         64
        .size:           8
        .value_kind:     global_buffer
      - .offset:         72
        .size:           4
        .value_kind:     by_value
      - .offset:         76
        .size:           4
        .value_kind:     by_value
      - .offset:         80
        .size:           4
        .value_kind:     by_value
      - .address_space:  global
        .offset:         88
        .size:           8
        .value_kind:     global_buffer
      - .address_space:  global
        .offset:         96
        .size:           8
        .value_kind:     global_buffer
      - .offset:         104
        .size:           4
        .value_kind:     by_value
      - .offset:         108
        .size:           4
        .value_kind:     by_value
      - .offset:         112
        .size:           4
        .value_kind:     by_value
      - .offset:         116
        .size:           4
        .value_kind:     by_value
      - .offset:         120
        .size:           4
        .value_kind:     by_value
      - .offset:         128
        .size:           4
        .value_kind:     hidden_block_count_x
      - .offset:         132
        .size:           4
        .value_kind:     hidden_block_count_y
      - .offset:         136
        .size:           4
        .value_kind:     hidden_block_count_z
      - .offset:         140
        .size:           2
        .value_kind:     hidden_group_size_x
      - .offset:         142
        .size:           2
        .value_kind:     hidden_group_size_y
      - .offset:         144
        .size:           2
        .value_kind:     hidden_group_size_z
      - .offset:         146
        .size:           2
        .value_kind:     hidden_remainder_x
      - .offset:         148
        .size:           2
        .value_kind:     hidden_remainder_y
      - .offset:         150
        .size:           2
        .value_kind:     hidden_remainder_z
      - .offset:         168
        .size:           8
        .value_kind:     hidden_global_offset_x
      - .offset:         176
        .size:           8
        .value_kind:     hidden_global_offset_y
      - .offset:         184
        .size:           8
        .value_kind:     hidden_global_offset_z
      - .offset:         192
        .size:           2
        .value_kind:     hidden_grid_dims
      - .offset:         248
        .size:           4
        .value_kind:     hidden_dynamic_lds_size
    .group_segment_fixed_size: 1040
    .kernarg_segment_align: 8
    .kernarg_segment_size: 384
    .language:       OpenCL C
    .language_version:
      - 2
      - 0
    .max_flat_workgroup_size: 1024
    .name:           _ZN4vllm25paged_attention_v1_kernelIffLi256ELi8ELi128ELNS_18Fp8KVCacheDataTypeE0ELb0EEEvPT_PKS2_PKT0_S8_ifPKiSA_iPKfiiiSC_SC_iiiii
    .private_segment_fixed_size: 100
    .sgpr_count:     44
    .sgpr_spill_count: 0
    .symbol:         _ZN4vllm25paged_attention_v1_kernelIffLi256ELi8ELi128ELNS_18Fp8KVCacheDataTypeE0ELb0EEEvPT_PKS2_PKT0_S8_ifPKiSA_iPKfiiiSC_SC_iiiii.kd
    .uniform_work_group_size: 1
    .uses_dynamic_stack: false
    .vgpr_count:     64
    .vgpr_spill_count: 25
    .wavefront_size: 64
  - .args:
      - .actual_access:  write_only
        .address_space:  global
        .offset:         0
        .size:           8
        .value_kind:     global_buffer
      - .actual_access:  read_only
        .address_space:  global
        .offset:         8
        .size:           8
        .value_kind:     global_buffer
      - .actual_access:  read_only
        .address_space:  global
        .offset:         16
        .size:           8
        .value_kind:     global_buffer
      - .actual_access:  read_only
        .address_space:  global
        .offset:         24
        .size:           8
        .value_kind:     global_buffer
      - .offset:         32
        .size:           4
        .value_kind:     by_value
      - .offset:         36
        .size:           4
        .value_kind:     by_value
      - .actual_access:  read_only
        .address_space:  global
        .offset:         40
        .size:           8
        .value_kind:     global_buffer
      - .actual_access:  read_only
        .address_space:  global
        .offset:         48
        .size:           8
        .value_kind:     global_buffer
      - .offset:         56
        .size:           4
        .value_kind:     by_value
      - .actual_access:  read_only
        .address_space:  global
        .offset:         64
        .size:           8
        .value_kind:     global_buffer
      - .offset:         72
        .size:           4
        .value_kind:     by_value
      - .offset:         76
        .size:           4
        .value_kind:     by_value
      - .offset:         80
        .size:           4
        .value_kind:     by_value
      - .address_space:  global
        .offset:         88
        .size:           8
        .value_kind:     global_buffer
      - .address_space:  global
        .offset:         96
        .size:           8
        .value_kind:     global_buffer
      - .offset:         104
        .size:           4
        .value_kind:     by_value
      - .offset:         108
        .size:           4
        .value_kind:     by_value
      - .offset:         112
        .size:           4
        .value_kind:     by_value
      - .offset:         116
        .size:           4
        .value_kind:     by_value
      - .offset:         120
        .size:           4
        .value_kind:     by_value
      - .offset:         128
        .size:           4
        .value_kind:     hidden_block_count_x
      - .offset:         132
        .size:           4
        .value_kind:     hidden_block_count_y
      - .offset:         136
        .size:           4
        .value_kind:     hidden_block_count_z
      - .offset:         140
        .size:           2
        .value_kind:     hidden_group_size_x
      - .offset:         142
        .size:           2
        .value_kind:     hidden_group_size_y
      - .offset:         144
        .size:           2
        .value_kind:     hidden_group_size_z
      - .offset:         146
        .size:           2
        .value_kind:     hidden_remainder_x
      - .offset:         148
        .size:           2
        .value_kind:     hidden_remainder_y
      - .offset:         150
        .size:           2
        .value_kind:     hidden_remainder_z
      - .offset:         168
        .size:           8
        .value_kind:     hidden_global_offset_x
      - .offset:         176
        .size:           8
        .value_kind:     hidden_global_offset_y
      - .offset:         184
        .size:           8
        .value_kind:     hidden_global_offset_z
      - .offset:         192
        .size:           2
        .value_kind:     hidden_grid_dims
      - .offset:         248
        .size:           4
        .value_kind:     hidden_dynamic_lds_size
    .group_segment_fixed_size: 144
    .kernarg_segment_align: 8
    .kernarg_segment_size: 384
    .language:       OpenCL C
    .language_version:
      - 2
      - 0
    .max_flat_workgroup_size: 1024
    .name:           _ZN4vllm25paged_attention_v1_kernelIffLi32ELi16ELi128ELNS_18Fp8KVCacheDataTypeE0ELb1EEEvPT_PKS2_PKT0_S8_ifPKiSA_iPKfiiiSC_SC_iiiii
    .private_segment_fixed_size: 0
    .sgpr_count:     48
    .sgpr_spill_count: 0
    .symbol:         _ZN4vllm25paged_attention_v1_kernelIffLi32ELi16ELi128ELNS_18Fp8KVCacheDataTypeE0ELb1EEEvPT_PKS2_PKT0_S8_ifPKiSA_iPKfiiiSC_SC_iiiii.kd
    .uniform_work_group_size: 1
    .uses_dynamic_stack: false
    .vgpr_count:     43
    .vgpr_spill_count: 0
    .wavefront_size: 64
  - .args:
      - .actual_access:  write_only
        .address_space:  global
        .offset:         0
        .size:           8
        .value_kind:     global_buffer
      - .actual_access:  read_only
        .address_space:  global
        .offset:         8
        .size:           8
        .value_kind:     global_buffer
      - .actual_access:  read_only
        .address_space:  global
        .offset:         16
        .size:           8
        .value_kind:     global_buffer
      - .actual_access:  read_only
        .address_space:  global
        .offset:         24
        .size:           8
        .value_kind:     global_buffer
      - .offset:         32
        .size:           4
        .value_kind:     by_value
      - .offset:         36
        .size:           4
        .value_kind:     by_value
      - .actual_access:  read_only
        .address_space:  global
        .offset:         40
        .size:           8
        .value_kind:     global_buffer
      - .actual_access:  read_only
        .address_space:  global
        .offset:         48
        .size:           8
        .value_kind:     global_buffer
      - .offset:         56
        .size:           4
        .value_kind:     by_value
      - .actual_access:  read_only
        .address_space:  global
        .offset:         64
        .size:           8
        .value_kind:     global_buffer
      - .offset:         72
        .size:           4
        .value_kind:     by_value
      - .offset:         76
        .size:           4
        .value_kind:     by_value
      - .offset:         80
        .size:           4
        .value_kind:     by_value
      - .address_space:  global
        .offset:         88
        .size:           8
        .value_kind:     global_buffer
      - .address_space:  global
        .offset:         96
        .size:           8
        .value_kind:     global_buffer
      - .offset:         104
        .size:           4
        .value_kind:     by_value
      - .offset:         108
        .size:           4
        .value_kind:     by_value
      - .offset:         112
        .size:           4
        .value_kind:     by_value
      - .offset:         116
        .size:           4
        .value_kind:     by_value
      - .offset:         120
        .size:           4
        .value_kind:     by_value
      - .offset:         128
        .size:           4
        .value_kind:     hidden_block_count_x
      - .offset:         132
        .size:           4
        .value_kind:     hidden_block_count_y
      - .offset:         136
        .size:           4
        .value_kind:     hidden_block_count_z
      - .offset:         140
        .size:           2
        .value_kind:     hidden_group_size_x
      - .offset:         142
        .size:           2
        .value_kind:     hidden_group_size_y
      - .offset:         144
        .size:           2
        .value_kind:     hidden_group_size_z
      - .offset:         146
        .size:           2
        .value_kind:     hidden_remainder_x
      - .offset:         148
        .size:           2
        .value_kind:     hidden_remainder_y
      - .offset:         150
        .size:           2
        .value_kind:     hidden_remainder_z
      - .offset:         168
        .size:           8
        .value_kind:     hidden_global_offset_x
      - .offset:         176
        .size:           8
        .value_kind:     hidden_global_offset_y
      - .offset:         184
        .size:           8
        .value_kind:     hidden_global_offset_z
      - .offset:         192
        .size:           2
        .value_kind:     hidden_grid_dims
      - .offset:         248
        .size:           4
        .value_kind:     hidden_dynamic_lds_size
    .group_segment_fixed_size: 272
    .kernarg_segment_align: 8
    .kernarg_segment_size: 384
    .language:       OpenCL C
    .language_version:
      - 2
      - 0
    .max_flat_workgroup_size: 1024
    .name:           _ZN4vllm25paged_attention_v1_kernelIffLi64ELi16ELi128ELNS_18Fp8KVCacheDataTypeE0ELb1EEEvPT_PKS2_PKT0_S8_ifPKiSA_iPKfiiiSC_SC_iiiii
    .private_segment_fixed_size: 0
    .sgpr_count:     50
    .sgpr_spill_count: 0
    .symbol:         _ZN4vllm25paged_attention_v1_kernelIffLi64ELi16ELi128ELNS_18Fp8KVCacheDataTypeE0ELb1EEEvPT_PKS2_PKT0_S8_ifPKiSA_iPKfiiiSC_SC_iiiii.kd
    .uniform_work_group_size: 1
    .uses_dynamic_stack: false
    .vgpr_count:     59
    .vgpr_spill_count: 0
    .wavefront_size: 64
  - .args:
      - .actual_access:  write_only
        .address_space:  global
        .offset:         0
        .size:           8
        .value_kind:     global_buffer
      - .actual_access:  read_only
        .address_space:  global
        .offset:         8
        .size:           8
        .value_kind:     global_buffer
      - .actual_access:  read_only
        .address_space:  global
        .offset:         16
        .size:           8
        .value_kind:     global_buffer
      - .actual_access:  read_only
        .address_space:  global
        .offset:         24
        .size:           8
        .value_kind:     global_buffer
      - .offset:         32
        .size:           4
        .value_kind:     by_value
      - .offset:         36
        .size:           4
        .value_kind:     by_value
      - .actual_access:  read_only
        .address_space:  global
        .offset:         40
        .size:           8
        .value_kind:     global_buffer
      - .actual_access:  read_only
        .address_space:  global
        .offset:         48
        .size:           8
        .value_kind:     global_buffer
      - .offset:         56
        .size:           4
        .value_kind:     by_value
      - .actual_access:  read_only
        .address_space:  global
        .offset:         64
        .size:           8
        .value_kind:     global_buffer
      - .offset:         72
        .size:           4
        .value_kind:     by_value
      - .offset:         76
        .size:           4
        .value_kind:     by_value
      - .offset:         80
        .size:           4
        .value_kind:     by_value
      - .address_space:  global
        .offset:         88
        .size:           8
        .value_kind:     global_buffer
      - .address_space:  global
        .offset:         96
        .size:           8
        .value_kind:     global_buffer
      - .offset:         104
        .size:           4
        .value_kind:     by_value
      - .offset:         108
        .size:           4
        .value_kind:     by_value
      - .offset:         112
        .size:           4
        .value_kind:     by_value
      - .offset:         116
        .size:           4
        .value_kind:     by_value
      - .offset:         120
        .size:           4
        .value_kind:     by_value
      - .offset:         128
        .size:           4
        .value_kind:     hidden_block_count_x
      - .offset:         132
        .size:           4
        .value_kind:     hidden_block_count_y
      - .offset:         136
        .size:           4
        .value_kind:     hidden_block_count_z
      - .offset:         140
        .size:           2
        .value_kind:     hidden_group_size_x
      - .offset:         142
        .size:           2
        .value_kind:     hidden_group_size_y
      - .offset:         144
        .size:           2
        .value_kind:     hidden_group_size_z
      - .offset:         146
        .size:           2
        .value_kind:     hidden_remainder_x
      - .offset:         148
        .size:           2
        .value_kind:     hidden_remainder_y
      - .offset:         150
        .size:           2
        .value_kind:     hidden_remainder_z
      - .offset:         168
        .size:           8
        .value_kind:     hidden_global_offset_x
      - .offset:         176
        .size:           8
        .value_kind:     hidden_global_offset_y
      - .offset:         184
        .size:           8
        .value_kind:     hidden_global_offset_z
      - .offset:         192
        .size:           2
        .value_kind:     hidden_grid_dims
      - .offset:         248
        .size:           4
        .value_kind:     hidden_dynamic_lds_size
    .group_segment_fixed_size: 336
    .kernarg_segment_align: 8
    .kernarg_segment_size: 384
    .language:       OpenCL C
    .language_version:
      - 2
      - 0
    .max_flat_workgroup_size: 1024
    .name:           _ZN4vllm25paged_attention_v1_kernelIffLi80ELi16ELi128ELNS_18Fp8KVCacheDataTypeE0ELb1EEEvPT_PKS2_PKT0_S8_ifPKiSA_iPKfiiiSC_SC_iiiii
    .private_segment_fixed_size: 0
    .sgpr_count:     49
    .sgpr_spill_count: 0
    .symbol:         _ZN4vllm25paged_attention_v1_kernelIffLi80ELi16ELi128ELNS_18Fp8KVCacheDataTypeE0ELb1EEEvPT_PKS2_PKT0_S8_ifPKiSA_iPKfiiiSC_SC_iiiii.kd
    .uniform_work_group_size: 1
    .uses_dynamic_stack: false
    .vgpr_count:     55
    .vgpr_spill_count: 0
    .wavefront_size: 64
  - .args:
      - .actual_access:  write_only
        .address_space:  global
        .offset:         0
        .size:           8
        .value_kind:     global_buffer
      - .actual_access:  read_only
        .address_space:  global
        .offset:         8
        .size:           8
        .value_kind:     global_buffer
      - .actual_access:  read_only
        .address_space:  global
        .offset:         16
        .size:           8
        .value_kind:     global_buffer
      - .actual_access:  read_only
        .address_space:  global
        .offset:         24
        .size:           8
        .value_kind:     global_buffer
      - .offset:         32
        .size:           4
        .value_kind:     by_value
      - .offset:         36
        .size:           4
        .value_kind:     by_value
      - .actual_access:  read_only
        .address_space:  global
        .offset:         40
        .size:           8
        .value_kind:     global_buffer
      - .actual_access:  read_only
        .address_space:  global
        .offset:         48
        .size:           8
        .value_kind:     global_buffer
      - .offset:         56
        .size:           4
        .value_kind:     by_value
      - .actual_access:  read_only
        .address_space:  global
        .offset:         64
        .size:           8
        .value_kind:     global_buffer
      - .offset:         72
        .size:           4
        .value_kind:     by_value
      - .offset:         76
        .size:           4
        .value_kind:     by_value
      - .offset:         80
        .size:           4
        .value_kind:     by_value
      - .address_space:  global
        .offset:         88
        .size:           8
        .value_kind:     global_buffer
      - .address_space:  global
        .offset:         96
        .size:           8
        .value_kind:     global_buffer
      - .offset:         104
        .size:           4
        .value_kind:     by_value
      - .offset:         108
        .size:           4
        .value_kind:     by_value
      - .offset:         112
        .size:           4
        .value_kind:     by_value
      - .offset:         116
        .size:           4
        .value_kind:     by_value
      - .offset:         120
        .size:           4
        .value_kind:     by_value
      - .offset:         128
        .size:           4
        .value_kind:     hidden_block_count_x
      - .offset:         132
        .size:           4
        .value_kind:     hidden_block_count_y
      - .offset:         136
        .size:           4
        .value_kind:     hidden_block_count_z
      - .offset:         140
        .size:           2
        .value_kind:     hidden_group_size_x
      - .offset:         142
        .size:           2
        .value_kind:     hidden_group_size_y
      - .offset:         144
        .size:           2
        .value_kind:     hidden_group_size_z
      - .offset:         146
        .size:           2
        .value_kind:     hidden_remainder_x
      - .offset:         148
        .size:           2
        .value_kind:     hidden_remainder_y
      - .offset:         150
        .size:           2
        .value_kind:     hidden_remainder_z
      - .offset:         168
        .size:           8
        .value_kind:     hidden_global_offset_x
      - .offset:         176
        .size:           8
        .value_kind:     hidden_global_offset_y
      - .offset:         184
        .size:           8
        .value_kind:     hidden_global_offset_z
      - .offset:         192
        .size:           2
        .value_kind:     hidden_grid_dims
      - .offset:         248
        .size:           4
        .value_kind:     hidden_dynamic_lds_size
    .group_segment_fixed_size: 400
    .kernarg_segment_align: 8
    .kernarg_segment_size: 384
    .language:       OpenCL C
    .language_version:
      - 2
      - 0
    .max_flat_workgroup_size: 1024
    .name:           _ZN4vllm25paged_attention_v1_kernelIffLi96ELi16ELi128ELNS_18Fp8KVCacheDataTypeE0ELb1EEEvPT_PKS2_PKT0_S8_ifPKiSA_iPKfiiiSC_SC_iiiii
    .private_segment_fixed_size: 0
    .sgpr_count:     49
    .sgpr_spill_count: 0
    .symbol:         _ZN4vllm25paged_attention_v1_kernelIffLi96ELi16ELi128ELNS_18Fp8KVCacheDataTypeE0ELb1EEEvPT_PKS2_PKT0_S8_ifPKiSA_iPKfiiiSC_SC_iiiii.kd
    .uniform_work_group_size: 1
    .uses_dynamic_stack: false
    .vgpr_count:     54
    .vgpr_spill_count: 0
    .wavefront_size: 64
  - .args:
      - .actual_access:  write_only
        .address_space:  global
        .offset:         0
        .size:           8
        .value_kind:     global_buffer
      - .actual_access:  read_only
        .address_space:  global
        .offset:         8
        .size:           8
        .value_kind:     global_buffer
      - .actual_access:  read_only
        .address_space:  global
        .offset:         16
        .size:           8
        .value_kind:     global_buffer
      - .actual_access:  read_only
        .address_space:  global
        .offset:         24
        .size:           8
        .value_kind:     global_buffer
      - .offset:         32
        .size:           4
        .value_kind:     by_value
      - .offset:         36
        .size:           4
        .value_kind:     by_value
      - .actual_access:  read_only
        .address_space:  global
        .offset:         40
        .size:           8
        .value_kind:     global_buffer
      - .actual_access:  read_only
        .address_space:  global
        .offset:         48
        .size:           8
        .value_kind:     global_buffer
      - .offset:         56
        .size:           4
        .value_kind:     by_value
      - .actual_access:  read_only
        .address_space:  global
        .offset:         64
        .size:           8
        .value_kind:     global_buffer
      - .offset:         72
        .size:           4
        .value_kind:     by_value
      - .offset:         76
        .size:           4
        .value_kind:     by_value
      - .offset:         80
        .size:           4
        .value_kind:     by_value
      - .address_space:  global
        .offset:         88
        .size:           8
        .value_kind:     global_buffer
      - .address_space:  global
        .offset:         96
        .size:           8
        .value_kind:     global_buffer
      - .offset:         104
        .size:           4
        .value_kind:     by_value
      - .offset:         108
        .size:           4
        .value_kind:     by_value
      - .offset:         112
        .size:           4
        .value_kind:     by_value
      - .offset:         116
        .size:           4
        .value_kind:     by_value
      - .offset:         120
        .size:           4
        .value_kind:     by_value
      - .offset:         128
        .size:           4
        .value_kind:     hidden_block_count_x
      - .offset:         132
        .size:           4
        .value_kind:     hidden_block_count_y
      - .offset:         136
        .size:           4
        .value_kind:     hidden_block_count_z
      - .offset:         140
        .size:           2
        .value_kind:     hidden_group_size_x
      - .offset:         142
        .size:           2
        .value_kind:     hidden_group_size_y
      - .offset:         144
        .size:           2
        .value_kind:     hidden_group_size_z
      - .offset:         146
        .size:           2
        .value_kind:     hidden_remainder_x
      - .offset:         148
        .size:           2
        .value_kind:     hidden_remainder_y
      - .offset:         150
        .size:           2
        .value_kind:     hidden_remainder_z
      - .offset:         168
        .size:           8
        .value_kind:     hidden_global_offset_x
      - .offset:         176
        .size:           8
        .value_kind:     hidden_global_offset_y
      - .offset:         184
        .size:           8
        .value_kind:     hidden_global_offset_z
      - .offset:         192
        .size:           2
        .value_kind:     hidden_grid_dims
      - .offset:         248
        .size:           4
        .value_kind:     hidden_dynamic_lds_size
    .group_segment_fixed_size: 464
    .kernarg_segment_align: 8
    .kernarg_segment_size: 384
    .language:       OpenCL C
    .language_version:
      - 2
      - 0
    .max_flat_workgroup_size: 1024
    .name:           _ZN4vllm25paged_attention_v1_kernelIffLi112ELi16ELi128ELNS_18Fp8KVCacheDataTypeE0ELb1EEEvPT_PKS2_PKT0_S8_ifPKiSA_iPKfiiiSC_SC_iiiii
    .private_segment_fixed_size: 0
    .sgpr_count:     49
    .sgpr_spill_count: 0
    .symbol:         _ZN4vllm25paged_attention_v1_kernelIffLi112ELi16ELi128ELNS_18Fp8KVCacheDataTypeE0ELb1EEEvPT_PKS2_PKT0_S8_ifPKiSA_iPKfiiiSC_SC_iiiii.kd
    .uniform_work_group_size: 1
    .uses_dynamic_stack: false
    .vgpr_count:     63
    .vgpr_spill_count: 0
    .wavefront_size: 64
  - .args:
      - .actual_access:  write_only
        .address_space:  global
        .offset:         0
        .size:           8
        .value_kind:     global_buffer
      - .actual_access:  read_only
        .address_space:  global
        .offset:         8
        .size:           8
        .value_kind:     global_buffer
      - .actual_access:  read_only
        .address_space:  global
        .offset:         16
        .size:           8
        .value_kind:     global_buffer
      - .actual_access:  read_only
        .address_space:  global
        .offset:         24
        .size:           8
        .value_kind:     global_buffer
      - .offset:         32
        .size:           4
        .value_kind:     by_value
      - .offset:         36
        .size:           4
        .value_kind:     by_value
      - .actual_access:  read_only
        .address_space:  global
        .offset:         40
        .size:           8
        .value_kind:     global_buffer
      - .actual_access:  read_only
        .address_space:  global
        .offset:         48
        .size:           8
        .value_kind:     global_buffer
      - .offset:         56
        .size:           4
        .value_kind:     by_value
      - .actual_access:  read_only
        .address_space:  global
        .offset:         64
        .size:           8
        .value_kind:     global_buffer
      - .offset:         72
        .size:           4
        .value_kind:     by_value
      - .offset:         76
        .size:           4
        .value_kind:     by_value
      - .offset:         80
        .size:           4
        .value_kind:     by_value
      - .address_space:  global
        .offset:         88
        .size:           8
        .value_kind:     global_buffer
      - .address_space:  global
        .offset:         96
        .size:           8
        .value_kind:     global_buffer
      - .offset:         104
        .size:           4
        .value_kind:     by_value
      - .offset:         108
        .size:           4
        .value_kind:     by_value
      - .offset:         112
        .size:           4
        .value_kind:     by_value
      - .offset:         116
        .size:           4
        .value_kind:     by_value
      - .offset:         120
        .size:           4
        .value_kind:     by_value
      - .offset:         128
        .size:           4
        .value_kind:     hidden_block_count_x
      - .offset:         132
        .size:           4
        .value_kind:     hidden_block_count_y
      - .offset:         136
        .size:           4
        .value_kind:     hidden_block_count_z
      - .offset:         140
        .size:           2
        .value_kind:     hidden_group_size_x
      - .offset:         142
        .size:           2
        .value_kind:     hidden_group_size_y
      - .offset:         144
        .size:           2
        .value_kind:     hidden_group_size_z
      - .offset:         146
        .size:           2
        .value_kind:     hidden_remainder_x
      - .offset:         148
        .size:           2
        .value_kind:     hidden_remainder_y
      - .offset:         150
        .size:           2
        .value_kind:     hidden_remainder_z
      - .offset:         168
        .size:           8
        .value_kind:     hidden_global_offset_x
      - .offset:         176
        .size:           8
        .value_kind:     hidden_global_offset_y
      - .offset:         184
        .size:           8
        .value_kind:     hidden_global_offset_z
      - .offset:         192
        .size:           2
        .value_kind:     hidden_grid_dims
      - .offset:         248
        .size:           4
        .value_kind:     hidden_dynamic_lds_size
    .group_segment_fixed_size: 496
    .kernarg_segment_align: 8
    .kernarg_segment_size: 384
    .language:       OpenCL C
    .language_version:
      - 2
      - 0
    .max_flat_workgroup_size: 1024
    .name:           _ZN4vllm25paged_attention_v1_kernelIffLi120ELi16ELi128ELNS_18Fp8KVCacheDataTypeE0ELb1EEEvPT_PKS2_PKT0_S8_ifPKiSA_iPKfiiiSC_SC_iiiii
    .private_segment_fixed_size: 0
    .sgpr_count:     49
    .sgpr_spill_count: 0
    .symbol:         _ZN4vllm25paged_attention_v1_kernelIffLi120ELi16ELi128ELNS_18Fp8KVCacheDataTypeE0ELb1EEEvPT_PKS2_PKT0_S8_ifPKiSA_iPKfiiiSC_SC_iiiii.kd
    .uniform_work_group_size: 1
    .uses_dynamic_stack: false
    .vgpr_count:     62
    .vgpr_spill_count: 0
    .wavefront_size: 64
  - .args:
      - .actual_access:  write_only
        .address_space:  global
        .offset:         0
        .size:           8
        .value_kind:     global_buffer
      - .actual_access:  read_only
        .address_space:  global
        .offset:         8
        .size:           8
        .value_kind:     global_buffer
      - .actual_access:  read_only
        .address_space:  global
        .offset:         16
        .size:           8
        .value_kind:     global_buffer
      - .actual_access:  read_only
        .address_space:  global
        .offset:         24
        .size:           8
        .value_kind:     global_buffer
      - .offset:         32
        .size:           4
        .value_kind:     by_value
      - .offset:         36
        .size:           4
        .value_kind:     by_value
      - .actual_access:  read_only
        .address_space:  global
        .offset:         40
        .size:           8
        .value_kind:     global_buffer
      - .actual_access:  read_only
        .address_space:  global
        .offset:         48
        .size:           8
        .value_kind:     global_buffer
      - .offset:         56
        .size:           4
        .value_kind:     by_value
      - .actual_access:  read_only
        .address_space:  global
        .offset:         64
        .size:           8
        .value_kind:     global_buffer
      - .offset:         72
        .size:           4
        .value_kind:     by_value
      - .offset:         76
        .size:           4
        .value_kind:     by_value
      - .offset:         80
        .size:           4
        .value_kind:     by_value
      - .address_space:  global
        .offset:         88
        .size:           8
        .value_kind:     global_buffer
      - .address_space:  global
        .offset:         96
        .size:           8
        .value_kind:     global_buffer
      - .offset:         104
        .size:           4
        .value_kind:     by_value
      - .offset:         108
        .size:           4
        .value_kind:     by_value
      - .offset:         112
        .size:           4
        .value_kind:     by_value
      - .offset:         116
        .size:           4
        .value_kind:     by_value
      - .offset:         120
        .size:           4
        .value_kind:     by_value
      - .offset:         128
        .size:           4
        .value_kind:     hidden_block_count_x
      - .offset:         132
        .size:           4
        .value_kind:     hidden_block_count_y
      - .offset:         136
        .size:           4
        .value_kind:     hidden_block_count_z
      - .offset:         140
        .size:           2
        .value_kind:     hidden_group_size_x
      - .offset:         142
        .size:           2
        .value_kind:     hidden_group_size_y
      - .offset:         144
        .size:           2
        .value_kind:     hidden_group_size_z
      - .offset:         146
        .size:           2
        .value_kind:     hidden_remainder_x
      - .offset:         148
        .size:           2
        .value_kind:     hidden_remainder_y
      - .offset:         150
        .size:           2
        .value_kind:     hidden_remainder_z
      - .offset:         168
        .size:           8
        .value_kind:     hidden_global_offset_x
      - .offset:         176
        .size:           8
        .value_kind:     hidden_global_offset_y
      - .offset:         184
        .size:           8
        .value_kind:     hidden_global_offset_z
      - .offset:         192
        .size:           2
        .value_kind:     hidden_grid_dims
      - .offset:         248
        .size:           4
        .value_kind:     hidden_dynamic_lds_size
    .group_segment_fixed_size: 528
    .kernarg_segment_align: 8
    .kernarg_segment_size: 384
    .language:       OpenCL C
    .language_version:
      - 2
      - 0
    .max_flat_workgroup_size: 1024
    .name:           _ZN4vllm25paged_attention_v1_kernelIffLi128ELi16ELi128ELNS_18Fp8KVCacheDataTypeE0ELb1EEEvPT_PKS2_PKT0_S8_ifPKiSA_iPKfiiiSC_SC_iiiii
    .private_segment_fixed_size: 0
    .sgpr_count:     49
    .sgpr_spill_count: 0
    .symbol:         _ZN4vllm25paged_attention_v1_kernelIffLi128ELi16ELi128ELNS_18Fp8KVCacheDataTypeE0ELb1EEEvPT_PKS2_PKT0_S8_ifPKiSA_iPKfiiiSC_SC_iiiii.kd
    .uniform_work_group_size: 1
    .uses_dynamic_stack: false
    .vgpr_count:     64
    .vgpr_spill_count: 0
    .wavefront_size: 64
  - .args:
      - .actual_access:  write_only
        .address_space:  global
        .offset:         0
        .size:           8
        .value_kind:     global_buffer
      - .actual_access:  read_only
        .address_space:  global
        .offset:         8
        .size:           8
        .value_kind:     global_buffer
      - .actual_access:  read_only
        .address_space:  global
        .offset:         16
        .size:           8
        .value_kind:     global_buffer
      - .actual_access:  read_only
        .address_space:  global
        .offset:         24
        .size:           8
        .value_kind:     global_buffer
      - .offset:         32
        .size:           4
        .value_kind:     by_value
      - .offset:         36
        .size:           4
        .value_kind:     by_value
      - .actual_access:  read_only
        .address_space:  global
        .offset:         40
        .size:           8
        .value_kind:     global_buffer
      - .actual_access:  read_only
        .address_space:  global
        .offset:         48
        .size:           8
        .value_kind:     global_buffer
      - .offset:         56
        .size:           4
        .value_kind:     by_value
      - .actual_access:  read_only
        .address_space:  global
        .offset:         64
        .size:           8
        .value_kind:     global_buffer
      - .offset:         72
        .size:           4
        .value_kind:     by_value
      - .offset:         76
        .size:           4
        .value_kind:     by_value
      - .offset:         80
        .size:           4
        .value_kind:     by_value
      - .address_space:  global
        .offset:         88
        .size:           8
        .value_kind:     global_buffer
      - .address_space:  global
        .offset:         96
        .size:           8
        .value_kind:     global_buffer
      - .offset:         104
        .size:           4
        .value_kind:     by_value
      - .offset:         108
        .size:           4
        .value_kind:     by_value
      - .offset:         112
        .size:           4
        .value_kind:     by_value
      - .offset:         116
        .size:           4
        .value_kind:     by_value
      - .offset:         120
        .size:           4
        .value_kind:     by_value
      - .offset:         128
        .size:           4
        .value_kind:     hidden_block_count_x
      - .offset:         132
        .size:           4
        .value_kind:     hidden_block_count_y
      - .offset:         136
        .size:           4
        .value_kind:     hidden_block_count_z
      - .offset:         140
        .size:           2
        .value_kind:     hidden_group_size_x
      - .offset:         142
        .size:           2
        .value_kind:     hidden_group_size_y
      - .offset:         144
        .size:           2
        .value_kind:     hidden_group_size_z
      - .offset:         146
        .size:           2
        .value_kind:     hidden_remainder_x
      - .offset:         148
        .size:           2
        .value_kind:     hidden_remainder_y
      - .offset:         150
        .size:           2
        .value_kind:     hidden_remainder_z
      - .offset:         168
        .size:           8
        .value_kind:     hidden_global_offset_x
      - .offset:         176
        .size:           8
        .value_kind:     hidden_global_offset_y
      - .offset:         184
        .size:           8
        .value_kind:     hidden_global_offset_z
      - .offset:         192
        .size:           2
        .value_kind:     hidden_grid_dims
      - .offset:         248
        .size:           4
        .value_kind:     hidden_dynamic_lds_size
    .group_segment_fixed_size: 784
    .kernarg_segment_align: 8
    .kernarg_segment_size: 384
    .language:       OpenCL C
    .language_version:
      - 2
      - 0
    .max_flat_workgroup_size: 1024
    .name:           _ZN4vllm25paged_attention_v1_kernelIffLi192ELi16ELi128ELNS_18Fp8KVCacheDataTypeE0ELb1EEEvPT_PKS2_PKT0_S8_ifPKiSA_iPKfiiiSC_SC_iiiii
    .private_segment_fixed_size: 80
    .sgpr_count:     56
    .sgpr_spill_count: 0
    .symbol:         _ZN4vllm25paged_attention_v1_kernelIffLi192ELi16ELi128ELNS_18Fp8KVCacheDataTypeE0ELb1EEEvPT_PKS2_PKT0_S8_ifPKiSA_iPKfiiiSC_SC_iiiii.kd
    .uniform_work_group_size: 1
    .uses_dynamic_stack: false
    .vgpr_count:     64
    .vgpr_spill_count: 28
    .wavefront_size: 64
  - .args:
      - .actual_access:  write_only
        .address_space:  global
        .offset:         0
        .size:           8
        .value_kind:     global_buffer
      - .actual_access:  read_only
        .address_space:  global
        .offset:         8
        .size:           8
        .value_kind:     global_buffer
      - .actual_access:  read_only
        .address_space:  global
        .offset:         16
        .size:           8
        .value_kind:     global_buffer
      - .actual_access:  read_only
        .address_space:  global
        .offset:         24
        .size:           8
        .value_kind:     global_buffer
      - .offset:         32
        .size:           4
        .value_kind:     by_value
      - .offset:         36
        .size:           4
        .value_kind:     by_value
      - .actual_access:  read_only
        .address_space:  global
        .offset:         40
        .size:           8
        .value_kind:     global_buffer
      - .actual_access:  read_only
        .address_space:  global
        .offset:         48
        .size:           8
        .value_kind:     global_buffer
      - .offset:         56
        .size:           4
        .value_kind:     by_value
      - .actual_access:  read_only
        .address_space:  global
        .offset:         64
        .size:           8
        .value_kind:     global_buffer
      - .offset:         72
        .size:           4
        .value_kind:     by_value
      - .offset:         76
        .size:           4
        .value_kind:     by_value
      - .offset:         80
        .size:           4
        .value_kind:     by_value
      - .address_space:  global
        .offset:         88
        .size:           8
        .value_kind:     global_buffer
      - .address_space:  global
        .offset:         96
        .size:           8
        .value_kind:     global_buffer
      - .offset:         104
        .size:           4
        .value_kind:     by_value
      - .offset:         108
        .size:           4
        .value_kind:     by_value
      - .offset:         112
        .size:           4
        .value_kind:     by_value
      - .offset:         116
        .size:           4
        .value_kind:     by_value
      - .offset:         120
        .size:           4
        .value_kind:     by_value
      - .offset:         128
        .size:           4
        .value_kind:     hidden_block_count_x
      - .offset:         132
        .size:           4
        .value_kind:     hidden_block_count_y
      - .offset:         136
        .size:           4
        .value_kind:     hidden_block_count_z
      - .offset:         140
        .size:           2
        .value_kind:     hidden_group_size_x
      - .offset:         142
        .size:           2
        .value_kind:     hidden_group_size_y
      - .offset:         144
        .size:           2
        .value_kind:     hidden_group_size_z
      - .offset:         146
        .size:           2
        .value_kind:     hidden_remainder_x
      - .offset:         148
        .size:           2
        .value_kind:     hidden_remainder_y
      - .offset:         150
        .size:           2
        .value_kind:     hidden_remainder_z
      - .offset:         168
        .size:           8
        .value_kind:     hidden_global_offset_x
      - .offset:         176
        .size:           8
        .value_kind:     hidden_global_offset_y
      - .offset:         184
        .size:           8
        .value_kind:     hidden_global_offset_z
      - .offset:         192
        .size:           2
        .value_kind:     hidden_grid_dims
      - .offset:         248
        .size:           4
        .value_kind:     hidden_dynamic_lds_size
    .group_segment_fixed_size: 1040
    .kernarg_segment_align: 8
    .kernarg_segment_size: 384
    .language:       OpenCL C
    .language_version:
      - 2
      - 0
    .max_flat_workgroup_size: 1024
    .name:           _ZN4vllm25paged_attention_v1_kernelIffLi256ELi16ELi128ELNS_18Fp8KVCacheDataTypeE0ELb1EEEvPT_PKS2_PKT0_S8_ifPKiSA_iPKfiiiSC_SC_iiiii
    .private_segment_fixed_size: 168
    .sgpr_count:     56
    .sgpr_spill_count: 0
    .symbol:         _ZN4vllm25paged_attention_v1_kernelIffLi256ELi16ELi128ELNS_18Fp8KVCacheDataTypeE0ELb1EEEvPT_PKS2_PKT0_S8_ifPKiSA_iPKfiiiSC_SC_iiiii.kd
    .uniform_work_group_size: 1
    .uses_dynamic_stack: false
    .vgpr_count:     64
    .vgpr_spill_count: 68
    .wavefront_size: 64
  - .args:
      - .actual_access:  write_only
        .address_space:  global
        .offset:         0
        .size:           8
        .value_kind:     global_buffer
      - .actual_access:  read_only
        .address_space:  global
        .offset:         8
        .size:           8
        .value_kind:     global_buffer
      - .actual_access:  read_only
        .address_space:  global
        .offset:         16
        .size:           8
        .value_kind:     global_buffer
      - .actual_access:  read_only
        .address_space:  global
        .offset:         24
        .size:           8
        .value_kind:     global_buffer
      - .offset:         32
        .size:           4
        .value_kind:     by_value
      - .offset:         36
        .size:           4
        .value_kind:     by_value
      - .actual_access:  read_only
        .address_space:  global
        .offset:         40
        .size:           8
        .value_kind:     global_buffer
      - .actual_access:  read_only
        .address_space:  global
        .offset:         48
        .size:           8
        .value_kind:     global_buffer
      - .offset:         56
        .size:           4
        .value_kind:     by_value
      - .actual_access:  read_only
        .address_space:  global
        .offset:         64
        .size:           8
        .value_kind:     global_buffer
      - .offset:         72
        .size:           4
        .value_kind:     by_value
      - .offset:         76
        .size:           4
        .value_kind:     by_value
      - .offset:         80
        .size:           4
        .value_kind:     by_value
      - .address_space:  global
        .offset:         88
        .size:           8
        .value_kind:     global_buffer
      - .address_space:  global
        .offset:         96
        .size:           8
        .value_kind:     global_buffer
      - .offset:         104
        .size:           4
        .value_kind:     by_value
      - .offset:         108
        .size:           4
        .value_kind:     by_value
      - .offset:         112
        .size:           4
        .value_kind:     by_value
      - .offset:         116
        .size:           4
        .value_kind:     by_value
      - .offset:         120
        .size:           4
        .value_kind:     by_value
      - .offset:         128
        .size:           4
        .value_kind:     hidden_block_count_x
      - .offset:         132
        .size:           4
        .value_kind:     hidden_block_count_y
      - .offset:         136
        .size:           4
        .value_kind:     hidden_block_count_z
      - .offset:         140
        .size:           2
        .value_kind:     hidden_group_size_x
      - .offset:         142
        .size:           2
        .value_kind:     hidden_group_size_y
      - .offset:         144
        .size:           2
        .value_kind:     hidden_group_size_z
      - .offset:         146
        .size:           2
        .value_kind:     hidden_remainder_x
      - .offset:         148
        .size:           2
        .value_kind:     hidden_remainder_y
      - .offset:         150
        .size:           2
        .value_kind:     hidden_remainder_z
      - .offset:         168
        .size:           8
        .value_kind:     hidden_global_offset_x
      - .offset:         176
        .size:           8
        .value_kind:     hidden_global_offset_y
      - .offset:         184
        .size:           8
        .value_kind:     hidden_global_offset_z
      - .offset:         192
        .size:           2
        .value_kind:     hidden_grid_dims
      - .offset:         248
        .size:           4
        .value_kind:     hidden_dynamic_lds_size
    .group_segment_fixed_size: 144
    .kernarg_segment_align: 8
    .kernarg_segment_size: 384
    .language:       OpenCL C
    .language_version:
      - 2
      - 0
    .max_flat_workgroup_size: 1024
    .name:           _ZN4vllm25paged_attention_v1_kernelIffLi32ELi16ELi128ELNS_18Fp8KVCacheDataTypeE0ELb0EEEvPT_PKS2_PKT0_S8_ifPKiSA_iPKfiiiSC_SC_iiiii
    .private_segment_fixed_size: 0
    .sgpr_count:     38
    .sgpr_spill_count: 0
    .symbol:         _ZN4vllm25paged_attention_v1_kernelIffLi32ELi16ELi128ELNS_18Fp8KVCacheDataTypeE0ELb0EEEvPT_PKS2_PKT0_S8_ifPKiSA_iPKfiiiSC_SC_iiiii.kd
    .uniform_work_group_size: 1
    .uses_dynamic_stack: false
    .vgpr_count:     37
    .vgpr_spill_count: 0
    .wavefront_size: 64
  - .args:
      - .actual_access:  write_only
        .address_space:  global
        .offset:         0
        .size:           8
        .value_kind:     global_buffer
      - .actual_access:  read_only
        .address_space:  global
        .offset:         8
        .size:           8
        .value_kind:     global_buffer
      - .actual_access:  read_only
        .address_space:  global
        .offset:         16
        .size:           8
        .value_kind:     global_buffer
      - .actual_access:  read_only
        .address_space:  global
        .offset:         24
        .size:           8
        .value_kind:     global_buffer
      - .offset:         32
        .size:           4
        .value_kind:     by_value
      - .offset:         36
        .size:           4
        .value_kind:     by_value
      - .actual_access:  read_only
        .address_space:  global
        .offset:         40
        .size:           8
        .value_kind:     global_buffer
      - .actual_access:  read_only
        .address_space:  global
        .offset:         48
        .size:           8
        .value_kind:     global_buffer
      - .offset:         56
        .size:           4
        .value_kind:     by_value
      - .actual_access:  read_only
        .address_space:  global
        .offset:         64
        .size:           8
        .value_kind:     global_buffer
      - .offset:         72
        .size:           4
        .value_kind:     by_value
      - .offset:         76
        .size:           4
        .value_kind:     by_value
      - .offset:         80
        .size:           4
        .value_kind:     by_value
      - .address_space:  global
        .offset:         88
        .size:           8
        .value_kind:     global_buffer
      - .address_space:  global
        .offset:         96
        .size:           8
        .value_kind:     global_buffer
      - .offset:         104
        .size:           4
        .value_kind:     by_value
      - .offset:         108
        .size:           4
        .value_kind:     by_value
      - .offset:         112
        .size:           4
        .value_kind:     by_value
      - .offset:         116
        .size:           4
        .value_kind:     by_value
      - .offset:         120
        .size:           4
        .value_kind:     by_value
      - .offset:         128
        .size:           4
        .value_kind:     hidden_block_count_x
      - .offset:         132
        .size:           4
        .value_kind:     hidden_block_count_y
      - .offset:         136
        .size:           4
        .value_kind:     hidden_block_count_z
      - .offset:         140
        .size:           2
        .value_kind:     hidden_group_size_x
      - .offset:         142
        .size:           2
        .value_kind:     hidden_group_size_y
      - .offset:         144
        .size:           2
        .value_kind:     hidden_group_size_z
      - .offset:         146
        .size:           2
        .value_kind:     hidden_remainder_x
      - .offset:         148
        .size:           2
        .value_kind:     hidden_remainder_y
      - .offset:         150
        .size:           2
        .value_kind:     hidden_remainder_z
      - .offset:         168
        .size:           8
        .value_kind:     hidden_global_offset_x
      - .offset:         176
        .size:           8
        .value_kind:     hidden_global_offset_y
      - .offset:         184
        .size:           8
        .value_kind:     hidden_global_offset_z
      - .offset:         192
        .size:           2
        .value_kind:     hidden_grid_dims
      - .offset:         248
        .size:           4
        .value_kind:     hidden_dynamic_lds_size
    .group_segment_fixed_size: 272
    .kernarg_segment_align: 8
    .kernarg_segment_size: 384
    .language:       OpenCL C
    .language_version:
      - 2
      - 0
    .max_flat_workgroup_size: 1024
    .name:           _ZN4vllm25paged_attention_v1_kernelIffLi64ELi16ELi128ELNS_18Fp8KVCacheDataTypeE0ELb0EEEvPT_PKS2_PKT0_S8_ifPKiSA_iPKfiiiSC_SC_iiiii
    .private_segment_fixed_size: 0
    .sgpr_count:     40
    .sgpr_spill_count: 0
    .symbol:         _ZN4vllm25paged_attention_v1_kernelIffLi64ELi16ELi128ELNS_18Fp8KVCacheDataTypeE0ELb0EEEvPT_PKS2_PKT0_S8_ifPKiSA_iPKfiiiSC_SC_iiiii.kd
    .uniform_work_group_size: 1
    .uses_dynamic_stack: false
    .vgpr_count:     53
    .vgpr_spill_count: 0
    .wavefront_size: 64
  - .args:
      - .actual_access:  write_only
        .address_space:  global
        .offset:         0
        .size:           8
        .value_kind:     global_buffer
      - .actual_access:  read_only
        .address_space:  global
        .offset:         8
        .size:           8
        .value_kind:     global_buffer
      - .actual_access:  read_only
        .address_space:  global
        .offset:         16
        .size:           8
        .value_kind:     global_buffer
      - .actual_access:  read_only
        .address_space:  global
        .offset:         24
        .size:           8
        .value_kind:     global_buffer
      - .offset:         32
        .size:           4
        .value_kind:     by_value
      - .offset:         36
        .size:           4
        .value_kind:     by_value
      - .actual_access:  read_only
        .address_space:  global
        .offset:         40
        .size:           8
        .value_kind:     global_buffer
      - .actual_access:  read_only
        .address_space:  global
        .offset:         48
        .size:           8
        .value_kind:     global_buffer
      - .offset:         56
        .size:           4
        .value_kind:     by_value
      - .actual_access:  read_only
        .address_space:  global
        .offset:         64
        .size:           8
        .value_kind:     global_buffer
      - .offset:         72
        .size:           4
        .value_kind:     by_value
      - .offset:         76
        .size:           4
        .value_kind:     by_value
      - .offset:         80
        .size:           4
        .value_kind:     by_value
      - .address_space:  global
        .offset:         88
        .size:           8
        .value_kind:     global_buffer
      - .address_space:  global
        .offset:         96
        .size:           8
        .value_kind:     global_buffer
      - .offset:         104
        .size:           4
        .value_kind:     by_value
      - .offset:         108
        .size:           4
        .value_kind:     by_value
      - .offset:         112
        .size:           4
        .value_kind:     by_value
      - .offset:         116
        .size:           4
        .value_kind:     by_value
      - .offset:         120
        .size:           4
        .value_kind:     by_value
      - .offset:         128
        .size:           4
        .value_kind:     hidden_block_count_x
      - .offset:         132
        .size:           4
        .value_kind:     hidden_block_count_y
      - .offset:         136
        .size:           4
        .value_kind:     hidden_block_count_z
      - .offset:         140
        .size:           2
        .value_kind:     hidden_group_size_x
      - .offset:         142
        .size:           2
        .value_kind:     hidden_group_size_y
      - .offset:         144
        .size:           2
        .value_kind:     hidden_group_size_z
      - .offset:         146
        .size:           2
        .value_kind:     hidden_remainder_x
      - .offset:         148
        .size:           2
        .value_kind:     hidden_remainder_y
      - .offset:         150
        .size:           2
        .value_kind:     hidden_remainder_z
      - .offset:         168
        .size:           8
        .value_kind:     hidden_global_offset_x
      - .offset:         176
        .size:           8
        .value_kind:     hidden_global_offset_y
      - .offset:         184
        .size:           8
        .value_kind:     hidden_global_offset_z
      - .offset:         192
        .size:           2
        .value_kind:     hidden_grid_dims
      - .offset:         248
        .size:           4
        .value_kind:     hidden_dynamic_lds_size
    .group_segment_fixed_size: 336
    .kernarg_segment_align: 8
    .kernarg_segment_size: 384
    .language:       OpenCL C
    .language_version:
      - 2
      - 0
    .max_flat_workgroup_size: 1024
    .name:           _ZN4vllm25paged_attention_v1_kernelIffLi80ELi16ELi128ELNS_18Fp8KVCacheDataTypeE0ELb0EEEvPT_PKS2_PKT0_S8_ifPKiSA_iPKfiiiSC_SC_iiiii
    .private_segment_fixed_size: 0
    .sgpr_count:     39
    .sgpr_spill_count: 0
    .symbol:         _ZN4vllm25paged_attention_v1_kernelIffLi80ELi16ELi128ELNS_18Fp8KVCacheDataTypeE0ELb0EEEvPT_PKS2_PKT0_S8_ifPKiSA_iPKfiiiSC_SC_iiiii.kd
    .uniform_work_group_size: 1
    .uses_dynamic_stack: false
    .vgpr_count:     61
    .vgpr_spill_count: 0
    .wavefront_size: 64
  - .args:
      - .actual_access:  write_only
        .address_space:  global
        .offset:         0
        .size:           8
        .value_kind:     global_buffer
      - .actual_access:  read_only
        .address_space:  global
        .offset:         8
        .size:           8
        .value_kind:     global_buffer
      - .actual_access:  read_only
        .address_space:  global
        .offset:         16
        .size:           8
        .value_kind:     global_buffer
      - .actual_access:  read_only
        .address_space:  global
        .offset:         24
        .size:           8
        .value_kind:     global_buffer
      - .offset:         32
        .size:           4
        .value_kind:     by_value
      - .offset:         36
        .size:           4
        .value_kind:     by_value
      - .actual_access:  read_only
        .address_space:  global
        .offset:         40
        .size:           8
        .value_kind:     global_buffer
      - .actual_access:  read_only
        .address_space:  global
        .offset:         48
        .size:           8
        .value_kind:     global_buffer
      - .offset:         56
        .size:           4
        .value_kind:     by_value
      - .actual_access:  read_only
        .address_space:  global
        .offset:         64
        .size:           8
        .value_kind:     global_buffer
      - .offset:         72
        .size:           4
        .value_kind:     by_value
      - .offset:         76
        .size:           4
        .value_kind:     by_value
      - .offset:         80
        .size:           4
        .value_kind:     by_value
      - .address_space:  global
        .offset:         88
        .size:           8
        .value_kind:     global_buffer
      - .address_space:  global
        .offset:         96
        .size:           8
        .value_kind:     global_buffer
      - .offset:         104
        .size:           4
        .value_kind:     by_value
      - .offset:         108
        .size:           4
        .value_kind:     by_value
      - .offset:         112
        .size:           4
        .value_kind:     by_value
      - .offset:         116
        .size:           4
        .value_kind:     by_value
      - .offset:         120
        .size:           4
        .value_kind:     by_value
      - .offset:         128
        .size:           4
        .value_kind:     hidden_block_count_x
      - .offset:         132
        .size:           4
        .value_kind:     hidden_block_count_y
      - .offset:         136
        .size:           4
        .value_kind:     hidden_block_count_z
      - .offset:         140
        .size:           2
        .value_kind:     hidden_group_size_x
      - .offset:         142
        .size:           2
        .value_kind:     hidden_group_size_y
      - .offset:         144
        .size:           2
        .value_kind:     hidden_group_size_z
      - .offset:         146
        .size:           2
        .value_kind:     hidden_remainder_x
      - .offset:         148
        .size:           2
        .value_kind:     hidden_remainder_y
      - .offset:         150
        .size:           2
        .value_kind:     hidden_remainder_z
      - .offset:         168
        .size:           8
        .value_kind:     hidden_global_offset_x
      - .offset:         176
        .size:           8
        .value_kind:     hidden_global_offset_y
      - .offset:         184
        .size:           8
        .value_kind:     hidden_global_offset_z
      - .offset:         192
        .size:           2
        .value_kind:     hidden_grid_dims
      - .offset:         248
        .size:           4
        .value_kind:     hidden_dynamic_lds_size
    .group_segment_fixed_size: 400
    .kernarg_segment_align: 8
    .kernarg_segment_size: 384
    .language:       OpenCL C
    .language_version:
      - 2
      - 0
    .max_flat_workgroup_size: 1024
    .name:           _ZN4vllm25paged_attention_v1_kernelIffLi96ELi16ELi128ELNS_18Fp8KVCacheDataTypeE0ELb0EEEvPT_PKS2_PKT0_S8_ifPKiSA_iPKfiiiSC_SC_iiiii
    .private_segment_fixed_size: 0
    .sgpr_count:     39
    .sgpr_spill_count: 0
    .symbol:         _ZN4vllm25paged_attention_v1_kernelIffLi96ELi16ELi128ELNS_18Fp8KVCacheDataTypeE0ELb0EEEvPT_PKS2_PKT0_S8_ifPKiSA_iPKfiiiSC_SC_iiiii.kd
    .uniform_work_group_size: 1
    .uses_dynamic_stack: false
    .vgpr_count:     64
    .vgpr_spill_count: 0
    .wavefront_size: 64
  - .args:
      - .actual_access:  write_only
        .address_space:  global
        .offset:         0
        .size:           8
        .value_kind:     global_buffer
      - .actual_access:  read_only
        .address_space:  global
        .offset:         8
        .size:           8
        .value_kind:     global_buffer
      - .actual_access:  read_only
        .address_space:  global
        .offset:         16
        .size:           8
        .value_kind:     global_buffer
      - .actual_access:  read_only
        .address_space:  global
        .offset:         24
        .size:           8
        .value_kind:     global_buffer
      - .offset:         32
        .size:           4
        .value_kind:     by_value
      - .offset:         36
        .size:           4
        .value_kind:     by_value
      - .actual_access:  read_only
        .address_space:  global
        .offset:         40
        .size:           8
        .value_kind:     global_buffer
      - .actual_access:  read_only
        .address_space:  global
        .offset:         48
        .size:           8
        .value_kind:     global_buffer
      - .offset:         56
        .size:           4
        .value_kind:     by_value
      - .actual_access:  read_only
        .address_space:  global
        .offset:         64
        .size:           8
        .value_kind:     global_buffer
      - .offset:         72
        .size:           4
        .value_kind:     by_value
      - .offset:         76
        .size:           4
        .value_kind:     by_value
      - .offset:         80
        .size:           4
        .value_kind:     by_value
      - .address_space:  global
        .offset:         88
        .size:           8
        .value_kind:     global_buffer
      - .address_space:  global
        .offset:         96
        .size:           8
        .value_kind:     global_buffer
      - .offset:         104
        .size:           4
        .value_kind:     by_value
      - .offset:         108
        .size:           4
        .value_kind:     by_value
      - .offset:         112
        .size:           4
        .value_kind:     by_value
      - .offset:         116
        .size:           4
        .value_kind:     by_value
      - .offset:         120
        .size:           4
        .value_kind:     by_value
      - .offset:         128
        .size:           4
        .value_kind:     hidden_block_count_x
      - .offset:         132
        .size:           4
        .value_kind:     hidden_block_count_y
      - .offset:         136
        .size:           4
        .value_kind:     hidden_block_count_z
      - .offset:         140
        .size:           2
        .value_kind:     hidden_group_size_x
      - .offset:         142
        .size:           2
        .value_kind:     hidden_group_size_y
      - .offset:         144
        .size:           2
        .value_kind:     hidden_group_size_z
      - .offset:         146
        .size:           2
        .value_kind:     hidden_remainder_x
      - .offset:         148
        .size:           2
        .value_kind:     hidden_remainder_y
      - .offset:         150
        .size:           2
        .value_kind:     hidden_remainder_z
      - .offset:         168
        .size:           8
        .value_kind:     hidden_global_offset_x
      - .offset:         176
        .size:           8
        .value_kind:     hidden_global_offset_y
      - .offset:         184
        .size:           8
        .value_kind:     hidden_global_offset_z
      - .offset:         192
        .size:           2
        .value_kind:     hidden_grid_dims
      - .offset:         248
        .size:           4
        .value_kind:     hidden_dynamic_lds_size
    .group_segment_fixed_size: 464
    .kernarg_segment_align: 8
    .kernarg_segment_size: 384
    .language:       OpenCL C
    .language_version:
      - 2
      - 0
    .max_flat_workgroup_size: 1024
    .name:           _ZN4vllm25paged_attention_v1_kernelIffLi112ELi16ELi128ELNS_18Fp8KVCacheDataTypeE0ELb0EEEvPT_PKS2_PKT0_S8_ifPKiSA_iPKfiiiSC_SC_iiiii
    .private_segment_fixed_size: 48
    .sgpr_count:     44
    .sgpr_spill_count: 0
    .symbol:         _ZN4vllm25paged_attention_v1_kernelIffLi112ELi16ELi128ELNS_18Fp8KVCacheDataTypeE0ELb0EEEvPT_PKS2_PKT0_S8_ifPKiSA_iPKfiiiSC_SC_iiiii.kd
    .uniform_work_group_size: 1
    .uses_dynamic_stack: false
    .vgpr_count:     64
    .vgpr_spill_count: 11
    .wavefront_size: 64
  - .args:
      - .actual_access:  write_only
        .address_space:  global
        .offset:         0
        .size:           8
        .value_kind:     global_buffer
      - .actual_access:  read_only
        .address_space:  global
        .offset:         8
        .size:           8
        .value_kind:     global_buffer
      - .actual_access:  read_only
        .address_space:  global
        .offset:         16
        .size:           8
        .value_kind:     global_buffer
      - .actual_access:  read_only
        .address_space:  global
        .offset:         24
        .size:           8
        .value_kind:     global_buffer
      - .offset:         32
        .size:           4
        .value_kind:     by_value
      - .offset:         36
        .size:           4
        .value_kind:     by_value
      - .actual_access:  read_only
        .address_space:  global
        .offset:         40
        .size:           8
        .value_kind:     global_buffer
      - .actual_access:  read_only
        .address_space:  global
        .offset:         48
        .size:           8
        .value_kind:     global_buffer
      - .offset:         56
        .size:           4
        .value_kind:     by_value
      - .actual_access:  read_only
        .address_space:  global
        .offset:         64
        .size:           8
        .value_kind:     global_buffer
      - .offset:         72
        .size:           4
        .value_kind:     by_value
      - .offset:         76
        .size:           4
        .value_kind:     by_value
      - .offset:         80
        .size:           4
        .value_kind:     by_value
      - .address_space:  global
        .offset:         88
        .size:           8
        .value_kind:     global_buffer
      - .address_space:  global
        .offset:         96
        .size:           8
        .value_kind:     global_buffer
      - .offset:         104
        .size:           4
        .value_kind:     by_value
      - .offset:         108
        .size:           4
        .value_kind:     by_value
      - .offset:         112
        .size:           4
        .value_kind:     by_value
      - .offset:         116
        .size:           4
        .value_kind:     by_value
      - .offset:         120
        .size:           4
        .value_kind:     by_value
      - .offset:         128
        .size:           4
        .value_kind:     hidden_block_count_x
      - .offset:         132
        .size:           4
        .value_kind:     hidden_block_count_y
      - .offset:         136
        .size:           4
        .value_kind:     hidden_block_count_z
      - .offset:         140
        .size:           2
        .value_kind:     hidden_group_size_x
      - .offset:         142
        .size:           2
        .value_kind:     hidden_group_size_y
      - .offset:         144
        .size:           2
        .value_kind:     hidden_group_size_z
      - .offset:         146
        .size:           2
        .value_kind:     hidden_remainder_x
      - .offset:         148
        .size:           2
        .value_kind:     hidden_remainder_y
      - .offset:         150
        .size:           2
        .value_kind:     hidden_remainder_z
      - .offset:         168
        .size:           8
        .value_kind:     hidden_global_offset_x
      - .offset:         176
        .size:           8
        .value_kind:     hidden_global_offset_y
      - .offset:         184
        .size:           8
        .value_kind:     hidden_global_offset_z
      - .offset:         192
        .size:           2
        .value_kind:     hidden_grid_dims
      - .offset:         248
        .size:           4
        .value_kind:     hidden_dynamic_lds_size
    .group_segment_fixed_size: 496
    .kernarg_segment_align: 8
    .kernarg_segment_size: 384
    .language:       OpenCL C
    .language_version:
      - 2
      - 0
    .max_flat_workgroup_size: 1024
    .name:           _ZN4vllm25paged_attention_v1_kernelIffLi120ELi16ELi128ELNS_18Fp8KVCacheDataTypeE0ELb0EEEvPT_PKS2_PKT0_S8_ifPKiSA_iPKfiiiSC_SC_iiiii
    .private_segment_fixed_size: 60
    .sgpr_count:     44
    .sgpr_spill_count: 0
    .symbol:         _ZN4vllm25paged_attention_v1_kernelIffLi120ELi16ELi128ELNS_18Fp8KVCacheDataTypeE0ELb0EEEvPT_PKS2_PKT0_S8_ifPKiSA_iPKfiiiSC_SC_iiiii.kd
    .uniform_work_group_size: 1
    .uses_dynamic_stack: false
    .vgpr_count:     64
    .vgpr_spill_count: 15
    .wavefront_size: 64
  - .args:
      - .actual_access:  write_only
        .address_space:  global
        .offset:         0
        .size:           8
        .value_kind:     global_buffer
      - .actual_access:  read_only
        .address_space:  global
        .offset:         8
        .size:           8
        .value_kind:     global_buffer
      - .actual_access:  read_only
        .address_space:  global
        .offset:         16
        .size:           8
        .value_kind:     global_buffer
      - .actual_access:  read_only
        .address_space:  global
        .offset:         24
        .size:           8
        .value_kind:     global_buffer
      - .offset:         32
        .size:           4
        .value_kind:     by_value
      - .offset:         36
        .size:           4
        .value_kind:     by_value
      - .actual_access:  read_only
        .address_space:  global
        .offset:         40
        .size:           8
        .value_kind:     global_buffer
      - .actual_access:  read_only
        .address_space:  global
        .offset:         48
        .size:           8
        .value_kind:     global_buffer
      - .offset:         56
        .size:           4
        .value_kind:     by_value
      - .actual_access:  read_only
        .address_space:  global
        .offset:         64
        .size:           8
        .value_kind:     global_buffer
      - .offset:         72
        .size:           4
        .value_kind:     by_value
      - .offset:         76
        .size:           4
        .value_kind:     by_value
      - .offset:         80
        .size:           4
        .value_kind:     by_value
      - .address_space:  global
        .offset:         88
        .size:           8
        .value_kind:     global_buffer
      - .address_space:  global
        .offset:         96
        .size:           8
        .value_kind:     global_buffer
      - .offset:         104
        .size:           4
        .value_kind:     by_value
      - .offset:         108
        .size:           4
        .value_kind:     by_value
      - .offset:         112
        .size:           4
        .value_kind:     by_value
      - .offset:         116
        .size:           4
        .value_kind:     by_value
      - .offset:         120
        .size:           4
        .value_kind:     by_value
      - .offset:         128
        .size:           4
        .value_kind:     hidden_block_count_x
      - .offset:         132
        .size:           4
        .value_kind:     hidden_block_count_y
      - .offset:         136
        .size:           4
        .value_kind:     hidden_block_count_z
      - .offset:         140
        .size:           2
        .value_kind:     hidden_group_size_x
      - .offset:         142
        .size:           2
        .value_kind:     hidden_group_size_y
      - .offset:         144
        .size:           2
        .value_kind:     hidden_group_size_z
      - .offset:         146
        .size:           2
        .value_kind:     hidden_remainder_x
      - .offset:         148
        .size:           2
        .value_kind:     hidden_remainder_y
      - .offset:         150
        .size:           2
        .value_kind:     hidden_remainder_z
      - .offset:         168
        .size:           8
        .value_kind:     hidden_global_offset_x
      - .offset:         176
        .size:           8
        .value_kind:     hidden_global_offset_y
      - .offset:         184
        .size:           8
        .value_kind:     hidden_global_offset_z
      - .offset:         192
        .size:           2
        .value_kind:     hidden_grid_dims
      - .offset:         248
        .size:           4
        .value_kind:     hidden_dynamic_lds_size
    .group_segment_fixed_size: 528
    .kernarg_segment_align: 8
    .kernarg_segment_size: 384
    .language:       OpenCL C
    .language_version:
      - 2
      - 0
    .max_flat_workgroup_size: 1024
    .name:           _ZN4vllm25paged_attention_v1_kernelIffLi128ELi16ELi128ELNS_18Fp8KVCacheDataTypeE0ELb0EEEvPT_PKS2_PKT0_S8_ifPKiSA_iPKfiiiSC_SC_iiiii
    .private_segment_fixed_size: 104
    .sgpr_count:     44
    .sgpr_spill_count: 0
    .symbol:         _ZN4vllm25paged_attention_v1_kernelIffLi128ELi16ELi128ELNS_18Fp8KVCacheDataTypeE0ELb0EEEvPT_PKS2_PKT0_S8_ifPKiSA_iPKfiiiSC_SC_iiiii.kd
    .uniform_work_group_size: 1
    .uses_dynamic_stack: false
    .vgpr_count:     64
    .vgpr_spill_count: 26
    .wavefront_size: 64
  - .args:
      - .actual_access:  write_only
        .address_space:  global
        .offset:         0
        .size:           8
        .value_kind:     global_buffer
      - .actual_access:  read_only
        .address_space:  global
        .offset:         8
        .size:           8
        .value_kind:     global_buffer
      - .actual_access:  read_only
        .address_space:  global
        .offset:         16
        .size:           8
        .value_kind:     global_buffer
      - .actual_access:  read_only
        .address_space:  global
        .offset:         24
        .size:           8
        .value_kind:     global_buffer
      - .offset:         32
        .size:           4
        .value_kind:     by_value
      - .offset:         36
        .size:           4
        .value_kind:     by_value
      - .actual_access:  read_only
        .address_space:  global
        .offset:         40
        .size:           8
        .value_kind:     global_buffer
      - .actual_access:  read_only
        .address_space:  global
        .offset:         48
        .size:           8
        .value_kind:     global_buffer
      - .offset:         56
        .size:           4
        .value_kind:     by_value
      - .actual_access:  read_only
        .address_space:  global
        .offset:         64
        .size:           8
        .value_kind:     global_buffer
      - .offset:         72
        .size:           4
        .value_kind:     by_value
      - .offset:         76
        .size:           4
        .value_kind:     by_value
      - .offset:         80
        .size:           4
        .value_kind:     by_value
      - .address_space:  global
        .offset:         88
        .size:           8
        .value_kind:     global_buffer
      - .address_space:  global
        .offset:         96
        .size:           8
        .value_kind:     global_buffer
      - .offset:         104
        .size:           4
        .value_kind:     by_value
      - .offset:         108
        .size:           4
        .value_kind:     by_value
      - .offset:         112
        .size:           4
        .value_kind:     by_value
      - .offset:         116
        .size:           4
        .value_kind:     by_value
      - .offset:         120
        .size:           4
        .value_kind:     by_value
      - .offset:         128
        .size:           4
        .value_kind:     hidden_block_count_x
      - .offset:         132
        .size:           4
        .value_kind:     hidden_block_count_y
      - .offset:         136
        .size:           4
        .value_kind:     hidden_block_count_z
      - .offset:         140
        .size:           2
        .value_kind:     hidden_group_size_x
      - .offset:         142
        .size:           2
        .value_kind:     hidden_group_size_y
      - .offset:         144
        .size:           2
        .value_kind:     hidden_group_size_z
      - .offset:         146
        .size:           2
        .value_kind:     hidden_remainder_x
      - .offset:         148
        .size:           2
        .value_kind:     hidden_remainder_y
      - .offset:         150
        .size:           2
        .value_kind:     hidden_remainder_z
      - .offset:         168
        .size:           8
        .value_kind:     hidden_global_offset_x
      - .offset:         176
        .size:           8
        .value_kind:     hidden_global_offset_y
      - .offset:         184
        .size:           8
        .value_kind:     hidden_global_offset_z
      - .offset:         192
        .size:           2
        .value_kind:     hidden_grid_dims
      - .offset:         248
        .size:           4
        .value_kind:     hidden_dynamic_lds_size
    .group_segment_fixed_size: 784
    .kernarg_segment_align: 8
    .kernarg_segment_size: 384
    .language:       OpenCL C
    .language_version:
      - 2
      - 0
    .max_flat_workgroup_size: 1024
    .name:           _ZN4vllm25paged_attention_v1_kernelIffLi192ELi16ELi128ELNS_18Fp8KVCacheDataTypeE0ELb0EEEvPT_PKS2_PKT0_S8_ifPKiSA_iPKfiiiSC_SC_iiiii
    .private_segment_fixed_size: 232
    .sgpr_count:     44
    .sgpr_spill_count: 0
    .symbol:         _ZN4vllm25paged_attention_v1_kernelIffLi192ELi16ELi128ELNS_18Fp8KVCacheDataTypeE0ELb0EEEvPT_PKS2_PKT0_S8_ifPKiSA_iPKfiiiSC_SC_iiiii.kd
    .uniform_work_group_size: 1
    .uses_dynamic_stack: false
    .vgpr_count:     64
    .vgpr_spill_count: 75
    .wavefront_size: 64
  - .args:
      - .actual_access:  write_only
        .address_space:  global
        .offset:         0
        .size:           8
        .value_kind:     global_buffer
      - .actual_access:  read_only
        .address_space:  global
        .offset:         8
        .size:           8
        .value_kind:     global_buffer
      - .actual_access:  read_only
        .address_space:  global
        .offset:         16
        .size:           8
        .value_kind:     global_buffer
      - .actual_access:  read_only
        .address_space:  global
        .offset:         24
        .size:           8
        .value_kind:     global_buffer
      - .offset:         32
        .size:           4
        .value_kind:     by_value
      - .offset:         36
        .size:           4
        .value_kind:     by_value
      - .actual_access:  read_only
        .address_space:  global
        .offset:         40
        .size:           8
        .value_kind:     global_buffer
      - .actual_access:  read_only
        .address_space:  global
        .offset:         48
        .size:           8
        .value_kind:     global_buffer
      - .offset:         56
        .size:           4
        .value_kind:     by_value
      - .actual_access:  read_only
        .address_space:  global
        .offset:         64
        .size:           8
        .value_kind:     global_buffer
      - .offset:         72
        .size:           4
        .value_kind:     by_value
      - .offset:         76
        .size:           4
        .value_kind:     by_value
      - .offset:         80
        .size:           4
        .value_kind:     by_value
      - .address_space:  global
        .offset:         88
        .size:           8
        .value_kind:     global_buffer
      - .address_space:  global
        .offset:         96
        .size:           8
        .value_kind:     global_buffer
      - .offset:         104
        .size:           4
        .value_kind:     by_value
      - .offset:         108
        .size:           4
        .value_kind:     by_value
      - .offset:         112
        .size:           4
        .value_kind:     by_value
      - .offset:         116
        .size:           4
        .value_kind:     by_value
      - .offset:         120
        .size:           4
        .value_kind:     by_value
      - .offset:         128
        .size:           4
        .value_kind:     hidden_block_count_x
      - .offset:         132
        .size:           4
        .value_kind:     hidden_block_count_y
      - .offset:         136
        .size:           4
        .value_kind:     hidden_block_count_z
      - .offset:         140
        .size:           2
        .value_kind:     hidden_group_size_x
      - .offset:         142
        .size:           2
        .value_kind:     hidden_group_size_y
      - .offset:         144
        .size:           2
        .value_kind:     hidden_group_size_z
      - .offset:         146
        .size:           2
        .value_kind:     hidden_remainder_x
      - .offset:         148
        .size:           2
        .value_kind:     hidden_remainder_y
      - .offset:         150
        .size:           2
        .value_kind:     hidden_remainder_z
      - .offset:         168
        .size:           8
        .value_kind:     hidden_global_offset_x
      - .offset:         176
        .size:           8
        .value_kind:     hidden_global_offset_y
      - .offset:         184
        .size:           8
        .value_kind:     hidden_global_offset_z
      - .offset:         192
        .size:           2
        .value_kind:     hidden_grid_dims
      - .offset:         248
        .size:           4
        .value_kind:     hidden_dynamic_lds_size
    .group_segment_fixed_size: 1040
    .kernarg_segment_align: 8
    .kernarg_segment_size: 384
    .language:       OpenCL C
    .language_version:
      - 2
      - 0
    .max_flat_workgroup_size: 1024
    .name:           _ZN4vllm25paged_attention_v1_kernelIffLi256ELi16ELi128ELNS_18Fp8KVCacheDataTypeE0ELb0EEEvPT_PKS2_PKT0_S8_ifPKiSA_iPKfiiiSC_SC_iiiii
    .private_segment_fixed_size: 392
    .sgpr_count:     48
    .sgpr_spill_count: 0
    .symbol:         _ZN4vllm25paged_attention_v1_kernelIffLi256ELi16ELi128ELNS_18Fp8KVCacheDataTypeE0ELb0EEEvPT_PKS2_PKT0_S8_ifPKiSA_iPKfiiiSC_SC_iiiii.kd
    .uniform_work_group_size: 1
    .uses_dynamic_stack: false
    .vgpr_count:     64
    .vgpr_spill_count: 148
    .wavefront_size: 64
  - .args:
      - .actual_access:  write_only
        .address_space:  global
        .offset:         0
        .size:           8
        .value_kind:     global_buffer
      - .actual_access:  read_only
        .address_space:  global
        .offset:         8
        .size:           8
        .value_kind:     global_buffer
      - .actual_access:  read_only
        .address_space:  global
        .offset:         16
        .size:           8
        .value_kind:     global_buffer
      - .actual_access:  read_only
        .address_space:  global
        .offset:         24
        .size:           8
        .value_kind:     global_buffer
      - .offset:         32
        .size:           4
        .value_kind:     by_value
      - .offset:         36
        .size:           4
        .value_kind:     by_value
      - .actual_access:  read_only
        .address_space:  global
        .offset:         40
        .size:           8
        .value_kind:     global_buffer
      - .actual_access:  read_only
        .address_space:  global
        .offset:         48
        .size:           8
        .value_kind:     global_buffer
      - .offset:         56
        .size:           4
        .value_kind:     by_value
      - .actual_access:  read_only
        .address_space:  global
        .offset:         64
        .size:           8
        .value_kind:     global_buffer
      - .offset:         72
        .size:           4
        .value_kind:     by_value
      - .offset:         76
        .size:           4
        .value_kind:     by_value
      - .offset:         80
        .size:           4
        .value_kind:     by_value
      - .address_space:  global
        .offset:         88
        .size:           8
        .value_kind:     global_buffer
      - .address_space:  global
        .offset:         96
        .size:           8
        .value_kind:     global_buffer
      - .offset:         104
        .size:           4
        .value_kind:     by_value
      - .offset:         108
        .size:           4
        .value_kind:     by_value
      - .offset:         112
        .size:           4
        .value_kind:     by_value
      - .offset:         116
        .size:           4
        .value_kind:     by_value
      - .offset:         120
        .size:           4
        .value_kind:     by_value
      - .offset:         128
        .size:           4
        .value_kind:     hidden_block_count_x
      - .offset:         132
        .size:           4
        .value_kind:     hidden_block_count_y
      - .offset:         136
        .size:           4
        .value_kind:     hidden_block_count_z
      - .offset:         140
        .size:           2
        .value_kind:     hidden_group_size_x
      - .offset:         142
        .size:           2
        .value_kind:     hidden_group_size_y
      - .offset:         144
        .size:           2
        .value_kind:     hidden_group_size_z
      - .offset:         146
        .size:           2
        .value_kind:     hidden_remainder_x
      - .offset:         148
        .size:           2
        .value_kind:     hidden_remainder_y
      - .offset:         150
        .size:           2
        .value_kind:     hidden_remainder_z
      - .offset:         168
        .size:           8
        .value_kind:     hidden_global_offset_x
      - .offset:         176
        .size:           8
        .value_kind:     hidden_global_offset_y
      - .offset:         184
        .size:           8
        .value_kind:     hidden_global_offset_z
      - .offset:         192
        .size:           2
        .value_kind:     hidden_grid_dims
      - .offset:         248
        .size:           4
        .value_kind:     hidden_dynamic_lds_size
    .group_segment_fixed_size: 144
    .kernarg_segment_align: 8
    .kernarg_segment_size: 384
    .language:       OpenCL C
    .language_version:
      - 2
      - 0
    .max_flat_workgroup_size: 1024
    .name:           _ZN4vllm25paged_attention_v1_kernelIffLi32ELi32ELi128ELNS_18Fp8KVCacheDataTypeE0ELb1EEEvPT_PKS2_PKT0_S8_ifPKiSA_iPKfiiiSC_SC_iiiii
    .private_segment_fixed_size: 0
    .sgpr_count:     48
    .sgpr_spill_count: 0
    .symbol:         _ZN4vllm25paged_attention_v1_kernelIffLi32ELi32ELi128ELNS_18Fp8KVCacheDataTypeE0ELb1EEEvPT_PKS2_PKT0_S8_ifPKiSA_iPKfiiiSC_SC_iiiii.kd
    .uniform_work_group_size: 1
    .uses_dynamic_stack: false
    .vgpr_count:     55
    .vgpr_spill_count: 0
    .wavefront_size: 64
  - .args:
      - .actual_access:  write_only
        .address_space:  global
        .offset:         0
        .size:           8
        .value_kind:     global_buffer
      - .actual_access:  read_only
        .address_space:  global
        .offset:         8
        .size:           8
        .value_kind:     global_buffer
      - .actual_access:  read_only
        .address_space:  global
        .offset:         16
        .size:           8
        .value_kind:     global_buffer
      - .actual_access:  read_only
        .address_space:  global
        .offset:         24
        .size:           8
        .value_kind:     global_buffer
      - .offset:         32
        .size:           4
        .value_kind:     by_value
      - .offset:         36
        .size:           4
        .value_kind:     by_value
      - .actual_access:  read_only
        .address_space:  global
        .offset:         40
        .size:           8
        .value_kind:     global_buffer
      - .actual_access:  read_only
        .address_space:  global
        .offset:         48
        .size:           8
        .value_kind:     global_buffer
      - .offset:         56
        .size:           4
        .value_kind:     by_value
      - .actual_access:  read_only
        .address_space:  global
        .offset:         64
        .size:           8
        .value_kind:     global_buffer
      - .offset:         72
        .size:           4
        .value_kind:     by_value
      - .offset:         76
        .size:           4
        .value_kind:     by_value
      - .offset:         80
        .size:           4
        .value_kind:     by_value
      - .address_space:  global
        .offset:         88
        .size:           8
        .value_kind:     global_buffer
      - .address_space:  global
        .offset:         96
        .size:           8
        .value_kind:     global_buffer
      - .offset:         104
        .size:           4
        .value_kind:     by_value
      - .offset:         108
        .size:           4
        .value_kind:     by_value
      - .offset:         112
        .size:           4
        .value_kind:     by_value
      - .offset:         116
        .size:           4
        .value_kind:     by_value
      - .offset:         120
        .size:           4
        .value_kind:     by_value
      - .offset:         128
        .size:           4
        .value_kind:     hidden_block_count_x
      - .offset:         132
        .size:           4
        .value_kind:     hidden_block_count_y
      - .offset:         136
        .size:           4
        .value_kind:     hidden_block_count_z
      - .offset:         140
        .size:           2
        .value_kind:     hidden_group_size_x
      - .offset:         142
        .size:           2
        .value_kind:     hidden_group_size_y
      - .offset:         144
        .size:           2
        .value_kind:     hidden_group_size_z
      - .offset:         146
        .size:           2
        .value_kind:     hidden_remainder_x
      - .offset:         148
        .size:           2
        .value_kind:     hidden_remainder_y
      - .offset:         150
        .size:           2
        .value_kind:     hidden_remainder_z
      - .offset:         168
        .size:           8
        .value_kind:     hidden_global_offset_x
      - .offset:         176
        .size:           8
        .value_kind:     hidden_global_offset_y
      - .offset:         184
        .size:           8
        .value_kind:     hidden_global_offset_z
      - .offset:         192
        .size:           2
        .value_kind:     hidden_grid_dims
      - .offset:         248
        .size:           4
        .value_kind:     hidden_dynamic_lds_size
    .group_segment_fixed_size: 272
    .kernarg_segment_align: 8
    .kernarg_segment_size: 384
    .language:       OpenCL C
    .language_version:
      - 2
      - 0
    .max_flat_workgroup_size: 1024
    .name:           _ZN4vllm25paged_attention_v1_kernelIffLi64ELi32ELi128ELNS_18Fp8KVCacheDataTypeE0ELb1EEEvPT_PKS2_PKT0_S8_ifPKiSA_iPKfiiiSC_SC_iiiii
    .private_segment_fixed_size: 0
    .sgpr_count:     49
    .sgpr_spill_count: 0
    .symbol:         _ZN4vllm25paged_attention_v1_kernelIffLi64ELi32ELi128ELNS_18Fp8KVCacheDataTypeE0ELb1EEEvPT_PKS2_PKT0_S8_ifPKiSA_iPKfiiiSC_SC_iiiii.kd
    .uniform_work_group_size: 1
    .uses_dynamic_stack: false
    .vgpr_count:     63
    .vgpr_spill_count: 0
    .wavefront_size: 64
  - .args:
      - .actual_access:  write_only
        .address_space:  global
        .offset:         0
        .size:           8
        .value_kind:     global_buffer
      - .actual_access:  read_only
        .address_space:  global
        .offset:         8
        .size:           8
        .value_kind:     global_buffer
      - .actual_access:  read_only
        .address_space:  global
        .offset:         16
        .size:           8
        .value_kind:     global_buffer
      - .actual_access:  read_only
        .address_space:  global
        .offset:         24
        .size:           8
        .value_kind:     global_buffer
      - .offset:         32
        .size:           4
        .value_kind:     by_value
      - .offset:         36
        .size:           4
        .value_kind:     by_value
      - .actual_access:  read_only
        .address_space:  global
        .offset:         40
        .size:           8
        .value_kind:     global_buffer
      - .actual_access:  read_only
        .address_space:  global
        .offset:         48
        .size:           8
        .value_kind:     global_buffer
      - .offset:         56
        .size:           4
        .value_kind:     by_value
      - .actual_access:  read_only
        .address_space:  global
        .offset:         64
        .size:           8
        .value_kind:     global_buffer
      - .offset:         72
        .size:           4
        .value_kind:     by_value
      - .offset:         76
        .size:           4
        .value_kind:     by_value
      - .offset:         80
        .size:           4
        .value_kind:     by_value
      - .address_space:  global
        .offset:         88
        .size:           8
        .value_kind:     global_buffer
      - .address_space:  global
        .offset:         96
        .size:           8
        .value_kind:     global_buffer
      - .offset:         104
        .size:           4
        .value_kind:     by_value
      - .offset:         108
        .size:           4
        .value_kind:     by_value
      - .offset:         112
        .size:           4
        .value_kind:     by_value
      - .offset:         116
        .size:           4
        .value_kind:     by_value
      - .offset:         120
        .size:           4
        .value_kind:     by_value
      - .offset:         128
        .size:           4
        .value_kind:     hidden_block_count_x
      - .offset:         132
        .size:           4
        .value_kind:     hidden_block_count_y
      - .offset:         136
        .size:           4
        .value_kind:     hidden_block_count_z
      - .offset:         140
        .size:           2
        .value_kind:     hidden_group_size_x
      - .offset:         142
        .size:           2
        .value_kind:     hidden_group_size_y
      - .offset:         144
        .size:           2
        .value_kind:     hidden_group_size_z
      - .offset:         146
        .size:           2
        .value_kind:     hidden_remainder_x
      - .offset:         148
        .size:           2
        .value_kind:     hidden_remainder_y
      - .offset:         150
        .size:           2
        .value_kind:     hidden_remainder_z
      - .offset:         168
        .size:           8
        .value_kind:     hidden_global_offset_x
      - .offset:         176
        .size:           8
        .value_kind:     hidden_global_offset_y
      - .offset:         184
        .size:           8
        .value_kind:     hidden_global_offset_z
      - .offset:         192
        .size:           2
        .value_kind:     hidden_grid_dims
      - .offset:         248
        .size:           4
        .value_kind:     hidden_dynamic_lds_size
    .group_segment_fixed_size: 336
    .kernarg_segment_align: 8
    .kernarg_segment_size: 384
    .language:       OpenCL C
    .language_version:
      - 2
      - 0
    .max_flat_workgroup_size: 1024
    .name:           _ZN4vllm25paged_attention_v1_kernelIffLi80ELi32ELi128ELNS_18Fp8KVCacheDataTypeE0ELb1EEEvPT_PKS2_PKT0_S8_ifPKiSA_iPKfiiiSC_SC_iiiii
    .private_segment_fixed_size: 40
    .sgpr_count:     56
    .sgpr_spill_count: 0
    .symbol:         _ZN4vllm25paged_attention_v1_kernelIffLi80ELi32ELi128ELNS_18Fp8KVCacheDataTypeE0ELb1EEEvPT_PKS2_PKT0_S8_ifPKiSA_iPKfiiiSC_SC_iiiii.kd
    .uniform_work_group_size: 1
    .uses_dynamic_stack: false
    .vgpr_count:     64
    .vgpr_spill_count: 9
    .wavefront_size: 64
  - .args:
      - .actual_access:  write_only
        .address_space:  global
        .offset:         0
        .size:           8
        .value_kind:     global_buffer
      - .actual_access:  read_only
        .address_space:  global
        .offset:         8
        .size:           8
        .value_kind:     global_buffer
      - .actual_access:  read_only
        .address_space:  global
        .offset:         16
        .size:           8
        .value_kind:     global_buffer
      - .actual_access:  read_only
        .address_space:  global
        .offset:         24
        .size:           8
        .value_kind:     global_buffer
      - .offset:         32
        .size:           4
        .value_kind:     by_value
      - .offset:         36
        .size:           4
        .value_kind:     by_value
      - .actual_access:  read_only
        .address_space:  global
        .offset:         40
        .size:           8
        .value_kind:     global_buffer
      - .actual_access:  read_only
        .address_space:  global
        .offset:         48
        .size:           8
        .value_kind:     global_buffer
      - .offset:         56
        .size:           4
        .value_kind:     by_value
      - .actual_access:  read_only
        .address_space:  global
        .offset:         64
        .size:           8
        .value_kind:     global_buffer
      - .offset:         72
        .size:           4
        .value_kind:     by_value
      - .offset:         76
        .size:           4
        .value_kind:     by_value
      - .offset:         80
        .size:           4
        .value_kind:     by_value
      - .address_space:  global
        .offset:         88
        .size:           8
        .value_kind:     global_buffer
      - .address_space:  global
        .offset:         96
        .size:           8
        .value_kind:     global_buffer
      - .offset:         104
        .size:           4
        .value_kind:     by_value
      - .offset:         108
        .size:           4
        .value_kind:     by_value
      - .offset:         112
        .size:           4
        .value_kind:     by_value
      - .offset:         116
        .size:           4
        .value_kind:     by_value
      - .offset:         120
        .size:           4
        .value_kind:     by_value
      - .offset:         128
        .size:           4
        .value_kind:     hidden_block_count_x
      - .offset:         132
        .size:           4
        .value_kind:     hidden_block_count_y
      - .offset:         136
        .size:           4
        .value_kind:     hidden_block_count_z
      - .offset:         140
        .size:           2
        .value_kind:     hidden_group_size_x
      - .offset:         142
        .size:           2
        .value_kind:     hidden_group_size_y
      - .offset:         144
        .size:           2
        .value_kind:     hidden_group_size_z
      - .offset:         146
        .size:           2
        .value_kind:     hidden_remainder_x
      - .offset:         148
        .size:           2
        .value_kind:     hidden_remainder_y
      - .offset:         150
        .size:           2
        .value_kind:     hidden_remainder_z
      - .offset:         168
        .size:           8
        .value_kind:     hidden_global_offset_x
      - .offset:         176
        .size:           8
        .value_kind:     hidden_global_offset_y
      - .offset:         184
        .size:           8
        .value_kind:     hidden_global_offset_z
      - .offset:         192
        .size:           2
        .value_kind:     hidden_grid_dims
      - .offset:         248
        .size:           4
        .value_kind:     hidden_dynamic_lds_size
    .group_segment_fixed_size: 400
    .kernarg_segment_align: 8
    .kernarg_segment_size: 384
    .language:       OpenCL C
    .language_version:
      - 2
      - 0
    .max_flat_workgroup_size: 1024
    .name:           _ZN4vllm25paged_attention_v1_kernelIffLi96ELi32ELi128ELNS_18Fp8KVCacheDataTypeE0ELb1EEEvPT_PKS2_PKT0_S8_ifPKiSA_iPKfiiiSC_SC_iiiii
    .private_segment_fixed_size: 80
    .sgpr_count:     56
    .sgpr_spill_count: 0
    .symbol:         _ZN4vllm25paged_attention_v1_kernelIffLi96ELi32ELi128ELNS_18Fp8KVCacheDataTypeE0ELb1EEEvPT_PKS2_PKT0_S8_ifPKiSA_iPKfiiiSC_SC_iiiii.kd
    .uniform_work_group_size: 1
    .uses_dynamic_stack: false
    .vgpr_count:     64
    .vgpr_spill_count: 28
    .wavefront_size: 64
  - .args:
      - .actual_access:  write_only
        .address_space:  global
        .offset:         0
        .size:           8
        .value_kind:     global_buffer
      - .actual_access:  read_only
        .address_space:  global
        .offset:         8
        .size:           8
        .value_kind:     global_buffer
      - .actual_access:  read_only
        .address_space:  global
        .offset:         16
        .size:           8
        .value_kind:     global_buffer
      - .actual_access:  read_only
        .address_space:  global
        .offset:         24
        .size:           8
        .value_kind:     global_buffer
      - .offset:         32
        .size:           4
        .value_kind:     by_value
      - .offset:         36
        .size:           4
        .value_kind:     by_value
      - .actual_access:  read_only
        .address_space:  global
        .offset:         40
        .size:           8
        .value_kind:     global_buffer
      - .actual_access:  read_only
        .address_space:  global
        .offset:         48
        .size:           8
        .value_kind:     global_buffer
      - .offset:         56
        .size:           4
        .value_kind:     by_value
      - .actual_access:  read_only
        .address_space:  global
        .offset:         64
        .size:           8
        .value_kind:     global_buffer
      - .offset:         72
        .size:           4
        .value_kind:     by_value
      - .offset:         76
        .size:           4
        .value_kind:     by_value
      - .offset:         80
        .size:           4
        .value_kind:     by_value
      - .address_space:  global
        .offset:         88
        .size:           8
        .value_kind:     global_buffer
      - .address_space:  global
        .offset:         96
        .size:           8
        .value_kind:     global_buffer
      - .offset:         104
        .size:           4
        .value_kind:     by_value
      - .offset:         108
        .size:           4
        .value_kind:     by_value
      - .offset:         112
        .size:           4
        .value_kind:     by_value
      - .offset:         116
        .size:           4
        .value_kind:     by_value
      - .offset:         120
        .size:           4
        .value_kind:     by_value
      - .offset:         128
        .size:           4
        .value_kind:     hidden_block_count_x
      - .offset:         132
        .size:           4
        .value_kind:     hidden_block_count_y
      - .offset:         136
        .size:           4
        .value_kind:     hidden_block_count_z
      - .offset:         140
        .size:           2
        .value_kind:     hidden_group_size_x
      - .offset:         142
        .size:           2
        .value_kind:     hidden_group_size_y
      - .offset:         144
        .size:           2
        .value_kind:     hidden_group_size_z
      - .offset:         146
        .size:           2
        .value_kind:     hidden_remainder_x
      - .offset:         148
        .size:           2
        .value_kind:     hidden_remainder_y
      - .offset:         150
        .size:           2
        .value_kind:     hidden_remainder_z
      - .offset:         168
        .size:           8
        .value_kind:     hidden_global_offset_x
      - .offset:         176
        .size:           8
        .value_kind:     hidden_global_offset_y
      - .offset:         184
        .size:           8
        .value_kind:     hidden_global_offset_z
      - .offset:         192
        .size:           2
        .value_kind:     hidden_grid_dims
      - .offset:         248
        .size:           4
        .value_kind:     hidden_dynamic_lds_size
    .group_segment_fixed_size: 464
    .kernarg_segment_align: 8
    .kernarg_segment_size: 384
    .language:       OpenCL C
    .language_version:
      - 2
      - 0
    .max_flat_workgroup_size: 1024
    .name:           _ZN4vllm25paged_attention_v1_kernelIffLi112ELi32ELi128ELNS_18Fp8KVCacheDataTypeE0ELb1EEEvPT_PKS2_PKT0_S8_ifPKiSA_iPKfiiiSC_SC_iiiii
    .private_segment_fixed_size: 140
    .sgpr_count:     56
    .sgpr_spill_count: 0
    .symbol:         _ZN4vllm25paged_attention_v1_kernelIffLi112ELi32ELi128ELNS_18Fp8KVCacheDataTypeE0ELb1EEEvPT_PKS2_PKT0_S8_ifPKiSA_iPKfiiiSC_SC_iiiii.kd
    .uniform_work_group_size: 1
    .uses_dynamic_stack: false
    .vgpr_count:     64
    .vgpr_spill_count: 55
    .wavefront_size: 64
  - .args:
      - .actual_access:  write_only
        .address_space:  global
        .offset:         0
        .size:           8
        .value_kind:     global_buffer
      - .actual_access:  read_only
        .address_space:  global
        .offset:         8
        .size:           8
        .value_kind:     global_buffer
      - .actual_access:  read_only
        .address_space:  global
        .offset:         16
        .size:           8
        .value_kind:     global_buffer
      - .actual_access:  read_only
        .address_space:  global
        .offset:         24
        .size:           8
        .value_kind:     global_buffer
      - .offset:         32
        .size:           4
        .value_kind:     by_value
      - .offset:         36
        .size:           4
        .value_kind:     by_value
      - .actual_access:  read_only
        .address_space:  global
        .offset:         40
        .size:           8
        .value_kind:     global_buffer
      - .actual_access:  read_only
        .address_space:  global
        .offset:         48
        .size:           8
        .value_kind:     global_buffer
      - .offset:         56
        .size:           4
        .value_kind:     by_value
      - .actual_access:  read_only
        .address_space:  global
        .offset:         64
        .size:           8
        .value_kind:     global_buffer
      - .offset:         72
        .size:           4
        .value_kind:     by_value
      - .offset:         76
        .size:           4
        .value_kind:     by_value
      - .offset:         80
        .size:           4
        .value_kind:     by_value
      - .address_space:  global
        .offset:         88
        .size:           8
        .value_kind:     global_buffer
      - .address_space:  global
        .offset:         96
        .size:           8
        .value_kind:     global_buffer
      - .offset:         104
        .size:           4
        .value_kind:     by_value
      - .offset:         108
        .size:           4
        .value_kind:     by_value
      - .offset:         112
        .size:           4
        .value_kind:     by_value
      - .offset:         116
        .size:           4
        .value_kind:     by_value
      - .offset:         120
        .size:           4
        .value_kind:     by_value
      - .offset:         128
        .size:           4
        .value_kind:     hidden_block_count_x
      - .offset:         132
        .size:           4
        .value_kind:     hidden_block_count_y
      - .offset:         136
        .size:           4
        .value_kind:     hidden_block_count_z
      - .offset:         140
        .size:           2
        .value_kind:     hidden_group_size_x
      - .offset:         142
        .size:           2
        .value_kind:     hidden_group_size_y
      - .offset:         144
        .size:           2
        .value_kind:     hidden_group_size_z
      - .offset:         146
        .size:           2
        .value_kind:     hidden_remainder_x
      - .offset:         148
        .size:           2
        .value_kind:     hidden_remainder_y
      - .offset:         150
        .size:           2
        .value_kind:     hidden_remainder_z
      - .offset:         168
        .size:           8
        .value_kind:     hidden_global_offset_x
      - .offset:         176
        .size:           8
        .value_kind:     hidden_global_offset_y
      - .offset:         184
        .size:           8
        .value_kind:     hidden_global_offset_z
      - .offset:         192
        .size:           2
        .value_kind:     hidden_grid_dims
      - .offset:         248
        .size:           4
        .value_kind:     hidden_dynamic_lds_size
    .group_segment_fixed_size: 496
    .kernarg_segment_align: 8
    .kernarg_segment_size: 384
    .language:       OpenCL C
    .language_version:
      - 2
      - 0
    .max_flat_workgroup_size: 1024
    .name:           _ZN4vllm25paged_attention_v1_kernelIffLi120ELi32ELi128ELNS_18Fp8KVCacheDataTypeE0ELb1EEEvPT_PKS2_PKT0_S8_ifPKiSA_iPKfiiiSC_SC_iiiii
    .private_segment_fixed_size: 160
    .sgpr_count:     56
    .sgpr_spill_count: 0
    .symbol:         _ZN4vllm25paged_attention_v1_kernelIffLi120ELi32ELi128ELNS_18Fp8KVCacheDataTypeE0ELb1EEEvPT_PKS2_PKT0_S8_ifPKiSA_iPKfiiiSC_SC_iiiii.kd
    .uniform_work_group_size: 1
    .uses_dynamic_stack: false
    .vgpr_count:     64
    .vgpr_spill_count: 65
    .wavefront_size: 64
  - .args:
      - .actual_access:  write_only
        .address_space:  global
        .offset:         0
        .size:           8
        .value_kind:     global_buffer
      - .actual_access:  read_only
        .address_space:  global
        .offset:         8
        .size:           8
        .value_kind:     global_buffer
      - .actual_access:  read_only
        .address_space:  global
        .offset:         16
        .size:           8
        .value_kind:     global_buffer
      - .actual_access:  read_only
        .address_space:  global
        .offset:         24
        .size:           8
        .value_kind:     global_buffer
      - .offset:         32
        .size:           4
        .value_kind:     by_value
      - .offset:         36
        .size:           4
        .value_kind:     by_value
      - .actual_access:  read_only
        .address_space:  global
        .offset:         40
        .size:           8
        .value_kind:     global_buffer
      - .actual_access:  read_only
        .address_space:  global
        .offset:         48
        .size:           8
        .value_kind:     global_buffer
      - .offset:         56
        .size:           4
        .value_kind:     by_value
      - .actual_access:  read_only
        .address_space:  global
        .offset:         64
        .size:           8
        .value_kind:     global_buffer
      - .offset:         72
        .size:           4
        .value_kind:     by_value
      - .offset:         76
        .size:           4
        .value_kind:     by_value
      - .offset:         80
        .size:           4
        .value_kind:     by_value
      - .address_space:  global
        .offset:         88
        .size:           8
        .value_kind:     global_buffer
      - .address_space:  global
        .offset:         96
        .size:           8
        .value_kind:     global_buffer
      - .offset:         104
        .size:           4
        .value_kind:     by_value
      - .offset:         108
        .size:           4
        .value_kind:     by_value
      - .offset:         112
        .size:           4
        .value_kind:     by_value
      - .offset:         116
        .size:           4
        .value_kind:     by_value
      - .offset:         120
        .size:           4
        .value_kind:     by_value
      - .offset:         128
        .size:           4
        .value_kind:     hidden_block_count_x
      - .offset:         132
        .size:           4
        .value_kind:     hidden_block_count_y
      - .offset:         136
        .size:           4
        .value_kind:     hidden_block_count_z
      - .offset:         140
        .size:           2
        .value_kind:     hidden_group_size_x
      - .offset:         142
        .size:           2
        .value_kind:     hidden_group_size_y
      - .offset:         144
        .size:           2
        .value_kind:     hidden_group_size_z
      - .offset:         146
        .size:           2
        .value_kind:     hidden_remainder_x
      - .offset:         148
        .size:           2
        .value_kind:     hidden_remainder_y
      - .offset:         150
        .size:           2
        .value_kind:     hidden_remainder_z
      - .offset:         168
        .size:           8
        .value_kind:     hidden_global_offset_x
      - .offset:         176
        .size:           8
        .value_kind:     hidden_global_offset_y
      - .offset:         184
        .size:           8
        .value_kind:     hidden_global_offset_z
      - .offset:         192
        .size:           2
        .value_kind:     hidden_grid_dims
      - .offset:         248
        .size:           4
        .value_kind:     hidden_dynamic_lds_size
    .group_segment_fixed_size: 528
    .kernarg_segment_align: 8
    .kernarg_segment_size: 384
    .language:       OpenCL C
    .language_version:
      - 2
      - 0
    .max_flat_workgroup_size: 1024
    .name:           _ZN4vllm25paged_attention_v1_kernelIffLi128ELi32ELi128ELNS_18Fp8KVCacheDataTypeE0ELb1EEEvPT_PKS2_PKT0_S8_ifPKiSA_iPKfiiiSC_SC_iiiii
    .private_segment_fixed_size: 168
    .sgpr_count:     60
    .sgpr_spill_count: 0
    .symbol:         _ZN4vllm25paged_attention_v1_kernelIffLi128ELi32ELi128ELNS_18Fp8KVCacheDataTypeE0ELb1EEEvPT_PKS2_PKT0_S8_ifPKiSA_iPKfiiiSC_SC_iiiii.kd
    .uniform_work_group_size: 1
    .uses_dynamic_stack: false
    .vgpr_count:     64
    .vgpr_spill_count: 70
    .wavefront_size: 64
  - .args:
      - .actual_access:  write_only
        .address_space:  global
        .offset:         0
        .size:           8
        .value_kind:     global_buffer
      - .actual_access:  read_only
        .address_space:  global
        .offset:         8
        .size:           8
        .value_kind:     global_buffer
      - .actual_access:  read_only
        .address_space:  global
        .offset:         16
        .size:           8
        .value_kind:     global_buffer
      - .actual_access:  read_only
        .address_space:  global
        .offset:         24
        .size:           8
        .value_kind:     global_buffer
      - .offset:         32
        .size:           4
        .value_kind:     by_value
      - .offset:         36
        .size:           4
        .value_kind:     by_value
      - .actual_access:  read_only
        .address_space:  global
        .offset:         40
        .size:           8
        .value_kind:     global_buffer
      - .actual_access:  read_only
        .address_space:  global
        .offset:         48
        .size:           8
        .value_kind:     global_buffer
      - .offset:         56
        .size:           4
        .value_kind:     by_value
      - .actual_access:  read_only
        .address_space:  global
        .offset:         64
        .size:           8
        .value_kind:     global_buffer
      - .offset:         72
        .size:           4
        .value_kind:     by_value
      - .offset:         76
        .size:           4
        .value_kind:     by_value
      - .offset:         80
        .size:           4
        .value_kind:     by_value
      - .address_space:  global
        .offset:         88
        .size:           8
        .value_kind:     global_buffer
      - .address_space:  global
        .offset:         96
        .size:           8
        .value_kind:     global_buffer
      - .offset:         104
        .size:           4
        .value_kind:     by_value
      - .offset:         108
        .size:           4
        .value_kind:     by_value
      - .offset:         112
        .size:           4
        .value_kind:     by_value
      - .offset:         116
        .size:           4
        .value_kind:     by_value
      - .offset:         120
        .size:           4
        .value_kind:     by_value
      - .offset:         128
        .size:           4
        .value_kind:     hidden_block_count_x
      - .offset:         132
        .size:           4
        .value_kind:     hidden_block_count_y
      - .offset:         136
        .size:           4
        .value_kind:     hidden_block_count_z
      - .offset:         140
        .size:           2
        .value_kind:     hidden_group_size_x
      - .offset:         142
        .size:           2
        .value_kind:     hidden_group_size_y
      - .offset:         144
        .size:           2
        .value_kind:     hidden_group_size_z
      - .offset:         146
        .size:           2
        .value_kind:     hidden_remainder_x
      - .offset:         148
        .size:           2
        .value_kind:     hidden_remainder_y
      - .offset:         150
        .size:           2
        .value_kind:     hidden_remainder_z
      - .offset:         168
        .size:           8
        .value_kind:     hidden_global_offset_x
      - .offset:         176
        .size:           8
        .value_kind:     hidden_global_offset_y
      - .offset:         184
        .size:           8
        .value_kind:     hidden_global_offset_z
      - .offset:         192
        .size:           2
        .value_kind:     hidden_grid_dims
      - .offset:         248
        .size:           4
        .value_kind:     hidden_dynamic_lds_size
    .group_segment_fixed_size: 784
    .kernarg_segment_align: 8
    .kernarg_segment_size: 384
    .language:       OpenCL C
    .language_version:
      - 2
      - 0
    .max_flat_workgroup_size: 1024
    .name:           _ZN4vllm25paged_attention_v1_kernelIffLi192ELi32ELi128ELNS_18Fp8KVCacheDataTypeE0ELb1EEEvPT_PKS2_PKT0_S8_ifPKiSA_iPKfiiiSC_SC_iiiii
    .private_segment_fixed_size: 316
    .sgpr_count:     60
    .sgpr_spill_count: 0
    .symbol:         _ZN4vllm25paged_attention_v1_kernelIffLi192ELi32ELi128ELNS_18Fp8KVCacheDataTypeE0ELb1EEEvPT_PKS2_PKT0_S8_ifPKiSA_iPKfiiiSC_SC_iiiii.kd
    .uniform_work_group_size: 1
    .uses_dynamic_stack: false
    .vgpr_count:     64
    .vgpr_spill_count: 145
    .wavefront_size: 64
  - .args:
      - .actual_access:  write_only
        .address_space:  global
        .offset:         0
        .size:           8
        .value_kind:     global_buffer
      - .actual_access:  read_only
        .address_space:  global
        .offset:         8
        .size:           8
        .value_kind:     global_buffer
      - .actual_access:  read_only
        .address_space:  global
        .offset:         16
        .size:           8
        .value_kind:     global_buffer
      - .actual_access:  read_only
        .address_space:  global
        .offset:         24
        .size:           8
        .value_kind:     global_buffer
      - .offset:         32
        .size:           4
        .value_kind:     by_value
      - .offset:         36
        .size:           4
        .value_kind:     by_value
      - .actual_access:  read_only
        .address_space:  global
        .offset:         40
        .size:           8
        .value_kind:     global_buffer
      - .actual_access:  read_only
        .address_space:  global
        .offset:         48
        .size:           8
        .value_kind:     global_buffer
      - .offset:         56
        .size:           4
        .value_kind:     by_value
      - .actual_access:  read_only
        .address_space:  global
        .offset:         64
        .size:           8
        .value_kind:     global_buffer
      - .offset:         72
        .size:           4
        .value_kind:     by_value
      - .offset:         76
        .size:           4
        .value_kind:     by_value
      - .offset:         80
        .size:           4
        .value_kind:     by_value
      - .address_space:  global
        .offset:         88
        .size:           8
        .value_kind:     global_buffer
      - .address_space:  global
        .offset:         96
        .size:           8
        .value_kind:     global_buffer
      - .offset:         104
        .size:           4
        .value_kind:     by_value
      - .offset:         108
        .size:           4
        .value_kind:     by_value
      - .offset:         112
        .size:           4
        .value_kind:     by_value
      - .offset:         116
        .size:           4
        .value_kind:     by_value
      - .offset:         120
        .size:           4
        .value_kind:     by_value
      - .offset:         128
        .size:           4
        .value_kind:     hidden_block_count_x
      - .offset:         132
        .size:           4
        .value_kind:     hidden_block_count_y
      - .offset:         136
        .size:           4
        .value_kind:     hidden_block_count_z
      - .offset:         140
        .size:           2
        .value_kind:     hidden_group_size_x
      - .offset:         142
        .size:           2
        .value_kind:     hidden_group_size_y
      - .offset:         144
        .size:           2
        .value_kind:     hidden_group_size_z
      - .offset:         146
        .size:           2
        .value_kind:     hidden_remainder_x
      - .offset:         148
        .size:           2
        .value_kind:     hidden_remainder_y
      - .offset:         150
        .size:           2
        .value_kind:     hidden_remainder_z
      - .offset:         168
        .size:           8
        .value_kind:     hidden_global_offset_x
      - .offset:         176
        .size:           8
        .value_kind:     hidden_global_offset_y
      - .offset:         184
        .size:           8
        .value_kind:     hidden_global_offset_z
      - .offset:         192
        .size:           2
        .value_kind:     hidden_grid_dims
      - .offset:         248
        .size:           4
        .value_kind:     hidden_dynamic_lds_size
    .group_segment_fixed_size: 1040
    .kernarg_segment_align: 8
    .kernarg_segment_size: 384
    .language:       OpenCL C
    .language_version:
      - 2
      - 0
    .max_flat_workgroup_size: 1024
    .name:           _ZN4vllm25paged_attention_v1_kernelIffLi256ELi32ELi128ELNS_18Fp8KVCacheDataTypeE0ELb1EEEvPT_PKS2_PKT0_S8_ifPKiSA_iPKfiiiSC_SC_iiiii
    .private_segment_fixed_size: 484
    .sgpr_count:     60
    .sgpr_spill_count: 0
    .symbol:         _ZN4vllm25paged_attention_v1_kernelIffLi256ELi32ELi128ELNS_18Fp8KVCacheDataTypeE0ELb1EEEvPT_PKS2_PKT0_S8_ifPKiSA_iPKfiiiSC_SC_iiiii.kd
    .uniform_work_group_size: 1
    .uses_dynamic_stack: false
    .vgpr_count:     64
    .vgpr_spill_count: 248
    .wavefront_size: 64
  - .args:
      - .actual_access:  write_only
        .address_space:  global
        .offset:         0
        .size:           8
        .value_kind:     global_buffer
      - .actual_access:  read_only
        .address_space:  global
        .offset:         8
        .size:           8
        .value_kind:     global_buffer
      - .actual_access:  read_only
        .address_space:  global
        .offset:         16
        .size:           8
        .value_kind:     global_buffer
      - .actual_access:  read_only
        .address_space:  global
        .offset:         24
        .size:           8
        .value_kind:     global_buffer
      - .offset:         32
        .size:           4
        .value_kind:     by_value
      - .offset:         36
        .size:           4
        .value_kind:     by_value
      - .actual_access:  read_only
        .address_space:  global
        .offset:         40
        .size:           8
        .value_kind:     global_buffer
      - .actual_access:  read_only
        .address_space:  global
        .offset:         48
        .size:           8
        .value_kind:     global_buffer
      - .offset:         56
        .size:           4
        .value_kind:     by_value
      - .actual_access:  read_only
        .address_space:  global
        .offset:         64
        .size:           8
        .value_kind:     global_buffer
      - .offset:         72
        .size:           4
        .value_kind:     by_value
      - .offset:         76
        .size:           4
        .value_kind:     by_value
      - .offset:         80
        .size:           4
        .value_kind:     by_value
      - .address_space:  global
        .offset:         88
        .size:           8
        .value_kind:     global_buffer
      - .address_space:  global
        .offset:         96
        .size:           8
        .value_kind:     global_buffer
      - .offset:         104
        .size:           4
        .value_kind:     by_value
      - .offset:         108
        .size:           4
        .value_kind:     by_value
      - .offset:         112
        .size:           4
        .value_kind:     by_value
      - .offset:         116
        .size:           4
        .value_kind:     by_value
      - .offset:         120
        .size:           4
        .value_kind:     by_value
      - .offset:         128
        .size:           4
        .value_kind:     hidden_block_count_x
      - .offset:         132
        .size:           4
        .value_kind:     hidden_block_count_y
      - .offset:         136
        .size:           4
        .value_kind:     hidden_block_count_z
      - .offset:         140
        .size:           2
        .value_kind:     hidden_group_size_x
      - .offset:         142
        .size:           2
        .value_kind:     hidden_group_size_y
      - .offset:         144
        .size:           2
        .value_kind:     hidden_group_size_z
      - .offset:         146
        .size:           2
        .value_kind:     hidden_remainder_x
      - .offset:         148
        .size:           2
        .value_kind:     hidden_remainder_y
      - .offset:         150
        .size:           2
        .value_kind:     hidden_remainder_z
      - .offset:         168
        .size:           8
        .value_kind:     hidden_global_offset_x
      - .offset:         176
        .size:           8
        .value_kind:     hidden_global_offset_y
      - .offset:         184
        .size:           8
        .value_kind:     hidden_global_offset_z
      - .offset:         192
        .size:           2
        .value_kind:     hidden_grid_dims
      - .offset:         248
        .size:           4
        .value_kind:     hidden_dynamic_lds_size
    .group_segment_fixed_size: 144
    .kernarg_segment_align: 8
    .kernarg_segment_size: 384
    .language:       OpenCL C
    .language_version:
      - 2
      - 0
    .max_flat_workgroup_size: 1024
    .name:           _ZN4vllm25paged_attention_v1_kernelIffLi32ELi32ELi128ELNS_18Fp8KVCacheDataTypeE0ELb0EEEvPT_PKS2_PKT0_S8_ifPKiSA_iPKfiiiSC_SC_iiiii
    .private_segment_fixed_size: 0
    .sgpr_count:     38
    .sgpr_spill_count: 0
    .symbol:         _ZN4vllm25paged_attention_v1_kernelIffLi32ELi32ELi128ELNS_18Fp8KVCacheDataTypeE0ELb0EEEvPT_PKS2_PKT0_S8_ifPKiSA_iPKfiiiSC_SC_iiiii.kd
    .uniform_work_group_size: 1
    .uses_dynamic_stack: false
    .vgpr_count:     48
    .vgpr_spill_count: 0
    .wavefront_size: 64
  - .args:
      - .actual_access:  write_only
        .address_space:  global
        .offset:         0
        .size:           8
        .value_kind:     global_buffer
      - .actual_access:  read_only
        .address_space:  global
        .offset:         8
        .size:           8
        .value_kind:     global_buffer
      - .actual_access:  read_only
        .address_space:  global
        .offset:         16
        .size:           8
        .value_kind:     global_buffer
      - .actual_access:  read_only
        .address_space:  global
        .offset:         24
        .size:           8
        .value_kind:     global_buffer
      - .offset:         32
        .size:           4
        .value_kind:     by_value
      - .offset:         36
        .size:           4
        .value_kind:     by_value
      - .actual_access:  read_only
        .address_space:  global
        .offset:         40
        .size:           8
        .value_kind:     global_buffer
      - .actual_access:  read_only
        .address_space:  global
        .offset:         48
        .size:           8
        .value_kind:     global_buffer
      - .offset:         56
        .size:           4
        .value_kind:     by_value
      - .actual_access:  read_only
        .address_space:  global
        .offset:         64
        .size:           8
        .value_kind:     global_buffer
      - .offset:         72
        .size:           4
        .value_kind:     by_value
      - .offset:         76
        .size:           4
        .value_kind:     by_value
      - .offset:         80
        .size:           4
        .value_kind:     by_value
      - .address_space:  global
        .offset:         88
        .size:           8
        .value_kind:     global_buffer
      - .address_space:  global
        .offset:         96
        .size:           8
        .value_kind:     global_buffer
      - .offset:         104
        .size:           4
        .value_kind:     by_value
      - .offset:         108
        .size:           4
        .value_kind:     by_value
      - .offset:         112
        .size:           4
        .value_kind:     by_value
      - .offset:         116
        .size:           4
        .value_kind:     by_value
      - .offset:         120
        .size:           4
        .value_kind:     by_value
      - .offset:         128
        .size:           4
        .value_kind:     hidden_block_count_x
      - .offset:         132
        .size:           4
        .value_kind:     hidden_block_count_y
      - .offset:         136
        .size:           4
        .value_kind:     hidden_block_count_z
      - .offset:         140
        .size:           2
        .value_kind:     hidden_group_size_x
      - .offset:         142
        .size:           2
        .value_kind:     hidden_group_size_y
      - .offset:         144
        .size:           2
        .value_kind:     hidden_group_size_z
      - .offset:         146
        .size:           2
        .value_kind:     hidden_remainder_x
      - .offset:         148
        .size:           2
        .value_kind:     hidden_remainder_y
      - .offset:         150
        .size:           2
        .value_kind:     hidden_remainder_z
      - .offset:         168
        .size:           8
        .value_kind:     hidden_global_offset_x
      - .offset:         176
        .size:           8
        .value_kind:     hidden_global_offset_y
      - .offset:         184
        .size:           8
        .value_kind:     hidden_global_offset_z
      - .offset:         192
        .size:           2
        .value_kind:     hidden_grid_dims
      - .offset:         248
        .size:           4
        .value_kind:     hidden_dynamic_lds_size
    .group_segment_fixed_size: 272
    .kernarg_segment_align: 8
    .kernarg_segment_size: 384
    .language:       OpenCL C
    .language_version:
      - 2
      - 0
    .max_flat_workgroup_size: 1024
    .name:           _ZN4vllm25paged_attention_v1_kernelIffLi64ELi32ELi128ELNS_18Fp8KVCacheDataTypeE0ELb0EEEvPT_PKS2_PKT0_S8_ifPKiSA_iPKfiiiSC_SC_iiiii
    .private_segment_fixed_size: 0
    .sgpr_count:     39
    .sgpr_spill_count: 0
    .symbol:         _ZN4vllm25paged_attention_v1_kernelIffLi64ELi32ELi128ELNS_18Fp8KVCacheDataTypeE0ELb0EEEvPT_PKS2_PKT0_S8_ifPKiSA_iPKfiiiSC_SC_iiiii.kd
    .uniform_work_group_size: 1
    .uses_dynamic_stack: false
    .vgpr_count:     64
    .vgpr_spill_count: 0
    .wavefront_size: 64
  - .args:
      - .actual_access:  write_only
        .address_space:  global
        .offset:         0
        .size:           8
        .value_kind:     global_buffer
      - .actual_access:  read_only
        .address_space:  global
        .offset:         8
        .size:           8
        .value_kind:     global_buffer
      - .actual_access:  read_only
        .address_space:  global
        .offset:         16
        .size:           8
        .value_kind:     global_buffer
      - .actual_access:  read_only
        .address_space:  global
        .offset:         24
        .size:           8
        .value_kind:     global_buffer
      - .offset:         32
        .size:           4
        .value_kind:     by_value
      - .offset:         36
        .size:           4
        .value_kind:     by_value
      - .actual_access:  read_only
        .address_space:  global
        .offset:         40
        .size:           8
        .value_kind:     global_buffer
      - .actual_access:  read_only
        .address_space:  global
        .offset:         48
        .size:           8
        .value_kind:     global_buffer
      - .offset:         56
        .size:           4
        .value_kind:     by_value
      - .actual_access:  read_only
        .address_space:  global
        .offset:         64
        .size:           8
        .value_kind:     global_buffer
      - .offset:         72
        .size:           4
        .value_kind:     by_value
      - .offset:         76
        .size:           4
        .value_kind:     by_value
      - .offset:         80
        .size:           4
        .value_kind:     by_value
      - .address_space:  global
        .offset:         88
        .size:           8
        .value_kind:     global_buffer
      - .address_space:  global
        .offset:         96
        .size:           8
        .value_kind:     global_buffer
      - .offset:         104
        .size:           4
        .value_kind:     by_value
      - .offset:         108
        .size:           4
        .value_kind:     by_value
      - .offset:         112
        .size:           4
        .value_kind:     by_value
      - .offset:         116
        .size:           4
        .value_kind:     by_value
      - .offset:         120
        .size:           4
        .value_kind:     by_value
      - .offset:         128
        .size:           4
        .value_kind:     hidden_block_count_x
      - .offset:         132
        .size:           4
        .value_kind:     hidden_block_count_y
      - .offset:         136
        .size:           4
        .value_kind:     hidden_block_count_z
      - .offset:         140
        .size:           2
        .value_kind:     hidden_group_size_x
      - .offset:         142
        .size:           2
        .value_kind:     hidden_group_size_y
      - .offset:         144
        .size:           2
        .value_kind:     hidden_group_size_z
      - .offset:         146
        .size:           2
        .value_kind:     hidden_remainder_x
      - .offset:         148
        .size:           2
        .value_kind:     hidden_remainder_y
      - .offset:         150
        .size:           2
        .value_kind:     hidden_remainder_z
      - .offset:         168
        .size:           8
        .value_kind:     hidden_global_offset_x
      - .offset:         176
        .size:           8
        .value_kind:     hidden_global_offset_y
      - .offset:         184
        .size:           8
        .value_kind:     hidden_global_offset_z
      - .offset:         192
        .size:           2
        .value_kind:     hidden_grid_dims
      - .offset:         248
        .size:           4
        .value_kind:     hidden_dynamic_lds_size
    .group_segment_fixed_size: 336
    .kernarg_segment_align: 8
    .kernarg_segment_size: 384
    .language:       OpenCL C
    .language_version:
      - 2
      - 0
    .max_flat_workgroup_size: 1024
    .name:           _ZN4vllm25paged_attention_v1_kernelIffLi80ELi32ELi128ELNS_18Fp8KVCacheDataTypeE0ELb0EEEvPT_PKS2_PKT0_S8_ifPKiSA_iPKfiiiSC_SC_iiiii
    .private_segment_fixed_size: 28
    .sgpr_count:     44
    .sgpr_spill_count: 0
    .symbol:         _ZN4vllm25paged_attention_v1_kernelIffLi80ELi32ELi128ELNS_18Fp8KVCacheDataTypeE0ELb0EEEvPT_PKS2_PKT0_S8_ifPKiSA_iPKfiiiSC_SC_iiiii.kd
    .uniform_work_group_size: 1
    .uses_dynamic_stack: false
    .vgpr_count:     64
    .vgpr_spill_count: 6
    .wavefront_size: 64
  - .args:
      - .actual_access:  write_only
        .address_space:  global
        .offset:         0
        .size:           8
        .value_kind:     global_buffer
      - .actual_access:  read_only
        .address_space:  global
        .offset:         8
        .size:           8
        .value_kind:     global_buffer
      - .actual_access:  read_only
        .address_space:  global
        .offset:         16
        .size:           8
        .value_kind:     global_buffer
      - .actual_access:  read_only
        .address_space:  global
        .offset:         24
        .size:           8
        .value_kind:     global_buffer
      - .offset:         32
        .size:           4
        .value_kind:     by_value
      - .offset:         36
        .size:           4
        .value_kind:     by_value
      - .actual_access:  read_only
        .address_space:  global
        .offset:         40
        .size:           8
        .value_kind:     global_buffer
      - .actual_access:  read_only
        .address_space:  global
        .offset:         48
        .size:           8
        .value_kind:     global_buffer
      - .offset:         56
        .size:           4
        .value_kind:     by_value
      - .actual_access:  read_only
        .address_space:  global
        .offset:         64
        .size:           8
        .value_kind:     global_buffer
      - .offset:         72
        .size:           4
        .value_kind:     by_value
      - .offset:         76
        .size:           4
        .value_kind:     by_value
      - .offset:         80
        .size:           4
        .value_kind:     by_value
      - .address_space:  global
        .offset:         88
        .size:           8
        .value_kind:     global_buffer
      - .address_space:  global
        .offset:         96
        .size:           8
        .value_kind:     global_buffer
      - .offset:         104
        .size:           4
        .value_kind:     by_value
      - .offset:         108
        .size:           4
        .value_kind:     by_value
      - .offset:         112
        .size:           4
        .value_kind:     by_value
      - .offset:         116
        .size:           4
        .value_kind:     by_value
      - .offset:         120
        .size:           4
        .value_kind:     by_value
      - .offset:         128
        .size:           4
        .value_kind:     hidden_block_count_x
      - .offset:         132
        .size:           4
        .value_kind:     hidden_block_count_y
      - .offset:         136
        .size:           4
        .value_kind:     hidden_block_count_z
      - .offset:         140
        .size:           2
        .value_kind:     hidden_group_size_x
      - .offset:         142
        .size:           2
        .value_kind:     hidden_group_size_y
      - .offset:         144
        .size:           2
        .value_kind:     hidden_group_size_z
      - .offset:         146
        .size:           2
        .value_kind:     hidden_remainder_x
      - .offset:         148
        .size:           2
        .value_kind:     hidden_remainder_y
      - .offset:         150
        .size:           2
        .value_kind:     hidden_remainder_z
      - .offset:         168
        .size:           8
        .value_kind:     hidden_global_offset_x
      - .offset:         176
        .size:           8
        .value_kind:     hidden_global_offset_y
      - .offset:         184
        .size:           8
        .value_kind:     hidden_global_offset_z
      - .offset:         192
        .size:           2
        .value_kind:     hidden_grid_dims
      - .offset:         248
        .size:           4
        .value_kind:     hidden_dynamic_lds_size
    .group_segment_fixed_size: 400
    .kernarg_segment_align: 8
    .kernarg_segment_size: 384
    .language:       OpenCL C
    .language_version:
      - 2
      - 0
    .max_flat_workgroup_size: 1024
    .name:           _ZN4vllm25paged_attention_v1_kernelIffLi96ELi32ELi128ELNS_18Fp8KVCacheDataTypeE0ELb0EEEvPT_PKS2_PKT0_S8_ifPKiSA_iPKfiiiSC_SC_iiiii
    .private_segment_fixed_size: 68
    .sgpr_count:     44
    .sgpr_spill_count: 0
    .symbol:         _ZN4vllm25paged_attention_v1_kernelIffLi96ELi32ELi128ELNS_18Fp8KVCacheDataTypeE0ELb0EEEvPT_PKS2_PKT0_S8_ifPKiSA_iPKfiiiSC_SC_iiiii.kd
    .uniform_work_group_size: 1
    .uses_dynamic_stack: false
    .vgpr_count:     64
    .vgpr_spill_count: 28
    .wavefront_size: 64
  - .args:
      - .actual_access:  write_only
        .address_space:  global
        .offset:         0
        .size:           8
        .value_kind:     global_buffer
      - .actual_access:  read_only
        .address_space:  global
        .offset:         8
        .size:           8
        .value_kind:     global_buffer
      - .actual_access:  read_only
        .address_space:  global
        .offset:         16
        .size:           8
        .value_kind:     global_buffer
      - .actual_access:  read_only
        .address_space:  global
        .offset:         24
        .size:           8
        .value_kind:     global_buffer
      - .offset:         32
        .size:           4
        .value_kind:     by_value
      - .offset:         36
        .size:           4
        .value_kind:     by_value
      - .actual_access:  read_only
        .address_space:  global
        .offset:         40
        .size:           8
        .value_kind:     global_buffer
      - .actual_access:  read_only
        .address_space:  global
        .offset:         48
        .size:           8
        .value_kind:     global_buffer
      - .offset:         56
        .size:           4
        .value_kind:     by_value
      - .actual_access:  read_only
        .address_space:  global
        .offset:         64
        .size:           8
        .value_kind:     global_buffer
      - .offset:         72
        .size:           4
        .value_kind:     by_value
      - .offset:         76
        .size:           4
        .value_kind:     by_value
      - .offset:         80
        .size:           4
        .value_kind:     by_value
      - .address_space:  global
        .offset:         88
        .size:           8
        .value_kind:     global_buffer
      - .address_space:  global
        .offset:         96
        .size:           8
        .value_kind:     global_buffer
      - .offset:         104
        .size:           4
        .value_kind:     by_value
      - .offset:         108
        .size:           4
        .value_kind:     by_value
      - .offset:         112
        .size:           4
        .value_kind:     by_value
      - .offset:         116
        .size:           4
        .value_kind:     by_value
      - .offset:         120
        .size:           4
        .value_kind:     by_value
      - .offset:         128
        .size:           4
        .value_kind:     hidden_block_count_x
      - .offset:         132
        .size:           4
        .value_kind:     hidden_block_count_y
      - .offset:         136
        .size:           4
        .value_kind:     hidden_block_count_z
      - .offset:         140
        .size:           2
        .value_kind:     hidden_group_size_x
      - .offset:         142
        .size:           2
        .value_kind:     hidden_group_size_y
      - .offset:         144
        .size:           2
        .value_kind:     hidden_group_size_z
      - .offset:         146
        .size:           2
        .value_kind:     hidden_remainder_x
      - .offset:         148
        .size:           2
        .value_kind:     hidden_remainder_y
      - .offset:         150
        .size:           2
        .value_kind:     hidden_remainder_z
      - .offset:         168
        .size:           8
        .value_kind:     hidden_global_offset_x
      - .offset:         176
        .size:           8
        .value_kind:     hidden_global_offset_y
      - .offset:         184
        .size:           8
        .value_kind:     hidden_global_offset_z
      - .offset:         192
        .size:           2
        .value_kind:     hidden_grid_dims
      - .offset:         248
        .size:           4
        .value_kind:     hidden_dynamic_lds_size
    .group_segment_fixed_size: 464
    .kernarg_segment_align: 8
    .kernarg_segment_size: 384
    .language:       OpenCL C
    .language_version:
      - 2
      - 0
    .max_flat_workgroup_size: 1024
    .name:           _ZN4vllm25paged_attention_v1_kernelIffLi112ELi32ELi128ELNS_18Fp8KVCacheDataTypeE0ELb0EEEvPT_PKS2_PKT0_S8_ifPKiSA_iPKfiiiSC_SC_iiiii
    .private_segment_fixed_size: 136
    .sgpr_count:     48
    .sgpr_spill_count: 0
    .symbol:         _ZN4vllm25paged_attention_v1_kernelIffLi112ELi32ELi128ELNS_18Fp8KVCacheDataTypeE0ELb0EEEvPT_PKS2_PKT0_S8_ifPKiSA_iPKfiiiSC_SC_iiiii.kd
    .uniform_work_group_size: 1
    .uses_dynamic_stack: false
    .vgpr_count:     64
    .vgpr_spill_count: 62
    .wavefront_size: 64
  - .args:
      - .actual_access:  write_only
        .address_space:  global
        .offset:         0
        .size:           8
        .value_kind:     global_buffer
      - .actual_access:  read_only
        .address_space:  global
        .offset:         8
        .size:           8
        .value_kind:     global_buffer
      - .actual_access:  read_only
        .address_space:  global
        .offset:         16
        .size:           8
        .value_kind:     global_buffer
      - .actual_access:  read_only
        .address_space:  global
        .offset:         24
        .size:           8
        .value_kind:     global_buffer
      - .offset:         32
        .size:           4
        .value_kind:     by_value
      - .offset:         36
        .size:           4
        .value_kind:     by_value
      - .actual_access:  read_only
        .address_space:  global
        .offset:         40
        .size:           8
        .value_kind:     global_buffer
      - .actual_access:  read_only
        .address_space:  global
        .offset:         48
        .size:           8
        .value_kind:     global_buffer
      - .offset:         56
        .size:           4
        .value_kind:     by_value
      - .actual_access:  read_only
        .address_space:  global
        .offset:         64
        .size:           8
        .value_kind:     global_buffer
      - .offset:         72
        .size:           4
        .value_kind:     by_value
      - .offset:         76
        .size:           4
        .value_kind:     by_value
      - .offset:         80
        .size:           4
        .value_kind:     by_value
      - .address_space:  global
        .offset:         88
        .size:           8
        .value_kind:     global_buffer
      - .address_space:  global
        .offset:         96
        .size:           8
        .value_kind:     global_buffer
      - .offset:         104
        .size:           4
        .value_kind:     by_value
      - .offset:         108
        .size:           4
        .value_kind:     by_value
      - .offset:         112
        .size:           4
        .value_kind:     by_value
      - .offset:         116
        .size:           4
        .value_kind:     by_value
      - .offset:         120
        .size:           4
        .value_kind:     by_value
      - .offset:         128
        .size:           4
        .value_kind:     hidden_block_count_x
      - .offset:         132
        .size:           4
        .value_kind:     hidden_block_count_y
      - .offset:         136
        .size:           4
        .value_kind:     hidden_block_count_z
      - .offset:         140
        .size:           2
        .value_kind:     hidden_group_size_x
      - .offset:         142
        .size:           2
        .value_kind:     hidden_group_size_y
      - .offset:         144
        .size:           2
        .value_kind:     hidden_group_size_z
      - .offset:         146
        .size:           2
        .value_kind:     hidden_remainder_x
      - .offset:         148
        .size:           2
        .value_kind:     hidden_remainder_y
      - .offset:         150
        .size:           2
        .value_kind:     hidden_remainder_z
      - .offset:         168
        .size:           8
        .value_kind:     hidden_global_offset_x
      - .offset:         176
        .size:           8
        .value_kind:     hidden_global_offset_y
      - .offset:         184
        .size:           8
        .value_kind:     hidden_global_offset_z
      - .offset:         192
        .size:           2
        .value_kind:     hidden_grid_dims
      - .offset:         248
        .size:           4
        .value_kind:     hidden_dynamic_lds_size
    .group_segment_fixed_size: 496
    .kernarg_segment_align: 8
    .kernarg_segment_size: 384
    .language:       OpenCL C
    .language_version:
      - 2
      - 0
    .max_flat_workgroup_size: 1024
    .name:           _ZN4vllm25paged_attention_v1_kernelIffLi120ELi32ELi128ELNS_18Fp8KVCacheDataTypeE0ELb0EEEvPT_PKS2_PKT0_S8_ifPKiSA_iPKfiiiSC_SC_iiiii
    .private_segment_fixed_size: 168
    .sgpr_count:     48
    .sgpr_spill_count: 0
    .symbol:         _ZN4vllm25paged_attention_v1_kernelIffLi120ELi32ELi128ELNS_18Fp8KVCacheDataTypeE0ELb0EEEvPT_PKS2_PKT0_S8_ifPKiSA_iPKfiiiSC_SC_iiiii.kd
    .uniform_work_group_size: 1
    .uses_dynamic_stack: false
    .vgpr_count:     64
    .vgpr_spill_count: 76
    .wavefront_size: 64
  - .args:
      - .actual_access:  write_only
        .address_space:  global
        .offset:         0
        .size:           8
        .value_kind:     global_buffer
      - .actual_access:  read_only
        .address_space:  global
        .offset:         8
        .size:           8
        .value_kind:     global_buffer
      - .actual_access:  read_only
        .address_space:  global
        .offset:         16
        .size:           8
        .value_kind:     global_buffer
      - .actual_access:  read_only
        .address_space:  global
        .offset:         24
        .size:           8
        .value_kind:     global_buffer
      - .offset:         32
        .size:           4
        .value_kind:     by_value
      - .offset:         36
        .size:           4
        .value_kind:     by_value
      - .actual_access:  read_only
        .address_space:  global
        .offset:         40
        .size:           8
        .value_kind:     global_buffer
      - .actual_access:  read_only
        .address_space:  global
        .offset:         48
        .size:           8
        .value_kind:     global_buffer
      - .offset:         56
        .size:           4
        .value_kind:     by_value
      - .actual_access:  read_only
        .address_space:  global
        .offset:         64
        .size:           8
        .value_kind:     global_buffer
      - .offset:         72
        .size:           4
        .value_kind:     by_value
      - .offset:         76
        .size:           4
        .value_kind:     by_value
      - .offset:         80
        .size:           4
        .value_kind:     by_value
      - .address_space:  global
        .offset:         88
        .size:           8
        .value_kind:     global_buffer
      - .address_space:  global
        .offset:         96
        .size:           8
        .value_kind:     global_buffer
      - .offset:         104
        .size:           4
        .value_kind:     by_value
      - .offset:         108
        .size:           4
        .value_kind:     by_value
      - .offset:         112
        .size:           4
        .value_kind:     by_value
      - .offset:         116
        .size:           4
        .value_kind:     by_value
      - .offset:         120
        .size:           4
        .value_kind:     by_value
      - .offset:         128
        .size:           4
        .value_kind:     hidden_block_count_x
      - .offset:         132
        .size:           4
        .value_kind:     hidden_block_count_y
      - .offset:         136
        .size:           4
        .value_kind:     hidden_block_count_z
      - .offset:         140
        .size:           2
        .value_kind:     hidden_group_size_x
      - .offset:         142
        .size:           2
        .value_kind:     hidden_group_size_y
      - .offset:         144
        .size:           2
        .value_kind:     hidden_group_size_z
      - .offset:         146
        .size:           2
        .value_kind:     hidden_remainder_x
      - .offset:         148
        .size:           2
        .value_kind:     hidden_remainder_y
      - .offset:         150
        .size:           2
        .value_kind:     hidden_remainder_z
      - .offset:         168
        .size:           8
        .value_kind:     hidden_global_offset_x
      - .offset:         176
        .size:           8
        .value_kind:     hidden_global_offset_y
      - .offset:         184
        .size:           8
        .value_kind:     hidden_global_offset_z
      - .offset:         192
        .size:           2
        .value_kind:     hidden_grid_dims
      - .offset:         248
        .size:           4
        .value_kind:     hidden_dynamic_lds_size
    .group_segment_fixed_size: 528
    .kernarg_segment_align: 8
    .kernarg_segment_size: 384
    .language:       OpenCL C
    .language_version:
      - 2
      - 0
    .max_flat_workgroup_size: 1024
    .name:           _ZN4vllm25paged_attention_v1_kernelIffLi128ELi32ELi128ELNS_18Fp8KVCacheDataTypeE0ELb0EEEvPT_PKS2_PKT0_S8_ifPKiSA_iPKfiiiSC_SC_iiiii
    .private_segment_fixed_size: 204
    .sgpr_count:     48
    .sgpr_spill_count: 0
    .symbol:         _ZN4vllm25paged_attention_v1_kernelIffLi128ELi32ELi128ELNS_18Fp8KVCacheDataTypeE0ELb0EEEvPT_PKS2_PKT0_S8_ifPKiSA_iPKfiiiSC_SC_iiiii.kd
    .uniform_work_group_size: 1
    .uses_dynamic_stack: false
    .vgpr_count:     64
    .vgpr_spill_count: 93
    .wavefront_size: 64
  - .args:
      - .actual_access:  write_only
        .address_space:  global
        .offset:         0
        .size:           8
        .value_kind:     global_buffer
      - .actual_access:  read_only
        .address_space:  global
        .offset:         8
        .size:           8
        .value_kind:     global_buffer
      - .actual_access:  read_only
        .address_space:  global
        .offset:         16
        .size:           8
        .value_kind:     global_buffer
      - .actual_access:  read_only
        .address_space:  global
        .offset:         24
        .size:           8
        .value_kind:     global_buffer
      - .offset:         32
        .size:           4
        .value_kind:     by_value
      - .offset:         36
        .size:           4
        .value_kind:     by_value
      - .actual_access:  read_only
        .address_space:  global
        .offset:         40
        .size:           8
        .value_kind:     global_buffer
      - .actual_access:  read_only
        .address_space:  global
        .offset:         48
        .size:           8
        .value_kind:     global_buffer
      - .offset:         56
        .size:           4
        .value_kind:     by_value
      - .actual_access:  read_only
        .address_space:  global
        .offset:         64
        .size:           8
        .value_kind:     global_buffer
      - .offset:         72
        .size:           4
        .value_kind:     by_value
      - .offset:         76
        .size:           4
        .value_kind:     by_value
      - .offset:         80
        .size:           4
        .value_kind:     by_value
      - .address_space:  global
        .offset:         88
        .size:           8
        .value_kind:     global_buffer
      - .address_space:  global
        .offset:         96
        .size:           8
        .value_kind:     global_buffer
      - .offset:         104
        .size:           4
        .value_kind:     by_value
      - .offset:         108
        .size:           4
        .value_kind:     by_value
      - .offset:         112
        .size:           4
        .value_kind:     by_value
      - .offset:         116
        .size:           4
        .value_kind:     by_value
      - .offset:         120
        .size:           4
        .value_kind:     by_value
      - .offset:         128
        .size:           4
        .value_kind:     hidden_block_count_x
      - .offset:         132
        .size:           4
        .value_kind:     hidden_block_count_y
      - .offset:         136
        .size:           4
        .value_kind:     hidden_block_count_z
      - .offset:         140
        .size:           2
        .value_kind:     hidden_group_size_x
      - .offset:         142
        .size:           2
        .value_kind:     hidden_group_size_y
      - .offset:         144
        .size:           2
        .value_kind:     hidden_group_size_z
      - .offset:         146
        .size:           2
        .value_kind:     hidden_remainder_x
      - .offset:         148
        .size:           2
        .value_kind:     hidden_remainder_y
      - .offset:         150
        .size:           2
        .value_kind:     hidden_remainder_z
      - .offset:         168
        .size:           8
        .value_kind:     hidden_global_offset_x
      - .offset:         176
        .size:           8
        .value_kind:     hidden_global_offset_y
      - .offset:         184
        .size:           8
        .value_kind:     hidden_global_offset_z
      - .offset:         192
        .size:           2
        .value_kind:     hidden_grid_dims
      - .offset:         248
        .size:           4
        .value_kind:     hidden_dynamic_lds_size
    .group_segment_fixed_size: 784
    .kernarg_segment_align: 8
    .kernarg_segment_size: 384
    .language:       OpenCL C
    .language_version:
      - 2
      - 0
    .max_flat_workgroup_size: 1024
    .name:           _ZN4vllm25paged_attention_v1_kernelIffLi192ELi32ELi128ELNS_18Fp8KVCacheDataTypeE0ELb0EEEvPT_PKS2_PKT0_S8_ifPKiSA_iPKfiiiSC_SC_iiiii
    .private_segment_fixed_size: 392
    .sgpr_count:     48
    .sgpr_spill_count: 0
    .symbol:         _ZN4vllm25paged_attention_v1_kernelIffLi192ELi32ELi128ELNS_18Fp8KVCacheDataTypeE0ELb0EEEvPT_PKS2_PKT0_S8_ifPKiSA_iPKfiiiSC_SC_iiiii.kd
    .uniform_work_group_size: 1
    .uses_dynamic_stack: false
    .vgpr_count:     64
    .vgpr_spill_count: 211
    .wavefront_size: 64
  - .args:
      - .actual_access:  write_only
        .address_space:  global
        .offset:         0
        .size:           8
        .value_kind:     global_buffer
      - .actual_access:  read_only
        .address_space:  global
        .offset:         8
        .size:           8
        .value_kind:     global_buffer
      - .actual_access:  read_only
        .address_space:  global
        .offset:         16
        .size:           8
        .value_kind:     global_buffer
      - .actual_access:  read_only
        .address_space:  global
        .offset:         24
        .size:           8
        .value_kind:     global_buffer
      - .offset:         32
        .size:           4
        .value_kind:     by_value
      - .offset:         36
        .size:           4
        .value_kind:     by_value
      - .actual_access:  read_only
        .address_space:  global
        .offset:         40
        .size:           8
        .value_kind:     global_buffer
      - .actual_access:  read_only
        .address_space:  global
        .offset:         48
        .size:           8
        .value_kind:     global_buffer
      - .offset:         56
        .size:           4
        .value_kind:     by_value
      - .actual_access:  read_only
        .address_space:  global
        .offset:         64
        .size:           8
        .value_kind:     global_buffer
      - .offset:         72
        .size:           4
        .value_kind:     by_value
      - .offset:         76
        .size:           4
        .value_kind:     by_value
      - .offset:         80
        .size:           4
        .value_kind:     by_value
      - .address_space:  global
        .offset:         88
        .size:           8
        .value_kind:     global_buffer
      - .address_space:  global
        .offset:         96
        .size:           8
        .value_kind:     global_buffer
      - .offset:         104
        .size:           4
        .value_kind:     by_value
      - .offset:         108
        .size:           4
        .value_kind:     by_value
      - .offset:         112
        .size:           4
        .value_kind:     by_value
      - .offset:         116
        .size:           4
        .value_kind:     by_value
      - .offset:         120
        .size:           4
        .value_kind:     by_value
      - .offset:         128
        .size:           4
        .value_kind:     hidden_block_count_x
      - .offset:         132
        .size:           4
        .value_kind:     hidden_block_count_y
      - .offset:         136
        .size:           4
        .value_kind:     hidden_block_count_z
      - .offset:         140
        .size:           2
        .value_kind:     hidden_group_size_x
      - .offset:         142
        .size:           2
        .value_kind:     hidden_group_size_y
      - .offset:         144
        .size:           2
        .value_kind:     hidden_group_size_z
      - .offset:         146
        .size:           2
        .value_kind:     hidden_remainder_x
      - .offset:         148
        .size:           2
        .value_kind:     hidden_remainder_y
      - .offset:         150
        .size:           2
        .value_kind:     hidden_remainder_z
      - .offset:         168
        .size:           8
        .value_kind:     hidden_global_offset_x
      - .offset:         176
        .size:           8
        .value_kind:     hidden_global_offset_y
      - .offset:         184
        .size:           8
        .value_kind:     hidden_global_offset_z
      - .offset:         192
        .size:           2
        .value_kind:     hidden_grid_dims
      - .offset:         248
        .size:           4
        .value_kind:     hidden_dynamic_lds_size
    .group_segment_fixed_size: 1040
    .kernarg_segment_align: 8
    .kernarg_segment_size: 384
    .language:       OpenCL C
    .language_version:
      - 2
      - 0
    .max_flat_workgroup_size: 1024
    .name:           _ZN4vllm25paged_attention_v1_kernelIffLi256ELi32ELi128ELNS_18Fp8KVCacheDataTypeE0ELb0EEEvPT_PKS2_PKT0_S8_ifPKiSA_iPKfiiiSC_SC_iiiii
    .private_segment_fixed_size: 568
    .sgpr_count:     52
    .sgpr_spill_count: 0
    .symbol:         _ZN4vllm25paged_attention_v1_kernelIffLi256ELi32ELi128ELNS_18Fp8KVCacheDataTypeE0ELb0EEEvPT_PKS2_PKT0_S8_ifPKiSA_iPKfiiiSC_SC_iiiii.kd
    .uniform_work_group_size: 1
    .uses_dynamic_stack: false
    .vgpr_count:     64
    .vgpr_spill_count: 326
    .wavefront_size: 64
  - .args:
      - .actual_access:  write_only
        .address_space:  global
        .offset:         0
        .size:           8
        .value_kind:     global_buffer
      - .actual_access:  read_only
        .address_space:  global
        .offset:         8
        .size:           8
        .value_kind:     global_buffer
      - .actual_access:  read_only
        .address_space:  global
        .offset:         16
        .size:           8
        .value_kind:     global_buffer
      - .actual_access:  read_only
        .address_space:  global
        .offset:         24
        .size:           8
        .value_kind:     global_buffer
      - .offset:         32
        .size:           4
        .value_kind:     by_value
      - .offset:         36
        .size:           4
        .value_kind:     by_value
      - .actual_access:  read_only
        .address_space:  global
        .offset:         40
        .size:           8
        .value_kind:     global_buffer
      - .actual_access:  read_only
        .address_space:  global
        .offset:         48
        .size:           8
        .value_kind:     global_buffer
      - .offset:         56
        .size:           4
        .value_kind:     by_value
      - .actual_access:  read_only
        .address_space:  global
        .offset:         64
        .size:           8
        .value_kind:     global_buffer
      - .offset:         72
        .size:           4
        .value_kind:     by_value
      - .offset:         76
        .size:           4
        .value_kind:     by_value
      - .offset:         80
        .size:           4
        .value_kind:     by_value
      - .address_space:  global
        .offset:         88
        .size:           8
        .value_kind:     global_buffer
      - .address_space:  global
        .offset:         96
        .size:           8
        .value_kind:     global_buffer
      - .offset:         104
        .size:           4
        .value_kind:     by_value
      - .offset:         108
        .size:           4
        .value_kind:     by_value
      - .offset:         112
        .size:           4
        .value_kind:     by_value
      - .offset:         116
        .size:           4
        .value_kind:     by_value
      - .offset:         120
        .size:           4
        .value_kind:     by_value
      - .offset:         128
        .size:           4
        .value_kind:     hidden_block_count_x
      - .offset:         132
        .size:           4
        .value_kind:     hidden_block_count_y
      - .offset:         136
        .size:           4
        .value_kind:     hidden_block_count_z
      - .offset:         140
        .size:           2
        .value_kind:     hidden_group_size_x
      - .offset:         142
        .size:           2
        .value_kind:     hidden_group_size_y
      - .offset:         144
        .size:           2
        .value_kind:     hidden_group_size_z
      - .offset:         146
        .size:           2
        .value_kind:     hidden_remainder_x
      - .offset:         148
        .size:           2
        .value_kind:     hidden_remainder_y
      - .offset:         150
        .size:           2
        .value_kind:     hidden_remainder_z
      - .offset:         168
        .size:           8
        .value_kind:     hidden_global_offset_x
      - .offset:         176
        .size:           8
        .value_kind:     hidden_global_offset_y
      - .offset:         184
        .size:           8
        .value_kind:     hidden_global_offset_z
      - .offset:         192
        .size:           2
        .value_kind:     hidden_grid_dims
      - .offset:         248
        .size:           4
        .value_kind:     hidden_dynamic_lds_size
    .group_segment_fixed_size: 80
    .kernarg_segment_align: 8
    .kernarg_segment_size: 384
    .language:       OpenCL C
    .language_version:
      - 2
      - 0
    .max_flat_workgroup_size: 1024
    .name:           _ZN4vllm25paged_attention_v1_kernelIttLi32ELi8ELi128ELNS_18Fp8KVCacheDataTypeE0ELb1EEEvPT_PKS2_PKT0_S8_ifPKiSA_iPKfiiiSC_SC_iiiii
    .private_segment_fixed_size: 0
    .sgpr_count:     48
    .sgpr_spill_count: 0
    .symbol:         _ZN4vllm25paged_attention_v1_kernelIttLi32ELi8ELi128ELNS_18Fp8KVCacheDataTypeE0ELb1EEEvPT_PKS2_PKT0_S8_ifPKiSA_iPKfiiiSC_SC_iiiii.kd
    .uniform_work_group_size: 1
    .uses_dynamic_stack: false
    .vgpr_count:     31
    .vgpr_spill_count: 0
    .wavefront_size: 64
  - .args:
      - .actual_access:  write_only
        .address_space:  global
        .offset:         0
        .size:           8
        .value_kind:     global_buffer
      - .actual_access:  read_only
        .address_space:  global
        .offset:         8
        .size:           8
        .value_kind:     global_buffer
      - .actual_access:  read_only
        .address_space:  global
        .offset:         16
        .size:           8
        .value_kind:     global_buffer
      - .actual_access:  read_only
        .address_space:  global
        .offset:         24
        .size:           8
        .value_kind:     global_buffer
      - .offset:         32
        .size:           4
        .value_kind:     by_value
      - .offset:         36
        .size:           4
        .value_kind:     by_value
      - .actual_access:  read_only
        .address_space:  global
        .offset:         40
        .size:           8
        .value_kind:     global_buffer
      - .actual_access:  read_only
        .address_space:  global
        .offset:         48
        .size:           8
        .value_kind:     global_buffer
      - .offset:         56
        .size:           4
        .value_kind:     by_value
      - .actual_access:  read_only
        .address_space:  global
        .offset:         64
        .size:           8
        .value_kind:     global_buffer
      - .offset:         72
        .size:           4
        .value_kind:     by_value
      - .offset:         76
        .size:           4
        .value_kind:     by_value
      - .offset:         80
        .size:           4
        .value_kind:     by_value
      - .address_space:  global
        .offset:         88
        .size:           8
        .value_kind:     global_buffer
      - .address_space:  global
        .offset:         96
        .size:           8
        .value_kind:     global_buffer
      - .offset:         104
        .size:           4
        .value_kind:     by_value
      - .offset:         108
        .size:           4
        .value_kind:     by_value
      - .offset:         112
        .size:           4
        .value_kind:     by_value
      - .offset:         116
        .size:           4
        .value_kind:     by_value
      - .offset:         120
        .size:           4
        .value_kind:     by_value
      - .offset:         128
        .size:           4
        .value_kind:     hidden_block_count_x
      - .offset:         132
        .size:           4
        .value_kind:     hidden_block_count_y
      - .offset:         136
        .size:           4
        .value_kind:     hidden_block_count_z
      - .offset:         140
        .size:           2
        .value_kind:     hidden_group_size_x
      - .offset:         142
        .size:           2
        .value_kind:     hidden_group_size_y
      - .offset:         144
        .size:           2
        .value_kind:     hidden_group_size_z
      - .offset:         146
        .size:           2
        .value_kind:     hidden_remainder_x
      - .offset:         148
        .size:           2
        .value_kind:     hidden_remainder_y
      - .offset:         150
        .size:           2
        .value_kind:     hidden_remainder_z
      - .offset:         168
        .size:           8
        .value_kind:     hidden_global_offset_x
      - .offset:         176
        .size:           8
        .value_kind:     hidden_global_offset_y
      - .offset:         184
        .size:           8
        .value_kind:     hidden_global_offset_z
      - .offset:         192
        .size:           2
        .value_kind:     hidden_grid_dims
      - .offset:         248
        .size:           4
        .value_kind:     hidden_dynamic_lds_size
    .group_segment_fixed_size: 144
    .kernarg_segment_align: 8
    .kernarg_segment_size: 384
    .language:       OpenCL C
    .language_version:
      - 2
      - 0
    .max_flat_workgroup_size: 1024
    .name:           _ZN4vllm25paged_attention_v1_kernelIttLi64ELi8ELi128ELNS_18Fp8KVCacheDataTypeE0ELb1EEEvPT_PKS2_PKT0_S8_ifPKiSA_iPKfiiiSC_SC_iiiii
    .private_segment_fixed_size: 0
    .sgpr_count:     50
    .sgpr_spill_count: 0
    .symbol:         _ZN4vllm25paged_attention_v1_kernelIttLi64ELi8ELi128ELNS_18Fp8KVCacheDataTypeE0ELb1EEEvPT_PKS2_PKT0_S8_ifPKiSA_iPKfiiiSC_SC_iiiii.kd
    .uniform_work_group_size: 1
    .uses_dynamic_stack: false
    .vgpr_count:     38
    .vgpr_spill_count: 0
    .wavefront_size: 64
  - .args:
      - .actual_access:  write_only
        .address_space:  global
        .offset:         0
        .size:           8
        .value_kind:     global_buffer
      - .actual_access:  read_only
        .address_space:  global
        .offset:         8
        .size:           8
        .value_kind:     global_buffer
      - .actual_access:  read_only
        .address_space:  global
        .offset:         16
        .size:           8
        .value_kind:     global_buffer
      - .actual_access:  read_only
        .address_space:  global
        .offset:         24
        .size:           8
        .value_kind:     global_buffer
      - .offset:         32
        .size:           4
        .value_kind:     by_value
      - .offset:         36
        .size:           4
        .value_kind:     by_value
      - .actual_access:  read_only
        .address_space:  global
        .offset:         40
        .size:           8
        .value_kind:     global_buffer
      - .actual_access:  read_only
        .address_space:  global
        .offset:         48
        .size:           8
        .value_kind:     global_buffer
      - .offset:         56
        .size:           4
        .value_kind:     by_value
      - .actual_access:  read_only
        .address_space:  global
        .offset:         64
        .size:           8
        .value_kind:     global_buffer
      - .offset:         72
        .size:           4
        .value_kind:     by_value
      - .offset:         76
        .size:           4
        .value_kind:     by_value
      - .offset:         80
        .size:           4
        .value_kind:     by_value
      - .address_space:  global
        .offset:         88
        .size:           8
        .value_kind:     global_buffer
      - .address_space:  global
        .offset:         96
        .size:           8
        .value_kind:     global_buffer
      - .offset:         104
        .size:           4
        .value_kind:     by_value
      - .offset:         108
        .size:           4
        .value_kind:     by_value
      - .offset:         112
        .size:           4
        .value_kind:     by_value
      - .offset:         116
        .size:           4
        .value_kind:     by_value
      - .offset:         120
        .size:           4
        .value_kind:     by_value
      - .offset:         128
        .size:           4
        .value_kind:     hidden_block_count_x
      - .offset:         132
        .size:           4
        .value_kind:     hidden_block_count_y
      - .offset:         136
        .size:           4
        .value_kind:     hidden_block_count_z
      - .offset:         140
        .size:           2
        .value_kind:     hidden_group_size_x
      - .offset:         142
        .size:           2
        .value_kind:     hidden_group_size_y
      - .offset:         144
        .size:           2
        .value_kind:     hidden_group_size_z
      - .offset:         146
        .size:           2
        .value_kind:     hidden_remainder_x
      - .offset:         148
        .size:           2
        .value_kind:     hidden_remainder_y
      - .offset:         150
        .size:           2
        .value_kind:     hidden_remainder_z
      - .offset:         168
        .size:           8
        .value_kind:     hidden_global_offset_x
      - .offset:         176
        .size:           8
        .value_kind:     hidden_global_offset_y
      - .offset:         184
        .size:           8
        .value_kind:     hidden_global_offset_z
      - .offset:         192
        .size:           2
        .value_kind:     hidden_grid_dims
      - .offset:         248
        .size:           4
        .value_kind:     hidden_dynamic_lds_size
    .group_segment_fixed_size: 176
    .kernarg_segment_align: 8
    .kernarg_segment_size: 384
    .language:       OpenCL C
    .language_version:
      - 2
      - 0
    .max_flat_workgroup_size: 1024
    .name:           _ZN4vllm25paged_attention_v1_kernelIttLi80ELi8ELi128ELNS_18Fp8KVCacheDataTypeE0ELb1EEEvPT_PKS2_PKT0_S8_ifPKiSA_iPKfiiiSC_SC_iiiii
    .private_segment_fixed_size: 0
    .sgpr_count:     50
    .sgpr_spill_count: 0
    .symbol:         _ZN4vllm25paged_attention_v1_kernelIttLi80ELi8ELi128ELNS_18Fp8KVCacheDataTypeE0ELb1EEEvPT_PKS2_PKT0_S8_ifPKiSA_iPKfiiiSC_SC_iiiii.kd
    .uniform_work_group_size: 1
    .uses_dynamic_stack: false
    .vgpr_count:     42
    .vgpr_spill_count: 0
    .wavefront_size: 64
  - .args:
      - .actual_access:  write_only
        .address_space:  global
        .offset:         0
        .size:           8
        .value_kind:     global_buffer
      - .actual_access:  read_only
        .address_space:  global
        .offset:         8
        .size:           8
        .value_kind:     global_buffer
      - .actual_access:  read_only
        .address_space:  global
        .offset:         16
        .size:           8
        .value_kind:     global_buffer
      - .actual_access:  read_only
        .address_space:  global
        .offset:         24
        .size:           8
        .value_kind:     global_buffer
      - .offset:         32
        .size:           4
        .value_kind:     by_value
      - .offset:         36
        .size:           4
        .value_kind:     by_value
      - .actual_access:  read_only
        .address_space:  global
        .offset:         40
        .size:           8
        .value_kind:     global_buffer
      - .actual_access:  read_only
        .address_space:  global
        .offset:         48
        .size:           8
        .value_kind:     global_buffer
      - .offset:         56
        .size:           4
        .value_kind:     by_value
      - .actual_access:  read_only
        .address_space:  global
        .offset:         64
        .size:           8
        .value_kind:     global_buffer
      - .offset:         72
        .size:           4
        .value_kind:     by_value
      - .offset:         76
        .size:           4
        .value_kind:     by_value
      - .offset:         80
        .size:           4
        .value_kind:     by_value
      - .address_space:  global
        .offset:         88
        .size:           8
        .value_kind:     global_buffer
      - .address_space:  global
        .offset:         96
        .size:           8
        .value_kind:     global_buffer
      - .offset:         104
        .size:           4
        .value_kind:     by_value
      - .offset:         108
        .size:           4
        .value_kind:     by_value
      - .offset:         112
        .size:           4
        .value_kind:     by_value
      - .offset:         116
        .size:           4
        .value_kind:     by_value
      - .offset:         120
        .size:           4
        .value_kind:     by_value
      - .offset:         128
        .size:           4
        .value_kind:     hidden_block_count_x
      - .offset:         132
        .size:           4
        .value_kind:     hidden_block_count_y
      - .offset:         136
        .size:           4
        .value_kind:     hidden_block_count_z
      - .offset:         140
        .size:           2
        .value_kind:     hidden_group_size_x
      - .offset:         142
        .size:           2
        .value_kind:     hidden_group_size_y
      - .offset:         144
        .size:           2
        .value_kind:     hidden_group_size_z
      - .offset:         146
        .size:           2
        .value_kind:     hidden_remainder_x
      - .offset:         148
        .size:           2
        .value_kind:     hidden_remainder_y
      - .offset:         150
        .size:           2
        .value_kind:     hidden_remainder_z
      - .offset:         168
        .size:           8
        .value_kind:     hidden_global_offset_x
      - .offset:         176
        .size:           8
        .value_kind:     hidden_global_offset_y
      - .offset:         184
        .size:           8
        .value_kind:     hidden_global_offset_z
      - .offset:         192
        .size:           2
        .value_kind:     hidden_grid_dims
      - .offset:         248
        .size:           4
        .value_kind:     hidden_dynamic_lds_size
    .group_segment_fixed_size: 208
    .kernarg_segment_align: 8
    .kernarg_segment_size: 384
    .language:       OpenCL C
    .language_version:
      - 2
      - 0
    .max_flat_workgroup_size: 1024
    .name:           _ZN4vllm25paged_attention_v1_kernelIttLi96ELi8ELi128ELNS_18Fp8KVCacheDataTypeE0ELb1EEEvPT_PKS2_PKT0_S8_ifPKiSA_iPKfiiiSC_SC_iiiii
    .private_segment_fixed_size: 0
    .sgpr_count:     50
    .sgpr_spill_count: 0
    .symbol:         _ZN4vllm25paged_attention_v1_kernelIttLi96ELi8ELi128ELNS_18Fp8KVCacheDataTypeE0ELb1EEEvPT_PKS2_PKT0_S8_ifPKiSA_iPKfiiiSC_SC_iiiii.kd
    .uniform_work_group_size: 1
    .uses_dynamic_stack: false
    .vgpr_count:     46
    .vgpr_spill_count: 0
    .wavefront_size: 64
  - .args:
      - .actual_access:  write_only
        .address_space:  global
        .offset:         0
        .size:           8
        .value_kind:     global_buffer
      - .actual_access:  read_only
        .address_space:  global
        .offset:         8
        .size:           8
        .value_kind:     global_buffer
      - .actual_access:  read_only
        .address_space:  global
        .offset:         16
        .size:           8
        .value_kind:     global_buffer
      - .actual_access:  read_only
        .address_space:  global
        .offset:         24
        .size:           8
        .value_kind:     global_buffer
      - .offset:         32
        .size:           4
        .value_kind:     by_value
      - .offset:         36
        .size:           4
        .value_kind:     by_value
      - .actual_access:  read_only
        .address_space:  global
        .offset:         40
        .size:           8
        .value_kind:     global_buffer
      - .actual_access:  read_only
        .address_space:  global
        .offset:         48
        .size:           8
        .value_kind:     global_buffer
      - .offset:         56
        .size:           4
        .value_kind:     by_value
      - .actual_access:  read_only
        .address_space:  global
        .offset:         64
        .size:           8
        .value_kind:     global_buffer
      - .offset:         72
        .size:           4
        .value_kind:     by_value
      - .offset:         76
        .size:           4
        .value_kind:     by_value
      - .offset:         80
        .size:           4
        .value_kind:     by_value
      - .address_space:  global
        .offset:         88
        .size:           8
        .value_kind:     global_buffer
      - .address_space:  global
        .offset:         96
        .size:           8
        .value_kind:     global_buffer
      - .offset:         104
        .size:           4
        .value_kind:     by_value
      - .offset:         108
        .size:           4
        .value_kind:     by_value
      - .offset:         112
        .size:           4
        .value_kind:     by_value
      - .offset:         116
        .size:           4
        .value_kind:     by_value
      - .offset:         120
        .size:           4
        .value_kind:     by_value
      - .offset:         128
        .size:           4
        .value_kind:     hidden_block_count_x
      - .offset:         132
        .size:           4
        .value_kind:     hidden_block_count_y
      - .offset:         136
        .size:           4
        .value_kind:     hidden_block_count_z
      - .offset:         140
        .size:           2
        .value_kind:     hidden_group_size_x
      - .offset:         142
        .size:           2
        .value_kind:     hidden_group_size_y
      - .offset:         144
        .size:           2
        .value_kind:     hidden_group_size_z
      - .offset:         146
        .size:           2
        .value_kind:     hidden_remainder_x
      - .offset:         148
        .size:           2
        .value_kind:     hidden_remainder_y
      - .offset:         150
        .size:           2
        .value_kind:     hidden_remainder_z
      - .offset:         168
        .size:           8
        .value_kind:     hidden_global_offset_x
      - .offset:         176
        .size:           8
        .value_kind:     hidden_global_offset_y
      - .offset:         184
        .size:           8
        .value_kind:     hidden_global_offset_z
      - .offset:         192
        .size:           2
        .value_kind:     hidden_grid_dims
      - .offset:         248
        .size:           4
        .value_kind:     hidden_dynamic_lds_size
    .group_segment_fixed_size: 240
    .kernarg_segment_align: 8
    .kernarg_segment_size: 384
    .language:       OpenCL C
    .language_version:
      - 2
      - 0
    .max_flat_workgroup_size: 1024
    .name:           _ZN4vllm25paged_attention_v1_kernelIttLi112ELi8ELi128ELNS_18Fp8KVCacheDataTypeE0ELb1EEEvPT_PKS2_PKT0_S8_ifPKiSA_iPKfiiiSC_SC_iiiii
    .private_segment_fixed_size: 0
    .sgpr_count:     50
    .sgpr_spill_count: 0
    .symbol:         _ZN4vllm25paged_attention_v1_kernelIttLi112ELi8ELi128ELNS_18Fp8KVCacheDataTypeE0ELb1EEEvPT_PKS2_PKT0_S8_ifPKiSA_iPKfiiiSC_SC_iiiii.kd
    .uniform_work_group_size: 1
    .uses_dynamic_stack: false
    .vgpr_count:     49
    .vgpr_spill_count: 0
    .wavefront_size: 64
  - .args:
      - .actual_access:  write_only
        .address_space:  global
        .offset:         0
        .size:           8
        .value_kind:     global_buffer
      - .actual_access:  read_only
        .address_space:  global
        .offset:         8
        .size:           8
        .value_kind:     global_buffer
      - .actual_access:  read_only
        .address_space:  global
        .offset:         16
        .size:           8
        .value_kind:     global_buffer
      - .actual_access:  read_only
        .address_space:  global
        .offset:         24
        .size:           8
        .value_kind:     global_buffer
      - .offset:         32
        .size:           4
        .value_kind:     by_value
      - .offset:         36
        .size:           4
        .value_kind:     by_value
      - .actual_access:  read_only
        .address_space:  global
        .offset:         40
        .size:           8
        .value_kind:     global_buffer
      - .actual_access:  read_only
        .address_space:  global
        .offset:         48
        .size:           8
        .value_kind:     global_buffer
      - .offset:         56
        .size:           4
        .value_kind:     by_value
      - .actual_access:  read_only
        .address_space:  global
        .offset:         64
        .size:           8
        .value_kind:     global_buffer
      - .offset:         72
        .size:           4
        .value_kind:     by_value
      - .offset:         76
        .size:           4
        .value_kind:     by_value
      - .offset:         80
        .size:           4
        .value_kind:     by_value
      - .address_space:  global
        .offset:         88
        .size:           8
        .value_kind:     global_buffer
      - .address_space:  global
        .offset:         96
        .size:           8
        .value_kind:     global_buffer
      - .offset:         104
        .size:           4
        .value_kind:     by_value
      - .offset:         108
        .size:           4
        .value_kind:     by_value
      - .offset:         112
        .size:           4
        .value_kind:     by_value
      - .offset:         116
        .size:           4
        .value_kind:     by_value
      - .offset:         120
        .size:           4
        .value_kind:     by_value
      - .offset:         128
        .size:           4
        .value_kind:     hidden_block_count_x
      - .offset:         132
        .size:           4
        .value_kind:     hidden_block_count_y
      - .offset:         136
        .size:           4
        .value_kind:     hidden_block_count_z
      - .offset:         140
        .size:           2
        .value_kind:     hidden_group_size_x
      - .offset:         142
        .size:           2
        .value_kind:     hidden_group_size_y
      - .offset:         144
        .size:           2
        .value_kind:     hidden_group_size_z
      - .offset:         146
        .size:           2
        .value_kind:     hidden_remainder_x
      - .offset:         148
        .size:           2
        .value_kind:     hidden_remainder_y
      - .offset:         150
        .size:           2
        .value_kind:     hidden_remainder_z
      - .offset:         168
        .size:           8
        .value_kind:     hidden_global_offset_x
      - .offset:         176
        .size:           8
        .value_kind:     hidden_global_offset_y
      - .offset:         184
        .size:           8
        .value_kind:     hidden_global_offset_z
      - .offset:         192
        .size:           2
        .value_kind:     hidden_grid_dims
      - .offset:         248
        .size:           4
        .value_kind:     hidden_dynamic_lds_size
    .group_segment_fixed_size: 256
    .kernarg_segment_align: 8
    .kernarg_segment_size: 384
    .language:       OpenCL C
    .language_version:
      - 2
      - 0
    .max_flat_workgroup_size: 1024
    .name:           _ZN4vllm25paged_attention_v1_kernelIttLi120ELi8ELi128ELNS_18Fp8KVCacheDataTypeE0ELb1EEEvPT_PKS2_PKT0_S8_ifPKiSA_iPKfiiiSC_SC_iiiii
    .private_segment_fixed_size: 0
    .sgpr_count:     50
    .sgpr_spill_count: 0
    .symbol:         _ZN4vllm25paged_attention_v1_kernelIttLi120ELi8ELi128ELNS_18Fp8KVCacheDataTypeE0ELb1EEEvPT_PKS2_PKT0_S8_ifPKiSA_iPKfiiiSC_SC_iiiii.kd
    .uniform_work_group_size: 1
    .uses_dynamic_stack: false
    .vgpr_count:     51
    .vgpr_spill_count: 0
    .wavefront_size: 64
  - .args:
      - .actual_access:  write_only
        .address_space:  global
        .offset:         0
        .size:           8
        .value_kind:     global_buffer
      - .actual_access:  read_only
        .address_space:  global
        .offset:         8
        .size:           8
        .value_kind:     global_buffer
      - .actual_access:  read_only
        .address_space:  global
        .offset:         16
        .size:           8
        .value_kind:     global_buffer
      - .actual_access:  read_only
        .address_space:  global
        .offset:         24
        .size:           8
        .value_kind:     global_buffer
      - .offset:         32
        .size:           4
        .value_kind:     by_value
      - .offset:         36
        .size:           4
        .value_kind:     by_value
      - .actual_access:  read_only
        .address_space:  global
        .offset:         40
        .size:           8
        .value_kind:     global_buffer
      - .actual_access:  read_only
        .address_space:  global
        .offset:         48
        .size:           8
        .value_kind:     global_buffer
      - .offset:         56
        .size:           4
        .value_kind:     by_value
      - .actual_access:  read_only
        .address_space:  global
        .offset:         64
        .size:           8
        .value_kind:     global_buffer
      - .offset:         72
        .size:           4
        .value_kind:     by_value
      - .offset:         76
        .size:           4
        .value_kind:     by_value
      - .offset:         80
        .size:           4
        .value_kind:     by_value
      - .address_space:  global
        .offset:         88
        .size:           8
        .value_kind:     global_buffer
      - .address_space:  global
        .offset:         96
        .size:           8
        .value_kind:     global_buffer
      - .offset:         104
        .size:           4
        .value_kind:     by_value
      - .offset:         108
        .size:           4
        .value_kind:     by_value
      - .offset:         112
        .size:           4
        .value_kind:     by_value
      - .offset:         116
        .size:           4
        .value_kind:     by_value
      - .offset:         120
        .size:           4
        .value_kind:     by_value
      - .offset:         128
        .size:           4
        .value_kind:     hidden_block_count_x
      - .offset:         132
        .size:           4
        .value_kind:     hidden_block_count_y
      - .offset:         136
        .size:           4
        .value_kind:     hidden_block_count_z
      - .offset:         140
        .size:           2
        .value_kind:     hidden_group_size_x
      - .offset:         142
        .size:           2
        .value_kind:     hidden_group_size_y
      - .offset:         144
        .size:           2
        .value_kind:     hidden_group_size_z
      - .offset:         146
        .size:           2
        .value_kind:     hidden_remainder_x
      - .offset:         148
        .size:           2
        .value_kind:     hidden_remainder_y
      - .offset:         150
        .size:           2
        .value_kind:     hidden_remainder_z
      - .offset:         168
        .size:           8
        .value_kind:     hidden_global_offset_x
      - .offset:         176
        .size:           8
        .value_kind:     hidden_global_offset_y
      - .offset:         184
        .size:           8
        .value_kind:     hidden_global_offset_z
      - .offset:         192
        .size:           2
        .value_kind:     hidden_grid_dims
      - .offset:         248
        .size:           4
        .value_kind:     hidden_dynamic_lds_size
    .group_segment_fixed_size: 272
    .kernarg_segment_align: 8
    .kernarg_segment_size: 384
    .language:       OpenCL C
    .language_version:
      - 2
      - 0
    .max_flat_workgroup_size: 1024
    .name:           _ZN4vllm25paged_attention_v1_kernelIttLi128ELi8ELi128ELNS_18Fp8KVCacheDataTypeE0ELb1EEEvPT_PKS2_PKT0_S8_ifPKiSA_iPKfiiiSC_SC_iiiii
    .private_segment_fixed_size: 0
    .sgpr_count:     48
    .sgpr_spill_count: 0
    .symbol:         _ZN4vllm25paged_attention_v1_kernelIttLi128ELi8ELi128ELNS_18Fp8KVCacheDataTypeE0ELb1EEEvPT_PKS2_PKT0_S8_ifPKiSA_iPKfiiiSC_SC_iiiii.kd
    .uniform_work_group_size: 1
    .uses_dynamic_stack: false
    .vgpr_count:     53
    .vgpr_spill_count: 0
    .wavefront_size: 64
  - .args:
      - .actual_access:  write_only
        .address_space:  global
        .offset:         0
        .size:           8
        .value_kind:     global_buffer
      - .actual_access:  read_only
        .address_space:  global
        .offset:         8
        .size:           8
        .value_kind:     global_buffer
      - .actual_access:  read_only
        .address_space:  global
        .offset:         16
        .size:           8
        .value_kind:     global_buffer
      - .actual_access:  read_only
        .address_space:  global
        .offset:         24
        .size:           8
        .value_kind:     global_buffer
      - .offset:         32
        .size:           4
        .value_kind:     by_value
      - .offset:         36
        .size:           4
        .value_kind:     by_value
      - .actual_access:  read_only
        .address_space:  global
        .offset:         40
        .size:           8
        .value_kind:     global_buffer
      - .actual_access:  read_only
        .address_space:  global
        .offset:         48
        .size:           8
        .value_kind:     global_buffer
      - .offset:         56
        .size:           4
        .value_kind:     by_value
      - .actual_access:  read_only
        .address_space:  global
        .offset:         64
        .size:           8
        .value_kind:     global_buffer
      - .offset:         72
        .size:           4
        .value_kind:     by_value
      - .offset:         76
        .size:           4
        .value_kind:     by_value
      - .offset:         80
        .size:           4
        .value_kind:     by_value
      - .address_space:  global
        .offset:         88
        .size:           8
        .value_kind:     global_buffer
      - .address_space:  global
        .offset:         96
        .size:           8
        .value_kind:     global_buffer
      - .offset:         104
        .size:           4
        .value_kind:     by_value
      - .offset:         108
        .size:           4
        .value_kind:     by_value
      - .offset:         112
        .size:           4
        .value_kind:     by_value
      - .offset:         116
        .size:           4
        .value_kind:     by_value
      - .offset:         120
        .size:           4
        .value_kind:     by_value
      - .offset:         128
        .size:           4
        .value_kind:     hidden_block_count_x
      - .offset:         132
        .size:           4
        .value_kind:     hidden_block_count_y
      - .offset:         136
        .size:           4
        .value_kind:     hidden_block_count_z
      - .offset:         140
        .size:           2
        .value_kind:     hidden_group_size_x
      - .offset:         142
        .size:           2
        .value_kind:     hidden_group_size_y
      - .offset:         144
        .size:           2
        .value_kind:     hidden_group_size_z
      - .offset:         146
        .size:           2
        .value_kind:     hidden_remainder_x
      - .offset:         148
        .size:           2
        .value_kind:     hidden_remainder_y
      - .offset:         150
        .size:           2
        .value_kind:     hidden_remainder_z
      - .offset:         168
        .size:           8
        .value_kind:     hidden_global_offset_x
      - .offset:         176
        .size:           8
        .value_kind:     hidden_global_offset_y
      - .offset:         184
        .size:           8
        .value_kind:     hidden_global_offset_z
      - .offset:         192
        .size:           2
        .value_kind:     hidden_grid_dims
      - .offset:         248
        .size:           4
        .value_kind:     hidden_dynamic_lds_size
    .group_segment_fixed_size: 400
    .kernarg_segment_align: 8
    .kernarg_segment_size: 384
    .language:       OpenCL C
    .language_version:
      - 2
      - 0
    .max_flat_workgroup_size: 1024
    .name:           _ZN4vllm25paged_attention_v1_kernelIttLi192ELi8ELi128ELNS_18Fp8KVCacheDataTypeE0ELb1EEEvPT_PKS2_PKT0_S8_ifPKiSA_iPKfiiiSC_SC_iiiii
    .private_segment_fixed_size: 0
    .sgpr_count:     48
    .sgpr_spill_count: 0
    .symbol:         _ZN4vllm25paged_attention_v1_kernelIttLi192ELi8ELi128ELNS_18Fp8KVCacheDataTypeE0ELb1EEEvPT_PKS2_PKT0_S8_ifPKiSA_iPKfiiiSC_SC_iiiii.kd
    .uniform_work_group_size: 1
    .uses_dynamic_stack: false
    .vgpr_count:     54
    .vgpr_spill_count: 0
    .wavefront_size: 64
  - .args:
      - .actual_access:  write_only
        .address_space:  global
        .offset:         0
        .size:           8
        .value_kind:     global_buffer
      - .actual_access:  read_only
        .address_space:  global
        .offset:         8
        .size:           8
        .value_kind:     global_buffer
      - .actual_access:  read_only
        .address_space:  global
        .offset:         16
        .size:           8
        .value_kind:     global_buffer
      - .actual_access:  read_only
        .address_space:  global
        .offset:         24
        .size:           8
        .value_kind:     global_buffer
      - .offset:         32
        .size:           4
        .value_kind:     by_value
      - .offset:         36
        .size:           4
        .value_kind:     by_value
      - .actual_access:  read_only
        .address_space:  global
        .offset:         40
        .size:           8
        .value_kind:     global_buffer
      - .actual_access:  read_only
        .address_space:  global
        .offset:         48
        .size:           8
        .value_kind:     global_buffer
      - .offset:         56
        .size:           4
        .value_kind:     by_value
      - .actual_access:  read_only
        .address_space:  global
        .offset:         64
        .size:           8
        .value_kind:     global_buffer
      - .offset:         72
        .size:           4
        .value_kind:     by_value
      - .offset:         76
        .size:           4
        .value_kind:     by_value
      - .offset:         80
        .size:           4
        .value_kind:     by_value
      - .address_space:  global
        .offset:         88
        .size:           8
        .value_kind:     global_buffer
      - .address_space:  global
        .offset:         96
        .size:           8
        .value_kind:     global_buffer
      - .offset:         104
        .size:           4
        .value_kind:     by_value
      - .offset:         108
        .size:           4
        .value_kind:     by_value
      - .offset:         112
        .size:           4
        .value_kind:     by_value
      - .offset:         116
        .size:           4
        .value_kind:     by_value
      - .offset:         120
        .size:           4
        .value_kind:     by_value
      - .offset:         128
        .size:           4
        .value_kind:     hidden_block_count_x
      - .offset:         132
        .size:           4
        .value_kind:     hidden_block_count_y
      - .offset:         136
        .size:           4
        .value_kind:     hidden_block_count_z
      - .offset:         140
        .size:           2
        .value_kind:     hidden_group_size_x
      - .offset:         142
        .size:           2
        .value_kind:     hidden_group_size_y
      - .offset:         144
        .size:           2
        .value_kind:     hidden_group_size_z
      - .offset:         146
        .size:           2
        .value_kind:     hidden_remainder_x
      - .offset:         148
        .size:           2
        .value_kind:     hidden_remainder_y
      - .offset:         150
        .size:           2
        .value_kind:     hidden_remainder_z
      - .offset:         168
        .size:           8
        .value_kind:     hidden_global_offset_x
      - .offset:         176
        .size:           8
        .value_kind:     hidden_global_offset_y
      - .offset:         184
        .size:           8
        .value_kind:     hidden_global_offset_z
      - .offset:         192
        .size:           2
        .value_kind:     hidden_grid_dims
      - .offset:         248
        .size:           4
        .value_kind:     hidden_dynamic_lds_size
    .group_segment_fixed_size: 528
    .kernarg_segment_align: 8
    .kernarg_segment_size: 384
    .language:       OpenCL C
    .language_version:
      - 2
      - 0
    .max_flat_workgroup_size: 1024
    .name:           _ZN4vllm25paged_attention_v1_kernelIttLi256ELi8ELi128ELNS_18Fp8KVCacheDataTypeE0ELb1EEEvPT_PKS2_PKT0_S8_ifPKiSA_iPKfiiiSC_SC_iiiii
    .private_segment_fixed_size: 0
    .sgpr_count:     48
    .sgpr_spill_count: 0
    .symbol:         _ZN4vllm25paged_attention_v1_kernelIttLi256ELi8ELi128ELNS_18Fp8KVCacheDataTypeE0ELb1EEEvPT_PKS2_PKT0_S8_ifPKiSA_iPKfiiiSC_SC_iiiii.kd
    .uniform_work_group_size: 1
    .uses_dynamic_stack: false
    .vgpr_count:     57
    .vgpr_spill_count: 0
    .wavefront_size: 64
  - .args:
      - .actual_access:  write_only
        .address_space:  global
        .offset:         0
        .size:           8
        .value_kind:     global_buffer
      - .actual_access:  read_only
        .address_space:  global
        .offset:         8
        .size:           8
        .value_kind:     global_buffer
      - .actual_access:  read_only
        .address_space:  global
        .offset:         16
        .size:           8
        .value_kind:     global_buffer
      - .actual_access:  read_only
        .address_space:  global
        .offset:         24
        .size:           8
        .value_kind:     global_buffer
      - .offset:         32
        .size:           4
        .value_kind:     by_value
      - .offset:         36
        .size:           4
        .value_kind:     by_value
      - .actual_access:  read_only
        .address_space:  global
        .offset:         40
        .size:           8
        .value_kind:     global_buffer
      - .actual_access:  read_only
        .address_space:  global
        .offset:         48
        .size:           8
        .value_kind:     global_buffer
      - .offset:         56
        .size:           4
        .value_kind:     by_value
      - .actual_access:  read_only
        .address_space:  global
        .offset:         64
        .size:           8
        .value_kind:     global_buffer
      - .offset:         72
        .size:           4
        .value_kind:     by_value
      - .offset:         76
        .size:           4
        .value_kind:     by_value
      - .offset:         80
        .size:           4
        .value_kind:     by_value
      - .address_space:  global
        .offset:         88
        .size:           8
        .value_kind:     global_buffer
      - .address_space:  global
        .offset:         96
        .size:           8
        .value_kind:     global_buffer
      - .offset:         104
        .size:           4
        .value_kind:     by_value
      - .offset:         108
        .size:           4
        .value_kind:     by_value
      - .offset:         112
        .size:           4
        .value_kind:     by_value
      - .offset:         116
        .size:           4
        .value_kind:     by_value
      - .offset:         120
        .size:           4
        .value_kind:     by_value
      - .offset:         128
        .size:           4
        .value_kind:     hidden_block_count_x
      - .offset:         132
        .size:           4
        .value_kind:     hidden_block_count_y
      - .offset:         136
        .size:           4
        .value_kind:     hidden_block_count_z
      - .offset:         140
        .size:           2
        .value_kind:     hidden_group_size_x
      - .offset:         142
        .size:           2
        .value_kind:     hidden_group_size_y
      - .offset:         144
        .size:           2
        .value_kind:     hidden_group_size_z
      - .offset:         146
        .size:           2
        .value_kind:     hidden_remainder_x
      - .offset:         148
        .size:           2
        .value_kind:     hidden_remainder_y
      - .offset:         150
        .size:           2
        .value_kind:     hidden_remainder_z
      - .offset:         168
        .size:           8
        .value_kind:     hidden_global_offset_x
      - .offset:         176
        .size:           8
        .value_kind:     hidden_global_offset_y
      - .offset:         184
        .size:           8
        .value_kind:     hidden_global_offset_z
      - .offset:         192
        .size:           2
        .value_kind:     hidden_grid_dims
      - .offset:         248
        .size:           4
        .value_kind:     hidden_dynamic_lds_size
    .group_segment_fixed_size: 80
    .kernarg_segment_align: 8
    .kernarg_segment_size: 384
    .language:       OpenCL C
    .language_version:
      - 2
      - 0
    .max_flat_workgroup_size: 1024
    .name:           _ZN4vllm25paged_attention_v1_kernelIttLi32ELi8ELi128ELNS_18Fp8KVCacheDataTypeE0ELb0EEEvPT_PKS2_PKT0_S8_ifPKiSA_iPKfiiiSC_SC_iiiii
    .private_segment_fixed_size: 0
    .sgpr_count:     38
    .sgpr_spill_count: 0
    .symbol:         _ZN4vllm25paged_attention_v1_kernelIttLi32ELi8ELi128ELNS_18Fp8KVCacheDataTypeE0ELb0EEEvPT_PKS2_PKT0_S8_ifPKiSA_iPKfiiiSC_SC_iiiii.kd
    .uniform_work_group_size: 1
    .uses_dynamic_stack: false
    .vgpr_count:     27
    .vgpr_spill_count: 0
    .wavefront_size: 64
  - .args:
      - .actual_access:  write_only
        .address_space:  global
        .offset:         0
        .size:           8
        .value_kind:     global_buffer
      - .actual_access:  read_only
        .address_space:  global
        .offset:         8
        .size:           8
        .value_kind:     global_buffer
      - .actual_access:  read_only
        .address_space:  global
        .offset:         16
        .size:           8
        .value_kind:     global_buffer
      - .actual_access:  read_only
        .address_space:  global
        .offset:         24
        .size:           8
        .value_kind:     global_buffer
      - .offset:         32
        .size:           4
        .value_kind:     by_value
      - .offset:         36
        .size:           4
        .value_kind:     by_value
      - .actual_access:  read_only
        .address_space:  global
        .offset:         40
        .size:           8
        .value_kind:     global_buffer
      - .actual_access:  read_only
        .address_space:  global
        .offset:         48
        .size:           8
        .value_kind:     global_buffer
      - .offset:         56
        .size:           4
        .value_kind:     by_value
      - .actual_access:  read_only
        .address_space:  global
        .offset:         64
        .size:           8
        .value_kind:     global_buffer
      - .offset:         72
        .size:           4
        .value_kind:     by_value
      - .offset:         76
        .size:           4
        .value_kind:     by_value
      - .offset:         80
        .size:           4
        .value_kind:     by_value
      - .address_space:  global
        .offset:         88
        .size:           8
        .value_kind:     global_buffer
      - .address_space:  global
        .offset:         96
        .size:           8
        .value_kind:     global_buffer
      - .offset:         104
        .size:           4
        .value_kind:     by_value
      - .offset:         108
        .size:           4
        .value_kind:     by_value
      - .offset:         112
        .size:           4
        .value_kind:     by_value
      - .offset:         116
        .size:           4
        .value_kind:     by_value
      - .offset:         120
        .size:           4
        .value_kind:     by_value
      - .offset:         128
        .size:           4
        .value_kind:     hidden_block_count_x
      - .offset:         132
        .size:           4
        .value_kind:     hidden_block_count_y
      - .offset:         136
        .size:           4
        .value_kind:     hidden_block_count_z
      - .offset:         140
        .size:           2
        .value_kind:     hidden_group_size_x
      - .offset:         142
        .size:           2
        .value_kind:     hidden_group_size_y
      - .offset:         144
        .size:           2
        .value_kind:     hidden_group_size_z
      - .offset:         146
        .size:           2
        .value_kind:     hidden_remainder_x
      - .offset:         148
        .size:           2
        .value_kind:     hidden_remainder_y
      - .offset:         150
        .size:           2
        .value_kind:     hidden_remainder_z
      - .offset:         168
        .size:           8
        .value_kind:     hidden_global_offset_x
      - .offset:         176
        .size:           8
        .value_kind:     hidden_global_offset_y
      - .offset:         184
        .size:           8
        .value_kind:     hidden_global_offset_z
      - .offset:         192
        .size:           2
        .value_kind:     hidden_grid_dims
      - .offset:         248
        .size:           4
        .value_kind:     hidden_dynamic_lds_size
    .group_segment_fixed_size: 144
    .kernarg_segment_align: 8
    .kernarg_segment_size: 384
    .language:       OpenCL C
    .language_version:
      - 2
      - 0
    .max_flat_workgroup_size: 1024
    .name:           _ZN4vllm25paged_attention_v1_kernelIttLi64ELi8ELi128ELNS_18Fp8KVCacheDataTypeE0ELb0EEEvPT_PKS2_PKT0_S8_ifPKiSA_iPKfiiiSC_SC_iiiii
    .private_segment_fixed_size: 0
    .sgpr_count:     40
    .sgpr_spill_count: 0
    .symbol:         _ZN4vllm25paged_attention_v1_kernelIttLi64ELi8ELi128ELNS_18Fp8KVCacheDataTypeE0ELb0EEEvPT_PKS2_PKT0_S8_ifPKiSA_iPKfiiiSC_SC_iiiii.kd
    .uniform_work_group_size: 1
    .uses_dynamic_stack: false
    .vgpr_count:     34
    .vgpr_spill_count: 0
    .wavefront_size: 64
  - .args:
      - .actual_access:  write_only
        .address_space:  global
        .offset:         0
        .size:           8
        .value_kind:     global_buffer
      - .actual_access:  read_only
        .address_space:  global
        .offset:         8
        .size:           8
        .value_kind:     global_buffer
      - .actual_access:  read_only
        .address_space:  global
        .offset:         16
        .size:           8
        .value_kind:     global_buffer
      - .actual_access:  read_only
        .address_space:  global
        .offset:         24
        .size:           8
        .value_kind:     global_buffer
      - .offset:         32
        .size:           4
        .value_kind:     by_value
      - .offset:         36
        .size:           4
        .value_kind:     by_value
      - .actual_access:  read_only
        .address_space:  global
        .offset:         40
        .size:           8
        .value_kind:     global_buffer
      - .actual_access:  read_only
        .address_space:  global
        .offset:         48
        .size:           8
        .value_kind:     global_buffer
      - .offset:         56
        .size:           4
        .value_kind:     by_value
      - .actual_access:  read_only
        .address_space:  global
        .offset:         64
        .size:           8
        .value_kind:     global_buffer
      - .offset:         72
        .size:           4
        .value_kind:     by_value
      - .offset:         76
        .size:           4
        .value_kind:     by_value
      - .offset:         80
        .size:           4
        .value_kind:     by_value
      - .address_space:  global
        .offset:         88
        .size:           8
        .value_kind:     global_buffer
      - .address_space:  global
        .offset:         96
        .size:           8
        .value_kind:     global_buffer
      - .offset:         104
        .size:           4
        .value_kind:     by_value
      - .offset:         108
        .size:           4
        .value_kind:     by_value
      - .offset:         112
        .size:           4
        .value_kind:     by_value
      - .offset:         116
        .size:           4
        .value_kind:     by_value
      - .offset:         120
        .size:           4
        .value_kind:     by_value
      - .offset:         128
        .size:           4
        .value_kind:     hidden_block_count_x
      - .offset:         132
        .size:           4
        .value_kind:     hidden_block_count_y
      - .offset:         136
        .size:           4
        .value_kind:     hidden_block_count_z
      - .offset:         140
        .size:           2
        .value_kind:     hidden_group_size_x
      - .offset:         142
        .size:           2
        .value_kind:     hidden_group_size_y
      - .offset:         144
        .size:           2
        .value_kind:     hidden_group_size_z
      - .offset:         146
        .size:           2
        .value_kind:     hidden_remainder_x
      - .offset:         148
        .size:           2
        .value_kind:     hidden_remainder_y
      - .offset:         150
        .size:           2
        .value_kind:     hidden_remainder_z
      - .offset:         168
        .size:           8
        .value_kind:     hidden_global_offset_x
      - .offset:         176
        .size:           8
        .value_kind:     hidden_global_offset_y
      - .offset:         184
        .size:           8
        .value_kind:     hidden_global_offset_z
      - .offset:         192
        .size:           2
        .value_kind:     hidden_grid_dims
      - .offset:         248
        .size:           4
        .value_kind:     hidden_dynamic_lds_size
    .group_segment_fixed_size: 176
    .kernarg_segment_align: 8
    .kernarg_segment_size: 384
    .language:       OpenCL C
    .language_version:
      - 2
      - 0
    .max_flat_workgroup_size: 1024
    .name:           _ZN4vllm25paged_attention_v1_kernelIttLi80ELi8ELi128ELNS_18Fp8KVCacheDataTypeE0ELb0EEEvPT_PKS2_PKT0_S8_ifPKiSA_iPKfiiiSC_SC_iiiii
    .private_segment_fixed_size: 0
    .sgpr_count:     40
    .sgpr_spill_count: 0
    .symbol:         _ZN4vllm25paged_attention_v1_kernelIttLi80ELi8ELi128ELNS_18Fp8KVCacheDataTypeE0ELb0EEEvPT_PKS2_PKT0_S8_ifPKiSA_iPKfiiiSC_SC_iiiii.kd
    .uniform_work_group_size: 1
    .uses_dynamic_stack: false
    .vgpr_count:     38
    .vgpr_spill_count: 0
    .wavefront_size: 64
  - .args:
      - .actual_access:  write_only
        .address_space:  global
        .offset:         0
        .size:           8
        .value_kind:     global_buffer
      - .actual_access:  read_only
        .address_space:  global
        .offset:         8
        .size:           8
        .value_kind:     global_buffer
      - .actual_access:  read_only
        .address_space:  global
        .offset:         16
        .size:           8
        .value_kind:     global_buffer
      - .actual_access:  read_only
        .address_space:  global
        .offset:         24
        .size:           8
        .value_kind:     global_buffer
      - .offset:         32
        .size:           4
        .value_kind:     by_value
      - .offset:         36
        .size:           4
        .value_kind:     by_value
      - .actual_access:  read_only
        .address_space:  global
        .offset:         40
        .size:           8
        .value_kind:     global_buffer
      - .actual_access:  read_only
        .address_space:  global
        .offset:         48
        .size:           8
        .value_kind:     global_buffer
      - .offset:         56
        .size:           4
        .value_kind:     by_value
      - .actual_access:  read_only
        .address_space:  global
        .offset:         64
        .size:           8
        .value_kind:     global_buffer
      - .offset:         72
        .size:           4
        .value_kind:     by_value
      - .offset:         76
        .size:           4
        .value_kind:     by_value
      - .offset:         80
        .size:           4
        .value_kind:     by_value
      - .address_space:  global
        .offset:         88
        .size:           8
        .value_kind:     global_buffer
      - .address_space:  global
        .offset:         96
        .size:           8
        .value_kind:     global_buffer
      - .offset:         104
        .size:           4
        .value_kind:     by_value
      - .offset:         108
        .size:           4
        .value_kind:     by_value
      - .offset:         112
        .size:           4
        .value_kind:     by_value
      - .offset:         116
        .size:           4
        .value_kind:     by_value
      - .offset:         120
        .size:           4
        .value_kind:     by_value
      - .offset:         128
        .size:           4
        .value_kind:     hidden_block_count_x
      - .offset:         132
        .size:           4
        .value_kind:     hidden_block_count_y
      - .offset:         136
        .size:           4
        .value_kind:     hidden_block_count_z
      - .offset:         140
        .size:           2
        .value_kind:     hidden_group_size_x
      - .offset:         142
        .size:           2
        .value_kind:     hidden_group_size_y
      - .offset:         144
        .size:           2
        .value_kind:     hidden_group_size_z
      - .offset:         146
        .size:           2
        .value_kind:     hidden_remainder_x
      - .offset:         148
        .size:           2
        .value_kind:     hidden_remainder_y
      - .offset:         150
        .size:           2
        .value_kind:     hidden_remainder_z
      - .offset:         168
        .size:           8
        .value_kind:     hidden_global_offset_x
      - .offset:         176
        .size:           8
        .value_kind:     hidden_global_offset_y
      - .offset:         184
        .size:           8
        .value_kind:     hidden_global_offset_z
      - .offset:         192
        .size:           2
        .value_kind:     hidden_grid_dims
      - .offset:         248
        .size:           4
        .value_kind:     hidden_dynamic_lds_size
    .group_segment_fixed_size: 208
    .kernarg_segment_align: 8
    .kernarg_segment_size: 384
    .language:       OpenCL C
    .language_version:
      - 2
      - 0
    .max_flat_workgroup_size: 1024
    .name:           _ZN4vllm25paged_attention_v1_kernelIttLi96ELi8ELi128ELNS_18Fp8KVCacheDataTypeE0ELb0EEEvPT_PKS2_PKT0_S8_ifPKiSA_iPKfiiiSC_SC_iiiii
    .private_segment_fixed_size: 0
    .sgpr_count:     40
    .sgpr_spill_count: 0
    .symbol:         _ZN4vllm25paged_attention_v1_kernelIttLi96ELi8ELi128ELNS_18Fp8KVCacheDataTypeE0ELb0EEEvPT_PKS2_PKT0_S8_ifPKiSA_iPKfiiiSC_SC_iiiii.kd
    .uniform_work_group_size: 1
    .uses_dynamic_stack: false
    .vgpr_count:     41
    .vgpr_spill_count: 0
    .wavefront_size: 64
  - .args:
      - .actual_access:  write_only
        .address_space:  global
        .offset:         0
        .size:           8
        .value_kind:     global_buffer
      - .actual_access:  read_only
        .address_space:  global
        .offset:         8
        .size:           8
        .value_kind:     global_buffer
      - .actual_access:  read_only
        .address_space:  global
        .offset:         16
        .size:           8
        .value_kind:     global_buffer
      - .actual_access:  read_only
        .address_space:  global
        .offset:         24
        .size:           8
        .value_kind:     global_buffer
      - .offset:         32
        .size:           4
        .value_kind:     by_value
      - .offset:         36
        .size:           4
        .value_kind:     by_value
      - .actual_access:  read_only
        .address_space:  global
        .offset:         40
        .size:           8
        .value_kind:     global_buffer
      - .actual_access:  read_only
        .address_space:  global
        .offset:         48
        .size:           8
        .value_kind:     global_buffer
      - .offset:         56
        .size:           4
        .value_kind:     by_value
      - .actual_access:  read_only
        .address_space:  global
        .offset:         64
        .size:           8
        .value_kind:     global_buffer
      - .offset:         72
        .size:           4
        .value_kind:     by_value
      - .offset:         76
        .size:           4
        .value_kind:     by_value
      - .offset:         80
        .size:           4
        .value_kind:     by_value
      - .address_space:  global
        .offset:         88
        .size:           8
        .value_kind:     global_buffer
      - .address_space:  global
        .offset:         96
        .size:           8
        .value_kind:     global_buffer
      - .offset:         104
        .size:           4
        .value_kind:     by_value
      - .offset:         108
        .size:           4
        .value_kind:     by_value
      - .offset:         112
        .size:           4
        .value_kind:     by_value
      - .offset:         116
        .size:           4
        .value_kind:     by_value
      - .offset:         120
        .size:           4
        .value_kind:     by_value
      - .offset:         128
        .size:           4
        .value_kind:     hidden_block_count_x
      - .offset:         132
        .size:           4
        .value_kind:     hidden_block_count_y
      - .offset:         136
        .size:           4
        .value_kind:     hidden_block_count_z
      - .offset:         140
        .size:           2
        .value_kind:     hidden_group_size_x
      - .offset:         142
        .size:           2
        .value_kind:     hidden_group_size_y
      - .offset:         144
        .size:           2
        .value_kind:     hidden_group_size_z
      - .offset:         146
        .size:           2
        .value_kind:     hidden_remainder_x
      - .offset:         148
        .size:           2
        .value_kind:     hidden_remainder_y
      - .offset:         150
        .size:           2
        .value_kind:     hidden_remainder_z
      - .offset:         168
        .size:           8
        .value_kind:     hidden_global_offset_x
      - .offset:         176
        .size:           8
        .value_kind:     hidden_global_offset_y
      - .offset:         184
        .size:           8
        .value_kind:     hidden_global_offset_z
      - .offset:         192
        .size:           2
        .value_kind:     hidden_grid_dims
      - .offset:         248
        .size:           4
        .value_kind:     hidden_dynamic_lds_size
    .group_segment_fixed_size: 240
    .kernarg_segment_align: 8
    .kernarg_segment_size: 384
    .language:       OpenCL C
    .language_version:
      - 2
      - 0
    .max_flat_workgroup_size: 1024
    .name:           _ZN4vllm25paged_attention_v1_kernelIttLi112ELi8ELi128ELNS_18Fp8KVCacheDataTypeE0ELb0EEEvPT_PKS2_PKT0_S8_ifPKiSA_iPKfiiiSC_SC_iiiii
    .private_segment_fixed_size: 0
    .sgpr_count:     40
    .sgpr_spill_count: 0
    .symbol:         _ZN4vllm25paged_attention_v1_kernelIttLi112ELi8ELi128ELNS_18Fp8KVCacheDataTypeE0ELb0EEEvPT_PKS2_PKT0_S8_ifPKiSA_iPKfiiiSC_SC_iiiii.kd
    .uniform_work_group_size: 1
    .uses_dynamic_stack: false
    .vgpr_count:     41
    .vgpr_spill_count: 0
    .wavefront_size: 64
  - .args:
      - .actual_access:  write_only
        .address_space:  global
        .offset:         0
        .size:           8
        .value_kind:     global_buffer
      - .actual_access:  read_only
        .address_space:  global
        .offset:         8
        .size:           8
        .value_kind:     global_buffer
      - .actual_access:  read_only
        .address_space:  global
        .offset:         16
        .size:           8
        .value_kind:     global_buffer
      - .actual_access:  read_only
        .address_space:  global
        .offset:         24
        .size:           8
        .value_kind:     global_buffer
      - .offset:         32
        .size:           4
        .value_kind:     by_value
      - .offset:         36
        .size:           4
        .value_kind:     by_value
      - .actual_access:  read_only
        .address_space:  global
        .offset:         40
        .size:           8
        .value_kind:     global_buffer
      - .actual_access:  read_only
        .address_space:  global
        .offset:         48
        .size:           8
        .value_kind:     global_buffer
      - .offset:         56
        .size:           4
        .value_kind:     by_value
      - .actual_access:  read_only
        .address_space:  global
        .offset:         64
        .size:           8
        .value_kind:     global_buffer
      - .offset:         72
        .size:           4
        .value_kind:     by_value
      - .offset:         76
        .size:           4
        .value_kind:     by_value
      - .offset:         80
        .size:           4
        .value_kind:     by_value
      - .address_space:  global
        .offset:         88
        .size:           8
        .value_kind:     global_buffer
      - .address_space:  global
        .offset:         96
        .size:           8
        .value_kind:     global_buffer
      - .offset:         104
        .size:           4
        .value_kind:     by_value
      - .offset:         108
        .size:           4
        .value_kind:     by_value
      - .offset:         112
        .size:           4
        .value_kind:     by_value
      - .offset:         116
        .size:           4
        .value_kind:     by_value
      - .offset:         120
        .size:           4
        .value_kind:     by_value
      - .offset:         128
        .size:           4
        .value_kind:     hidden_block_count_x
      - .offset:         132
        .size:           4
        .value_kind:     hidden_block_count_y
      - .offset:         136
        .size:           4
        .value_kind:     hidden_block_count_z
      - .offset:         140
        .size:           2
        .value_kind:     hidden_group_size_x
      - .offset:         142
        .size:           2
        .value_kind:     hidden_group_size_y
      - .offset:         144
        .size:           2
        .value_kind:     hidden_group_size_z
      - .offset:         146
        .size:           2
        .value_kind:     hidden_remainder_x
      - .offset:         148
        .size:           2
        .value_kind:     hidden_remainder_y
      - .offset:         150
        .size:           2
        .value_kind:     hidden_remainder_z
      - .offset:         168
        .size:           8
        .value_kind:     hidden_global_offset_x
      - .offset:         176
        .size:           8
        .value_kind:     hidden_global_offset_y
      - .offset:         184
        .size:           8
        .value_kind:     hidden_global_offset_z
      - .offset:         192
        .size:           2
        .value_kind:     hidden_grid_dims
      - .offset:         248
        .size:           4
        .value_kind:     hidden_dynamic_lds_size
    .group_segment_fixed_size: 256
    .kernarg_segment_align: 8
    .kernarg_segment_size: 384
    .language:       OpenCL C
    .language_version:
      - 2
      - 0
    .max_flat_workgroup_size: 1024
    .name:           _ZN4vllm25paged_attention_v1_kernelIttLi120ELi8ELi128ELNS_18Fp8KVCacheDataTypeE0ELb0EEEvPT_PKS2_PKT0_S8_ifPKiSA_iPKfiiiSC_SC_iiiii
    .private_segment_fixed_size: 0
    .sgpr_count:     40
    .sgpr_spill_count: 0
    .symbol:         _ZN4vllm25paged_attention_v1_kernelIttLi120ELi8ELi128ELNS_18Fp8KVCacheDataTypeE0ELb0EEEvPT_PKS2_PKT0_S8_ifPKiSA_iPKfiiiSC_SC_iiiii.kd
    .uniform_work_group_size: 1
    .uses_dynamic_stack: false
    .vgpr_count:     45
    .vgpr_spill_count: 0
    .wavefront_size: 64
  - .args:
      - .actual_access:  write_only
        .address_space:  global
        .offset:         0
        .size:           8
        .value_kind:     global_buffer
      - .actual_access:  read_only
        .address_space:  global
        .offset:         8
        .size:           8
        .value_kind:     global_buffer
      - .actual_access:  read_only
        .address_space:  global
        .offset:         16
        .size:           8
        .value_kind:     global_buffer
      - .actual_access:  read_only
        .address_space:  global
        .offset:         24
        .size:           8
        .value_kind:     global_buffer
      - .offset:         32
        .size:           4
        .value_kind:     by_value
      - .offset:         36
        .size:           4
        .value_kind:     by_value
      - .actual_access:  read_only
        .address_space:  global
        .offset:         40
        .size:           8
        .value_kind:     global_buffer
      - .actual_access:  read_only
        .address_space:  global
        .offset:         48
        .size:           8
        .value_kind:     global_buffer
      - .offset:         56
        .size:           4
        .value_kind:     by_value
      - .actual_access:  read_only
        .address_space:  global
        .offset:         64
        .size:           8
        .value_kind:     global_buffer
      - .offset:         72
        .size:           4
        .value_kind:     by_value
      - .offset:         76
        .size:           4
        .value_kind:     by_value
      - .offset:         80
        .size:           4
        .value_kind:     by_value
      - .address_space:  global
        .offset:         88
        .size:           8
        .value_kind:     global_buffer
      - .address_space:  global
        .offset:         96
        .size:           8
        .value_kind:     global_buffer
      - .offset:         104
        .size:           4
        .value_kind:     by_value
      - .offset:         108
        .size:           4
        .value_kind:     by_value
      - .offset:         112
        .size:           4
        .value_kind:     by_value
      - .offset:         116
        .size:           4
        .value_kind:     by_value
      - .offset:         120
        .size:           4
        .value_kind:     by_value
      - .offset:         128
        .size:           4
        .value_kind:     hidden_block_count_x
      - .offset:         132
        .size:           4
        .value_kind:     hidden_block_count_y
      - .offset:         136
        .size:           4
        .value_kind:     hidden_block_count_z
      - .offset:         140
        .size:           2
        .value_kind:     hidden_group_size_x
      - .offset:         142
        .size:           2
        .value_kind:     hidden_group_size_y
      - .offset:         144
        .size:           2
        .value_kind:     hidden_group_size_z
      - .offset:         146
        .size:           2
        .value_kind:     hidden_remainder_x
      - .offset:         148
        .size:           2
        .value_kind:     hidden_remainder_y
      - .offset:         150
        .size:           2
        .value_kind:     hidden_remainder_z
      - .offset:         168
        .size:           8
        .value_kind:     hidden_global_offset_x
      - .offset:         176
        .size:           8
        .value_kind:     hidden_global_offset_y
      - .offset:         184
        .size:           8
        .value_kind:     hidden_global_offset_z
      - .offset:         192
        .size:           2
        .value_kind:     hidden_grid_dims
      - .offset:         248
        .size:           4
        .value_kind:     hidden_dynamic_lds_size
    .group_segment_fixed_size: 272
    .kernarg_segment_align: 8
    .kernarg_segment_size: 384
    .language:       OpenCL C
    .language_version:
      - 2
      - 0
    .max_flat_workgroup_size: 1024
    .name:           _ZN4vllm25paged_attention_v1_kernelIttLi128ELi8ELi128ELNS_18Fp8KVCacheDataTypeE0ELb0EEEvPT_PKS2_PKT0_S8_ifPKiSA_iPKfiiiSC_SC_iiiii
    .private_segment_fixed_size: 0
    .sgpr_count:     38
    .sgpr_spill_count: 0
    .symbol:         _ZN4vllm25paged_attention_v1_kernelIttLi128ELi8ELi128ELNS_18Fp8KVCacheDataTypeE0ELb0EEEvPT_PKS2_PKT0_S8_ifPKiSA_iPKfiiiSC_SC_iiiii.kd
    .uniform_work_group_size: 1
    .uses_dynamic_stack: false
    .vgpr_count:     45
    .vgpr_spill_count: 0
    .wavefront_size: 64
  - .args:
      - .actual_access:  write_only
        .address_space:  global
        .offset:         0
        .size:           8
        .value_kind:     global_buffer
      - .actual_access:  read_only
        .address_space:  global
        .offset:         8
        .size:           8
        .value_kind:     global_buffer
      - .actual_access:  read_only
        .address_space:  global
        .offset:         16
        .size:           8
        .value_kind:     global_buffer
      - .actual_access:  read_only
        .address_space:  global
        .offset:         24
        .size:           8
        .value_kind:     global_buffer
      - .offset:         32
        .size:           4
        .value_kind:     by_value
      - .offset:         36
        .size:           4
        .value_kind:     by_value
      - .actual_access:  read_only
        .address_space:  global
        .offset:         40
        .size:           8
        .value_kind:     global_buffer
      - .actual_access:  read_only
        .address_space:  global
        .offset:         48
        .size:           8
        .value_kind:     global_buffer
      - .offset:         56
        .size:           4
        .value_kind:     by_value
      - .actual_access:  read_only
        .address_space:  global
        .offset:         64
        .size:           8
        .value_kind:     global_buffer
      - .offset:         72
        .size:           4
        .value_kind:     by_value
      - .offset:         76
        .size:           4
        .value_kind:     by_value
      - .offset:         80
        .size:           4
        .value_kind:     by_value
      - .address_space:  global
        .offset:         88
        .size:           8
        .value_kind:     global_buffer
      - .address_space:  global
        .offset:         96
        .size:           8
        .value_kind:     global_buffer
      - .offset:         104
        .size:           4
        .value_kind:     by_value
      - .offset:         108
        .size:           4
        .value_kind:     by_value
      - .offset:         112
        .size:           4
        .value_kind:     by_value
      - .offset:         116
        .size:           4
        .value_kind:     by_value
      - .offset:         120
        .size:           4
        .value_kind:     by_value
      - .offset:         128
        .size:           4
        .value_kind:     hidden_block_count_x
      - .offset:         132
        .size:           4
        .value_kind:     hidden_block_count_y
      - .offset:         136
        .size:           4
        .value_kind:     hidden_block_count_z
      - .offset:         140
        .size:           2
        .value_kind:     hidden_group_size_x
      - .offset:         142
        .size:           2
        .value_kind:     hidden_group_size_y
      - .offset:         144
        .size:           2
        .value_kind:     hidden_group_size_z
      - .offset:         146
        .size:           2
        .value_kind:     hidden_remainder_x
      - .offset:         148
        .size:           2
        .value_kind:     hidden_remainder_y
      - .offset:         150
        .size:           2
        .value_kind:     hidden_remainder_z
      - .offset:         168
        .size:           8
        .value_kind:     hidden_global_offset_x
      - .offset:         176
        .size:           8
        .value_kind:     hidden_global_offset_y
      - .offset:         184
        .size:           8
        .value_kind:     hidden_global_offset_z
      - .offset:         192
        .size:           2
        .value_kind:     hidden_grid_dims
      - .offset:         248
        .size:           4
        .value_kind:     hidden_dynamic_lds_size
    .group_segment_fixed_size: 400
    .kernarg_segment_align: 8
    .kernarg_segment_size: 384
    .language:       OpenCL C
    .language_version:
      - 2
      - 0
    .max_flat_workgroup_size: 1024
    .name:           _ZN4vllm25paged_attention_v1_kernelIttLi192ELi8ELi128ELNS_18Fp8KVCacheDataTypeE0ELb0EEEvPT_PKS2_PKT0_S8_ifPKiSA_iPKfiiiSC_SC_iiiii
    .private_segment_fixed_size: 0
    .sgpr_count:     38
    .sgpr_spill_count: 0
    .symbol:         _ZN4vllm25paged_attention_v1_kernelIttLi192ELi8ELi128ELNS_18Fp8KVCacheDataTypeE0ELb0EEEvPT_PKS2_PKT0_S8_ifPKiSA_iPKfiiiSC_SC_iiiii.kd
    .uniform_work_group_size: 1
    .uses_dynamic_stack: false
    .vgpr_count:     55
    .vgpr_spill_count: 0
    .wavefront_size: 64
  - .args:
      - .actual_access:  write_only
        .address_space:  global
        .offset:         0
        .size:           8
        .value_kind:     global_buffer
      - .actual_access:  read_only
        .address_space:  global
        .offset:         8
        .size:           8
        .value_kind:     global_buffer
      - .actual_access:  read_only
        .address_space:  global
        .offset:         16
        .size:           8
        .value_kind:     global_buffer
      - .actual_access:  read_only
        .address_space:  global
        .offset:         24
        .size:           8
        .value_kind:     global_buffer
      - .offset:         32
        .size:           4
        .value_kind:     by_value
      - .offset:         36
        .size:           4
        .value_kind:     by_value
      - .actual_access:  read_only
        .address_space:  global
        .offset:         40
        .size:           8
        .value_kind:     global_buffer
      - .actual_access:  read_only
        .address_space:  global
        .offset:         48
        .size:           8
        .value_kind:     global_buffer
      - .offset:         56
        .size:           4
        .value_kind:     by_value
      - .actual_access:  read_only
        .address_space:  global
        .offset:         64
        .size:           8
        .value_kind:     global_buffer
      - .offset:         72
        .size:           4
        .value_kind:     by_value
      - .offset:         76
        .size:           4
        .value_kind:     by_value
      - .offset:         80
        .size:           4
        .value_kind:     by_value
      - .address_space:  global
        .offset:         88
        .size:           8
        .value_kind:     global_buffer
      - .address_space:  global
        .offset:         96
        .size:           8
        .value_kind:     global_buffer
      - .offset:         104
        .size:           4
        .value_kind:     by_value
      - .offset:         108
        .size:           4
        .value_kind:     by_value
      - .offset:         112
        .size:           4
        .value_kind:     by_value
      - .offset:         116
        .size:           4
        .value_kind:     by_value
      - .offset:         120
        .size:           4
        .value_kind:     by_value
      - .offset:         128
        .size:           4
        .value_kind:     hidden_block_count_x
      - .offset:         132
        .size:           4
        .value_kind:     hidden_block_count_y
      - .offset:         136
        .size:           4
        .value_kind:     hidden_block_count_z
      - .offset:         140
        .size:           2
        .value_kind:     hidden_group_size_x
      - .offset:         142
        .size:           2
        .value_kind:     hidden_group_size_y
      - .offset:         144
        .size:           2
        .value_kind:     hidden_group_size_z
      - .offset:         146
        .size:           2
        .value_kind:     hidden_remainder_x
      - .offset:         148
        .size:           2
        .value_kind:     hidden_remainder_y
      - .offset:         150
        .size:           2
        .value_kind:     hidden_remainder_z
      - .offset:         168
        .size:           8
        .value_kind:     hidden_global_offset_x
      - .offset:         176
        .size:           8
        .value_kind:     hidden_global_offset_y
      - .offset:         184
        .size:           8
        .value_kind:     hidden_global_offset_z
      - .offset:         192
        .size:           2
        .value_kind:     hidden_grid_dims
      - .offset:         248
        .size:           4
        .value_kind:     hidden_dynamic_lds_size
    .group_segment_fixed_size: 528
    .kernarg_segment_align: 8
    .kernarg_segment_size: 384
    .language:       OpenCL C
    .language_version:
      - 2
      - 0
    .max_flat_workgroup_size: 1024
    .name:           _ZN4vllm25paged_attention_v1_kernelIttLi256ELi8ELi128ELNS_18Fp8KVCacheDataTypeE0ELb0EEEvPT_PKS2_PKT0_S8_ifPKiSA_iPKfiiiSC_SC_iiiii
    .private_segment_fixed_size: 0
    .sgpr_count:     38
    .sgpr_spill_count: 0
    .symbol:         _ZN4vllm25paged_attention_v1_kernelIttLi256ELi8ELi128ELNS_18Fp8KVCacheDataTypeE0ELb0EEEvPT_PKS2_PKT0_S8_ifPKiSA_iPKfiiiSC_SC_iiiii.kd
    .uniform_work_group_size: 1
    .uses_dynamic_stack: false
    .vgpr_count:     53
    .vgpr_spill_count: 0
    .wavefront_size: 64
  - .args:
      - .actual_access:  write_only
        .address_space:  global
        .offset:         0
        .size:           8
        .value_kind:     global_buffer
      - .actual_access:  read_only
        .address_space:  global
        .offset:         8
        .size:           8
        .value_kind:     global_buffer
      - .actual_access:  read_only
        .address_space:  global
        .offset:         16
        .size:           8
        .value_kind:     global_buffer
      - .actual_access:  read_only
        .address_space:  global
        .offset:         24
        .size:           8
        .value_kind:     global_buffer
      - .offset:         32
        .size:           4
        .value_kind:     by_value
      - .offset:         36
        .size:           4
        .value_kind:     by_value
      - .actual_access:  read_only
        .address_space:  global
        .offset:         40
        .size:           8
        .value_kind:     global_buffer
      - .actual_access:  read_only
        .address_space:  global
        .offset:         48
        .size:           8
        .value_kind:     global_buffer
      - .offset:         56
        .size:           4
        .value_kind:     by_value
      - .actual_access:  read_only
        .address_space:  global
        .offset:         64
        .size:           8
        .value_kind:     global_buffer
      - .offset:         72
        .size:           4
        .value_kind:     by_value
      - .offset:         76
        .size:           4
        .value_kind:     by_value
      - .offset:         80
        .size:           4
        .value_kind:     by_value
      - .address_space:  global
        .offset:         88
        .size:           8
        .value_kind:     global_buffer
      - .address_space:  global
        .offset:         96
        .size:           8
        .value_kind:     global_buffer
      - .offset:         104
        .size:           4
        .value_kind:     by_value
      - .offset:         108
        .size:           4
        .value_kind:     by_value
      - .offset:         112
        .size:           4
        .value_kind:     by_value
      - .offset:         116
        .size:           4
        .value_kind:     by_value
      - .offset:         120
        .size:           4
        .value_kind:     by_value
      - .offset:         128
        .size:           4
        .value_kind:     hidden_block_count_x
      - .offset:         132
        .size:           4
        .value_kind:     hidden_block_count_y
      - .offset:         136
        .size:           4
        .value_kind:     hidden_block_count_z
      - .offset:         140
        .size:           2
        .value_kind:     hidden_group_size_x
      - .offset:         142
        .size:           2
        .value_kind:     hidden_group_size_y
      - .offset:         144
        .size:           2
        .value_kind:     hidden_group_size_z
      - .offset:         146
        .size:           2
        .value_kind:     hidden_remainder_x
      - .offset:         148
        .size:           2
        .value_kind:     hidden_remainder_y
      - .offset:         150
        .size:           2
        .value_kind:     hidden_remainder_z
      - .offset:         168
        .size:           8
        .value_kind:     hidden_global_offset_x
      - .offset:         176
        .size:           8
        .value_kind:     hidden_global_offset_y
      - .offset:         184
        .size:           8
        .value_kind:     hidden_global_offset_z
      - .offset:         192
        .size:           2
        .value_kind:     hidden_grid_dims
      - .offset:         248
        .size:           4
        .value_kind:     hidden_dynamic_lds_size
    .group_segment_fixed_size: 80
    .kernarg_segment_align: 8
    .kernarg_segment_size: 384
    .language:       OpenCL C
    .language_version:
      - 2
      - 0
    .max_flat_workgroup_size: 1024
    .name:           _ZN4vllm25paged_attention_v1_kernelIttLi32ELi16ELi128ELNS_18Fp8KVCacheDataTypeE0ELb1EEEvPT_PKS2_PKT0_S8_ifPKiSA_iPKfiiiSC_SC_iiiii
    .private_segment_fixed_size: 0
    .sgpr_count:     48
    .sgpr_spill_count: 0
    .symbol:         _ZN4vllm25paged_attention_v1_kernelIttLi32ELi16ELi128ELNS_18Fp8KVCacheDataTypeE0ELb1EEEvPT_PKS2_PKT0_S8_ifPKiSA_iPKfiiiSC_SC_iiiii.kd
    .uniform_work_group_size: 1
    .uses_dynamic_stack: false
    .vgpr_count:     36
    .vgpr_spill_count: 0
    .wavefront_size: 64
  - .args:
      - .actual_access:  write_only
        .address_space:  global
        .offset:         0
        .size:           8
        .value_kind:     global_buffer
      - .actual_access:  read_only
        .address_space:  global
        .offset:         8
        .size:           8
        .value_kind:     global_buffer
      - .actual_access:  read_only
        .address_space:  global
        .offset:         16
        .size:           8
        .value_kind:     global_buffer
      - .actual_access:  read_only
        .address_space:  global
        .offset:         24
        .size:           8
        .value_kind:     global_buffer
      - .offset:         32
        .size:           4
        .value_kind:     by_value
      - .offset:         36
        .size:           4
        .value_kind:     by_value
      - .actual_access:  read_only
        .address_space:  global
        .offset:         40
        .size:           8
        .value_kind:     global_buffer
      - .actual_access:  read_only
        .address_space:  global
        .offset:         48
        .size:           8
        .value_kind:     global_buffer
      - .offset:         56
        .size:           4
        .value_kind:     by_value
      - .actual_access:  read_only
        .address_space:  global
        .offset:         64
        .size:           8
        .value_kind:     global_buffer
      - .offset:         72
        .size:           4
        .value_kind:     by_value
      - .offset:         76
        .size:           4
        .value_kind:     by_value
      - .offset:         80
        .size:           4
        .value_kind:     by_value
      - .address_space:  global
        .offset:         88
        .size:           8
        .value_kind:     global_buffer
      - .address_space:  global
        .offset:         96
        .size:           8
        .value_kind:     global_buffer
      - .offset:         104
        .size:           4
        .value_kind:     by_value
      - .offset:         108
        .size:           4
        .value_kind:     by_value
      - .offset:         112
        .size:           4
        .value_kind:     by_value
      - .offset:         116
        .size:           4
        .value_kind:     by_value
      - .offset:         120
        .size:           4
        .value_kind:     by_value
      - .offset:         128
        .size:           4
        .value_kind:     hidden_block_count_x
      - .offset:         132
        .size:           4
        .value_kind:     hidden_block_count_y
      - .offset:         136
        .size:           4
        .value_kind:     hidden_block_count_z
      - .offset:         140
        .size:           2
        .value_kind:     hidden_group_size_x
      - .offset:         142
        .size:           2
        .value_kind:     hidden_group_size_y
      - .offset:         144
        .size:           2
        .value_kind:     hidden_group_size_z
      - .offset:         146
        .size:           2
        .value_kind:     hidden_remainder_x
      - .offset:         148
        .size:           2
        .value_kind:     hidden_remainder_y
      - .offset:         150
        .size:           2
        .value_kind:     hidden_remainder_z
      - .offset:         168
        .size:           8
        .value_kind:     hidden_global_offset_x
      - .offset:         176
        .size:           8
        .value_kind:     hidden_global_offset_y
      - .offset:         184
        .size:           8
        .value_kind:     hidden_global_offset_z
      - .offset:         192
        .size:           2
        .value_kind:     hidden_grid_dims
      - .offset:         248
        .size:           4
        .value_kind:     hidden_dynamic_lds_size
    .group_segment_fixed_size: 144
    .kernarg_segment_align: 8
    .kernarg_segment_size: 384
    .language:       OpenCL C
    .language_version:
      - 2
      - 0
    .max_flat_workgroup_size: 1024
    .name:           _ZN4vllm25paged_attention_v1_kernelIttLi64ELi16ELi128ELNS_18Fp8KVCacheDataTypeE0ELb1EEEvPT_PKS2_PKT0_S8_ifPKiSA_iPKfiiiSC_SC_iiiii
    .private_segment_fixed_size: 0
    .sgpr_count:     48
    .sgpr_spill_count: 0
    .symbol:         _ZN4vllm25paged_attention_v1_kernelIttLi64ELi16ELi128ELNS_18Fp8KVCacheDataTypeE0ELb1EEEvPT_PKS2_PKT0_S8_ifPKiSA_iPKfiiiSC_SC_iiiii.kd
    .uniform_work_group_size: 1
    .uses_dynamic_stack: false
    .vgpr_count:     42
    .vgpr_spill_count: 0
    .wavefront_size: 64
  - .args:
      - .actual_access:  write_only
        .address_space:  global
        .offset:         0
        .size:           8
        .value_kind:     global_buffer
      - .actual_access:  read_only
        .address_space:  global
        .offset:         8
        .size:           8
        .value_kind:     global_buffer
      - .actual_access:  read_only
        .address_space:  global
        .offset:         16
        .size:           8
        .value_kind:     global_buffer
      - .actual_access:  read_only
        .address_space:  global
        .offset:         24
        .size:           8
        .value_kind:     global_buffer
      - .offset:         32
        .size:           4
        .value_kind:     by_value
      - .offset:         36
        .size:           4
        .value_kind:     by_value
      - .actual_access:  read_only
        .address_space:  global
        .offset:         40
        .size:           8
        .value_kind:     global_buffer
      - .actual_access:  read_only
        .address_space:  global
        .offset:         48
        .size:           8
        .value_kind:     global_buffer
      - .offset:         56
        .size:           4
        .value_kind:     by_value
      - .actual_access:  read_only
        .address_space:  global
        .offset:         64
        .size:           8
        .value_kind:     global_buffer
      - .offset:         72
        .size:           4
        .value_kind:     by_value
      - .offset:         76
        .size:           4
        .value_kind:     by_value
      - .offset:         80
        .size:           4
        .value_kind:     by_value
      - .address_space:  global
        .offset:         88
        .size:           8
        .value_kind:     global_buffer
      - .address_space:  global
        .offset:         96
        .size:           8
        .value_kind:     global_buffer
      - .offset:         104
        .size:           4
        .value_kind:     by_value
      - .offset:         108
        .size:           4
        .value_kind:     by_value
      - .offset:         112
        .size:           4
        .value_kind:     by_value
      - .offset:         116
        .size:           4
        .value_kind:     by_value
      - .offset:         120
        .size:           4
        .value_kind:     by_value
      - .offset:         128
        .size:           4
        .value_kind:     hidden_block_count_x
      - .offset:         132
        .size:           4
        .value_kind:     hidden_block_count_y
      - .offset:         136
        .size:           4
        .value_kind:     hidden_block_count_z
      - .offset:         140
        .size:           2
        .value_kind:     hidden_group_size_x
      - .offset:         142
        .size:           2
        .value_kind:     hidden_group_size_y
      - .offset:         144
        .size:           2
        .value_kind:     hidden_group_size_z
      - .offset:         146
        .size:           2
        .value_kind:     hidden_remainder_x
      - .offset:         148
        .size:           2
        .value_kind:     hidden_remainder_y
      - .offset:         150
        .size:           2
        .value_kind:     hidden_remainder_z
      - .offset:         168
        .size:           8
        .value_kind:     hidden_global_offset_x
      - .offset:         176
        .size:           8
        .value_kind:     hidden_global_offset_y
      - .offset:         184
        .size:           8
        .value_kind:     hidden_global_offset_z
      - .offset:         192
        .size:           2
        .value_kind:     hidden_grid_dims
      - .offset:         248
        .size:           4
        .value_kind:     hidden_dynamic_lds_size
    .group_segment_fixed_size: 176
    .kernarg_segment_align: 8
    .kernarg_segment_size: 384
    .language:       OpenCL C
    .language_version:
      - 2
      - 0
    .max_flat_workgroup_size: 1024
    .name:           _ZN4vllm25paged_attention_v1_kernelIttLi80ELi16ELi128ELNS_18Fp8KVCacheDataTypeE0ELb1EEEvPT_PKS2_PKT0_S8_ifPKiSA_iPKfiiiSC_SC_iiiii
    .private_segment_fixed_size: 0
    .sgpr_count:     48
    .sgpr_spill_count: 0
    .symbol:         _ZN4vllm25paged_attention_v1_kernelIttLi80ELi16ELi128ELNS_18Fp8KVCacheDataTypeE0ELb1EEEvPT_PKS2_PKT0_S8_ifPKiSA_iPKfiiiSC_SC_iiiii.kd
    .uniform_work_group_size: 1
    .uses_dynamic_stack: false
    .vgpr_count:     51
    .vgpr_spill_count: 0
    .wavefront_size: 64
  - .args:
      - .actual_access:  write_only
        .address_space:  global
        .offset:         0
        .size:           8
        .value_kind:     global_buffer
      - .actual_access:  read_only
        .address_space:  global
        .offset:         8
        .size:           8
        .value_kind:     global_buffer
      - .actual_access:  read_only
        .address_space:  global
        .offset:         16
        .size:           8
        .value_kind:     global_buffer
      - .actual_access:  read_only
        .address_space:  global
        .offset:         24
        .size:           8
        .value_kind:     global_buffer
      - .offset:         32
        .size:           4
        .value_kind:     by_value
      - .offset:         36
        .size:           4
        .value_kind:     by_value
      - .actual_access:  read_only
        .address_space:  global
        .offset:         40
        .size:           8
        .value_kind:     global_buffer
      - .actual_access:  read_only
        .address_space:  global
        .offset:         48
        .size:           8
        .value_kind:     global_buffer
      - .offset:         56
        .size:           4
        .value_kind:     by_value
      - .actual_access:  read_only
        .address_space:  global
        .offset:         64
        .size:           8
        .value_kind:     global_buffer
      - .offset:         72
        .size:           4
        .value_kind:     by_value
      - .offset:         76
        .size:           4
        .value_kind:     by_value
      - .offset:         80
        .size:           4
        .value_kind:     by_value
      - .address_space:  global
        .offset:         88
        .size:           8
        .value_kind:     global_buffer
      - .address_space:  global
        .offset:         96
        .size:           8
        .value_kind:     global_buffer
      - .offset:         104
        .size:           4
        .value_kind:     by_value
      - .offset:         108
        .size:           4
        .value_kind:     by_value
      - .offset:         112
        .size:           4
        .value_kind:     by_value
      - .offset:         116
        .size:           4
        .value_kind:     by_value
      - .offset:         120
        .size:           4
        .value_kind:     by_value
      - .offset:         128
        .size:           4
        .value_kind:     hidden_block_count_x
      - .offset:         132
        .size:           4
        .value_kind:     hidden_block_count_y
      - .offset:         136
        .size:           4
        .value_kind:     hidden_block_count_z
      - .offset:         140
        .size:           2
        .value_kind:     hidden_group_size_x
      - .offset:         142
        .size:           2
        .value_kind:     hidden_group_size_y
      - .offset:         144
        .size:           2
        .value_kind:     hidden_group_size_z
      - .offset:         146
        .size:           2
        .value_kind:     hidden_remainder_x
      - .offset:         148
        .size:           2
        .value_kind:     hidden_remainder_y
      - .offset:         150
        .size:           2
        .value_kind:     hidden_remainder_z
      - .offset:         168
        .size:           8
        .value_kind:     hidden_global_offset_x
      - .offset:         176
        .size:           8
        .value_kind:     hidden_global_offset_y
      - .offset:         184
        .size:           8
        .value_kind:     hidden_global_offset_z
      - .offset:         192
        .size:           2
        .value_kind:     hidden_grid_dims
      - .offset:         248
        .size:           4
        .value_kind:     hidden_dynamic_lds_size
    .group_segment_fixed_size: 208
    .kernarg_segment_align: 8
    .kernarg_segment_size: 384
    .language:       OpenCL C
    .language_version:
      - 2
      - 0
    .max_flat_workgroup_size: 1024
    .name:           _ZN4vllm25paged_attention_v1_kernelIttLi96ELi16ELi128ELNS_18Fp8KVCacheDataTypeE0ELb1EEEvPT_PKS2_PKT0_S8_ifPKiSA_iPKfiiiSC_SC_iiiii
    .private_segment_fixed_size: 0
    .sgpr_count:     48
    .sgpr_spill_count: 0
    .symbol:         _ZN4vllm25paged_attention_v1_kernelIttLi96ELi16ELi128ELNS_18Fp8KVCacheDataTypeE0ELb1EEEvPT_PKS2_PKT0_S8_ifPKiSA_iPKfiiiSC_SC_iiiii.kd
    .uniform_work_group_size: 1
    .uses_dynamic_stack: false
    .vgpr_count:     58
    .vgpr_spill_count: 0
    .wavefront_size: 64
  - .args:
      - .actual_access:  write_only
        .address_space:  global
        .offset:         0
        .size:           8
        .value_kind:     global_buffer
      - .actual_access:  read_only
        .address_space:  global
        .offset:         8
        .size:           8
        .value_kind:     global_buffer
      - .actual_access:  read_only
        .address_space:  global
        .offset:         16
        .size:           8
        .value_kind:     global_buffer
      - .actual_access:  read_only
        .address_space:  global
        .offset:         24
        .size:           8
        .value_kind:     global_buffer
      - .offset:         32
        .size:           4
        .value_kind:     by_value
      - .offset:         36
        .size:           4
        .value_kind:     by_value
      - .actual_access:  read_only
        .address_space:  global
        .offset:         40
        .size:           8
        .value_kind:     global_buffer
      - .actual_access:  read_only
        .address_space:  global
        .offset:         48
        .size:           8
        .value_kind:     global_buffer
      - .offset:         56
        .size:           4
        .value_kind:     by_value
      - .actual_access:  read_only
        .address_space:  global
        .offset:         64
        .size:           8
        .value_kind:     global_buffer
      - .offset:         72
        .size:           4
        .value_kind:     by_value
      - .offset:         76
        .size:           4
        .value_kind:     by_value
      - .offset:         80
        .size:           4
        .value_kind:     by_value
      - .address_space:  global
        .offset:         88
        .size:           8
        .value_kind:     global_buffer
      - .address_space:  global
        .offset:         96
        .size:           8
        .value_kind:     global_buffer
      - .offset:         104
        .size:           4
        .value_kind:     by_value
      - .offset:         108
        .size:           4
        .value_kind:     by_value
      - .offset:         112
        .size:           4
        .value_kind:     by_value
      - .offset:         116
        .size:           4
        .value_kind:     by_value
      - .offset:         120
        .size:           4
        .value_kind:     by_value
      - .offset:         128
        .size:           4
        .value_kind:     hidden_block_count_x
      - .offset:         132
        .size:           4
        .value_kind:     hidden_block_count_y
      - .offset:         136
        .size:           4
        .value_kind:     hidden_block_count_z
      - .offset:         140
        .size:           2
        .value_kind:     hidden_group_size_x
      - .offset:         142
        .size:           2
        .value_kind:     hidden_group_size_y
      - .offset:         144
        .size:           2
        .value_kind:     hidden_group_size_z
      - .offset:         146
        .size:           2
        .value_kind:     hidden_remainder_x
      - .offset:         148
        .size:           2
        .value_kind:     hidden_remainder_y
      - .offset:         150
        .size:           2
        .value_kind:     hidden_remainder_z
      - .offset:         168
        .size:           8
        .value_kind:     hidden_global_offset_x
      - .offset:         176
        .size:           8
        .value_kind:     hidden_global_offset_y
      - .offset:         184
        .size:           8
        .value_kind:     hidden_global_offset_z
      - .offset:         192
        .size:           2
        .value_kind:     hidden_grid_dims
      - .offset:         248
        .size:           4
        .value_kind:     hidden_dynamic_lds_size
    .group_segment_fixed_size: 240
    .kernarg_segment_align: 8
    .kernarg_segment_size: 384
    .language:       OpenCL C
    .language_version:
      - 2
      - 0
    .max_flat_workgroup_size: 1024
    .name:           _ZN4vllm25paged_attention_v1_kernelIttLi112ELi16ELi128ELNS_18Fp8KVCacheDataTypeE0ELb1EEEvPT_PKS2_PKT0_S8_ifPKiSA_iPKfiiiSC_SC_iiiii
    .private_segment_fixed_size: 0
    .sgpr_count:     48
    .sgpr_spill_count: 0
    .symbol:         _ZN4vllm25paged_attention_v1_kernelIttLi112ELi16ELi128ELNS_18Fp8KVCacheDataTypeE0ELb1EEEvPT_PKS2_PKT0_S8_ifPKiSA_iPKfiiiSC_SC_iiiii.kd
    .uniform_work_group_size: 1
    .uses_dynamic_stack: false
    .vgpr_count:     60
    .vgpr_spill_count: 0
    .wavefront_size: 64
  - .args:
      - .actual_access:  write_only
        .address_space:  global
        .offset:         0
        .size:           8
        .value_kind:     global_buffer
      - .actual_access:  read_only
        .address_space:  global
        .offset:         8
        .size:           8
        .value_kind:     global_buffer
      - .actual_access:  read_only
        .address_space:  global
        .offset:         16
        .size:           8
        .value_kind:     global_buffer
      - .actual_access:  read_only
        .address_space:  global
        .offset:         24
        .size:           8
        .value_kind:     global_buffer
      - .offset:         32
        .size:           4
        .value_kind:     by_value
      - .offset:         36
        .size:           4
        .value_kind:     by_value
      - .actual_access:  read_only
        .address_space:  global
        .offset:         40
        .size:           8
        .value_kind:     global_buffer
      - .actual_access:  read_only
        .address_space:  global
        .offset:         48
        .size:           8
        .value_kind:     global_buffer
      - .offset:         56
        .size:           4
        .value_kind:     by_value
      - .actual_access:  read_only
        .address_space:  global
        .offset:         64
        .size:           8
        .value_kind:     global_buffer
      - .offset:         72
        .size:           4
        .value_kind:     by_value
      - .offset:         76
        .size:           4
        .value_kind:     by_value
      - .offset:         80
        .size:           4
        .value_kind:     by_value
      - .address_space:  global
        .offset:         88
        .size:           8
        .value_kind:     global_buffer
      - .address_space:  global
        .offset:         96
        .size:           8
        .value_kind:     global_buffer
      - .offset:         104
        .size:           4
        .value_kind:     by_value
      - .offset:         108
        .size:           4
        .value_kind:     by_value
      - .offset:         112
        .size:           4
        .value_kind:     by_value
      - .offset:         116
        .size:           4
        .value_kind:     by_value
      - .offset:         120
        .size:           4
        .value_kind:     by_value
      - .offset:         128
        .size:           4
        .value_kind:     hidden_block_count_x
      - .offset:         132
        .size:           4
        .value_kind:     hidden_block_count_y
      - .offset:         136
        .size:           4
        .value_kind:     hidden_block_count_z
      - .offset:         140
        .size:           2
        .value_kind:     hidden_group_size_x
      - .offset:         142
        .size:           2
        .value_kind:     hidden_group_size_y
      - .offset:         144
        .size:           2
        .value_kind:     hidden_group_size_z
      - .offset:         146
        .size:           2
        .value_kind:     hidden_remainder_x
      - .offset:         148
        .size:           2
        .value_kind:     hidden_remainder_y
      - .offset:         150
        .size:           2
        .value_kind:     hidden_remainder_z
      - .offset:         168
        .size:           8
        .value_kind:     hidden_global_offset_x
      - .offset:         176
        .size:           8
        .value_kind:     hidden_global_offset_y
      - .offset:         184
        .size:           8
        .value_kind:     hidden_global_offset_z
      - .offset:         192
        .size:           2
        .value_kind:     hidden_grid_dims
      - .offset:         248
        .size:           4
        .value_kind:     hidden_dynamic_lds_size
    .group_segment_fixed_size: 256
    .kernarg_segment_align: 8
    .kernarg_segment_size: 384
    .language:       OpenCL C
    .language_version:
      - 2
      - 0
    .max_flat_workgroup_size: 1024
    .name:           _ZN4vllm25paged_attention_v1_kernelIttLi120ELi16ELi128ELNS_18Fp8KVCacheDataTypeE0ELb1EEEvPT_PKS2_PKT0_S8_ifPKiSA_iPKfiiiSC_SC_iiiii
    .private_segment_fixed_size: 0
    .sgpr_count:     48
    .sgpr_spill_count: 0
    .symbol:         _ZN4vllm25paged_attention_v1_kernelIttLi120ELi16ELi128ELNS_18Fp8KVCacheDataTypeE0ELb1EEEvPT_PKS2_PKT0_S8_ifPKiSA_iPKfiiiSC_SC_iiiii.kd
    .uniform_work_group_size: 1
    .uses_dynamic_stack: false
    .vgpr_count:     59
    .vgpr_spill_count: 0
    .wavefront_size: 64
  - .args:
      - .actual_access:  write_only
        .address_space:  global
        .offset:         0
        .size:           8
        .value_kind:     global_buffer
      - .actual_access:  read_only
        .address_space:  global
        .offset:         8
        .size:           8
        .value_kind:     global_buffer
      - .actual_access:  read_only
        .address_space:  global
        .offset:         16
        .size:           8
        .value_kind:     global_buffer
      - .actual_access:  read_only
        .address_space:  global
        .offset:         24
        .size:           8
        .value_kind:     global_buffer
      - .offset:         32
        .size:           4
        .value_kind:     by_value
      - .offset:         36
        .size:           4
        .value_kind:     by_value
      - .actual_access:  read_only
        .address_space:  global
        .offset:         40
        .size:           8
        .value_kind:     global_buffer
      - .actual_access:  read_only
        .address_space:  global
        .offset:         48
        .size:           8
        .value_kind:     global_buffer
      - .offset:         56
        .size:           4
        .value_kind:     by_value
      - .actual_access:  read_only
        .address_space:  global
        .offset:         64
        .size:           8
        .value_kind:     global_buffer
      - .offset:         72
        .size:           4
        .value_kind:     by_value
      - .offset:         76
        .size:           4
        .value_kind:     by_value
      - .offset:         80
        .size:           4
        .value_kind:     by_value
      - .address_space:  global
        .offset:         88
        .size:           8
        .value_kind:     global_buffer
      - .address_space:  global
        .offset:         96
        .size:           8
        .value_kind:     global_buffer
      - .offset:         104
        .size:           4
        .value_kind:     by_value
      - .offset:         108
        .size:           4
        .value_kind:     by_value
      - .offset:         112
        .size:           4
        .value_kind:     by_value
      - .offset:         116
        .size:           4
        .value_kind:     by_value
      - .offset:         120
        .size:           4
        .value_kind:     by_value
      - .offset:         128
        .size:           4
        .value_kind:     hidden_block_count_x
      - .offset:         132
        .size:           4
        .value_kind:     hidden_block_count_y
      - .offset:         136
        .size:           4
        .value_kind:     hidden_block_count_z
      - .offset:         140
        .size:           2
        .value_kind:     hidden_group_size_x
      - .offset:         142
        .size:           2
        .value_kind:     hidden_group_size_y
      - .offset:         144
        .size:           2
        .value_kind:     hidden_group_size_z
      - .offset:         146
        .size:           2
        .value_kind:     hidden_remainder_x
      - .offset:         148
        .size:           2
        .value_kind:     hidden_remainder_y
      - .offset:         150
        .size:           2
        .value_kind:     hidden_remainder_z
      - .offset:         168
        .size:           8
        .value_kind:     hidden_global_offset_x
      - .offset:         176
        .size:           8
        .value_kind:     hidden_global_offset_y
      - .offset:         184
        .size:           8
        .value_kind:     hidden_global_offset_z
      - .offset:         192
        .size:           2
        .value_kind:     hidden_grid_dims
      - .offset:         248
        .size:           4
        .value_kind:     hidden_dynamic_lds_size
    .group_segment_fixed_size: 272
    .kernarg_segment_align: 8
    .kernarg_segment_size: 384
    .language:       OpenCL C
    .language_version:
      - 2
      - 0
    .max_flat_workgroup_size: 1024
    .name:           _ZN4vllm25paged_attention_v1_kernelIttLi128ELi16ELi128ELNS_18Fp8KVCacheDataTypeE0ELb1EEEvPT_PKS2_PKT0_S8_ifPKiSA_iPKfiiiSC_SC_iiiii
    .private_segment_fixed_size: 0
    .sgpr_count:     50
    .sgpr_spill_count: 0
    .symbol:         _ZN4vllm25paged_attention_v1_kernelIttLi128ELi16ELi128ELNS_18Fp8KVCacheDataTypeE0ELb1EEEvPT_PKS2_PKT0_S8_ifPKiSA_iPKfiiiSC_SC_iiiii.kd
    .uniform_work_group_size: 1
    .uses_dynamic_stack: false
    .vgpr_count:     61
    .vgpr_spill_count: 0
    .wavefront_size: 64
  - .args:
      - .actual_access:  write_only
        .address_space:  global
        .offset:         0
        .size:           8
        .value_kind:     global_buffer
      - .actual_access:  read_only
        .address_space:  global
        .offset:         8
        .size:           8
        .value_kind:     global_buffer
      - .actual_access:  read_only
        .address_space:  global
        .offset:         16
        .size:           8
        .value_kind:     global_buffer
      - .actual_access:  read_only
        .address_space:  global
        .offset:         24
        .size:           8
        .value_kind:     global_buffer
      - .offset:         32
        .size:           4
        .value_kind:     by_value
      - .offset:         36
        .size:           4
        .value_kind:     by_value
      - .actual_access:  read_only
        .address_space:  global
        .offset:         40
        .size:           8
        .value_kind:     global_buffer
      - .actual_access:  read_only
        .address_space:  global
        .offset:         48
        .size:           8
        .value_kind:     global_buffer
      - .offset:         56
        .size:           4
        .value_kind:     by_value
      - .actual_access:  read_only
        .address_space:  global
        .offset:         64
        .size:           8
        .value_kind:     global_buffer
      - .offset:         72
        .size:           4
        .value_kind:     by_value
      - .offset:         76
        .size:           4
        .value_kind:     by_value
      - .offset:         80
        .size:           4
        .value_kind:     by_value
      - .address_space:  global
        .offset:         88
        .size:           8
        .value_kind:     global_buffer
      - .address_space:  global
        .offset:         96
        .size:           8
        .value_kind:     global_buffer
      - .offset:         104
        .size:           4
        .value_kind:     by_value
      - .offset:         108
        .size:           4
        .value_kind:     by_value
      - .offset:         112
        .size:           4
        .value_kind:     by_value
      - .offset:         116
        .size:           4
        .value_kind:     by_value
      - .offset:         120
        .size:           4
        .value_kind:     by_value
      - .offset:         128
        .size:           4
        .value_kind:     hidden_block_count_x
      - .offset:         132
        .size:           4
        .value_kind:     hidden_block_count_y
      - .offset:         136
        .size:           4
        .value_kind:     hidden_block_count_z
      - .offset:         140
        .size:           2
        .value_kind:     hidden_group_size_x
      - .offset:         142
        .size:           2
        .value_kind:     hidden_group_size_y
      - .offset:         144
        .size:           2
        .value_kind:     hidden_group_size_z
      - .offset:         146
        .size:           2
        .value_kind:     hidden_remainder_x
      - .offset:         148
        .size:           2
        .value_kind:     hidden_remainder_y
      - .offset:         150
        .size:           2
        .value_kind:     hidden_remainder_z
      - .offset:         168
        .size:           8
        .value_kind:     hidden_global_offset_x
      - .offset:         176
        .size:           8
        .value_kind:     hidden_global_offset_y
      - .offset:         184
        .size:           8
        .value_kind:     hidden_global_offset_z
      - .offset:         192
        .size:           2
        .value_kind:     hidden_grid_dims
      - .offset:         248
        .size:           4
        .value_kind:     hidden_dynamic_lds_size
    .group_segment_fixed_size: 400
    .kernarg_segment_align: 8
    .kernarg_segment_size: 384
    .language:       OpenCL C
    .language_version:
      - 2
      - 0
    .max_flat_workgroup_size: 1024
    .name:           _ZN4vllm25paged_attention_v1_kernelIttLi192ELi16ELi128ELNS_18Fp8KVCacheDataTypeE0ELb1EEEvPT_PKS2_PKT0_S8_ifPKiSA_iPKfiiiSC_SC_iiiii
    .private_segment_fixed_size: 0
    .sgpr_count:     49
    .sgpr_spill_count: 0
    .symbol:         _ZN4vllm25paged_attention_v1_kernelIttLi192ELi16ELi128ELNS_18Fp8KVCacheDataTypeE0ELb1EEEvPT_PKS2_PKT0_S8_ifPKiSA_iPKfiiiSC_SC_iiiii.kd
    .uniform_work_group_size: 1
    .uses_dynamic_stack: false
    .vgpr_count:     54
    .vgpr_spill_count: 0
    .wavefront_size: 64
  - .args:
      - .actual_access:  write_only
        .address_space:  global
        .offset:         0
        .size:           8
        .value_kind:     global_buffer
      - .actual_access:  read_only
        .address_space:  global
        .offset:         8
        .size:           8
        .value_kind:     global_buffer
      - .actual_access:  read_only
        .address_space:  global
        .offset:         16
        .size:           8
        .value_kind:     global_buffer
      - .actual_access:  read_only
        .address_space:  global
        .offset:         24
        .size:           8
        .value_kind:     global_buffer
      - .offset:         32
        .size:           4
        .value_kind:     by_value
      - .offset:         36
        .size:           4
        .value_kind:     by_value
      - .actual_access:  read_only
        .address_space:  global
        .offset:         40
        .size:           8
        .value_kind:     global_buffer
      - .actual_access:  read_only
        .address_space:  global
        .offset:         48
        .size:           8
        .value_kind:     global_buffer
      - .offset:         56
        .size:           4
        .value_kind:     by_value
      - .actual_access:  read_only
        .address_space:  global
        .offset:         64
        .size:           8
        .value_kind:     global_buffer
      - .offset:         72
        .size:           4
        .value_kind:     by_value
      - .offset:         76
        .size:           4
        .value_kind:     by_value
      - .offset:         80
        .size:           4
        .value_kind:     by_value
      - .address_space:  global
        .offset:         88
        .size:           8
        .value_kind:     global_buffer
      - .address_space:  global
        .offset:         96
        .size:           8
        .value_kind:     global_buffer
      - .offset:         104
        .size:           4
        .value_kind:     by_value
      - .offset:         108
        .size:           4
        .value_kind:     by_value
      - .offset:         112
        .size:           4
        .value_kind:     by_value
      - .offset:         116
        .size:           4
        .value_kind:     by_value
      - .offset:         120
        .size:           4
        .value_kind:     by_value
      - .offset:         128
        .size:           4
        .value_kind:     hidden_block_count_x
      - .offset:         132
        .size:           4
        .value_kind:     hidden_block_count_y
      - .offset:         136
        .size:           4
        .value_kind:     hidden_block_count_z
      - .offset:         140
        .size:           2
        .value_kind:     hidden_group_size_x
      - .offset:         142
        .size:           2
        .value_kind:     hidden_group_size_y
      - .offset:         144
        .size:           2
        .value_kind:     hidden_group_size_z
      - .offset:         146
        .size:           2
        .value_kind:     hidden_remainder_x
      - .offset:         148
        .size:           2
        .value_kind:     hidden_remainder_y
      - .offset:         150
        .size:           2
        .value_kind:     hidden_remainder_z
      - .offset:         168
        .size:           8
        .value_kind:     hidden_global_offset_x
      - .offset:         176
        .size:           8
        .value_kind:     hidden_global_offset_y
      - .offset:         184
        .size:           8
        .value_kind:     hidden_global_offset_z
      - .offset:         192
        .size:           2
        .value_kind:     hidden_grid_dims
      - .offset:         248
        .size:           4
        .value_kind:     hidden_dynamic_lds_size
    .group_segment_fixed_size: 528
    .kernarg_segment_align: 8
    .kernarg_segment_size: 384
    .language:       OpenCL C
    .language_version:
      - 2
      - 0
    .max_flat_workgroup_size: 1024
    .name:           _ZN4vllm25paged_attention_v1_kernelIttLi256ELi16ELi128ELNS_18Fp8KVCacheDataTypeE0ELb1EEEvPT_PKS2_PKT0_S8_ifPKiSA_iPKfiiiSC_SC_iiiii
    .private_segment_fixed_size: 0
    .sgpr_count:     49
    .sgpr_spill_count: 0
    .symbol:         _ZN4vllm25paged_attention_v1_kernelIttLi256ELi16ELi128ELNS_18Fp8KVCacheDataTypeE0ELb1EEEvPT_PKS2_PKT0_S8_ifPKiSA_iPKfiiiSC_SC_iiiii.kd
    .uniform_work_group_size: 1
    .uses_dynamic_stack: false
    .vgpr_count:     60
    .vgpr_spill_count: 0
    .wavefront_size: 64
  - .args:
      - .actual_access:  write_only
        .address_space:  global
        .offset:         0
        .size:           8
        .value_kind:     global_buffer
      - .actual_access:  read_only
        .address_space:  global
        .offset:         8
        .size:           8
        .value_kind:     global_buffer
      - .actual_access:  read_only
        .address_space:  global
        .offset:         16
        .size:           8
        .value_kind:     global_buffer
      - .actual_access:  read_only
        .address_space:  global
        .offset:         24
        .size:           8
        .value_kind:     global_buffer
      - .offset:         32
        .size:           4
        .value_kind:     by_value
      - .offset:         36
        .size:           4
        .value_kind:     by_value
      - .actual_access:  read_only
        .address_space:  global
        .offset:         40
        .size:           8
        .value_kind:     global_buffer
      - .actual_access:  read_only
        .address_space:  global
        .offset:         48
        .size:           8
        .value_kind:     global_buffer
      - .offset:         56
        .size:           4
        .value_kind:     by_value
      - .actual_access:  read_only
        .address_space:  global
        .offset:         64
        .size:           8
        .value_kind:     global_buffer
      - .offset:         72
        .size:           4
        .value_kind:     by_value
      - .offset:         76
        .size:           4
        .value_kind:     by_value
      - .offset:         80
        .size:           4
        .value_kind:     by_value
      - .address_space:  global
        .offset:         88
        .size:           8
        .value_kind:     global_buffer
      - .address_space:  global
        .offset:         96
        .size:           8
        .value_kind:     global_buffer
      - .offset:         104
        .size:           4
        .value_kind:     by_value
      - .offset:         108
        .size:           4
        .value_kind:     by_value
      - .offset:         112
        .size:           4
        .value_kind:     by_value
      - .offset:         116
        .size:           4
        .value_kind:     by_value
      - .offset:         120
        .size:           4
        .value_kind:     by_value
      - .offset:         128
        .size:           4
        .value_kind:     hidden_block_count_x
      - .offset:         132
        .size:           4
        .value_kind:     hidden_block_count_y
      - .offset:         136
        .size:           4
        .value_kind:     hidden_block_count_z
      - .offset:         140
        .size:           2
        .value_kind:     hidden_group_size_x
      - .offset:         142
        .size:           2
        .value_kind:     hidden_group_size_y
      - .offset:         144
        .size:           2
        .value_kind:     hidden_group_size_z
      - .offset:         146
        .size:           2
        .value_kind:     hidden_remainder_x
      - .offset:         148
        .size:           2
        .value_kind:     hidden_remainder_y
      - .offset:         150
        .size:           2
        .value_kind:     hidden_remainder_z
      - .offset:         168
        .size:           8
        .value_kind:     hidden_global_offset_x
      - .offset:         176
        .size:           8
        .value_kind:     hidden_global_offset_y
      - .offset:         184
        .size:           8
        .value_kind:     hidden_global_offset_z
      - .offset:         192
        .size:           2
        .value_kind:     hidden_grid_dims
      - .offset:         248
        .size:           4
        .value_kind:     hidden_dynamic_lds_size
    .group_segment_fixed_size: 80
    .kernarg_segment_align: 8
    .kernarg_segment_size: 384
    .language:       OpenCL C
    .language_version:
      - 2
      - 0
    .max_flat_workgroup_size: 1024
    .name:           _ZN4vllm25paged_attention_v1_kernelIttLi32ELi16ELi128ELNS_18Fp8KVCacheDataTypeE0ELb0EEEvPT_PKS2_PKT0_S8_ifPKiSA_iPKfiiiSC_SC_iiiii
    .private_segment_fixed_size: 0
    .sgpr_count:     38
    .sgpr_spill_count: 0
    .symbol:         _ZN4vllm25paged_attention_v1_kernelIttLi32ELi16ELi128ELNS_18Fp8KVCacheDataTypeE0ELb0EEEvPT_PKS2_PKT0_S8_ifPKiSA_iPKfiiiSC_SC_iiiii.kd
    .uniform_work_group_size: 1
    .uses_dynamic_stack: false
    .vgpr_count:     32
    .vgpr_spill_count: 0
    .wavefront_size: 64
  - .args:
      - .actual_access:  write_only
        .address_space:  global
        .offset:         0
        .size:           8
        .value_kind:     global_buffer
      - .actual_access:  read_only
        .address_space:  global
        .offset:         8
        .size:           8
        .value_kind:     global_buffer
      - .actual_access:  read_only
        .address_space:  global
        .offset:         16
        .size:           8
        .value_kind:     global_buffer
      - .actual_access:  read_only
        .address_space:  global
        .offset:         24
        .size:           8
        .value_kind:     global_buffer
      - .offset:         32
        .size:           4
        .value_kind:     by_value
      - .offset:         36
        .size:           4
        .value_kind:     by_value
      - .actual_access:  read_only
        .address_space:  global
        .offset:         40
        .size:           8
        .value_kind:     global_buffer
      - .actual_access:  read_only
        .address_space:  global
        .offset:         48
        .size:           8
        .value_kind:     global_buffer
      - .offset:         56
        .size:           4
        .value_kind:     by_value
      - .actual_access:  read_only
        .address_space:  global
        .offset:         64
        .size:           8
        .value_kind:     global_buffer
      - .offset:         72
        .size:           4
        .value_kind:     by_value
      - .offset:         76
        .size:           4
        .value_kind:     by_value
      - .offset:         80
        .size:           4
        .value_kind:     by_value
      - .address_space:  global
        .offset:         88
        .size:           8
        .value_kind:     global_buffer
      - .address_space:  global
        .offset:         96
        .size:           8
        .value_kind:     global_buffer
      - .offset:         104
        .size:           4
        .value_kind:     by_value
      - .offset:         108
        .size:           4
        .value_kind:     by_value
      - .offset:         112
        .size:           4
        .value_kind:     by_value
      - .offset:         116
        .size:           4
        .value_kind:     by_value
      - .offset:         120
        .size:           4
        .value_kind:     by_value
      - .offset:         128
        .size:           4
        .value_kind:     hidden_block_count_x
      - .offset:         132
        .size:           4
        .value_kind:     hidden_block_count_y
      - .offset:         136
        .size:           4
        .value_kind:     hidden_block_count_z
      - .offset:         140
        .size:           2
        .value_kind:     hidden_group_size_x
      - .offset:         142
        .size:           2
        .value_kind:     hidden_group_size_y
      - .offset:         144
        .size:           2
        .value_kind:     hidden_group_size_z
      - .offset:         146
        .size:           2
        .value_kind:     hidden_remainder_x
      - .offset:         148
        .size:           2
        .value_kind:     hidden_remainder_y
      - .offset:         150
        .size:           2
        .value_kind:     hidden_remainder_z
      - .offset:         168
        .size:           8
        .value_kind:     hidden_global_offset_x
      - .offset:         176
        .size:           8
        .value_kind:     hidden_global_offset_y
      - .offset:         184
        .size:           8
        .value_kind:     hidden_global_offset_z
      - .offset:         192
        .size:           2
        .value_kind:     hidden_grid_dims
      - .offset:         248
        .size:           4
        .value_kind:     hidden_dynamic_lds_size
    .group_segment_fixed_size: 144
    .kernarg_segment_align: 8
    .kernarg_segment_size: 384
    .language:       OpenCL C
    .language_version:
      - 2
      - 0
    .max_flat_workgroup_size: 1024
    .name:           _ZN4vllm25paged_attention_v1_kernelIttLi64ELi16ELi128ELNS_18Fp8KVCacheDataTypeE0ELb0EEEvPT_PKS2_PKT0_S8_ifPKiSA_iPKfiiiSC_SC_iiiii
    .private_segment_fixed_size: 0
    .sgpr_count:     38
    .sgpr_spill_count: 0
    .symbol:         _ZN4vllm25paged_attention_v1_kernelIttLi64ELi16ELi128ELNS_18Fp8KVCacheDataTypeE0ELb0EEEvPT_PKS2_PKT0_S8_ifPKiSA_iPKfiiiSC_SC_iiiii.kd
    .uniform_work_group_size: 1
    .uses_dynamic_stack: false
    .vgpr_count:     44
    .vgpr_spill_count: 0
    .wavefront_size: 64
  - .args:
      - .actual_access:  write_only
        .address_space:  global
        .offset:         0
        .size:           8
        .value_kind:     global_buffer
      - .actual_access:  read_only
        .address_space:  global
        .offset:         8
        .size:           8
        .value_kind:     global_buffer
      - .actual_access:  read_only
        .address_space:  global
        .offset:         16
        .size:           8
        .value_kind:     global_buffer
      - .actual_access:  read_only
        .address_space:  global
        .offset:         24
        .size:           8
        .value_kind:     global_buffer
      - .offset:         32
        .size:           4
        .value_kind:     by_value
      - .offset:         36
        .size:           4
        .value_kind:     by_value
      - .actual_access:  read_only
        .address_space:  global
        .offset:         40
        .size:           8
        .value_kind:     global_buffer
      - .actual_access:  read_only
        .address_space:  global
        .offset:         48
        .size:           8
        .value_kind:     global_buffer
      - .offset:         56
        .size:           4
        .value_kind:     by_value
      - .actual_access:  read_only
        .address_space:  global
        .offset:         64
        .size:           8
        .value_kind:     global_buffer
      - .offset:         72
        .size:           4
        .value_kind:     by_value
      - .offset:         76
        .size:           4
        .value_kind:     by_value
      - .offset:         80
        .size:           4
        .value_kind:     by_value
      - .address_space:  global
        .offset:         88
        .size:           8
        .value_kind:     global_buffer
      - .address_space:  global
        .offset:         96
        .size:           8
        .value_kind:     global_buffer
      - .offset:         104
        .size:           4
        .value_kind:     by_value
      - .offset:         108
        .size:           4
        .value_kind:     by_value
      - .offset:         112
        .size:           4
        .value_kind:     by_value
      - .offset:         116
        .size:           4
        .value_kind:     by_value
      - .offset:         120
        .size:           4
        .value_kind:     by_value
      - .offset:         128
        .size:           4
        .value_kind:     hidden_block_count_x
      - .offset:         132
        .size:           4
        .value_kind:     hidden_block_count_y
      - .offset:         136
        .size:           4
        .value_kind:     hidden_block_count_z
      - .offset:         140
        .size:           2
        .value_kind:     hidden_group_size_x
      - .offset:         142
        .size:           2
        .value_kind:     hidden_group_size_y
      - .offset:         144
        .size:           2
        .value_kind:     hidden_group_size_z
      - .offset:         146
        .size:           2
        .value_kind:     hidden_remainder_x
      - .offset:         148
        .size:           2
        .value_kind:     hidden_remainder_y
      - .offset:         150
        .size:           2
        .value_kind:     hidden_remainder_z
      - .offset:         168
        .size:           8
        .value_kind:     hidden_global_offset_x
      - .offset:         176
        .size:           8
        .value_kind:     hidden_global_offset_y
      - .offset:         184
        .size:           8
        .value_kind:     hidden_global_offset_z
      - .offset:         192
        .size:           2
        .value_kind:     hidden_grid_dims
      - .offset:         248
        .size:           4
        .value_kind:     hidden_dynamic_lds_size
    .group_segment_fixed_size: 176
    .kernarg_segment_align: 8
    .kernarg_segment_size: 384
    .language:       OpenCL C
    .language_version:
      - 2
      - 0
    .max_flat_workgroup_size: 1024
    .name:           _ZN4vllm25paged_attention_v1_kernelIttLi80ELi16ELi128ELNS_18Fp8KVCacheDataTypeE0ELb0EEEvPT_PKS2_PKT0_S8_ifPKiSA_iPKfiiiSC_SC_iiiii
    .private_segment_fixed_size: 0
    .sgpr_count:     38
    .sgpr_spill_count: 0
    .symbol:         _ZN4vllm25paged_attention_v1_kernelIttLi80ELi16ELi128ELNS_18Fp8KVCacheDataTypeE0ELb0EEEvPT_PKS2_PKT0_S8_ifPKiSA_iPKfiiiSC_SC_iiiii.kd
    .uniform_work_group_size: 1
    .uses_dynamic_stack: false
    .vgpr_count:     46
    .vgpr_spill_count: 0
    .wavefront_size: 64
  - .args:
      - .actual_access:  write_only
        .address_space:  global
        .offset:         0
        .size:           8
        .value_kind:     global_buffer
      - .actual_access:  read_only
        .address_space:  global
        .offset:         8
        .size:           8
        .value_kind:     global_buffer
      - .actual_access:  read_only
        .address_space:  global
        .offset:         16
        .size:           8
        .value_kind:     global_buffer
      - .actual_access:  read_only
        .address_space:  global
        .offset:         24
        .size:           8
        .value_kind:     global_buffer
      - .offset:         32
        .size:           4
        .value_kind:     by_value
      - .offset:         36
        .size:           4
        .value_kind:     by_value
      - .actual_access:  read_only
        .address_space:  global
        .offset:         40
        .size:           8
        .value_kind:     global_buffer
      - .actual_access:  read_only
        .address_space:  global
        .offset:         48
        .size:           8
        .value_kind:     global_buffer
      - .offset:         56
        .size:           4
        .value_kind:     by_value
      - .actual_access:  read_only
        .address_space:  global
        .offset:         64
        .size:           8
        .value_kind:     global_buffer
      - .offset:         72
        .size:           4
        .value_kind:     by_value
      - .offset:         76
        .size:           4
        .value_kind:     by_value
      - .offset:         80
        .size:           4
        .value_kind:     by_value
      - .address_space:  global
        .offset:         88
        .size:           8
        .value_kind:     global_buffer
      - .address_space:  global
        .offset:         96
        .size:           8
        .value_kind:     global_buffer
      - .offset:         104
        .size:           4
        .value_kind:     by_value
      - .offset:         108
        .size:           4
        .value_kind:     by_value
      - .offset:         112
        .size:           4
        .value_kind:     by_value
      - .offset:         116
        .size:           4
        .value_kind:     by_value
      - .offset:         120
        .size:           4
        .value_kind:     by_value
      - .offset:         128
        .size:           4
        .value_kind:     hidden_block_count_x
      - .offset:         132
        .size:           4
        .value_kind:     hidden_block_count_y
      - .offset:         136
        .size:           4
        .value_kind:     hidden_block_count_z
      - .offset:         140
        .size:           2
        .value_kind:     hidden_group_size_x
      - .offset:         142
        .size:           2
        .value_kind:     hidden_group_size_y
      - .offset:         144
        .size:           2
        .value_kind:     hidden_group_size_z
      - .offset:         146
        .size:           2
        .value_kind:     hidden_remainder_x
      - .offset:         148
        .size:           2
        .value_kind:     hidden_remainder_y
      - .offset:         150
        .size:           2
        .value_kind:     hidden_remainder_z
      - .offset:         168
        .size:           8
        .value_kind:     hidden_global_offset_x
      - .offset:         176
        .size:           8
        .value_kind:     hidden_global_offset_y
      - .offset:         184
        .size:           8
        .value_kind:     hidden_global_offset_z
      - .offset:         192
        .size:           2
        .value_kind:     hidden_grid_dims
      - .offset:         248
        .size:           4
        .value_kind:     hidden_dynamic_lds_size
    .group_segment_fixed_size: 208
    .kernarg_segment_align: 8
    .kernarg_segment_size: 384
    .language:       OpenCL C
    .language_version:
      - 2
      - 0
    .max_flat_workgroup_size: 1024
    .name:           _ZN4vllm25paged_attention_v1_kernelIttLi96ELi16ELi128ELNS_18Fp8KVCacheDataTypeE0ELb0EEEvPT_PKS2_PKT0_S8_ifPKiSA_iPKfiiiSC_SC_iiiii
    .private_segment_fixed_size: 0
    .sgpr_count:     38
    .sgpr_spill_count: 0
    .symbol:         _ZN4vllm25paged_attention_v1_kernelIttLi96ELi16ELi128ELNS_18Fp8KVCacheDataTypeE0ELb0EEEvPT_PKS2_PKT0_S8_ifPKiSA_iPKfiiiSC_SC_iiiii.kd
    .uniform_work_group_size: 1
    .uses_dynamic_stack: false
    .vgpr_count:     53
    .vgpr_spill_count: 0
    .wavefront_size: 64
  - .args:
      - .actual_access:  write_only
        .address_space:  global
        .offset:         0
        .size:           8
        .value_kind:     global_buffer
      - .actual_access:  read_only
        .address_space:  global
        .offset:         8
        .size:           8
        .value_kind:     global_buffer
      - .actual_access:  read_only
        .address_space:  global
        .offset:         16
        .size:           8
        .value_kind:     global_buffer
      - .actual_access:  read_only
        .address_space:  global
        .offset:         24
        .size:           8
        .value_kind:     global_buffer
      - .offset:         32
        .size:           4
        .value_kind:     by_value
      - .offset:         36
        .size:           4
        .value_kind:     by_value
      - .actual_access:  read_only
        .address_space:  global
        .offset:         40
        .size:           8
        .value_kind:     global_buffer
      - .actual_access:  read_only
        .address_space:  global
        .offset:         48
        .size:           8
        .value_kind:     global_buffer
      - .offset:         56
        .size:           4
        .value_kind:     by_value
      - .actual_access:  read_only
        .address_space:  global
        .offset:         64
        .size:           8
        .value_kind:     global_buffer
      - .offset:         72
        .size:           4
        .value_kind:     by_value
      - .offset:         76
        .size:           4
        .value_kind:     by_value
      - .offset:         80
        .size:           4
        .value_kind:     by_value
      - .address_space:  global
        .offset:         88
        .size:           8
        .value_kind:     global_buffer
      - .address_space:  global
        .offset:         96
        .size:           8
        .value_kind:     global_buffer
      - .offset:         104
        .size:           4
        .value_kind:     by_value
      - .offset:         108
        .size:           4
        .value_kind:     by_value
      - .offset:         112
        .size:           4
        .value_kind:     by_value
      - .offset:         116
        .size:           4
        .value_kind:     by_value
      - .offset:         120
        .size:           4
        .value_kind:     by_value
      - .offset:         128
        .size:           4
        .value_kind:     hidden_block_count_x
      - .offset:         132
        .size:           4
        .value_kind:     hidden_block_count_y
      - .offset:         136
        .size:           4
        .value_kind:     hidden_block_count_z
      - .offset:         140
        .size:           2
        .value_kind:     hidden_group_size_x
      - .offset:         142
        .size:           2
        .value_kind:     hidden_group_size_y
      - .offset:         144
        .size:           2
        .value_kind:     hidden_group_size_z
      - .offset:         146
        .size:           2
        .value_kind:     hidden_remainder_x
      - .offset:         148
        .size:           2
        .value_kind:     hidden_remainder_y
      - .offset:         150
        .size:           2
        .value_kind:     hidden_remainder_z
      - .offset:         168
        .size:           8
        .value_kind:     hidden_global_offset_x
      - .offset:         176
        .size:           8
        .value_kind:     hidden_global_offset_y
      - .offset:         184
        .size:           8
        .value_kind:     hidden_global_offset_z
      - .offset:         192
        .size:           2
        .value_kind:     hidden_grid_dims
      - .offset:         248
        .size:           4
        .value_kind:     hidden_dynamic_lds_size
    .group_segment_fixed_size: 240
    .kernarg_segment_align: 8
    .kernarg_segment_size: 384
    .language:       OpenCL C
    .language_version:
      - 2
      - 0
    .max_flat_workgroup_size: 1024
    .name:           _ZN4vllm25paged_attention_v1_kernelIttLi112ELi16ELi128ELNS_18Fp8KVCacheDataTypeE0ELb0EEEvPT_PKS2_PKT0_S8_ifPKiSA_iPKfiiiSC_SC_iiiii
    .private_segment_fixed_size: 0
    .sgpr_count:     38
    .sgpr_spill_count: 0
    .symbol:         _ZN4vllm25paged_attention_v1_kernelIttLi112ELi16ELi128ELNS_18Fp8KVCacheDataTypeE0ELb0EEEvPT_PKS2_PKT0_S8_ifPKiSA_iPKfiiiSC_SC_iiiii.kd
    .uniform_work_group_size: 1
    .uses_dynamic_stack: false
    .vgpr_count:     47
    .vgpr_spill_count: 0
    .wavefront_size: 64
  - .args:
      - .actual_access:  write_only
        .address_space:  global
        .offset:         0
        .size:           8
        .value_kind:     global_buffer
      - .actual_access:  read_only
        .address_space:  global
        .offset:         8
        .size:           8
        .value_kind:     global_buffer
      - .actual_access:  read_only
        .address_space:  global
        .offset:         16
        .size:           8
        .value_kind:     global_buffer
      - .actual_access:  read_only
        .address_space:  global
        .offset:         24
        .size:           8
        .value_kind:     global_buffer
      - .offset:         32
        .size:           4
        .value_kind:     by_value
      - .offset:         36
        .size:           4
        .value_kind:     by_value
      - .actual_access:  read_only
        .address_space:  global
        .offset:         40
        .size:           8
        .value_kind:     global_buffer
      - .actual_access:  read_only
        .address_space:  global
        .offset:         48
        .size:           8
        .value_kind:     global_buffer
      - .offset:         56
        .size:           4
        .value_kind:     by_value
      - .actual_access:  read_only
        .address_space:  global
        .offset:         64
        .size:           8
        .value_kind:     global_buffer
      - .offset:         72
        .size:           4
        .value_kind:     by_value
      - .offset:         76
        .size:           4
        .value_kind:     by_value
      - .offset:         80
        .size:           4
        .value_kind:     by_value
      - .address_space:  global
        .offset:         88
        .size:           8
        .value_kind:     global_buffer
      - .address_space:  global
        .offset:         96
        .size:           8
        .value_kind:     global_buffer
      - .offset:         104
        .size:           4
        .value_kind:     by_value
      - .offset:         108
        .size:           4
        .value_kind:     by_value
      - .offset:         112
        .size:           4
        .value_kind:     by_value
      - .offset:         116
        .size:           4
        .value_kind:     by_value
      - .offset:         120
        .size:           4
        .value_kind:     by_value
      - .offset:         128
        .size:           4
        .value_kind:     hidden_block_count_x
      - .offset:         132
        .size:           4
        .value_kind:     hidden_block_count_y
      - .offset:         136
        .size:           4
        .value_kind:     hidden_block_count_z
      - .offset:         140
        .size:           2
        .value_kind:     hidden_group_size_x
      - .offset:         142
        .size:           2
        .value_kind:     hidden_group_size_y
      - .offset:         144
        .size:           2
        .value_kind:     hidden_group_size_z
      - .offset:         146
        .size:           2
        .value_kind:     hidden_remainder_x
      - .offset:         148
        .size:           2
        .value_kind:     hidden_remainder_y
      - .offset:         150
        .size:           2
        .value_kind:     hidden_remainder_z
      - .offset:         168
        .size:           8
        .value_kind:     hidden_global_offset_x
      - .offset:         176
        .size:           8
        .value_kind:     hidden_global_offset_y
      - .offset:         184
        .size:           8
        .value_kind:     hidden_global_offset_z
      - .offset:         192
        .size:           2
        .value_kind:     hidden_grid_dims
      - .offset:         248
        .size:           4
        .value_kind:     hidden_dynamic_lds_size
    .group_segment_fixed_size: 256
    .kernarg_segment_align: 8
    .kernarg_segment_size: 384
    .language:       OpenCL C
    .language_version:
      - 2
      - 0
    .max_flat_workgroup_size: 1024
    .name:           _ZN4vllm25paged_attention_v1_kernelIttLi120ELi16ELi128ELNS_18Fp8KVCacheDataTypeE0ELb0EEEvPT_PKS2_PKT0_S8_ifPKiSA_iPKfiiiSC_SC_iiiii
    .private_segment_fixed_size: 0
    .sgpr_count:     38
    .sgpr_spill_count: 0
    .symbol:         _ZN4vllm25paged_attention_v1_kernelIttLi120ELi16ELi128ELNS_18Fp8KVCacheDataTypeE0ELb0EEEvPT_PKS2_PKT0_S8_ifPKiSA_iPKfiiiSC_SC_iiiii.kd
    .uniform_work_group_size: 1
    .uses_dynamic_stack: false
    .vgpr_count:     46
    .vgpr_spill_count: 0
    .wavefront_size: 64
  - .args:
      - .actual_access:  write_only
        .address_space:  global
        .offset:         0
        .size:           8
        .value_kind:     global_buffer
      - .actual_access:  read_only
        .address_space:  global
        .offset:         8
        .size:           8
        .value_kind:     global_buffer
      - .actual_access:  read_only
        .address_space:  global
        .offset:         16
        .size:           8
        .value_kind:     global_buffer
      - .actual_access:  read_only
        .address_space:  global
        .offset:         24
        .size:           8
        .value_kind:     global_buffer
      - .offset:         32
        .size:           4
        .value_kind:     by_value
      - .offset:         36
        .size:           4
        .value_kind:     by_value
      - .actual_access:  read_only
        .address_space:  global
        .offset:         40
        .size:           8
        .value_kind:     global_buffer
      - .actual_access:  read_only
        .address_space:  global
        .offset:         48
        .size:           8
        .value_kind:     global_buffer
      - .offset:         56
        .size:           4
        .value_kind:     by_value
      - .actual_access:  read_only
        .address_space:  global
        .offset:         64
        .size:           8
        .value_kind:     global_buffer
      - .offset:         72
        .size:           4
        .value_kind:     by_value
      - .offset:         76
        .size:           4
        .value_kind:     by_value
      - .offset:         80
        .size:           4
        .value_kind:     by_value
      - .address_space:  global
        .offset:         88
        .size:           8
        .value_kind:     global_buffer
      - .address_space:  global
        .offset:         96
        .size:           8
        .value_kind:     global_buffer
      - .offset:         104
        .size:           4
        .value_kind:     by_value
      - .offset:         108
        .size:           4
        .value_kind:     by_value
      - .offset:         112
        .size:           4
        .value_kind:     by_value
      - .offset:         116
        .size:           4
        .value_kind:     by_value
      - .offset:         120
        .size:           4
        .value_kind:     by_value
      - .offset:         128
        .size:           4
        .value_kind:     hidden_block_count_x
      - .offset:         132
        .size:           4
        .value_kind:     hidden_block_count_y
      - .offset:         136
        .size:           4
        .value_kind:     hidden_block_count_z
      - .offset:         140
        .size:           2
        .value_kind:     hidden_group_size_x
      - .offset:         142
        .size:           2
        .value_kind:     hidden_group_size_y
      - .offset:         144
        .size:           2
        .value_kind:     hidden_group_size_z
      - .offset:         146
        .size:           2
        .value_kind:     hidden_remainder_x
      - .offset:         148
        .size:           2
        .value_kind:     hidden_remainder_y
      - .offset:         150
        .size:           2
        .value_kind:     hidden_remainder_z
      - .offset:         168
        .size:           8
        .value_kind:     hidden_global_offset_x
      - .offset:         176
        .size:           8
        .value_kind:     hidden_global_offset_y
      - .offset:         184
        .size:           8
        .value_kind:     hidden_global_offset_z
      - .offset:         192
        .size:           2
        .value_kind:     hidden_grid_dims
      - .offset:         248
        .size:           4
        .value_kind:     hidden_dynamic_lds_size
    .group_segment_fixed_size: 272
    .kernarg_segment_align: 8
    .kernarg_segment_size: 384
    .language:       OpenCL C
    .language_version:
      - 2
      - 0
    .max_flat_workgroup_size: 1024
    .name:           _ZN4vllm25paged_attention_v1_kernelIttLi128ELi16ELi128ELNS_18Fp8KVCacheDataTypeE0ELb0EEEvPT_PKS2_PKT0_S8_ifPKiSA_iPKfiiiSC_SC_iiiii
    .private_segment_fixed_size: 0
    .sgpr_count:     40
    .sgpr_spill_count: 0
    .symbol:         _ZN4vllm25paged_attention_v1_kernelIttLi128ELi16ELi128ELNS_18Fp8KVCacheDataTypeE0ELb0EEEvPT_PKS2_PKT0_S8_ifPKiSA_iPKfiiiSC_SC_iiiii.kd
    .uniform_work_group_size: 1
    .uses_dynamic_stack: false
    .vgpr_count:     54
    .vgpr_spill_count: 0
    .wavefront_size: 64
  - .args:
      - .actual_access:  write_only
        .address_space:  global
        .offset:         0
        .size:           8
        .value_kind:     global_buffer
      - .actual_access:  read_only
        .address_space:  global
        .offset:         8
        .size:           8
        .value_kind:     global_buffer
      - .actual_access:  read_only
        .address_space:  global
        .offset:         16
        .size:           8
        .value_kind:     global_buffer
      - .actual_access:  read_only
        .address_space:  global
        .offset:         24
        .size:           8
        .value_kind:     global_buffer
      - .offset:         32
        .size:           4
        .value_kind:     by_value
      - .offset:         36
        .size:           4
        .value_kind:     by_value
      - .actual_access:  read_only
        .address_space:  global
        .offset:         40
        .size:           8
        .value_kind:     global_buffer
      - .actual_access:  read_only
        .address_space:  global
        .offset:         48
        .size:           8
        .value_kind:     global_buffer
      - .offset:         56
        .size:           4
        .value_kind:     by_value
      - .actual_access:  read_only
        .address_space:  global
        .offset:         64
        .size:           8
        .value_kind:     global_buffer
      - .offset:         72
        .size:           4
        .value_kind:     by_value
      - .offset:         76
        .size:           4
        .value_kind:     by_value
      - .offset:         80
        .size:           4
        .value_kind:     by_value
      - .address_space:  global
        .offset:         88
        .size:           8
        .value_kind:     global_buffer
      - .address_space:  global
        .offset:         96
        .size:           8
        .value_kind:     global_buffer
      - .offset:         104
        .size:           4
        .value_kind:     by_value
      - .offset:         108
        .size:           4
        .value_kind:     by_value
      - .offset:         112
        .size:           4
        .value_kind:     by_value
      - .offset:         116
        .size:           4
        .value_kind:     by_value
      - .offset:         120
        .size:           4
        .value_kind:     by_value
      - .offset:         128
        .size:           4
        .value_kind:     hidden_block_count_x
      - .offset:         132
        .size:           4
        .value_kind:     hidden_block_count_y
      - .offset:         136
        .size:           4
        .value_kind:     hidden_block_count_z
      - .offset:         140
        .size:           2
        .value_kind:     hidden_group_size_x
      - .offset:         142
        .size:           2
        .value_kind:     hidden_group_size_y
      - .offset:         144
        .size:           2
        .value_kind:     hidden_group_size_z
      - .offset:         146
        .size:           2
        .value_kind:     hidden_remainder_x
      - .offset:         148
        .size:           2
        .value_kind:     hidden_remainder_y
      - .offset:         150
        .size:           2
        .value_kind:     hidden_remainder_z
      - .offset:         168
        .size:           8
        .value_kind:     hidden_global_offset_x
      - .offset:         176
        .size:           8
        .value_kind:     hidden_global_offset_y
      - .offset:         184
        .size:           8
        .value_kind:     hidden_global_offset_z
      - .offset:         192
        .size:           2
        .value_kind:     hidden_grid_dims
      - .offset:         248
        .size:           4
        .value_kind:     hidden_dynamic_lds_size
    .group_segment_fixed_size: 400
    .kernarg_segment_align: 8
    .kernarg_segment_size: 384
    .language:       OpenCL C
    .language_version:
      - 2
      - 0
    .max_flat_workgroup_size: 1024
    .name:           _ZN4vllm25paged_attention_v1_kernelIttLi192ELi16ELi128ELNS_18Fp8KVCacheDataTypeE0ELb0EEEvPT_PKS2_PKT0_S8_ifPKiSA_iPKfiiiSC_SC_iiiii
    .private_segment_fixed_size: 0
    .sgpr_count:     39
    .sgpr_spill_count: 0
    .symbol:         _ZN4vllm25paged_attention_v1_kernelIttLi192ELi16ELi128ELNS_18Fp8KVCacheDataTypeE0ELb0EEEvPT_PKS2_PKT0_S8_ifPKiSA_iPKfiiiSC_SC_iiiii.kd
    .uniform_work_group_size: 1
    .uses_dynamic_stack: false
    .vgpr_count:     54
    .vgpr_spill_count: 0
    .wavefront_size: 64
  - .args:
      - .actual_access:  write_only
        .address_space:  global
        .offset:         0
        .size:           8
        .value_kind:     global_buffer
      - .actual_access:  read_only
        .address_space:  global
        .offset:         8
        .size:           8
        .value_kind:     global_buffer
      - .actual_access:  read_only
        .address_space:  global
        .offset:         16
        .size:           8
        .value_kind:     global_buffer
      - .actual_access:  read_only
        .address_space:  global
        .offset:         24
        .size:           8
        .value_kind:     global_buffer
      - .offset:         32
        .size:           4
        .value_kind:     by_value
      - .offset:         36
        .size:           4
        .value_kind:     by_value
      - .actual_access:  read_only
        .address_space:  global
        .offset:         40
        .size:           8
        .value_kind:     global_buffer
      - .actual_access:  read_only
        .address_space:  global
        .offset:         48
        .size:           8
        .value_kind:     global_buffer
      - .offset:         56
        .size:           4
        .value_kind:     by_value
      - .actual_access:  read_only
        .address_space:  global
        .offset:         64
        .size:           8
        .value_kind:     global_buffer
      - .offset:         72
        .size:           4
        .value_kind:     by_value
      - .offset:         76
        .size:           4
        .value_kind:     by_value
      - .offset:         80
        .size:           4
        .value_kind:     by_value
      - .address_space:  global
        .offset:         88
        .size:           8
        .value_kind:     global_buffer
      - .address_space:  global
        .offset:         96
        .size:           8
        .value_kind:     global_buffer
      - .offset:         104
        .size:           4
        .value_kind:     by_value
      - .offset:         108
        .size:           4
        .value_kind:     by_value
      - .offset:         112
        .size:           4
        .value_kind:     by_value
      - .offset:         116
        .size:           4
        .value_kind:     by_value
      - .offset:         120
        .size:           4
        .value_kind:     by_value
      - .offset:         128
        .size:           4
        .value_kind:     hidden_block_count_x
      - .offset:         132
        .size:           4
        .value_kind:     hidden_block_count_y
      - .offset:         136
        .size:           4
        .value_kind:     hidden_block_count_z
      - .offset:         140
        .size:           2
        .value_kind:     hidden_group_size_x
      - .offset:         142
        .size:           2
        .value_kind:     hidden_group_size_y
      - .offset:         144
        .size:           2
        .value_kind:     hidden_group_size_z
      - .offset:         146
        .size:           2
        .value_kind:     hidden_remainder_x
      - .offset:         148
        .size:           2
        .value_kind:     hidden_remainder_y
      - .offset:         150
        .size:           2
        .value_kind:     hidden_remainder_z
      - .offset:         168
        .size:           8
        .value_kind:     hidden_global_offset_x
      - .offset:         176
        .size:           8
        .value_kind:     hidden_global_offset_y
      - .offset:         184
        .size:           8
        .value_kind:     hidden_global_offset_z
      - .offset:         192
        .size:           2
        .value_kind:     hidden_grid_dims
      - .offset:         248
        .size:           4
        .value_kind:     hidden_dynamic_lds_size
    .group_segment_fixed_size: 528
    .kernarg_segment_align: 8
    .kernarg_segment_size: 384
    .language:       OpenCL C
    .language_version:
      - 2
      - 0
    .max_flat_workgroup_size: 1024
    .name:           _ZN4vllm25paged_attention_v1_kernelIttLi256ELi16ELi128ELNS_18Fp8KVCacheDataTypeE0ELb0EEEvPT_PKS2_PKT0_S8_ifPKiSA_iPKfiiiSC_SC_iiiii
    .private_segment_fixed_size: 0
    .sgpr_count:     39
    .sgpr_spill_count: 0
    .symbol:         _ZN4vllm25paged_attention_v1_kernelIttLi256ELi16ELi128ELNS_18Fp8KVCacheDataTypeE0ELb0EEEvPT_PKS2_PKT0_S8_ifPKiSA_iPKfiiiSC_SC_iiiii.kd
    .uniform_work_group_size: 1
    .uses_dynamic_stack: false
    .vgpr_count:     55
    .vgpr_spill_count: 0
    .wavefront_size: 64
  - .args:
      - .actual_access:  write_only
        .address_space:  global
        .offset:         0
        .size:           8
        .value_kind:     global_buffer
      - .actual_access:  read_only
        .address_space:  global
        .offset:         8
        .size:           8
        .value_kind:     global_buffer
      - .actual_access:  read_only
        .address_space:  global
        .offset:         16
        .size:           8
        .value_kind:     global_buffer
      - .actual_access:  read_only
        .address_space:  global
        .offset:         24
        .size:           8
        .value_kind:     global_buffer
      - .offset:         32
        .size:           4
        .value_kind:     by_value
      - .offset:         36
        .size:           4
        .value_kind:     by_value
      - .actual_access:  read_only
        .address_space:  global
        .offset:         40
        .size:           8
        .value_kind:     global_buffer
      - .actual_access:  read_only
        .address_space:  global
        .offset:         48
        .size:           8
        .value_kind:     global_buffer
      - .offset:         56
        .size:           4
        .value_kind:     by_value
      - .actual_access:  read_only
        .address_space:  global
        .offset:         64
        .size:           8
        .value_kind:     global_buffer
      - .offset:         72
        .size:           4
        .value_kind:     by_value
      - .offset:         76
        .size:           4
        .value_kind:     by_value
      - .offset:         80
        .size:           4
        .value_kind:     by_value
      - .address_space:  global
        .offset:         88
        .size:           8
        .value_kind:     global_buffer
      - .address_space:  global
        .offset:         96
        .size:           8
        .value_kind:     global_buffer
      - .offset:         104
        .size:           4
        .value_kind:     by_value
      - .offset:         108
        .size:           4
        .value_kind:     by_value
      - .offset:         112
        .size:           4
        .value_kind:     by_value
      - .offset:         116
        .size:           4
        .value_kind:     by_value
      - .offset:         120
        .size:           4
        .value_kind:     by_value
      - .offset:         128
        .size:           4
        .value_kind:     hidden_block_count_x
      - .offset:         132
        .size:           4
        .value_kind:     hidden_block_count_y
      - .offset:         136
        .size:           4
        .value_kind:     hidden_block_count_z
      - .offset:         140
        .size:           2
        .value_kind:     hidden_group_size_x
      - .offset:         142
        .size:           2
        .value_kind:     hidden_group_size_y
      - .offset:         144
        .size:           2
        .value_kind:     hidden_group_size_z
      - .offset:         146
        .size:           2
        .value_kind:     hidden_remainder_x
      - .offset:         148
        .size:           2
        .value_kind:     hidden_remainder_y
      - .offset:         150
        .size:           2
        .value_kind:     hidden_remainder_z
      - .offset:         168
        .size:           8
        .value_kind:     hidden_global_offset_x
      - .offset:         176
        .size:           8
        .value_kind:     hidden_global_offset_y
      - .offset:         184
        .size:           8
        .value_kind:     hidden_global_offset_z
      - .offset:         192
        .size:           2
        .value_kind:     hidden_grid_dims
      - .offset:         248
        .size:           4
        .value_kind:     hidden_dynamic_lds_size
    .group_segment_fixed_size: 80
    .kernarg_segment_align: 8
    .kernarg_segment_size: 384
    .language:       OpenCL C
    .language_version:
      - 2
      - 0
    .max_flat_workgroup_size: 1024
    .name:           _ZN4vllm25paged_attention_v1_kernelIttLi32ELi32ELi128ELNS_18Fp8KVCacheDataTypeE0ELb1EEEvPT_PKS2_PKT0_S8_ifPKiSA_iPKfiiiSC_SC_iiiii
    .private_segment_fixed_size: 0
    .sgpr_count:     48
    .sgpr_spill_count: 0
    .symbol:         _ZN4vllm25paged_attention_v1_kernelIttLi32ELi32ELi128ELNS_18Fp8KVCacheDataTypeE0ELb1EEEvPT_PKS2_PKT0_S8_ifPKiSA_iPKfiiiSC_SC_iiiii.kd
    .uniform_work_group_size: 1
    .uses_dynamic_stack: false
    .vgpr_count:     51
    .vgpr_spill_count: 0
    .wavefront_size: 64
  - .args:
      - .actual_access:  write_only
        .address_space:  global
        .offset:         0
        .size:           8
        .value_kind:     global_buffer
      - .actual_access:  read_only
        .address_space:  global
        .offset:         8
        .size:           8
        .value_kind:     global_buffer
      - .actual_access:  read_only
        .address_space:  global
        .offset:         16
        .size:           8
        .value_kind:     global_buffer
      - .actual_access:  read_only
        .address_space:  global
        .offset:         24
        .size:           8
        .value_kind:     global_buffer
      - .offset:         32
        .size:           4
        .value_kind:     by_value
      - .offset:         36
        .size:           4
        .value_kind:     by_value
      - .actual_access:  read_only
        .address_space:  global
        .offset:         40
        .size:           8
        .value_kind:     global_buffer
      - .actual_access:  read_only
        .address_space:  global
        .offset:         48
        .size:           8
        .value_kind:     global_buffer
      - .offset:         56
        .size:           4
        .value_kind:     by_value
      - .actual_access:  read_only
        .address_space:  global
        .offset:         64
        .size:           8
        .value_kind:     global_buffer
      - .offset:         72
        .size:           4
        .value_kind:     by_value
      - .offset:         76
        .size:           4
        .value_kind:     by_value
      - .offset:         80
        .size:           4
        .value_kind:     by_value
      - .address_space:  global
        .offset:         88
        .size:           8
        .value_kind:     global_buffer
      - .address_space:  global
        .offset:         96
        .size:           8
        .value_kind:     global_buffer
      - .offset:         104
        .size:           4
        .value_kind:     by_value
      - .offset:         108
        .size:           4
        .value_kind:     by_value
      - .offset:         112
        .size:           4
        .value_kind:     by_value
      - .offset:         116
        .size:           4
        .value_kind:     by_value
      - .offset:         120
        .size:           4
        .value_kind:     by_value
      - .offset:         128
        .size:           4
        .value_kind:     hidden_block_count_x
      - .offset:         132
        .size:           4
        .value_kind:     hidden_block_count_y
      - .offset:         136
        .size:           4
        .value_kind:     hidden_block_count_z
      - .offset:         140
        .size:           2
        .value_kind:     hidden_group_size_x
      - .offset:         142
        .size:           2
        .value_kind:     hidden_group_size_y
      - .offset:         144
        .size:           2
        .value_kind:     hidden_group_size_z
      - .offset:         146
        .size:           2
        .value_kind:     hidden_remainder_x
      - .offset:         148
        .size:           2
        .value_kind:     hidden_remainder_y
      - .offset:         150
        .size:           2
        .value_kind:     hidden_remainder_z
      - .offset:         168
        .size:           8
        .value_kind:     hidden_global_offset_x
      - .offset:         176
        .size:           8
        .value_kind:     hidden_global_offset_y
      - .offset:         184
        .size:           8
        .value_kind:     hidden_global_offset_z
      - .offset:         192
        .size:           2
        .value_kind:     hidden_grid_dims
      - .offset:         248
        .size:           4
        .value_kind:     hidden_dynamic_lds_size
    .group_segment_fixed_size: 144
    .kernarg_segment_align: 8
    .kernarg_segment_size: 384
    .language:       OpenCL C
    .language_version:
      - 2
      - 0
    .max_flat_workgroup_size: 1024
    .name:           _ZN4vllm25paged_attention_v1_kernelIttLi64ELi32ELi128ELNS_18Fp8KVCacheDataTypeE0ELb1EEEvPT_PKS2_PKT0_S8_ifPKiSA_iPKfiiiSC_SC_iiiii
    .private_segment_fixed_size: 0
    .sgpr_count:     48
    .sgpr_spill_count: 0
    .symbol:         _ZN4vllm25paged_attention_v1_kernelIttLi64ELi32ELi128ELNS_18Fp8KVCacheDataTypeE0ELb1EEEvPT_PKS2_PKT0_S8_ifPKiSA_iPKfiiiSC_SC_iiiii.kd
    .uniform_work_group_size: 1
    .uses_dynamic_stack: false
    .vgpr_count:     58
    .vgpr_spill_count: 0
    .wavefront_size: 64
  - .args:
      - .actual_access:  write_only
        .address_space:  global
        .offset:         0
        .size:           8
        .value_kind:     global_buffer
      - .actual_access:  read_only
        .address_space:  global
        .offset:         8
        .size:           8
        .value_kind:     global_buffer
      - .actual_access:  read_only
        .address_space:  global
        .offset:         16
        .size:           8
        .value_kind:     global_buffer
      - .actual_access:  read_only
        .address_space:  global
        .offset:         24
        .size:           8
        .value_kind:     global_buffer
      - .offset:         32
        .size:           4
        .value_kind:     by_value
      - .offset:         36
        .size:           4
        .value_kind:     by_value
      - .actual_access:  read_only
        .address_space:  global
        .offset:         40
        .size:           8
        .value_kind:     global_buffer
      - .actual_access:  read_only
        .address_space:  global
        .offset:         48
        .size:           8
        .value_kind:     global_buffer
      - .offset:         56
        .size:           4
        .value_kind:     by_value
      - .actual_access:  read_only
        .address_space:  global
        .offset:         64
        .size:           8
        .value_kind:     global_buffer
      - .offset:         72
        .size:           4
        .value_kind:     by_value
      - .offset:         76
        .size:           4
        .value_kind:     by_value
      - .offset:         80
        .size:           4
        .value_kind:     by_value
      - .address_space:  global
        .offset:         88
        .size:           8
        .value_kind:     global_buffer
      - .address_space:  global
        .offset:         96
        .size:           8
        .value_kind:     global_buffer
      - .offset:         104
        .size:           4
        .value_kind:     by_value
      - .offset:         108
        .size:           4
        .value_kind:     by_value
      - .offset:         112
        .size:           4
        .value_kind:     by_value
      - .offset:         116
        .size:           4
        .value_kind:     by_value
      - .offset:         120
        .size:           4
        .value_kind:     by_value
      - .offset:         128
        .size:           4
        .value_kind:     hidden_block_count_x
      - .offset:         132
        .size:           4
        .value_kind:     hidden_block_count_y
      - .offset:         136
        .size:           4
        .value_kind:     hidden_block_count_z
      - .offset:         140
        .size:           2
        .value_kind:     hidden_group_size_x
      - .offset:         142
        .size:           2
        .value_kind:     hidden_group_size_y
      - .offset:         144
        .size:           2
        .value_kind:     hidden_group_size_z
      - .offset:         146
        .size:           2
        .value_kind:     hidden_remainder_x
      - .offset:         148
        .size:           2
        .value_kind:     hidden_remainder_y
      - .offset:         150
        .size:           2
        .value_kind:     hidden_remainder_z
      - .offset:         168
        .size:           8
        .value_kind:     hidden_global_offset_x
      - .offset:         176
        .size:           8
        .value_kind:     hidden_global_offset_y
      - .offset:         184
        .size:           8
        .value_kind:     hidden_global_offset_z
      - .offset:         192
        .size:           2
        .value_kind:     hidden_grid_dims
      - .offset:         248
        .size:           4
        .value_kind:     hidden_dynamic_lds_size
    .group_segment_fixed_size: 176
    .kernarg_segment_align: 8
    .kernarg_segment_size: 384
    .language:       OpenCL C
    .language_version:
      - 2
      - 0
    .max_flat_workgroup_size: 1024
    .name:           _ZN4vllm25paged_attention_v1_kernelIttLi80ELi32ELi128ELNS_18Fp8KVCacheDataTypeE0ELb1EEEvPT_PKS2_PKT0_S8_ifPKiSA_iPKfiiiSC_SC_iiiii
    .private_segment_fixed_size: 0
    .sgpr_count:     49
    .sgpr_spill_count: 0
    .symbol:         _ZN4vllm25paged_attention_v1_kernelIttLi80ELi32ELi128ELNS_18Fp8KVCacheDataTypeE0ELb1EEEvPT_PKS2_PKT0_S8_ifPKiSA_iPKfiiiSC_SC_iiiii.kd
    .uniform_work_group_size: 1
    .uses_dynamic_stack: false
    .vgpr_count:     56
    .vgpr_spill_count: 0
    .wavefront_size: 64
  - .args:
      - .actual_access:  write_only
        .address_space:  global
        .offset:         0
        .size:           8
        .value_kind:     global_buffer
      - .actual_access:  read_only
        .address_space:  global
        .offset:         8
        .size:           8
        .value_kind:     global_buffer
      - .actual_access:  read_only
        .address_space:  global
        .offset:         16
        .size:           8
        .value_kind:     global_buffer
      - .actual_access:  read_only
        .address_space:  global
        .offset:         24
        .size:           8
        .value_kind:     global_buffer
      - .offset:         32
        .size:           4
        .value_kind:     by_value
      - .offset:         36
        .size:           4
        .value_kind:     by_value
      - .actual_access:  read_only
        .address_space:  global
        .offset:         40
        .size:           8
        .value_kind:     global_buffer
      - .actual_access:  read_only
        .address_space:  global
        .offset:         48
        .size:           8
        .value_kind:     global_buffer
      - .offset:         56
        .size:           4
        .value_kind:     by_value
      - .actual_access:  read_only
        .address_space:  global
        .offset:         64
        .size:           8
        .value_kind:     global_buffer
      - .offset:         72
        .size:           4
        .value_kind:     by_value
      - .offset:         76
        .size:           4
        .value_kind:     by_value
      - .offset:         80
        .size:           4
        .value_kind:     by_value
      - .address_space:  global
        .offset:         88
        .size:           8
        .value_kind:     global_buffer
      - .address_space:  global
        .offset:         96
        .size:           8
        .value_kind:     global_buffer
      - .offset:         104
        .size:           4
        .value_kind:     by_value
      - .offset:         108
        .size:           4
        .value_kind:     by_value
      - .offset:         112
        .size:           4
        .value_kind:     by_value
      - .offset:         116
        .size:           4
        .value_kind:     by_value
      - .offset:         120
        .size:           4
        .value_kind:     by_value
      - .offset:         128
        .size:           4
        .value_kind:     hidden_block_count_x
      - .offset:         132
        .size:           4
        .value_kind:     hidden_block_count_y
      - .offset:         136
        .size:           4
        .value_kind:     hidden_block_count_z
      - .offset:         140
        .size:           2
        .value_kind:     hidden_group_size_x
      - .offset:         142
        .size:           2
        .value_kind:     hidden_group_size_y
      - .offset:         144
        .size:           2
        .value_kind:     hidden_group_size_z
      - .offset:         146
        .size:           2
        .value_kind:     hidden_remainder_x
      - .offset:         148
        .size:           2
        .value_kind:     hidden_remainder_y
      - .offset:         150
        .size:           2
        .value_kind:     hidden_remainder_z
      - .offset:         168
        .size:           8
        .value_kind:     hidden_global_offset_x
      - .offset:         176
        .size:           8
        .value_kind:     hidden_global_offset_y
      - .offset:         184
        .size:           8
        .value_kind:     hidden_global_offset_z
      - .offset:         192
        .size:           2
        .value_kind:     hidden_grid_dims
      - .offset:         248
        .size:           4
        .value_kind:     hidden_dynamic_lds_size
    .group_segment_fixed_size: 208
    .kernarg_segment_align: 8
    .kernarg_segment_size: 384
    .language:       OpenCL C
    .language_version:
      - 2
      - 0
    .max_flat_workgroup_size: 1024
    .name:           _ZN4vllm25paged_attention_v1_kernelIttLi96ELi32ELi128ELNS_18Fp8KVCacheDataTypeE0ELb1EEEvPT_PKS2_PKT0_S8_ifPKiSA_iPKfiiiSC_SC_iiiii
    .private_segment_fixed_size: 0
    .sgpr_count:     49
    .sgpr_spill_count: 0
    .symbol:         _ZN4vllm25paged_attention_v1_kernelIttLi96ELi32ELi128ELNS_18Fp8KVCacheDataTypeE0ELb1EEEvPT_PKS2_PKT0_S8_ifPKiSA_iPKfiiiSC_SC_iiiii.kd
    .uniform_work_group_size: 1
    .uses_dynamic_stack: false
    .vgpr_count:     56
    .vgpr_spill_count: 0
    .wavefront_size: 64
  - .args:
      - .actual_access:  write_only
        .address_space:  global
        .offset:         0
        .size:           8
        .value_kind:     global_buffer
      - .actual_access:  read_only
        .address_space:  global
        .offset:         8
        .size:           8
        .value_kind:     global_buffer
      - .actual_access:  read_only
        .address_space:  global
        .offset:         16
        .size:           8
        .value_kind:     global_buffer
      - .actual_access:  read_only
        .address_space:  global
        .offset:         24
        .size:           8
        .value_kind:     global_buffer
      - .offset:         32
        .size:           4
        .value_kind:     by_value
      - .offset:         36
        .size:           4
        .value_kind:     by_value
      - .actual_access:  read_only
        .address_space:  global
        .offset:         40
        .size:           8
        .value_kind:     global_buffer
      - .actual_access:  read_only
        .address_space:  global
        .offset:         48
        .size:           8
        .value_kind:     global_buffer
      - .offset:         56
        .size:           4
        .value_kind:     by_value
      - .actual_access:  read_only
        .address_space:  global
        .offset:         64
        .size:           8
        .value_kind:     global_buffer
      - .offset:         72
        .size:           4
        .value_kind:     by_value
      - .offset:         76
        .size:           4
        .value_kind:     by_value
      - .offset:         80
        .size:           4
        .value_kind:     by_value
      - .address_space:  global
        .offset:         88
        .size:           8
        .value_kind:     global_buffer
      - .address_space:  global
        .offset:         96
        .size:           8
        .value_kind:     global_buffer
      - .offset:         104
        .size:           4
        .value_kind:     by_value
      - .offset:         108
        .size:           4
        .value_kind:     by_value
      - .offset:         112
        .size:           4
        .value_kind:     by_value
      - .offset:         116
        .size:           4
        .value_kind:     by_value
      - .offset:         120
        .size:           4
        .value_kind:     by_value
      - .offset:         128
        .size:           4
        .value_kind:     hidden_block_count_x
      - .offset:         132
        .size:           4
        .value_kind:     hidden_block_count_y
      - .offset:         136
        .size:           4
        .value_kind:     hidden_block_count_z
      - .offset:         140
        .size:           2
        .value_kind:     hidden_group_size_x
      - .offset:         142
        .size:           2
        .value_kind:     hidden_group_size_y
      - .offset:         144
        .size:           2
        .value_kind:     hidden_group_size_z
      - .offset:         146
        .size:           2
        .value_kind:     hidden_remainder_x
      - .offset:         148
        .size:           2
        .value_kind:     hidden_remainder_y
      - .offset:         150
        .size:           2
        .value_kind:     hidden_remainder_z
      - .offset:         168
        .size:           8
        .value_kind:     hidden_global_offset_x
      - .offset:         176
        .size:           8
        .value_kind:     hidden_global_offset_y
      - .offset:         184
        .size:           8
        .value_kind:     hidden_global_offset_z
      - .offset:         192
        .size:           2
        .value_kind:     hidden_grid_dims
      - .offset:         248
        .size:           4
        .value_kind:     hidden_dynamic_lds_size
    .group_segment_fixed_size: 240
    .kernarg_segment_align: 8
    .kernarg_segment_size: 384
    .language:       OpenCL C
    .language_version:
      - 2
      - 0
    .max_flat_workgroup_size: 1024
    .name:           _ZN4vllm25paged_attention_v1_kernelIttLi112ELi32ELi128ELNS_18Fp8KVCacheDataTypeE0ELb1EEEvPT_PKS2_PKT0_S8_ifPKiSA_iPKfiiiSC_SC_iiiii
    .private_segment_fixed_size: 0
    .sgpr_count:     49
    .sgpr_spill_count: 0
    .symbol:         _ZN4vllm25paged_attention_v1_kernelIttLi112ELi32ELi128ELNS_18Fp8KVCacheDataTypeE0ELb1EEEvPT_PKS2_PKT0_S8_ifPKiSA_iPKfiiiSC_SC_iiiii.kd
    .uniform_work_group_size: 1
    .uses_dynamic_stack: false
    .vgpr_count:     60
    .vgpr_spill_count: 0
    .wavefront_size: 64
  - .args:
      - .actual_access:  write_only
        .address_space:  global
        .offset:         0
        .size:           8
        .value_kind:     global_buffer
      - .actual_access:  read_only
        .address_space:  global
        .offset:         8
        .size:           8
        .value_kind:     global_buffer
      - .actual_access:  read_only
        .address_space:  global
        .offset:         16
        .size:           8
        .value_kind:     global_buffer
      - .actual_access:  read_only
        .address_space:  global
        .offset:         24
        .size:           8
        .value_kind:     global_buffer
      - .offset:         32
        .size:           4
        .value_kind:     by_value
      - .offset:         36
        .size:           4
        .value_kind:     by_value
      - .actual_access:  read_only
        .address_space:  global
        .offset:         40
        .size:           8
        .value_kind:     global_buffer
      - .actual_access:  read_only
        .address_space:  global
        .offset:         48
        .size:           8
        .value_kind:     global_buffer
      - .offset:         56
        .size:           4
        .value_kind:     by_value
      - .actual_access:  read_only
        .address_space:  global
        .offset:         64
        .size:           8
        .value_kind:     global_buffer
      - .offset:         72
        .size:           4
        .value_kind:     by_value
      - .offset:         76
        .size:           4
        .value_kind:     by_value
      - .offset:         80
        .size:           4
        .value_kind:     by_value
      - .address_space:  global
        .offset:         88
        .size:           8
        .value_kind:     global_buffer
      - .address_space:  global
        .offset:         96
        .size:           8
        .value_kind:     global_buffer
      - .offset:         104
        .size:           4
        .value_kind:     by_value
      - .offset:         108
        .size:           4
        .value_kind:     by_value
      - .offset:         112
        .size:           4
        .value_kind:     by_value
      - .offset:         116
        .size:           4
        .value_kind:     by_value
      - .offset:         120
        .size:           4
        .value_kind:     by_value
      - .offset:         128
        .size:           4
        .value_kind:     hidden_block_count_x
      - .offset:         132
        .size:           4
        .value_kind:     hidden_block_count_y
      - .offset:         136
        .size:           4
        .value_kind:     hidden_block_count_z
      - .offset:         140
        .size:           2
        .value_kind:     hidden_group_size_x
      - .offset:         142
        .size:           2
        .value_kind:     hidden_group_size_y
      - .offset:         144
        .size:           2
        .value_kind:     hidden_group_size_z
      - .offset:         146
        .size:           2
        .value_kind:     hidden_remainder_x
      - .offset:         148
        .size:           2
        .value_kind:     hidden_remainder_y
      - .offset:         150
        .size:           2
        .value_kind:     hidden_remainder_z
      - .offset:         168
        .size:           8
        .value_kind:     hidden_global_offset_x
      - .offset:         176
        .size:           8
        .value_kind:     hidden_global_offset_y
      - .offset:         184
        .size:           8
        .value_kind:     hidden_global_offset_z
      - .offset:         192
        .size:           2
        .value_kind:     hidden_grid_dims
      - .offset:         248
        .size:           4
        .value_kind:     hidden_dynamic_lds_size
    .group_segment_fixed_size: 256
    .kernarg_segment_align: 8
    .kernarg_segment_size: 384
    .language:       OpenCL C
    .language_version:
      - 2
      - 0
    .max_flat_workgroup_size: 1024
    .name:           _ZN4vllm25paged_attention_v1_kernelIttLi120ELi32ELi128ELNS_18Fp8KVCacheDataTypeE0ELb1EEEvPT_PKS2_PKT0_S8_ifPKiSA_iPKfiiiSC_SC_iiiii
    .private_segment_fixed_size: 0
    .sgpr_count:     49
    .sgpr_spill_count: 0
    .symbol:         _ZN4vllm25paged_attention_v1_kernelIttLi120ELi32ELi128ELNS_18Fp8KVCacheDataTypeE0ELb1EEEvPT_PKS2_PKT0_S8_ifPKiSA_iPKfiiiSC_SC_iiiii.kd
    .uniform_work_group_size: 1
    .uses_dynamic_stack: false
    .vgpr_count:     62
    .vgpr_spill_count: 0
    .wavefront_size: 64
  - .args:
      - .actual_access:  write_only
        .address_space:  global
        .offset:         0
        .size:           8
        .value_kind:     global_buffer
      - .actual_access:  read_only
        .address_space:  global
        .offset:         8
        .size:           8
        .value_kind:     global_buffer
      - .actual_access:  read_only
        .address_space:  global
        .offset:         16
        .size:           8
        .value_kind:     global_buffer
      - .actual_access:  read_only
        .address_space:  global
        .offset:         24
        .size:           8
        .value_kind:     global_buffer
      - .offset:         32
        .size:           4
        .value_kind:     by_value
      - .offset:         36
        .size:           4
        .value_kind:     by_value
      - .actual_access:  read_only
        .address_space:  global
        .offset:         40
        .size:           8
        .value_kind:     global_buffer
      - .actual_access:  read_only
        .address_space:  global
        .offset:         48
        .size:           8
        .value_kind:     global_buffer
      - .offset:         56
        .size:           4
        .value_kind:     by_value
      - .actual_access:  read_only
        .address_space:  global
        .offset:         64
        .size:           8
        .value_kind:     global_buffer
      - .offset:         72
        .size:           4
        .value_kind:     by_value
      - .offset:         76
        .size:           4
        .value_kind:     by_value
      - .offset:         80
        .size:           4
        .value_kind:     by_value
      - .address_space:  global
        .offset:         88
        .size:           8
        .value_kind:     global_buffer
      - .address_space:  global
        .offset:         96
        .size:           8
        .value_kind:     global_buffer
      - .offset:         104
        .size:           4
        .value_kind:     by_value
      - .offset:         108
        .size:           4
        .value_kind:     by_value
      - .offset:         112
        .size:           4
        .value_kind:     by_value
      - .offset:         116
        .size:           4
        .value_kind:     by_value
      - .offset:         120
        .size:           4
        .value_kind:     by_value
      - .offset:         128
        .size:           4
        .value_kind:     hidden_block_count_x
      - .offset:         132
        .size:           4
        .value_kind:     hidden_block_count_y
      - .offset:         136
        .size:           4
        .value_kind:     hidden_block_count_z
      - .offset:         140
        .size:           2
        .value_kind:     hidden_group_size_x
      - .offset:         142
        .size:           2
        .value_kind:     hidden_group_size_y
      - .offset:         144
        .size:           2
        .value_kind:     hidden_group_size_z
      - .offset:         146
        .size:           2
        .value_kind:     hidden_remainder_x
      - .offset:         148
        .size:           2
        .value_kind:     hidden_remainder_y
      - .offset:         150
        .size:           2
        .value_kind:     hidden_remainder_z
      - .offset:         168
        .size:           8
        .value_kind:     hidden_global_offset_x
      - .offset:         176
        .size:           8
        .value_kind:     hidden_global_offset_y
      - .offset:         184
        .size:           8
        .value_kind:     hidden_global_offset_z
      - .offset:         192
        .size:           2
        .value_kind:     hidden_grid_dims
      - .offset:         248
        .size:           4
        .value_kind:     hidden_dynamic_lds_size
    .group_segment_fixed_size: 272
    .kernarg_segment_align: 8
    .kernarg_segment_size: 384
    .language:       OpenCL C
    .language_version:
      - 2
      - 0
    .max_flat_workgroup_size: 1024
    .name:           _ZN4vllm25paged_attention_v1_kernelIttLi128ELi32ELi128ELNS_18Fp8KVCacheDataTypeE0ELb1EEEvPT_PKS2_PKT0_S8_ifPKiSA_iPKfiiiSC_SC_iiiii
    .private_segment_fixed_size: 0
    .sgpr_count:     49
    .sgpr_spill_count: 0
    .symbol:         _ZN4vllm25paged_attention_v1_kernelIttLi128ELi32ELi128ELNS_18Fp8KVCacheDataTypeE0ELb1EEEvPT_PKS2_PKT0_S8_ifPKiSA_iPKfiiiSC_SC_iiiii.kd
    .uniform_work_group_size: 1
    .uses_dynamic_stack: false
    .vgpr_count:     63
    .vgpr_spill_count: 0
    .wavefront_size: 64
  - .args:
      - .actual_access:  write_only
        .address_space:  global
        .offset:         0
        .size:           8
        .value_kind:     global_buffer
      - .actual_access:  read_only
        .address_space:  global
        .offset:         8
        .size:           8
        .value_kind:     global_buffer
      - .actual_access:  read_only
        .address_space:  global
        .offset:         16
        .size:           8
        .value_kind:     global_buffer
      - .actual_access:  read_only
        .address_space:  global
        .offset:         24
        .size:           8
        .value_kind:     global_buffer
      - .offset:         32
        .size:           4
        .value_kind:     by_value
      - .offset:         36
        .size:           4
        .value_kind:     by_value
      - .actual_access:  read_only
        .address_space:  global
        .offset:         40
        .size:           8
        .value_kind:     global_buffer
      - .actual_access:  read_only
        .address_space:  global
        .offset:         48
        .size:           8
        .value_kind:     global_buffer
      - .offset:         56
        .size:           4
        .value_kind:     by_value
      - .actual_access:  read_only
        .address_space:  global
        .offset:         64
        .size:           8
        .value_kind:     global_buffer
      - .offset:         72
        .size:           4
        .value_kind:     by_value
      - .offset:         76
        .size:           4
        .value_kind:     by_value
      - .offset:         80
        .size:           4
        .value_kind:     by_value
      - .address_space:  global
        .offset:         88
        .size:           8
        .value_kind:     global_buffer
      - .address_space:  global
        .offset:         96
        .size:           8
        .value_kind:     global_buffer
      - .offset:         104
        .size:           4
        .value_kind:     by_value
      - .offset:         108
        .size:           4
        .value_kind:     by_value
      - .offset:         112
        .size:           4
        .value_kind:     by_value
      - .offset:         116
        .size:           4
        .value_kind:     by_value
      - .offset:         120
        .size:           4
        .value_kind:     by_value
      - .offset:         128
        .size:           4
        .value_kind:     hidden_block_count_x
      - .offset:         132
        .size:           4
        .value_kind:     hidden_block_count_y
      - .offset:         136
        .size:           4
        .value_kind:     hidden_block_count_z
      - .offset:         140
        .size:           2
        .value_kind:     hidden_group_size_x
      - .offset:         142
        .size:           2
        .value_kind:     hidden_group_size_y
      - .offset:         144
        .size:           2
        .value_kind:     hidden_group_size_z
      - .offset:         146
        .size:           2
        .value_kind:     hidden_remainder_x
      - .offset:         148
        .size:           2
        .value_kind:     hidden_remainder_y
      - .offset:         150
        .size:           2
        .value_kind:     hidden_remainder_z
      - .offset:         168
        .size:           8
        .value_kind:     hidden_global_offset_x
      - .offset:         176
        .size:           8
        .value_kind:     hidden_global_offset_y
      - .offset:         184
        .size:           8
        .value_kind:     hidden_global_offset_z
      - .offset:         192
        .size:           2
        .value_kind:     hidden_grid_dims
      - .offset:         248
        .size:           4
        .value_kind:     hidden_dynamic_lds_size
    .group_segment_fixed_size: 400
    .kernarg_segment_align: 8
    .kernarg_segment_size: 384
    .language:       OpenCL C
    .language_version:
      - 2
      - 0
    .max_flat_workgroup_size: 1024
    .name:           _ZN4vllm25paged_attention_v1_kernelIttLi192ELi32ELi128ELNS_18Fp8KVCacheDataTypeE0ELb1EEEvPT_PKS2_PKT0_S8_ifPKiSA_iPKfiiiSC_SC_iiiii
    .private_segment_fixed_size: 64
    .sgpr_count:     56
    .sgpr_spill_count: 0
    .symbol:         _ZN4vllm25paged_attention_v1_kernelIttLi192ELi32ELi128ELNS_18Fp8KVCacheDataTypeE0ELb1EEEvPT_PKS2_PKT0_S8_ifPKiSA_iPKfiiiSC_SC_iiiii.kd
    .uniform_work_group_size: 1
    .uses_dynamic_stack: false
    .vgpr_count:     64
    .vgpr_spill_count: 20
    .wavefront_size: 64
  - .args:
      - .actual_access:  write_only
        .address_space:  global
        .offset:         0
        .size:           8
        .value_kind:     global_buffer
      - .actual_access:  read_only
        .address_space:  global
        .offset:         8
        .size:           8
        .value_kind:     global_buffer
      - .actual_access:  read_only
        .address_space:  global
        .offset:         16
        .size:           8
        .value_kind:     global_buffer
      - .actual_access:  read_only
        .address_space:  global
        .offset:         24
        .size:           8
        .value_kind:     global_buffer
      - .offset:         32
        .size:           4
        .value_kind:     by_value
      - .offset:         36
        .size:           4
        .value_kind:     by_value
      - .actual_access:  read_only
        .address_space:  global
        .offset:         40
        .size:           8
        .value_kind:     global_buffer
      - .actual_access:  read_only
        .address_space:  global
        .offset:         48
        .size:           8
        .value_kind:     global_buffer
      - .offset:         56
        .size:           4
        .value_kind:     by_value
      - .actual_access:  read_only
        .address_space:  global
        .offset:         64
        .size:           8
        .value_kind:     global_buffer
      - .offset:         72
        .size:           4
        .value_kind:     by_value
      - .offset:         76
        .size:           4
        .value_kind:     by_value
      - .offset:         80
        .size:           4
        .value_kind:     by_value
      - .address_space:  global
        .offset:         88
        .size:           8
        .value_kind:     global_buffer
      - .address_space:  global
        .offset:         96
        .size:           8
        .value_kind:     global_buffer
      - .offset:         104
        .size:           4
        .value_kind:     by_value
      - .offset:         108
        .size:           4
        .value_kind:     by_value
      - .offset:         112
        .size:           4
        .value_kind:     by_value
      - .offset:         116
        .size:           4
        .value_kind:     by_value
      - .offset:         120
        .size:           4
        .value_kind:     by_value
      - .offset:         128
        .size:           4
        .value_kind:     hidden_block_count_x
      - .offset:         132
        .size:           4
        .value_kind:     hidden_block_count_y
      - .offset:         136
        .size:           4
        .value_kind:     hidden_block_count_z
      - .offset:         140
        .size:           2
        .value_kind:     hidden_group_size_x
      - .offset:         142
        .size:           2
        .value_kind:     hidden_group_size_y
      - .offset:         144
        .size:           2
        .value_kind:     hidden_group_size_z
      - .offset:         146
        .size:           2
        .value_kind:     hidden_remainder_x
      - .offset:         148
        .size:           2
        .value_kind:     hidden_remainder_y
      - .offset:         150
        .size:           2
        .value_kind:     hidden_remainder_z
      - .offset:         168
        .size:           8
        .value_kind:     hidden_global_offset_x
      - .offset:         176
        .size:           8
        .value_kind:     hidden_global_offset_y
      - .offset:         184
        .size:           8
        .value_kind:     hidden_global_offset_z
      - .offset:         192
        .size:           2
        .value_kind:     hidden_grid_dims
      - .offset:         248
        .size:           4
        .value_kind:     hidden_dynamic_lds_size
    .group_segment_fixed_size: 528
    .kernarg_segment_align: 8
    .kernarg_segment_size: 384
    .language:       OpenCL C
    .language_version:
      - 2
      - 0
    .max_flat_workgroup_size: 1024
    .name:           _ZN4vllm25paged_attention_v1_kernelIttLi256ELi32ELi128ELNS_18Fp8KVCacheDataTypeE0ELb1EEEvPT_PKS2_PKT0_S8_ifPKiSA_iPKfiiiSC_SC_iiiii
    .private_segment_fixed_size: 132
    .sgpr_count:     60
    .sgpr_spill_count: 0
    .symbol:         _ZN4vllm25paged_attention_v1_kernelIttLi256ELi32ELi128ELNS_18Fp8KVCacheDataTypeE0ELb1EEEvPT_PKS2_PKT0_S8_ifPKiSA_iPKfiiiSC_SC_iiiii.kd
    .uniform_work_group_size: 1
    .uses_dynamic_stack: false
    .vgpr_count:     64
    .vgpr_spill_count: 50
    .wavefront_size: 64
  - .args:
      - .actual_access:  write_only
        .address_space:  global
        .offset:         0
        .size:           8
        .value_kind:     global_buffer
      - .actual_access:  read_only
        .address_space:  global
        .offset:         8
        .size:           8
        .value_kind:     global_buffer
      - .actual_access:  read_only
        .address_space:  global
        .offset:         16
        .size:           8
        .value_kind:     global_buffer
      - .actual_access:  read_only
        .address_space:  global
        .offset:         24
        .size:           8
        .value_kind:     global_buffer
      - .offset:         32
        .size:           4
        .value_kind:     by_value
      - .offset:         36
        .size:           4
        .value_kind:     by_value
      - .actual_access:  read_only
        .address_space:  global
        .offset:         40
        .size:           8
        .value_kind:     global_buffer
      - .actual_access:  read_only
        .address_space:  global
        .offset:         48
        .size:           8
        .value_kind:     global_buffer
      - .offset:         56
        .size:           4
        .value_kind:     by_value
      - .actual_access:  read_only
        .address_space:  global
        .offset:         64
        .size:           8
        .value_kind:     global_buffer
      - .offset:         72
        .size:           4
        .value_kind:     by_value
      - .offset:         76
        .size:           4
        .value_kind:     by_value
      - .offset:         80
        .size:           4
        .value_kind:     by_value
      - .address_space:  global
        .offset:         88
        .size:           8
        .value_kind:     global_buffer
      - .address_space:  global
        .offset:         96
        .size:           8
        .value_kind:     global_buffer
      - .offset:         104
        .size:           4
        .value_kind:     by_value
      - .offset:         108
        .size:           4
        .value_kind:     by_value
      - .offset:         112
        .size:           4
        .value_kind:     by_value
      - .offset:         116
        .size:           4
        .value_kind:     by_value
      - .offset:         120
        .size:           4
        .value_kind:     by_value
      - .offset:         128
        .size:           4
        .value_kind:     hidden_block_count_x
      - .offset:         132
        .size:           4
        .value_kind:     hidden_block_count_y
      - .offset:         136
        .size:           4
        .value_kind:     hidden_block_count_z
      - .offset:         140
        .size:           2
        .value_kind:     hidden_group_size_x
      - .offset:         142
        .size:           2
        .value_kind:     hidden_group_size_y
      - .offset:         144
        .size:           2
        .value_kind:     hidden_group_size_z
      - .offset:         146
        .size:           2
        .value_kind:     hidden_remainder_x
      - .offset:         148
        .size:           2
        .value_kind:     hidden_remainder_y
      - .offset:         150
        .size:           2
        .value_kind:     hidden_remainder_z
      - .offset:         168
        .size:           8
        .value_kind:     hidden_global_offset_x
      - .offset:         176
        .size:           8
        .value_kind:     hidden_global_offset_y
      - .offset:         184
        .size:           8
        .value_kind:     hidden_global_offset_z
      - .offset:         192
        .size:           2
        .value_kind:     hidden_grid_dims
      - .offset:         248
        .size:           4
        .value_kind:     hidden_dynamic_lds_size
    .group_segment_fixed_size: 80
    .kernarg_segment_align: 8
    .kernarg_segment_size: 384
    .language:       OpenCL C
    .language_version:
      - 2
      - 0
    .max_flat_workgroup_size: 1024
    .name:           _ZN4vllm25paged_attention_v1_kernelIttLi32ELi32ELi128ELNS_18Fp8KVCacheDataTypeE0ELb0EEEvPT_PKS2_PKT0_S8_ifPKiSA_iPKfiiiSC_SC_iiiii
    .private_segment_fixed_size: 0
    .sgpr_count:     38
    .sgpr_spill_count: 0
    .symbol:         _ZN4vllm25paged_attention_v1_kernelIttLi32ELi32ELi128ELNS_18Fp8KVCacheDataTypeE0ELb0EEEvPT_PKS2_PKT0_S8_ifPKiSA_iPKfiiiSC_SC_iiiii.kd
    .uniform_work_group_size: 1
    .uses_dynamic_stack: false
    .vgpr_count:     46
    .vgpr_spill_count: 0
    .wavefront_size: 64
  - .args:
      - .actual_access:  write_only
        .address_space:  global
        .offset:         0
        .size:           8
        .value_kind:     global_buffer
      - .actual_access:  read_only
        .address_space:  global
        .offset:         8
        .size:           8
        .value_kind:     global_buffer
      - .actual_access:  read_only
        .address_space:  global
        .offset:         16
        .size:           8
        .value_kind:     global_buffer
      - .actual_access:  read_only
        .address_space:  global
        .offset:         24
        .size:           8
        .value_kind:     global_buffer
      - .offset:         32
        .size:           4
        .value_kind:     by_value
      - .offset:         36
        .size:           4
        .value_kind:     by_value
      - .actual_access:  read_only
        .address_space:  global
        .offset:         40
        .size:           8
        .value_kind:     global_buffer
      - .actual_access:  read_only
        .address_space:  global
        .offset:         48
        .size:           8
        .value_kind:     global_buffer
      - .offset:         56
        .size:           4
        .value_kind:     by_value
      - .actual_access:  read_only
        .address_space:  global
        .offset:         64
        .size:           8
        .value_kind:     global_buffer
      - .offset:         72
        .size:           4
        .value_kind:     by_value
      - .offset:         76
        .size:           4
        .value_kind:     by_value
      - .offset:         80
        .size:           4
        .value_kind:     by_value
      - .address_space:  global
        .offset:         88
        .size:           8
        .value_kind:     global_buffer
      - .address_space:  global
        .offset:         96
        .size:           8
        .value_kind:     global_buffer
      - .offset:         104
        .size:           4
        .value_kind:     by_value
      - .offset:         108
        .size:           4
        .value_kind:     by_value
      - .offset:         112
        .size:           4
        .value_kind:     by_value
      - .offset:         116
        .size:           4
        .value_kind:     by_value
      - .offset:         120
        .size:           4
        .value_kind:     by_value
      - .offset:         128
        .size:           4
        .value_kind:     hidden_block_count_x
      - .offset:         132
        .size:           4
        .value_kind:     hidden_block_count_y
      - .offset:         136
        .size:           4
        .value_kind:     hidden_block_count_z
      - .offset:         140
        .size:           2
        .value_kind:     hidden_group_size_x
      - .offset:         142
        .size:           2
        .value_kind:     hidden_group_size_y
      - .offset:         144
        .size:           2
        .value_kind:     hidden_group_size_z
      - .offset:         146
        .size:           2
        .value_kind:     hidden_remainder_x
      - .offset:         148
        .size:           2
        .value_kind:     hidden_remainder_y
      - .offset:         150
        .size:           2
        .value_kind:     hidden_remainder_z
      - .offset:         168
        .size:           8
        .value_kind:     hidden_global_offset_x
      - .offset:         176
        .size:           8
        .value_kind:     hidden_global_offset_y
      - .offset:         184
        .size:           8
        .value_kind:     hidden_global_offset_z
      - .offset:         192
        .size:           2
        .value_kind:     hidden_grid_dims
      - .offset:         248
        .size:           4
        .value_kind:     hidden_dynamic_lds_size
    .group_segment_fixed_size: 144
    .kernarg_segment_align: 8
    .kernarg_segment_size: 384
    .language:       OpenCL C
    .language_version:
      - 2
      - 0
    .max_flat_workgroup_size: 1024
    .name:           _ZN4vllm25paged_attention_v1_kernelIttLi64ELi32ELi128ELNS_18Fp8KVCacheDataTypeE0ELb0EEEvPT_PKS2_PKT0_S8_ifPKiSA_iPKfiiiSC_SC_iiiii
    .private_segment_fixed_size: 0
    .sgpr_count:     38
    .sgpr_spill_count: 0
    .symbol:         _ZN4vllm25paged_attention_v1_kernelIttLi64ELi32ELi128ELNS_18Fp8KVCacheDataTypeE0ELb0EEEvPT_PKS2_PKT0_S8_ifPKiSA_iPKfiiiSC_SC_iiiii.kd
    .uniform_work_group_size: 1
    .uses_dynamic_stack: false
    .vgpr_count:     56
    .vgpr_spill_count: 0
    .wavefront_size: 64
  - .args:
      - .actual_access:  write_only
        .address_space:  global
        .offset:         0
        .size:           8
        .value_kind:     global_buffer
      - .actual_access:  read_only
        .address_space:  global
        .offset:         8
        .size:           8
        .value_kind:     global_buffer
      - .actual_access:  read_only
        .address_space:  global
        .offset:         16
        .size:           8
        .value_kind:     global_buffer
      - .actual_access:  read_only
        .address_space:  global
        .offset:         24
        .size:           8
        .value_kind:     global_buffer
      - .offset:         32
        .size:           4
        .value_kind:     by_value
      - .offset:         36
        .size:           4
        .value_kind:     by_value
      - .actual_access:  read_only
        .address_space:  global
        .offset:         40
        .size:           8
        .value_kind:     global_buffer
      - .actual_access:  read_only
        .address_space:  global
        .offset:         48
        .size:           8
        .value_kind:     global_buffer
      - .offset:         56
        .size:           4
        .value_kind:     by_value
      - .actual_access:  read_only
        .address_space:  global
        .offset:         64
        .size:           8
        .value_kind:     global_buffer
      - .offset:         72
        .size:           4
        .value_kind:     by_value
      - .offset:         76
        .size:           4
        .value_kind:     by_value
      - .offset:         80
        .size:           4
        .value_kind:     by_value
      - .address_space:  global
        .offset:         88
        .size:           8
        .value_kind:     global_buffer
      - .address_space:  global
        .offset:         96
        .size:           8
        .value_kind:     global_buffer
      - .offset:         104
        .size:           4
        .value_kind:     by_value
      - .offset:         108
        .size:           4
        .value_kind:     by_value
      - .offset:         112
        .size:           4
        .value_kind:     by_value
      - .offset:         116
        .size:           4
        .value_kind:     by_value
      - .offset:         120
        .size:           4
        .value_kind:     by_value
      - .offset:         128
        .size:           4
        .value_kind:     hidden_block_count_x
      - .offset:         132
        .size:           4
        .value_kind:     hidden_block_count_y
      - .offset:         136
        .size:           4
        .value_kind:     hidden_block_count_z
      - .offset:         140
        .size:           2
        .value_kind:     hidden_group_size_x
      - .offset:         142
        .size:           2
        .value_kind:     hidden_group_size_y
      - .offset:         144
        .size:           2
        .value_kind:     hidden_group_size_z
      - .offset:         146
        .size:           2
        .value_kind:     hidden_remainder_x
      - .offset:         148
        .size:           2
        .value_kind:     hidden_remainder_y
      - .offset:         150
        .size:           2
        .value_kind:     hidden_remainder_z
      - .offset:         168
        .size:           8
        .value_kind:     hidden_global_offset_x
      - .offset:         176
        .size:           8
        .value_kind:     hidden_global_offset_y
      - .offset:         184
        .size:           8
        .value_kind:     hidden_global_offset_z
      - .offset:         192
        .size:           2
        .value_kind:     hidden_grid_dims
      - .offset:         248
        .size:           4
        .value_kind:     hidden_dynamic_lds_size
    .group_segment_fixed_size: 176
    .kernarg_segment_align: 8
    .kernarg_segment_size: 384
    .language:       OpenCL C
    .language_version:
      - 2
      - 0
    .max_flat_workgroup_size: 1024
    .name:           _ZN4vllm25paged_attention_v1_kernelIttLi80ELi32ELi128ELNS_18Fp8KVCacheDataTypeE0ELb0EEEvPT_PKS2_PKT0_S8_ifPKiSA_iPKfiiiSC_SC_iiiii
    .private_segment_fixed_size: 0
    .sgpr_count:     39
    .sgpr_spill_count: 0
    .symbol:         _ZN4vllm25paged_attention_v1_kernelIttLi80ELi32ELi128ELNS_18Fp8KVCacheDataTypeE0ELb0EEEvPT_PKS2_PKT0_S8_ifPKiSA_iPKfiiiSC_SC_iiiii.kd
    .uniform_work_group_size: 1
    .uses_dynamic_stack: false
    .vgpr_count:     56
    .vgpr_spill_count: 0
    .wavefront_size: 64
  - .args:
      - .actual_access:  write_only
        .address_space:  global
        .offset:         0
        .size:           8
        .value_kind:     global_buffer
      - .actual_access:  read_only
        .address_space:  global
        .offset:         8
        .size:           8
        .value_kind:     global_buffer
      - .actual_access:  read_only
        .address_space:  global
        .offset:         16
        .size:           8
        .value_kind:     global_buffer
      - .actual_access:  read_only
        .address_space:  global
        .offset:         24
        .size:           8
        .value_kind:     global_buffer
      - .offset:         32
        .size:           4
        .value_kind:     by_value
      - .offset:         36
        .size:           4
        .value_kind:     by_value
      - .actual_access:  read_only
        .address_space:  global
        .offset:         40
        .size:           8
        .value_kind:     global_buffer
      - .actual_access:  read_only
        .address_space:  global
        .offset:         48
        .size:           8
        .value_kind:     global_buffer
      - .offset:         56
        .size:           4
        .value_kind:     by_value
      - .actual_access:  read_only
        .address_space:  global
        .offset:         64
        .size:           8
        .value_kind:     global_buffer
      - .offset:         72
        .size:           4
        .value_kind:     by_value
      - .offset:         76
        .size:           4
        .value_kind:     by_value
      - .offset:         80
        .size:           4
        .value_kind:     by_value
      - .address_space:  global
        .offset:         88
        .size:           8
        .value_kind:     global_buffer
      - .address_space:  global
        .offset:         96
        .size:           8
        .value_kind:     global_buffer
      - .offset:         104
        .size:           4
        .value_kind:     by_value
      - .offset:         108
        .size:           4
        .value_kind:     by_value
      - .offset:         112
        .size:           4
        .value_kind:     by_value
      - .offset:         116
        .size:           4
        .value_kind:     by_value
      - .offset:         120
        .size:           4
        .value_kind:     by_value
      - .offset:         128
        .size:           4
        .value_kind:     hidden_block_count_x
      - .offset:         132
        .size:           4
        .value_kind:     hidden_block_count_y
      - .offset:         136
        .size:           4
        .value_kind:     hidden_block_count_z
      - .offset:         140
        .size:           2
        .value_kind:     hidden_group_size_x
      - .offset:         142
        .size:           2
        .value_kind:     hidden_group_size_y
      - .offset:         144
        .size:           2
        .value_kind:     hidden_group_size_z
      - .offset:         146
        .size:           2
        .value_kind:     hidden_remainder_x
      - .offset:         148
        .size:           2
        .value_kind:     hidden_remainder_y
      - .offset:         150
        .size:           2
        .value_kind:     hidden_remainder_z
      - .offset:         168
        .size:           8
        .value_kind:     hidden_global_offset_x
      - .offset:         176
        .size:           8
        .value_kind:     hidden_global_offset_y
      - .offset:         184
        .size:           8
        .value_kind:     hidden_global_offset_z
      - .offset:         192
        .size:           2
        .value_kind:     hidden_grid_dims
      - .offset:         248
        .size:           4
        .value_kind:     hidden_dynamic_lds_size
    .group_segment_fixed_size: 208
    .kernarg_segment_align: 8
    .kernarg_segment_size: 384
    .language:       OpenCL C
    .language_version:
      - 2
      - 0
    .max_flat_workgroup_size: 1024
    .name:           _ZN4vllm25paged_attention_v1_kernelIttLi96ELi32ELi128ELNS_18Fp8KVCacheDataTypeE0ELb0EEEvPT_PKS2_PKT0_S8_ifPKiSA_iPKfiiiSC_SC_iiiii
    .private_segment_fixed_size: 0
    .sgpr_count:     39
    .sgpr_spill_count: 0
    .symbol:         _ZN4vllm25paged_attention_v1_kernelIttLi96ELi32ELi128ELNS_18Fp8KVCacheDataTypeE0ELb0EEEvPT_PKS2_PKT0_S8_ifPKiSA_iPKfiiiSC_SC_iiiii.kd
    .uniform_work_group_size: 1
    .uses_dynamic_stack: false
    .vgpr_count:     51
    .vgpr_spill_count: 0
    .wavefront_size: 64
  - .args:
      - .actual_access:  write_only
        .address_space:  global
        .offset:         0
        .size:           8
        .value_kind:     global_buffer
      - .actual_access:  read_only
        .address_space:  global
        .offset:         8
        .size:           8
        .value_kind:     global_buffer
      - .actual_access:  read_only
        .address_space:  global
        .offset:         16
        .size:           8
        .value_kind:     global_buffer
      - .actual_access:  read_only
        .address_space:  global
        .offset:         24
        .size:           8
        .value_kind:     global_buffer
      - .offset:         32
        .size:           4
        .value_kind:     by_value
      - .offset:         36
        .size:           4
        .value_kind:     by_value
      - .actual_access:  read_only
        .address_space:  global
        .offset:         40
        .size:           8
        .value_kind:     global_buffer
      - .actual_access:  read_only
        .address_space:  global
        .offset:         48
        .size:           8
        .value_kind:     global_buffer
      - .offset:         56
        .size:           4
        .value_kind:     by_value
      - .actual_access:  read_only
        .address_space:  global
        .offset:         64
        .size:           8
        .value_kind:     global_buffer
      - .offset:         72
        .size:           4
        .value_kind:     by_value
      - .offset:         76
        .size:           4
        .value_kind:     by_value
      - .offset:         80
        .size:           4
        .value_kind:     by_value
      - .address_space:  global
        .offset:         88
        .size:           8
        .value_kind:     global_buffer
      - .address_space:  global
        .offset:         96
        .size:           8
        .value_kind:     global_buffer
      - .offset:         104
        .size:           4
        .value_kind:     by_value
      - .offset:         108
        .size:           4
        .value_kind:     by_value
      - .offset:         112
        .size:           4
        .value_kind:     by_value
      - .offset:         116
        .size:           4
        .value_kind:     by_value
      - .offset:         120
        .size:           4
        .value_kind:     by_value
      - .offset:         128
        .size:           4
        .value_kind:     hidden_block_count_x
      - .offset:         132
        .size:           4
        .value_kind:     hidden_block_count_y
      - .offset:         136
        .size:           4
        .value_kind:     hidden_block_count_z
      - .offset:         140
        .size:           2
        .value_kind:     hidden_group_size_x
      - .offset:         142
        .size:           2
        .value_kind:     hidden_group_size_y
      - .offset:         144
        .size:           2
        .value_kind:     hidden_group_size_z
      - .offset:         146
        .size:           2
        .value_kind:     hidden_remainder_x
      - .offset:         148
        .size:           2
        .value_kind:     hidden_remainder_y
      - .offset:         150
        .size:           2
        .value_kind:     hidden_remainder_z
      - .offset:         168
        .size:           8
        .value_kind:     hidden_global_offset_x
      - .offset:         176
        .size:           8
        .value_kind:     hidden_global_offset_y
      - .offset:         184
        .size:           8
        .value_kind:     hidden_global_offset_z
      - .offset:         192
        .size:           2
        .value_kind:     hidden_grid_dims
      - .offset:         248
        .size:           4
        .value_kind:     hidden_dynamic_lds_size
    .group_segment_fixed_size: 240
    .kernarg_segment_align: 8
    .kernarg_segment_size: 384
    .language:       OpenCL C
    .language_version:
      - 2
      - 0
    .max_flat_workgroup_size: 1024
    .name:           _ZN4vllm25paged_attention_v1_kernelIttLi112ELi32ELi128ELNS_18Fp8KVCacheDataTypeE0ELb0EEEvPT_PKS2_PKT0_S8_ifPKiSA_iPKfiiiSC_SC_iiiii
    .private_segment_fixed_size: 0
    .sgpr_count:     39
    .sgpr_spill_count: 0
    .symbol:         _ZN4vllm25paged_attention_v1_kernelIttLi112ELi32ELi128ELNS_18Fp8KVCacheDataTypeE0ELb0EEEvPT_PKS2_PKT0_S8_ifPKiSA_iPKfiiiSC_SC_iiiii.kd
    .uniform_work_group_size: 1
    .uses_dynamic_stack: false
    .vgpr_count:     55
    .vgpr_spill_count: 0
    .wavefront_size: 64
  - .args:
      - .actual_access:  write_only
        .address_space:  global
        .offset:         0
        .size:           8
        .value_kind:     global_buffer
      - .actual_access:  read_only
        .address_space:  global
        .offset:         8
        .size:           8
        .value_kind:     global_buffer
      - .actual_access:  read_only
        .address_space:  global
        .offset:         16
        .size:           8
        .value_kind:     global_buffer
      - .actual_access:  read_only
        .address_space:  global
        .offset:         24
        .size:           8
        .value_kind:     global_buffer
      - .offset:         32
        .size:           4
        .value_kind:     by_value
      - .offset:         36
        .size:           4
        .value_kind:     by_value
      - .actual_access:  read_only
        .address_space:  global
        .offset:         40
        .size:           8
        .value_kind:     global_buffer
      - .actual_access:  read_only
        .address_space:  global
        .offset:         48
        .size:           8
        .value_kind:     global_buffer
      - .offset:         56
        .size:           4
        .value_kind:     by_value
      - .actual_access:  read_only
        .address_space:  global
        .offset:         64
        .size:           8
        .value_kind:     global_buffer
      - .offset:         72
        .size:           4
        .value_kind:     by_value
      - .offset:         76
        .size:           4
        .value_kind:     by_value
      - .offset:         80
        .size:           4
        .value_kind:     by_value
      - .address_space:  global
        .offset:         88
        .size:           8
        .value_kind:     global_buffer
      - .address_space:  global
        .offset:         96
        .size:           8
        .value_kind:     global_buffer
      - .offset:         104
        .size:           4
        .value_kind:     by_value
      - .offset:         108
        .size:           4
        .value_kind:     by_value
      - .offset:         112
        .size:           4
        .value_kind:     by_value
      - .offset:         116
        .size:           4
        .value_kind:     by_value
      - .offset:         120
        .size:           4
        .value_kind:     by_value
      - .offset:         128
        .size:           4
        .value_kind:     hidden_block_count_x
      - .offset:         132
        .size:           4
        .value_kind:     hidden_block_count_y
      - .offset:         136
        .size:           4
        .value_kind:     hidden_block_count_z
      - .offset:         140
        .size:           2
        .value_kind:     hidden_group_size_x
      - .offset:         142
        .size:           2
        .value_kind:     hidden_group_size_y
      - .offset:         144
        .size:           2
        .value_kind:     hidden_group_size_z
      - .offset:         146
        .size:           2
        .value_kind:     hidden_remainder_x
      - .offset:         148
        .size:           2
        .value_kind:     hidden_remainder_y
      - .offset:         150
        .size:           2
        .value_kind:     hidden_remainder_z
      - .offset:         168
        .size:           8
        .value_kind:     hidden_global_offset_x
      - .offset:         176
        .size:           8
        .value_kind:     hidden_global_offset_y
      - .offset:         184
        .size:           8
        .value_kind:     hidden_global_offset_z
      - .offset:         192
        .size:           2
        .value_kind:     hidden_grid_dims
      - .offset:         248
        .size:           4
        .value_kind:     hidden_dynamic_lds_size
    .group_segment_fixed_size: 256
    .kernarg_segment_align: 8
    .kernarg_segment_size: 384
    .language:       OpenCL C
    .language_version:
      - 2
      - 0
    .max_flat_workgroup_size: 1024
    .name:           _ZN4vllm25paged_attention_v1_kernelIttLi120ELi32ELi128ELNS_18Fp8KVCacheDataTypeE0ELb0EEEvPT_PKS2_PKT0_S8_ifPKiSA_iPKfiiiSC_SC_iiiii
    .private_segment_fixed_size: 0
    .sgpr_count:     39
    .sgpr_spill_count: 0
    .symbol:         _ZN4vllm25paged_attention_v1_kernelIttLi120ELi32ELi128ELNS_18Fp8KVCacheDataTypeE0ELb0EEEvPT_PKS2_PKT0_S8_ifPKiSA_iPKfiiiSC_SC_iiiii.kd
    .uniform_work_group_size: 1
    .uses_dynamic_stack: false
    .vgpr_count:     57
    .vgpr_spill_count: 0
    .wavefront_size: 64
  - .args:
      - .actual_access:  write_only
        .address_space:  global
        .offset:         0
        .size:           8
        .value_kind:     global_buffer
      - .actual_access:  read_only
        .address_space:  global
        .offset:         8
        .size:           8
        .value_kind:     global_buffer
      - .actual_access:  read_only
        .address_space:  global
        .offset:         16
        .size:           8
        .value_kind:     global_buffer
      - .actual_access:  read_only
        .address_space:  global
        .offset:         24
        .size:           8
        .value_kind:     global_buffer
      - .offset:         32
        .size:           4
        .value_kind:     by_value
      - .offset:         36
        .size:           4
        .value_kind:     by_value
      - .actual_access:  read_only
        .address_space:  global
        .offset:         40
        .size:           8
        .value_kind:     global_buffer
      - .actual_access:  read_only
        .address_space:  global
        .offset:         48
        .size:           8
        .value_kind:     global_buffer
      - .offset:         56
        .size:           4
        .value_kind:     by_value
      - .actual_access:  read_only
        .address_space:  global
        .offset:         64
        .size:           8
        .value_kind:     global_buffer
      - .offset:         72
        .size:           4
        .value_kind:     by_value
      - .offset:         76
        .size:           4
        .value_kind:     by_value
      - .offset:         80
        .size:           4
        .value_kind:     by_value
      - .address_space:  global
        .offset:         88
        .size:           8
        .value_kind:     global_buffer
      - .address_space:  global
        .offset:         96
        .size:           8
        .value_kind:     global_buffer
      - .offset:         104
        .size:           4
        .value_kind:     by_value
      - .offset:         108
        .size:           4
        .value_kind:     by_value
      - .offset:         112
        .size:           4
        .value_kind:     by_value
      - .offset:         116
        .size:           4
        .value_kind:     by_value
      - .offset:         120
        .size:           4
        .value_kind:     by_value
      - .offset:         128
        .size:           4
        .value_kind:     hidden_block_count_x
      - .offset:         132
        .size:           4
        .value_kind:     hidden_block_count_y
      - .offset:         136
        .size:           4
        .value_kind:     hidden_block_count_z
      - .offset:         140
        .size:           2
        .value_kind:     hidden_group_size_x
      - .offset:         142
        .size:           2
        .value_kind:     hidden_group_size_y
      - .offset:         144
        .size:           2
        .value_kind:     hidden_group_size_z
      - .offset:         146
        .size:           2
        .value_kind:     hidden_remainder_x
      - .offset:         148
        .size:           2
        .value_kind:     hidden_remainder_y
      - .offset:         150
        .size:           2
        .value_kind:     hidden_remainder_z
      - .offset:         168
        .size:           8
        .value_kind:     hidden_global_offset_x
      - .offset:         176
        .size:           8
        .value_kind:     hidden_global_offset_y
      - .offset:         184
        .size:           8
        .value_kind:     hidden_global_offset_z
      - .offset:         192
        .size:           2
        .value_kind:     hidden_grid_dims
      - .offset:         248
        .size:           4
        .value_kind:     hidden_dynamic_lds_size
    .group_segment_fixed_size: 272
    .kernarg_segment_align: 8
    .kernarg_segment_size: 384
    .language:       OpenCL C
    .language_version:
      - 2
      - 0
    .max_flat_workgroup_size: 1024
    .name:           _ZN4vllm25paged_attention_v1_kernelIttLi128ELi32ELi128ELNS_18Fp8KVCacheDataTypeE0ELb0EEEvPT_PKS2_PKT0_S8_ifPKiSA_iPKfiiiSC_SC_iiiii
    .private_segment_fixed_size: 0
    .sgpr_count:     39
    .sgpr_spill_count: 0
    .symbol:         _ZN4vllm25paged_attention_v1_kernelIttLi128ELi32ELi128ELNS_18Fp8KVCacheDataTypeE0ELb0EEEvPT_PKS2_PKT0_S8_ifPKiSA_iPKfiiiSC_SC_iiiii.kd
    .uniform_work_group_size: 1
    .uses_dynamic_stack: false
    .vgpr_count:     59
    .vgpr_spill_count: 0
    .wavefront_size: 64
  - .args:
      - .actual_access:  write_only
        .address_space:  global
        .offset:         0
        .size:           8
        .value_kind:     global_buffer
      - .actual_access:  read_only
        .address_space:  global
        .offset:         8
        .size:           8
        .value_kind:     global_buffer
      - .actual_access:  read_only
        .address_space:  global
        .offset:         16
        .size:           8
        .value_kind:     global_buffer
      - .actual_access:  read_only
        .address_space:  global
        .offset:         24
        .size:           8
        .value_kind:     global_buffer
      - .offset:         32
        .size:           4
        .value_kind:     by_value
      - .offset:         36
        .size:           4
        .value_kind:     by_value
      - .actual_access:  read_only
        .address_space:  global
        .offset:         40
        .size:           8
        .value_kind:     global_buffer
      - .actual_access:  read_only
        .address_space:  global
        .offset:         48
        .size:           8
        .value_kind:     global_buffer
      - .offset:         56
        .size:           4
        .value_kind:     by_value
      - .actual_access:  read_only
        .address_space:  global
        .offset:         64
        .size:           8
        .value_kind:     global_buffer
      - .offset:         72
        .size:           4
        .value_kind:     by_value
      - .offset:         76
        .size:           4
        .value_kind:     by_value
      - .offset:         80
        .size:           4
        .value_kind:     by_value
      - .address_space:  global
        .offset:         88
        .size:           8
        .value_kind:     global_buffer
      - .address_space:  global
        .offset:         96
        .size:           8
        .value_kind:     global_buffer
      - .offset:         104
        .size:           4
        .value_kind:     by_value
      - .offset:         108
        .size:           4
        .value_kind:     by_value
      - .offset:         112
        .size:           4
        .value_kind:     by_value
      - .offset:         116
        .size:           4
        .value_kind:     by_value
      - .offset:         120
        .size:           4
        .value_kind:     by_value
      - .offset:         128
        .size:           4
        .value_kind:     hidden_block_count_x
      - .offset:         132
        .size:           4
        .value_kind:     hidden_block_count_y
      - .offset:         136
        .size:           4
        .value_kind:     hidden_block_count_z
      - .offset:         140
        .size:           2
        .value_kind:     hidden_group_size_x
      - .offset:         142
        .size:           2
        .value_kind:     hidden_group_size_y
      - .offset:         144
        .size:           2
        .value_kind:     hidden_group_size_z
      - .offset:         146
        .size:           2
        .value_kind:     hidden_remainder_x
      - .offset:         148
        .size:           2
        .value_kind:     hidden_remainder_y
      - .offset:         150
        .size:           2
        .value_kind:     hidden_remainder_z
      - .offset:         168
        .size:           8
        .value_kind:     hidden_global_offset_x
      - .offset:         176
        .size:           8
        .value_kind:     hidden_global_offset_y
      - .offset:         184
        .size:           8
        .value_kind:     hidden_global_offset_z
      - .offset:         192
        .size:           2
        .value_kind:     hidden_grid_dims
      - .offset:         248
        .size:           4
        .value_kind:     hidden_dynamic_lds_size
    .group_segment_fixed_size: 400
    .kernarg_segment_align: 8
    .kernarg_segment_size: 384
    .language:       OpenCL C
    .language_version:
      - 2
      - 0
    .max_flat_workgroup_size: 1024
    .name:           _ZN4vllm25paged_attention_v1_kernelIttLi192ELi32ELi128ELNS_18Fp8KVCacheDataTypeE0ELb0EEEvPT_PKS2_PKT0_S8_ifPKiSA_iPKfiiiSC_SC_iiiii
    .private_segment_fixed_size: 52
    .sgpr_count:     44
    .sgpr_spill_count: 0
    .symbol:         _ZN4vllm25paged_attention_v1_kernelIttLi192ELi32ELi128ELNS_18Fp8KVCacheDataTypeE0ELb0EEEvPT_PKS2_PKT0_S8_ifPKiSA_iPKfiiiSC_SC_iiiii.kd
    .uniform_work_group_size: 1
    .uses_dynamic_stack: false
    .vgpr_count:     64
    .vgpr_spill_count: 15
    .wavefront_size: 64
  - .args:
      - .actual_access:  write_only
        .address_space:  global
        .offset:         0
        .size:           8
        .value_kind:     global_buffer
      - .actual_access:  read_only
        .address_space:  global
        .offset:         8
        .size:           8
        .value_kind:     global_buffer
      - .actual_access:  read_only
        .address_space:  global
        .offset:         16
        .size:           8
        .value_kind:     global_buffer
      - .actual_access:  read_only
        .address_space:  global
        .offset:         24
        .size:           8
        .value_kind:     global_buffer
      - .offset:         32
        .size:           4
        .value_kind:     by_value
      - .offset:         36
        .size:           4
        .value_kind:     by_value
      - .actual_access:  read_only
        .address_space:  global
        .offset:         40
        .size:           8
        .value_kind:     global_buffer
      - .actual_access:  read_only
        .address_space:  global
        .offset:         48
        .size:           8
        .value_kind:     global_buffer
      - .offset:         56
        .size:           4
        .value_kind:     by_value
      - .actual_access:  read_only
        .address_space:  global
        .offset:         64
        .size:           8
        .value_kind:     global_buffer
      - .offset:         72
        .size:           4
        .value_kind:     by_value
      - .offset:         76
        .size:           4
        .value_kind:     by_value
      - .offset:         80
        .size:           4
        .value_kind:     by_value
      - .address_space:  global
        .offset:         88
        .size:           8
        .value_kind:     global_buffer
      - .address_space:  global
        .offset:         96
        .size:           8
        .value_kind:     global_buffer
      - .offset:         104
        .size:           4
        .value_kind:     by_value
      - .offset:         108
        .size:           4
        .value_kind:     by_value
      - .offset:         112
        .size:           4
        .value_kind:     by_value
      - .offset:         116
        .size:           4
        .value_kind:     by_value
      - .offset:         120
        .size:           4
        .value_kind:     by_value
      - .offset:         128
        .size:           4
        .value_kind:     hidden_block_count_x
      - .offset:         132
        .size:           4
        .value_kind:     hidden_block_count_y
      - .offset:         136
        .size:           4
        .value_kind:     hidden_block_count_z
      - .offset:         140
        .size:           2
        .value_kind:     hidden_group_size_x
      - .offset:         142
        .size:           2
        .value_kind:     hidden_group_size_y
      - .offset:         144
        .size:           2
        .value_kind:     hidden_group_size_z
      - .offset:         146
        .size:           2
        .value_kind:     hidden_remainder_x
      - .offset:         148
        .size:           2
        .value_kind:     hidden_remainder_y
      - .offset:         150
        .size:           2
        .value_kind:     hidden_remainder_z
      - .offset:         168
        .size:           8
        .value_kind:     hidden_global_offset_x
      - .offset:         176
        .size:           8
        .value_kind:     hidden_global_offset_y
      - .offset:         184
        .size:           8
        .value_kind:     hidden_global_offset_z
      - .offset:         192
        .size:           2
        .value_kind:     hidden_grid_dims
      - .offset:         248
        .size:           4
        .value_kind:     hidden_dynamic_lds_size
    .group_segment_fixed_size: 528
    .kernarg_segment_align: 8
    .kernarg_segment_size: 384
    .language:       OpenCL C
    .language_version:
      - 2
      - 0
    .max_flat_workgroup_size: 1024
    .name:           _ZN4vllm25paged_attention_v1_kernelIttLi256ELi32ELi128ELNS_18Fp8KVCacheDataTypeE0ELb0EEEvPT_PKS2_PKT0_S8_ifPKiSA_iPKfiiiSC_SC_iiiii
    .private_segment_fixed_size: 124
    .sgpr_count:     48
    .sgpr_spill_count: 0
    .symbol:         _ZN4vllm25paged_attention_v1_kernelIttLi256ELi32ELi128ELNS_18Fp8KVCacheDataTypeE0ELb0EEEvPT_PKS2_PKT0_S8_ifPKiSA_iPKfiiiSC_SC_iiiii.kd
    .uniform_work_group_size: 1
    .uses_dynamic_stack: false
    .vgpr_count:     64
    .vgpr_spill_count: 47
    .wavefront_size: 64
  - .args:
      - .actual_access:  write_only
        .address_space:  global
        .offset:         0
        .size:           8
        .value_kind:     global_buffer
      - .actual_access:  read_only
        .address_space:  global
        .offset:         8
        .size:           8
        .value_kind:     global_buffer
      - .actual_access:  read_only
        .address_space:  global
        .offset:         16
        .size:           8
        .value_kind:     global_buffer
      - .actual_access:  read_only
        .address_space:  global
        .offset:         24
        .size:           8
        .value_kind:     global_buffer
      - .offset:         32
        .size:           4
        .value_kind:     by_value
      - .offset:         36
        .size:           4
        .value_kind:     by_value
      - .actual_access:  read_only
        .address_space:  global
        .offset:         40
        .size:           8
        .value_kind:     global_buffer
      - .actual_access:  read_only
        .address_space:  global
        .offset:         48
        .size:           8
        .value_kind:     global_buffer
      - .offset:         56
        .size:           4
        .value_kind:     by_value
      - .actual_access:  read_only
        .address_space:  global
        .offset:         64
        .size:           8
        .value_kind:     global_buffer
      - .offset:         72
        .size:           4
        .value_kind:     by_value
      - .offset:         76
        .size:           4
        .value_kind:     by_value
      - .offset:         80
        .size:           4
        .value_kind:     by_value
      - .address_space:  global
        .offset:         88
        .size:           8
        .value_kind:     global_buffer
      - .address_space:  global
        .offset:         96
        .size:           8
        .value_kind:     global_buffer
      - .offset:         104
        .size:           4
        .value_kind:     by_value
      - .offset:         108
        .size:           4
        .value_kind:     by_value
      - .offset:         112
        .size:           4
        .value_kind:     by_value
      - .offset:         116
        .size:           4
        .value_kind:     by_value
      - .offset:         120
        .size:           4
        .value_kind:     by_value
      - .offset:         128
        .size:           4
        .value_kind:     hidden_block_count_x
      - .offset:         132
        .size:           4
        .value_kind:     hidden_block_count_y
      - .offset:         136
        .size:           4
        .value_kind:     hidden_block_count_z
      - .offset:         140
        .size:           2
        .value_kind:     hidden_group_size_x
      - .offset:         142
        .size:           2
        .value_kind:     hidden_group_size_y
      - .offset:         144
        .size:           2
        .value_kind:     hidden_group_size_z
      - .offset:         146
        .size:           2
        .value_kind:     hidden_remainder_x
      - .offset:         148
        .size:           2
        .value_kind:     hidden_remainder_y
      - .offset:         150
        .size:           2
        .value_kind:     hidden_remainder_z
      - .offset:         168
        .size:           8
        .value_kind:     hidden_global_offset_x
      - .offset:         176
        .size:           8
        .value_kind:     hidden_global_offset_y
      - .offset:         184
        .size:           8
        .value_kind:     hidden_global_offset_z
      - .offset:         192
        .size:           2
        .value_kind:     hidden_grid_dims
      - .offset:         248
        .size:           4
        .value_kind:     hidden_dynamic_lds_size
    .group_segment_fixed_size: 80
    .kernarg_segment_align: 8
    .kernarg_segment_size: 384
    .language:       OpenCL C
    .language_version:
      - 2
      - 0
    .max_flat_workgroup_size: 1024
    .name:           _ZN4vllm25paged_attention_v1_kernelI14__hip_bfloat16S1_Li32ELi8ELi128ELNS_18Fp8KVCacheDataTypeE0ELb1EEEvPT_PKS3_PKT0_S9_ifPKiSB_iPKfiiiSD_SD_iiiii
    .private_segment_fixed_size: 0
    .sgpr_count:     48
    .sgpr_spill_count: 0
    .symbol:         _ZN4vllm25paged_attention_v1_kernelI14__hip_bfloat16S1_Li32ELi8ELi128ELNS_18Fp8KVCacheDataTypeE0ELb1EEEvPT_PKS3_PKT0_S9_ifPKiSB_iPKfiiiSD_SD_iiiii.kd
    .uniform_work_group_size: 1
    .uses_dynamic_stack: false
    .vgpr_count:     31
    .vgpr_spill_count: 0
    .wavefront_size: 64
  - .args:
      - .actual_access:  write_only
        .address_space:  global
        .offset:         0
        .size:           8
        .value_kind:     global_buffer
      - .actual_access:  read_only
        .address_space:  global
        .offset:         8
        .size:           8
        .value_kind:     global_buffer
      - .actual_access:  read_only
        .address_space:  global
        .offset:         16
        .size:           8
        .value_kind:     global_buffer
      - .actual_access:  read_only
        .address_space:  global
        .offset:         24
        .size:           8
        .value_kind:     global_buffer
      - .offset:         32
        .size:           4
        .value_kind:     by_value
      - .offset:         36
        .size:           4
        .value_kind:     by_value
      - .actual_access:  read_only
        .address_space:  global
        .offset:         40
        .size:           8
        .value_kind:     global_buffer
      - .actual_access:  read_only
        .address_space:  global
        .offset:         48
        .size:           8
        .value_kind:     global_buffer
      - .offset:         56
        .size:           4
        .value_kind:     by_value
      - .actual_access:  read_only
        .address_space:  global
        .offset:         64
        .size:           8
        .value_kind:     global_buffer
      - .offset:         72
        .size:           4
        .value_kind:     by_value
      - .offset:         76
        .size:           4
        .value_kind:     by_value
      - .offset:         80
        .size:           4
        .value_kind:     by_value
      - .address_space:  global
        .offset:         88
        .size:           8
        .value_kind:     global_buffer
      - .address_space:  global
        .offset:         96
        .size:           8
        .value_kind:     global_buffer
      - .offset:         104
        .size:           4
        .value_kind:     by_value
      - .offset:         108
        .size:           4
        .value_kind:     by_value
      - .offset:         112
        .size:           4
        .value_kind:     by_value
      - .offset:         116
        .size:           4
        .value_kind:     by_value
      - .offset:         120
        .size:           4
        .value_kind:     by_value
      - .offset:         128
        .size:           4
        .value_kind:     hidden_block_count_x
      - .offset:         132
        .size:           4
        .value_kind:     hidden_block_count_y
      - .offset:         136
        .size:           4
        .value_kind:     hidden_block_count_z
      - .offset:         140
        .size:           2
        .value_kind:     hidden_group_size_x
      - .offset:         142
        .size:           2
        .value_kind:     hidden_group_size_y
      - .offset:         144
        .size:           2
        .value_kind:     hidden_group_size_z
      - .offset:         146
        .size:           2
        .value_kind:     hidden_remainder_x
      - .offset:         148
        .size:           2
        .value_kind:     hidden_remainder_y
      - .offset:         150
        .size:           2
        .value_kind:     hidden_remainder_z
      - .offset:         168
        .size:           8
        .value_kind:     hidden_global_offset_x
      - .offset:         176
        .size:           8
        .value_kind:     hidden_global_offset_y
      - .offset:         184
        .size:           8
        .value_kind:     hidden_global_offset_z
      - .offset:         192
        .size:           2
        .value_kind:     hidden_grid_dims
      - .offset:         248
        .size:           4
        .value_kind:     hidden_dynamic_lds_size
    .group_segment_fixed_size: 144
    .kernarg_segment_align: 8
    .kernarg_segment_size: 384
    .language:       OpenCL C
    .language_version:
      - 2
      - 0
    .max_flat_workgroup_size: 1024
    .name:           _ZN4vllm25paged_attention_v1_kernelI14__hip_bfloat16S1_Li64ELi8ELi128ELNS_18Fp8KVCacheDataTypeE0ELb1EEEvPT_PKS3_PKT0_S9_ifPKiSB_iPKfiiiSD_SD_iiiii
    .private_segment_fixed_size: 0
    .sgpr_count:     50
    .sgpr_spill_count: 0
    .symbol:         _ZN4vllm25paged_attention_v1_kernelI14__hip_bfloat16S1_Li64ELi8ELi128ELNS_18Fp8KVCacheDataTypeE0ELb1EEEvPT_PKS3_PKT0_S9_ifPKiSB_iPKfiiiSD_SD_iiiii.kd
    .uniform_work_group_size: 1
    .uses_dynamic_stack: false
    .vgpr_count:     39
    .vgpr_spill_count: 0
    .wavefront_size: 64
  - .args:
      - .actual_access:  write_only
        .address_space:  global
        .offset:         0
        .size:           8
        .value_kind:     global_buffer
      - .actual_access:  read_only
        .address_space:  global
        .offset:         8
        .size:           8
        .value_kind:     global_buffer
      - .actual_access:  read_only
        .address_space:  global
        .offset:         16
        .size:           8
        .value_kind:     global_buffer
      - .actual_access:  read_only
        .address_space:  global
        .offset:         24
        .size:           8
        .value_kind:     global_buffer
      - .offset:         32
        .size:           4
        .value_kind:     by_value
      - .offset:         36
        .size:           4
        .value_kind:     by_value
      - .actual_access:  read_only
        .address_space:  global
        .offset:         40
        .size:           8
        .value_kind:     global_buffer
      - .actual_access:  read_only
        .address_space:  global
        .offset:         48
        .size:           8
        .value_kind:     global_buffer
      - .offset:         56
        .size:           4
        .value_kind:     by_value
      - .actual_access:  read_only
        .address_space:  global
        .offset:         64
        .size:           8
        .value_kind:     global_buffer
      - .offset:         72
        .size:           4
        .value_kind:     by_value
      - .offset:         76
        .size:           4
        .value_kind:     by_value
      - .offset:         80
        .size:           4
        .value_kind:     by_value
      - .address_space:  global
        .offset:         88
        .size:           8
        .value_kind:     global_buffer
      - .address_space:  global
        .offset:         96
        .size:           8
        .value_kind:     global_buffer
      - .offset:         104
        .size:           4
        .value_kind:     by_value
      - .offset:         108
        .size:           4
        .value_kind:     by_value
      - .offset:         112
        .size:           4
        .value_kind:     by_value
      - .offset:         116
        .size:           4
        .value_kind:     by_value
      - .offset:         120
        .size:           4
        .value_kind:     by_value
      - .offset:         128
        .size:           4
        .value_kind:     hidden_block_count_x
      - .offset:         132
        .size:           4
        .value_kind:     hidden_block_count_y
      - .offset:         136
        .size:           4
        .value_kind:     hidden_block_count_z
      - .offset:         140
        .size:           2
        .value_kind:     hidden_group_size_x
      - .offset:         142
        .size:           2
        .value_kind:     hidden_group_size_y
      - .offset:         144
        .size:           2
        .value_kind:     hidden_group_size_z
      - .offset:         146
        .size:           2
        .value_kind:     hidden_remainder_x
      - .offset:         148
        .size:           2
        .value_kind:     hidden_remainder_y
      - .offset:         150
        .size:           2
        .value_kind:     hidden_remainder_z
      - .offset:         168
        .size:           8
        .value_kind:     hidden_global_offset_x
      - .offset:         176
        .size:           8
        .value_kind:     hidden_global_offset_y
      - .offset:         184
        .size:           8
        .value_kind:     hidden_global_offset_z
      - .offset:         192
        .size:           2
        .value_kind:     hidden_grid_dims
      - .offset:         248
        .size:           4
        .value_kind:     hidden_dynamic_lds_size
    .group_segment_fixed_size: 176
    .kernarg_segment_align: 8
    .kernarg_segment_size: 384
    .language:       OpenCL C
    .language_version:
      - 2
      - 0
    .max_flat_workgroup_size: 1024
    .name:           _ZN4vllm25paged_attention_v1_kernelI14__hip_bfloat16S1_Li80ELi8ELi128ELNS_18Fp8KVCacheDataTypeE0ELb1EEEvPT_PKS3_PKT0_S9_ifPKiSB_iPKfiiiSD_SD_iiiii
    .private_segment_fixed_size: 0
    .sgpr_count:     50
    .sgpr_spill_count: 0
    .symbol:         _ZN4vllm25paged_attention_v1_kernelI14__hip_bfloat16S1_Li80ELi8ELi128ELNS_18Fp8KVCacheDataTypeE0ELb1EEEvPT_PKS3_PKT0_S9_ifPKiSB_iPKfiiiSD_SD_iiiii.kd
    .uniform_work_group_size: 1
    .uses_dynamic_stack: false
    .vgpr_count:     44
    .vgpr_spill_count: 0
    .wavefront_size: 64
  - .args:
      - .actual_access:  write_only
        .address_space:  global
        .offset:         0
        .size:           8
        .value_kind:     global_buffer
      - .actual_access:  read_only
        .address_space:  global
        .offset:         8
        .size:           8
        .value_kind:     global_buffer
      - .actual_access:  read_only
        .address_space:  global
        .offset:         16
        .size:           8
        .value_kind:     global_buffer
      - .actual_access:  read_only
        .address_space:  global
        .offset:         24
        .size:           8
        .value_kind:     global_buffer
      - .offset:         32
        .size:           4
        .value_kind:     by_value
      - .offset:         36
        .size:           4
        .value_kind:     by_value
      - .actual_access:  read_only
        .address_space:  global
        .offset:         40
        .size:           8
        .value_kind:     global_buffer
      - .actual_access:  read_only
        .address_space:  global
        .offset:         48
        .size:           8
        .value_kind:     global_buffer
      - .offset:         56
        .size:           4
        .value_kind:     by_value
      - .actual_access:  read_only
        .address_space:  global
        .offset:         64
        .size:           8
        .value_kind:     global_buffer
      - .offset:         72
        .size:           4
        .value_kind:     by_value
      - .offset:         76
        .size:           4
        .value_kind:     by_value
      - .offset:         80
        .size:           4
        .value_kind:     by_value
      - .address_space:  global
        .offset:         88
        .size:           8
        .value_kind:     global_buffer
      - .address_space:  global
        .offset:         96
        .size:           8
        .value_kind:     global_buffer
      - .offset:         104
        .size:           4
        .value_kind:     by_value
      - .offset:         108
        .size:           4
        .value_kind:     by_value
      - .offset:         112
        .size:           4
        .value_kind:     by_value
      - .offset:         116
        .size:           4
        .value_kind:     by_value
      - .offset:         120
        .size:           4
        .value_kind:     by_value
      - .offset:         128
        .size:           4
        .value_kind:     hidden_block_count_x
      - .offset:         132
        .size:           4
        .value_kind:     hidden_block_count_y
      - .offset:         136
        .size:           4
        .value_kind:     hidden_block_count_z
      - .offset:         140
        .size:           2
        .value_kind:     hidden_group_size_x
      - .offset:         142
        .size:           2
        .value_kind:     hidden_group_size_y
      - .offset:         144
        .size:           2
        .value_kind:     hidden_group_size_z
      - .offset:         146
        .size:           2
        .value_kind:     hidden_remainder_x
      - .offset:         148
        .size:           2
        .value_kind:     hidden_remainder_y
      - .offset:         150
        .size:           2
        .value_kind:     hidden_remainder_z
      - .offset:         168
        .size:           8
        .value_kind:     hidden_global_offset_x
      - .offset:         176
        .size:           8
        .value_kind:     hidden_global_offset_y
      - .offset:         184
        .size:           8
        .value_kind:     hidden_global_offset_z
      - .offset:         192
        .size:           2
        .value_kind:     hidden_grid_dims
      - .offset:         248
        .size:           4
        .value_kind:     hidden_dynamic_lds_size
    .group_segment_fixed_size: 208
    .kernarg_segment_align: 8
    .kernarg_segment_size: 384
    .language:       OpenCL C
    .language_version:
      - 2
      - 0
    .max_flat_workgroup_size: 1024
    .name:           _ZN4vllm25paged_attention_v1_kernelI14__hip_bfloat16S1_Li96ELi8ELi128ELNS_18Fp8KVCacheDataTypeE0ELb1EEEvPT_PKS3_PKT0_S9_ifPKiSB_iPKfiiiSD_SD_iiiii
    .private_segment_fixed_size: 0
    .sgpr_count:     50
    .sgpr_spill_count: 0
    .symbol:         _ZN4vllm25paged_attention_v1_kernelI14__hip_bfloat16S1_Li96ELi8ELi128ELNS_18Fp8KVCacheDataTypeE0ELb1EEEvPT_PKS3_PKT0_S9_ifPKiSB_iPKfiiiSD_SD_iiiii.kd
    .uniform_work_group_size: 1
    .uses_dynamic_stack: false
    .vgpr_count:     42
    .vgpr_spill_count: 0
    .wavefront_size: 64
  - .args:
      - .actual_access:  write_only
        .address_space:  global
        .offset:         0
        .size:           8
        .value_kind:     global_buffer
      - .actual_access:  read_only
        .address_space:  global
        .offset:         8
        .size:           8
        .value_kind:     global_buffer
      - .actual_access:  read_only
        .address_space:  global
        .offset:         16
        .size:           8
        .value_kind:     global_buffer
      - .actual_access:  read_only
        .address_space:  global
        .offset:         24
        .size:           8
        .value_kind:     global_buffer
      - .offset:         32
        .size:           4
        .value_kind:     by_value
      - .offset:         36
        .size:           4
        .value_kind:     by_value
      - .actual_access:  read_only
        .address_space:  global
        .offset:         40
        .size:           8
        .value_kind:     global_buffer
      - .actual_access:  read_only
        .address_space:  global
        .offset:         48
        .size:           8
        .value_kind:     global_buffer
      - .offset:         56
        .size:           4
        .value_kind:     by_value
      - .actual_access:  read_only
        .address_space:  global
        .offset:         64
        .size:           8
        .value_kind:     global_buffer
      - .offset:         72
        .size:           4
        .value_kind:     by_value
      - .offset:         76
        .size:           4
        .value_kind:     by_value
      - .offset:         80
        .size:           4
        .value_kind:     by_value
      - .address_space:  global
        .offset:         88
        .size:           8
        .value_kind:     global_buffer
      - .address_space:  global
        .offset:         96
        .size:           8
        .value_kind:     global_buffer
      - .offset:         104
        .size:           4
        .value_kind:     by_value
      - .offset:         108
        .size:           4
        .value_kind:     by_value
      - .offset:         112
        .size:           4
        .value_kind:     by_value
      - .offset:         116
        .size:           4
        .value_kind:     by_value
      - .offset:         120
        .size:           4
        .value_kind:     by_value
      - .offset:         128
        .size:           4
        .value_kind:     hidden_block_count_x
      - .offset:         132
        .size:           4
        .value_kind:     hidden_block_count_y
      - .offset:         136
        .size:           4
        .value_kind:     hidden_block_count_z
      - .offset:         140
        .size:           2
        .value_kind:     hidden_group_size_x
      - .offset:         142
        .size:           2
        .value_kind:     hidden_group_size_y
      - .offset:         144
        .size:           2
        .value_kind:     hidden_group_size_z
      - .offset:         146
        .size:           2
        .value_kind:     hidden_remainder_x
      - .offset:         148
        .size:           2
        .value_kind:     hidden_remainder_y
      - .offset:         150
        .size:           2
        .value_kind:     hidden_remainder_z
      - .offset:         168
        .size:           8
        .value_kind:     hidden_global_offset_x
      - .offset:         176
        .size:           8
        .value_kind:     hidden_global_offset_y
      - .offset:         184
        .size:           8
        .value_kind:     hidden_global_offset_z
      - .offset:         192
        .size:           2
        .value_kind:     hidden_grid_dims
      - .offset:         248
        .size:           4
        .value_kind:     hidden_dynamic_lds_size
    .group_segment_fixed_size: 240
    .kernarg_segment_align: 8
    .kernarg_segment_size: 384
    .language:       OpenCL C
    .language_version:
      - 2
      - 0
    .max_flat_workgroup_size: 1024
    .name:           _ZN4vllm25paged_attention_v1_kernelI14__hip_bfloat16S1_Li112ELi8ELi128ELNS_18Fp8KVCacheDataTypeE0ELb1EEEvPT_PKS3_PKT0_S9_ifPKiSB_iPKfiiiSD_SD_iiiii
    .private_segment_fixed_size: 0
    .sgpr_count:     50
    .sgpr_spill_count: 0
    .symbol:         _ZN4vllm25paged_attention_v1_kernelI14__hip_bfloat16S1_Li112ELi8ELi128ELNS_18Fp8KVCacheDataTypeE0ELb1EEEvPT_PKS3_PKT0_S9_ifPKiSB_iPKfiiiSD_SD_iiiii.kd
    .uniform_work_group_size: 1
    .uses_dynamic_stack: false
    .vgpr_count:     52
    .vgpr_spill_count: 0
    .wavefront_size: 64
  - .args:
      - .actual_access:  write_only
        .address_space:  global
        .offset:         0
        .size:           8
        .value_kind:     global_buffer
      - .actual_access:  read_only
        .address_space:  global
        .offset:         8
        .size:           8
        .value_kind:     global_buffer
      - .actual_access:  read_only
        .address_space:  global
        .offset:         16
        .size:           8
        .value_kind:     global_buffer
      - .actual_access:  read_only
        .address_space:  global
        .offset:         24
        .size:           8
        .value_kind:     global_buffer
      - .offset:         32
        .size:           4
        .value_kind:     by_value
      - .offset:         36
        .size:           4
        .value_kind:     by_value
      - .actual_access:  read_only
        .address_space:  global
        .offset:         40
        .size:           8
        .value_kind:     global_buffer
      - .actual_access:  read_only
        .address_space:  global
        .offset:         48
        .size:           8
        .value_kind:     global_buffer
      - .offset:         56
        .size:           4
        .value_kind:     by_value
      - .actual_access:  read_only
        .address_space:  global
        .offset:         64
        .size:           8
        .value_kind:     global_buffer
      - .offset:         72
        .size:           4
        .value_kind:     by_value
      - .offset:         76
        .size:           4
        .value_kind:     by_value
      - .offset:         80
        .size:           4
        .value_kind:     by_value
      - .address_space:  global
        .offset:         88
        .size:           8
        .value_kind:     global_buffer
      - .address_space:  global
        .offset:         96
        .size:           8
        .value_kind:     global_buffer
      - .offset:         104
        .size:           4
        .value_kind:     by_value
      - .offset:         108
        .size:           4
        .value_kind:     by_value
      - .offset:         112
        .size:           4
        .value_kind:     by_value
      - .offset:         116
        .size:           4
        .value_kind:     by_value
      - .offset:         120
        .size:           4
        .value_kind:     by_value
      - .offset:         128
        .size:           4
        .value_kind:     hidden_block_count_x
      - .offset:         132
        .size:           4
        .value_kind:     hidden_block_count_y
      - .offset:         136
        .size:           4
        .value_kind:     hidden_block_count_z
      - .offset:         140
        .size:           2
        .value_kind:     hidden_group_size_x
      - .offset:         142
        .size:           2
        .value_kind:     hidden_group_size_y
      - .offset:         144
        .size:           2
        .value_kind:     hidden_group_size_z
      - .offset:         146
        .size:           2
        .value_kind:     hidden_remainder_x
      - .offset:         148
        .size:           2
        .value_kind:     hidden_remainder_y
      - .offset:         150
        .size:           2
        .value_kind:     hidden_remainder_z
      - .offset:         168
        .size:           8
        .value_kind:     hidden_global_offset_x
      - .offset:         176
        .size:           8
        .value_kind:     hidden_global_offset_y
      - .offset:         184
        .size:           8
        .value_kind:     hidden_global_offset_z
      - .offset:         192
        .size:           2
        .value_kind:     hidden_grid_dims
      - .offset:         248
        .size:           4
        .value_kind:     hidden_dynamic_lds_size
    .group_segment_fixed_size: 256
    .kernarg_segment_align: 8
    .kernarg_segment_size: 384
    .language:       OpenCL C
    .language_version:
      - 2
      - 0
    .max_flat_workgroup_size: 1024
    .name:           _ZN4vllm25paged_attention_v1_kernelI14__hip_bfloat16S1_Li120ELi8ELi128ELNS_18Fp8KVCacheDataTypeE0ELb1EEEvPT_PKS3_PKT0_S9_ifPKiSB_iPKfiiiSD_SD_iiiii
    .private_segment_fixed_size: 0
    .sgpr_count:     50
    .sgpr_spill_count: 0
    .symbol:         _ZN4vllm25paged_attention_v1_kernelI14__hip_bfloat16S1_Li120ELi8ELi128ELNS_18Fp8KVCacheDataTypeE0ELb1EEEvPT_PKS3_PKT0_S9_ifPKiSB_iPKfiiiSD_SD_iiiii.kd
    .uniform_work_group_size: 1
    .uses_dynamic_stack: false
    .vgpr_count:     54
    .vgpr_spill_count: 0
    .wavefront_size: 64
  - .args:
      - .actual_access:  write_only
        .address_space:  global
        .offset:         0
        .size:           8
        .value_kind:     global_buffer
      - .actual_access:  read_only
        .address_space:  global
        .offset:         8
        .size:           8
        .value_kind:     global_buffer
      - .actual_access:  read_only
        .address_space:  global
        .offset:         16
        .size:           8
        .value_kind:     global_buffer
      - .actual_access:  read_only
        .address_space:  global
        .offset:         24
        .size:           8
        .value_kind:     global_buffer
      - .offset:         32
        .size:           4
        .value_kind:     by_value
      - .offset:         36
        .size:           4
        .value_kind:     by_value
      - .actual_access:  read_only
        .address_space:  global
        .offset:         40
        .size:           8
        .value_kind:     global_buffer
      - .actual_access:  read_only
        .address_space:  global
        .offset:         48
        .size:           8
        .value_kind:     global_buffer
      - .offset:         56
        .size:           4
        .value_kind:     by_value
      - .actual_access:  read_only
        .address_space:  global
        .offset:         64
        .size:           8
        .value_kind:     global_buffer
      - .offset:         72
        .size:           4
        .value_kind:     by_value
      - .offset:         76
        .size:           4
        .value_kind:     by_value
      - .offset:         80
        .size:           4
        .value_kind:     by_value
      - .address_space:  global
        .offset:         88
        .size:           8
        .value_kind:     global_buffer
      - .address_space:  global
        .offset:         96
        .size:           8
        .value_kind:     global_buffer
      - .offset:         104
        .size:           4
        .value_kind:     by_value
      - .offset:         108
        .size:           4
        .value_kind:     by_value
      - .offset:         112
        .size:           4
        .value_kind:     by_value
      - .offset:         116
        .size:           4
        .value_kind:     by_value
      - .offset:         120
        .size:           4
        .value_kind:     by_value
      - .offset:         128
        .size:           4
        .value_kind:     hidden_block_count_x
      - .offset:         132
        .size:           4
        .value_kind:     hidden_block_count_y
      - .offset:         136
        .size:           4
        .value_kind:     hidden_block_count_z
      - .offset:         140
        .size:           2
        .value_kind:     hidden_group_size_x
      - .offset:         142
        .size:           2
        .value_kind:     hidden_group_size_y
      - .offset:         144
        .size:           2
        .value_kind:     hidden_group_size_z
      - .offset:         146
        .size:           2
        .value_kind:     hidden_remainder_x
      - .offset:         148
        .size:           2
        .value_kind:     hidden_remainder_y
      - .offset:         150
        .size:           2
        .value_kind:     hidden_remainder_z
      - .offset:         168
        .size:           8
        .value_kind:     hidden_global_offset_x
      - .offset:         176
        .size:           8
        .value_kind:     hidden_global_offset_y
      - .offset:         184
        .size:           8
        .value_kind:     hidden_global_offset_z
      - .offset:         192
        .size:           2
        .value_kind:     hidden_grid_dims
      - .offset:         248
        .size:           4
        .value_kind:     hidden_dynamic_lds_size
    .group_segment_fixed_size: 272
    .kernarg_segment_align: 8
    .kernarg_segment_size: 384
    .language:       OpenCL C
    .language_version:
      - 2
      - 0
    .max_flat_workgroup_size: 1024
    .name:           _ZN4vllm25paged_attention_v1_kernelI14__hip_bfloat16S1_Li128ELi8ELi128ELNS_18Fp8KVCacheDataTypeE0ELb1EEEvPT_PKS3_PKT0_S9_ifPKiSB_iPKfiiiSD_SD_iiiii
    .private_segment_fixed_size: 0
    .sgpr_count:     48
    .sgpr_spill_count: 0
    .symbol:         _ZN4vllm25paged_attention_v1_kernelI14__hip_bfloat16S1_Li128ELi8ELi128ELNS_18Fp8KVCacheDataTypeE0ELb1EEEvPT_PKS3_PKT0_S9_ifPKiSB_iPKfiiiSD_SD_iiiii.kd
    .uniform_work_group_size: 1
    .uses_dynamic_stack: false
    .vgpr_count:     56
    .vgpr_spill_count: 0
    .wavefront_size: 64
  - .args:
      - .actual_access:  write_only
        .address_space:  global
        .offset:         0
        .size:           8
        .value_kind:     global_buffer
      - .actual_access:  read_only
        .address_space:  global
        .offset:         8
        .size:           8
        .value_kind:     global_buffer
      - .actual_access:  read_only
        .address_space:  global
        .offset:         16
        .size:           8
        .value_kind:     global_buffer
      - .actual_access:  read_only
        .address_space:  global
        .offset:         24
        .size:           8
        .value_kind:     global_buffer
      - .offset:         32
        .size:           4
        .value_kind:     by_value
      - .offset:         36
        .size:           4
        .value_kind:     by_value
      - .actual_access:  read_only
        .address_space:  global
        .offset:         40
        .size:           8
        .value_kind:     global_buffer
      - .actual_access:  read_only
        .address_space:  global
        .offset:         48
        .size:           8
        .value_kind:     global_buffer
      - .offset:         56
        .size:           4
        .value_kind:     by_value
      - .actual_access:  read_only
        .address_space:  global
        .offset:         64
        .size:           8
        .value_kind:     global_buffer
      - .offset:         72
        .size:           4
        .value_kind:     by_value
      - .offset:         76
        .size:           4
        .value_kind:     by_value
      - .offset:         80
        .size:           4
        .value_kind:     by_value
      - .address_space:  global
        .offset:         88
        .size:           8
        .value_kind:     global_buffer
      - .address_space:  global
        .offset:         96
        .size:           8
        .value_kind:     global_buffer
      - .offset:         104
        .size:           4
        .value_kind:     by_value
      - .offset:         108
        .size:           4
        .value_kind:     by_value
      - .offset:         112
        .size:           4
        .value_kind:     by_value
      - .offset:         116
        .size:           4
        .value_kind:     by_value
      - .offset:         120
        .size:           4
        .value_kind:     by_value
      - .offset:         128
        .size:           4
        .value_kind:     hidden_block_count_x
      - .offset:         132
        .size:           4
        .value_kind:     hidden_block_count_y
      - .offset:         136
        .size:           4
        .value_kind:     hidden_block_count_z
      - .offset:         140
        .size:           2
        .value_kind:     hidden_group_size_x
      - .offset:         142
        .size:           2
        .value_kind:     hidden_group_size_y
      - .offset:         144
        .size:           2
        .value_kind:     hidden_group_size_z
      - .offset:         146
        .size:           2
        .value_kind:     hidden_remainder_x
      - .offset:         148
        .size:           2
        .value_kind:     hidden_remainder_y
      - .offset:         150
        .size:           2
        .value_kind:     hidden_remainder_z
      - .offset:         168
        .size:           8
        .value_kind:     hidden_global_offset_x
      - .offset:         176
        .size:           8
        .value_kind:     hidden_global_offset_y
      - .offset:         184
        .size:           8
        .value_kind:     hidden_global_offset_z
      - .offset:         192
        .size:           2
        .value_kind:     hidden_grid_dims
      - .offset:         248
        .size:           4
        .value_kind:     hidden_dynamic_lds_size
    .group_segment_fixed_size: 400
    .kernarg_segment_align: 8
    .kernarg_segment_size: 384
    .language:       OpenCL C
    .language_version:
      - 2
      - 0
    .max_flat_workgroup_size: 1024
    .name:           _ZN4vllm25paged_attention_v1_kernelI14__hip_bfloat16S1_Li192ELi8ELi128ELNS_18Fp8KVCacheDataTypeE0ELb1EEEvPT_PKS3_PKT0_S9_ifPKiSB_iPKfiiiSD_SD_iiiii
    .private_segment_fixed_size: 0
    .sgpr_count:     48
    .sgpr_spill_count: 0
    .symbol:         _ZN4vllm25paged_attention_v1_kernelI14__hip_bfloat16S1_Li192ELi8ELi128ELNS_18Fp8KVCacheDataTypeE0ELb1EEEvPT_PKS3_PKT0_S9_ifPKiSB_iPKfiiiSD_SD_iiiii.kd
    .uniform_work_group_size: 1
    .uses_dynamic_stack: false
    .vgpr_count:     51
    .vgpr_spill_count: 0
    .wavefront_size: 64
  - .args:
      - .actual_access:  write_only
        .address_space:  global
        .offset:         0
        .size:           8
        .value_kind:     global_buffer
      - .actual_access:  read_only
        .address_space:  global
        .offset:         8
        .size:           8
        .value_kind:     global_buffer
      - .actual_access:  read_only
        .address_space:  global
        .offset:         16
        .size:           8
        .value_kind:     global_buffer
      - .actual_access:  read_only
        .address_space:  global
        .offset:         24
        .size:           8
        .value_kind:     global_buffer
      - .offset:         32
        .size:           4
        .value_kind:     by_value
      - .offset:         36
        .size:           4
        .value_kind:     by_value
      - .actual_access:  read_only
        .address_space:  global
        .offset:         40
        .size:           8
        .value_kind:     global_buffer
      - .actual_access:  read_only
        .address_space:  global
        .offset:         48
        .size:           8
        .value_kind:     global_buffer
      - .offset:         56
        .size:           4
        .value_kind:     by_value
      - .actual_access:  read_only
        .address_space:  global
        .offset:         64
        .size:           8
        .value_kind:     global_buffer
      - .offset:         72
        .size:           4
        .value_kind:     by_value
      - .offset:         76
        .size:           4
        .value_kind:     by_value
      - .offset:         80
        .size:           4
        .value_kind:     by_value
      - .address_space:  global
        .offset:         88
        .size:           8
        .value_kind:     global_buffer
      - .address_space:  global
        .offset:         96
        .size:           8
        .value_kind:     global_buffer
      - .offset:         104
        .size:           4
        .value_kind:     by_value
      - .offset:         108
        .size:           4
        .value_kind:     by_value
      - .offset:         112
        .size:           4
        .value_kind:     by_value
      - .offset:         116
        .size:           4
        .value_kind:     by_value
      - .offset:         120
        .size:           4
        .value_kind:     by_value
      - .offset:         128
        .size:           4
        .value_kind:     hidden_block_count_x
      - .offset:         132
        .size:           4
        .value_kind:     hidden_block_count_y
      - .offset:         136
        .size:           4
        .value_kind:     hidden_block_count_z
      - .offset:         140
        .size:           2
        .value_kind:     hidden_group_size_x
      - .offset:         142
        .size:           2
        .value_kind:     hidden_group_size_y
      - .offset:         144
        .size:           2
        .value_kind:     hidden_group_size_z
      - .offset:         146
        .size:           2
        .value_kind:     hidden_remainder_x
      - .offset:         148
        .size:           2
        .value_kind:     hidden_remainder_y
      - .offset:         150
        .size:           2
        .value_kind:     hidden_remainder_z
      - .offset:         168
        .size:           8
        .value_kind:     hidden_global_offset_x
      - .offset:         176
        .size:           8
        .value_kind:     hidden_global_offset_y
      - .offset:         184
        .size:           8
        .value_kind:     hidden_global_offset_z
      - .offset:         192
        .size:           2
        .value_kind:     hidden_grid_dims
      - .offset:         248
        .size:           4
        .value_kind:     hidden_dynamic_lds_size
    .group_segment_fixed_size: 528
    .kernarg_segment_align: 8
    .kernarg_segment_size: 384
    .language:       OpenCL C
    .language_version:
      - 2
      - 0
    .max_flat_workgroup_size: 1024
    .name:           _ZN4vllm25paged_attention_v1_kernelI14__hip_bfloat16S1_Li256ELi8ELi128ELNS_18Fp8KVCacheDataTypeE0ELb1EEEvPT_PKS3_PKT0_S9_ifPKiSB_iPKfiiiSD_SD_iiiii
    .private_segment_fixed_size: 0
    .sgpr_count:     48
    .sgpr_spill_count: 0
    .symbol:         _ZN4vllm25paged_attention_v1_kernelI14__hip_bfloat16S1_Li256ELi8ELi128ELNS_18Fp8KVCacheDataTypeE0ELb1EEEvPT_PKS3_PKT0_S9_ifPKiSB_iPKfiiiSD_SD_iiiii.kd
    .uniform_work_group_size: 1
    .uses_dynamic_stack: false
    .vgpr_count:     61
    .vgpr_spill_count: 0
    .wavefront_size: 64
  - .args:
      - .actual_access:  write_only
        .address_space:  global
        .offset:         0
        .size:           8
        .value_kind:     global_buffer
      - .actual_access:  read_only
        .address_space:  global
        .offset:         8
        .size:           8
        .value_kind:     global_buffer
      - .actual_access:  read_only
        .address_space:  global
        .offset:         16
        .size:           8
        .value_kind:     global_buffer
      - .actual_access:  read_only
        .address_space:  global
        .offset:         24
        .size:           8
        .value_kind:     global_buffer
      - .offset:         32
        .size:           4
        .value_kind:     by_value
      - .offset:         36
        .size:           4
        .value_kind:     by_value
      - .actual_access:  read_only
        .address_space:  global
        .offset:         40
        .size:           8
        .value_kind:     global_buffer
      - .actual_access:  read_only
        .address_space:  global
        .offset:         48
        .size:           8
        .value_kind:     global_buffer
      - .offset:         56
        .size:           4
        .value_kind:     by_value
      - .actual_access:  read_only
        .address_space:  global
        .offset:         64
        .size:           8
        .value_kind:     global_buffer
      - .offset:         72
        .size:           4
        .value_kind:     by_value
      - .offset:         76
        .size:           4
        .value_kind:     by_value
      - .offset:         80
        .size:           4
        .value_kind:     by_value
      - .address_space:  global
        .offset:         88
        .size:           8
        .value_kind:     global_buffer
      - .address_space:  global
        .offset:         96
        .size:           8
        .value_kind:     global_buffer
      - .offset:         104
        .size:           4
        .value_kind:     by_value
      - .offset:         108
        .size:           4
        .value_kind:     by_value
      - .offset:         112
        .size:           4
        .value_kind:     by_value
      - .offset:         116
        .size:           4
        .value_kind:     by_value
      - .offset:         120
        .size:           4
        .value_kind:     by_value
      - .offset:         128
        .size:           4
        .value_kind:     hidden_block_count_x
      - .offset:         132
        .size:           4
        .value_kind:     hidden_block_count_y
      - .offset:         136
        .size:           4
        .value_kind:     hidden_block_count_z
      - .offset:         140
        .size:           2
        .value_kind:     hidden_group_size_x
      - .offset:         142
        .size:           2
        .value_kind:     hidden_group_size_y
      - .offset:         144
        .size:           2
        .value_kind:     hidden_group_size_z
      - .offset:         146
        .size:           2
        .value_kind:     hidden_remainder_x
      - .offset:         148
        .size:           2
        .value_kind:     hidden_remainder_y
      - .offset:         150
        .size:           2
        .value_kind:     hidden_remainder_z
      - .offset:         168
        .size:           8
        .value_kind:     hidden_global_offset_x
      - .offset:         176
        .size:           8
        .value_kind:     hidden_global_offset_y
      - .offset:         184
        .size:           8
        .value_kind:     hidden_global_offset_z
      - .offset:         192
        .size:           2
        .value_kind:     hidden_grid_dims
      - .offset:         248
        .size:           4
        .value_kind:     hidden_dynamic_lds_size
    .group_segment_fixed_size: 80
    .kernarg_segment_align: 8
    .kernarg_segment_size: 384
    .language:       OpenCL C
    .language_version:
      - 2
      - 0
    .max_flat_workgroup_size: 1024
    .name:           _ZN4vllm25paged_attention_v1_kernelI14__hip_bfloat16S1_Li32ELi8ELi128ELNS_18Fp8KVCacheDataTypeE0ELb0EEEvPT_PKS3_PKT0_S9_ifPKiSB_iPKfiiiSD_SD_iiiii
    .private_segment_fixed_size: 0
    .sgpr_count:     38
    .sgpr_spill_count: 0
    .symbol:         _ZN4vllm25paged_attention_v1_kernelI14__hip_bfloat16S1_Li32ELi8ELi128ELNS_18Fp8KVCacheDataTypeE0ELb0EEEvPT_PKS3_PKT0_S9_ifPKiSB_iPKfiiiSD_SD_iiiii.kd
    .uniform_work_group_size: 1
    .uses_dynamic_stack: false
    .vgpr_count:     27
    .vgpr_spill_count: 0
    .wavefront_size: 64
  - .args:
      - .actual_access:  write_only
        .address_space:  global
        .offset:         0
        .size:           8
        .value_kind:     global_buffer
      - .actual_access:  read_only
        .address_space:  global
        .offset:         8
        .size:           8
        .value_kind:     global_buffer
      - .actual_access:  read_only
        .address_space:  global
        .offset:         16
        .size:           8
        .value_kind:     global_buffer
      - .actual_access:  read_only
        .address_space:  global
        .offset:         24
        .size:           8
        .value_kind:     global_buffer
      - .offset:         32
        .size:           4
        .value_kind:     by_value
      - .offset:         36
        .size:           4
        .value_kind:     by_value
      - .actual_access:  read_only
        .address_space:  global
        .offset:         40
        .size:           8
        .value_kind:     global_buffer
      - .actual_access:  read_only
        .address_space:  global
        .offset:         48
        .size:           8
        .value_kind:     global_buffer
      - .offset:         56
        .size:           4
        .value_kind:     by_value
      - .actual_access:  read_only
        .address_space:  global
        .offset:         64
        .size:           8
        .value_kind:     global_buffer
      - .offset:         72
        .size:           4
        .value_kind:     by_value
      - .offset:         76
        .size:           4
        .value_kind:     by_value
      - .offset:         80
        .size:           4
        .value_kind:     by_value
      - .address_space:  global
        .offset:         88
        .size:           8
        .value_kind:     global_buffer
      - .address_space:  global
        .offset:         96
        .size:           8
        .value_kind:     global_buffer
      - .offset:         104
        .size:           4
        .value_kind:     by_value
      - .offset:         108
        .size:           4
        .value_kind:     by_value
      - .offset:         112
        .size:           4
        .value_kind:     by_value
      - .offset:         116
        .size:           4
        .value_kind:     by_value
      - .offset:         120
        .size:           4
        .value_kind:     by_value
      - .offset:         128
        .size:           4
        .value_kind:     hidden_block_count_x
      - .offset:         132
        .size:           4
        .value_kind:     hidden_block_count_y
      - .offset:         136
        .size:           4
        .value_kind:     hidden_block_count_z
      - .offset:         140
        .size:           2
        .value_kind:     hidden_group_size_x
      - .offset:         142
        .size:           2
        .value_kind:     hidden_group_size_y
      - .offset:         144
        .size:           2
        .value_kind:     hidden_group_size_z
      - .offset:         146
        .size:           2
        .value_kind:     hidden_remainder_x
      - .offset:         148
        .size:           2
        .value_kind:     hidden_remainder_y
      - .offset:         150
        .size:           2
        .value_kind:     hidden_remainder_z
      - .offset:         168
        .size:           8
        .value_kind:     hidden_global_offset_x
      - .offset:         176
        .size:           8
        .value_kind:     hidden_global_offset_y
      - .offset:         184
        .size:           8
        .value_kind:     hidden_global_offset_z
      - .offset:         192
        .size:           2
        .value_kind:     hidden_grid_dims
      - .offset:         248
        .size:           4
        .value_kind:     hidden_dynamic_lds_size
    .group_segment_fixed_size: 144
    .kernarg_segment_align: 8
    .kernarg_segment_size: 384
    .language:       OpenCL C
    .language_version:
      - 2
      - 0
    .max_flat_workgroup_size: 1024
    .name:           _ZN4vllm25paged_attention_v1_kernelI14__hip_bfloat16S1_Li64ELi8ELi128ELNS_18Fp8KVCacheDataTypeE0ELb0EEEvPT_PKS3_PKT0_S9_ifPKiSB_iPKfiiiSD_SD_iiiii
    .private_segment_fixed_size: 0
    .sgpr_count:     40
    .sgpr_spill_count: 0
    .symbol:         _ZN4vllm25paged_attention_v1_kernelI14__hip_bfloat16S1_Li64ELi8ELi128ELNS_18Fp8KVCacheDataTypeE0ELb0EEEvPT_PKS3_PKT0_S9_ifPKiSB_iPKfiiiSD_SD_iiiii.kd
    .uniform_work_group_size: 1
    .uses_dynamic_stack: false
    .vgpr_count:     34
    .vgpr_spill_count: 0
    .wavefront_size: 64
  - .args:
      - .actual_access:  write_only
        .address_space:  global
        .offset:         0
        .size:           8
        .value_kind:     global_buffer
      - .actual_access:  read_only
        .address_space:  global
        .offset:         8
        .size:           8
        .value_kind:     global_buffer
      - .actual_access:  read_only
        .address_space:  global
        .offset:         16
        .size:           8
        .value_kind:     global_buffer
      - .actual_access:  read_only
        .address_space:  global
        .offset:         24
        .size:           8
        .value_kind:     global_buffer
      - .offset:         32
        .size:           4
        .value_kind:     by_value
      - .offset:         36
        .size:           4
        .value_kind:     by_value
      - .actual_access:  read_only
        .address_space:  global
        .offset:         40
        .size:           8
        .value_kind:     global_buffer
      - .actual_access:  read_only
        .address_space:  global
        .offset:         48
        .size:           8
        .value_kind:     global_buffer
      - .offset:         56
        .size:           4
        .value_kind:     by_value
      - .actual_access:  read_only
        .address_space:  global
        .offset:         64
        .size:           8
        .value_kind:     global_buffer
      - .offset:         72
        .size:           4
        .value_kind:     by_value
      - .offset:         76
        .size:           4
        .value_kind:     by_value
      - .offset:         80
        .size:           4
        .value_kind:     by_value
      - .address_space:  global
        .offset:         88
        .size:           8
        .value_kind:     global_buffer
      - .address_space:  global
        .offset:         96
        .size:           8
        .value_kind:     global_buffer
      - .offset:         104
        .size:           4
        .value_kind:     by_value
      - .offset:         108
        .size:           4
        .value_kind:     by_value
      - .offset:         112
        .size:           4
        .value_kind:     by_value
      - .offset:         116
        .size:           4
        .value_kind:     by_value
      - .offset:         120
        .size:           4
        .value_kind:     by_value
      - .offset:         128
        .size:           4
        .value_kind:     hidden_block_count_x
      - .offset:         132
        .size:           4
        .value_kind:     hidden_block_count_y
      - .offset:         136
        .size:           4
        .value_kind:     hidden_block_count_z
      - .offset:         140
        .size:           2
        .value_kind:     hidden_group_size_x
      - .offset:         142
        .size:           2
        .value_kind:     hidden_group_size_y
      - .offset:         144
        .size:           2
        .value_kind:     hidden_group_size_z
      - .offset:         146
        .size:           2
        .value_kind:     hidden_remainder_x
      - .offset:         148
        .size:           2
        .value_kind:     hidden_remainder_y
      - .offset:         150
        .size:           2
        .value_kind:     hidden_remainder_z
      - .offset:         168
        .size:           8
        .value_kind:     hidden_global_offset_x
      - .offset:         176
        .size:           8
        .value_kind:     hidden_global_offset_y
      - .offset:         184
        .size:           8
        .value_kind:     hidden_global_offset_z
      - .offset:         192
        .size:           2
        .value_kind:     hidden_grid_dims
      - .offset:         248
        .size:           4
        .value_kind:     hidden_dynamic_lds_size
    .group_segment_fixed_size: 176
    .kernarg_segment_align: 8
    .kernarg_segment_size: 384
    .language:       OpenCL C
    .language_version:
      - 2
      - 0
    .max_flat_workgroup_size: 1024
    .name:           _ZN4vllm25paged_attention_v1_kernelI14__hip_bfloat16S1_Li80ELi8ELi128ELNS_18Fp8KVCacheDataTypeE0ELb0EEEvPT_PKS3_PKT0_S9_ifPKiSB_iPKfiiiSD_SD_iiiii
    .private_segment_fixed_size: 0
    .sgpr_count:     40
    .sgpr_spill_count: 0
    .symbol:         _ZN4vllm25paged_attention_v1_kernelI14__hip_bfloat16S1_Li80ELi8ELi128ELNS_18Fp8KVCacheDataTypeE0ELb0EEEvPT_PKS3_PKT0_S9_ifPKiSB_iPKfiiiSD_SD_iiiii.kd
    .uniform_work_group_size: 1
    .uses_dynamic_stack: false
    .vgpr_count:     39
    .vgpr_spill_count: 0
    .wavefront_size: 64
  - .args:
      - .actual_access:  write_only
        .address_space:  global
        .offset:         0
        .size:           8
        .value_kind:     global_buffer
      - .actual_access:  read_only
        .address_space:  global
        .offset:         8
        .size:           8
        .value_kind:     global_buffer
      - .actual_access:  read_only
        .address_space:  global
        .offset:         16
        .size:           8
        .value_kind:     global_buffer
      - .actual_access:  read_only
        .address_space:  global
        .offset:         24
        .size:           8
        .value_kind:     global_buffer
      - .offset:         32
        .size:           4
        .value_kind:     by_value
      - .offset:         36
        .size:           4
        .value_kind:     by_value
      - .actual_access:  read_only
        .address_space:  global
        .offset:         40
        .size:           8
        .value_kind:     global_buffer
      - .actual_access:  read_only
        .address_space:  global
        .offset:         48
        .size:           8
        .value_kind:     global_buffer
      - .offset:         56
        .size:           4
        .value_kind:     by_value
      - .actual_access:  read_only
        .address_space:  global
        .offset:         64
        .size:           8
        .value_kind:     global_buffer
      - .offset:         72
        .size:           4
        .value_kind:     by_value
      - .offset:         76
        .size:           4
        .value_kind:     by_value
      - .offset:         80
        .size:           4
        .value_kind:     by_value
      - .address_space:  global
        .offset:         88
        .size:           8
        .value_kind:     global_buffer
      - .address_space:  global
        .offset:         96
        .size:           8
        .value_kind:     global_buffer
      - .offset:         104
        .size:           4
        .value_kind:     by_value
      - .offset:         108
        .size:           4
        .value_kind:     by_value
      - .offset:         112
        .size:           4
        .value_kind:     by_value
      - .offset:         116
        .size:           4
        .value_kind:     by_value
      - .offset:         120
        .size:           4
        .value_kind:     by_value
      - .offset:         128
        .size:           4
        .value_kind:     hidden_block_count_x
      - .offset:         132
        .size:           4
        .value_kind:     hidden_block_count_y
      - .offset:         136
        .size:           4
        .value_kind:     hidden_block_count_z
      - .offset:         140
        .size:           2
        .value_kind:     hidden_group_size_x
      - .offset:         142
        .size:           2
        .value_kind:     hidden_group_size_y
      - .offset:         144
        .size:           2
        .value_kind:     hidden_group_size_z
      - .offset:         146
        .size:           2
        .value_kind:     hidden_remainder_x
      - .offset:         148
        .size:           2
        .value_kind:     hidden_remainder_y
      - .offset:         150
        .size:           2
        .value_kind:     hidden_remainder_z
      - .offset:         168
        .size:           8
        .value_kind:     hidden_global_offset_x
      - .offset:         176
        .size:           8
        .value_kind:     hidden_global_offset_y
      - .offset:         184
        .size:           8
        .value_kind:     hidden_global_offset_z
      - .offset:         192
        .size:           2
        .value_kind:     hidden_grid_dims
      - .offset:         248
        .size:           4
        .value_kind:     hidden_dynamic_lds_size
    .group_segment_fixed_size: 208
    .kernarg_segment_align: 8
    .kernarg_segment_size: 384
    .language:       OpenCL C
    .language_version:
      - 2
      - 0
    .max_flat_workgroup_size: 1024
    .name:           _ZN4vllm25paged_attention_v1_kernelI14__hip_bfloat16S1_Li96ELi8ELi128ELNS_18Fp8KVCacheDataTypeE0ELb0EEEvPT_PKS3_PKT0_S9_ifPKiSB_iPKfiiiSD_SD_iiiii
    .private_segment_fixed_size: 0
    .sgpr_count:     40
    .sgpr_spill_count: 0
    .symbol:         _ZN4vllm25paged_attention_v1_kernelI14__hip_bfloat16S1_Li96ELi8ELi128ELNS_18Fp8KVCacheDataTypeE0ELb0EEEvPT_PKS3_PKT0_S9_ifPKiSB_iPKfiiiSD_SD_iiiii.kd
    .uniform_work_group_size: 1
    .uses_dynamic_stack: false
    .vgpr_count:     43
    .vgpr_spill_count: 0
    .wavefront_size: 64
  - .args:
      - .actual_access:  write_only
        .address_space:  global
        .offset:         0
        .size:           8
        .value_kind:     global_buffer
      - .actual_access:  read_only
        .address_space:  global
        .offset:         8
        .size:           8
        .value_kind:     global_buffer
      - .actual_access:  read_only
        .address_space:  global
        .offset:         16
        .size:           8
        .value_kind:     global_buffer
      - .actual_access:  read_only
        .address_space:  global
        .offset:         24
        .size:           8
        .value_kind:     global_buffer
      - .offset:         32
        .size:           4
        .value_kind:     by_value
      - .offset:         36
        .size:           4
        .value_kind:     by_value
      - .actual_access:  read_only
        .address_space:  global
        .offset:         40
        .size:           8
        .value_kind:     global_buffer
      - .actual_access:  read_only
        .address_space:  global
        .offset:         48
        .size:           8
        .value_kind:     global_buffer
      - .offset:         56
        .size:           4
        .value_kind:     by_value
      - .actual_access:  read_only
        .address_space:  global
        .offset:         64
        .size:           8
        .value_kind:     global_buffer
      - .offset:         72
        .size:           4
        .value_kind:     by_value
      - .offset:         76
        .size:           4
        .value_kind:     by_value
      - .offset:         80
        .size:           4
        .value_kind:     by_value
      - .address_space:  global
        .offset:         88
        .size:           8
        .value_kind:     global_buffer
      - .address_space:  global
        .offset:         96
        .size:           8
        .value_kind:     global_buffer
      - .offset:         104
        .size:           4
        .value_kind:     by_value
      - .offset:         108
        .size:           4
        .value_kind:     by_value
      - .offset:         112
        .size:           4
        .value_kind:     by_value
      - .offset:         116
        .size:           4
        .value_kind:     by_value
      - .offset:         120
        .size:           4
        .value_kind:     by_value
      - .offset:         128
        .size:           4
        .value_kind:     hidden_block_count_x
      - .offset:         132
        .size:           4
        .value_kind:     hidden_block_count_y
      - .offset:         136
        .size:           4
        .value_kind:     hidden_block_count_z
      - .offset:         140
        .size:           2
        .value_kind:     hidden_group_size_x
      - .offset:         142
        .size:           2
        .value_kind:     hidden_group_size_y
      - .offset:         144
        .size:           2
        .value_kind:     hidden_group_size_z
      - .offset:         146
        .size:           2
        .value_kind:     hidden_remainder_x
      - .offset:         148
        .size:           2
        .value_kind:     hidden_remainder_y
      - .offset:         150
        .size:           2
        .value_kind:     hidden_remainder_z
      - .offset:         168
        .size:           8
        .value_kind:     hidden_global_offset_x
      - .offset:         176
        .size:           8
        .value_kind:     hidden_global_offset_y
      - .offset:         184
        .size:           8
        .value_kind:     hidden_global_offset_z
      - .offset:         192
        .size:           2
        .value_kind:     hidden_grid_dims
      - .offset:         248
        .size:           4
        .value_kind:     hidden_dynamic_lds_size
    .group_segment_fixed_size: 240
    .kernarg_segment_align: 8
    .kernarg_segment_size: 384
    .language:       OpenCL C
    .language_version:
      - 2
      - 0
    .max_flat_workgroup_size: 1024
    .name:           _ZN4vllm25paged_attention_v1_kernelI14__hip_bfloat16S1_Li112ELi8ELi128ELNS_18Fp8KVCacheDataTypeE0ELb0EEEvPT_PKS3_PKT0_S9_ifPKiSB_iPKfiiiSD_SD_iiiii
    .private_segment_fixed_size: 0
    .sgpr_count:     40
    .sgpr_spill_count: 0
    .symbol:         _ZN4vllm25paged_attention_v1_kernelI14__hip_bfloat16S1_Li112ELi8ELi128ELNS_18Fp8KVCacheDataTypeE0ELb0EEEvPT_PKS3_PKT0_S9_ifPKiSB_iPKfiiiSD_SD_iiiii.kd
    .uniform_work_group_size: 1
    .uses_dynamic_stack: false
    .vgpr_count:     47
    .vgpr_spill_count: 0
    .wavefront_size: 64
  - .args:
      - .actual_access:  write_only
        .address_space:  global
        .offset:         0
        .size:           8
        .value_kind:     global_buffer
      - .actual_access:  read_only
        .address_space:  global
        .offset:         8
        .size:           8
        .value_kind:     global_buffer
      - .actual_access:  read_only
        .address_space:  global
        .offset:         16
        .size:           8
        .value_kind:     global_buffer
      - .actual_access:  read_only
        .address_space:  global
        .offset:         24
        .size:           8
        .value_kind:     global_buffer
      - .offset:         32
        .size:           4
        .value_kind:     by_value
      - .offset:         36
        .size:           4
        .value_kind:     by_value
      - .actual_access:  read_only
        .address_space:  global
        .offset:         40
        .size:           8
        .value_kind:     global_buffer
      - .actual_access:  read_only
        .address_space:  global
        .offset:         48
        .size:           8
        .value_kind:     global_buffer
      - .offset:         56
        .size:           4
        .value_kind:     by_value
      - .actual_access:  read_only
        .address_space:  global
        .offset:         64
        .size:           8
        .value_kind:     global_buffer
      - .offset:         72
        .size:           4
        .value_kind:     by_value
      - .offset:         76
        .size:           4
        .value_kind:     by_value
      - .offset:         80
        .size:           4
        .value_kind:     by_value
      - .address_space:  global
        .offset:         88
        .size:           8
        .value_kind:     global_buffer
      - .address_space:  global
        .offset:         96
        .size:           8
        .value_kind:     global_buffer
      - .offset:         104
        .size:           4
        .value_kind:     by_value
      - .offset:         108
        .size:           4
        .value_kind:     by_value
      - .offset:         112
        .size:           4
        .value_kind:     by_value
      - .offset:         116
        .size:           4
        .value_kind:     by_value
      - .offset:         120
        .size:           4
        .value_kind:     by_value
      - .offset:         128
        .size:           4
        .value_kind:     hidden_block_count_x
      - .offset:         132
        .size:           4
        .value_kind:     hidden_block_count_y
      - .offset:         136
        .size:           4
        .value_kind:     hidden_block_count_z
      - .offset:         140
        .size:           2
        .value_kind:     hidden_group_size_x
      - .offset:         142
        .size:           2
        .value_kind:     hidden_group_size_y
      - .offset:         144
        .size:           2
        .value_kind:     hidden_group_size_z
      - .offset:         146
        .size:           2
        .value_kind:     hidden_remainder_x
      - .offset:         148
        .size:           2
        .value_kind:     hidden_remainder_y
      - .offset:         150
        .size:           2
        .value_kind:     hidden_remainder_z
      - .offset:         168
        .size:           8
        .value_kind:     hidden_global_offset_x
      - .offset:         176
        .size:           8
        .value_kind:     hidden_global_offset_y
      - .offset:         184
        .size:           8
        .value_kind:     hidden_global_offset_z
      - .offset:         192
        .size:           2
        .value_kind:     hidden_grid_dims
      - .offset:         248
        .size:           4
        .value_kind:     hidden_dynamic_lds_size
    .group_segment_fixed_size: 256
    .kernarg_segment_align: 8
    .kernarg_segment_size: 384
    .language:       OpenCL C
    .language_version:
      - 2
      - 0
    .max_flat_workgroup_size: 1024
    .name:           _ZN4vllm25paged_attention_v1_kernelI14__hip_bfloat16S1_Li120ELi8ELi128ELNS_18Fp8KVCacheDataTypeE0ELb0EEEvPT_PKS3_PKT0_S9_ifPKiSB_iPKfiiiSD_SD_iiiii
    .private_segment_fixed_size: 0
    .sgpr_count:     40
    .sgpr_spill_count: 0
    .symbol:         _ZN4vllm25paged_attention_v1_kernelI14__hip_bfloat16S1_Li120ELi8ELi128ELNS_18Fp8KVCacheDataTypeE0ELb0EEEvPT_PKS3_PKT0_S9_ifPKiSB_iPKfiiiSD_SD_iiiii.kd
    .uniform_work_group_size: 1
    .uses_dynamic_stack: false
    .vgpr_count:     49
    .vgpr_spill_count: 0
    .wavefront_size: 64
  - .args:
      - .actual_access:  write_only
        .address_space:  global
        .offset:         0
        .size:           8
        .value_kind:     global_buffer
      - .actual_access:  read_only
        .address_space:  global
        .offset:         8
        .size:           8
        .value_kind:     global_buffer
      - .actual_access:  read_only
        .address_space:  global
        .offset:         16
        .size:           8
        .value_kind:     global_buffer
      - .actual_access:  read_only
        .address_space:  global
        .offset:         24
        .size:           8
        .value_kind:     global_buffer
      - .offset:         32
        .size:           4
        .value_kind:     by_value
      - .offset:         36
        .size:           4
        .value_kind:     by_value
      - .actual_access:  read_only
        .address_space:  global
        .offset:         40
        .size:           8
        .value_kind:     global_buffer
      - .actual_access:  read_only
        .address_space:  global
        .offset:         48
        .size:           8
        .value_kind:     global_buffer
      - .offset:         56
        .size:           4
        .value_kind:     by_value
      - .actual_access:  read_only
        .address_space:  global
        .offset:         64
        .size:           8
        .value_kind:     global_buffer
      - .offset:         72
        .size:           4
        .value_kind:     by_value
      - .offset:         76
        .size:           4
        .value_kind:     by_value
      - .offset:         80
        .size:           4
        .value_kind:     by_value
      - .address_space:  global
        .offset:         88
        .size:           8
        .value_kind:     global_buffer
      - .address_space:  global
        .offset:         96
        .size:           8
        .value_kind:     global_buffer
      - .offset:         104
        .size:           4
        .value_kind:     by_value
      - .offset:         108
        .size:           4
        .value_kind:     by_value
      - .offset:         112
        .size:           4
        .value_kind:     by_value
      - .offset:         116
        .size:           4
        .value_kind:     by_value
      - .offset:         120
        .size:           4
        .value_kind:     by_value
      - .offset:         128
        .size:           4
        .value_kind:     hidden_block_count_x
      - .offset:         132
        .size:           4
        .value_kind:     hidden_block_count_y
      - .offset:         136
        .size:           4
        .value_kind:     hidden_block_count_z
      - .offset:         140
        .size:           2
        .value_kind:     hidden_group_size_x
      - .offset:         142
        .size:           2
        .value_kind:     hidden_group_size_y
      - .offset:         144
        .size:           2
        .value_kind:     hidden_group_size_z
      - .offset:         146
        .size:           2
        .value_kind:     hidden_remainder_x
      - .offset:         148
        .size:           2
        .value_kind:     hidden_remainder_y
      - .offset:         150
        .size:           2
        .value_kind:     hidden_remainder_z
      - .offset:         168
        .size:           8
        .value_kind:     hidden_global_offset_x
      - .offset:         176
        .size:           8
        .value_kind:     hidden_global_offset_y
      - .offset:         184
        .size:           8
        .value_kind:     hidden_global_offset_z
      - .offset:         192
        .size:           2
        .value_kind:     hidden_grid_dims
      - .offset:         248
        .size:           4
        .value_kind:     hidden_dynamic_lds_size
    .group_segment_fixed_size: 272
    .kernarg_segment_align: 8
    .kernarg_segment_size: 384
    .language:       OpenCL C
    .language_version:
      - 2
      - 0
    .max_flat_workgroup_size: 1024
    .name:           _ZN4vllm25paged_attention_v1_kernelI14__hip_bfloat16S1_Li128ELi8ELi128ELNS_18Fp8KVCacheDataTypeE0ELb0EEEvPT_PKS3_PKT0_S9_ifPKiSB_iPKfiiiSD_SD_iiiii
    .private_segment_fixed_size: 0
    .sgpr_count:     38
    .sgpr_spill_count: 0
    .symbol:         _ZN4vllm25paged_attention_v1_kernelI14__hip_bfloat16S1_Li128ELi8ELi128ELNS_18Fp8KVCacheDataTypeE0ELb0EEEvPT_PKS3_PKT0_S9_ifPKiSB_iPKfiiiSD_SD_iiiii.kd
    .uniform_work_group_size: 1
    .uses_dynamic_stack: false
    .vgpr_count:     51
    .vgpr_spill_count: 0
    .wavefront_size: 64
  - .args:
      - .actual_access:  write_only
        .address_space:  global
        .offset:         0
        .size:           8
        .value_kind:     global_buffer
      - .actual_access:  read_only
        .address_space:  global
        .offset:         8
        .size:           8
        .value_kind:     global_buffer
      - .actual_access:  read_only
        .address_space:  global
        .offset:         16
        .size:           8
        .value_kind:     global_buffer
      - .actual_access:  read_only
        .address_space:  global
        .offset:         24
        .size:           8
        .value_kind:     global_buffer
      - .offset:         32
        .size:           4
        .value_kind:     by_value
      - .offset:         36
        .size:           4
        .value_kind:     by_value
      - .actual_access:  read_only
        .address_space:  global
        .offset:         40
        .size:           8
        .value_kind:     global_buffer
      - .actual_access:  read_only
        .address_space:  global
        .offset:         48
        .size:           8
        .value_kind:     global_buffer
      - .offset:         56
        .size:           4
        .value_kind:     by_value
      - .actual_access:  read_only
        .address_space:  global
        .offset:         64
        .size:           8
        .value_kind:     global_buffer
      - .offset:         72
        .size:           4
        .value_kind:     by_value
      - .offset:         76
        .size:           4
        .value_kind:     by_value
      - .offset:         80
        .size:           4
        .value_kind:     by_value
      - .address_space:  global
        .offset:         88
        .size:           8
        .value_kind:     global_buffer
      - .address_space:  global
        .offset:         96
        .size:           8
        .value_kind:     global_buffer
      - .offset:         104
        .size:           4
        .value_kind:     by_value
      - .offset:         108
        .size:           4
        .value_kind:     by_value
      - .offset:         112
        .size:           4
        .value_kind:     by_value
      - .offset:         116
        .size:           4
        .value_kind:     by_value
      - .offset:         120
        .size:           4
        .value_kind:     by_value
      - .offset:         128
        .size:           4
        .value_kind:     hidden_block_count_x
      - .offset:         132
        .size:           4
        .value_kind:     hidden_block_count_y
      - .offset:         136
        .size:           4
        .value_kind:     hidden_block_count_z
      - .offset:         140
        .size:           2
        .value_kind:     hidden_group_size_x
      - .offset:         142
        .size:           2
        .value_kind:     hidden_group_size_y
      - .offset:         144
        .size:           2
        .value_kind:     hidden_group_size_z
      - .offset:         146
        .size:           2
        .value_kind:     hidden_remainder_x
      - .offset:         148
        .size:           2
        .value_kind:     hidden_remainder_y
      - .offset:         150
        .size:           2
        .value_kind:     hidden_remainder_z
      - .offset:         168
        .size:           8
        .value_kind:     hidden_global_offset_x
      - .offset:         176
        .size:           8
        .value_kind:     hidden_global_offset_y
      - .offset:         184
        .size:           8
        .value_kind:     hidden_global_offset_z
      - .offset:         192
        .size:           2
        .value_kind:     hidden_grid_dims
      - .offset:         248
        .size:           4
        .value_kind:     hidden_dynamic_lds_size
    .group_segment_fixed_size: 400
    .kernarg_segment_align: 8
    .kernarg_segment_size: 384
    .language:       OpenCL C
    .language_version:
      - 2
      - 0
    .max_flat_workgroup_size: 1024
    .name:           _ZN4vllm25paged_attention_v1_kernelI14__hip_bfloat16S1_Li192ELi8ELi128ELNS_18Fp8KVCacheDataTypeE0ELb0EEEvPT_PKS3_PKT0_S9_ifPKiSB_iPKfiiiSD_SD_iiiii
    .private_segment_fixed_size: 0
    .sgpr_count:     38
    .sgpr_spill_count: 0
    .symbol:         _ZN4vllm25paged_attention_v1_kernelI14__hip_bfloat16S1_Li192ELi8ELi128ELNS_18Fp8KVCacheDataTypeE0ELb0EEEvPT_PKS3_PKT0_S9_ifPKiSB_iPKfiiiSD_SD_iiiii.kd
    .uniform_work_group_size: 1
    .uses_dynamic_stack: false
    .vgpr_count:     46
    .vgpr_spill_count: 0
    .wavefront_size: 64
  - .args:
      - .actual_access:  write_only
        .address_space:  global
        .offset:         0
        .size:           8
        .value_kind:     global_buffer
      - .actual_access:  read_only
        .address_space:  global
        .offset:         8
        .size:           8
        .value_kind:     global_buffer
      - .actual_access:  read_only
        .address_space:  global
        .offset:         16
        .size:           8
        .value_kind:     global_buffer
      - .actual_access:  read_only
        .address_space:  global
        .offset:         24
        .size:           8
        .value_kind:     global_buffer
      - .offset:         32
        .size:           4
        .value_kind:     by_value
      - .offset:         36
        .size:           4
        .value_kind:     by_value
      - .actual_access:  read_only
        .address_space:  global
        .offset:         40
        .size:           8
        .value_kind:     global_buffer
      - .actual_access:  read_only
        .address_space:  global
        .offset:         48
        .size:           8
        .value_kind:     global_buffer
      - .offset:         56
        .size:           4
        .value_kind:     by_value
      - .actual_access:  read_only
        .address_space:  global
        .offset:         64
        .size:           8
        .value_kind:     global_buffer
      - .offset:         72
        .size:           4
        .value_kind:     by_value
      - .offset:         76
        .size:           4
        .value_kind:     by_value
      - .offset:         80
        .size:           4
        .value_kind:     by_value
      - .address_space:  global
        .offset:         88
        .size:           8
        .value_kind:     global_buffer
      - .address_space:  global
        .offset:         96
        .size:           8
        .value_kind:     global_buffer
      - .offset:         104
        .size:           4
        .value_kind:     by_value
      - .offset:         108
        .size:           4
        .value_kind:     by_value
      - .offset:         112
        .size:           4
        .value_kind:     by_value
      - .offset:         116
        .size:           4
        .value_kind:     by_value
      - .offset:         120
        .size:           4
        .value_kind:     by_value
      - .offset:         128
        .size:           4
        .value_kind:     hidden_block_count_x
      - .offset:         132
        .size:           4
        .value_kind:     hidden_block_count_y
      - .offset:         136
        .size:           4
        .value_kind:     hidden_block_count_z
      - .offset:         140
        .size:           2
        .value_kind:     hidden_group_size_x
      - .offset:         142
        .size:           2
        .value_kind:     hidden_group_size_y
      - .offset:         144
        .size:           2
        .value_kind:     hidden_group_size_z
      - .offset:         146
        .size:           2
        .value_kind:     hidden_remainder_x
      - .offset:         148
        .size:           2
        .value_kind:     hidden_remainder_y
      - .offset:         150
        .size:           2
        .value_kind:     hidden_remainder_z
      - .offset:         168
        .size:           8
        .value_kind:     hidden_global_offset_x
      - .offset:         176
        .size:           8
        .value_kind:     hidden_global_offset_y
      - .offset:         184
        .size:           8
        .value_kind:     hidden_global_offset_z
      - .offset:         192
        .size:           2
        .value_kind:     hidden_grid_dims
      - .offset:         248
        .size:           4
        .value_kind:     hidden_dynamic_lds_size
    .group_segment_fixed_size: 528
    .kernarg_segment_align: 8
    .kernarg_segment_size: 384
    .language:       OpenCL C
    .language_version:
      - 2
      - 0
    .max_flat_workgroup_size: 1024
    .name:           _ZN4vllm25paged_attention_v1_kernelI14__hip_bfloat16S1_Li256ELi8ELi128ELNS_18Fp8KVCacheDataTypeE0ELb0EEEvPT_PKS3_PKT0_S9_ifPKiSB_iPKfiiiSD_SD_iiiii
    .private_segment_fixed_size: 0
    .sgpr_count:     38
    .sgpr_spill_count: 0
    .symbol:         _ZN4vllm25paged_attention_v1_kernelI14__hip_bfloat16S1_Li256ELi8ELi128ELNS_18Fp8KVCacheDataTypeE0ELb0EEEvPT_PKS3_PKT0_S9_ifPKiSB_iPKfiiiSD_SD_iiiii.kd
    .uniform_work_group_size: 1
    .uses_dynamic_stack: false
    .vgpr_count:     54
    .vgpr_spill_count: 0
    .wavefront_size: 64
  - .args:
      - .actual_access:  write_only
        .address_space:  global
        .offset:         0
        .size:           8
        .value_kind:     global_buffer
      - .actual_access:  read_only
        .address_space:  global
        .offset:         8
        .size:           8
        .value_kind:     global_buffer
      - .actual_access:  read_only
        .address_space:  global
        .offset:         16
        .size:           8
        .value_kind:     global_buffer
      - .actual_access:  read_only
        .address_space:  global
        .offset:         24
        .size:           8
        .value_kind:     global_buffer
      - .offset:         32
        .size:           4
        .value_kind:     by_value
      - .offset:         36
        .size:           4
        .value_kind:     by_value
      - .actual_access:  read_only
        .address_space:  global
        .offset:         40
        .size:           8
        .value_kind:     global_buffer
      - .actual_access:  read_only
        .address_space:  global
        .offset:         48
        .size:           8
        .value_kind:     global_buffer
      - .offset:         56
        .size:           4
        .value_kind:     by_value
      - .actual_access:  read_only
        .address_space:  global
        .offset:         64
        .size:           8
        .value_kind:     global_buffer
      - .offset:         72
        .size:           4
        .value_kind:     by_value
      - .offset:         76
        .size:           4
        .value_kind:     by_value
      - .offset:         80
        .size:           4
        .value_kind:     by_value
      - .address_space:  global
        .offset:         88
        .size:           8
        .value_kind:     global_buffer
      - .address_space:  global
        .offset:         96
        .size:           8
        .value_kind:     global_buffer
      - .offset:         104
        .size:           4
        .value_kind:     by_value
      - .offset:         108
        .size:           4
        .value_kind:     by_value
      - .offset:         112
        .size:           4
        .value_kind:     by_value
      - .offset:         116
        .size:           4
        .value_kind:     by_value
      - .offset:         120
        .size:           4
        .value_kind:     by_value
      - .offset:         128
        .size:           4
        .value_kind:     hidden_block_count_x
      - .offset:         132
        .size:           4
        .value_kind:     hidden_block_count_y
      - .offset:         136
        .size:           4
        .value_kind:     hidden_block_count_z
      - .offset:         140
        .size:           2
        .value_kind:     hidden_group_size_x
      - .offset:         142
        .size:           2
        .value_kind:     hidden_group_size_y
      - .offset:         144
        .size:           2
        .value_kind:     hidden_group_size_z
      - .offset:         146
        .size:           2
        .value_kind:     hidden_remainder_x
      - .offset:         148
        .size:           2
        .value_kind:     hidden_remainder_y
      - .offset:         150
        .size:           2
        .value_kind:     hidden_remainder_z
      - .offset:         168
        .size:           8
        .value_kind:     hidden_global_offset_x
      - .offset:         176
        .size:           8
        .value_kind:     hidden_global_offset_y
      - .offset:         184
        .size:           8
        .value_kind:     hidden_global_offset_z
      - .offset:         192
        .size:           2
        .value_kind:     hidden_grid_dims
      - .offset:         248
        .size:           4
        .value_kind:     hidden_dynamic_lds_size
    .group_segment_fixed_size: 80
    .kernarg_segment_align: 8
    .kernarg_segment_size: 384
    .language:       OpenCL C
    .language_version:
      - 2
      - 0
    .max_flat_workgroup_size: 1024
    .name:           _ZN4vllm25paged_attention_v1_kernelI14__hip_bfloat16S1_Li32ELi16ELi128ELNS_18Fp8KVCacheDataTypeE0ELb1EEEvPT_PKS3_PKT0_S9_ifPKiSB_iPKfiiiSD_SD_iiiii
    .private_segment_fixed_size: 0
    .sgpr_count:     48
    .sgpr_spill_count: 0
    .symbol:         _ZN4vllm25paged_attention_v1_kernelI14__hip_bfloat16S1_Li32ELi16ELi128ELNS_18Fp8KVCacheDataTypeE0ELb1EEEvPT_PKS3_PKT0_S9_ifPKiSB_iPKfiiiSD_SD_iiiii.kd
    .uniform_work_group_size: 1
    .uses_dynamic_stack: false
    .vgpr_count:     39
    .vgpr_spill_count: 0
    .wavefront_size: 64
  - .args:
      - .actual_access:  write_only
        .address_space:  global
        .offset:         0
        .size:           8
        .value_kind:     global_buffer
      - .actual_access:  read_only
        .address_space:  global
        .offset:         8
        .size:           8
        .value_kind:     global_buffer
      - .actual_access:  read_only
        .address_space:  global
        .offset:         16
        .size:           8
        .value_kind:     global_buffer
      - .actual_access:  read_only
        .address_space:  global
        .offset:         24
        .size:           8
        .value_kind:     global_buffer
      - .offset:         32
        .size:           4
        .value_kind:     by_value
      - .offset:         36
        .size:           4
        .value_kind:     by_value
      - .actual_access:  read_only
        .address_space:  global
        .offset:         40
        .size:           8
        .value_kind:     global_buffer
      - .actual_access:  read_only
        .address_space:  global
        .offset:         48
        .size:           8
        .value_kind:     global_buffer
      - .offset:         56
        .size:           4
        .value_kind:     by_value
      - .actual_access:  read_only
        .address_space:  global
        .offset:         64
        .size:           8
        .value_kind:     global_buffer
      - .offset:         72
        .size:           4
        .value_kind:     by_value
      - .offset:         76
        .size:           4
        .value_kind:     by_value
      - .offset:         80
        .size:           4
        .value_kind:     by_value
      - .address_space:  global
        .offset:         88
        .size:           8
        .value_kind:     global_buffer
      - .address_space:  global
        .offset:         96
        .size:           8
        .value_kind:     global_buffer
      - .offset:         104
        .size:           4
        .value_kind:     by_value
      - .offset:         108
        .size:           4
        .value_kind:     by_value
      - .offset:         112
        .size:           4
        .value_kind:     by_value
      - .offset:         116
        .size:           4
        .value_kind:     by_value
      - .offset:         120
        .size:           4
        .value_kind:     by_value
      - .offset:         128
        .size:           4
        .value_kind:     hidden_block_count_x
      - .offset:         132
        .size:           4
        .value_kind:     hidden_block_count_y
      - .offset:         136
        .size:           4
        .value_kind:     hidden_block_count_z
      - .offset:         140
        .size:           2
        .value_kind:     hidden_group_size_x
      - .offset:         142
        .size:           2
        .value_kind:     hidden_group_size_y
      - .offset:         144
        .size:           2
        .value_kind:     hidden_group_size_z
      - .offset:         146
        .size:           2
        .value_kind:     hidden_remainder_x
      - .offset:         148
        .size:           2
        .value_kind:     hidden_remainder_y
      - .offset:         150
        .size:           2
        .value_kind:     hidden_remainder_z
      - .offset:         168
        .size:           8
        .value_kind:     hidden_global_offset_x
      - .offset:         176
        .size:           8
        .value_kind:     hidden_global_offset_y
      - .offset:         184
        .size:           8
        .value_kind:     hidden_global_offset_z
      - .offset:         192
        .size:           2
        .value_kind:     hidden_grid_dims
      - .offset:         248
        .size:           4
        .value_kind:     hidden_dynamic_lds_size
    .group_segment_fixed_size: 144
    .kernarg_segment_align: 8
    .kernarg_segment_size: 384
    .language:       OpenCL C
    .language_version:
      - 2
      - 0
    .max_flat_workgroup_size: 1024
    .name:           _ZN4vllm25paged_attention_v1_kernelI14__hip_bfloat16S1_Li64ELi16ELi128ELNS_18Fp8KVCacheDataTypeE0ELb1EEEvPT_PKS3_PKT0_S9_ifPKiSB_iPKfiiiSD_SD_iiiii
    .private_segment_fixed_size: 0
    .sgpr_count:     48
    .sgpr_spill_count: 0
    .symbol:         _ZN4vllm25paged_attention_v1_kernelI14__hip_bfloat16S1_Li64ELi16ELi128ELNS_18Fp8KVCacheDataTypeE0ELb1EEEvPT_PKS3_PKT0_S9_ifPKiSB_iPKfiiiSD_SD_iiiii.kd
    .uniform_work_group_size: 1
    .uses_dynamic_stack: false
    .vgpr_count:     55
    .vgpr_spill_count: 0
    .wavefront_size: 64
  - .args:
      - .actual_access:  write_only
        .address_space:  global
        .offset:         0
        .size:           8
        .value_kind:     global_buffer
      - .actual_access:  read_only
        .address_space:  global
        .offset:         8
        .size:           8
        .value_kind:     global_buffer
      - .actual_access:  read_only
        .address_space:  global
        .offset:         16
        .size:           8
        .value_kind:     global_buffer
      - .actual_access:  read_only
        .address_space:  global
        .offset:         24
        .size:           8
        .value_kind:     global_buffer
      - .offset:         32
        .size:           4
        .value_kind:     by_value
      - .offset:         36
        .size:           4
        .value_kind:     by_value
      - .actual_access:  read_only
        .address_space:  global
        .offset:         40
        .size:           8
        .value_kind:     global_buffer
      - .actual_access:  read_only
        .address_space:  global
        .offset:         48
        .size:           8
        .value_kind:     global_buffer
      - .offset:         56
        .size:           4
        .value_kind:     by_value
      - .actual_access:  read_only
        .address_space:  global
        .offset:         64
        .size:           8
        .value_kind:     global_buffer
      - .offset:         72
        .size:           4
        .value_kind:     by_value
      - .offset:         76
        .size:           4
        .value_kind:     by_value
      - .offset:         80
        .size:           4
        .value_kind:     by_value
      - .address_space:  global
        .offset:         88
        .size:           8
        .value_kind:     global_buffer
      - .address_space:  global
        .offset:         96
        .size:           8
        .value_kind:     global_buffer
      - .offset:         104
        .size:           4
        .value_kind:     by_value
      - .offset:         108
        .size:           4
        .value_kind:     by_value
      - .offset:         112
        .size:           4
        .value_kind:     by_value
      - .offset:         116
        .size:           4
        .value_kind:     by_value
      - .offset:         120
        .size:           4
        .value_kind:     by_value
      - .offset:         128
        .size:           4
        .value_kind:     hidden_block_count_x
      - .offset:         132
        .size:           4
        .value_kind:     hidden_block_count_y
      - .offset:         136
        .size:           4
        .value_kind:     hidden_block_count_z
      - .offset:         140
        .size:           2
        .value_kind:     hidden_group_size_x
      - .offset:         142
        .size:           2
        .value_kind:     hidden_group_size_y
      - .offset:         144
        .size:           2
        .value_kind:     hidden_group_size_z
      - .offset:         146
        .size:           2
        .value_kind:     hidden_remainder_x
      - .offset:         148
        .size:           2
        .value_kind:     hidden_remainder_y
      - .offset:         150
        .size:           2
        .value_kind:     hidden_remainder_z
      - .offset:         168
        .size:           8
        .value_kind:     hidden_global_offset_x
      - .offset:         176
        .size:           8
        .value_kind:     hidden_global_offset_y
      - .offset:         184
        .size:           8
        .value_kind:     hidden_global_offset_z
      - .offset:         192
        .size:           2
        .value_kind:     hidden_grid_dims
      - .offset:         248
        .size:           4
        .value_kind:     hidden_dynamic_lds_size
    .group_segment_fixed_size: 176
    .kernarg_segment_align: 8
    .kernarg_segment_size: 384
    .language:       OpenCL C
    .language_version:
      - 2
      - 0
    .max_flat_workgroup_size: 1024
    .name:           _ZN4vllm25paged_attention_v1_kernelI14__hip_bfloat16S1_Li80ELi16ELi128ELNS_18Fp8KVCacheDataTypeE0ELb1EEEvPT_PKS3_PKT0_S9_ifPKiSB_iPKfiiiSD_SD_iiiii
    .private_segment_fixed_size: 0
    .sgpr_count:     48
    .sgpr_spill_count: 0
    .symbol:         _ZN4vllm25paged_attention_v1_kernelI14__hip_bfloat16S1_Li80ELi16ELi128ELNS_18Fp8KVCacheDataTypeE0ELb1EEEvPT_PKS3_PKT0_S9_ifPKiSB_iPKfiiiSD_SD_iiiii.kd
    .uniform_work_group_size: 1
    .uses_dynamic_stack: false
    .vgpr_count:     63
    .vgpr_spill_count: 0
    .wavefront_size: 64
  - .args:
      - .actual_access:  write_only
        .address_space:  global
        .offset:         0
        .size:           8
        .value_kind:     global_buffer
      - .actual_access:  read_only
        .address_space:  global
        .offset:         8
        .size:           8
        .value_kind:     global_buffer
      - .actual_access:  read_only
        .address_space:  global
        .offset:         16
        .size:           8
        .value_kind:     global_buffer
      - .actual_access:  read_only
        .address_space:  global
        .offset:         24
        .size:           8
        .value_kind:     global_buffer
      - .offset:         32
        .size:           4
        .value_kind:     by_value
      - .offset:         36
        .size:           4
        .value_kind:     by_value
      - .actual_access:  read_only
        .address_space:  global
        .offset:         40
        .size:           8
        .value_kind:     global_buffer
      - .actual_access:  read_only
        .address_space:  global
        .offset:         48
        .size:           8
        .value_kind:     global_buffer
      - .offset:         56
        .size:           4
        .value_kind:     by_value
      - .actual_access:  read_only
        .address_space:  global
        .offset:         64
        .size:           8
        .value_kind:     global_buffer
      - .offset:         72
        .size:           4
        .value_kind:     by_value
      - .offset:         76
        .size:           4
        .value_kind:     by_value
      - .offset:         80
        .size:           4
        .value_kind:     by_value
      - .address_space:  global
        .offset:         88
        .size:           8
        .value_kind:     global_buffer
      - .address_space:  global
        .offset:         96
        .size:           8
        .value_kind:     global_buffer
      - .offset:         104
        .size:           4
        .value_kind:     by_value
      - .offset:         108
        .size:           4
        .value_kind:     by_value
      - .offset:         112
        .size:           4
        .value_kind:     by_value
      - .offset:         116
        .size:           4
        .value_kind:     by_value
      - .offset:         120
        .size:           4
        .value_kind:     by_value
      - .offset:         128
        .size:           4
        .value_kind:     hidden_block_count_x
      - .offset:         132
        .size:           4
        .value_kind:     hidden_block_count_y
      - .offset:         136
        .size:           4
        .value_kind:     hidden_block_count_z
      - .offset:         140
        .size:           2
        .value_kind:     hidden_group_size_x
      - .offset:         142
        .size:           2
        .value_kind:     hidden_group_size_y
      - .offset:         144
        .size:           2
        .value_kind:     hidden_group_size_z
      - .offset:         146
        .size:           2
        .value_kind:     hidden_remainder_x
      - .offset:         148
        .size:           2
        .value_kind:     hidden_remainder_y
      - .offset:         150
        .size:           2
        .value_kind:     hidden_remainder_z
      - .offset:         168
        .size:           8
        .value_kind:     hidden_global_offset_x
      - .offset:         176
        .size:           8
        .value_kind:     hidden_global_offset_y
      - .offset:         184
        .size:           8
        .value_kind:     hidden_global_offset_z
      - .offset:         192
        .size:           2
        .value_kind:     hidden_grid_dims
      - .offset:         248
        .size:           4
        .value_kind:     hidden_dynamic_lds_size
    .group_segment_fixed_size: 208
    .kernarg_segment_align: 8
    .kernarg_segment_size: 384
    .language:       OpenCL C
    .language_version:
      - 2
      - 0
    .max_flat_workgroup_size: 1024
    .name:           _ZN4vllm25paged_attention_v1_kernelI14__hip_bfloat16S1_Li96ELi16ELi128ELNS_18Fp8KVCacheDataTypeE0ELb1EEEvPT_PKS3_PKT0_S9_ifPKiSB_iPKfiiiSD_SD_iiiii
    .private_segment_fixed_size: 0
    .sgpr_count:     48
    .sgpr_spill_count: 0
    .symbol:         _ZN4vllm25paged_attention_v1_kernelI14__hip_bfloat16S1_Li96ELi16ELi128ELNS_18Fp8KVCacheDataTypeE0ELb1EEEvPT_PKS3_PKT0_S9_ifPKiSB_iPKfiiiSD_SD_iiiii.kd
    .uniform_work_group_size: 1
    .uses_dynamic_stack: false
    .vgpr_count:     51
    .vgpr_spill_count: 0
    .wavefront_size: 64
  - .args:
      - .actual_access:  write_only
        .address_space:  global
        .offset:         0
        .size:           8
        .value_kind:     global_buffer
      - .actual_access:  read_only
        .address_space:  global
        .offset:         8
        .size:           8
        .value_kind:     global_buffer
      - .actual_access:  read_only
        .address_space:  global
        .offset:         16
        .size:           8
        .value_kind:     global_buffer
      - .actual_access:  read_only
        .address_space:  global
        .offset:         24
        .size:           8
        .value_kind:     global_buffer
      - .offset:         32
        .size:           4
        .value_kind:     by_value
      - .offset:         36
        .size:           4
        .value_kind:     by_value
      - .actual_access:  read_only
        .address_space:  global
        .offset:         40
        .size:           8
        .value_kind:     global_buffer
      - .actual_access:  read_only
        .address_space:  global
        .offset:         48
        .size:           8
        .value_kind:     global_buffer
      - .offset:         56
        .size:           4
        .value_kind:     by_value
      - .actual_access:  read_only
        .address_space:  global
        .offset:         64
        .size:           8
        .value_kind:     global_buffer
      - .offset:         72
        .size:           4
        .value_kind:     by_value
      - .offset:         76
        .size:           4
        .value_kind:     by_value
      - .offset:         80
        .size:           4
        .value_kind:     by_value
      - .address_space:  global
        .offset:         88
        .size:           8
        .value_kind:     global_buffer
      - .address_space:  global
        .offset:         96
        .size:           8
        .value_kind:     global_buffer
      - .offset:         104
        .size:           4
        .value_kind:     by_value
      - .offset:         108
        .size:           4
        .value_kind:     by_value
      - .offset:         112
        .size:           4
        .value_kind:     by_value
      - .offset:         116
        .size:           4
        .value_kind:     by_value
      - .offset:         120
        .size:           4
        .value_kind:     by_value
      - .offset:         128
        .size:           4
        .value_kind:     hidden_block_count_x
      - .offset:         132
        .size:           4
        .value_kind:     hidden_block_count_y
      - .offset:         136
        .size:           4
        .value_kind:     hidden_block_count_z
      - .offset:         140
        .size:           2
        .value_kind:     hidden_group_size_x
      - .offset:         142
        .size:           2
        .value_kind:     hidden_group_size_y
      - .offset:         144
        .size:           2
        .value_kind:     hidden_group_size_z
      - .offset:         146
        .size:           2
        .value_kind:     hidden_remainder_x
      - .offset:         148
        .size:           2
        .value_kind:     hidden_remainder_y
      - .offset:         150
        .size:           2
        .value_kind:     hidden_remainder_z
      - .offset:         168
        .size:           8
        .value_kind:     hidden_global_offset_x
      - .offset:         176
        .size:           8
        .value_kind:     hidden_global_offset_y
      - .offset:         184
        .size:           8
        .value_kind:     hidden_global_offset_z
      - .offset:         192
        .size:           2
        .value_kind:     hidden_grid_dims
      - .offset:         248
        .size:           4
        .value_kind:     hidden_dynamic_lds_size
    .group_segment_fixed_size: 240
    .kernarg_segment_align: 8
    .kernarg_segment_size: 384
    .language:       OpenCL C
    .language_version:
      - 2
      - 0
    .max_flat_workgroup_size: 1024
    .name:           _ZN4vllm25paged_attention_v1_kernelI14__hip_bfloat16S1_Li112ELi16ELi128ELNS_18Fp8KVCacheDataTypeE0ELb1EEEvPT_PKS3_PKT0_S9_ifPKiSB_iPKfiiiSD_SD_iiiii
    .private_segment_fixed_size: 0
    .sgpr_count:     48
    .sgpr_spill_count: 0
    .symbol:         _ZN4vllm25paged_attention_v1_kernelI14__hip_bfloat16S1_Li112ELi16ELi128ELNS_18Fp8KVCacheDataTypeE0ELb1EEEvPT_PKS3_PKT0_S9_ifPKiSB_iPKfiiiSD_SD_iiiii.kd
    .uniform_work_group_size: 1
    .uses_dynamic_stack: false
    .vgpr_count:     55
    .vgpr_spill_count: 0
    .wavefront_size: 64
  - .args:
      - .actual_access:  write_only
        .address_space:  global
        .offset:         0
        .size:           8
        .value_kind:     global_buffer
      - .actual_access:  read_only
        .address_space:  global
        .offset:         8
        .size:           8
        .value_kind:     global_buffer
      - .actual_access:  read_only
        .address_space:  global
        .offset:         16
        .size:           8
        .value_kind:     global_buffer
      - .actual_access:  read_only
        .address_space:  global
        .offset:         24
        .size:           8
        .value_kind:     global_buffer
      - .offset:         32
        .size:           4
        .value_kind:     by_value
      - .offset:         36
        .size:           4
        .value_kind:     by_value
      - .actual_access:  read_only
        .address_space:  global
        .offset:         40
        .size:           8
        .value_kind:     global_buffer
      - .actual_access:  read_only
        .address_space:  global
        .offset:         48
        .size:           8
        .value_kind:     global_buffer
      - .offset:         56
        .size:           4
        .value_kind:     by_value
      - .actual_access:  read_only
        .address_space:  global
        .offset:         64
        .size:           8
        .value_kind:     global_buffer
      - .offset:         72
        .size:           4
        .value_kind:     by_value
      - .offset:         76
        .size:           4
        .value_kind:     by_value
      - .offset:         80
        .size:           4
        .value_kind:     by_value
      - .address_space:  global
        .offset:         88
        .size:           8
        .value_kind:     global_buffer
      - .address_space:  global
        .offset:         96
        .size:           8
        .value_kind:     global_buffer
      - .offset:         104
        .size:           4
        .value_kind:     by_value
      - .offset:         108
        .size:           4
        .value_kind:     by_value
      - .offset:         112
        .size:           4
        .value_kind:     by_value
      - .offset:         116
        .size:           4
        .value_kind:     by_value
      - .offset:         120
        .size:           4
        .value_kind:     by_value
      - .offset:         128
        .size:           4
        .value_kind:     hidden_block_count_x
      - .offset:         132
        .size:           4
        .value_kind:     hidden_block_count_y
      - .offset:         136
        .size:           4
        .value_kind:     hidden_block_count_z
      - .offset:         140
        .size:           2
        .value_kind:     hidden_group_size_x
      - .offset:         142
        .size:           2
        .value_kind:     hidden_group_size_y
      - .offset:         144
        .size:           2
        .value_kind:     hidden_group_size_z
      - .offset:         146
        .size:           2
        .value_kind:     hidden_remainder_x
      - .offset:         148
        .size:           2
        .value_kind:     hidden_remainder_y
      - .offset:         150
        .size:           2
        .value_kind:     hidden_remainder_z
      - .offset:         168
        .size:           8
        .value_kind:     hidden_global_offset_x
      - .offset:         176
        .size:           8
        .value_kind:     hidden_global_offset_y
      - .offset:         184
        .size:           8
        .value_kind:     hidden_global_offset_z
      - .offset:         192
        .size:           2
        .value_kind:     hidden_grid_dims
      - .offset:         248
        .size:           4
        .value_kind:     hidden_dynamic_lds_size
    .group_segment_fixed_size: 256
    .kernarg_segment_align: 8
    .kernarg_segment_size: 384
    .language:       OpenCL C
    .language_version:
      - 2
      - 0
    .max_flat_workgroup_size: 1024
    .name:           _ZN4vllm25paged_attention_v1_kernelI14__hip_bfloat16S1_Li120ELi16ELi128ELNS_18Fp8KVCacheDataTypeE0ELb1EEEvPT_PKS3_PKT0_S9_ifPKiSB_iPKfiiiSD_SD_iiiii
    .private_segment_fixed_size: 0
    .sgpr_count:     48
    .sgpr_spill_count: 0
    .symbol:         _ZN4vllm25paged_attention_v1_kernelI14__hip_bfloat16S1_Li120ELi16ELi128ELNS_18Fp8KVCacheDataTypeE0ELb1EEEvPT_PKS3_PKT0_S9_ifPKiSB_iPKfiiiSD_SD_iiiii.kd
    .uniform_work_group_size: 1
    .uses_dynamic_stack: false
    .vgpr_count:     57
    .vgpr_spill_count: 0
    .wavefront_size: 64
  - .args:
      - .actual_access:  write_only
        .address_space:  global
        .offset:         0
        .size:           8
        .value_kind:     global_buffer
      - .actual_access:  read_only
        .address_space:  global
        .offset:         8
        .size:           8
        .value_kind:     global_buffer
      - .actual_access:  read_only
        .address_space:  global
        .offset:         16
        .size:           8
        .value_kind:     global_buffer
      - .actual_access:  read_only
        .address_space:  global
        .offset:         24
        .size:           8
        .value_kind:     global_buffer
      - .offset:         32
        .size:           4
        .value_kind:     by_value
      - .offset:         36
        .size:           4
        .value_kind:     by_value
      - .actual_access:  read_only
        .address_space:  global
        .offset:         40
        .size:           8
        .value_kind:     global_buffer
      - .actual_access:  read_only
        .address_space:  global
        .offset:         48
        .size:           8
        .value_kind:     global_buffer
      - .offset:         56
        .size:           4
        .value_kind:     by_value
      - .actual_access:  read_only
        .address_space:  global
        .offset:         64
        .size:           8
        .value_kind:     global_buffer
      - .offset:         72
        .size:           4
        .value_kind:     by_value
      - .offset:         76
        .size:           4
        .value_kind:     by_value
      - .offset:         80
        .size:           4
        .value_kind:     by_value
      - .address_space:  global
        .offset:         88
        .size:           8
        .value_kind:     global_buffer
      - .address_space:  global
        .offset:         96
        .size:           8
        .value_kind:     global_buffer
      - .offset:         104
        .size:           4
        .value_kind:     by_value
      - .offset:         108
        .size:           4
        .value_kind:     by_value
      - .offset:         112
        .size:           4
        .value_kind:     by_value
      - .offset:         116
        .size:           4
        .value_kind:     by_value
      - .offset:         120
        .size:           4
        .value_kind:     by_value
      - .offset:         128
        .size:           4
        .value_kind:     hidden_block_count_x
      - .offset:         132
        .size:           4
        .value_kind:     hidden_block_count_y
      - .offset:         136
        .size:           4
        .value_kind:     hidden_block_count_z
      - .offset:         140
        .size:           2
        .value_kind:     hidden_group_size_x
      - .offset:         142
        .size:           2
        .value_kind:     hidden_group_size_y
      - .offset:         144
        .size:           2
        .value_kind:     hidden_group_size_z
      - .offset:         146
        .size:           2
        .value_kind:     hidden_remainder_x
      - .offset:         148
        .size:           2
        .value_kind:     hidden_remainder_y
      - .offset:         150
        .size:           2
        .value_kind:     hidden_remainder_z
      - .offset:         168
        .size:           8
        .value_kind:     hidden_global_offset_x
      - .offset:         176
        .size:           8
        .value_kind:     hidden_global_offset_y
      - .offset:         184
        .size:           8
        .value_kind:     hidden_global_offset_z
      - .offset:         192
        .size:           2
        .value_kind:     hidden_grid_dims
      - .offset:         248
        .size:           4
        .value_kind:     hidden_dynamic_lds_size
    .group_segment_fixed_size: 272
    .kernarg_segment_align: 8
    .kernarg_segment_size: 384
    .language:       OpenCL C
    .language_version:
      - 2
      - 0
    .max_flat_workgroup_size: 1024
    .name:           _ZN4vllm25paged_attention_v1_kernelI14__hip_bfloat16S1_Li128ELi16ELi128ELNS_18Fp8KVCacheDataTypeE0ELb1EEEvPT_PKS3_PKT0_S9_ifPKiSB_iPKfiiiSD_SD_iiiii
    .private_segment_fixed_size: 0
    .sgpr_count:     50
    .sgpr_spill_count: 0
    .symbol:         _ZN4vllm25paged_attention_v1_kernelI14__hip_bfloat16S1_Li128ELi16ELi128ELNS_18Fp8KVCacheDataTypeE0ELb1EEEvPT_PKS3_PKT0_S9_ifPKiSB_iPKfiiiSD_SD_iiiii.kd
    .uniform_work_group_size: 1
    .uses_dynamic_stack: false
    .vgpr_count:     64
    .vgpr_spill_count: 0
    .wavefront_size: 64
  - .args:
      - .actual_access:  write_only
        .address_space:  global
        .offset:         0
        .size:           8
        .value_kind:     global_buffer
      - .actual_access:  read_only
        .address_space:  global
        .offset:         8
        .size:           8
        .value_kind:     global_buffer
      - .actual_access:  read_only
        .address_space:  global
        .offset:         16
        .size:           8
        .value_kind:     global_buffer
      - .actual_access:  read_only
        .address_space:  global
        .offset:         24
        .size:           8
        .value_kind:     global_buffer
      - .offset:         32
        .size:           4
        .value_kind:     by_value
      - .offset:         36
        .size:           4
        .value_kind:     by_value
      - .actual_access:  read_only
        .address_space:  global
        .offset:         40
        .size:           8
        .value_kind:     global_buffer
      - .actual_access:  read_only
        .address_space:  global
        .offset:         48
        .size:           8
        .value_kind:     global_buffer
      - .offset:         56
        .size:           4
        .value_kind:     by_value
      - .actual_access:  read_only
        .address_space:  global
        .offset:         64
        .size:           8
        .value_kind:     global_buffer
      - .offset:         72
        .size:           4
        .value_kind:     by_value
      - .offset:         76
        .size:           4
        .value_kind:     by_value
      - .offset:         80
        .size:           4
        .value_kind:     by_value
      - .address_space:  global
        .offset:         88
        .size:           8
        .value_kind:     global_buffer
      - .address_space:  global
        .offset:         96
        .size:           8
        .value_kind:     global_buffer
      - .offset:         104
        .size:           4
        .value_kind:     by_value
      - .offset:         108
        .size:           4
        .value_kind:     by_value
      - .offset:         112
        .size:           4
        .value_kind:     by_value
      - .offset:         116
        .size:           4
        .value_kind:     by_value
      - .offset:         120
        .size:           4
        .value_kind:     by_value
      - .offset:         128
        .size:           4
        .value_kind:     hidden_block_count_x
      - .offset:         132
        .size:           4
        .value_kind:     hidden_block_count_y
      - .offset:         136
        .size:           4
        .value_kind:     hidden_block_count_z
      - .offset:         140
        .size:           2
        .value_kind:     hidden_group_size_x
      - .offset:         142
        .size:           2
        .value_kind:     hidden_group_size_y
      - .offset:         144
        .size:           2
        .value_kind:     hidden_group_size_z
      - .offset:         146
        .size:           2
        .value_kind:     hidden_remainder_x
      - .offset:         148
        .size:           2
        .value_kind:     hidden_remainder_y
      - .offset:         150
        .size:           2
        .value_kind:     hidden_remainder_z
      - .offset:         168
        .size:           8
        .value_kind:     hidden_global_offset_x
      - .offset:         176
        .size:           8
        .value_kind:     hidden_global_offset_y
      - .offset:         184
        .size:           8
        .value_kind:     hidden_global_offset_z
      - .offset:         192
        .size:           2
        .value_kind:     hidden_grid_dims
      - .offset:         248
        .size:           4
        .value_kind:     hidden_dynamic_lds_size
    .group_segment_fixed_size: 400
    .kernarg_segment_align: 8
    .kernarg_segment_size: 384
    .language:       OpenCL C
    .language_version:
      - 2
      - 0
    .max_flat_workgroup_size: 1024
    .name:           _ZN4vllm25paged_attention_v1_kernelI14__hip_bfloat16S1_Li192ELi16ELi128ELNS_18Fp8KVCacheDataTypeE0ELb1EEEvPT_PKS3_PKT0_S9_ifPKiSB_iPKfiiiSD_SD_iiiii
    .private_segment_fixed_size: 44
    .sgpr_count:     56
    .sgpr_spill_count: 0
    .symbol:         _ZN4vllm25paged_attention_v1_kernelI14__hip_bfloat16S1_Li192ELi16ELi128ELNS_18Fp8KVCacheDataTypeE0ELb1EEEvPT_PKS3_PKT0_S9_ifPKiSB_iPKfiiiSD_SD_iiiii.kd
    .uniform_work_group_size: 1
    .uses_dynamic_stack: false
    .vgpr_count:     64
    .vgpr_spill_count: 11
    .wavefront_size: 64
  - .args:
      - .actual_access:  write_only
        .address_space:  global
        .offset:         0
        .size:           8
        .value_kind:     global_buffer
      - .actual_access:  read_only
        .address_space:  global
        .offset:         8
        .size:           8
        .value_kind:     global_buffer
      - .actual_access:  read_only
        .address_space:  global
        .offset:         16
        .size:           8
        .value_kind:     global_buffer
      - .actual_access:  read_only
        .address_space:  global
        .offset:         24
        .size:           8
        .value_kind:     global_buffer
      - .offset:         32
        .size:           4
        .value_kind:     by_value
      - .offset:         36
        .size:           4
        .value_kind:     by_value
      - .actual_access:  read_only
        .address_space:  global
        .offset:         40
        .size:           8
        .value_kind:     global_buffer
      - .actual_access:  read_only
        .address_space:  global
        .offset:         48
        .size:           8
        .value_kind:     global_buffer
      - .offset:         56
        .size:           4
        .value_kind:     by_value
      - .actual_access:  read_only
        .address_space:  global
        .offset:         64
        .size:           8
        .value_kind:     global_buffer
      - .offset:         72
        .size:           4
        .value_kind:     by_value
      - .offset:         76
        .size:           4
        .value_kind:     by_value
      - .offset:         80
        .size:           4
        .value_kind:     by_value
      - .address_space:  global
        .offset:         88
        .size:           8
        .value_kind:     global_buffer
      - .address_space:  global
        .offset:         96
        .size:           8
        .value_kind:     global_buffer
      - .offset:         104
        .size:           4
        .value_kind:     by_value
      - .offset:         108
        .size:           4
        .value_kind:     by_value
      - .offset:         112
        .size:           4
        .value_kind:     by_value
      - .offset:         116
        .size:           4
        .value_kind:     by_value
      - .offset:         120
        .size:           4
        .value_kind:     by_value
      - .offset:         128
        .size:           4
        .value_kind:     hidden_block_count_x
      - .offset:         132
        .size:           4
        .value_kind:     hidden_block_count_y
      - .offset:         136
        .size:           4
        .value_kind:     hidden_block_count_z
      - .offset:         140
        .size:           2
        .value_kind:     hidden_group_size_x
      - .offset:         142
        .size:           2
        .value_kind:     hidden_group_size_y
      - .offset:         144
        .size:           2
        .value_kind:     hidden_group_size_z
      - .offset:         146
        .size:           2
        .value_kind:     hidden_remainder_x
      - .offset:         148
        .size:           2
        .value_kind:     hidden_remainder_y
      - .offset:         150
        .size:           2
        .value_kind:     hidden_remainder_z
      - .offset:         168
        .size:           8
        .value_kind:     hidden_global_offset_x
      - .offset:         176
        .size:           8
        .value_kind:     hidden_global_offset_y
      - .offset:         184
        .size:           8
        .value_kind:     hidden_global_offset_z
      - .offset:         192
        .size:           2
        .value_kind:     hidden_grid_dims
      - .offset:         248
        .size:           4
        .value_kind:     hidden_dynamic_lds_size
    .group_segment_fixed_size: 528
    .kernarg_segment_align: 8
    .kernarg_segment_size: 384
    .language:       OpenCL C
    .language_version:
      - 2
      - 0
    .max_flat_workgroup_size: 1024
    .name:           _ZN4vllm25paged_attention_v1_kernelI14__hip_bfloat16S1_Li256ELi16ELi128ELNS_18Fp8KVCacheDataTypeE0ELb1EEEvPT_PKS3_PKT0_S9_ifPKiSB_iPKfiiiSD_SD_iiiii
    .private_segment_fixed_size: 72
    .sgpr_count:     56
    .sgpr_spill_count: 0
    .symbol:         _ZN4vllm25paged_attention_v1_kernelI14__hip_bfloat16S1_Li256ELi16ELi128ELNS_18Fp8KVCacheDataTypeE0ELb1EEEvPT_PKS3_PKT0_S9_ifPKiSB_iPKfiiiSD_SD_iiiii.kd
    .uniform_work_group_size: 1
    .uses_dynamic_stack: false
    .vgpr_count:     64
    .vgpr_spill_count: 25
    .wavefront_size: 64
  - .args:
      - .actual_access:  write_only
        .address_space:  global
        .offset:         0
        .size:           8
        .value_kind:     global_buffer
      - .actual_access:  read_only
        .address_space:  global
        .offset:         8
        .size:           8
        .value_kind:     global_buffer
      - .actual_access:  read_only
        .address_space:  global
        .offset:         16
        .size:           8
        .value_kind:     global_buffer
      - .actual_access:  read_only
        .address_space:  global
        .offset:         24
        .size:           8
        .value_kind:     global_buffer
      - .offset:         32
        .size:           4
        .value_kind:     by_value
      - .offset:         36
        .size:           4
        .value_kind:     by_value
      - .actual_access:  read_only
        .address_space:  global
        .offset:         40
        .size:           8
        .value_kind:     global_buffer
      - .actual_access:  read_only
        .address_space:  global
        .offset:         48
        .size:           8
        .value_kind:     global_buffer
      - .offset:         56
        .size:           4
        .value_kind:     by_value
      - .actual_access:  read_only
        .address_space:  global
        .offset:         64
        .size:           8
        .value_kind:     global_buffer
      - .offset:         72
        .size:           4
        .value_kind:     by_value
      - .offset:         76
        .size:           4
        .value_kind:     by_value
      - .offset:         80
        .size:           4
        .value_kind:     by_value
      - .address_space:  global
        .offset:         88
        .size:           8
        .value_kind:     global_buffer
      - .address_space:  global
        .offset:         96
        .size:           8
        .value_kind:     global_buffer
      - .offset:         104
        .size:           4
        .value_kind:     by_value
      - .offset:         108
        .size:           4
        .value_kind:     by_value
      - .offset:         112
        .size:           4
        .value_kind:     by_value
      - .offset:         116
        .size:           4
        .value_kind:     by_value
      - .offset:         120
        .size:           4
        .value_kind:     by_value
      - .offset:         128
        .size:           4
        .value_kind:     hidden_block_count_x
      - .offset:         132
        .size:           4
        .value_kind:     hidden_block_count_y
      - .offset:         136
        .size:           4
        .value_kind:     hidden_block_count_z
      - .offset:         140
        .size:           2
        .value_kind:     hidden_group_size_x
      - .offset:         142
        .size:           2
        .value_kind:     hidden_group_size_y
      - .offset:         144
        .size:           2
        .value_kind:     hidden_group_size_z
      - .offset:         146
        .size:           2
        .value_kind:     hidden_remainder_x
      - .offset:         148
        .size:           2
        .value_kind:     hidden_remainder_y
      - .offset:         150
        .size:           2
        .value_kind:     hidden_remainder_z
      - .offset:         168
        .size:           8
        .value_kind:     hidden_global_offset_x
      - .offset:         176
        .size:           8
        .value_kind:     hidden_global_offset_y
      - .offset:         184
        .size:           8
        .value_kind:     hidden_global_offset_z
      - .offset:         192
        .size:           2
        .value_kind:     hidden_grid_dims
      - .offset:         248
        .size:           4
        .value_kind:     hidden_dynamic_lds_size
    .group_segment_fixed_size: 80
    .kernarg_segment_align: 8
    .kernarg_segment_size: 384
    .language:       OpenCL C
    .language_version:
      - 2
      - 0
    .max_flat_workgroup_size: 1024
    .name:           _ZN4vllm25paged_attention_v1_kernelI14__hip_bfloat16S1_Li32ELi16ELi128ELNS_18Fp8KVCacheDataTypeE0ELb0EEEvPT_PKS3_PKT0_S9_ifPKiSB_iPKfiiiSD_SD_iiiii
    .private_segment_fixed_size: 0
    .sgpr_count:     38
    .sgpr_spill_count: 0
    .symbol:         _ZN4vllm25paged_attention_v1_kernelI14__hip_bfloat16S1_Li32ELi16ELi128ELNS_18Fp8KVCacheDataTypeE0ELb0EEEvPT_PKS3_PKT0_S9_ifPKiSB_iPKfiiiSD_SD_iiiii.kd
    .uniform_work_group_size: 1
    .uses_dynamic_stack: false
    .vgpr_count:     32
    .vgpr_spill_count: 0
    .wavefront_size: 64
  - .args:
      - .actual_access:  write_only
        .address_space:  global
        .offset:         0
        .size:           8
        .value_kind:     global_buffer
      - .actual_access:  read_only
        .address_space:  global
        .offset:         8
        .size:           8
        .value_kind:     global_buffer
      - .actual_access:  read_only
        .address_space:  global
        .offset:         16
        .size:           8
        .value_kind:     global_buffer
      - .actual_access:  read_only
        .address_space:  global
        .offset:         24
        .size:           8
        .value_kind:     global_buffer
      - .offset:         32
        .size:           4
        .value_kind:     by_value
      - .offset:         36
        .size:           4
        .value_kind:     by_value
      - .actual_access:  read_only
        .address_space:  global
        .offset:         40
        .size:           8
        .value_kind:     global_buffer
      - .actual_access:  read_only
        .address_space:  global
        .offset:         48
        .size:           8
        .value_kind:     global_buffer
      - .offset:         56
        .size:           4
        .value_kind:     by_value
      - .actual_access:  read_only
        .address_space:  global
        .offset:         64
        .size:           8
        .value_kind:     global_buffer
      - .offset:         72
        .size:           4
        .value_kind:     by_value
      - .offset:         76
        .size:           4
        .value_kind:     by_value
      - .offset:         80
        .size:           4
        .value_kind:     by_value
      - .address_space:  global
        .offset:         88
        .size:           8
        .value_kind:     global_buffer
      - .address_space:  global
        .offset:         96
        .size:           8
        .value_kind:     global_buffer
      - .offset:         104
        .size:           4
        .value_kind:     by_value
      - .offset:         108
        .size:           4
        .value_kind:     by_value
      - .offset:         112
        .size:           4
        .value_kind:     by_value
      - .offset:         116
        .size:           4
        .value_kind:     by_value
      - .offset:         120
        .size:           4
        .value_kind:     by_value
      - .offset:         128
        .size:           4
        .value_kind:     hidden_block_count_x
      - .offset:         132
        .size:           4
        .value_kind:     hidden_block_count_y
      - .offset:         136
        .size:           4
        .value_kind:     hidden_block_count_z
      - .offset:         140
        .size:           2
        .value_kind:     hidden_group_size_x
      - .offset:         142
        .size:           2
        .value_kind:     hidden_group_size_y
      - .offset:         144
        .size:           2
        .value_kind:     hidden_group_size_z
      - .offset:         146
        .size:           2
        .value_kind:     hidden_remainder_x
      - .offset:         148
        .size:           2
        .value_kind:     hidden_remainder_y
      - .offset:         150
        .size:           2
        .value_kind:     hidden_remainder_z
      - .offset:         168
        .size:           8
        .value_kind:     hidden_global_offset_x
      - .offset:         176
        .size:           8
        .value_kind:     hidden_global_offset_y
      - .offset:         184
        .size:           8
        .value_kind:     hidden_global_offset_z
      - .offset:         192
        .size:           2
        .value_kind:     hidden_grid_dims
      - .offset:         248
        .size:           4
        .value_kind:     hidden_dynamic_lds_size
    .group_segment_fixed_size: 144
    .kernarg_segment_align: 8
    .kernarg_segment_size: 384
    .language:       OpenCL C
    .language_version:
      - 2
      - 0
    .max_flat_workgroup_size: 1024
    .name:           _ZN4vllm25paged_attention_v1_kernelI14__hip_bfloat16S1_Li64ELi16ELi128ELNS_18Fp8KVCacheDataTypeE0ELb0EEEvPT_PKS3_PKT0_S9_ifPKiSB_iPKfiiiSD_SD_iiiii
    .private_segment_fixed_size: 0
    .sgpr_count:     38
    .sgpr_spill_count: 0
    .symbol:         _ZN4vllm25paged_attention_v1_kernelI14__hip_bfloat16S1_Li64ELi16ELi128ELNS_18Fp8KVCacheDataTypeE0ELb0EEEvPT_PKS3_PKT0_S9_ifPKiSB_iPKfiiiSD_SD_iiiii.kd
    .uniform_work_group_size: 1
    .uses_dynamic_stack: false
    .vgpr_count:     48
    .vgpr_spill_count: 0
    .wavefront_size: 64
  - .args:
      - .actual_access:  write_only
        .address_space:  global
        .offset:         0
        .size:           8
        .value_kind:     global_buffer
      - .actual_access:  read_only
        .address_space:  global
        .offset:         8
        .size:           8
        .value_kind:     global_buffer
      - .actual_access:  read_only
        .address_space:  global
        .offset:         16
        .size:           8
        .value_kind:     global_buffer
      - .actual_access:  read_only
        .address_space:  global
        .offset:         24
        .size:           8
        .value_kind:     global_buffer
      - .offset:         32
        .size:           4
        .value_kind:     by_value
      - .offset:         36
        .size:           4
        .value_kind:     by_value
      - .actual_access:  read_only
        .address_space:  global
        .offset:         40
        .size:           8
        .value_kind:     global_buffer
      - .actual_access:  read_only
        .address_space:  global
        .offset:         48
        .size:           8
        .value_kind:     global_buffer
      - .offset:         56
        .size:           4
        .value_kind:     by_value
      - .actual_access:  read_only
        .address_space:  global
        .offset:         64
        .size:           8
        .value_kind:     global_buffer
      - .offset:         72
        .size:           4
        .value_kind:     by_value
      - .offset:         76
        .size:           4
        .value_kind:     by_value
      - .offset:         80
        .size:           4
        .value_kind:     by_value
      - .address_space:  global
        .offset:         88
        .size:           8
        .value_kind:     global_buffer
      - .address_space:  global
        .offset:         96
        .size:           8
        .value_kind:     global_buffer
      - .offset:         104
        .size:           4
        .value_kind:     by_value
      - .offset:         108
        .size:           4
        .value_kind:     by_value
      - .offset:         112
        .size:           4
        .value_kind:     by_value
      - .offset:         116
        .size:           4
        .value_kind:     by_value
      - .offset:         120
        .size:           4
        .value_kind:     by_value
      - .offset:         128
        .size:           4
        .value_kind:     hidden_block_count_x
      - .offset:         132
        .size:           4
        .value_kind:     hidden_block_count_y
      - .offset:         136
        .size:           4
        .value_kind:     hidden_block_count_z
      - .offset:         140
        .size:           2
        .value_kind:     hidden_group_size_x
      - .offset:         142
        .size:           2
        .value_kind:     hidden_group_size_y
      - .offset:         144
        .size:           2
        .value_kind:     hidden_group_size_z
      - .offset:         146
        .size:           2
        .value_kind:     hidden_remainder_x
      - .offset:         148
        .size:           2
        .value_kind:     hidden_remainder_y
      - .offset:         150
        .size:           2
        .value_kind:     hidden_remainder_z
      - .offset:         168
        .size:           8
        .value_kind:     hidden_global_offset_x
      - .offset:         176
        .size:           8
        .value_kind:     hidden_global_offset_y
      - .offset:         184
        .size:           8
        .value_kind:     hidden_global_offset_z
      - .offset:         192
        .size:           2
        .value_kind:     hidden_grid_dims
      - .offset:         248
        .size:           4
        .value_kind:     hidden_dynamic_lds_size
    .group_segment_fixed_size: 176
    .kernarg_segment_align: 8
    .kernarg_segment_size: 384
    .language:       OpenCL C
    .language_version:
      - 2
      - 0
    .max_flat_workgroup_size: 1024
    .name:           _ZN4vllm25paged_attention_v1_kernelI14__hip_bfloat16S1_Li80ELi16ELi128ELNS_18Fp8KVCacheDataTypeE0ELb0EEEvPT_PKS3_PKT0_S9_ifPKiSB_iPKfiiiSD_SD_iiiii
    .private_segment_fixed_size: 0
    .sgpr_count:     38
    .sgpr_spill_count: 0
    .symbol:         _ZN4vllm25paged_attention_v1_kernelI14__hip_bfloat16S1_Li80ELi16ELi128ELNS_18Fp8KVCacheDataTypeE0ELb0EEEvPT_PKS3_PKT0_S9_ifPKiSB_iPKfiiiSD_SD_iiiii.kd
    .uniform_work_group_size: 1
    .uses_dynamic_stack: false
    .vgpr_count:     54
    .vgpr_spill_count: 0
    .wavefront_size: 64
  - .args:
      - .actual_access:  write_only
        .address_space:  global
        .offset:         0
        .size:           8
        .value_kind:     global_buffer
      - .actual_access:  read_only
        .address_space:  global
        .offset:         8
        .size:           8
        .value_kind:     global_buffer
      - .actual_access:  read_only
        .address_space:  global
        .offset:         16
        .size:           8
        .value_kind:     global_buffer
      - .actual_access:  read_only
        .address_space:  global
        .offset:         24
        .size:           8
        .value_kind:     global_buffer
      - .offset:         32
        .size:           4
        .value_kind:     by_value
      - .offset:         36
        .size:           4
        .value_kind:     by_value
      - .actual_access:  read_only
        .address_space:  global
        .offset:         40
        .size:           8
        .value_kind:     global_buffer
      - .actual_access:  read_only
        .address_space:  global
        .offset:         48
        .size:           8
        .value_kind:     global_buffer
      - .offset:         56
        .size:           4
        .value_kind:     by_value
      - .actual_access:  read_only
        .address_space:  global
        .offset:         64
        .size:           8
        .value_kind:     global_buffer
      - .offset:         72
        .size:           4
        .value_kind:     by_value
      - .offset:         76
        .size:           4
        .value_kind:     by_value
      - .offset:         80
        .size:           4
        .value_kind:     by_value
      - .address_space:  global
        .offset:         88
        .size:           8
        .value_kind:     global_buffer
      - .address_space:  global
        .offset:         96
        .size:           8
        .value_kind:     global_buffer
      - .offset:         104
        .size:           4
        .value_kind:     by_value
      - .offset:         108
        .size:           4
        .value_kind:     by_value
      - .offset:         112
        .size:           4
        .value_kind:     by_value
      - .offset:         116
        .size:           4
        .value_kind:     by_value
      - .offset:         120
        .size:           4
        .value_kind:     by_value
      - .offset:         128
        .size:           4
        .value_kind:     hidden_block_count_x
      - .offset:         132
        .size:           4
        .value_kind:     hidden_block_count_y
      - .offset:         136
        .size:           4
        .value_kind:     hidden_block_count_z
      - .offset:         140
        .size:           2
        .value_kind:     hidden_group_size_x
      - .offset:         142
        .size:           2
        .value_kind:     hidden_group_size_y
      - .offset:         144
        .size:           2
        .value_kind:     hidden_group_size_z
      - .offset:         146
        .size:           2
        .value_kind:     hidden_remainder_x
      - .offset:         148
        .size:           2
        .value_kind:     hidden_remainder_y
      - .offset:         150
        .size:           2
        .value_kind:     hidden_remainder_z
      - .offset:         168
        .size:           8
        .value_kind:     hidden_global_offset_x
      - .offset:         176
        .size:           8
        .value_kind:     hidden_global_offset_y
      - .offset:         184
        .size:           8
        .value_kind:     hidden_global_offset_z
      - .offset:         192
        .size:           2
        .value_kind:     hidden_grid_dims
      - .offset:         248
        .size:           4
        .value_kind:     hidden_dynamic_lds_size
    .group_segment_fixed_size: 208
    .kernarg_segment_align: 8
    .kernarg_segment_size: 384
    .language:       OpenCL C
    .language_version:
      - 2
      - 0
    .max_flat_workgroup_size: 1024
    .name:           _ZN4vllm25paged_attention_v1_kernelI14__hip_bfloat16S1_Li96ELi16ELi128ELNS_18Fp8KVCacheDataTypeE0ELb0EEEvPT_PKS3_PKT0_S9_ifPKiSB_iPKfiiiSD_SD_iiiii
    .private_segment_fixed_size: 0
    .sgpr_count:     38
    .sgpr_spill_count: 0
    .symbol:         _ZN4vllm25paged_attention_v1_kernelI14__hip_bfloat16S1_Li96ELi16ELi128ELNS_18Fp8KVCacheDataTypeE0ELb0EEEvPT_PKS3_PKT0_S9_ifPKiSB_iPKfiiiSD_SD_iiiii.kd
    .uniform_work_group_size: 1
    .uses_dynamic_stack: false
    .vgpr_count:     54
    .vgpr_spill_count: 0
    .wavefront_size: 64
  - .args:
      - .actual_access:  write_only
        .address_space:  global
        .offset:         0
        .size:           8
        .value_kind:     global_buffer
      - .actual_access:  read_only
        .address_space:  global
        .offset:         8
        .size:           8
        .value_kind:     global_buffer
      - .actual_access:  read_only
        .address_space:  global
        .offset:         16
        .size:           8
        .value_kind:     global_buffer
      - .actual_access:  read_only
        .address_space:  global
        .offset:         24
        .size:           8
        .value_kind:     global_buffer
      - .offset:         32
        .size:           4
        .value_kind:     by_value
      - .offset:         36
        .size:           4
        .value_kind:     by_value
      - .actual_access:  read_only
        .address_space:  global
        .offset:         40
        .size:           8
        .value_kind:     global_buffer
      - .actual_access:  read_only
        .address_space:  global
        .offset:         48
        .size:           8
        .value_kind:     global_buffer
      - .offset:         56
        .size:           4
        .value_kind:     by_value
      - .actual_access:  read_only
        .address_space:  global
        .offset:         64
        .size:           8
        .value_kind:     global_buffer
      - .offset:         72
        .size:           4
        .value_kind:     by_value
      - .offset:         76
        .size:           4
        .value_kind:     by_value
      - .offset:         80
        .size:           4
        .value_kind:     by_value
      - .address_space:  global
        .offset:         88
        .size:           8
        .value_kind:     global_buffer
      - .address_space:  global
        .offset:         96
        .size:           8
        .value_kind:     global_buffer
      - .offset:         104
        .size:           4
        .value_kind:     by_value
      - .offset:         108
        .size:           4
        .value_kind:     by_value
      - .offset:         112
        .size:           4
        .value_kind:     by_value
      - .offset:         116
        .size:           4
        .value_kind:     by_value
      - .offset:         120
        .size:           4
        .value_kind:     by_value
      - .offset:         128
        .size:           4
        .value_kind:     hidden_block_count_x
      - .offset:         132
        .size:           4
        .value_kind:     hidden_block_count_y
      - .offset:         136
        .size:           4
        .value_kind:     hidden_block_count_z
      - .offset:         140
        .size:           2
        .value_kind:     hidden_group_size_x
      - .offset:         142
        .size:           2
        .value_kind:     hidden_group_size_y
      - .offset:         144
        .size:           2
        .value_kind:     hidden_group_size_z
      - .offset:         146
        .size:           2
        .value_kind:     hidden_remainder_x
      - .offset:         148
        .size:           2
        .value_kind:     hidden_remainder_y
      - .offset:         150
        .size:           2
        .value_kind:     hidden_remainder_z
      - .offset:         168
        .size:           8
        .value_kind:     hidden_global_offset_x
      - .offset:         176
        .size:           8
        .value_kind:     hidden_global_offset_y
      - .offset:         184
        .size:           8
        .value_kind:     hidden_global_offset_z
      - .offset:         192
        .size:           2
        .value_kind:     hidden_grid_dims
      - .offset:         248
        .size:           4
        .value_kind:     hidden_dynamic_lds_size
    .group_segment_fixed_size: 240
    .kernarg_segment_align: 8
    .kernarg_segment_size: 384
    .language:       OpenCL C
    .language_version:
      - 2
      - 0
    .max_flat_workgroup_size: 1024
    .name:           _ZN4vllm25paged_attention_v1_kernelI14__hip_bfloat16S1_Li112ELi16ELi128ELNS_18Fp8KVCacheDataTypeE0ELb0EEEvPT_PKS3_PKT0_S9_ifPKiSB_iPKfiiiSD_SD_iiiii
    .private_segment_fixed_size: 0
    .sgpr_count:     38
    .sgpr_spill_count: 0
    .symbol:         _ZN4vllm25paged_attention_v1_kernelI14__hip_bfloat16S1_Li112ELi16ELi128ELNS_18Fp8KVCacheDataTypeE0ELb0EEEvPT_PKS3_PKT0_S9_ifPKiSB_iPKfiiiSD_SD_iiiii.kd
    .uniform_work_group_size: 1
    .uses_dynamic_stack: false
    .vgpr_count:     60
    .vgpr_spill_count: 0
    .wavefront_size: 64
  - .args:
      - .actual_access:  write_only
        .address_space:  global
        .offset:         0
        .size:           8
        .value_kind:     global_buffer
      - .actual_access:  read_only
        .address_space:  global
        .offset:         8
        .size:           8
        .value_kind:     global_buffer
      - .actual_access:  read_only
        .address_space:  global
        .offset:         16
        .size:           8
        .value_kind:     global_buffer
      - .actual_access:  read_only
        .address_space:  global
        .offset:         24
        .size:           8
        .value_kind:     global_buffer
      - .offset:         32
        .size:           4
        .value_kind:     by_value
      - .offset:         36
        .size:           4
        .value_kind:     by_value
      - .actual_access:  read_only
        .address_space:  global
        .offset:         40
        .size:           8
        .value_kind:     global_buffer
      - .actual_access:  read_only
        .address_space:  global
        .offset:         48
        .size:           8
        .value_kind:     global_buffer
      - .offset:         56
        .size:           4
        .value_kind:     by_value
      - .actual_access:  read_only
        .address_space:  global
        .offset:         64
        .size:           8
        .value_kind:     global_buffer
      - .offset:         72
        .size:           4
        .value_kind:     by_value
      - .offset:         76
        .size:           4
        .value_kind:     by_value
      - .offset:         80
        .size:           4
        .value_kind:     by_value
      - .address_space:  global
        .offset:         88
        .size:           8
        .value_kind:     global_buffer
      - .address_space:  global
        .offset:         96
        .size:           8
        .value_kind:     global_buffer
      - .offset:         104
        .size:           4
        .value_kind:     by_value
      - .offset:         108
        .size:           4
        .value_kind:     by_value
      - .offset:         112
        .size:           4
        .value_kind:     by_value
      - .offset:         116
        .size:           4
        .value_kind:     by_value
      - .offset:         120
        .size:           4
        .value_kind:     by_value
      - .offset:         128
        .size:           4
        .value_kind:     hidden_block_count_x
      - .offset:         132
        .size:           4
        .value_kind:     hidden_block_count_y
      - .offset:         136
        .size:           4
        .value_kind:     hidden_block_count_z
      - .offset:         140
        .size:           2
        .value_kind:     hidden_group_size_x
      - .offset:         142
        .size:           2
        .value_kind:     hidden_group_size_y
      - .offset:         144
        .size:           2
        .value_kind:     hidden_group_size_z
      - .offset:         146
        .size:           2
        .value_kind:     hidden_remainder_x
      - .offset:         148
        .size:           2
        .value_kind:     hidden_remainder_y
      - .offset:         150
        .size:           2
        .value_kind:     hidden_remainder_z
      - .offset:         168
        .size:           8
        .value_kind:     hidden_global_offset_x
      - .offset:         176
        .size:           8
        .value_kind:     hidden_global_offset_y
      - .offset:         184
        .size:           8
        .value_kind:     hidden_global_offset_z
      - .offset:         192
        .size:           2
        .value_kind:     hidden_grid_dims
      - .offset:         248
        .size:           4
        .value_kind:     hidden_dynamic_lds_size
    .group_segment_fixed_size: 256
    .kernarg_segment_align: 8
    .kernarg_segment_size: 384
    .language:       OpenCL C
    .language_version:
      - 2
      - 0
    .max_flat_workgroup_size: 1024
    .name:           _ZN4vllm25paged_attention_v1_kernelI14__hip_bfloat16S1_Li120ELi16ELi128ELNS_18Fp8KVCacheDataTypeE0ELb0EEEvPT_PKS3_PKT0_S9_ifPKiSB_iPKfiiiSD_SD_iiiii
    .private_segment_fixed_size: 0
    .sgpr_count:     38
    .sgpr_spill_count: 0
    .symbol:         _ZN4vllm25paged_attention_v1_kernelI14__hip_bfloat16S1_Li120ELi16ELi128ELNS_18Fp8KVCacheDataTypeE0ELb0EEEvPT_PKS3_PKT0_S9_ifPKiSB_iPKfiiiSD_SD_iiiii.kd
    .uniform_work_group_size: 1
    .uses_dynamic_stack: false
    .vgpr_count:     63
    .vgpr_spill_count: 0
    .wavefront_size: 64
  - .args:
      - .actual_access:  write_only
        .address_space:  global
        .offset:         0
        .size:           8
        .value_kind:     global_buffer
      - .actual_access:  read_only
        .address_space:  global
        .offset:         8
        .size:           8
        .value_kind:     global_buffer
      - .actual_access:  read_only
        .address_space:  global
        .offset:         16
        .size:           8
        .value_kind:     global_buffer
      - .actual_access:  read_only
        .address_space:  global
        .offset:         24
        .size:           8
        .value_kind:     global_buffer
      - .offset:         32
        .size:           4
        .value_kind:     by_value
      - .offset:         36
        .size:           4
        .value_kind:     by_value
      - .actual_access:  read_only
        .address_space:  global
        .offset:         40
        .size:           8
        .value_kind:     global_buffer
      - .actual_access:  read_only
        .address_space:  global
        .offset:         48
        .size:           8
        .value_kind:     global_buffer
      - .offset:         56
        .size:           4
        .value_kind:     by_value
      - .actual_access:  read_only
        .address_space:  global
        .offset:         64
        .size:           8
        .value_kind:     global_buffer
      - .offset:         72
        .size:           4
        .value_kind:     by_value
      - .offset:         76
        .size:           4
        .value_kind:     by_value
      - .offset:         80
        .size:           4
        .value_kind:     by_value
      - .address_space:  global
        .offset:         88
        .size:           8
        .value_kind:     global_buffer
      - .address_space:  global
        .offset:         96
        .size:           8
        .value_kind:     global_buffer
      - .offset:         104
        .size:           4
        .value_kind:     by_value
      - .offset:         108
        .size:           4
        .value_kind:     by_value
      - .offset:         112
        .size:           4
        .value_kind:     by_value
      - .offset:         116
        .size:           4
        .value_kind:     by_value
      - .offset:         120
        .size:           4
        .value_kind:     by_value
      - .offset:         128
        .size:           4
        .value_kind:     hidden_block_count_x
      - .offset:         132
        .size:           4
        .value_kind:     hidden_block_count_y
      - .offset:         136
        .size:           4
        .value_kind:     hidden_block_count_z
      - .offset:         140
        .size:           2
        .value_kind:     hidden_group_size_x
      - .offset:         142
        .size:           2
        .value_kind:     hidden_group_size_y
      - .offset:         144
        .size:           2
        .value_kind:     hidden_group_size_z
      - .offset:         146
        .size:           2
        .value_kind:     hidden_remainder_x
      - .offset:         148
        .size:           2
        .value_kind:     hidden_remainder_y
      - .offset:         150
        .size:           2
        .value_kind:     hidden_remainder_z
      - .offset:         168
        .size:           8
        .value_kind:     hidden_global_offset_x
      - .offset:         176
        .size:           8
        .value_kind:     hidden_global_offset_y
      - .offset:         184
        .size:           8
        .value_kind:     hidden_global_offset_z
      - .offset:         192
        .size:           2
        .value_kind:     hidden_grid_dims
      - .offset:         248
        .size:           4
        .value_kind:     hidden_dynamic_lds_size
    .group_segment_fixed_size: 272
    .kernarg_segment_align: 8
    .kernarg_segment_size: 384
    .language:       OpenCL C
    .language_version:
      - 2
      - 0
    .max_flat_workgroup_size: 1024
    .name:           _ZN4vllm25paged_attention_v1_kernelI14__hip_bfloat16S1_Li128ELi16ELi128ELNS_18Fp8KVCacheDataTypeE0ELb0EEEvPT_PKS3_PKT0_S9_ifPKiSB_iPKfiiiSD_SD_iiiii
    .private_segment_fixed_size: 0
    .sgpr_count:     40
    .sgpr_spill_count: 0
    .symbol:         _ZN4vllm25paged_attention_v1_kernelI14__hip_bfloat16S1_Li128ELi16ELi128ELNS_18Fp8KVCacheDataTypeE0ELb0EEEvPT_PKS3_PKT0_S9_ifPKiSB_iPKfiiiSD_SD_iiiii.kd
    .uniform_work_group_size: 1
    .uses_dynamic_stack: false
    .vgpr_count:     64
    .vgpr_spill_count: 0
    .wavefront_size: 64
  - .args:
      - .actual_access:  write_only
        .address_space:  global
        .offset:         0
        .size:           8
        .value_kind:     global_buffer
      - .actual_access:  read_only
        .address_space:  global
        .offset:         8
        .size:           8
        .value_kind:     global_buffer
      - .actual_access:  read_only
        .address_space:  global
        .offset:         16
        .size:           8
        .value_kind:     global_buffer
      - .actual_access:  read_only
        .address_space:  global
        .offset:         24
        .size:           8
        .value_kind:     global_buffer
      - .offset:         32
        .size:           4
        .value_kind:     by_value
      - .offset:         36
        .size:           4
        .value_kind:     by_value
      - .actual_access:  read_only
        .address_space:  global
        .offset:         40
        .size:           8
        .value_kind:     global_buffer
      - .actual_access:  read_only
        .address_space:  global
        .offset:         48
        .size:           8
        .value_kind:     global_buffer
      - .offset:         56
        .size:           4
        .value_kind:     by_value
      - .actual_access:  read_only
        .address_space:  global
        .offset:         64
        .size:           8
        .value_kind:     global_buffer
      - .offset:         72
        .size:           4
        .value_kind:     by_value
      - .offset:         76
        .size:           4
        .value_kind:     by_value
      - .offset:         80
        .size:           4
        .value_kind:     by_value
      - .address_space:  global
        .offset:         88
        .size:           8
        .value_kind:     global_buffer
      - .address_space:  global
        .offset:         96
        .size:           8
        .value_kind:     global_buffer
      - .offset:         104
        .size:           4
        .value_kind:     by_value
      - .offset:         108
        .size:           4
        .value_kind:     by_value
      - .offset:         112
        .size:           4
        .value_kind:     by_value
      - .offset:         116
        .size:           4
        .value_kind:     by_value
      - .offset:         120
        .size:           4
        .value_kind:     by_value
      - .offset:         128
        .size:           4
        .value_kind:     hidden_block_count_x
      - .offset:         132
        .size:           4
        .value_kind:     hidden_block_count_y
      - .offset:         136
        .size:           4
        .value_kind:     hidden_block_count_z
      - .offset:         140
        .size:           2
        .value_kind:     hidden_group_size_x
      - .offset:         142
        .size:           2
        .value_kind:     hidden_group_size_y
      - .offset:         144
        .size:           2
        .value_kind:     hidden_group_size_z
      - .offset:         146
        .size:           2
        .value_kind:     hidden_remainder_x
      - .offset:         148
        .size:           2
        .value_kind:     hidden_remainder_y
      - .offset:         150
        .size:           2
        .value_kind:     hidden_remainder_z
      - .offset:         168
        .size:           8
        .value_kind:     hidden_global_offset_x
      - .offset:         176
        .size:           8
        .value_kind:     hidden_global_offset_y
      - .offset:         184
        .size:           8
        .value_kind:     hidden_global_offset_z
      - .offset:         192
        .size:           2
        .value_kind:     hidden_grid_dims
      - .offset:         248
        .size:           4
        .value_kind:     hidden_dynamic_lds_size
    .group_segment_fixed_size: 400
    .kernarg_segment_align: 8
    .kernarg_segment_size: 384
    .language:       OpenCL C
    .language_version:
      - 2
      - 0
    .max_flat_workgroup_size: 1024
    .name:           _ZN4vllm25paged_attention_v1_kernelI14__hip_bfloat16S1_Li192ELi16ELi128ELNS_18Fp8KVCacheDataTypeE0ELb0EEEvPT_PKS3_PKT0_S9_ifPKiSB_iPKfiiiSD_SD_iiiii
    .private_segment_fixed_size: 108
    .sgpr_count:     44
    .sgpr_spill_count: 0
    .symbol:         _ZN4vllm25paged_attention_v1_kernelI14__hip_bfloat16S1_Li192ELi16ELi128ELNS_18Fp8KVCacheDataTypeE0ELb0EEEvPT_PKS3_PKT0_S9_ifPKiSB_iPKfiiiSD_SD_iiiii.kd
    .uniform_work_group_size: 1
    .uses_dynamic_stack: false
    .vgpr_count:     64
    .vgpr_spill_count: 26
    .wavefront_size: 64
  - .args:
      - .actual_access:  write_only
        .address_space:  global
        .offset:         0
        .size:           8
        .value_kind:     global_buffer
      - .actual_access:  read_only
        .address_space:  global
        .offset:         8
        .size:           8
        .value_kind:     global_buffer
      - .actual_access:  read_only
        .address_space:  global
        .offset:         16
        .size:           8
        .value_kind:     global_buffer
      - .actual_access:  read_only
        .address_space:  global
        .offset:         24
        .size:           8
        .value_kind:     global_buffer
      - .offset:         32
        .size:           4
        .value_kind:     by_value
      - .offset:         36
        .size:           4
        .value_kind:     by_value
      - .actual_access:  read_only
        .address_space:  global
        .offset:         40
        .size:           8
        .value_kind:     global_buffer
      - .actual_access:  read_only
        .address_space:  global
        .offset:         48
        .size:           8
        .value_kind:     global_buffer
      - .offset:         56
        .size:           4
        .value_kind:     by_value
      - .actual_access:  read_only
        .address_space:  global
        .offset:         64
        .size:           8
        .value_kind:     global_buffer
      - .offset:         72
        .size:           4
        .value_kind:     by_value
      - .offset:         76
        .size:           4
        .value_kind:     by_value
      - .offset:         80
        .size:           4
        .value_kind:     by_value
      - .address_space:  global
        .offset:         88
        .size:           8
        .value_kind:     global_buffer
      - .address_space:  global
        .offset:         96
        .size:           8
        .value_kind:     global_buffer
      - .offset:         104
        .size:           4
        .value_kind:     by_value
      - .offset:         108
        .size:           4
        .value_kind:     by_value
      - .offset:         112
        .size:           4
        .value_kind:     by_value
      - .offset:         116
        .size:           4
        .value_kind:     by_value
      - .offset:         120
        .size:           4
        .value_kind:     by_value
      - .offset:         128
        .size:           4
        .value_kind:     hidden_block_count_x
      - .offset:         132
        .size:           4
        .value_kind:     hidden_block_count_y
      - .offset:         136
        .size:           4
        .value_kind:     hidden_block_count_z
      - .offset:         140
        .size:           2
        .value_kind:     hidden_group_size_x
      - .offset:         142
        .size:           2
        .value_kind:     hidden_group_size_y
      - .offset:         144
        .size:           2
        .value_kind:     hidden_group_size_z
      - .offset:         146
        .size:           2
        .value_kind:     hidden_remainder_x
      - .offset:         148
        .size:           2
        .value_kind:     hidden_remainder_y
      - .offset:         150
        .size:           2
        .value_kind:     hidden_remainder_z
      - .offset:         168
        .size:           8
        .value_kind:     hidden_global_offset_x
      - .offset:         176
        .size:           8
        .value_kind:     hidden_global_offset_y
      - .offset:         184
        .size:           8
        .value_kind:     hidden_global_offset_z
      - .offset:         192
        .size:           2
        .value_kind:     hidden_grid_dims
      - .offset:         248
        .size:           4
        .value_kind:     hidden_dynamic_lds_size
    .group_segment_fixed_size: 528
    .kernarg_segment_align: 8
    .kernarg_segment_size: 384
    .language:       OpenCL C
    .language_version:
      - 2
      - 0
    .max_flat_workgroup_size: 1024
    .name:           _ZN4vllm25paged_attention_v1_kernelI14__hip_bfloat16S1_Li256ELi16ELi128ELNS_18Fp8KVCacheDataTypeE0ELb0EEEvPT_PKS3_PKT0_S9_ifPKiSB_iPKfiiiSD_SD_iiiii
    .private_segment_fixed_size: 204
    .sgpr_count:     44
    .sgpr_spill_count: 0
    .symbol:         _ZN4vllm25paged_attention_v1_kernelI14__hip_bfloat16S1_Li256ELi16ELi128ELNS_18Fp8KVCacheDataTypeE0ELb0EEEvPT_PKS3_PKT0_S9_ifPKiSB_iPKfiiiSD_SD_iiiii.kd
    .uniform_work_group_size: 1
    .uses_dynamic_stack: false
    .vgpr_count:     64
    .vgpr_spill_count: 52
    .wavefront_size: 64
  - .args:
      - .actual_access:  write_only
        .address_space:  global
        .offset:         0
        .size:           8
        .value_kind:     global_buffer
      - .actual_access:  read_only
        .address_space:  global
        .offset:         8
        .size:           8
        .value_kind:     global_buffer
      - .actual_access:  read_only
        .address_space:  global
        .offset:         16
        .size:           8
        .value_kind:     global_buffer
      - .actual_access:  read_only
        .address_space:  global
        .offset:         24
        .size:           8
        .value_kind:     global_buffer
      - .offset:         32
        .size:           4
        .value_kind:     by_value
      - .offset:         36
        .size:           4
        .value_kind:     by_value
      - .actual_access:  read_only
        .address_space:  global
        .offset:         40
        .size:           8
        .value_kind:     global_buffer
      - .actual_access:  read_only
        .address_space:  global
        .offset:         48
        .size:           8
        .value_kind:     global_buffer
      - .offset:         56
        .size:           4
        .value_kind:     by_value
      - .actual_access:  read_only
        .address_space:  global
        .offset:         64
        .size:           8
        .value_kind:     global_buffer
      - .offset:         72
        .size:           4
        .value_kind:     by_value
      - .offset:         76
        .size:           4
        .value_kind:     by_value
      - .offset:         80
        .size:           4
        .value_kind:     by_value
      - .address_space:  global
        .offset:         88
        .size:           8
        .value_kind:     global_buffer
      - .address_space:  global
        .offset:         96
        .size:           8
        .value_kind:     global_buffer
      - .offset:         104
        .size:           4
        .value_kind:     by_value
      - .offset:         108
        .size:           4
        .value_kind:     by_value
      - .offset:         112
        .size:           4
        .value_kind:     by_value
      - .offset:         116
        .size:           4
        .value_kind:     by_value
      - .offset:         120
        .size:           4
        .value_kind:     by_value
      - .offset:         128
        .size:           4
        .value_kind:     hidden_block_count_x
      - .offset:         132
        .size:           4
        .value_kind:     hidden_block_count_y
      - .offset:         136
        .size:           4
        .value_kind:     hidden_block_count_z
      - .offset:         140
        .size:           2
        .value_kind:     hidden_group_size_x
      - .offset:         142
        .size:           2
        .value_kind:     hidden_group_size_y
      - .offset:         144
        .size:           2
        .value_kind:     hidden_group_size_z
      - .offset:         146
        .size:           2
        .value_kind:     hidden_remainder_x
      - .offset:         148
        .size:           2
        .value_kind:     hidden_remainder_y
      - .offset:         150
        .size:           2
        .value_kind:     hidden_remainder_z
      - .offset:         168
        .size:           8
        .value_kind:     hidden_global_offset_x
      - .offset:         176
        .size:           8
        .value_kind:     hidden_global_offset_y
      - .offset:         184
        .size:           8
        .value_kind:     hidden_global_offset_z
      - .offset:         192
        .size:           2
        .value_kind:     hidden_grid_dims
      - .offset:         248
        .size:           4
        .value_kind:     hidden_dynamic_lds_size
    .group_segment_fixed_size: 80
    .kernarg_segment_align: 8
    .kernarg_segment_size: 384
    .language:       OpenCL C
    .language_version:
      - 2
      - 0
    .max_flat_workgroup_size: 1024
    .name:           _ZN4vllm25paged_attention_v1_kernelI14__hip_bfloat16S1_Li32ELi32ELi128ELNS_18Fp8KVCacheDataTypeE0ELb1EEEvPT_PKS3_PKT0_S9_ifPKiSB_iPKfiiiSD_SD_iiiii
    .private_segment_fixed_size: 0
    .sgpr_count:     48
    .sgpr_spill_count: 0
    .symbol:         _ZN4vllm25paged_attention_v1_kernelI14__hip_bfloat16S1_Li32ELi32ELi128ELNS_18Fp8KVCacheDataTypeE0ELb1EEEvPT_PKS3_PKT0_S9_ifPKiSB_iPKfiiiSD_SD_iiiii.kd
    .uniform_work_group_size: 1
    .uses_dynamic_stack: false
    .vgpr_count:     55
    .vgpr_spill_count: 0
    .wavefront_size: 64
  - .args:
      - .actual_access:  write_only
        .address_space:  global
        .offset:         0
        .size:           8
        .value_kind:     global_buffer
      - .actual_access:  read_only
        .address_space:  global
        .offset:         8
        .size:           8
        .value_kind:     global_buffer
      - .actual_access:  read_only
        .address_space:  global
        .offset:         16
        .size:           8
        .value_kind:     global_buffer
      - .actual_access:  read_only
        .address_space:  global
        .offset:         24
        .size:           8
        .value_kind:     global_buffer
      - .offset:         32
        .size:           4
        .value_kind:     by_value
      - .offset:         36
        .size:           4
        .value_kind:     by_value
      - .actual_access:  read_only
        .address_space:  global
        .offset:         40
        .size:           8
        .value_kind:     global_buffer
      - .actual_access:  read_only
        .address_space:  global
        .offset:         48
        .size:           8
        .value_kind:     global_buffer
      - .offset:         56
        .size:           4
        .value_kind:     by_value
      - .actual_access:  read_only
        .address_space:  global
        .offset:         64
        .size:           8
        .value_kind:     global_buffer
      - .offset:         72
        .size:           4
        .value_kind:     by_value
      - .offset:         76
        .size:           4
        .value_kind:     by_value
      - .offset:         80
        .size:           4
        .value_kind:     by_value
      - .address_space:  global
        .offset:         88
        .size:           8
        .value_kind:     global_buffer
      - .address_space:  global
        .offset:         96
        .size:           8
        .value_kind:     global_buffer
      - .offset:         104
        .size:           4
        .value_kind:     by_value
      - .offset:         108
        .size:           4
        .value_kind:     by_value
      - .offset:         112
        .size:           4
        .value_kind:     by_value
      - .offset:         116
        .size:           4
        .value_kind:     by_value
      - .offset:         120
        .size:           4
        .value_kind:     by_value
      - .offset:         128
        .size:           4
        .value_kind:     hidden_block_count_x
      - .offset:         132
        .size:           4
        .value_kind:     hidden_block_count_y
      - .offset:         136
        .size:           4
        .value_kind:     hidden_block_count_z
      - .offset:         140
        .size:           2
        .value_kind:     hidden_group_size_x
      - .offset:         142
        .size:           2
        .value_kind:     hidden_group_size_y
      - .offset:         144
        .size:           2
        .value_kind:     hidden_group_size_z
      - .offset:         146
        .size:           2
        .value_kind:     hidden_remainder_x
      - .offset:         148
        .size:           2
        .value_kind:     hidden_remainder_y
      - .offset:         150
        .size:           2
        .value_kind:     hidden_remainder_z
      - .offset:         168
        .size:           8
        .value_kind:     hidden_global_offset_x
      - .offset:         176
        .size:           8
        .value_kind:     hidden_global_offset_y
      - .offset:         184
        .size:           8
        .value_kind:     hidden_global_offset_z
      - .offset:         192
        .size:           2
        .value_kind:     hidden_grid_dims
      - .offset:         248
        .size:           4
        .value_kind:     hidden_dynamic_lds_size
    .group_segment_fixed_size: 144
    .kernarg_segment_align: 8
    .kernarg_segment_size: 384
    .language:       OpenCL C
    .language_version:
      - 2
      - 0
    .max_flat_workgroup_size: 1024
    .name:           _ZN4vllm25paged_attention_v1_kernelI14__hip_bfloat16S1_Li64ELi32ELi128ELNS_18Fp8KVCacheDataTypeE0ELb1EEEvPT_PKS3_PKT0_S9_ifPKiSB_iPKfiiiSD_SD_iiiii
    .private_segment_fixed_size: 0
    .sgpr_count:     48
    .sgpr_spill_count: 0
    .symbol:         _ZN4vllm25paged_attention_v1_kernelI14__hip_bfloat16S1_Li64ELi32ELi128ELNS_18Fp8KVCacheDataTypeE0ELb1EEEvPT_PKS3_PKT0_S9_ifPKiSB_iPKfiiiSD_SD_iiiii.kd
    .uniform_work_group_size: 1
    .uses_dynamic_stack: false
    .vgpr_count:     64
    .vgpr_spill_count: 0
    .wavefront_size: 64
  - .args:
      - .actual_access:  write_only
        .address_space:  global
        .offset:         0
        .size:           8
        .value_kind:     global_buffer
      - .actual_access:  read_only
        .address_space:  global
        .offset:         8
        .size:           8
        .value_kind:     global_buffer
      - .actual_access:  read_only
        .address_space:  global
        .offset:         16
        .size:           8
        .value_kind:     global_buffer
      - .actual_access:  read_only
        .address_space:  global
        .offset:         24
        .size:           8
        .value_kind:     global_buffer
      - .offset:         32
        .size:           4
        .value_kind:     by_value
      - .offset:         36
        .size:           4
        .value_kind:     by_value
      - .actual_access:  read_only
        .address_space:  global
        .offset:         40
        .size:           8
        .value_kind:     global_buffer
      - .actual_access:  read_only
        .address_space:  global
        .offset:         48
        .size:           8
        .value_kind:     global_buffer
      - .offset:         56
        .size:           4
        .value_kind:     by_value
      - .actual_access:  read_only
        .address_space:  global
        .offset:         64
        .size:           8
        .value_kind:     global_buffer
      - .offset:         72
        .size:           4
        .value_kind:     by_value
      - .offset:         76
        .size:           4
        .value_kind:     by_value
      - .offset:         80
        .size:           4
        .value_kind:     by_value
      - .address_space:  global
        .offset:         88
        .size:           8
        .value_kind:     global_buffer
      - .address_space:  global
        .offset:         96
        .size:           8
        .value_kind:     global_buffer
      - .offset:         104
        .size:           4
        .value_kind:     by_value
      - .offset:         108
        .size:           4
        .value_kind:     by_value
      - .offset:         112
        .size:           4
        .value_kind:     by_value
      - .offset:         116
        .size:           4
        .value_kind:     by_value
      - .offset:         120
        .size:           4
        .value_kind:     by_value
      - .offset:         128
        .size:           4
        .value_kind:     hidden_block_count_x
      - .offset:         132
        .size:           4
        .value_kind:     hidden_block_count_y
      - .offset:         136
        .size:           4
        .value_kind:     hidden_block_count_z
      - .offset:         140
        .size:           2
        .value_kind:     hidden_group_size_x
      - .offset:         142
        .size:           2
        .value_kind:     hidden_group_size_y
      - .offset:         144
        .size:           2
        .value_kind:     hidden_group_size_z
      - .offset:         146
        .size:           2
        .value_kind:     hidden_remainder_x
      - .offset:         148
        .size:           2
        .value_kind:     hidden_remainder_y
      - .offset:         150
        .size:           2
        .value_kind:     hidden_remainder_z
      - .offset:         168
        .size:           8
        .value_kind:     hidden_global_offset_x
      - .offset:         176
        .size:           8
        .value_kind:     hidden_global_offset_y
      - .offset:         184
        .size:           8
        .value_kind:     hidden_global_offset_z
      - .offset:         192
        .size:           2
        .value_kind:     hidden_grid_dims
      - .offset:         248
        .size:           4
        .value_kind:     hidden_dynamic_lds_size
    .group_segment_fixed_size: 176
    .kernarg_segment_align: 8
    .kernarg_segment_size: 384
    .language:       OpenCL C
    .language_version:
      - 2
      - 0
    .max_flat_workgroup_size: 1024
    .name:           _ZN4vllm25paged_attention_v1_kernelI14__hip_bfloat16S1_Li80ELi32ELi128ELNS_18Fp8KVCacheDataTypeE0ELb1EEEvPT_PKS3_PKT0_S9_ifPKiSB_iPKfiiiSD_SD_iiiii
    .private_segment_fixed_size: 28
    .sgpr_count:     56
    .sgpr_spill_count: 0
    .symbol:         _ZN4vllm25paged_attention_v1_kernelI14__hip_bfloat16S1_Li80ELi32ELi128ELNS_18Fp8KVCacheDataTypeE0ELb1EEEvPT_PKS3_PKT0_S9_ifPKiSB_iPKfiiiSD_SD_iiiii.kd
    .uniform_work_group_size: 1
    .uses_dynamic_stack: false
    .vgpr_count:     64
    .vgpr_spill_count: 6
    .wavefront_size: 64
  - .args:
      - .actual_access:  write_only
        .address_space:  global
        .offset:         0
        .size:           8
        .value_kind:     global_buffer
      - .actual_access:  read_only
        .address_space:  global
        .offset:         8
        .size:           8
        .value_kind:     global_buffer
      - .actual_access:  read_only
        .address_space:  global
        .offset:         16
        .size:           8
        .value_kind:     global_buffer
      - .actual_access:  read_only
        .address_space:  global
        .offset:         24
        .size:           8
        .value_kind:     global_buffer
      - .offset:         32
        .size:           4
        .value_kind:     by_value
      - .offset:         36
        .size:           4
        .value_kind:     by_value
      - .actual_access:  read_only
        .address_space:  global
        .offset:         40
        .size:           8
        .value_kind:     global_buffer
      - .actual_access:  read_only
        .address_space:  global
        .offset:         48
        .size:           8
        .value_kind:     global_buffer
      - .offset:         56
        .size:           4
        .value_kind:     by_value
      - .actual_access:  read_only
        .address_space:  global
        .offset:         64
        .size:           8
        .value_kind:     global_buffer
      - .offset:         72
        .size:           4
        .value_kind:     by_value
      - .offset:         76
        .size:           4
        .value_kind:     by_value
      - .offset:         80
        .size:           4
        .value_kind:     by_value
      - .address_space:  global
        .offset:         88
        .size:           8
        .value_kind:     global_buffer
      - .address_space:  global
        .offset:         96
        .size:           8
        .value_kind:     global_buffer
      - .offset:         104
        .size:           4
        .value_kind:     by_value
      - .offset:         108
        .size:           4
        .value_kind:     by_value
      - .offset:         112
        .size:           4
        .value_kind:     by_value
      - .offset:         116
        .size:           4
        .value_kind:     by_value
      - .offset:         120
        .size:           4
        .value_kind:     by_value
      - .offset:         128
        .size:           4
        .value_kind:     hidden_block_count_x
      - .offset:         132
        .size:           4
        .value_kind:     hidden_block_count_y
      - .offset:         136
        .size:           4
        .value_kind:     hidden_block_count_z
      - .offset:         140
        .size:           2
        .value_kind:     hidden_group_size_x
      - .offset:         142
        .size:           2
        .value_kind:     hidden_group_size_y
      - .offset:         144
        .size:           2
        .value_kind:     hidden_group_size_z
      - .offset:         146
        .size:           2
        .value_kind:     hidden_remainder_x
      - .offset:         148
        .size:           2
        .value_kind:     hidden_remainder_y
      - .offset:         150
        .size:           2
        .value_kind:     hidden_remainder_z
      - .offset:         168
        .size:           8
        .value_kind:     hidden_global_offset_x
      - .offset:         176
        .size:           8
        .value_kind:     hidden_global_offset_y
      - .offset:         184
        .size:           8
        .value_kind:     hidden_global_offset_z
      - .offset:         192
        .size:           2
        .value_kind:     hidden_grid_dims
      - .offset:         248
        .size:           4
        .value_kind:     hidden_dynamic_lds_size
    .group_segment_fixed_size: 208
    .kernarg_segment_align: 8
    .kernarg_segment_size: 384
    .language:       OpenCL C
    .language_version:
      - 2
      - 0
    .max_flat_workgroup_size: 1024
    .name:           _ZN4vllm25paged_attention_v1_kernelI14__hip_bfloat16S1_Li96ELi32ELi128ELNS_18Fp8KVCacheDataTypeE0ELb1EEEvPT_PKS3_PKT0_S9_ifPKiSB_iPKfiiiSD_SD_iiiii
    .private_segment_fixed_size: 48
    .sgpr_count:     56
    .sgpr_spill_count: 0
    .symbol:         _ZN4vllm25paged_attention_v1_kernelI14__hip_bfloat16S1_Li96ELi32ELi128ELNS_18Fp8KVCacheDataTypeE0ELb1EEEvPT_PKS3_PKT0_S9_ifPKiSB_iPKfiiiSD_SD_iiiii.kd
    .uniform_work_group_size: 1
    .uses_dynamic_stack: false
    .vgpr_count:     64
    .vgpr_spill_count: 12
    .wavefront_size: 64
  - .args:
      - .actual_access:  write_only
        .address_space:  global
        .offset:         0
        .size:           8
        .value_kind:     global_buffer
      - .actual_access:  read_only
        .address_space:  global
        .offset:         8
        .size:           8
        .value_kind:     global_buffer
      - .actual_access:  read_only
        .address_space:  global
        .offset:         16
        .size:           8
        .value_kind:     global_buffer
      - .actual_access:  read_only
        .address_space:  global
        .offset:         24
        .size:           8
        .value_kind:     global_buffer
      - .offset:         32
        .size:           4
        .value_kind:     by_value
      - .offset:         36
        .size:           4
        .value_kind:     by_value
      - .actual_access:  read_only
        .address_space:  global
        .offset:         40
        .size:           8
        .value_kind:     global_buffer
      - .actual_access:  read_only
        .address_space:  global
        .offset:         48
        .size:           8
        .value_kind:     global_buffer
      - .offset:         56
        .size:           4
        .value_kind:     by_value
      - .actual_access:  read_only
        .address_space:  global
        .offset:         64
        .size:           8
        .value_kind:     global_buffer
      - .offset:         72
        .size:           4
        .value_kind:     by_value
      - .offset:         76
        .size:           4
        .value_kind:     by_value
      - .offset:         80
        .size:           4
        .value_kind:     by_value
      - .address_space:  global
        .offset:         88
        .size:           8
        .value_kind:     global_buffer
      - .address_space:  global
        .offset:         96
        .size:           8
        .value_kind:     global_buffer
      - .offset:         104
        .size:           4
        .value_kind:     by_value
      - .offset:         108
        .size:           4
        .value_kind:     by_value
      - .offset:         112
        .size:           4
        .value_kind:     by_value
      - .offset:         116
        .size:           4
        .value_kind:     by_value
      - .offset:         120
        .size:           4
        .value_kind:     by_value
      - .offset:         128
        .size:           4
        .value_kind:     hidden_block_count_x
      - .offset:         132
        .size:           4
        .value_kind:     hidden_block_count_y
      - .offset:         136
        .size:           4
        .value_kind:     hidden_block_count_z
      - .offset:         140
        .size:           2
        .value_kind:     hidden_group_size_x
      - .offset:         142
        .size:           2
        .value_kind:     hidden_group_size_y
      - .offset:         144
        .size:           2
        .value_kind:     hidden_group_size_z
      - .offset:         146
        .size:           2
        .value_kind:     hidden_remainder_x
      - .offset:         148
        .size:           2
        .value_kind:     hidden_remainder_y
      - .offset:         150
        .size:           2
        .value_kind:     hidden_remainder_z
      - .offset:         168
        .size:           8
        .value_kind:     hidden_global_offset_x
      - .offset:         176
        .size:           8
        .value_kind:     hidden_global_offset_y
      - .offset:         184
        .size:           8
        .value_kind:     hidden_global_offset_z
      - .offset:         192
        .size:           2
        .value_kind:     hidden_grid_dims
      - .offset:         248
        .size:           4
        .value_kind:     hidden_dynamic_lds_size
    .group_segment_fixed_size: 240
    .kernarg_segment_align: 8
    .kernarg_segment_size: 384
    .language:       OpenCL C
    .language_version:
      - 2
      - 0
    .max_flat_workgroup_size: 1024
    .name:           _ZN4vllm25paged_attention_v1_kernelI14__hip_bfloat16S1_Li112ELi32ELi128ELNS_18Fp8KVCacheDataTypeE0ELb1EEEvPT_PKS3_PKT0_S9_ifPKiSB_iPKfiiiSD_SD_iiiii
    .private_segment_fixed_size: 52
    .sgpr_count:     56
    .sgpr_spill_count: 0
    .symbol:         _ZN4vllm25paged_attention_v1_kernelI14__hip_bfloat16S1_Li112ELi32ELi128ELNS_18Fp8KVCacheDataTypeE0ELb1EEEvPT_PKS3_PKT0_S9_ifPKiSB_iPKfiiiSD_SD_iiiii.kd
    .uniform_work_group_size: 1
    .uses_dynamic_stack: false
    .vgpr_count:     64
    .vgpr_spill_count: 15
    .wavefront_size: 64
  - .args:
      - .actual_access:  write_only
        .address_space:  global
        .offset:         0
        .size:           8
        .value_kind:     global_buffer
      - .actual_access:  read_only
        .address_space:  global
        .offset:         8
        .size:           8
        .value_kind:     global_buffer
      - .actual_access:  read_only
        .address_space:  global
        .offset:         16
        .size:           8
        .value_kind:     global_buffer
      - .actual_access:  read_only
        .address_space:  global
        .offset:         24
        .size:           8
        .value_kind:     global_buffer
      - .offset:         32
        .size:           4
        .value_kind:     by_value
      - .offset:         36
        .size:           4
        .value_kind:     by_value
      - .actual_access:  read_only
        .address_space:  global
        .offset:         40
        .size:           8
        .value_kind:     global_buffer
      - .actual_access:  read_only
        .address_space:  global
        .offset:         48
        .size:           8
        .value_kind:     global_buffer
      - .offset:         56
        .size:           4
        .value_kind:     by_value
      - .actual_access:  read_only
        .address_space:  global
        .offset:         64
        .size:           8
        .value_kind:     global_buffer
      - .offset:         72
        .size:           4
        .value_kind:     by_value
      - .offset:         76
        .size:           4
        .value_kind:     by_value
      - .offset:         80
        .size:           4
        .value_kind:     by_value
      - .address_space:  global
        .offset:         88
        .size:           8
        .value_kind:     global_buffer
      - .address_space:  global
        .offset:         96
        .size:           8
        .value_kind:     global_buffer
      - .offset:         104
        .size:           4
        .value_kind:     by_value
      - .offset:         108
        .size:           4
        .value_kind:     by_value
      - .offset:         112
        .size:           4
        .value_kind:     by_value
      - .offset:         116
        .size:           4
        .value_kind:     by_value
      - .offset:         120
        .size:           4
        .value_kind:     by_value
      - .offset:         128
        .size:           4
        .value_kind:     hidden_block_count_x
      - .offset:         132
        .size:           4
        .value_kind:     hidden_block_count_y
      - .offset:         136
        .size:           4
        .value_kind:     hidden_block_count_z
      - .offset:         140
        .size:           2
        .value_kind:     hidden_group_size_x
      - .offset:         142
        .size:           2
        .value_kind:     hidden_group_size_y
      - .offset:         144
        .size:           2
        .value_kind:     hidden_group_size_z
      - .offset:         146
        .size:           2
        .value_kind:     hidden_remainder_x
      - .offset:         148
        .size:           2
        .value_kind:     hidden_remainder_y
      - .offset:         150
        .size:           2
        .value_kind:     hidden_remainder_z
      - .offset:         168
        .size:           8
        .value_kind:     hidden_global_offset_x
      - .offset:         176
        .size:           8
        .value_kind:     hidden_global_offset_y
      - .offset:         184
        .size:           8
        .value_kind:     hidden_global_offset_z
      - .offset:         192
        .size:           2
        .value_kind:     hidden_grid_dims
      - .offset:         248
        .size:           4
        .value_kind:     hidden_dynamic_lds_size
    .group_segment_fixed_size: 256
    .kernarg_segment_align: 8
    .kernarg_segment_size: 384
    .language:       OpenCL C
    .language_version:
      - 2
      - 0
    .max_flat_workgroup_size: 1024
    .name:           _ZN4vllm25paged_attention_v1_kernelI14__hip_bfloat16S1_Li120ELi32ELi128ELNS_18Fp8KVCacheDataTypeE0ELb1EEEvPT_PKS3_PKT0_S9_ifPKiSB_iPKfiiiSD_SD_iiiii
    .private_segment_fixed_size: 52
    .sgpr_count:     56
    .sgpr_spill_count: 0
    .symbol:         _ZN4vllm25paged_attention_v1_kernelI14__hip_bfloat16S1_Li120ELi32ELi128ELNS_18Fp8KVCacheDataTypeE0ELb1EEEvPT_PKS3_PKT0_S9_ifPKiSB_iPKfiiiSD_SD_iiiii.kd
    .uniform_work_group_size: 1
    .uses_dynamic_stack: false
    .vgpr_count:     64
    .vgpr_spill_count: 13
    .wavefront_size: 64
  - .args:
      - .actual_access:  write_only
        .address_space:  global
        .offset:         0
        .size:           8
        .value_kind:     global_buffer
      - .actual_access:  read_only
        .address_space:  global
        .offset:         8
        .size:           8
        .value_kind:     global_buffer
      - .actual_access:  read_only
        .address_space:  global
        .offset:         16
        .size:           8
        .value_kind:     global_buffer
      - .actual_access:  read_only
        .address_space:  global
        .offset:         24
        .size:           8
        .value_kind:     global_buffer
      - .offset:         32
        .size:           4
        .value_kind:     by_value
      - .offset:         36
        .size:           4
        .value_kind:     by_value
      - .actual_access:  read_only
        .address_space:  global
        .offset:         40
        .size:           8
        .value_kind:     global_buffer
      - .actual_access:  read_only
        .address_space:  global
        .offset:         48
        .size:           8
        .value_kind:     global_buffer
      - .offset:         56
        .size:           4
        .value_kind:     by_value
      - .actual_access:  read_only
        .address_space:  global
        .offset:         64
        .size:           8
        .value_kind:     global_buffer
      - .offset:         72
        .size:           4
        .value_kind:     by_value
      - .offset:         76
        .size:           4
        .value_kind:     by_value
      - .offset:         80
        .size:           4
        .value_kind:     by_value
      - .address_space:  global
        .offset:         88
        .size:           8
        .value_kind:     global_buffer
      - .address_space:  global
        .offset:         96
        .size:           8
        .value_kind:     global_buffer
      - .offset:         104
        .size:           4
        .value_kind:     by_value
      - .offset:         108
        .size:           4
        .value_kind:     by_value
      - .offset:         112
        .size:           4
        .value_kind:     by_value
      - .offset:         116
        .size:           4
        .value_kind:     by_value
      - .offset:         120
        .size:           4
        .value_kind:     by_value
      - .offset:         128
        .size:           4
        .value_kind:     hidden_block_count_x
      - .offset:         132
        .size:           4
        .value_kind:     hidden_block_count_y
      - .offset:         136
        .size:           4
        .value_kind:     hidden_block_count_z
      - .offset:         140
        .size:           2
        .value_kind:     hidden_group_size_x
      - .offset:         142
        .size:           2
        .value_kind:     hidden_group_size_y
      - .offset:         144
        .size:           2
        .value_kind:     hidden_group_size_z
      - .offset:         146
        .size:           2
        .value_kind:     hidden_remainder_x
      - .offset:         148
        .size:           2
        .value_kind:     hidden_remainder_y
      - .offset:         150
        .size:           2
        .value_kind:     hidden_remainder_z
      - .offset:         168
        .size:           8
        .value_kind:     hidden_global_offset_x
      - .offset:         176
        .size:           8
        .value_kind:     hidden_global_offset_y
      - .offset:         184
        .size:           8
        .value_kind:     hidden_global_offset_z
      - .offset:         192
        .size:           2
        .value_kind:     hidden_grid_dims
      - .offset:         248
        .size:           4
        .value_kind:     hidden_dynamic_lds_size
    .group_segment_fixed_size: 272
    .kernarg_segment_align: 8
    .kernarg_segment_size: 384
    .language:       OpenCL C
    .language_version:
      - 2
      - 0
    .max_flat_workgroup_size: 1024
    .name:           _ZN4vllm25paged_attention_v1_kernelI14__hip_bfloat16S1_Li128ELi32ELi128ELNS_18Fp8KVCacheDataTypeE0ELb1EEEvPT_PKS3_PKT0_S9_ifPKiSB_iPKfiiiSD_SD_iiiii
    .private_segment_fixed_size: 84
    .sgpr_count:     56
    .sgpr_spill_count: 0
    .symbol:         _ZN4vllm25paged_attention_v1_kernelI14__hip_bfloat16S1_Li128ELi32ELi128ELNS_18Fp8KVCacheDataTypeE0ELb1EEEvPT_PKS3_PKT0_S9_ifPKiSB_iPKfiiiSD_SD_iiiii.kd
    .uniform_work_group_size: 1
    .uses_dynamic_stack: false
    .vgpr_count:     64
    .vgpr_spill_count: 28
    .wavefront_size: 64
  - .args:
      - .actual_access:  write_only
        .address_space:  global
        .offset:         0
        .size:           8
        .value_kind:     global_buffer
      - .actual_access:  read_only
        .address_space:  global
        .offset:         8
        .size:           8
        .value_kind:     global_buffer
      - .actual_access:  read_only
        .address_space:  global
        .offset:         16
        .size:           8
        .value_kind:     global_buffer
      - .actual_access:  read_only
        .address_space:  global
        .offset:         24
        .size:           8
        .value_kind:     global_buffer
      - .offset:         32
        .size:           4
        .value_kind:     by_value
      - .offset:         36
        .size:           4
        .value_kind:     by_value
      - .actual_access:  read_only
        .address_space:  global
        .offset:         40
        .size:           8
        .value_kind:     global_buffer
      - .actual_access:  read_only
        .address_space:  global
        .offset:         48
        .size:           8
        .value_kind:     global_buffer
      - .offset:         56
        .size:           4
        .value_kind:     by_value
      - .actual_access:  read_only
        .address_space:  global
        .offset:         64
        .size:           8
        .value_kind:     global_buffer
      - .offset:         72
        .size:           4
        .value_kind:     by_value
      - .offset:         76
        .size:           4
        .value_kind:     by_value
      - .offset:         80
        .size:           4
        .value_kind:     by_value
      - .address_space:  global
        .offset:         88
        .size:           8
        .value_kind:     global_buffer
      - .address_space:  global
        .offset:         96
        .size:           8
        .value_kind:     global_buffer
      - .offset:         104
        .size:           4
        .value_kind:     by_value
      - .offset:         108
        .size:           4
        .value_kind:     by_value
      - .offset:         112
        .size:           4
        .value_kind:     by_value
      - .offset:         116
        .size:           4
        .value_kind:     by_value
      - .offset:         120
        .size:           4
        .value_kind:     by_value
      - .offset:         128
        .size:           4
        .value_kind:     hidden_block_count_x
      - .offset:         132
        .size:           4
        .value_kind:     hidden_block_count_y
      - .offset:         136
        .size:           4
        .value_kind:     hidden_block_count_z
      - .offset:         140
        .size:           2
        .value_kind:     hidden_group_size_x
      - .offset:         142
        .size:           2
        .value_kind:     hidden_group_size_y
      - .offset:         144
        .size:           2
        .value_kind:     hidden_group_size_z
      - .offset:         146
        .size:           2
        .value_kind:     hidden_remainder_x
      - .offset:         148
        .size:           2
        .value_kind:     hidden_remainder_y
      - .offset:         150
        .size:           2
        .value_kind:     hidden_remainder_z
      - .offset:         168
        .size:           8
        .value_kind:     hidden_global_offset_x
      - .offset:         176
        .size:           8
        .value_kind:     hidden_global_offset_y
      - .offset:         184
        .size:           8
        .value_kind:     hidden_global_offset_z
      - .offset:         192
        .size:           2
        .value_kind:     hidden_grid_dims
      - .offset:         248
        .size:           4
        .value_kind:     hidden_dynamic_lds_size
    .group_segment_fixed_size: 400
    .kernarg_segment_align: 8
    .kernarg_segment_size: 384
    .language:       OpenCL C
    .language_version:
      - 2
      - 0
    .max_flat_workgroup_size: 1024
    .name:           _ZN4vllm25paged_attention_v1_kernelI14__hip_bfloat16S1_Li192ELi32ELi128ELNS_18Fp8KVCacheDataTypeE0ELb1EEEvPT_PKS3_PKT0_S9_ifPKiSB_iPKfiiiSD_SD_iiiii
    .private_segment_fixed_size: 220
    .sgpr_count:     56
    .sgpr_spill_count: 0
    .symbol:         _ZN4vllm25paged_attention_v1_kernelI14__hip_bfloat16S1_Li192ELi32ELi128ELNS_18Fp8KVCacheDataTypeE0ELb1EEEvPT_PKS3_PKT0_S9_ifPKiSB_iPKfiiiSD_SD_iiiii.kd
    .uniform_work_group_size: 1
    .uses_dynamic_stack: false
    .vgpr_count:     64
    .vgpr_spill_count: 84
    .wavefront_size: 64
  - .args:
      - .actual_access:  write_only
        .address_space:  global
        .offset:         0
        .size:           8
        .value_kind:     global_buffer
      - .actual_access:  read_only
        .address_space:  global
        .offset:         8
        .size:           8
        .value_kind:     global_buffer
      - .actual_access:  read_only
        .address_space:  global
        .offset:         16
        .size:           8
        .value_kind:     global_buffer
      - .actual_access:  read_only
        .address_space:  global
        .offset:         24
        .size:           8
        .value_kind:     global_buffer
      - .offset:         32
        .size:           4
        .value_kind:     by_value
      - .offset:         36
        .size:           4
        .value_kind:     by_value
      - .actual_access:  read_only
        .address_space:  global
        .offset:         40
        .size:           8
        .value_kind:     global_buffer
      - .actual_access:  read_only
        .address_space:  global
        .offset:         48
        .size:           8
        .value_kind:     global_buffer
      - .offset:         56
        .size:           4
        .value_kind:     by_value
      - .actual_access:  read_only
        .address_space:  global
        .offset:         64
        .size:           8
        .value_kind:     global_buffer
      - .offset:         72
        .size:           4
        .value_kind:     by_value
      - .offset:         76
        .size:           4
        .value_kind:     by_value
      - .offset:         80
        .size:           4
        .value_kind:     by_value
      - .address_space:  global
        .offset:         88
        .size:           8
        .value_kind:     global_buffer
      - .address_space:  global
        .offset:         96
        .size:           8
        .value_kind:     global_buffer
      - .offset:         104
        .size:           4
        .value_kind:     by_value
      - .offset:         108
        .size:           4
        .value_kind:     by_value
      - .offset:         112
        .size:           4
        .value_kind:     by_value
      - .offset:         116
        .size:           4
        .value_kind:     by_value
      - .offset:         120
        .size:           4
        .value_kind:     by_value
      - .offset:         128
        .size:           4
        .value_kind:     hidden_block_count_x
      - .offset:         132
        .size:           4
        .value_kind:     hidden_block_count_y
      - .offset:         136
        .size:           4
        .value_kind:     hidden_block_count_z
      - .offset:         140
        .size:           2
        .value_kind:     hidden_group_size_x
      - .offset:         142
        .size:           2
        .value_kind:     hidden_group_size_y
      - .offset:         144
        .size:           2
        .value_kind:     hidden_group_size_z
      - .offset:         146
        .size:           2
        .value_kind:     hidden_remainder_x
      - .offset:         148
        .size:           2
        .value_kind:     hidden_remainder_y
      - .offset:         150
        .size:           2
        .value_kind:     hidden_remainder_z
      - .offset:         168
        .size:           8
        .value_kind:     hidden_global_offset_x
      - .offset:         176
        .size:           8
        .value_kind:     hidden_global_offset_y
      - .offset:         184
        .size:           8
        .value_kind:     hidden_global_offset_z
      - .offset:         192
        .size:           2
        .value_kind:     hidden_grid_dims
      - .offset:         248
        .size:           4
        .value_kind:     hidden_dynamic_lds_size
    .group_segment_fixed_size: 528
    .kernarg_segment_align: 8
    .kernarg_segment_size: 384
    .language:       OpenCL C
    .language_version:
      - 2
      - 0
    .max_flat_workgroup_size: 1024
    .name:           _ZN4vllm25paged_attention_v1_kernelI14__hip_bfloat16S1_Li256ELi32ELi128ELNS_18Fp8KVCacheDataTypeE0ELb1EEEvPT_PKS3_PKT0_S9_ifPKiSB_iPKfiiiSD_SD_iiiii
    .private_segment_fixed_size: 212
    .sgpr_count:     60
    .sgpr_spill_count: 0
    .symbol:         _ZN4vllm25paged_attention_v1_kernelI14__hip_bfloat16S1_Li256ELi32ELi128ELNS_18Fp8KVCacheDataTypeE0ELb1EEEvPT_PKS3_PKT0_S9_ifPKiSB_iPKfiiiSD_SD_iiiii.kd
    .uniform_work_group_size: 1
    .uses_dynamic_stack: false
    .vgpr_count:     64
    .vgpr_spill_count: 95
    .wavefront_size: 64
  - .args:
      - .actual_access:  write_only
        .address_space:  global
        .offset:         0
        .size:           8
        .value_kind:     global_buffer
      - .actual_access:  read_only
        .address_space:  global
        .offset:         8
        .size:           8
        .value_kind:     global_buffer
      - .actual_access:  read_only
        .address_space:  global
        .offset:         16
        .size:           8
        .value_kind:     global_buffer
      - .actual_access:  read_only
        .address_space:  global
        .offset:         24
        .size:           8
        .value_kind:     global_buffer
      - .offset:         32
        .size:           4
        .value_kind:     by_value
      - .offset:         36
        .size:           4
        .value_kind:     by_value
      - .actual_access:  read_only
        .address_space:  global
        .offset:         40
        .size:           8
        .value_kind:     global_buffer
      - .actual_access:  read_only
        .address_space:  global
        .offset:         48
        .size:           8
        .value_kind:     global_buffer
      - .offset:         56
        .size:           4
        .value_kind:     by_value
      - .actual_access:  read_only
        .address_space:  global
        .offset:         64
        .size:           8
        .value_kind:     global_buffer
      - .offset:         72
        .size:           4
        .value_kind:     by_value
      - .offset:         76
        .size:           4
        .value_kind:     by_value
      - .offset:         80
        .size:           4
        .value_kind:     by_value
      - .address_space:  global
        .offset:         88
        .size:           8
        .value_kind:     global_buffer
      - .address_space:  global
        .offset:         96
        .size:           8
        .value_kind:     global_buffer
      - .offset:         104
        .size:           4
        .value_kind:     by_value
      - .offset:         108
        .size:           4
        .value_kind:     by_value
      - .offset:         112
        .size:           4
        .value_kind:     by_value
      - .offset:         116
        .size:           4
        .value_kind:     by_value
      - .offset:         120
        .size:           4
        .value_kind:     by_value
      - .offset:         128
        .size:           4
        .value_kind:     hidden_block_count_x
      - .offset:         132
        .size:           4
        .value_kind:     hidden_block_count_y
      - .offset:         136
        .size:           4
        .value_kind:     hidden_block_count_z
      - .offset:         140
        .size:           2
        .value_kind:     hidden_group_size_x
      - .offset:         142
        .size:           2
        .value_kind:     hidden_group_size_y
      - .offset:         144
        .size:           2
        .value_kind:     hidden_group_size_z
      - .offset:         146
        .size:           2
        .value_kind:     hidden_remainder_x
      - .offset:         148
        .size:           2
        .value_kind:     hidden_remainder_y
      - .offset:         150
        .size:           2
        .value_kind:     hidden_remainder_z
      - .offset:         168
        .size:           8
        .value_kind:     hidden_global_offset_x
      - .offset:         176
        .size:           8
        .value_kind:     hidden_global_offset_y
      - .offset:         184
        .size:           8
        .value_kind:     hidden_global_offset_z
      - .offset:         192
        .size:           2
        .value_kind:     hidden_grid_dims
      - .offset:         248
        .size:           4
        .value_kind:     hidden_dynamic_lds_size
    .group_segment_fixed_size: 80
    .kernarg_segment_align: 8
    .kernarg_segment_size: 384
    .language:       OpenCL C
    .language_version:
      - 2
      - 0
    .max_flat_workgroup_size: 1024
    .name:           _ZN4vllm25paged_attention_v1_kernelI14__hip_bfloat16S1_Li32ELi32ELi128ELNS_18Fp8KVCacheDataTypeE0ELb0EEEvPT_PKS3_PKT0_S9_ifPKiSB_iPKfiiiSD_SD_iiiii
    .private_segment_fixed_size: 0
    .sgpr_count:     38
    .sgpr_spill_count: 0
    .symbol:         _ZN4vllm25paged_attention_v1_kernelI14__hip_bfloat16S1_Li32ELi32ELi128ELNS_18Fp8KVCacheDataTypeE0ELb0EEEvPT_PKS3_PKT0_S9_ifPKiSB_iPKfiiiSD_SD_iiiii.kd
    .uniform_work_group_size: 1
    .uses_dynamic_stack: false
    .vgpr_count:     48
    .vgpr_spill_count: 0
    .wavefront_size: 64
  - .args:
      - .actual_access:  write_only
        .address_space:  global
        .offset:         0
        .size:           8
        .value_kind:     global_buffer
      - .actual_access:  read_only
        .address_space:  global
        .offset:         8
        .size:           8
        .value_kind:     global_buffer
      - .actual_access:  read_only
        .address_space:  global
        .offset:         16
        .size:           8
        .value_kind:     global_buffer
      - .actual_access:  read_only
        .address_space:  global
        .offset:         24
        .size:           8
        .value_kind:     global_buffer
      - .offset:         32
        .size:           4
        .value_kind:     by_value
      - .offset:         36
        .size:           4
        .value_kind:     by_value
      - .actual_access:  read_only
        .address_space:  global
        .offset:         40
        .size:           8
        .value_kind:     global_buffer
      - .actual_access:  read_only
        .address_space:  global
        .offset:         48
        .size:           8
        .value_kind:     global_buffer
      - .offset:         56
        .size:           4
        .value_kind:     by_value
      - .actual_access:  read_only
        .address_space:  global
        .offset:         64
        .size:           8
        .value_kind:     global_buffer
      - .offset:         72
        .size:           4
        .value_kind:     by_value
      - .offset:         76
        .size:           4
        .value_kind:     by_value
      - .offset:         80
        .size:           4
        .value_kind:     by_value
      - .address_space:  global
        .offset:         88
        .size:           8
        .value_kind:     global_buffer
      - .address_space:  global
        .offset:         96
        .size:           8
        .value_kind:     global_buffer
      - .offset:         104
        .size:           4
        .value_kind:     by_value
      - .offset:         108
        .size:           4
        .value_kind:     by_value
      - .offset:         112
        .size:           4
        .value_kind:     by_value
      - .offset:         116
        .size:           4
        .value_kind:     by_value
      - .offset:         120
        .size:           4
        .value_kind:     by_value
      - .offset:         128
        .size:           4
        .value_kind:     hidden_block_count_x
      - .offset:         132
        .size:           4
        .value_kind:     hidden_block_count_y
      - .offset:         136
        .size:           4
        .value_kind:     hidden_block_count_z
      - .offset:         140
        .size:           2
        .value_kind:     hidden_group_size_x
      - .offset:         142
        .size:           2
        .value_kind:     hidden_group_size_y
      - .offset:         144
        .size:           2
        .value_kind:     hidden_group_size_z
      - .offset:         146
        .size:           2
        .value_kind:     hidden_remainder_x
      - .offset:         148
        .size:           2
        .value_kind:     hidden_remainder_y
      - .offset:         150
        .size:           2
        .value_kind:     hidden_remainder_z
      - .offset:         168
        .size:           8
        .value_kind:     hidden_global_offset_x
      - .offset:         176
        .size:           8
        .value_kind:     hidden_global_offset_y
      - .offset:         184
        .size:           8
        .value_kind:     hidden_global_offset_z
      - .offset:         192
        .size:           2
        .value_kind:     hidden_grid_dims
      - .offset:         248
        .size:           4
        .value_kind:     hidden_dynamic_lds_size
    .group_segment_fixed_size: 144
    .kernarg_segment_align: 8
    .kernarg_segment_size: 384
    .language:       OpenCL C
    .language_version:
      - 2
      - 0
    .max_flat_workgroup_size: 1024
    .name:           _ZN4vllm25paged_attention_v1_kernelI14__hip_bfloat16S1_Li64ELi32ELi128ELNS_18Fp8KVCacheDataTypeE0ELb0EEEvPT_PKS3_PKT0_S9_ifPKiSB_iPKfiiiSD_SD_iiiii
    .private_segment_fixed_size: 16
    .sgpr_count:     44
    .sgpr_spill_count: 0
    .symbol:         _ZN4vllm25paged_attention_v1_kernelI14__hip_bfloat16S1_Li64ELi32ELi128ELNS_18Fp8KVCacheDataTypeE0ELb0EEEvPT_PKS3_PKT0_S9_ifPKiSB_iPKfiiiSD_SD_iiiii.kd
    .uniform_work_group_size: 1
    .uses_dynamic_stack: false
    .vgpr_count:     64
    .vgpr_spill_count: 3
    .wavefront_size: 64
  - .args:
      - .actual_access:  write_only
        .address_space:  global
        .offset:         0
        .size:           8
        .value_kind:     global_buffer
      - .actual_access:  read_only
        .address_space:  global
        .offset:         8
        .size:           8
        .value_kind:     global_buffer
      - .actual_access:  read_only
        .address_space:  global
        .offset:         16
        .size:           8
        .value_kind:     global_buffer
      - .actual_access:  read_only
        .address_space:  global
        .offset:         24
        .size:           8
        .value_kind:     global_buffer
      - .offset:         32
        .size:           4
        .value_kind:     by_value
      - .offset:         36
        .size:           4
        .value_kind:     by_value
      - .actual_access:  read_only
        .address_space:  global
        .offset:         40
        .size:           8
        .value_kind:     global_buffer
      - .actual_access:  read_only
        .address_space:  global
        .offset:         48
        .size:           8
        .value_kind:     global_buffer
      - .offset:         56
        .size:           4
        .value_kind:     by_value
      - .actual_access:  read_only
        .address_space:  global
        .offset:         64
        .size:           8
        .value_kind:     global_buffer
      - .offset:         72
        .size:           4
        .value_kind:     by_value
      - .offset:         76
        .size:           4
        .value_kind:     by_value
      - .offset:         80
        .size:           4
        .value_kind:     by_value
      - .address_space:  global
        .offset:         88
        .size:           8
        .value_kind:     global_buffer
      - .address_space:  global
        .offset:         96
        .size:           8
        .value_kind:     global_buffer
      - .offset:         104
        .size:           4
        .value_kind:     by_value
      - .offset:         108
        .size:           4
        .value_kind:     by_value
      - .offset:         112
        .size:           4
        .value_kind:     by_value
      - .offset:         116
        .size:           4
        .value_kind:     by_value
      - .offset:         120
        .size:           4
        .value_kind:     by_value
      - .offset:         128
        .size:           4
        .value_kind:     hidden_block_count_x
      - .offset:         132
        .size:           4
        .value_kind:     hidden_block_count_y
      - .offset:         136
        .size:           4
        .value_kind:     hidden_block_count_z
      - .offset:         140
        .size:           2
        .value_kind:     hidden_group_size_x
      - .offset:         142
        .size:           2
        .value_kind:     hidden_group_size_y
      - .offset:         144
        .size:           2
        .value_kind:     hidden_group_size_z
      - .offset:         146
        .size:           2
        .value_kind:     hidden_remainder_x
      - .offset:         148
        .size:           2
        .value_kind:     hidden_remainder_y
      - .offset:         150
        .size:           2
        .value_kind:     hidden_remainder_z
      - .offset:         168
        .size:           8
        .value_kind:     hidden_global_offset_x
      - .offset:         176
        .size:           8
        .value_kind:     hidden_global_offset_y
      - .offset:         184
        .size:           8
        .value_kind:     hidden_global_offset_z
      - .offset:         192
        .size:           2
        .value_kind:     hidden_grid_dims
      - .offset:         248
        .size:           4
        .value_kind:     hidden_dynamic_lds_size
    .group_segment_fixed_size: 176
    .kernarg_segment_align: 8
    .kernarg_segment_size: 384
    .language:       OpenCL C
    .language_version:
      - 2
      - 0
    .max_flat_workgroup_size: 1024
    .name:           _ZN4vllm25paged_attention_v1_kernelI14__hip_bfloat16S1_Li80ELi32ELi128ELNS_18Fp8KVCacheDataTypeE0ELb0EEEvPT_PKS3_PKT0_S9_ifPKiSB_iPKfiiiSD_SD_iiiii
    .private_segment_fixed_size: 68
    .sgpr_count:     44
    .sgpr_spill_count: 0
    .symbol:         _ZN4vllm25paged_attention_v1_kernelI14__hip_bfloat16S1_Li80ELi32ELi128ELNS_18Fp8KVCacheDataTypeE0ELb0EEEvPT_PKS3_PKT0_S9_ifPKiSB_iPKfiiiSD_SD_iiiii.kd
    .uniform_work_group_size: 1
    .uses_dynamic_stack: false
    .vgpr_count:     64
    .vgpr_spill_count: 16
    .wavefront_size: 64
  - .args:
      - .actual_access:  write_only
        .address_space:  global
        .offset:         0
        .size:           8
        .value_kind:     global_buffer
      - .actual_access:  read_only
        .address_space:  global
        .offset:         8
        .size:           8
        .value_kind:     global_buffer
      - .actual_access:  read_only
        .address_space:  global
        .offset:         16
        .size:           8
        .value_kind:     global_buffer
      - .actual_access:  read_only
        .address_space:  global
        .offset:         24
        .size:           8
        .value_kind:     global_buffer
      - .offset:         32
        .size:           4
        .value_kind:     by_value
      - .offset:         36
        .size:           4
        .value_kind:     by_value
      - .actual_access:  read_only
        .address_space:  global
        .offset:         40
        .size:           8
        .value_kind:     global_buffer
      - .actual_access:  read_only
        .address_space:  global
        .offset:         48
        .size:           8
        .value_kind:     global_buffer
      - .offset:         56
        .size:           4
        .value_kind:     by_value
      - .actual_access:  read_only
        .address_space:  global
        .offset:         64
        .size:           8
        .value_kind:     global_buffer
      - .offset:         72
        .size:           4
        .value_kind:     by_value
      - .offset:         76
        .size:           4
        .value_kind:     by_value
      - .offset:         80
        .size:           4
        .value_kind:     by_value
      - .address_space:  global
        .offset:         88
        .size:           8
        .value_kind:     global_buffer
      - .address_space:  global
        .offset:         96
        .size:           8
        .value_kind:     global_buffer
      - .offset:         104
        .size:           4
        .value_kind:     by_value
      - .offset:         108
        .size:           4
        .value_kind:     by_value
      - .offset:         112
        .size:           4
        .value_kind:     by_value
      - .offset:         116
        .size:           4
        .value_kind:     by_value
      - .offset:         120
        .size:           4
        .value_kind:     by_value
      - .offset:         128
        .size:           4
        .value_kind:     hidden_block_count_x
      - .offset:         132
        .size:           4
        .value_kind:     hidden_block_count_y
      - .offset:         136
        .size:           4
        .value_kind:     hidden_block_count_z
      - .offset:         140
        .size:           2
        .value_kind:     hidden_group_size_x
      - .offset:         142
        .size:           2
        .value_kind:     hidden_group_size_y
      - .offset:         144
        .size:           2
        .value_kind:     hidden_group_size_z
      - .offset:         146
        .size:           2
        .value_kind:     hidden_remainder_x
      - .offset:         148
        .size:           2
        .value_kind:     hidden_remainder_y
      - .offset:         150
        .size:           2
        .value_kind:     hidden_remainder_z
      - .offset:         168
        .size:           8
        .value_kind:     hidden_global_offset_x
      - .offset:         176
        .size:           8
        .value_kind:     hidden_global_offset_y
      - .offset:         184
        .size:           8
        .value_kind:     hidden_global_offset_z
      - .offset:         192
        .size:           2
        .value_kind:     hidden_grid_dims
      - .offset:         248
        .size:           4
        .value_kind:     hidden_dynamic_lds_size
    .group_segment_fixed_size: 208
    .kernarg_segment_align: 8
    .kernarg_segment_size: 384
    .language:       OpenCL C
    .language_version:
      - 2
      - 0
    .max_flat_workgroup_size: 1024
    .name:           _ZN4vllm25paged_attention_v1_kernelI14__hip_bfloat16S1_Li96ELi32ELi128ELNS_18Fp8KVCacheDataTypeE0ELb0EEEvPT_PKS3_PKT0_S9_ifPKiSB_iPKfiiiSD_SD_iiiii
    .private_segment_fixed_size: 116
    .sgpr_count:     44
    .sgpr_spill_count: 0
    .symbol:         _ZN4vllm25paged_attention_v1_kernelI14__hip_bfloat16S1_Li96ELi32ELi128ELNS_18Fp8KVCacheDataTypeE0ELb0EEEvPT_PKS3_PKT0_S9_ifPKiSB_iPKfiiiSD_SD_iiiii.kd
    .uniform_work_group_size: 1
    .uses_dynamic_stack: false
    .vgpr_count:     64
    .vgpr_spill_count: 28
    .wavefront_size: 64
  - .args:
      - .actual_access:  write_only
        .address_space:  global
        .offset:         0
        .size:           8
        .value_kind:     global_buffer
      - .actual_access:  read_only
        .address_space:  global
        .offset:         8
        .size:           8
        .value_kind:     global_buffer
      - .actual_access:  read_only
        .address_space:  global
        .offset:         16
        .size:           8
        .value_kind:     global_buffer
      - .actual_access:  read_only
        .address_space:  global
        .offset:         24
        .size:           8
        .value_kind:     global_buffer
      - .offset:         32
        .size:           4
        .value_kind:     by_value
      - .offset:         36
        .size:           4
        .value_kind:     by_value
      - .actual_access:  read_only
        .address_space:  global
        .offset:         40
        .size:           8
        .value_kind:     global_buffer
      - .actual_access:  read_only
        .address_space:  global
        .offset:         48
        .size:           8
        .value_kind:     global_buffer
      - .offset:         56
        .size:           4
        .value_kind:     by_value
      - .actual_access:  read_only
        .address_space:  global
        .offset:         64
        .size:           8
        .value_kind:     global_buffer
      - .offset:         72
        .size:           4
        .value_kind:     by_value
      - .offset:         76
        .size:           4
        .value_kind:     by_value
      - .offset:         80
        .size:           4
        .value_kind:     by_value
      - .address_space:  global
        .offset:         88
        .size:           8
        .value_kind:     global_buffer
      - .address_space:  global
        .offset:         96
        .size:           8
        .value_kind:     global_buffer
      - .offset:         104
        .size:           4
        .value_kind:     by_value
      - .offset:         108
        .size:           4
        .value_kind:     by_value
      - .offset:         112
        .size:           4
        .value_kind:     by_value
      - .offset:         116
        .size:           4
        .value_kind:     by_value
      - .offset:         120
        .size:           4
        .value_kind:     by_value
      - .offset:         128
        .size:           4
        .value_kind:     hidden_block_count_x
      - .offset:         132
        .size:           4
        .value_kind:     hidden_block_count_y
      - .offset:         136
        .size:           4
        .value_kind:     hidden_block_count_z
      - .offset:         140
        .size:           2
        .value_kind:     hidden_group_size_x
      - .offset:         142
        .size:           2
        .value_kind:     hidden_group_size_y
      - .offset:         144
        .size:           2
        .value_kind:     hidden_group_size_z
      - .offset:         146
        .size:           2
        .value_kind:     hidden_remainder_x
      - .offset:         148
        .size:           2
        .value_kind:     hidden_remainder_y
      - .offset:         150
        .size:           2
        .value_kind:     hidden_remainder_z
      - .offset:         168
        .size:           8
        .value_kind:     hidden_global_offset_x
      - .offset:         176
        .size:           8
        .value_kind:     hidden_global_offset_y
      - .offset:         184
        .size:           8
        .value_kind:     hidden_global_offset_z
      - .offset:         192
        .size:           2
        .value_kind:     hidden_grid_dims
      - .offset:         248
        .size:           4
        .value_kind:     hidden_dynamic_lds_size
    .group_segment_fixed_size: 240
    .kernarg_segment_align: 8
    .kernarg_segment_size: 384
    .language:       OpenCL C
    .language_version:
      - 2
      - 0
    .max_flat_workgroup_size: 1024
    .name:           _ZN4vllm25paged_attention_v1_kernelI14__hip_bfloat16S1_Li112ELi32ELi128ELNS_18Fp8KVCacheDataTypeE0ELb0EEEvPT_PKS3_PKT0_S9_ifPKiSB_iPKfiiiSD_SD_iiiii
    .private_segment_fixed_size: 164
    .sgpr_count:     44
    .sgpr_spill_count: 0
    .symbol:         _ZN4vllm25paged_attention_v1_kernelI14__hip_bfloat16S1_Li112ELi32ELi128ELNS_18Fp8KVCacheDataTypeE0ELb0EEEvPT_PKS3_PKT0_S9_ifPKiSB_iPKfiiiSD_SD_iiiii.kd
    .uniform_work_group_size: 1
    .uses_dynamic_stack: false
    .vgpr_count:     64
    .vgpr_spill_count: 40
    .wavefront_size: 64
  - .args:
      - .actual_access:  write_only
        .address_space:  global
        .offset:         0
        .size:           8
        .value_kind:     global_buffer
      - .actual_access:  read_only
        .address_space:  global
        .offset:         8
        .size:           8
        .value_kind:     global_buffer
      - .actual_access:  read_only
        .address_space:  global
        .offset:         16
        .size:           8
        .value_kind:     global_buffer
      - .actual_access:  read_only
        .address_space:  global
        .offset:         24
        .size:           8
        .value_kind:     global_buffer
      - .offset:         32
        .size:           4
        .value_kind:     by_value
      - .offset:         36
        .size:           4
        .value_kind:     by_value
      - .actual_access:  read_only
        .address_space:  global
        .offset:         40
        .size:           8
        .value_kind:     global_buffer
      - .actual_access:  read_only
        .address_space:  global
        .offset:         48
        .size:           8
        .value_kind:     global_buffer
      - .offset:         56
        .size:           4
        .value_kind:     by_value
      - .actual_access:  read_only
        .address_space:  global
        .offset:         64
        .size:           8
        .value_kind:     global_buffer
      - .offset:         72
        .size:           4
        .value_kind:     by_value
      - .offset:         76
        .size:           4
        .value_kind:     by_value
      - .offset:         80
        .size:           4
        .value_kind:     by_value
      - .address_space:  global
        .offset:         88
        .size:           8
        .value_kind:     global_buffer
      - .address_space:  global
        .offset:         96
        .size:           8
        .value_kind:     global_buffer
      - .offset:         104
        .size:           4
        .value_kind:     by_value
      - .offset:         108
        .size:           4
        .value_kind:     by_value
      - .offset:         112
        .size:           4
        .value_kind:     by_value
      - .offset:         116
        .size:           4
        .value_kind:     by_value
      - .offset:         120
        .size:           4
        .value_kind:     by_value
      - .offset:         128
        .size:           4
        .value_kind:     hidden_block_count_x
      - .offset:         132
        .size:           4
        .value_kind:     hidden_block_count_y
      - .offset:         136
        .size:           4
        .value_kind:     hidden_block_count_z
      - .offset:         140
        .size:           2
        .value_kind:     hidden_group_size_x
      - .offset:         142
        .size:           2
        .value_kind:     hidden_group_size_y
      - .offset:         144
        .size:           2
        .value_kind:     hidden_group_size_z
      - .offset:         146
        .size:           2
        .value_kind:     hidden_remainder_x
      - .offset:         148
        .size:           2
        .value_kind:     hidden_remainder_y
      - .offset:         150
        .size:           2
        .value_kind:     hidden_remainder_z
      - .offset:         168
        .size:           8
        .value_kind:     hidden_global_offset_x
      - .offset:         176
        .size:           8
        .value_kind:     hidden_global_offset_y
      - .offset:         184
        .size:           8
        .value_kind:     hidden_global_offset_z
      - .offset:         192
        .size:           2
        .value_kind:     hidden_grid_dims
      - .offset:         248
        .size:           4
        .value_kind:     hidden_dynamic_lds_size
    .group_segment_fixed_size: 256
    .kernarg_segment_align: 8
    .kernarg_segment_size: 384
    .language:       OpenCL C
    .language_version:
      - 2
      - 0
    .max_flat_workgroup_size: 1024
    .name:           _ZN4vllm25paged_attention_v1_kernelI14__hip_bfloat16S1_Li120ELi32ELi128ELNS_18Fp8KVCacheDataTypeE0ELb0EEEvPT_PKS3_PKT0_S9_ifPKiSB_iPKfiiiSD_SD_iiiii
    .private_segment_fixed_size: 188
    .sgpr_count:     44
    .sgpr_spill_count: 0
    .symbol:         _ZN4vllm25paged_attention_v1_kernelI14__hip_bfloat16S1_Li120ELi32ELi128ELNS_18Fp8KVCacheDataTypeE0ELb0EEEvPT_PKS3_PKT0_S9_ifPKiSB_iPKfiiiSD_SD_iiiii.kd
    .uniform_work_group_size: 1
    .uses_dynamic_stack: false
    .vgpr_count:     64
    .vgpr_spill_count: 46
    .wavefront_size: 64
  - .args:
      - .actual_access:  write_only
        .address_space:  global
        .offset:         0
        .size:           8
        .value_kind:     global_buffer
      - .actual_access:  read_only
        .address_space:  global
        .offset:         8
        .size:           8
        .value_kind:     global_buffer
      - .actual_access:  read_only
        .address_space:  global
        .offset:         16
        .size:           8
        .value_kind:     global_buffer
      - .actual_access:  read_only
        .address_space:  global
        .offset:         24
        .size:           8
        .value_kind:     global_buffer
      - .offset:         32
        .size:           4
        .value_kind:     by_value
      - .offset:         36
        .size:           4
        .value_kind:     by_value
      - .actual_access:  read_only
        .address_space:  global
        .offset:         40
        .size:           8
        .value_kind:     global_buffer
      - .actual_access:  read_only
        .address_space:  global
        .offset:         48
        .size:           8
        .value_kind:     global_buffer
      - .offset:         56
        .size:           4
        .value_kind:     by_value
      - .actual_access:  read_only
        .address_space:  global
        .offset:         64
        .size:           8
        .value_kind:     global_buffer
      - .offset:         72
        .size:           4
        .value_kind:     by_value
      - .offset:         76
        .size:           4
        .value_kind:     by_value
      - .offset:         80
        .size:           4
        .value_kind:     by_value
      - .address_space:  global
        .offset:         88
        .size:           8
        .value_kind:     global_buffer
      - .address_space:  global
        .offset:         96
        .size:           8
        .value_kind:     global_buffer
      - .offset:         104
        .size:           4
        .value_kind:     by_value
      - .offset:         108
        .size:           4
        .value_kind:     by_value
      - .offset:         112
        .size:           4
        .value_kind:     by_value
      - .offset:         116
        .size:           4
        .value_kind:     by_value
      - .offset:         120
        .size:           4
        .value_kind:     by_value
      - .offset:         128
        .size:           4
        .value_kind:     hidden_block_count_x
      - .offset:         132
        .size:           4
        .value_kind:     hidden_block_count_y
      - .offset:         136
        .size:           4
        .value_kind:     hidden_block_count_z
      - .offset:         140
        .size:           2
        .value_kind:     hidden_group_size_x
      - .offset:         142
        .size:           2
        .value_kind:     hidden_group_size_y
      - .offset:         144
        .size:           2
        .value_kind:     hidden_group_size_z
      - .offset:         146
        .size:           2
        .value_kind:     hidden_remainder_x
      - .offset:         148
        .size:           2
        .value_kind:     hidden_remainder_y
      - .offset:         150
        .size:           2
        .value_kind:     hidden_remainder_z
      - .offset:         168
        .size:           8
        .value_kind:     hidden_global_offset_x
      - .offset:         176
        .size:           8
        .value_kind:     hidden_global_offset_y
      - .offset:         184
        .size:           8
        .value_kind:     hidden_global_offset_z
      - .offset:         192
        .size:           2
        .value_kind:     hidden_grid_dims
      - .offset:         248
        .size:           4
        .value_kind:     hidden_dynamic_lds_size
    .group_segment_fixed_size: 272
    .kernarg_segment_align: 8
    .kernarg_segment_size: 384
    .language:       OpenCL C
    .language_version:
      - 2
      - 0
    .max_flat_workgroup_size: 1024
    .name:           _ZN4vllm25paged_attention_v1_kernelI14__hip_bfloat16S1_Li128ELi32ELi128ELNS_18Fp8KVCacheDataTypeE0ELb0EEEvPT_PKS3_PKT0_S9_ifPKiSB_iPKfiiiSD_SD_iiiii
    .private_segment_fixed_size: 212
    .sgpr_count:     44
    .sgpr_spill_count: 0
    .symbol:         _ZN4vllm25paged_attention_v1_kernelI14__hip_bfloat16S1_Li128ELi32ELi128ELNS_18Fp8KVCacheDataTypeE0ELb0EEEvPT_PKS3_PKT0_S9_ifPKiSB_iPKfiiiSD_SD_iiiii.kd
    .uniform_work_group_size: 1
    .uses_dynamic_stack: false
    .vgpr_count:     64
    .vgpr_spill_count: 55
    .wavefront_size: 64
  - .args:
      - .actual_access:  write_only
        .address_space:  global
        .offset:         0
        .size:           8
        .value_kind:     global_buffer
      - .actual_access:  read_only
        .address_space:  global
        .offset:         8
        .size:           8
        .value_kind:     global_buffer
      - .actual_access:  read_only
        .address_space:  global
        .offset:         16
        .size:           8
        .value_kind:     global_buffer
      - .actual_access:  read_only
        .address_space:  global
        .offset:         24
        .size:           8
        .value_kind:     global_buffer
      - .offset:         32
        .size:           4
        .value_kind:     by_value
      - .offset:         36
        .size:           4
        .value_kind:     by_value
      - .actual_access:  read_only
        .address_space:  global
        .offset:         40
        .size:           8
        .value_kind:     global_buffer
      - .actual_access:  read_only
        .address_space:  global
        .offset:         48
        .size:           8
        .value_kind:     global_buffer
      - .offset:         56
        .size:           4
        .value_kind:     by_value
      - .actual_access:  read_only
        .address_space:  global
        .offset:         64
        .size:           8
        .value_kind:     global_buffer
      - .offset:         72
        .size:           4
        .value_kind:     by_value
      - .offset:         76
        .size:           4
        .value_kind:     by_value
      - .offset:         80
        .size:           4
        .value_kind:     by_value
      - .address_space:  global
        .offset:         88
        .size:           8
        .value_kind:     global_buffer
      - .address_space:  global
        .offset:         96
        .size:           8
        .value_kind:     global_buffer
      - .offset:         104
        .size:           4
        .value_kind:     by_value
      - .offset:         108
        .size:           4
        .value_kind:     by_value
      - .offset:         112
        .size:           4
        .value_kind:     by_value
      - .offset:         116
        .size:           4
        .value_kind:     by_value
      - .offset:         120
        .size:           4
        .value_kind:     by_value
      - .offset:         128
        .size:           4
        .value_kind:     hidden_block_count_x
      - .offset:         132
        .size:           4
        .value_kind:     hidden_block_count_y
      - .offset:         136
        .size:           4
        .value_kind:     hidden_block_count_z
      - .offset:         140
        .size:           2
        .value_kind:     hidden_group_size_x
      - .offset:         142
        .size:           2
        .value_kind:     hidden_group_size_y
      - .offset:         144
        .size:           2
        .value_kind:     hidden_group_size_z
      - .offset:         146
        .size:           2
        .value_kind:     hidden_remainder_x
      - .offset:         148
        .size:           2
        .value_kind:     hidden_remainder_y
      - .offset:         150
        .size:           2
        .value_kind:     hidden_remainder_z
      - .offset:         168
        .size:           8
        .value_kind:     hidden_global_offset_x
      - .offset:         176
        .size:           8
        .value_kind:     hidden_global_offset_y
      - .offset:         184
        .size:           8
        .value_kind:     hidden_global_offset_z
      - .offset:         192
        .size:           2
        .value_kind:     hidden_grid_dims
      - .offset:         248
        .size:           4
        .value_kind:     hidden_dynamic_lds_size
    .group_segment_fixed_size: 400
    .kernarg_segment_align: 8
    .kernarg_segment_size: 384
    .language:       OpenCL C
    .language_version:
      - 2
      - 0
    .max_flat_workgroup_size: 1024
    .name:           _ZN4vllm25paged_attention_v1_kernelI14__hip_bfloat16S1_Li192ELi32ELi128ELNS_18Fp8KVCacheDataTypeE0ELb0EEEvPT_PKS3_PKT0_S9_ifPKiSB_iPKfiiiSD_SD_iiiii
    .private_segment_fixed_size: 420
    .sgpr_count:     44
    .sgpr_spill_count: 0
    .symbol:         _ZN4vllm25paged_attention_v1_kernelI14__hip_bfloat16S1_Li192ELi32ELi128ELNS_18Fp8KVCacheDataTypeE0ELb0EEEvPT_PKS3_PKT0_S9_ifPKiSB_iPKfiiiSD_SD_iiiii.kd
    .uniform_work_group_size: 1
    .uses_dynamic_stack: false
    .vgpr_count:     64
    .vgpr_spill_count: 130
    .wavefront_size: 64
  - .args:
      - .actual_access:  write_only
        .address_space:  global
        .offset:         0
        .size:           8
        .value_kind:     global_buffer
      - .actual_access:  read_only
        .address_space:  global
        .offset:         8
        .size:           8
        .value_kind:     global_buffer
      - .actual_access:  read_only
        .address_space:  global
        .offset:         16
        .size:           8
        .value_kind:     global_buffer
      - .actual_access:  read_only
        .address_space:  global
        .offset:         24
        .size:           8
        .value_kind:     global_buffer
      - .offset:         32
        .size:           4
        .value_kind:     by_value
      - .offset:         36
        .size:           4
        .value_kind:     by_value
      - .actual_access:  read_only
        .address_space:  global
        .offset:         40
        .size:           8
        .value_kind:     global_buffer
      - .actual_access:  read_only
        .address_space:  global
        .offset:         48
        .size:           8
        .value_kind:     global_buffer
      - .offset:         56
        .size:           4
        .value_kind:     by_value
      - .actual_access:  read_only
        .address_space:  global
        .offset:         64
        .size:           8
        .value_kind:     global_buffer
      - .offset:         72
        .size:           4
        .value_kind:     by_value
      - .offset:         76
        .size:           4
        .value_kind:     by_value
      - .offset:         80
        .size:           4
        .value_kind:     by_value
      - .address_space:  global
        .offset:         88
        .size:           8
        .value_kind:     global_buffer
      - .address_space:  global
        .offset:         96
        .size:           8
        .value_kind:     global_buffer
      - .offset:         104
        .size:           4
        .value_kind:     by_value
      - .offset:         108
        .size:           4
        .value_kind:     by_value
      - .offset:         112
        .size:           4
        .value_kind:     by_value
      - .offset:         116
        .size:           4
        .value_kind:     by_value
      - .offset:         120
        .size:           4
        .value_kind:     by_value
      - .offset:         128
        .size:           4
        .value_kind:     hidden_block_count_x
      - .offset:         132
        .size:           4
        .value_kind:     hidden_block_count_y
      - .offset:         136
        .size:           4
        .value_kind:     hidden_block_count_z
      - .offset:         140
        .size:           2
        .value_kind:     hidden_group_size_x
      - .offset:         142
        .size:           2
        .value_kind:     hidden_group_size_y
      - .offset:         144
        .size:           2
        .value_kind:     hidden_group_size_z
      - .offset:         146
        .size:           2
        .value_kind:     hidden_remainder_x
      - .offset:         148
        .size:           2
        .value_kind:     hidden_remainder_y
      - .offset:         150
        .size:           2
        .value_kind:     hidden_remainder_z
      - .offset:         168
        .size:           8
        .value_kind:     hidden_global_offset_x
      - .offset:         176
        .size:           8
        .value_kind:     hidden_global_offset_y
      - .offset:         184
        .size:           8
        .value_kind:     hidden_global_offset_z
      - .offset:         192
        .size:           2
        .value_kind:     hidden_grid_dims
      - .offset:         248
        .size:           4
        .value_kind:     hidden_dynamic_lds_size
    .group_segment_fixed_size: 528
    .kernarg_segment_align: 8
    .kernarg_segment_size: 384
    .language:       OpenCL C
    .language_version:
      - 2
      - 0
    .max_flat_workgroup_size: 1024
    .name:           _ZN4vllm25paged_attention_v1_kernelI14__hip_bfloat16S1_Li256ELi32ELi128ELNS_18Fp8KVCacheDataTypeE0ELb0EEEvPT_PKS3_PKT0_S9_ifPKiSB_iPKfiiiSD_SD_iiiii
    .private_segment_fixed_size: 660
    .sgpr_count:     48
    .sgpr_spill_count: 0
    .symbol:         _ZN4vllm25paged_attention_v1_kernelI14__hip_bfloat16S1_Li256ELi32ELi128ELNS_18Fp8KVCacheDataTypeE0ELb0EEEvPT_PKS3_PKT0_S9_ifPKiSB_iPKfiiiSD_SD_iiiii.kd
    .uniform_work_group_size: 1
    .uses_dynamic_stack: false
    .vgpr_count:     64
    .vgpr_spill_count: 223
    .wavefront_size: 64
  - .args:
      - .actual_access:  write_only
        .address_space:  global
        .offset:         0
        .size:           8
        .value_kind:     global_buffer
      - .actual_access:  read_only
        .address_space:  global
        .offset:         8
        .size:           8
        .value_kind:     global_buffer
      - .actual_access:  read_only
        .address_space:  global
        .offset:         16
        .size:           8
        .value_kind:     global_buffer
      - .actual_access:  read_only
        .address_space:  global
        .offset:         24
        .size:           8
        .value_kind:     global_buffer
      - .offset:         32
        .size:           4
        .value_kind:     by_value
      - .offset:         36
        .size:           4
        .value_kind:     by_value
      - .actual_access:  read_only
        .address_space:  global
        .offset:         40
        .size:           8
        .value_kind:     global_buffer
      - .actual_access:  read_only
        .address_space:  global
        .offset:         48
        .size:           8
        .value_kind:     global_buffer
      - .offset:         56
        .size:           4
        .value_kind:     by_value
      - .actual_access:  read_only
        .address_space:  global
        .offset:         64
        .size:           8
        .value_kind:     global_buffer
      - .offset:         72
        .size:           4
        .value_kind:     by_value
      - .offset:         76
        .size:           4
        .value_kind:     by_value
      - .offset:         80
        .size:           4
        .value_kind:     by_value
      - .address_space:  global
        .offset:         88
        .size:           8
        .value_kind:     global_buffer
      - .address_space:  global
        .offset:         96
        .size:           8
        .value_kind:     global_buffer
      - .offset:         104
        .size:           4
        .value_kind:     by_value
      - .offset:         108
        .size:           4
        .value_kind:     by_value
      - .offset:         112
        .size:           4
        .value_kind:     by_value
      - .offset:         116
        .size:           4
        .value_kind:     by_value
      - .offset:         120
        .size:           4
        .value_kind:     by_value
      - .offset:         128
        .size:           4
        .value_kind:     hidden_block_count_x
      - .offset:         132
        .size:           4
        .value_kind:     hidden_block_count_y
      - .offset:         136
        .size:           4
        .value_kind:     hidden_block_count_z
      - .offset:         140
        .size:           2
        .value_kind:     hidden_group_size_x
      - .offset:         142
        .size:           2
        .value_kind:     hidden_group_size_y
      - .offset:         144
        .size:           2
        .value_kind:     hidden_group_size_z
      - .offset:         146
        .size:           2
        .value_kind:     hidden_remainder_x
      - .offset:         148
        .size:           2
        .value_kind:     hidden_remainder_y
      - .offset:         150
        .size:           2
        .value_kind:     hidden_remainder_z
      - .offset:         168
        .size:           8
        .value_kind:     hidden_global_offset_x
      - .offset:         176
        .size:           8
        .value_kind:     hidden_global_offset_y
      - .offset:         184
        .size:           8
        .value_kind:     hidden_global_offset_z
      - .offset:         192
        .size:           2
        .value_kind:     hidden_grid_dims
      - .offset:         248
        .size:           4
        .value_kind:     hidden_dynamic_lds_size
    .group_segment_fixed_size: 144
    .kernarg_segment_align: 8
    .kernarg_segment_size: 384
    .language:       OpenCL C
    .language_version:
      - 2
      - 0
    .max_flat_workgroup_size: 1024
    .name:           _ZN4vllm25paged_attention_v1_kernelIfhLi32ELi8ELi128ELNS_18Fp8KVCacheDataTypeE1ELb1EEEvPT_PKS2_PKT0_S8_ifPKiSA_iPKfiiiSC_SC_iiiii
    .private_segment_fixed_size: 0
    .sgpr_count:     59
    .sgpr_spill_count: 0
    .symbol:         _ZN4vllm25paged_attention_v1_kernelIfhLi32ELi8ELi128ELNS_18Fp8KVCacheDataTypeE1ELb1EEEvPT_PKS2_PKT0_S8_ifPKiSA_iPKfiiiSC_SC_iiiii.kd
    .uniform_work_group_size: 1
    .uses_dynamic_stack: false
    .vgpr_count:     39
    .vgpr_spill_count: 0
    .wavefront_size: 64
  - .args:
      - .actual_access:  write_only
        .address_space:  global
        .offset:         0
        .size:           8
        .value_kind:     global_buffer
      - .actual_access:  read_only
        .address_space:  global
        .offset:         8
        .size:           8
        .value_kind:     global_buffer
      - .actual_access:  read_only
        .address_space:  global
        .offset:         16
        .size:           8
        .value_kind:     global_buffer
      - .actual_access:  read_only
        .address_space:  global
        .offset:         24
        .size:           8
        .value_kind:     global_buffer
      - .offset:         32
        .size:           4
        .value_kind:     by_value
      - .offset:         36
        .size:           4
        .value_kind:     by_value
      - .actual_access:  read_only
        .address_space:  global
        .offset:         40
        .size:           8
        .value_kind:     global_buffer
      - .actual_access:  read_only
        .address_space:  global
        .offset:         48
        .size:           8
        .value_kind:     global_buffer
      - .offset:         56
        .size:           4
        .value_kind:     by_value
      - .actual_access:  read_only
        .address_space:  global
        .offset:         64
        .size:           8
        .value_kind:     global_buffer
      - .offset:         72
        .size:           4
        .value_kind:     by_value
      - .offset:         76
        .size:           4
        .value_kind:     by_value
      - .offset:         80
        .size:           4
        .value_kind:     by_value
      - .address_space:  global
        .offset:         88
        .size:           8
        .value_kind:     global_buffer
      - .address_space:  global
        .offset:         96
        .size:           8
        .value_kind:     global_buffer
      - .offset:         104
        .size:           4
        .value_kind:     by_value
      - .offset:         108
        .size:           4
        .value_kind:     by_value
      - .offset:         112
        .size:           4
        .value_kind:     by_value
      - .offset:         116
        .size:           4
        .value_kind:     by_value
      - .offset:         120
        .size:           4
        .value_kind:     by_value
      - .offset:         128
        .size:           4
        .value_kind:     hidden_block_count_x
      - .offset:         132
        .size:           4
        .value_kind:     hidden_block_count_y
      - .offset:         136
        .size:           4
        .value_kind:     hidden_block_count_z
      - .offset:         140
        .size:           2
        .value_kind:     hidden_group_size_x
      - .offset:         142
        .size:           2
        .value_kind:     hidden_group_size_y
      - .offset:         144
        .size:           2
        .value_kind:     hidden_group_size_z
      - .offset:         146
        .size:           2
        .value_kind:     hidden_remainder_x
      - .offset:         148
        .size:           2
        .value_kind:     hidden_remainder_y
      - .offset:         150
        .size:           2
        .value_kind:     hidden_remainder_z
      - .offset:         168
        .size:           8
        .value_kind:     hidden_global_offset_x
      - .offset:         176
        .size:           8
        .value_kind:     hidden_global_offset_y
      - .offset:         184
        .size:           8
        .value_kind:     hidden_global_offset_z
      - .offset:         192
        .size:           2
        .value_kind:     hidden_grid_dims
      - .offset:         248
        .size:           4
        .value_kind:     hidden_dynamic_lds_size
    .group_segment_fixed_size: 272
    .kernarg_segment_align: 8
    .kernarg_segment_size: 384
    .language:       OpenCL C
    .language_version:
      - 2
      - 0
    .max_flat_workgroup_size: 1024
    .name:           _ZN4vllm25paged_attention_v1_kernelIfhLi64ELi8ELi128ELNS_18Fp8KVCacheDataTypeE1ELb1EEEvPT_PKS2_PKT0_S8_ifPKiSA_iPKfiiiSC_SC_iiiii
    .private_segment_fixed_size: 0
    .sgpr_count:     61
    .sgpr_spill_count: 0
    .symbol:         _ZN4vllm25paged_attention_v1_kernelIfhLi64ELi8ELi128ELNS_18Fp8KVCacheDataTypeE1ELb1EEEvPT_PKS2_PKT0_S8_ifPKiSA_iPKfiiiSC_SC_iiiii.kd
    .uniform_work_group_size: 1
    .uses_dynamic_stack: false
    .vgpr_count:     48
    .vgpr_spill_count: 0
    .wavefront_size: 64
  - .args:
      - .actual_access:  write_only
        .address_space:  global
        .offset:         0
        .size:           8
        .value_kind:     global_buffer
      - .actual_access:  read_only
        .address_space:  global
        .offset:         8
        .size:           8
        .value_kind:     global_buffer
      - .actual_access:  read_only
        .address_space:  global
        .offset:         16
        .size:           8
        .value_kind:     global_buffer
      - .actual_access:  read_only
        .address_space:  global
        .offset:         24
        .size:           8
        .value_kind:     global_buffer
      - .offset:         32
        .size:           4
        .value_kind:     by_value
      - .offset:         36
        .size:           4
        .value_kind:     by_value
      - .actual_access:  read_only
        .address_space:  global
        .offset:         40
        .size:           8
        .value_kind:     global_buffer
      - .actual_access:  read_only
        .address_space:  global
        .offset:         48
        .size:           8
        .value_kind:     global_buffer
      - .offset:         56
        .size:           4
        .value_kind:     by_value
      - .actual_access:  read_only
        .address_space:  global
        .offset:         64
        .size:           8
        .value_kind:     global_buffer
      - .offset:         72
        .size:           4
        .value_kind:     by_value
      - .offset:         76
        .size:           4
        .value_kind:     by_value
      - .offset:         80
        .size:           4
        .value_kind:     by_value
      - .address_space:  global
        .offset:         88
        .size:           8
        .value_kind:     global_buffer
      - .address_space:  global
        .offset:         96
        .size:           8
        .value_kind:     global_buffer
      - .offset:         104
        .size:           4
        .value_kind:     by_value
      - .offset:         108
        .size:           4
        .value_kind:     by_value
      - .offset:         112
        .size:           4
        .value_kind:     by_value
      - .offset:         116
        .size:           4
        .value_kind:     by_value
      - .offset:         120
        .size:           4
        .value_kind:     by_value
      - .offset:         128
        .size:           4
        .value_kind:     hidden_block_count_x
      - .offset:         132
        .size:           4
        .value_kind:     hidden_block_count_y
      - .offset:         136
        .size:           4
        .value_kind:     hidden_block_count_z
      - .offset:         140
        .size:           2
        .value_kind:     hidden_group_size_x
      - .offset:         142
        .size:           2
        .value_kind:     hidden_group_size_y
      - .offset:         144
        .size:           2
        .value_kind:     hidden_group_size_z
      - .offset:         146
        .size:           2
        .value_kind:     hidden_remainder_x
      - .offset:         148
        .size:           2
        .value_kind:     hidden_remainder_y
      - .offset:         150
        .size:           2
        .value_kind:     hidden_remainder_z
      - .offset:         168
        .size:           8
        .value_kind:     hidden_global_offset_x
      - .offset:         176
        .size:           8
        .value_kind:     hidden_global_offset_y
      - .offset:         184
        .size:           8
        .value_kind:     hidden_global_offset_z
      - .offset:         192
        .size:           2
        .value_kind:     hidden_grid_dims
      - .offset:         248
        .size:           4
        .value_kind:     hidden_dynamic_lds_size
    .group_segment_fixed_size: 336
    .kernarg_segment_align: 8
    .kernarg_segment_size: 384
    .language:       OpenCL C
    .language_version:
      - 2
      - 0
    .max_flat_workgroup_size: 1024
    .name:           _ZN4vllm25paged_attention_v1_kernelIfhLi80ELi8ELi128ELNS_18Fp8KVCacheDataTypeE1ELb1EEEvPT_PKS2_PKT0_S8_ifPKiSA_iPKfiiiSC_SC_iiiii
    .private_segment_fixed_size: 0
    .sgpr_count:     59
    .sgpr_spill_count: 0
    .symbol:         _ZN4vllm25paged_attention_v1_kernelIfhLi80ELi8ELi128ELNS_18Fp8KVCacheDataTypeE1ELb1EEEvPT_PKS2_PKT0_S8_ifPKiSA_iPKfiiiSC_SC_iiiii.kd
    .uniform_work_group_size: 1
    .uses_dynamic_stack: false
    .vgpr_count:     51
    .vgpr_spill_count: 0
    .wavefront_size: 64
  - .args:
      - .actual_access:  write_only
        .address_space:  global
        .offset:         0
        .size:           8
        .value_kind:     global_buffer
      - .actual_access:  read_only
        .address_space:  global
        .offset:         8
        .size:           8
        .value_kind:     global_buffer
      - .actual_access:  read_only
        .address_space:  global
        .offset:         16
        .size:           8
        .value_kind:     global_buffer
      - .actual_access:  read_only
        .address_space:  global
        .offset:         24
        .size:           8
        .value_kind:     global_buffer
      - .offset:         32
        .size:           4
        .value_kind:     by_value
      - .offset:         36
        .size:           4
        .value_kind:     by_value
      - .actual_access:  read_only
        .address_space:  global
        .offset:         40
        .size:           8
        .value_kind:     global_buffer
      - .actual_access:  read_only
        .address_space:  global
        .offset:         48
        .size:           8
        .value_kind:     global_buffer
      - .offset:         56
        .size:           4
        .value_kind:     by_value
      - .actual_access:  read_only
        .address_space:  global
        .offset:         64
        .size:           8
        .value_kind:     global_buffer
      - .offset:         72
        .size:           4
        .value_kind:     by_value
      - .offset:         76
        .size:           4
        .value_kind:     by_value
      - .offset:         80
        .size:           4
        .value_kind:     by_value
      - .address_space:  global
        .offset:         88
        .size:           8
        .value_kind:     global_buffer
      - .address_space:  global
        .offset:         96
        .size:           8
        .value_kind:     global_buffer
      - .offset:         104
        .size:           4
        .value_kind:     by_value
      - .offset:         108
        .size:           4
        .value_kind:     by_value
      - .offset:         112
        .size:           4
        .value_kind:     by_value
      - .offset:         116
        .size:           4
        .value_kind:     by_value
      - .offset:         120
        .size:           4
        .value_kind:     by_value
      - .offset:         128
        .size:           4
        .value_kind:     hidden_block_count_x
      - .offset:         132
        .size:           4
        .value_kind:     hidden_block_count_y
      - .offset:         136
        .size:           4
        .value_kind:     hidden_block_count_z
      - .offset:         140
        .size:           2
        .value_kind:     hidden_group_size_x
      - .offset:         142
        .size:           2
        .value_kind:     hidden_group_size_y
      - .offset:         144
        .size:           2
        .value_kind:     hidden_group_size_z
      - .offset:         146
        .size:           2
        .value_kind:     hidden_remainder_x
      - .offset:         148
        .size:           2
        .value_kind:     hidden_remainder_y
      - .offset:         150
        .size:           2
        .value_kind:     hidden_remainder_z
      - .offset:         168
        .size:           8
        .value_kind:     hidden_global_offset_x
      - .offset:         176
        .size:           8
        .value_kind:     hidden_global_offset_y
      - .offset:         184
        .size:           8
        .value_kind:     hidden_global_offset_z
      - .offset:         192
        .size:           2
        .value_kind:     hidden_grid_dims
      - .offset:         248
        .size:           4
        .value_kind:     hidden_dynamic_lds_size
    .group_segment_fixed_size: 400
    .kernarg_segment_align: 8
    .kernarg_segment_size: 384
    .language:       OpenCL C
    .language_version:
      - 2
      - 0
    .max_flat_workgroup_size: 1024
    .name:           _ZN4vllm25paged_attention_v1_kernelIfhLi96ELi8ELi128ELNS_18Fp8KVCacheDataTypeE1ELb1EEEvPT_PKS2_PKT0_S8_ifPKiSA_iPKfiiiSC_SC_iiiii
    .private_segment_fixed_size: 0
    .sgpr_count:     59
    .sgpr_spill_count: 0
    .symbol:         _ZN4vllm25paged_attention_v1_kernelIfhLi96ELi8ELi128ELNS_18Fp8KVCacheDataTypeE1ELb1EEEvPT_PKS2_PKT0_S8_ifPKiSA_iPKfiiiSC_SC_iiiii.kd
    .uniform_work_group_size: 1
    .uses_dynamic_stack: false
    .vgpr_count:     55
    .vgpr_spill_count: 0
    .wavefront_size: 64
  - .args:
      - .actual_access:  write_only
        .address_space:  global
        .offset:         0
        .size:           8
        .value_kind:     global_buffer
      - .actual_access:  read_only
        .address_space:  global
        .offset:         8
        .size:           8
        .value_kind:     global_buffer
      - .actual_access:  read_only
        .address_space:  global
        .offset:         16
        .size:           8
        .value_kind:     global_buffer
      - .actual_access:  read_only
        .address_space:  global
        .offset:         24
        .size:           8
        .value_kind:     global_buffer
      - .offset:         32
        .size:           4
        .value_kind:     by_value
      - .offset:         36
        .size:           4
        .value_kind:     by_value
      - .actual_access:  read_only
        .address_space:  global
        .offset:         40
        .size:           8
        .value_kind:     global_buffer
      - .actual_access:  read_only
        .address_space:  global
        .offset:         48
        .size:           8
        .value_kind:     global_buffer
      - .offset:         56
        .size:           4
        .value_kind:     by_value
      - .actual_access:  read_only
        .address_space:  global
        .offset:         64
        .size:           8
        .value_kind:     global_buffer
      - .offset:         72
        .size:           4
        .value_kind:     by_value
      - .offset:         76
        .size:           4
        .value_kind:     by_value
      - .offset:         80
        .size:           4
        .value_kind:     by_value
      - .address_space:  global
        .offset:         88
        .size:           8
        .value_kind:     global_buffer
      - .address_space:  global
        .offset:         96
        .size:           8
        .value_kind:     global_buffer
      - .offset:         104
        .size:           4
        .value_kind:     by_value
      - .offset:         108
        .size:           4
        .value_kind:     by_value
      - .offset:         112
        .size:           4
        .value_kind:     by_value
      - .offset:         116
        .size:           4
        .value_kind:     by_value
      - .offset:         120
        .size:           4
        .value_kind:     by_value
      - .offset:         128
        .size:           4
        .value_kind:     hidden_block_count_x
      - .offset:         132
        .size:           4
        .value_kind:     hidden_block_count_y
      - .offset:         136
        .size:           4
        .value_kind:     hidden_block_count_z
      - .offset:         140
        .size:           2
        .value_kind:     hidden_group_size_x
      - .offset:         142
        .size:           2
        .value_kind:     hidden_group_size_y
      - .offset:         144
        .size:           2
        .value_kind:     hidden_group_size_z
      - .offset:         146
        .size:           2
        .value_kind:     hidden_remainder_x
      - .offset:         148
        .size:           2
        .value_kind:     hidden_remainder_y
      - .offset:         150
        .size:           2
        .value_kind:     hidden_remainder_z
      - .offset:         168
        .size:           8
        .value_kind:     hidden_global_offset_x
      - .offset:         176
        .size:           8
        .value_kind:     hidden_global_offset_y
      - .offset:         184
        .size:           8
        .value_kind:     hidden_global_offset_z
      - .offset:         192
        .size:           2
        .value_kind:     hidden_grid_dims
      - .offset:         248
        .size:           4
        .value_kind:     hidden_dynamic_lds_size
    .group_segment_fixed_size: 464
    .kernarg_segment_align: 8
    .kernarg_segment_size: 384
    .language:       OpenCL C
    .language_version:
      - 2
      - 0
    .max_flat_workgroup_size: 1024
    .name:           _ZN4vllm25paged_attention_v1_kernelIfhLi112ELi8ELi128ELNS_18Fp8KVCacheDataTypeE1ELb1EEEvPT_PKS2_PKT0_S8_ifPKiSA_iPKfiiiSC_SC_iiiii
    .private_segment_fixed_size: 0
    .sgpr_count:     59
    .sgpr_spill_count: 0
    .symbol:         _ZN4vllm25paged_attention_v1_kernelIfhLi112ELi8ELi128ELNS_18Fp8KVCacheDataTypeE1ELb1EEEvPT_PKS2_PKT0_S8_ifPKiSA_iPKfiiiSC_SC_iiiii.kd
    .uniform_work_group_size: 1
    .uses_dynamic_stack: false
    .vgpr_count:     59
    .vgpr_spill_count: 0
    .wavefront_size: 64
  - .args:
      - .actual_access:  write_only
        .address_space:  global
        .offset:         0
        .size:           8
        .value_kind:     global_buffer
      - .actual_access:  read_only
        .address_space:  global
        .offset:         8
        .size:           8
        .value_kind:     global_buffer
      - .actual_access:  read_only
        .address_space:  global
        .offset:         16
        .size:           8
        .value_kind:     global_buffer
      - .actual_access:  read_only
        .address_space:  global
        .offset:         24
        .size:           8
        .value_kind:     global_buffer
      - .offset:         32
        .size:           4
        .value_kind:     by_value
      - .offset:         36
        .size:           4
        .value_kind:     by_value
      - .actual_access:  read_only
        .address_space:  global
        .offset:         40
        .size:           8
        .value_kind:     global_buffer
      - .actual_access:  read_only
        .address_space:  global
        .offset:         48
        .size:           8
        .value_kind:     global_buffer
      - .offset:         56
        .size:           4
        .value_kind:     by_value
      - .actual_access:  read_only
        .address_space:  global
        .offset:         64
        .size:           8
        .value_kind:     global_buffer
      - .offset:         72
        .size:           4
        .value_kind:     by_value
      - .offset:         76
        .size:           4
        .value_kind:     by_value
      - .offset:         80
        .size:           4
        .value_kind:     by_value
      - .address_space:  global
        .offset:         88
        .size:           8
        .value_kind:     global_buffer
      - .address_space:  global
        .offset:         96
        .size:           8
        .value_kind:     global_buffer
      - .offset:         104
        .size:           4
        .value_kind:     by_value
      - .offset:         108
        .size:           4
        .value_kind:     by_value
      - .offset:         112
        .size:           4
        .value_kind:     by_value
      - .offset:         116
        .size:           4
        .value_kind:     by_value
      - .offset:         120
        .size:           4
        .value_kind:     by_value
      - .offset:         128
        .size:           4
        .value_kind:     hidden_block_count_x
      - .offset:         132
        .size:           4
        .value_kind:     hidden_block_count_y
      - .offset:         136
        .size:           4
        .value_kind:     hidden_block_count_z
      - .offset:         140
        .size:           2
        .value_kind:     hidden_group_size_x
      - .offset:         142
        .size:           2
        .value_kind:     hidden_group_size_y
      - .offset:         144
        .size:           2
        .value_kind:     hidden_group_size_z
      - .offset:         146
        .size:           2
        .value_kind:     hidden_remainder_x
      - .offset:         148
        .size:           2
        .value_kind:     hidden_remainder_y
      - .offset:         150
        .size:           2
        .value_kind:     hidden_remainder_z
      - .offset:         168
        .size:           8
        .value_kind:     hidden_global_offset_x
      - .offset:         176
        .size:           8
        .value_kind:     hidden_global_offset_y
      - .offset:         184
        .size:           8
        .value_kind:     hidden_global_offset_z
      - .offset:         192
        .size:           2
        .value_kind:     hidden_grid_dims
      - .offset:         248
        .size:           4
        .value_kind:     hidden_dynamic_lds_size
    .group_segment_fixed_size: 496
    .kernarg_segment_align: 8
    .kernarg_segment_size: 384
    .language:       OpenCL C
    .language_version:
      - 2
      - 0
    .max_flat_workgroup_size: 1024
    .name:           _ZN4vllm25paged_attention_v1_kernelIfhLi120ELi8ELi128ELNS_18Fp8KVCacheDataTypeE1ELb1EEEvPT_PKS2_PKT0_S8_ifPKiSA_iPKfiiiSC_SC_iiiii
    .private_segment_fixed_size: 0
    .sgpr_count:     59
    .sgpr_spill_count: 0
    .symbol:         _ZN4vllm25paged_attention_v1_kernelIfhLi120ELi8ELi128ELNS_18Fp8KVCacheDataTypeE1ELb1EEEvPT_PKS2_PKT0_S8_ifPKiSA_iPKfiiiSC_SC_iiiii.kd
    .uniform_work_group_size: 1
    .uses_dynamic_stack: false
    .vgpr_count:     60
    .vgpr_spill_count: 0
    .wavefront_size: 64
  - .args:
      - .actual_access:  write_only
        .address_space:  global
        .offset:         0
        .size:           8
        .value_kind:     global_buffer
      - .actual_access:  read_only
        .address_space:  global
        .offset:         8
        .size:           8
        .value_kind:     global_buffer
      - .actual_access:  read_only
        .address_space:  global
        .offset:         16
        .size:           8
        .value_kind:     global_buffer
      - .actual_access:  read_only
        .address_space:  global
        .offset:         24
        .size:           8
        .value_kind:     global_buffer
      - .offset:         32
        .size:           4
        .value_kind:     by_value
      - .offset:         36
        .size:           4
        .value_kind:     by_value
      - .actual_access:  read_only
        .address_space:  global
        .offset:         40
        .size:           8
        .value_kind:     global_buffer
      - .actual_access:  read_only
        .address_space:  global
        .offset:         48
        .size:           8
        .value_kind:     global_buffer
      - .offset:         56
        .size:           4
        .value_kind:     by_value
      - .actual_access:  read_only
        .address_space:  global
        .offset:         64
        .size:           8
        .value_kind:     global_buffer
      - .offset:         72
        .size:           4
        .value_kind:     by_value
      - .offset:         76
        .size:           4
        .value_kind:     by_value
      - .offset:         80
        .size:           4
        .value_kind:     by_value
      - .address_space:  global
        .offset:         88
        .size:           8
        .value_kind:     global_buffer
      - .address_space:  global
        .offset:         96
        .size:           8
        .value_kind:     global_buffer
      - .offset:         104
        .size:           4
        .value_kind:     by_value
      - .offset:         108
        .size:           4
        .value_kind:     by_value
      - .offset:         112
        .size:           4
        .value_kind:     by_value
      - .offset:         116
        .size:           4
        .value_kind:     by_value
      - .offset:         120
        .size:           4
        .value_kind:     by_value
      - .offset:         128
        .size:           4
        .value_kind:     hidden_block_count_x
      - .offset:         132
        .size:           4
        .value_kind:     hidden_block_count_y
      - .offset:         136
        .size:           4
        .value_kind:     hidden_block_count_z
      - .offset:         140
        .size:           2
        .value_kind:     hidden_group_size_x
      - .offset:         142
        .size:           2
        .value_kind:     hidden_group_size_y
      - .offset:         144
        .size:           2
        .value_kind:     hidden_group_size_z
      - .offset:         146
        .size:           2
        .value_kind:     hidden_remainder_x
      - .offset:         148
        .size:           2
        .value_kind:     hidden_remainder_y
      - .offset:         150
        .size:           2
        .value_kind:     hidden_remainder_z
      - .offset:         168
        .size:           8
        .value_kind:     hidden_global_offset_x
      - .offset:         176
        .size:           8
        .value_kind:     hidden_global_offset_y
      - .offset:         184
        .size:           8
        .value_kind:     hidden_global_offset_z
      - .offset:         192
        .size:           2
        .value_kind:     hidden_grid_dims
      - .offset:         248
        .size:           4
        .value_kind:     hidden_dynamic_lds_size
    .group_segment_fixed_size: 528
    .kernarg_segment_align: 8
    .kernarg_segment_size: 384
    .language:       OpenCL C
    .language_version:
      - 2
      - 0
    .max_flat_workgroup_size: 1024
    .name:           _ZN4vllm25paged_attention_v1_kernelIfhLi128ELi8ELi128ELNS_18Fp8KVCacheDataTypeE1ELb1EEEvPT_PKS2_PKT0_S8_ifPKiSA_iPKfiiiSC_SC_iiiii
    .private_segment_fixed_size: 0
    .sgpr_count:     59
    .sgpr_spill_count: 0
    .symbol:         _ZN4vllm25paged_attention_v1_kernelIfhLi128ELi8ELi128ELNS_18Fp8KVCacheDataTypeE1ELb1EEEvPT_PKS2_PKT0_S8_ifPKiSA_iPKfiiiSC_SC_iiiii.kd
    .uniform_work_group_size: 1
    .uses_dynamic_stack: false
    .vgpr_count:     63
    .vgpr_spill_count: 0
    .wavefront_size: 64
  - .args:
      - .actual_access:  write_only
        .address_space:  global
        .offset:         0
        .size:           8
        .value_kind:     global_buffer
      - .actual_access:  read_only
        .address_space:  global
        .offset:         8
        .size:           8
        .value_kind:     global_buffer
      - .actual_access:  read_only
        .address_space:  global
        .offset:         16
        .size:           8
        .value_kind:     global_buffer
      - .actual_access:  read_only
        .address_space:  global
        .offset:         24
        .size:           8
        .value_kind:     global_buffer
      - .offset:         32
        .size:           4
        .value_kind:     by_value
      - .offset:         36
        .size:           4
        .value_kind:     by_value
      - .actual_access:  read_only
        .address_space:  global
        .offset:         40
        .size:           8
        .value_kind:     global_buffer
      - .actual_access:  read_only
        .address_space:  global
        .offset:         48
        .size:           8
        .value_kind:     global_buffer
      - .offset:         56
        .size:           4
        .value_kind:     by_value
      - .actual_access:  read_only
        .address_space:  global
        .offset:         64
        .size:           8
        .value_kind:     global_buffer
      - .offset:         72
        .size:           4
        .value_kind:     by_value
      - .offset:         76
        .size:           4
        .value_kind:     by_value
      - .offset:         80
        .size:           4
        .value_kind:     by_value
      - .address_space:  global
        .offset:         88
        .size:           8
        .value_kind:     global_buffer
      - .address_space:  global
        .offset:         96
        .size:           8
        .value_kind:     global_buffer
      - .offset:         104
        .size:           4
        .value_kind:     by_value
      - .offset:         108
        .size:           4
        .value_kind:     by_value
      - .offset:         112
        .size:           4
        .value_kind:     by_value
      - .offset:         116
        .size:           4
        .value_kind:     by_value
      - .offset:         120
        .size:           4
        .value_kind:     by_value
      - .offset:         128
        .size:           4
        .value_kind:     hidden_block_count_x
      - .offset:         132
        .size:           4
        .value_kind:     hidden_block_count_y
      - .offset:         136
        .size:           4
        .value_kind:     hidden_block_count_z
      - .offset:         140
        .size:           2
        .value_kind:     hidden_group_size_x
      - .offset:         142
        .size:           2
        .value_kind:     hidden_group_size_y
      - .offset:         144
        .size:           2
        .value_kind:     hidden_group_size_z
      - .offset:         146
        .size:           2
        .value_kind:     hidden_remainder_x
      - .offset:         148
        .size:           2
        .value_kind:     hidden_remainder_y
      - .offset:         150
        .size:           2
        .value_kind:     hidden_remainder_z
      - .offset:         168
        .size:           8
        .value_kind:     hidden_global_offset_x
      - .offset:         176
        .size:           8
        .value_kind:     hidden_global_offset_y
      - .offset:         184
        .size:           8
        .value_kind:     hidden_global_offset_z
      - .offset:         192
        .size:           2
        .value_kind:     hidden_grid_dims
      - .offset:         248
        .size:           4
        .value_kind:     hidden_dynamic_lds_size
    .group_segment_fixed_size: 784
    .kernarg_segment_align: 8
    .kernarg_segment_size: 384
    .language:       OpenCL C
    .language_version:
      - 2
      - 0
    .max_flat_workgroup_size: 1024
    .name:           _ZN4vllm25paged_attention_v1_kernelIfhLi192ELi8ELi128ELNS_18Fp8KVCacheDataTypeE1ELb1EEEvPT_PKS2_PKT0_S8_ifPKiSA_iPKfiiiSC_SC_iiiii
    .private_segment_fixed_size: 44
    .sgpr_count:     64
    .sgpr_spill_count: 0
    .symbol:         _ZN4vllm25paged_attention_v1_kernelIfhLi192ELi8ELi128ELNS_18Fp8KVCacheDataTypeE1ELb1EEEvPT_PKS2_PKT0_S8_ifPKiSA_iPKfiiiSC_SC_iiiii.kd
    .uniform_work_group_size: 1
    .uses_dynamic_stack: false
    .vgpr_count:     64
    .vgpr_spill_count: 12
    .wavefront_size: 64
  - .args:
      - .actual_access:  write_only
        .address_space:  global
        .offset:         0
        .size:           8
        .value_kind:     global_buffer
      - .actual_access:  read_only
        .address_space:  global
        .offset:         8
        .size:           8
        .value_kind:     global_buffer
      - .actual_access:  read_only
        .address_space:  global
        .offset:         16
        .size:           8
        .value_kind:     global_buffer
      - .actual_access:  read_only
        .address_space:  global
        .offset:         24
        .size:           8
        .value_kind:     global_buffer
      - .offset:         32
        .size:           4
        .value_kind:     by_value
      - .offset:         36
        .size:           4
        .value_kind:     by_value
      - .actual_access:  read_only
        .address_space:  global
        .offset:         40
        .size:           8
        .value_kind:     global_buffer
      - .actual_access:  read_only
        .address_space:  global
        .offset:         48
        .size:           8
        .value_kind:     global_buffer
      - .offset:         56
        .size:           4
        .value_kind:     by_value
      - .actual_access:  read_only
        .address_space:  global
        .offset:         64
        .size:           8
        .value_kind:     global_buffer
      - .offset:         72
        .size:           4
        .value_kind:     by_value
      - .offset:         76
        .size:           4
        .value_kind:     by_value
      - .offset:         80
        .size:           4
        .value_kind:     by_value
      - .address_space:  global
        .offset:         88
        .size:           8
        .value_kind:     global_buffer
      - .address_space:  global
        .offset:         96
        .size:           8
        .value_kind:     global_buffer
      - .offset:         104
        .size:           4
        .value_kind:     by_value
      - .offset:         108
        .size:           4
        .value_kind:     by_value
      - .offset:         112
        .size:           4
        .value_kind:     by_value
      - .offset:         116
        .size:           4
        .value_kind:     by_value
      - .offset:         120
        .size:           4
        .value_kind:     by_value
      - .offset:         128
        .size:           4
        .value_kind:     hidden_block_count_x
      - .offset:         132
        .size:           4
        .value_kind:     hidden_block_count_y
      - .offset:         136
        .size:           4
        .value_kind:     hidden_block_count_z
      - .offset:         140
        .size:           2
        .value_kind:     hidden_group_size_x
      - .offset:         142
        .size:           2
        .value_kind:     hidden_group_size_y
      - .offset:         144
        .size:           2
        .value_kind:     hidden_group_size_z
      - .offset:         146
        .size:           2
        .value_kind:     hidden_remainder_x
      - .offset:         148
        .size:           2
        .value_kind:     hidden_remainder_y
      - .offset:         150
        .size:           2
        .value_kind:     hidden_remainder_z
      - .offset:         168
        .size:           8
        .value_kind:     hidden_global_offset_x
      - .offset:         176
        .size:           8
        .value_kind:     hidden_global_offset_y
      - .offset:         184
        .size:           8
        .value_kind:     hidden_global_offset_z
      - .offset:         192
        .size:           2
        .value_kind:     hidden_grid_dims
      - .offset:         248
        .size:           4
        .value_kind:     hidden_dynamic_lds_size
    .group_segment_fixed_size: 1040
    .kernarg_segment_align: 8
    .kernarg_segment_size: 384
    .language:       OpenCL C
    .language_version:
      - 2
      - 0
    .max_flat_workgroup_size: 1024
    .name:           _ZN4vllm25paged_attention_v1_kernelIfhLi256ELi8ELi128ELNS_18Fp8KVCacheDataTypeE1ELb1EEEvPT_PKS2_PKT0_S8_ifPKiSA_iPKfiiiSC_SC_iiiii
    .private_segment_fixed_size: 116
    .sgpr_count:     64
    .sgpr_spill_count: 0
    .symbol:         _ZN4vllm25paged_attention_v1_kernelIfhLi256ELi8ELi128ELNS_18Fp8KVCacheDataTypeE1ELb1EEEvPT_PKS2_PKT0_S8_ifPKiSA_iPKfiiiSC_SC_iiiii.kd
    .uniform_work_group_size: 1
    .uses_dynamic_stack: false
    .vgpr_count:     64
    .vgpr_spill_count: 78
    .wavefront_size: 64
  - .args:
      - .actual_access:  write_only
        .address_space:  global
        .offset:         0
        .size:           8
        .value_kind:     global_buffer
      - .actual_access:  read_only
        .address_space:  global
        .offset:         8
        .size:           8
        .value_kind:     global_buffer
      - .actual_access:  read_only
        .address_space:  global
        .offset:         16
        .size:           8
        .value_kind:     global_buffer
      - .actual_access:  read_only
        .address_space:  global
        .offset:         24
        .size:           8
        .value_kind:     global_buffer
      - .offset:         32
        .size:           4
        .value_kind:     by_value
      - .offset:         36
        .size:           4
        .value_kind:     by_value
      - .actual_access:  read_only
        .address_space:  global
        .offset:         40
        .size:           8
        .value_kind:     global_buffer
      - .actual_access:  read_only
        .address_space:  global
        .offset:         48
        .size:           8
        .value_kind:     global_buffer
      - .offset:         56
        .size:           4
        .value_kind:     by_value
      - .actual_access:  read_only
        .address_space:  global
        .offset:         64
        .size:           8
        .value_kind:     global_buffer
      - .offset:         72
        .size:           4
        .value_kind:     by_value
      - .offset:         76
        .size:           4
        .value_kind:     by_value
      - .offset:         80
        .size:           4
        .value_kind:     by_value
      - .address_space:  global
        .offset:         88
        .size:           8
        .value_kind:     global_buffer
      - .address_space:  global
        .offset:         96
        .size:           8
        .value_kind:     global_buffer
      - .offset:         104
        .size:           4
        .value_kind:     by_value
      - .offset:         108
        .size:           4
        .value_kind:     by_value
      - .offset:         112
        .size:           4
        .value_kind:     by_value
      - .offset:         116
        .size:           4
        .value_kind:     by_value
      - .offset:         120
        .size:           4
        .value_kind:     by_value
      - .offset:         128
        .size:           4
        .value_kind:     hidden_block_count_x
      - .offset:         132
        .size:           4
        .value_kind:     hidden_block_count_y
      - .offset:         136
        .size:           4
        .value_kind:     hidden_block_count_z
      - .offset:         140
        .size:           2
        .value_kind:     hidden_group_size_x
      - .offset:         142
        .size:           2
        .value_kind:     hidden_group_size_y
      - .offset:         144
        .size:           2
        .value_kind:     hidden_group_size_z
      - .offset:         146
        .size:           2
        .value_kind:     hidden_remainder_x
      - .offset:         148
        .size:           2
        .value_kind:     hidden_remainder_y
      - .offset:         150
        .size:           2
        .value_kind:     hidden_remainder_z
      - .offset:         168
        .size:           8
        .value_kind:     hidden_global_offset_x
      - .offset:         176
        .size:           8
        .value_kind:     hidden_global_offset_y
      - .offset:         184
        .size:           8
        .value_kind:     hidden_global_offset_z
      - .offset:         192
        .size:           2
        .value_kind:     hidden_grid_dims
      - .offset:         248
        .size:           4
        .value_kind:     hidden_dynamic_lds_size
    .group_segment_fixed_size: 144
    .kernarg_segment_align: 8
    .kernarg_segment_size: 384
    .language:       OpenCL C
    .language_version:
      - 2
      - 0
    .max_flat_workgroup_size: 1024
    .name:           _ZN4vllm25paged_attention_v1_kernelIfhLi32ELi8ELi128ELNS_18Fp8KVCacheDataTypeE1ELb0EEEvPT_PKS2_PKT0_S8_ifPKiSA_iPKfiiiSC_SC_iiiii
    .private_segment_fixed_size: 0
    .sgpr_count:     47
    .sgpr_spill_count: 0
    .symbol:         _ZN4vllm25paged_attention_v1_kernelIfhLi32ELi8ELi128ELNS_18Fp8KVCacheDataTypeE1ELb0EEEvPT_PKS2_PKT0_S8_ifPKiSA_iPKfiiiSC_SC_iiiii.kd
    .uniform_work_group_size: 1
    .uses_dynamic_stack: false
    .vgpr_count:     36
    .vgpr_spill_count: 0
    .wavefront_size: 64
  - .args:
      - .actual_access:  write_only
        .address_space:  global
        .offset:         0
        .size:           8
        .value_kind:     global_buffer
      - .actual_access:  read_only
        .address_space:  global
        .offset:         8
        .size:           8
        .value_kind:     global_buffer
      - .actual_access:  read_only
        .address_space:  global
        .offset:         16
        .size:           8
        .value_kind:     global_buffer
      - .actual_access:  read_only
        .address_space:  global
        .offset:         24
        .size:           8
        .value_kind:     global_buffer
      - .offset:         32
        .size:           4
        .value_kind:     by_value
      - .offset:         36
        .size:           4
        .value_kind:     by_value
      - .actual_access:  read_only
        .address_space:  global
        .offset:         40
        .size:           8
        .value_kind:     global_buffer
      - .actual_access:  read_only
        .address_space:  global
        .offset:         48
        .size:           8
        .value_kind:     global_buffer
      - .offset:         56
        .size:           4
        .value_kind:     by_value
      - .actual_access:  read_only
        .address_space:  global
        .offset:         64
        .size:           8
        .value_kind:     global_buffer
      - .offset:         72
        .size:           4
        .value_kind:     by_value
      - .offset:         76
        .size:           4
        .value_kind:     by_value
      - .offset:         80
        .size:           4
        .value_kind:     by_value
      - .address_space:  global
        .offset:         88
        .size:           8
        .value_kind:     global_buffer
      - .address_space:  global
        .offset:         96
        .size:           8
        .value_kind:     global_buffer
      - .offset:         104
        .size:           4
        .value_kind:     by_value
      - .offset:         108
        .size:           4
        .value_kind:     by_value
      - .offset:         112
        .size:           4
        .value_kind:     by_value
      - .offset:         116
        .size:           4
        .value_kind:     by_value
      - .offset:         120
        .size:           4
        .value_kind:     by_value
      - .offset:         128
        .size:           4
        .value_kind:     hidden_block_count_x
      - .offset:         132
        .size:           4
        .value_kind:     hidden_block_count_y
      - .offset:         136
        .size:           4
        .value_kind:     hidden_block_count_z
      - .offset:         140
        .size:           2
        .value_kind:     hidden_group_size_x
      - .offset:         142
        .size:           2
        .value_kind:     hidden_group_size_y
      - .offset:         144
        .size:           2
        .value_kind:     hidden_group_size_z
      - .offset:         146
        .size:           2
        .value_kind:     hidden_remainder_x
      - .offset:         148
        .size:           2
        .value_kind:     hidden_remainder_y
      - .offset:         150
        .size:           2
        .value_kind:     hidden_remainder_z
      - .offset:         168
        .size:           8
        .value_kind:     hidden_global_offset_x
      - .offset:         176
        .size:           8
        .value_kind:     hidden_global_offset_y
      - .offset:         184
        .size:           8
        .value_kind:     hidden_global_offset_z
      - .offset:         192
        .size:           2
        .value_kind:     hidden_grid_dims
      - .offset:         248
        .size:           4
        .value_kind:     hidden_dynamic_lds_size
    .group_segment_fixed_size: 272
    .kernarg_segment_align: 8
    .kernarg_segment_size: 384
    .language:       OpenCL C
    .language_version:
      - 2
      - 0
    .max_flat_workgroup_size: 1024
    .name:           _ZN4vllm25paged_attention_v1_kernelIfhLi64ELi8ELi128ELNS_18Fp8KVCacheDataTypeE1ELb0EEEvPT_PKS2_PKT0_S8_ifPKiSA_iPKfiiiSC_SC_iiiii
    .private_segment_fixed_size: 0
    .sgpr_count:     49
    .sgpr_spill_count: 0
    .symbol:         _ZN4vllm25paged_attention_v1_kernelIfhLi64ELi8ELi128ELNS_18Fp8KVCacheDataTypeE1ELb0EEEvPT_PKS2_PKT0_S8_ifPKiSA_iPKfiiiSC_SC_iiiii.kd
    .uniform_work_group_size: 1
    .uses_dynamic_stack: false
    .vgpr_count:     45
    .vgpr_spill_count: 0
    .wavefront_size: 64
  - .args:
      - .actual_access:  write_only
        .address_space:  global
        .offset:         0
        .size:           8
        .value_kind:     global_buffer
      - .actual_access:  read_only
        .address_space:  global
        .offset:         8
        .size:           8
        .value_kind:     global_buffer
      - .actual_access:  read_only
        .address_space:  global
        .offset:         16
        .size:           8
        .value_kind:     global_buffer
      - .actual_access:  read_only
        .address_space:  global
        .offset:         24
        .size:           8
        .value_kind:     global_buffer
      - .offset:         32
        .size:           4
        .value_kind:     by_value
      - .offset:         36
        .size:           4
        .value_kind:     by_value
      - .actual_access:  read_only
        .address_space:  global
        .offset:         40
        .size:           8
        .value_kind:     global_buffer
      - .actual_access:  read_only
        .address_space:  global
        .offset:         48
        .size:           8
        .value_kind:     global_buffer
      - .offset:         56
        .size:           4
        .value_kind:     by_value
      - .actual_access:  read_only
        .address_space:  global
        .offset:         64
        .size:           8
        .value_kind:     global_buffer
      - .offset:         72
        .size:           4
        .value_kind:     by_value
      - .offset:         76
        .size:           4
        .value_kind:     by_value
      - .offset:         80
        .size:           4
        .value_kind:     by_value
      - .address_space:  global
        .offset:         88
        .size:           8
        .value_kind:     global_buffer
      - .address_space:  global
        .offset:         96
        .size:           8
        .value_kind:     global_buffer
      - .offset:         104
        .size:           4
        .value_kind:     by_value
      - .offset:         108
        .size:           4
        .value_kind:     by_value
      - .offset:         112
        .size:           4
        .value_kind:     by_value
      - .offset:         116
        .size:           4
        .value_kind:     by_value
      - .offset:         120
        .size:           4
        .value_kind:     by_value
      - .offset:         128
        .size:           4
        .value_kind:     hidden_block_count_x
      - .offset:         132
        .size:           4
        .value_kind:     hidden_block_count_y
      - .offset:         136
        .size:           4
        .value_kind:     hidden_block_count_z
      - .offset:         140
        .size:           2
        .value_kind:     hidden_group_size_x
      - .offset:         142
        .size:           2
        .value_kind:     hidden_group_size_y
      - .offset:         144
        .size:           2
        .value_kind:     hidden_group_size_z
      - .offset:         146
        .size:           2
        .value_kind:     hidden_remainder_x
      - .offset:         148
        .size:           2
        .value_kind:     hidden_remainder_y
      - .offset:         150
        .size:           2
        .value_kind:     hidden_remainder_z
      - .offset:         168
        .size:           8
        .value_kind:     hidden_global_offset_x
      - .offset:         176
        .size:           8
        .value_kind:     hidden_global_offset_y
      - .offset:         184
        .size:           8
        .value_kind:     hidden_global_offset_z
      - .offset:         192
        .size:           2
        .value_kind:     hidden_grid_dims
      - .offset:         248
        .size:           4
        .value_kind:     hidden_dynamic_lds_size
    .group_segment_fixed_size: 336
    .kernarg_segment_align: 8
    .kernarg_segment_size: 384
    .language:       OpenCL C
    .language_version:
      - 2
      - 0
    .max_flat_workgroup_size: 1024
    .name:           _ZN4vllm25paged_attention_v1_kernelIfhLi80ELi8ELi128ELNS_18Fp8KVCacheDataTypeE1ELb0EEEvPT_PKS2_PKT0_S8_ifPKiSA_iPKfiiiSC_SC_iiiii
    .private_segment_fixed_size: 0
    .sgpr_count:     47
    .sgpr_spill_count: 0
    .symbol:         _ZN4vllm25paged_attention_v1_kernelIfhLi80ELi8ELi128ELNS_18Fp8KVCacheDataTypeE1ELb0EEEvPT_PKS2_PKT0_S8_ifPKiSA_iPKfiiiSC_SC_iiiii.kd
    .uniform_work_group_size: 1
    .uses_dynamic_stack: false
    .vgpr_count:     50
    .vgpr_spill_count: 0
    .wavefront_size: 64
  - .args:
      - .actual_access:  write_only
        .address_space:  global
        .offset:         0
        .size:           8
        .value_kind:     global_buffer
      - .actual_access:  read_only
        .address_space:  global
        .offset:         8
        .size:           8
        .value_kind:     global_buffer
      - .actual_access:  read_only
        .address_space:  global
        .offset:         16
        .size:           8
        .value_kind:     global_buffer
      - .actual_access:  read_only
        .address_space:  global
        .offset:         24
        .size:           8
        .value_kind:     global_buffer
      - .offset:         32
        .size:           4
        .value_kind:     by_value
      - .offset:         36
        .size:           4
        .value_kind:     by_value
      - .actual_access:  read_only
        .address_space:  global
        .offset:         40
        .size:           8
        .value_kind:     global_buffer
      - .actual_access:  read_only
        .address_space:  global
        .offset:         48
        .size:           8
        .value_kind:     global_buffer
      - .offset:         56
        .size:           4
        .value_kind:     by_value
      - .actual_access:  read_only
        .address_space:  global
        .offset:         64
        .size:           8
        .value_kind:     global_buffer
      - .offset:         72
        .size:           4
        .value_kind:     by_value
      - .offset:         76
        .size:           4
        .value_kind:     by_value
      - .offset:         80
        .size:           4
        .value_kind:     by_value
      - .address_space:  global
        .offset:         88
        .size:           8
        .value_kind:     global_buffer
      - .address_space:  global
        .offset:         96
        .size:           8
        .value_kind:     global_buffer
      - .offset:         104
        .size:           4
        .value_kind:     by_value
      - .offset:         108
        .size:           4
        .value_kind:     by_value
      - .offset:         112
        .size:           4
        .value_kind:     by_value
      - .offset:         116
        .size:           4
        .value_kind:     by_value
      - .offset:         120
        .size:           4
        .value_kind:     by_value
      - .offset:         128
        .size:           4
        .value_kind:     hidden_block_count_x
      - .offset:         132
        .size:           4
        .value_kind:     hidden_block_count_y
      - .offset:         136
        .size:           4
        .value_kind:     hidden_block_count_z
      - .offset:         140
        .size:           2
        .value_kind:     hidden_group_size_x
      - .offset:         142
        .size:           2
        .value_kind:     hidden_group_size_y
      - .offset:         144
        .size:           2
        .value_kind:     hidden_group_size_z
      - .offset:         146
        .size:           2
        .value_kind:     hidden_remainder_x
      - .offset:         148
        .size:           2
        .value_kind:     hidden_remainder_y
      - .offset:         150
        .size:           2
        .value_kind:     hidden_remainder_z
      - .offset:         168
        .size:           8
        .value_kind:     hidden_global_offset_x
      - .offset:         176
        .size:           8
        .value_kind:     hidden_global_offset_y
      - .offset:         184
        .size:           8
        .value_kind:     hidden_global_offset_z
      - .offset:         192
        .size:           2
        .value_kind:     hidden_grid_dims
      - .offset:         248
        .size:           4
        .value_kind:     hidden_dynamic_lds_size
    .group_segment_fixed_size: 400
    .kernarg_segment_align: 8
    .kernarg_segment_size: 384
    .language:       OpenCL C
    .language_version:
      - 2
      - 0
    .max_flat_workgroup_size: 1024
    .name:           _ZN4vllm25paged_attention_v1_kernelIfhLi96ELi8ELi128ELNS_18Fp8KVCacheDataTypeE1ELb0EEEvPT_PKS2_PKT0_S8_ifPKiSA_iPKfiiiSC_SC_iiiii
    .private_segment_fixed_size: 0
    .sgpr_count:     47
    .sgpr_spill_count: 0
    .symbol:         _ZN4vllm25paged_attention_v1_kernelIfhLi96ELi8ELi128ELNS_18Fp8KVCacheDataTypeE1ELb0EEEvPT_PKS2_PKT0_S8_ifPKiSA_iPKfiiiSC_SC_iiiii.kd
    .uniform_work_group_size: 1
    .uses_dynamic_stack: false
    .vgpr_count:     52
    .vgpr_spill_count: 0
    .wavefront_size: 64
  - .args:
      - .actual_access:  write_only
        .address_space:  global
        .offset:         0
        .size:           8
        .value_kind:     global_buffer
      - .actual_access:  read_only
        .address_space:  global
        .offset:         8
        .size:           8
        .value_kind:     global_buffer
      - .actual_access:  read_only
        .address_space:  global
        .offset:         16
        .size:           8
        .value_kind:     global_buffer
      - .actual_access:  read_only
        .address_space:  global
        .offset:         24
        .size:           8
        .value_kind:     global_buffer
      - .offset:         32
        .size:           4
        .value_kind:     by_value
      - .offset:         36
        .size:           4
        .value_kind:     by_value
      - .actual_access:  read_only
        .address_space:  global
        .offset:         40
        .size:           8
        .value_kind:     global_buffer
      - .actual_access:  read_only
        .address_space:  global
        .offset:         48
        .size:           8
        .value_kind:     global_buffer
      - .offset:         56
        .size:           4
        .value_kind:     by_value
      - .actual_access:  read_only
        .address_space:  global
        .offset:         64
        .size:           8
        .value_kind:     global_buffer
      - .offset:         72
        .size:           4
        .value_kind:     by_value
      - .offset:         76
        .size:           4
        .value_kind:     by_value
      - .offset:         80
        .size:           4
        .value_kind:     by_value
      - .address_space:  global
        .offset:         88
        .size:           8
        .value_kind:     global_buffer
      - .address_space:  global
        .offset:         96
        .size:           8
        .value_kind:     global_buffer
      - .offset:         104
        .size:           4
        .value_kind:     by_value
      - .offset:         108
        .size:           4
        .value_kind:     by_value
      - .offset:         112
        .size:           4
        .value_kind:     by_value
      - .offset:         116
        .size:           4
        .value_kind:     by_value
      - .offset:         120
        .size:           4
        .value_kind:     by_value
      - .offset:         128
        .size:           4
        .value_kind:     hidden_block_count_x
      - .offset:         132
        .size:           4
        .value_kind:     hidden_block_count_y
      - .offset:         136
        .size:           4
        .value_kind:     hidden_block_count_z
      - .offset:         140
        .size:           2
        .value_kind:     hidden_group_size_x
      - .offset:         142
        .size:           2
        .value_kind:     hidden_group_size_y
      - .offset:         144
        .size:           2
        .value_kind:     hidden_group_size_z
      - .offset:         146
        .size:           2
        .value_kind:     hidden_remainder_x
      - .offset:         148
        .size:           2
        .value_kind:     hidden_remainder_y
      - .offset:         150
        .size:           2
        .value_kind:     hidden_remainder_z
      - .offset:         168
        .size:           8
        .value_kind:     hidden_global_offset_x
      - .offset:         176
        .size:           8
        .value_kind:     hidden_global_offset_y
      - .offset:         184
        .size:           8
        .value_kind:     hidden_global_offset_z
      - .offset:         192
        .size:           2
        .value_kind:     hidden_grid_dims
      - .offset:         248
        .size:           4
        .value_kind:     hidden_dynamic_lds_size
    .group_segment_fixed_size: 464
    .kernarg_segment_align: 8
    .kernarg_segment_size: 384
    .language:       OpenCL C
    .language_version:
      - 2
      - 0
    .max_flat_workgroup_size: 1024
    .name:           _ZN4vllm25paged_attention_v1_kernelIfhLi112ELi8ELi128ELNS_18Fp8KVCacheDataTypeE1ELb0EEEvPT_PKS2_PKT0_S8_ifPKiSA_iPKfiiiSC_SC_iiiii
    .private_segment_fixed_size: 0
    .sgpr_count:     47
    .sgpr_spill_count: 0
    .symbol:         _ZN4vllm25paged_attention_v1_kernelIfhLi112ELi8ELi128ELNS_18Fp8KVCacheDataTypeE1ELb0EEEvPT_PKS2_PKT0_S8_ifPKiSA_iPKfiiiSC_SC_iiiii.kd
    .uniform_work_group_size: 1
    .uses_dynamic_stack: false
    .vgpr_count:     56
    .vgpr_spill_count: 0
    .wavefront_size: 64
  - .args:
      - .actual_access:  write_only
        .address_space:  global
        .offset:         0
        .size:           8
        .value_kind:     global_buffer
      - .actual_access:  read_only
        .address_space:  global
        .offset:         8
        .size:           8
        .value_kind:     global_buffer
      - .actual_access:  read_only
        .address_space:  global
        .offset:         16
        .size:           8
        .value_kind:     global_buffer
      - .actual_access:  read_only
        .address_space:  global
        .offset:         24
        .size:           8
        .value_kind:     global_buffer
      - .offset:         32
        .size:           4
        .value_kind:     by_value
      - .offset:         36
        .size:           4
        .value_kind:     by_value
      - .actual_access:  read_only
        .address_space:  global
        .offset:         40
        .size:           8
        .value_kind:     global_buffer
      - .actual_access:  read_only
        .address_space:  global
        .offset:         48
        .size:           8
        .value_kind:     global_buffer
      - .offset:         56
        .size:           4
        .value_kind:     by_value
      - .actual_access:  read_only
        .address_space:  global
        .offset:         64
        .size:           8
        .value_kind:     global_buffer
      - .offset:         72
        .size:           4
        .value_kind:     by_value
      - .offset:         76
        .size:           4
        .value_kind:     by_value
      - .offset:         80
        .size:           4
        .value_kind:     by_value
      - .address_space:  global
        .offset:         88
        .size:           8
        .value_kind:     global_buffer
      - .address_space:  global
        .offset:         96
        .size:           8
        .value_kind:     global_buffer
      - .offset:         104
        .size:           4
        .value_kind:     by_value
      - .offset:         108
        .size:           4
        .value_kind:     by_value
      - .offset:         112
        .size:           4
        .value_kind:     by_value
      - .offset:         116
        .size:           4
        .value_kind:     by_value
      - .offset:         120
        .size:           4
        .value_kind:     by_value
      - .offset:         128
        .size:           4
        .value_kind:     hidden_block_count_x
      - .offset:         132
        .size:           4
        .value_kind:     hidden_block_count_y
      - .offset:         136
        .size:           4
        .value_kind:     hidden_block_count_z
      - .offset:         140
        .size:           2
        .value_kind:     hidden_group_size_x
      - .offset:         142
        .size:           2
        .value_kind:     hidden_group_size_y
      - .offset:         144
        .size:           2
        .value_kind:     hidden_group_size_z
      - .offset:         146
        .size:           2
        .value_kind:     hidden_remainder_x
      - .offset:         148
        .size:           2
        .value_kind:     hidden_remainder_y
      - .offset:         150
        .size:           2
        .value_kind:     hidden_remainder_z
      - .offset:         168
        .size:           8
        .value_kind:     hidden_global_offset_x
      - .offset:         176
        .size:           8
        .value_kind:     hidden_global_offset_y
      - .offset:         184
        .size:           8
        .value_kind:     hidden_global_offset_z
      - .offset:         192
        .size:           2
        .value_kind:     hidden_grid_dims
      - .offset:         248
        .size:           4
        .value_kind:     hidden_dynamic_lds_size
    .group_segment_fixed_size: 496
    .kernarg_segment_align: 8
    .kernarg_segment_size: 384
    .language:       OpenCL C
    .language_version:
      - 2
      - 0
    .max_flat_workgroup_size: 1024
    .name:           _ZN4vllm25paged_attention_v1_kernelIfhLi120ELi8ELi128ELNS_18Fp8KVCacheDataTypeE1ELb0EEEvPT_PKS2_PKT0_S8_ifPKiSA_iPKfiiiSC_SC_iiiii
    .private_segment_fixed_size: 0
    .sgpr_count:     47
    .sgpr_spill_count: 0
    .symbol:         _ZN4vllm25paged_attention_v1_kernelIfhLi120ELi8ELi128ELNS_18Fp8KVCacheDataTypeE1ELb0EEEvPT_PKS2_PKT0_S8_ifPKiSA_iPKfiiiSC_SC_iiiii.kd
    .uniform_work_group_size: 1
    .uses_dynamic_stack: false
    .vgpr_count:     59
    .vgpr_spill_count: 0
    .wavefront_size: 64
  - .args:
      - .actual_access:  write_only
        .address_space:  global
        .offset:         0
        .size:           8
        .value_kind:     global_buffer
      - .actual_access:  read_only
        .address_space:  global
        .offset:         8
        .size:           8
        .value_kind:     global_buffer
      - .actual_access:  read_only
        .address_space:  global
        .offset:         16
        .size:           8
        .value_kind:     global_buffer
      - .actual_access:  read_only
        .address_space:  global
        .offset:         24
        .size:           8
        .value_kind:     global_buffer
      - .offset:         32
        .size:           4
        .value_kind:     by_value
      - .offset:         36
        .size:           4
        .value_kind:     by_value
      - .actual_access:  read_only
        .address_space:  global
        .offset:         40
        .size:           8
        .value_kind:     global_buffer
      - .actual_access:  read_only
        .address_space:  global
        .offset:         48
        .size:           8
        .value_kind:     global_buffer
      - .offset:         56
        .size:           4
        .value_kind:     by_value
      - .actual_access:  read_only
        .address_space:  global
        .offset:         64
        .size:           8
        .value_kind:     global_buffer
      - .offset:         72
        .size:           4
        .value_kind:     by_value
      - .offset:         76
        .size:           4
        .value_kind:     by_value
      - .offset:         80
        .size:           4
        .value_kind:     by_value
      - .address_space:  global
        .offset:         88
        .size:           8
        .value_kind:     global_buffer
      - .address_space:  global
        .offset:         96
        .size:           8
        .value_kind:     global_buffer
      - .offset:         104
        .size:           4
        .value_kind:     by_value
      - .offset:         108
        .size:           4
        .value_kind:     by_value
      - .offset:         112
        .size:           4
        .value_kind:     by_value
      - .offset:         116
        .size:           4
        .value_kind:     by_value
      - .offset:         120
        .size:           4
        .value_kind:     by_value
      - .offset:         128
        .size:           4
        .value_kind:     hidden_block_count_x
      - .offset:         132
        .size:           4
        .value_kind:     hidden_block_count_y
      - .offset:         136
        .size:           4
        .value_kind:     hidden_block_count_z
      - .offset:         140
        .size:           2
        .value_kind:     hidden_group_size_x
      - .offset:         142
        .size:           2
        .value_kind:     hidden_group_size_y
      - .offset:         144
        .size:           2
        .value_kind:     hidden_group_size_z
      - .offset:         146
        .size:           2
        .value_kind:     hidden_remainder_x
      - .offset:         148
        .size:           2
        .value_kind:     hidden_remainder_y
      - .offset:         150
        .size:           2
        .value_kind:     hidden_remainder_z
      - .offset:         168
        .size:           8
        .value_kind:     hidden_global_offset_x
      - .offset:         176
        .size:           8
        .value_kind:     hidden_global_offset_y
      - .offset:         184
        .size:           8
        .value_kind:     hidden_global_offset_z
      - .offset:         192
        .size:           2
        .value_kind:     hidden_grid_dims
      - .offset:         248
        .size:           4
        .value_kind:     hidden_dynamic_lds_size
    .group_segment_fixed_size: 528
    .kernarg_segment_align: 8
    .kernarg_segment_size: 384
    .language:       OpenCL C
    .language_version:
      - 2
      - 0
    .max_flat_workgroup_size: 1024
    .name:           _ZN4vllm25paged_attention_v1_kernelIfhLi128ELi8ELi128ELNS_18Fp8KVCacheDataTypeE1ELb0EEEvPT_PKS2_PKT0_S8_ifPKiSA_iPKfiiiSC_SC_iiiii
    .private_segment_fixed_size: 0
    .sgpr_count:     47
    .sgpr_spill_count: 0
    .symbol:         _ZN4vllm25paged_attention_v1_kernelIfhLi128ELi8ELi128ELNS_18Fp8KVCacheDataTypeE1ELb0EEEvPT_PKS2_PKT0_S8_ifPKiSA_iPKfiiiSC_SC_iiiii.kd
    .uniform_work_group_size: 1
    .uses_dynamic_stack: false
    .vgpr_count:     60
    .vgpr_spill_count: 0
    .wavefront_size: 64
  - .args:
      - .actual_access:  write_only
        .address_space:  global
        .offset:         0
        .size:           8
        .value_kind:     global_buffer
      - .actual_access:  read_only
        .address_space:  global
        .offset:         8
        .size:           8
        .value_kind:     global_buffer
      - .actual_access:  read_only
        .address_space:  global
        .offset:         16
        .size:           8
        .value_kind:     global_buffer
      - .actual_access:  read_only
        .address_space:  global
        .offset:         24
        .size:           8
        .value_kind:     global_buffer
      - .offset:         32
        .size:           4
        .value_kind:     by_value
      - .offset:         36
        .size:           4
        .value_kind:     by_value
      - .actual_access:  read_only
        .address_space:  global
        .offset:         40
        .size:           8
        .value_kind:     global_buffer
      - .actual_access:  read_only
        .address_space:  global
        .offset:         48
        .size:           8
        .value_kind:     global_buffer
      - .offset:         56
        .size:           4
        .value_kind:     by_value
      - .actual_access:  read_only
        .address_space:  global
        .offset:         64
        .size:           8
        .value_kind:     global_buffer
      - .offset:         72
        .size:           4
        .value_kind:     by_value
      - .offset:         76
        .size:           4
        .value_kind:     by_value
      - .offset:         80
        .size:           4
        .value_kind:     by_value
      - .address_space:  global
        .offset:         88
        .size:           8
        .value_kind:     global_buffer
      - .address_space:  global
        .offset:         96
        .size:           8
        .value_kind:     global_buffer
      - .offset:         104
        .size:           4
        .value_kind:     by_value
      - .offset:         108
        .size:           4
        .value_kind:     by_value
      - .offset:         112
        .size:           4
        .value_kind:     by_value
      - .offset:         116
        .size:           4
        .value_kind:     by_value
      - .offset:         120
        .size:           4
        .value_kind:     by_value
      - .offset:         128
        .size:           4
        .value_kind:     hidden_block_count_x
      - .offset:         132
        .size:           4
        .value_kind:     hidden_block_count_y
      - .offset:         136
        .size:           4
        .value_kind:     hidden_block_count_z
      - .offset:         140
        .size:           2
        .value_kind:     hidden_group_size_x
      - .offset:         142
        .size:           2
        .value_kind:     hidden_group_size_y
      - .offset:         144
        .size:           2
        .value_kind:     hidden_group_size_z
      - .offset:         146
        .size:           2
        .value_kind:     hidden_remainder_x
      - .offset:         148
        .size:           2
        .value_kind:     hidden_remainder_y
      - .offset:         150
        .size:           2
        .value_kind:     hidden_remainder_z
      - .offset:         168
        .size:           8
        .value_kind:     hidden_global_offset_x
      - .offset:         176
        .size:           8
        .value_kind:     hidden_global_offset_y
      - .offset:         184
        .size:           8
        .value_kind:     hidden_global_offset_z
      - .offset:         192
        .size:           2
        .value_kind:     hidden_grid_dims
      - .offset:         248
        .size:           4
        .value_kind:     hidden_dynamic_lds_size
    .group_segment_fixed_size: 784
    .kernarg_segment_align: 8
    .kernarg_segment_size: 384
    .language:       OpenCL C
    .language_version:
      - 2
      - 0
    .max_flat_workgroup_size: 1024
    .name:           _ZN4vllm25paged_attention_v1_kernelIfhLi192ELi8ELi128ELNS_18Fp8KVCacheDataTypeE1ELb0EEEvPT_PKS2_PKT0_S8_ifPKiSA_iPKfiiiSC_SC_iiiii
    .private_segment_fixed_size: 44
    .sgpr_count:     52
    .sgpr_spill_count: 0
    .symbol:         _ZN4vllm25paged_attention_v1_kernelIfhLi192ELi8ELi128ELNS_18Fp8KVCacheDataTypeE1ELb0EEEvPT_PKS2_PKT0_S8_ifPKiSA_iPKfiiiSC_SC_iiiii.kd
    .uniform_work_group_size: 1
    .uses_dynamic_stack: false
    .vgpr_count:     64
    .vgpr_spill_count: 10
    .wavefront_size: 64
  - .args:
      - .actual_access:  write_only
        .address_space:  global
        .offset:         0
        .size:           8
        .value_kind:     global_buffer
      - .actual_access:  read_only
        .address_space:  global
        .offset:         8
        .size:           8
        .value_kind:     global_buffer
      - .actual_access:  read_only
        .address_space:  global
        .offset:         16
        .size:           8
        .value_kind:     global_buffer
      - .actual_access:  read_only
        .address_space:  global
        .offset:         24
        .size:           8
        .value_kind:     global_buffer
      - .offset:         32
        .size:           4
        .value_kind:     by_value
      - .offset:         36
        .size:           4
        .value_kind:     by_value
      - .actual_access:  read_only
        .address_space:  global
        .offset:         40
        .size:           8
        .value_kind:     global_buffer
      - .actual_access:  read_only
        .address_space:  global
        .offset:         48
        .size:           8
        .value_kind:     global_buffer
      - .offset:         56
        .size:           4
        .value_kind:     by_value
      - .actual_access:  read_only
        .address_space:  global
        .offset:         64
        .size:           8
        .value_kind:     global_buffer
      - .offset:         72
        .size:           4
        .value_kind:     by_value
      - .offset:         76
        .size:           4
        .value_kind:     by_value
      - .offset:         80
        .size:           4
        .value_kind:     by_value
      - .address_space:  global
        .offset:         88
        .size:           8
        .value_kind:     global_buffer
      - .address_space:  global
        .offset:         96
        .size:           8
        .value_kind:     global_buffer
      - .offset:         104
        .size:           4
        .value_kind:     by_value
      - .offset:         108
        .size:           4
        .value_kind:     by_value
      - .offset:         112
        .size:           4
        .value_kind:     by_value
      - .offset:         116
        .size:           4
        .value_kind:     by_value
      - .offset:         120
        .size:           4
        .value_kind:     by_value
      - .offset:         128
        .size:           4
        .value_kind:     hidden_block_count_x
      - .offset:         132
        .size:           4
        .value_kind:     hidden_block_count_y
      - .offset:         136
        .size:           4
        .value_kind:     hidden_block_count_z
      - .offset:         140
        .size:           2
        .value_kind:     hidden_group_size_x
      - .offset:         142
        .size:           2
        .value_kind:     hidden_group_size_y
      - .offset:         144
        .size:           2
        .value_kind:     hidden_group_size_z
      - .offset:         146
        .size:           2
        .value_kind:     hidden_remainder_x
      - .offset:         148
        .size:           2
        .value_kind:     hidden_remainder_y
      - .offset:         150
        .size:           2
        .value_kind:     hidden_remainder_z
      - .offset:         168
        .size:           8
        .value_kind:     hidden_global_offset_x
      - .offset:         176
        .size:           8
        .value_kind:     hidden_global_offset_y
      - .offset:         184
        .size:           8
        .value_kind:     hidden_global_offset_z
      - .offset:         192
        .size:           2
        .value_kind:     hidden_grid_dims
      - .offset:         248
        .size:           4
        .value_kind:     hidden_dynamic_lds_size
    .group_segment_fixed_size: 1040
    .kernarg_segment_align: 8
    .kernarg_segment_size: 384
    .language:       OpenCL C
    .language_version:
      - 2
      - 0
    .max_flat_workgroup_size: 1024
    .name:           _ZN4vllm25paged_attention_v1_kernelIfhLi256ELi8ELi128ELNS_18Fp8KVCacheDataTypeE1ELb0EEEvPT_PKS2_PKT0_S8_ifPKiSA_iPKfiiiSC_SC_iiiii
    .private_segment_fixed_size: 108
    .sgpr_count:     52
    .sgpr_spill_count: 0
    .symbol:         _ZN4vllm25paged_attention_v1_kernelIfhLi256ELi8ELi128ELNS_18Fp8KVCacheDataTypeE1ELb0EEEvPT_PKS2_PKT0_S8_ifPKiSA_iPKfiiiSC_SC_iiiii.kd
    .uniform_work_group_size: 1
    .uses_dynamic_stack: false
    .vgpr_count:     64
    .vgpr_spill_count: 47
    .wavefront_size: 64
  - .args:
      - .actual_access:  write_only
        .address_space:  global
        .offset:         0
        .size:           8
        .value_kind:     global_buffer
      - .actual_access:  read_only
        .address_space:  global
        .offset:         8
        .size:           8
        .value_kind:     global_buffer
      - .actual_access:  read_only
        .address_space:  global
        .offset:         16
        .size:           8
        .value_kind:     global_buffer
      - .actual_access:  read_only
        .address_space:  global
        .offset:         24
        .size:           8
        .value_kind:     global_buffer
      - .offset:         32
        .size:           4
        .value_kind:     by_value
      - .offset:         36
        .size:           4
        .value_kind:     by_value
      - .actual_access:  read_only
        .address_space:  global
        .offset:         40
        .size:           8
        .value_kind:     global_buffer
      - .actual_access:  read_only
        .address_space:  global
        .offset:         48
        .size:           8
        .value_kind:     global_buffer
      - .offset:         56
        .size:           4
        .value_kind:     by_value
      - .actual_access:  read_only
        .address_space:  global
        .offset:         64
        .size:           8
        .value_kind:     global_buffer
      - .offset:         72
        .size:           4
        .value_kind:     by_value
      - .offset:         76
        .size:           4
        .value_kind:     by_value
      - .offset:         80
        .size:           4
        .value_kind:     by_value
      - .address_space:  global
        .offset:         88
        .size:           8
        .value_kind:     global_buffer
      - .address_space:  global
        .offset:         96
        .size:           8
        .value_kind:     global_buffer
      - .offset:         104
        .size:           4
        .value_kind:     by_value
      - .offset:         108
        .size:           4
        .value_kind:     by_value
      - .offset:         112
        .size:           4
        .value_kind:     by_value
      - .offset:         116
        .size:           4
        .value_kind:     by_value
      - .offset:         120
        .size:           4
        .value_kind:     by_value
      - .offset:         128
        .size:           4
        .value_kind:     hidden_block_count_x
      - .offset:         132
        .size:           4
        .value_kind:     hidden_block_count_y
      - .offset:         136
        .size:           4
        .value_kind:     hidden_block_count_z
      - .offset:         140
        .size:           2
        .value_kind:     hidden_group_size_x
      - .offset:         142
        .size:           2
        .value_kind:     hidden_group_size_y
      - .offset:         144
        .size:           2
        .value_kind:     hidden_group_size_z
      - .offset:         146
        .size:           2
        .value_kind:     hidden_remainder_x
      - .offset:         148
        .size:           2
        .value_kind:     hidden_remainder_y
      - .offset:         150
        .size:           2
        .value_kind:     hidden_remainder_z
      - .offset:         168
        .size:           8
        .value_kind:     hidden_global_offset_x
      - .offset:         176
        .size:           8
        .value_kind:     hidden_global_offset_y
      - .offset:         184
        .size:           8
        .value_kind:     hidden_global_offset_z
      - .offset:         192
        .size:           2
        .value_kind:     hidden_grid_dims
      - .offset:         248
        .size:           4
        .value_kind:     hidden_dynamic_lds_size
    .group_segment_fixed_size: 144
    .kernarg_segment_align: 8
    .kernarg_segment_size: 384
    .language:       OpenCL C
    .language_version:
      - 2
      - 0
    .max_flat_workgroup_size: 1024
    .name:           _ZN4vllm25paged_attention_v1_kernelIfhLi32ELi16ELi128ELNS_18Fp8KVCacheDataTypeE1ELb1EEEvPT_PKS2_PKT0_S8_ifPKiSA_iPKfiiiSC_SC_iiiii
    .private_segment_fixed_size: 0
    .sgpr_count:     59
    .sgpr_spill_count: 0
    .symbol:         _ZN4vllm25paged_attention_v1_kernelIfhLi32ELi16ELi128ELNS_18Fp8KVCacheDataTypeE1ELb1EEEvPT_PKS2_PKT0_S8_ifPKiSA_iPKfiiiSC_SC_iiiii.kd
    .uniform_work_group_size: 1
    .uses_dynamic_stack: false
    .vgpr_count:     50
    .vgpr_spill_count: 0
    .wavefront_size: 64
  - .args:
      - .actual_access:  write_only
        .address_space:  global
        .offset:         0
        .size:           8
        .value_kind:     global_buffer
      - .actual_access:  read_only
        .address_space:  global
        .offset:         8
        .size:           8
        .value_kind:     global_buffer
      - .actual_access:  read_only
        .address_space:  global
        .offset:         16
        .size:           8
        .value_kind:     global_buffer
      - .actual_access:  read_only
        .address_space:  global
        .offset:         24
        .size:           8
        .value_kind:     global_buffer
      - .offset:         32
        .size:           4
        .value_kind:     by_value
      - .offset:         36
        .size:           4
        .value_kind:     by_value
      - .actual_access:  read_only
        .address_space:  global
        .offset:         40
        .size:           8
        .value_kind:     global_buffer
      - .actual_access:  read_only
        .address_space:  global
        .offset:         48
        .size:           8
        .value_kind:     global_buffer
      - .offset:         56
        .size:           4
        .value_kind:     by_value
      - .actual_access:  read_only
        .address_space:  global
        .offset:         64
        .size:           8
        .value_kind:     global_buffer
      - .offset:         72
        .size:           4
        .value_kind:     by_value
      - .offset:         76
        .size:           4
        .value_kind:     by_value
      - .offset:         80
        .size:           4
        .value_kind:     by_value
      - .address_space:  global
        .offset:         88
        .size:           8
        .value_kind:     global_buffer
      - .address_space:  global
        .offset:         96
        .size:           8
        .value_kind:     global_buffer
      - .offset:         104
        .size:           4
        .value_kind:     by_value
      - .offset:         108
        .size:           4
        .value_kind:     by_value
      - .offset:         112
        .size:           4
        .value_kind:     by_value
      - .offset:         116
        .size:           4
        .value_kind:     by_value
      - .offset:         120
        .size:           4
        .value_kind:     by_value
      - .offset:         128
        .size:           4
        .value_kind:     hidden_block_count_x
      - .offset:         132
        .size:           4
        .value_kind:     hidden_block_count_y
      - .offset:         136
        .size:           4
        .value_kind:     hidden_block_count_z
      - .offset:         140
        .size:           2
        .value_kind:     hidden_group_size_x
      - .offset:         142
        .size:           2
        .value_kind:     hidden_group_size_y
      - .offset:         144
        .size:           2
        .value_kind:     hidden_group_size_z
      - .offset:         146
        .size:           2
        .value_kind:     hidden_remainder_x
      - .offset:         148
        .size:           2
        .value_kind:     hidden_remainder_y
      - .offset:         150
        .size:           2
        .value_kind:     hidden_remainder_z
      - .offset:         168
        .size:           8
        .value_kind:     hidden_global_offset_x
      - .offset:         176
        .size:           8
        .value_kind:     hidden_global_offset_y
      - .offset:         184
        .size:           8
        .value_kind:     hidden_global_offset_z
      - .offset:         192
        .size:           2
        .value_kind:     hidden_grid_dims
      - .offset:         248
        .size:           4
        .value_kind:     hidden_dynamic_lds_size
    .group_segment_fixed_size: 272
    .kernarg_segment_align: 8
    .kernarg_segment_size: 384
    .language:       OpenCL C
    .language_version:
      - 2
      - 0
    .max_flat_workgroup_size: 1024
    .name:           _ZN4vllm25paged_attention_v1_kernelIfhLi64ELi16ELi128ELNS_18Fp8KVCacheDataTypeE1ELb1EEEvPT_PKS2_PKT0_S8_ifPKiSA_iPKfiiiSC_SC_iiiii
    .private_segment_fixed_size: 0
    .sgpr_count:     61
    .sgpr_spill_count: 0
    .symbol:         _ZN4vllm25paged_attention_v1_kernelIfhLi64ELi16ELi128ELNS_18Fp8KVCacheDataTypeE1ELb1EEEvPT_PKS2_PKT0_S8_ifPKiSA_iPKfiiiSC_SC_iiiii.kd
    .uniform_work_group_size: 1
    .uses_dynamic_stack: false
    .vgpr_count:     63
    .vgpr_spill_count: 0
    .wavefront_size: 64
  - .args:
      - .actual_access:  write_only
        .address_space:  global
        .offset:         0
        .size:           8
        .value_kind:     global_buffer
      - .actual_access:  read_only
        .address_space:  global
        .offset:         8
        .size:           8
        .value_kind:     global_buffer
      - .actual_access:  read_only
        .address_space:  global
        .offset:         16
        .size:           8
        .value_kind:     global_buffer
      - .actual_access:  read_only
        .address_space:  global
        .offset:         24
        .size:           8
        .value_kind:     global_buffer
      - .offset:         32
        .size:           4
        .value_kind:     by_value
      - .offset:         36
        .size:           4
        .value_kind:     by_value
      - .actual_access:  read_only
        .address_space:  global
        .offset:         40
        .size:           8
        .value_kind:     global_buffer
      - .actual_access:  read_only
        .address_space:  global
        .offset:         48
        .size:           8
        .value_kind:     global_buffer
      - .offset:         56
        .size:           4
        .value_kind:     by_value
      - .actual_access:  read_only
        .address_space:  global
        .offset:         64
        .size:           8
        .value_kind:     global_buffer
      - .offset:         72
        .size:           4
        .value_kind:     by_value
      - .offset:         76
        .size:           4
        .value_kind:     by_value
      - .offset:         80
        .size:           4
        .value_kind:     by_value
      - .address_space:  global
        .offset:         88
        .size:           8
        .value_kind:     global_buffer
      - .address_space:  global
        .offset:         96
        .size:           8
        .value_kind:     global_buffer
      - .offset:         104
        .size:           4
        .value_kind:     by_value
      - .offset:         108
        .size:           4
        .value_kind:     by_value
      - .offset:         112
        .size:           4
        .value_kind:     by_value
      - .offset:         116
        .size:           4
        .value_kind:     by_value
      - .offset:         120
        .size:           4
        .value_kind:     by_value
      - .offset:         128
        .size:           4
        .value_kind:     hidden_block_count_x
      - .offset:         132
        .size:           4
        .value_kind:     hidden_block_count_y
      - .offset:         136
        .size:           4
        .value_kind:     hidden_block_count_z
      - .offset:         140
        .size:           2
        .value_kind:     hidden_group_size_x
      - .offset:         142
        .size:           2
        .value_kind:     hidden_group_size_y
      - .offset:         144
        .size:           2
        .value_kind:     hidden_group_size_z
      - .offset:         146
        .size:           2
        .value_kind:     hidden_remainder_x
      - .offset:         148
        .size:           2
        .value_kind:     hidden_remainder_y
      - .offset:         150
        .size:           2
        .value_kind:     hidden_remainder_z
      - .offset:         168
        .size:           8
        .value_kind:     hidden_global_offset_x
      - .offset:         176
        .size:           8
        .value_kind:     hidden_global_offset_y
      - .offset:         184
        .size:           8
        .value_kind:     hidden_global_offset_z
      - .offset:         192
        .size:           2
        .value_kind:     hidden_grid_dims
      - .offset:         248
        .size:           4
        .value_kind:     hidden_dynamic_lds_size
    .group_segment_fixed_size: 336
    .kernarg_segment_align: 8
    .kernarg_segment_size: 384
    .language:       OpenCL C
    .language_version:
      - 2
      - 0
    .max_flat_workgroup_size: 1024
    .name:           _ZN4vllm25paged_attention_v1_kernelIfhLi80ELi16ELi128ELNS_18Fp8KVCacheDataTypeE1ELb1EEEvPT_PKS2_PKT0_S8_ifPKiSA_iPKfiiiSC_SC_iiiii
    .private_segment_fixed_size: 12
    .sgpr_count:     64
    .sgpr_spill_count: 0
    .symbol:         _ZN4vllm25paged_attention_v1_kernelIfhLi80ELi16ELi128ELNS_18Fp8KVCacheDataTypeE1ELb1EEEvPT_PKS2_PKT0_S8_ifPKiSA_iPKfiiiSC_SC_iiiii.kd
    .uniform_work_group_size: 1
    .uses_dynamic_stack: false
    .vgpr_count:     64
    .vgpr_spill_count: 2
    .wavefront_size: 64
  - .args:
      - .actual_access:  write_only
        .address_space:  global
        .offset:         0
        .size:           8
        .value_kind:     global_buffer
      - .actual_access:  read_only
        .address_space:  global
        .offset:         8
        .size:           8
        .value_kind:     global_buffer
      - .actual_access:  read_only
        .address_space:  global
        .offset:         16
        .size:           8
        .value_kind:     global_buffer
      - .actual_access:  read_only
        .address_space:  global
        .offset:         24
        .size:           8
        .value_kind:     global_buffer
      - .offset:         32
        .size:           4
        .value_kind:     by_value
      - .offset:         36
        .size:           4
        .value_kind:     by_value
      - .actual_access:  read_only
        .address_space:  global
        .offset:         40
        .size:           8
        .value_kind:     global_buffer
      - .actual_access:  read_only
        .address_space:  global
        .offset:         48
        .size:           8
        .value_kind:     global_buffer
      - .offset:         56
        .size:           4
        .value_kind:     by_value
      - .actual_access:  read_only
        .address_space:  global
        .offset:         64
        .size:           8
        .value_kind:     global_buffer
      - .offset:         72
        .size:           4
        .value_kind:     by_value
      - .offset:         76
        .size:           4
        .value_kind:     by_value
      - .offset:         80
        .size:           4
        .value_kind:     by_value
      - .address_space:  global
        .offset:         88
        .size:           8
        .value_kind:     global_buffer
      - .address_space:  global
        .offset:         96
        .size:           8
        .value_kind:     global_buffer
      - .offset:         104
        .size:           4
        .value_kind:     by_value
      - .offset:         108
        .size:           4
        .value_kind:     by_value
      - .offset:         112
        .size:           4
        .value_kind:     by_value
      - .offset:         116
        .size:           4
        .value_kind:     by_value
      - .offset:         120
        .size:           4
        .value_kind:     by_value
      - .offset:         128
        .size:           4
        .value_kind:     hidden_block_count_x
      - .offset:         132
        .size:           4
        .value_kind:     hidden_block_count_y
      - .offset:         136
        .size:           4
        .value_kind:     hidden_block_count_z
      - .offset:         140
        .size:           2
        .value_kind:     hidden_group_size_x
      - .offset:         142
        .size:           2
        .value_kind:     hidden_group_size_y
      - .offset:         144
        .size:           2
        .value_kind:     hidden_group_size_z
      - .offset:         146
        .size:           2
        .value_kind:     hidden_remainder_x
      - .offset:         148
        .size:           2
        .value_kind:     hidden_remainder_y
      - .offset:         150
        .size:           2
        .value_kind:     hidden_remainder_z
      - .offset:         168
        .size:           8
        .value_kind:     hidden_global_offset_x
      - .offset:         176
        .size:           8
        .value_kind:     hidden_global_offset_y
      - .offset:         184
        .size:           8
        .value_kind:     hidden_global_offset_z
      - .offset:         192
        .size:           2
        .value_kind:     hidden_grid_dims
      - .offset:         248
        .size:           4
        .value_kind:     hidden_dynamic_lds_size
    .group_segment_fixed_size: 400
    .kernarg_segment_align: 8
    .kernarg_segment_size: 384
    .language:       OpenCL C
    .language_version:
      - 2
      - 0
    .max_flat_workgroup_size: 1024
    .name:           _ZN4vllm25paged_attention_v1_kernelIfhLi96ELi16ELi128ELNS_18Fp8KVCacheDataTypeE1ELb1EEEvPT_PKS2_PKT0_S8_ifPKiSA_iPKfiiiSC_SC_iiiii
    .private_segment_fixed_size: 56
    .sgpr_count:     64
    .sgpr_spill_count: 0
    .symbol:         _ZN4vllm25paged_attention_v1_kernelIfhLi96ELi16ELi128ELNS_18Fp8KVCacheDataTypeE1ELb1EEEvPT_PKS2_PKT0_S8_ifPKiSA_iPKfiiiSC_SC_iiiii.kd
    .uniform_work_group_size: 1
    .uses_dynamic_stack: false
    .vgpr_count:     64
    .vgpr_spill_count: 15
    .wavefront_size: 64
  - .args:
      - .actual_access:  write_only
        .address_space:  global
        .offset:         0
        .size:           8
        .value_kind:     global_buffer
      - .actual_access:  read_only
        .address_space:  global
        .offset:         8
        .size:           8
        .value_kind:     global_buffer
      - .actual_access:  read_only
        .address_space:  global
        .offset:         16
        .size:           8
        .value_kind:     global_buffer
      - .actual_access:  read_only
        .address_space:  global
        .offset:         24
        .size:           8
        .value_kind:     global_buffer
      - .offset:         32
        .size:           4
        .value_kind:     by_value
      - .offset:         36
        .size:           4
        .value_kind:     by_value
      - .actual_access:  read_only
        .address_space:  global
        .offset:         40
        .size:           8
        .value_kind:     global_buffer
      - .actual_access:  read_only
        .address_space:  global
        .offset:         48
        .size:           8
        .value_kind:     global_buffer
      - .offset:         56
        .size:           4
        .value_kind:     by_value
      - .actual_access:  read_only
        .address_space:  global
        .offset:         64
        .size:           8
        .value_kind:     global_buffer
      - .offset:         72
        .size:           4
        .value_kind:     by_value
      - .offset:         76
        .size:           4
        .value_kind:     by_value
      - .offset:         80
        .size:           4
        .value_kind:     by_value
      - .address_space:  global
        .offset:         88
        .size:           8
        .value_kind:     global_buffer
      - .address_space:  global
        .offset:         96
        .size:           8
        .value_kind:     global_buffer
      - .offset:         104
        .size:           4
        .value_kind:     by_value
      - .offset:         108
        .size:           4
        .value_kind:     by_value
      - .offset:         112
        .size:           4
        .value_kind:     by_value
      - .offset:         116
        .size:           4
        .value_kind:     by_value
      - .offset:         120
        .size:           4
        .value_kind:     by_value
      - .offset:         128
        .size:           4
        .value_kind:     hidden_block_count_x
      - .offset:         132
        .size:           4
        .value_kind:     hidden_block_count_y
      - .offset:         136
        .size:           4
        .value_kind:     hidden_block_count_z
      - .offset:         140
        .size:           2
        .value_kind:     hidden_group_size_x
      - .offset:         142
        .size:           2
        .value_kind:     hidden_group_size_y
      - .offset:         144
        .size:           2
        .value_kind:     hidden_group_size_z
      - .offset:         146
        .size:           2
        .value_kind:     hidden_remainder_x
      - .offset:         148
        .size:           2
        .value_kind:     hidden_remainder_y
      - .offset:         150
        .size:           2
        .value_kind:     hidden_remainder_z
      - .offset:         168
        .size:           8
        .value_kind:     hidden_global_offset_x
      - .offset:         176
        .size:           8
        .value_kind:     hidden_global_offset_y
      - .offset:         184
        .size:           8
        .value_kind:     hidden_global_offset_z
      - .offset:         192
        .size:           2
        .value_kind:     hidden_grid_dims
      - .offset:         248
        .size:           4
        .value_kind:     hidden_dynamic_lds_size
    .group_segment_fixed_size: 464
    .kernarg_segment_align: 8
    .kernarg_segment_size: 384
    .language:       OpenCL C
    .language_version:
      - 2
      - 0
    .max_flat_workgroup_size: 1024
    .name:           _ZN4vllm25paged_attention_v1_kernelIfhLi112ELi16ELi128ELNS_18Fp8KVCacheDataTypeE1ELb1EEEvPT_PKS2_PKT0_S8_ifPKiSA_iPKfiiiSC_SC_iiiii
    .private_segment_fixed_size: 100
    .sgpr_count:     64
    .sgpr_spill_count: 0
    .symbol:         _ZN4vllm25paged_attention_v1_kernelIfhLi112ELi16ELi128ELNS_18Fp8KVCacheDataTypeE1ELb1EEEvPT_PKS2_PKT0_S8_ifPKiSA_iPKfiiiSC_SC_iiiii.kd
    .uniform_work_group_size: 1
    .uses_dynamic_stack: false
    .vgpr_count:     64
    .vgpr_spill_count: 39
    .wavefront_size: 64
  - .args:
      - .actual_access:  write_only
        .address_space:  global
        .offset:         0
        .size:           8
        .value_kind:     global_buffer
      - .actual_access:  read_only
        .address_space:  global
        .offset:         8
        .size:           8
        .value_kind:     global_buffer
      - .actual_access:  read_only
        .address_space:  global
        .offset:         16
        .size:           8
        .value_kind:     global_buffer
      - .actual_access:  read_only
        .address_space:  global
        .offset:         24
        .size:           8
        .value_kind:     global_buffer
      - .offset:         32
        .size:           4
        .value_kind:     by_value
      - .offset:         36
        .size:           4
        .value_kind:     by_value
      - .actual_access:  read_only
        .address_space:  global
        .offset:         40
        .size:           8
        .value_kind:     global_buffer
      - .actual_access:  read_only
        .address_space:  global
        .offset:         48
        .size:           8
        .value_kind:     global_buffer
      - .offset:         56
        .size:           4
        .value_kind:     by_value
      - .actual_access:  read_only
        .address_space:  global
        .offset:         64
        .size:           8
        .value_kind:     global_buffer
      - .offset:         72
        .size:           4
        .value_kind:     by_value
      - .offset:         76
        .size:           4
        .value_kind:     by_value
      - .offset:         80
        .size:           4
        .value_kind:     by_value
      - .address_space:  global
        .offset:         88
        .size:           8
        .value_kind:     global_buffer
      - .address_space:  global
        .offset:         96
        .size:           8
        .value_kind:     global_buffer
      - .offset:         104
        .size:           4
        .value_kind:     by_value
      - .offset:         108
        .size:           4
        .value_kind:     by_value
      - .offset:         112
        .size:           4
        .value_kind:     by_value
      - .offset:         116
        .size:           4
        .value_kind:     by_value
      - .offset:         120
        .size:           4
        .value_kind:     by_value
      - .offset:         128
        .size:           4
        .value_kind:     hidden_block_count_x
      - .offset:         132
        .size:           4
        .value_kind:     hidden_block_count_y
      - .offset:         136
        .size:           4
        .value_kind:     hidden_block_count_z
      - .offset:         140
        .size:           2
        .value_kind:     hidden_group_size_x
      - .offset:         142
        .size:           2
        .value_kind:     hidden_group_size_y
      - .offset:         144
        .size:           2
        .value_kind:     hidden_group_size_z
      - .offset:         146
        .size:           2
        .value_kind:     hidden_remainder_x
      - .offset:         148
        .size:           2
        .value_kind:     hidden_remainder_y
      - .offset:         150
        .size:           2
        .value_kind:     hidden_remainder_z
      - .offset:         168
        .size:           8
        .value_kind:     hidden_global_offset_x
      - .offset:         176
        .size:           8
        .value_kind:     hidden_global_offset_y
      - .offset:         184
        .size:           8
        .value_kind:     hidden_global_offset_z
      - .offset:         192
        .size:           2
        .value_kind:     hidden_grid_dims
      - .offset:         248
        .size:           4
        .value_kind:     hidden_dynamic_lds_size
    .group_segment_fixed_size: 496
    .kernarg_segment_align: 8
    .kernarg_segment_size: 384
    .language:       OpenCL C
    .language_version:
      - 2
      - 0
    .max_flat_workgroup_size: 1024
    .name:           _ZN4vllm25paged_attention_v1_kernelIfhLi120ELi16ELi128ELNS_18Fp8KVCacheDataTypeE1ELb1EEEvPT_PKS2_PKT0_S8_ifPKiSA_iPKfiiiSC_SC_iiiii
    .private_segment_fixed_size: 128
    .sgpr_count:     64
    .sgpr_spill_count: 0
    .symbol:         _ZN4vllm25paged_attention_v1_kernelIfhLi120ELi16ELi128ELNS_18Fp8KVCacheDataTypeE1ELb1EEEvPT_PKS2_PKT0_S8_ifPKiSA_iPKfiiiSC_SC_iiiii.kd
    .uniform_work_group_size: 1
    .uses_dynamic_stack: false
    .vgpr_count:     64
    .vgpr_spill_count: 46
    .wavefront_size: 64
  - .args:
      - .actual_access:  write_only
        .address_space:  global
        .offset:         0
        .size:           8
        .value_kind:     global_buffer
      - .actual_access:  read_only
        .address_space:  global
        .offset:         8
        .size:           8
        .value_kind:     global_buffer
      - .actual_access:  read_only
        .address_space:  global
        .offset:         16
        .size:           8
        .value_kind:     global_buffer
      - .actual_access:  read_only
        .address_space:  global
        .offset:         24
        .size:           8
        .value_kind:     global_buffer
      - .offset:         32
        .size:           4
        .value_kind:     by_value
      - .offset:         36
        .size:           4
        .value_kind:     by_value
      - .actual_access:  read_only
        .address_space:  global
        .offset:         40
        .size:           8
        .value_kind:     global_buffer
      - .actual_access:  read_only
        .address_space:  global
        .offset:         48
        .size:           8
        .value_kind:     global_buffer
      - .offset:         56
        .size:           4
        .value_kind:     by_value
      - .actual_access:  read_only
        .address_space:  global
        .offset:         64
        .size:           8
        .value_kind:     global_buffer
      - .offset:         72
        .size:           4
        .value_kind:     by_value
      - .offset:         76
        .size:           4
        .value_kind:     by_value
      - .offset:         80
        .size:           4
        .value_kind:     by_value
      - .address_space:  global
        .offset:         88
        .size:           8
        .value_kind:     global_buffer
      - .address_space:  global
        .offset:         96
        .size:           8
        .value_kind:     global_buffer
      - .offset:         104
        .size:           4
        .value_kind:     by_value
      - .offset:         108
        .size:           4
        .value_kind:     by_value
      - .offset:         112
        .size:           4
        .value_kind:     by_value
      - .offset:         116
        .size:           4
        .value_kind:     by_value
      - .offset:         120
        .size:           4
        .value_kind:     by_value
      - .offset:         128
        .size:           4
        .value_kind:     hidden_block_count_x
      - .offset:         132
        .size:           4
        .value_kind:     hidden_block_count_y
      - .offset:         136
        .size:           4
        .value_kind:     hidden_block_count_z
      - .offset:         140
        .size:           2
        .value_kind:     hidden_group_size_x
      - .offset:         142
        .size:           2
        .value_kind:     hidden_group_size_y
      - .offset:         144
        .size:           2
        .value_kind:     hidden_group_size_z
      - .offset:         146
        .size:           2
        .value_kind:     hidden_remainder_x
      - .offset:         148
        .size:           2
        .value_kind:     hidden_remainder_y
      - .offset:         150
        .size:           2
        .value_kind:     hidden_remainder_z
      - .offset:         168
        .size:           8
        .value_kind:     hidden_global_offset_x
      - .offset:         176
        .size:           8
        .value_kind:     hidden_global_offset_y
      - .offset:         184
        .size:           8
        .value_kind:     hidden_global_offset_z
      - .offset:         192
        .size:           2
        .value_kind:     hidden_grid_dims
      - .offset:         248
        .size:           4
        .value_kind:     hidden_dynamic_lds_size
    .group_segment_fixed_size: 528
    .kernarg_segment_align: 8
    .kernarg_segment_size: 384
    .language:       OpenCL C
    .language_version:
      - 2
      - 0
    .max_flat_workgroup_size: 1024
    .name:           _ZN4vllm25paged_attention_v1_kernelIfhLi128ELi16ELi128ELNS_18Fp8KVCacheDataTypeE1ELb1EEEvPT_PKS2_PKT0_S8_ifPKiSA_iPKfiiiSC_SC_iiiii
    .private_segment_fixed_size: 120
    .sgpr_count:     64
    .sgpr_spill_count: 0
    .symbol:         _ZN4vllm25paged_attention_v1_kernelIfhLi128ELi16ELi128ELNS_18Fp8KVCacheDataTypeE1ELb1EEEvPT_PKS2_PKT0_S8_ifPKiSA_iPKfiiiSC_SC_iiiii.kd
    .uniform_work_group_size: 1
    .uses_dynamic_stack: false
    .vgpr_count:     64
    .vgpr_spill_count: 60
    .wavefront_size: 64
  - .args:
      - .actual_access:  write_only
        .address_space:  global
        .offset:         0
        .size:           8
        .value_kind:     global_buffer
      - .actual_access:  read_only
        .address_space:  global
        .offset:         8
        .size:           8
        .value_kind:     global_buffer
      - .actual_access:  read_only
        .address_space:  global
        .offset:         16
        .size:           8
        .value_kind:     global_buffer
      - .actual_access:  read_only
        .address_space:  global
        .offset:         24
        .size:           8
        .value_kind:     global_buffer
      - .offset:         32
        .size:           4
        .value_kind:     by_value
      - .offset:         36
        .size:           4
        .value_kind:     by_value
      - .actual_access:  read_only
        .address_space:  global
        .offset:         40
        .size:           8
        .value_kind:     global_buffer
      - .actual_access:  read_only
        .address_space:  global
        .offset:         48
        .size:           8
        .value_kind:     global_buffer
      - .offset:         56
        .size:           4
        .value_kind:     by_value
      - .actual_access:  read_only
        .address_space:  global
        .offset:         64
        .size:           8
        .value_kind:     global_buffer
      - .offset:         72
        .size:           4
        .value_kind:     by_value
      - .offset:         76
        .size:           4
        .value_kind:     by_value
      - .offset:         80
        .size:           4
        .value_kind:     by_value
      - .address_space:  global
        .offset:         88
        .size:           8
        .value_kind:     global_buffer
      - .address_space:  global
        .offset:         96
        .size:           8
        .value_kind:     global_buffer
      - .offset:         104
        .size:           4
        .value_kind:     by_value
      - .offset:         108
        .size:           4
        .value_kind:     by_value
      - .offset:         112
        .size:           4
        .value_kind:     by_value
      - .offset:         116
        .size:           4
        .value_kind:     by_value
      - .offset:         120
        .size:           4
        .value_kind:     by_value
      - .offset:         128
        .size:           4
        .value_kind:     hidden_block_count_x
      - .offset:         132
        .size:           4
        .value_kind:     hidden_block_count_y
      - .offset:         136
        .size:           4
        .value_kind:     hidden_block_count_z
      - .offset:         140
        .size:           2
        .value_kind:     hidden_group_size_x
      - .offset:         142
        .size:           2
        .value_kind:     hidden_group_size_y
      - .offset:         144
        .size:           2
        .value_kind:     hidden_group_size_z
      - .offset:         146
        .size:           2
        .value_kind:     hidden_remainder_x
      - .offset:         148
        .size:           2
        .value_kind:     hidden_remainder_y
      - .offset:         150
        .size:           2
        .value_kind:     hidden_remainder_z
      - .offset:         168
        .size:           8
        .value_kind:     hidden_global_offset_x
      - .offset:         176
        .size:           8
        .value_kind:     hidden_global_offset_y
      - .offset:         184
        .size:           8
        .value_kind:     hidden_global_offset_z
      - .offset:         192
        .size:           2
        .value_kind:     hidden_grid_dims
      - .offset:         248
        .size:           4
        .value_kind:     hidden_dynamic_lds_size
    .group_segment_fixed_size: 784
    .kernarg_segment_align: 8
    .kernarg_segment_size: 384
    .language:       OpenCL C
    .language_version:
      - 2
      - 0
    .max_flat_workgroup_size: 1024
    .name:           _ZN4vllm25paged_attention_v1_kernelIfhLi192ELi16ELi128ELNS_18Fp8KVCacheDataTypeE1ELb1EEEvPT_PKS2_PKT0_S8_ifPKiSA_iPKfiiiSC_SC_iiiii
    .private_segment_fixed_size: 248
    .sgpr_count:     64
    .sgpr_spill_count: 0
    .symbol:         _ZN4vllm25paged_attention_v1_kernelIfhLi192ELi16ELi128ELNS_18Fp8KVCacheDataTypeE1ELb1EEEvPT_PKS2_PKT0_S8_ifPKiSA_iPKfiiiSC_SC_iiiii.kd
    .uniform_work_group_size: 1
    .uses_dynamic_stack: false
    .vgpr_count:     64
    .vgpr_spill_count: 165
    .wavefront_size: 64
  - .args:
      - .actual_access:  write_only
        .address_space:  global
        .offset:         0
        .size:           8
        .value_kind:     global_buffer
      - .actual_access:  read_only
        .address_space:  global
        .offset:         8
        .size:           8
        .value_kind:     global_buffer
      - .actual_access:  read_only
        .address_space:  global
        .offset:         16
        .size:           8
        .value_kind:     global_buffer
      - .actual_access:  read_only
        .address_space:  global
        .offset:         24
        .size:           8
        .value_kind:     global_buffer
      - .offset:         32
        .size:           4
        .value_kind:     by_value
      - .offset:         36
        .size:           4
        .value_kind:     by_value
      - .actual_access:  read_only
        .address_space:  global
        .offset:         40
        .size:           8
        .value_kind:     global_buffer
      - .actual_access:  read_only
        .address_space:  global
        .offset:         48
        .size:           8
        .value_kind:     global_buffer
      - .offset:         56
        .size:           4
        .value_kind:     by_value
      - .actual_access:  read_only
        .address_space:  global
        .offset:         64
        .size:           8
        .value_kind:     global_buffer
      - .offset:         72
        .size:           4
        .value_kind:     by_value
      - .offset:         76
        .size:           4
        .value_kind:     by_value
      - .offset:         80
        .size:           4
        .value_kind:     by_value
      - .address_space:  global
        .offset:         88
        .size:           8
        .value_kind:     global_buffer
      - .address_space:  global
        .offset:         96
        .size:           8
        .value_kind:     global_buffer
      - .offset:         104
        .size:           4
        .value_kind:     by_value
      - .offset:         108
        .size:           4
        .value_kind:     by_value
      - .offset:         112
        .size:           4
        .value_kind:     by_value
      - .offset:         116
        .size:           4
        .value_kind:     by_value
      - .offset:         120
        .size:           4
        .value_kind:     by_value
      - .offset:         128
        .size:           4
        .value_kind:     hidden_block_count_x
      - .offset:         132
        .size:           4
        .value_kind:     hidden_block_count_y
      - .offset:         136
        .size:           4
        .value_kind:     hidden_block_count_z
      - .offset:         140
        .size:           2
        .value_kind:     hidden_group_size_x
      - .offset:         142
        .size:           2
        .value_kind:     hidden_group_size_y
      - .offset:         144
        .size:           2
        .value_kind:     hidden_group_size_z
      - .offset:         146
        .size:           2
        .value_kind:     hidden_remainder_x
      - .offset:         148
        .size:           2
        .value_kind:     hidden_remainder_y
      - .offset:         150
        .size:           2
        .value_kind:     hidden_remainder_z
      - .offset:         168
        .size:           8
        .value_kind:     hidden_global_offset_x
      - .offset:         176
        .size:           8
        .value_kind:     hidden_global_offset_y
      - .offset:         184
        .size:           8
        .value_kind:     hidden_global_offset_z
      - .offset:         192
        .size:           2
        .value_kind:     hidden_grid_dims
      - .offset:         248
        .size:           4
        .value_kind:     hidden_dynamic_lds_size
    .group_segment_fixed_size: 1040
    .kernarg_segment_align: 8
    .kernarg_segment_size: 384
    .language:       OpenCL C
    .language_version:
      - 2
      - 0
    .max_flat_workgroup_size: 1024
    .name:           _ZN4vllm25paged_attention_v1_kernelIfhLi256ELi16ELi128ELNS_18Fp8KVCacheDataTypeE1ELb1EEEvPT_PKS2_PKT0_S8_ifPKiSA_iPKfiiiSC_SC_iiiii
    .private_segment_fixed_size: 360
    .sgpr_count:     64
    .sgpr_spill_count: 0
    .symbol:         _ZN4vllm25paged_attention_v1_kernelIfhLi256ELi16ELi128ELNS_18Fp8KVCacheDataTypeE1ELb1EEEvPT_PKS2_PKT0_S8_ifPKiSA_iPKfiiiSC_SC_iiiii.kd
    .uniform_work_group_size: 1
    .uses_dynamic_stack: false
    .vgpr_count:     64
    .vgpr_spill_count: 239
    .wavefront_size: 64
  - .args:
      - .actual_access:  write_only
        .address_space:  global
        .offset:         0
        .size:           8
        .value_kind:     global_buffer
      - .actual_access:  read_only
        .address_space:  global
        .offset:         8
        .size:           8
        .value_kind:     global_buffer
      - .actual_access:  read_only
        .address_space:  global
        .offset:         16
        .size:           8
        .value_kind:     global_buffer
      - .actual_access:  read_only
        .address_space:  global
        .offset:         24
        .size:           8
        .value_kind:     global_buffer
      - .offset:         32
        .size:           4
        .value_kind:     by_value
      - .offset:         36
        .size:           4
        .value_kind:     by_value
      - .actual_access:  read_only
        .address_space:  global
        .offset:         40
        .size:           8
        .value_kind:     global_buffer
      - .actual_access:  read_only
        .address_space:  global
        .offset:         48
        .size:           8
        .value_kind:     global_buffer
      - .offset:         56
        .size:           4
        .value_kind:     by_value
      - .actual_access:  read_only
        .address_space:  global
        .offset:         64
        .size:           8
        .value_kind:     global_buffer
      - .offset:         72
        .size:           4
        .value_kind:     by_value
      - .offset:         76
        .size:           4
        .value_kind:     by_value
      - .offset:         80
        .size:           4
        .value_kind:     by_value
      - .address_space:  global
        .offset:         88
        .size:           8
        .value_kind:     global_buffer
      - .address_space:  global
        .offset:         96
        .size:           8
        .value_kind:     global_buffer
      - .offset:         104
        .size:           4
        .value_kind:     by_value
      - .offset:         108
        .size:           4
        .value_kind:     by_value
      - .offset:         112
        .size:           4
        .value_kind:     by_value
      - .offset:         116
        .size:           4
        .value_kind:     by_value
      - .offset:         120
        .size:           4
        .value_kind:     by_value
      - .offset:         128
        .size:           4
        .value_kind:     hidden_block_count_x
      - .offset:         132
        .size:           4
        .value_kind:     hidden_block_count_y
      - .offset:         136
        .size:           4
        .value_kind:     hidden_block_count_z
      - .offset:         140
        .size:           2
        .value_kind:     hidden_group_size_x
      - .offset:         142
        .size:           2
        .value_kind:     hidden_group_size_y
      - .offset:         144
        .size:           2
        .value_kind:     hidden_group_size_z
      - .offset:         146
        .size:           2
        .value_kind:     hidden_remainder_x
      - .offset:         148
        .size:           2
        .value_kind:     hidden_remainder_y
      - .offset:         150
        .size:           2
        .value_kind:     hidden_remainder_z
      - .offset:         168
        .size:           8
        .value_kind:     hidden_global_offset_x
      - .offset:         176
        .size:           8
        .value_kind:     hidden_global_offset_y
      - .offset:         184
        .size:           8
        .value_kind:     hidden_global_offset_z
      - .offset:         192
        .size:           2
        .value_kind:     hidden_grid_dims
      - .offset:         248
        .size:           4
        .value_kind:     hidden_dynamic_lds_size
    .group_segment_fixed_size: 144
    .kernarg_segment_align: 8
    .kernarg_segment_size: 384
    .language:       OpenCL C
    .language_version:
      - 2
      - 0
    .max_flat_workgroup_size: 1024
    .name:           _ZN4vllm25paged_attention_v1_kernelIfhLi32ELi16ELi128ELNS_18Fp8KVCacheDataTypeE1ELb0EEEvPT_PKS2_PKT0_S8_ifPKiSA_iPKfiiiSC_SC_iiiii
    .private_segment_fixed_size: 0
    .sgpr_count:     47
    .sgpr_spill_count: 0
    .symbol:         _ZN4vllm25paged_attention_v1_kernelIfhLi32ELi16ELi128ELNS_18Fp8KVCacheDataTypeE1ELb0EEEvPT_PKS2_PKT0_S8_ifPKiSA_iPKfiiiSC_SC_iiiii.kd
    .uniform_work_group_size: 1
    .uses_dynamic_stack: false
    .vgpr_count:     47
    .vgpr_spill_count: 0
    .wavefront_size: 64
  - .args:
      - .actual_access:  write_only
        .address_space:  global
        .offset:         0
        .size:           8
        .value_kind:     global_buffer
      - .actual_access:  read_only
        .address_space:  global
        .offset:         8
        .size:           8
        .value_kind:     global_buffer
      - .actual_access:  read_only
        .address_space:  global
        .offset:         16
        .size:           8
        .value_kind:     global_buffer
      - .actual_access:  read_only
        .address_space:  global
        .offset:         24
        .size:           8
        .value_kind:     global_buffer
      - .offset:         32
        .size:           4
        .value_kind:     by_value
      - .offset:         36
        .size:           4
        .value_kind:     by_value
      - .actual_access:  read_only
        .address_space:  global
        .offset:         40
        .size:           8
        .value_kind:     global_buffer
      - .actual_access:  read_only
        .address_space:  global
        .offset:         48
        .size:           8
        .value_kind:     global_buffer
      - .offset:         56
        .size:           4
        .value_kind:     by_value
      - .actual_access:  read_only
        .address_space:  global
        .offset:         64
        .size:           8
        .value_kind:     global_buffer
      - .offset:         72
        .size:           4
        .value_kind:     by_value
      - .offset:         76
        .size:           4
        .value_kind:     by_value
      - .offset:         80
        .size:           4
        .value_kind:     by_value
      - .address_space:  global
        .offset:         88
        .size:           8
        .value_kind:     global_buffer
      - .address_space:  global
        .offset:         96
        .size:           8
        .value_kind:     global_buffer
      - .offset:         104
        .size:           4
        .value_kind:     by_value
      - .offset:         108
        .size:           4
        .value_kind:     by_value
      - .offset:         112
        .size:           4
        .value_kind:     by_value
      - .offset:         116
        .size:           4
        .value_kind:     by_value
      - .offset:         120
        .size:           4
        .value_kind:     by_value
      - .offset:         128
        .size:           4
        .value_kind:     hidden_block_count_x
      - .offset:         132
        .size:           4
        .value_kind:     hidden_block_count_y
      - .offset:         136
        .size:           4
        .value_kind:     hidden_block_count_z
      - .offset:         140
        .size:           2
        .value_kind:     hidden_group_size_x
      - .offset:         142
        .size:           2
        .value_kind:     hidden_group_size_y
      - .offset:         144
        .size:           2
        .value_kind:     hidden_group_size_z
      - .offset:         146
        .size:           2
        .value_kind:     hidden_remainder_x
      - .offset:         148
        .size:           2
        .value_kind:     hidden_remainder_y
      - .offset:         150
        .size:           2
        .value_kind:     hidden_remainder_z
      - .offset:         168
        .size:           8
        .value_kind:     hidden_global_offset_x
      - .offset:         176
        .size:           8
        .value_kind:     hidden_global_offset_y
      - .offset:         184
        .size:           8
        .value_kind:     hidden_global_offset_z
      - .offset:         192
        .size:           2
        .value_kind:     hidden_grid_dims
      - .offset:         248
        .size:           4
        .value_kind:     hidden_dynamic_lds_size
    .group_segment_fixed_size: 272
    .kernarg_segment_align: 8
    .kernarg_segment_size: 384
    .language:       OpenCL C
    .language_version:
      - 2
      - 0
    .max_flat_workgroup_size: 1024
    .name:           _ZN4vllm25paged_attention_v1_kernelIfhLi64ELi16ELi128ELNS_18Fp8KVCacheDataTypeE1ELb0EEEvPT_PKS2_PKT0_S8_ifPKiSA_iPKfiiiSC_SC_iiiii
    .private_segment_fixed_size: 0
    .sgpr_count:     49
    .sgpr_spill_count: 0
    .symbol:         _ZN4vllm25paged_attention_v1_kernelIfhLi64ELi16ELi128ELNS_18Fp8KVCacheDataTypeE1ELb0EEEvPT_PKS2_PKT0_S8_ifPKiSA_iPKfiiiSC_SC_iiiii.kd
    .uniform_work_group_size: 1
    .uses_dynamic_stack: false
    .vgpr_count:     61
    .vgpr_spill_count: 0
    .wavefront_size: 64
  - .args:
      - .actual_access:  write_only
        .address_space:  global
        .offset:         0
        .size:           8
        .value_kind:     global_buffer
      - .actual_access:  read_only
        .address_space:  global
        .offset:         8
        .size:           8
        .value_kind:     global_buffer
      - .actual_access:  read_only
        .address_space:  global
        .offset:         16
        .size:           8
        .value_kind:     global_buffer
      - .actual_access:  read_only
        .address_space:  global
        .offset:         24
        .size:           8
        .value_kind:     global_buffer
      - .offset:         32
        .size:           4
        .value_kind:     by_value
      - .offset:         36
        .size:           4
        .value_kind:     by_value
      - .actual_access:  read_only
        .address_space:  global
        .offset:         40
        .size:           8
        .value_kind:     global_buffer
      - .actual_access:  read_only
        .address_space:  global
        .offset:         48
        .size:           8
        .value_kind:     global_buffer
      - .offset:         56
        .size:           4
        .value_kind:     by_value
      - .actual_access:  read_only
        .address_space:  global
        .offset:         64
        .size:           8
        .value_kind:     global_buffer
      - .offset:         72
        .size:           4
        .value_kind:     by_value
      - .offset:         76
        .size:           4
        .value_kind:     by_value
      - .offset:         80
        .size:           4
        .value_kind:     by_value
      - .address_space:  global
        .offset:         88
        .size:           8
        .value_kind:     global_buffer
      - .address_space:  global
        .offset:         96
        .size:           8
        .value_kind:     global_buffer
      - .offset:         104
        .size:           4
        .value_kind:     by_value
      - .offset:         108
        .size:           4
        .value_kind:     by_value
      - .offset:         112
        .size:           4
        .value_kind:     by_value
      - .offset:         116
        .size:           4
        .value_kind:     by_value
      - .offset:         120
        .size:           4
        .value_kind:     by_value
      - .offset:         128
        .size:           4
        .value_kind:     hidden_block_count_x
      - .offset:         132
        .size:           4
        .value_kind:     hidden_block_count_y
      - .offset:         136
        .size:           4
        .value_kind:     hidden_block_count_z
      - .offset:         140
        .size:           2
        .value_kind:     hidden_group_size_x
      - .offset:         142
        .size:           2
        .value_kind:     hidden_group_size_y
      - .offset:         144
        .size:           2
        .value_kind:     hidden_group_size_z
      - .offset:         146
        .size:           2
        .value_kind:     hidden_remainder_x
      - .offset:         148
        .size:           2
        .value_kind:     hidden_remainder_y
      - .offset:         150
        .size:           2
        .value_kind:     hidden_remainder_z
      - .offset:         168
        .size:           8
        .value_kind:     hidden_global_offset_x
      - .offset:         176
        .size:           8
        .value_kind:     hidden_global_offset_y
      - .offset:         184
        .size:           8
        .value_kind:     hidden_global_offset_z
      - .offset:         192
        .size:           2
        .value_kind:     hidden_grid_dims
      - .offset:         248
        .size:           4
        .value_kind:     hidden_dynamic_lds_size
    .group_segment_fixed_size: 336
    .kernarg_segment_align: 8
    .kernarg_segment_size: 384
    .language:       OpenCL C
    .language_version:
      - 2
      - 0
    .max_flat_workgroup_size: 1024
    .name:           _ZN4vllm25paged_attention_v1_kernelIfhLi80ELi16ELi128ELNS_18Fp8KVCacheDataTypeE1ELb0EEEvPT_PKS2_PKT0_S8_ifPKiSA_iPKfiiiSC_SC_iiiii
    .private_segment_fixed_size: 12
    .sgpr_count:     52
    .sgpr_spill_count: 0
    .symbol:         _ZN4vllm25paged_attention_v1_kernelIfhLi80ELi16ELi128ELNS_18Fp8KVCacheDataTypeE1ELb0EEEvPT_PKS2_PKT0_S8_ifPKiSA_iPKfiiiSC_SC_iiiii.kd
    .uniform_work_group_size: 1
    .uses_dynamic_stack: false
    .vgpr_count:     64
    .vgpr_spill_count: 2
    .wavefront_size: 64
  - .args:
      - .actual_access:  write_only
        .address_space:  global
        .offset:         0
        .size:           8
        .value_kind:     global_buffer
      - .actual_access:  read_only
        .address_space:  global
        .offset:         8
        .size:           8
        .value_kind:     global_buffer
      - .actual_access:  read_only
        .address_space:  global
        .offset:         16
        .size:           8
        .value_kind:     global_buffer
      - .actual_access:  read_only
        .address_space:  global
        .offset:         24
        .size:           8
        .value_kind:     global_buffer
      - .offset:         32
        .size:           4
        .value_kind:     by_value
      - .offset:         36
        .size:           4
        .value_kind:     by_value
      - .actual_access:  read_only
        .address_space:  global
        .offset:         40
        .size:           8
        .value_kind:     global_buffer
      - .actual_access:  read_only
        .address_space:  global
        .offset:         48
        .size:           8
        .value_kind:     global_buffer
      - .offset:         56
        .size:           4
        .value_kind:     by_value
      - .actual_access:  read_only
        .address_space:  global
        .offset:         64
        .size:           8
        .value_kind:     global_buffer
      - .offset:         72
        .size:           4
        .value_kind:     by_value
      - .offset:         76
        .size:           4
        .value_kind:     by_value
      - .offset:         80
        .size:           4
        .value_kind:     by_value
      - .address_space:  global
        .offset:         88
        .size:           8
        .value_kind:     global_buffer
      - .address_space:  global
        .offset:         96
        .size:           8
        .value_kind:     global_buffer
      - .offset:         104
        .size:           4
        .value_kind:     by_value
      - .offset:         108
        .size:           4
        .value_kind:     by_value
      - .offset:         112
        .size:           4
        .value_kind:     by_value
      - .offset:         116
        .size:           4
        .value_kind:     by_value
      - .offset:         120
        .size:           4
        .value_kind:     by_value
      - .offset:         128
        .size:           4
        .value_kind:     hidden_block_count_x
      - .offset:         132
        .size:           4
        .value_kind:     hidden_block_count_y
      - .offset:         136
        .size:           4
        .value_kind:     hidden_block_count_z
      - .offset:         140
        .size:           2
        .value_kind:     hidden_group_size_x
      - .offset:         142
        .size:           2
        .value_kind:     hidden_group_size_y
      - .offset:         144
        .size:           2
        .value_kind:     hidden_group_size_z
      - .offset:         146
        .size:           2
        .value_kind:     hidden_remainder_x
      - .offset:         148
        .size:           2
        .value_kind:     hidden_remainder_y
      - .offset:         150
        .size:           2
        .value_kind:     hidden_remainder_z
      - .offset:         168
        .size:           8
        .value_kind:     hidden_global_offset_x
      - .offset:         176
        .size:           8
        .value_kind:     hidden_global_offset_y
      - .offset:         184
        .size:           8
        .value_kind:     hidden_global_offset_z
      - .offset:         192
        .size:           2
        .value_kind:     hidden_grid_dims
      - .offset:         248
        .size:           4
        .value_kind:     hidden_dynamic_lds_size
    .group_segment_fixed_size: 400
    .kernarg_segment_align: 8
    .kernarg_segment_size: 384
    .language:       OpenCL C
    .language_version:
      - 2
      - 0
    .max_flat_workgroup_size: 1024
    .name:           _ZN4vllm25paged_attention_v1_kernelIfhLi96ELi16ELi128ELNS_18Fp8KVCacheDataTypeE1ELb0EEEvPT_PKS2_PKT0_S8_ifPKiSA_iPKfiiiSC_SC_iiiii
    .private_segment_fixed_size: 52
    .sgpr_count:     52
    .sgpr_spill_count: 0
    .symbol:         _ZN4vllm25paged_attention_v1_kernelIfhLi96ELi16ELi128ELNS_18Fp8KVCacheDataTypeE1ELb0EEEvPT_PKS2_PKT0_S8_ifPKiSA_iPKfiiiSC_SC_iiiii.kd
    .uniform_work_group_size: 1
    .uses_dynamic_stack: false
    .vgpr_count:     64
    .vgpr_spill_count: 12
    .wavefront_size: 64
  - .args:
      - .actual_access:  write_only
        .address_space:  global
        .offset:         0
        .size:           8
        .value_kind:     global_buffer
      - .actual_access:  read_only
        .address_space:  global
        .offset:         8
        .size:           8
        .value_kind:     global_buffer
      - .actual_access:  read_only
        .address_space:  global
        .offset:         16
        .size:           8
        .value_kind:     global_buffer
      - .actual_access:  read_only
        .address_space:  global
        .offset:         24
        .size:           8
        .value_kind:     global_buffer
      - .offset:         32
        .size:           4
        .value_kind:     by_value
      - .offset:         36
        .size:           4
        .value_kind:     by_value
      - .actual_access:  read_only
        .address_space:  global
        .offset:         40
        .size:           8
        .value_kind:     global_buffer
      - .actual_access:  read_only
        .address_space:  global
        .offset:         48
        .size:           8
        .value_kind:     global_buffer
      - .offset:         56
        .size:           4
        .value_kind:     by_value
      - .actual_access:  read_only
        .address_space:  global
        .offset:         64
        .size:           8
        .value_kind:     global_buffer
      - .offset:         72
        .size:           4
        .value_kind:     by_value
      - .offset:         76
        .size:           4
        .value_kind:     by_value
      - .offset:         80
        .size:           4
        .value_kind:     by_value
      - .address_space:  global
        .offset:         88
        .size:           8
        .value_kind:     global_buffer
      - .address_space:  global
        .offset:         96
        .size:           8
        .value_kind:     global_buffer
      - .offset:         104
        .size:           4
        .value_kind:     by_value
      - .offset:         108
        .size:           4
        .value_kind:     by_value
      - .offset:         112
        .size:           4
        .value_kind:     by_value
      - .offset:         116
        .size:           4
        .value_kind:     by_value
      - .offset:         120
        .size:           4
        .value_kind:     by_value
      - .offset:         128
        .size:           4
        .value_kind:     hidden_block_count_x
      - .offset:         132
        .size:           4
        .value_kind:     hidden_block_count_y
      - .offset:         136
        .size:           4
        .value_kind:     hidden_block_count_z
      - .offset:         140
        .size:           2
        .value_kind:     hidden_group_size_x
      - .offset:         142
        .size:           2
        .value_kind:     hidden_group_size_y
      - .offset:         144
        .size:           2
        .value_kind:     hidden_group_size_z
      - .offset:         146
        .size:           2
        .value_kind:     hidden_remainder_x
      - .offset:         148
        .size:           2
        .value_kind:     hidden_remainder_y
      - .offset:         150
        .size:           2
        .value_kind:     hidden_remainder_z
      - .offset:         168
        .size:           8
        .value_kind:     hidden_global_offset_x
      - .offset:         176
        .size:           8
        .value_kind:     hidden_global_offset_y
      - .offset:         184
        .size:           8
        .value_kind:     hidden_global_offset_z
      - .offset:         192
        .size:           2
        .value_kind:     hidden_grid_dims
      - .offset:         248
        .size:           4
        .value_kind:     hidden_dynamic_lds_size
    .group_segment_fixed_size: 464
    .kernarg_segment_align: 8
    .kernarg_segment_size: 384
    .language:       OpenCL C
    .language_version:
      - 2
      - 0
    .max_flat_workgroup_size: 1024
    .name:           _ZN4vllm25paged_attention_v1_kernelIfhLi112ELi16ELi128ELNS_18Fp8KVCacheDataTypeE1ELb0EEEvPT_PKS2_PKT0_S8_ifPKiSA_iPKfiiiSC_SC_iiiii
    .private_segment_fixed_size: 76
    .sgpr_count:     52
    .sgpr_spill_count: 0
    .symbol:         _ZN4vllm25paged_attention_v1_kernelIfhLi112ELi16ELi128ELNS_18Fp8KVCacheDataTypeE1ELb0EEEvPT_PKS2_PKT0_S8_ifPKiSA_iPKfiiiSC_SC_iiiii.kd
    .uniform_work_group_size: 1
    .uses_dynamic_stack: false
    .vgpr_count:     64
    .vgpr_spill_count: 22
    .wavefront_size: 64
  - .args:
      - .actual_access:  write_only
        .address_space:  global
        .offset:         0
        .size:           8
        .value_kind:     global_buffer
      - .actual_access:  read_only
        .address_space:  global
        .offset:         8
        .size:           8
        .value_kind:     global_buffer
      - .actual_access:  read_only
        .address_space:  global
        .offset:         16
        .size:           8
        .value_kind:     global_buffer
      - .actual_access:  read_only
        .address_space:  global
        .offset:         24
        .size:           8
        .value_kind:     global_buffer
      - .offset:         32
        .size:           4
        .value_kind:     by_value
      - .offset:         36
        .size:           4
        .value_kind:     by_value
      - .actual_access:  read_only
        .address_space:  global
        .offset:         40
        .size:           8
        .value_kind:     global_buffer
      - .actual_access:  read_only
        .address_space:  global
        .offset:         48
        .size:           8
        .value_kind:     global_buffer
      - .offset:         56
        .size:           4
        .value_kind:     by_value
      - .actual_access:  read_only
        .address_space:  global
        .offset:         64
        .size:           8
        .value_kind:     global_buffer
      - .offset:         72
        .size:           4
        .value_kind:     by_value
      - .offset:         76
        .size:           4
        .value_kind:     by_value
      - .offset:         80
        .size:           4
        .value_kind:     by_value
      - .address_space:  global
        .offset:         88
        .size:           8
        .value_kind:     global_buffer
      - .address_space:  global
        .offset:         96
        .size:           8
        .value_kind:     global_buffer
      - .offset:         104
        .size:           4
        .value_kind:     by_value
      - .offset:         108
        .size:           4
        .value_kind:     by_value
      - .offset:         112
        .size:           4
        .value_kind:     by_value
      - .offset:         116
        .size:           4
        .value_kind:     by_value
      - .offset:         120
        .size:           4
        .value_kind:     by_value
      - .offset:         128
        .size:           4
        .value_kind:     hidden_block_count_x
      - .offset:         132
        .size:           4
        .value_kind:     hidden_block_count_y
      - .offset:         136
        .size:           4
        .value_kind:     hidden_block_count_z
      - .offset:         140
        .size:           2
        .value_kind:     hidden_group_size_x
      - .offset:         142
        .size:           2
        .value_kind:     hidden_group_size_y
      - .offset:         144
        .size:           2
        .value_kind:     hidden_group_size_z
      - .offset:         146
        .size:           2
        .value_kind:     hidden_remainder_x
      - .offset:         148
        .size:           2
        .value_kind:     hidden_remainder_y
      - .offset:         150
        .size:           2
        .value_kind:     hidden_remainder_z
      - .offset:         168
        .size:           8
        .value_kind:     hidden_global_offset_x
      - .offset:         176
        .size:           8
        .value_kind:     hidden_global_offset_y
      - .offset:         184
        .size:           8
        .value_kind:     hidden_global_offset_z
      - .offset:         192
        .size:           2
        .value_kind:     hidden_grid_dims
      - .offset:         248
        .size:           4
        .value_kind:     hidden_dynamic_lds_size
    .group_segment_fixed_size: 496
    .kernarg_segment_align: 8
    .kernarg_segment_size: 384
    .language:       OpenCL C
    .language_version:
      - 2
      - 0
    .max_flat_workgroup_size: 1024
    .name:           _ZN4vllm25paged_attention_v1_kernelIfhLi120ELi16ELi128ELNS_18Fp8KVCacheDataTypeE1ELb0EEEvPT_PKS2_PKT0_S8_ifPKiSA_iPKfiiiSC_SC_iiiii
    .private_segment_fixed_size: 108
    .sgpr_count:     52
    .sgpr_spill_count: 0
    .symbol:         _ZN4vllm25paged_attention_v1_kernelIfhLi120ELi16ELi128ELNS_18Fp8KVCacheDataTypeE1ELb0EEEvPT_PKS2_PKT0_S8_ifPKiSA_iPKfiiiSC_SC_iiiii.kd
    .uniform_work_group_size: 1
    .uses_dynamic_stack: false
    .vgpr_count:     64
    .vgpr_spill_count: 42
    .wavefront_size: 64
  - .args:
      - .actual_access:  write_only
        .address_space:  global
        .offset:         0
        .size:           8
        .value_kind:     global_buffer
      - .actual_access:  read_only
        .address_space:  global
        .offset:         8
        .size:           8
        .value_kind:     global_buffer
      - .actual_access:  read_only
        .address_space:  global
        .offset:         16
        .size:           8
        .value_kind:     global_buffer
      - .actual_access:  read_only
        .address_space:  global
        .offset:         24
        .size:           8
        .value_kind:     global_buffer
      - .offset:         32
        .size:           4
        .value_kind:     by_value
      - .offset:         36
        .size:           4
        .value_kind:     by_value
      - .actual_access:  read_only
        .address_space:  global
        .offset:         40
        .size:           8
        .value_kind:     global_buffer
      - .actual_access:  read_only
        .address_space:  global
        .offset:         48
        .size:           8
        .value_kind:     global_buffer
      - .offset:         56
        .size:           4
        .value_kind:     by_value
      - .actual_access:  read_only
        .address_space:  global
        .offset:         64
        .size:           8
        .value_kind:     global_buffer
      - .offset:         72
        .size:           4
        .value_kind:     by_value
      - .offset:         76
        .size:           4
        .value_kind:     by_value
      - .offset:         80
        .size:           4
        .value_kind:     by_value
      - .address_space:  global
        .offset:         88
        .size:           8
        .value_kind:     global_buffer
      - .address_space:  global
        .offset:         96
        .size:           8
        .value_kind:     global_buffer
      - .offset:         104
        .size:           4
        .value_kind:     by_value
      - .offset:         108
        .size:           4
        .value_kind:     by_value
      - .offset:         112
        .size:           4
        .value_kind:     by_value
      - .offset:         116
        .size:           4
        .value_kind:     by_value
      - .offset:         120
        .size:           4
        .value_kind:     by_value
      - .offset:         128
        .size:           4
        .value_kind:     hidden_block_count_x
      - .offset:         132
        .size:           4
        .value_kind:     hidden_block_count_y
      - .offset:         136
        .size:           4
        .value_kind:     hidden_block_count_z
      - .offset:         140
        .size:           2
        .value_kind:     hidden_group_size_x
      - .offset:         142
        .size:           2
        .value_kind:     hidden_group_size_y
      - .offset:         144
        .size:           2
        .value_kind:     hidden_group_size_z
      - .offset:         146
        .size:           2
        .value_kind:     hidden_remainder_x
      - .offset:         148
        .size:           2
        .value_kind:     hidden_remainder_y
      - .offset:         150
        .size:           2
        .value_kind:     hidden_remainder_z
      - .offset:         168
        .size:           8
        .value_kind:     hidden_global_offset_x
      - .offset:         176
        .size:           8
        .value_kind:     hidden_global_offset_y
      - .offset:         184
        .size:           8
        .value_kind:     hidden_global_offset_z
      - .offset:         192
        .size:           2
        .value_kind:     hidden_grid_dims
      - .offset:         248
        .size:           4
        .value_kind:     hidden_dynamic_lds_size
    .group_segment_fixed_size: 528
    .kernarg_segment_align: 8
    .kernarg_segment_size: 384
    .language:       OpenCL C
    .language_version:
      - 2
      - 0
    .max_flat_workgroup_size: 1024
    .name:           _ZN4vllm25paged_attention_v1_kernelIfhLi128ELi16ELi128ELNS_18Fp8KVCacheDataTypeE1ELb0EEEvPT_PKS2_PKT0_S8_ifPKiSA_iPKfiiiSC_SC_iiiii
    .private_segment_fixed_size: 116
    .sgpr_count:     52
    .sgpr_spill_count: 0
    .symbol:         _ZN4vllm25paged_attention_v1_kernelIfhLi128ELi16ELi128ELNS_18Fp8KVCacheDataTypeE1ELb0EEEvPT_PKS2_PKT0_S8_ifPKiSA_iPKfiiiSC_SC_iiiii.kd
    .uniform_work_group_size: 1
    .uses_dynamic_stack: false
    .vgpr_count:     64
    .vgpr_spill_count: 49
    .wavefront_size: 64
  - .args:
      - .actual_access:  write_only
        .address_space:  global
        .offset:         0
        .size:           8
        .value_kind:     global_buffer
      - .actual_access:  read_only
        .address_space:  global
        .offset:         8
        .size:           8
        .value_kind:     global_buffer
      - .actual_access:  read_only
        .address_space:  global
        .offset:         16
        .size:           8
        .value_kind:     global_buffer
      - .actual_access:  read_only
        .address_space:  global
        .offset:         24
        .size:           8
        .value_kind:     global_buffer
      - .offset:         32
        .size:           4
        .value_kind:     by_value
      - .offset:         36
        .size:           4
        .value_kind:     by_value
      - .actual_access:  read_only
        .address_space:  global
        .offset:         40
        .size:           8
        .value_kind:     global_buffer
      - .actual_access:  read_only
        .address_space:  global
        .offset:         48
        .size:           8
        .value_kind:     global_buffer
      - .offset:         56
        .size:           4
        .value_kind:     by_value
      - .actual_access:  read_only
        .address_space:  global
        .offset:         64
        .size:           8
        .value_kind:     global_buffer
      - .offset:         72
        .size:           4
        .value_kind:     by_value
      - .offset:         76
        .size:           4
        .value_kind:     by_value
      - .offset:         80
        .size:           4
        .value_kind:     by_value
      - .address_space:  global
        .offset:         88
        .size:           8
        .value_kind:     global_buffer
      - .address_space:  global
        .offset:         96
        .size:           8
        .value_kind:     global_buffer
      - .offset:         104
        .size:           4
        .value_kind:     by_value
      - .offset:         108
        .size:           4
        .value_kind:     by_value
      - .offset:         112
        .size:           4
        .value_kind:     by_value
      - .offset:         116
        .size:           4
        .value_kind:     by_value
      - .offset:         120
        .size:           4
        .value_kind:     by_value
      - .offset:         128
        .size:           4
        .value_kind:     hidden_block_count_x
      - .offset:         132
        .size:           4
        .value_kind:     hidden_block_count_y
      - .offset:         136
        .size:           4
        .value_kind:     hidden_block_count_z
      - .offset:         140
        .size:           2
        .value_kind:     hidden_group_size_x
      - .offset:         142
        .size:           2
        .value_kind:     hidden_group_size_y
      - .offset:         144
        .size:           2
        .value_kind:     hidden_group_size_z
      - .offset:         146
        .size:           2
        .value_kind:     hidden_remainder_x
      - .offset:         148
        .size:           2
        .value_kind:     hidden_remainder_y
      - .offset:         150
        .size:           2
        .value_kind:     hidden_remainder_z
      - .offset:         168
        .size:           8
        .value_kind:     hidden_global_offset_x
      - .offset:         176
        .size:           8
        .value_kind:     hidden_global_offset_y
      - .offset:         184
        .size:           8
        .value_kind:     hidden_global_offset_z
      - .offset:         192
        .size:           2
        .value_kind:     hidden_grid_dims
      - .offset:         248
        .size:           4
        .value_kind:     hidden_dynamic_lds_size
    .group_segment_fixed_size: 784
    .kernarg_segment_align: 8
    .kernarg_segment_size: 384
    .language:       OpenCL C
    .language_version:
      - 2
      - 0
    .max_flat_workgroup_size: 1024
    .name:           _ZN4vllm25paged_attention_v1_kernelIfhLi192ELi16ELi128ELNS_18Fp8KVCacheDataTypeE1ELb0EEEvPT_PKS2_PKT0_S8_ifPKiSA_iPKfiiiSC_SC_iiiii
    .private_segment_fixed_size: 224
    .sgpr_count:     52
    .sgpr_spill_count: 0
    .symbol:         _ZN4vllm25paged_attention_v1_kernelIfhLi192ELi16ELi128ELNS_18Fp8KVCacheDataTypeE1ELb0EEEvPT_PKS2_PKT0_S8_ifPKiSA_iPKfiiiSC_SC_iiiii.kd
    .uniform_work_group_size: 1
    .uses_dynamic_stack: false
    .vgpr_count:     64
    .vgpr_spill_count: 121
    .wavefront_size: 64
  - .args:
      - .actual_access:  write_only
        .address_space:  global
        .offset:         0
        .size:           8
        .value_kind:     global_buffer
      - .actual_access:  read_only
        .address_space:  global
        .offset:         8
        .size:           8
        .value_kind:     global_buffer
      - .actual_access:  read_only
        .address_space:  global
        .offset:         16
        .size:           8
        .value_kind:     global_buffer
      - .actual_access:  read_only
        .address_space:  global
        .offset:         24
        .size:           8
        .value_kind:     global_buffer
      - .offset:         32
        .size:           4
        .value_kind:     by_value
      - .offset:         36
        .size:           4
        .value_kind:     by_value
      - .actual_access:  read_only
        .address_space:  global
        .offset:         40
        .size:           8
        .value_kind:     global_buffer
      - .actual_access:  read_only
        .address_space:  global
        .offset:         48
        .size:           8
        .value_kind:     global_buffer
      - .offset:         56
        .size:           4
        .value_kind:     by_value
      - .actual_access:  read_only
        .address_space:  global
        .offset:         64
        .size:           8
        .value_kind:     global_buffer
      - .offset:         72
        .size:           4
        .value_kind:     by_value
      - .offset:         76
        .size:           4
        .value_kind:     by_value
      - .offset:         80
        .size:           4
        .value_kind:     by_value
      - .address_space:  global
        .offset:         88
        .size:           8
        .value_kind:     global_buffer
      - .address_space:  global
        .offset:         96
        .size:           8
        .value_kind:     global_buffer
      - .offset:         104
        .size:           4
        .value_kind:     by_value
      - .offset:         108
        .size:           4
        .value_kind:     by_value
      - .offset:         112
        .size:           4
        .value_kind:     by_value
      - .offset:         116
        .size:           4
        .value_kind:     by_value
      - .offset:         120
        .size:           4
        .value_kind:     by_value
      - .offset:         128
        .size:           4
        .value_kind:     hidden_block_count_x
      - .offset:         132
        .size:           4
        .value_kind:     hidden_block_count_y
      - .offset:         136
        .size:           4
        .value_kind:     hidden_block_count_z
      - .offset:         140
        .size:           2
        .value_kind:     hidden_group_size_x
      - .offset:         142
        .size:           2
        .value_kind:     hidden_group_size_y
      - .offset:         144
        .size:           2
        .value_kind:     hidden_group_size_z
      - .offset:         146
        .size:           2
        .value_kind:     hidden_remainder_x
      - .offset:         148
        .size:           2
        .value_kind:     hidden_remainder_y
      - .offset:         150
        .size:           2
        .value_kind:     hidden_remainder_z
      - .offset:         168
        .size:           8
        .value_kind:     hidden_global_offset_x
      - .offset:         176
        .size:           8
        .value_kind:     hidden_global_offset_y
      - .offset:         184
        .size:           8
        .value_kind:     hidden_global_offset_z
      - .offset:         192
        .size:           2
        .value_kind:     hidden_grid_dims
      - .offset:         248
        .size:           4
        .value_kind:     hidden_dynamic_lds_size
    .group_segment_fixed_size: 1040
    .kernarg_segment_align: 8
    .kernarg_segment_size: 384
    .language:       OpenCL C
    .language_version:
      - 2
      - 0
    .max_flat_workgroup_size: 1024
    .name:           _ZN4vllm25paged_attention_v1_kernelIfhLi256ELi16ELi128ELNS_18Fp8KVCacheDataTypeE1ELb0EEEvPT_PKS2_PKT0_S8_ifPKiSA_iPKfiiiSC_SC_iiiii
    .private_segment_fixed_size: 396
    .sgpr_count:     52
    .sgpr_spill_count: 0
    .symbol:         _ZN4vllm25paged_attention_v1_kernelIfhLi256ELi16ELi128ELNS_18Fp8KVCacheDataTypeE1ELb0EEEvPT_PKS2_PKT0_S8_ifPKiSA_iPKfiiiSC_SC_iiiii.kd
    .uniform_work_group_size: 1
    .uses_dynamic_stack: false
    .vgpr_count:     64
    .vgpr_spill_count: 223
    .wavefront_size: 64
  - .args:
      - .actual_access:  write_only
        .address_space:  global
        .offset:         0
        .size:           8
        .value_kind:     global_buffer
      - .actual_access:  read_only
        .address_space:  global
        .offset:         8
        .size:           8
        .value_kind:     global_buffer
      - .actual_access:  read_only
        .address_space:  global
        .offset:         16
        .size:           8
        .value_kind:     global_buffer
      - .actual_access:  read_only
        .address_space:  global
        .offset:         24
        .size:           8
        .value_kind:     global_buffer
      - .offset:         32
        .size:           4
        .value_kind:     by_value
      - .offset:         36
        .size:           4
        .value_kind:     by_value
      - .actual_access:  read_only
        .address_space:  global
        .offset:         40
        .size:           8
        .value_kind:     global_buffer
      - .actual_access:  read_only
        .address_space:  global
        .offset:         48
        .size:           8
        .value_kind:     global_buffer
      - .offset:         56
        .size:           4
        .value_kind:     by_value
      - .actual_access:  read_only
        .address_space:  global
        .offset:         64
        .size:           8
        .value_kind:     global_buffer
      - .offset:         72
        .size:           4
        .value_kind:     by_value
      - .offset:         76
        .size:           4
        .value_kind:     by_value
      - .offset:         80
        .size:           4
        .value_kind:     by_value
      - .address_space:  global
        .offset:         88
        .size:           8
        .value_kind:     global_buffer
      - .address_space:  global
        .offset:         96
        .size:           8
        .value_kind:     global_buffer
      - .offset:         104
        .size:           4
        .value_kind:     by_value
      - .offset:         108
        .size:           4
        .value_kind:     by_value
      - .offset:         112
        .size:           4
        .value_kind:     by_value
      - .offset:         116
        .size:           4
        .value_kind:     by_value
      - .offset:         120
        .size:           4
        .value_kind:     by_value
      - .offset:         128
        .size:           4
        .value_kind:     hidden_block_count_x
      - .offset:         132
        .size:           4
        .value_kind:     hidden_block_count_y
      - .offset:         136
        .size:           4
        .value_kind:     hidden_block_count_z
      - .offset:         140
        .size:           2
        .value_kind:     hidden_group_size_x
      - .offset:         142
        .size:           2
        .value_kind:     hidden_group_size_y
      - .offset:         144
        .size:           2
        .value_kind:     hidden_group_size_z
      - .offset:         146
        .size:           2
        .value_kind:     hidden_remainder_x
      - .offset:         148
        .size:           2
        .value_kind:     hidden_remainder_y
      - .offset:         150
        .size:           2
        .value_kind:     hidden_remainder_z
      - .offset:         168
        .size:           8
        .value_kind:     hidden_global_offset_x
      - .offset:         176
        .size:           8
        .value_kind:     hidden_global_offset_y
      - .offset:         184
        .size:           8
        .value_kind:     hidden_global_offset_z
      - .offset:         192
        .size:           2
        .value_kind:     hidden_grid_dims
      - .offset:         248
        .size:           4
        .value_kind:     hidden_dynamic_lds_size
    .group_segment_fixed_size: 144
    .kernarg_segment_align: 8
    .kernarg_segment_size: 384
    .language:       OpenCL C
    .language_version:
      - 2
      - 0
    .max_flat_workgroup_size: 1024
    .name:           _ZN4vllm25paged_attention_v1_kernelIfhLi32ELi32ELi128ELNS_18Fp8KVCacheDataTypeE1ELb1EEEvPT_PKS2_PKT0_S8_ifPKiSA_iPKfiiiSC_SC_iiiii
    .private_segment_fixed_size: 48
    .sgpr_count:     64
    .sgpr_spill_count: 0
    .symbol:         _ZN4vllm25paged_attention_v1_kernelIfhLi32ELi32ELi128ELNS_18Fp8KVCacheDataTypeE1ELb1EEEvPT_PKS2_PKT0_S8_ifPKiSA_iPKfiiiSC_SC_iiiii.kd
    .uniform_work_group_size: 1
    .uses_dynamic_stack: false
    .vgpr_count:     64
    .vgpr_spill_count: 18
    .wavefront_size: 64
  - .args:
      - .actual_access:  write_only
        .address_space:  global
        .offset:         0
        .size:           8
        .value_kind:     global_buffer
      - .actual_access:  read_only
        .address_space:  global
        .offset:         8
        .size:           8
        .value_kind:     global_buffer
      - .actual_access:  read_only
        .address_space:  global
        .offset:         16
        .size:           8
        .value_kind:     global_buffer
      - .actual_access:  read_only
        .address_space:  global
        .offset:         24
        .size:           8
        .value_kind:     global_buffer
      - .offset:         32
        .size:           4
        .value_kind:     by_value
      - .offset:         36
        .size:           4
        .value_kind:     by_value
      - .actual_access:  read_only
        .address_space:  global
        .offset:         40
        .size:           8
        .value_kind:     global_buffer
      - .actual_access:  read_only
        .address_space:  global
        .offset:         48
        .size:           8
        .value_kind:     global_buffer
      - .offset:         56
        .size:           4
        .value_kind:     by_value
      - .actual_access:  read_only
        .address_space:  global
        .offset:         64
        .size:           8
        .value_kind:     global_buffer
      - .offset:         72
        .size:           4
        .value_kind:     by_value
      - .offset:         76
        .size:           4
        .value_kind:     by_value
      - .offset:         80
        .size:           4
        .value_kind:     by_value
      - .address_space:  global
        .offset:         88
        .size:           8
        .value_kind:     global_buffer
      - .address_space:  global
        .offset:         96
        .size:           8
        .value_kind:     global_buffer
      - .offset:         104
        .size:           4
        .value_kind:     by_value
      - .offset:         108
        .size:           4
        .value_kind:     by_value
      - .offset:         112
        .size:           4
        .value_kind:     by_value
      - .offset:         116
        .size:           4
        .value_kind:     by_value
      - .offset:         120
        .size:           4
        .value_kind:     by_value
      - .offset:         128
        .size:           4
        .value_kind:     hidden_block_count_x
      - .offset:         132
        .size:           4
        .value_kind:     hidden_block_count_y
      - .offset:         136
        .size:           4
        .value_kind:     hidden_block_count_z
      - .offset:         140
        .size:           2
        .value_kind:     hidden_group_size_x
      - .offset:         142
        .size:           2
        .value_kind:     hidden_group_size_y
      - .offset:         144
        .size:           2
        .value_kind:     hidden_group_size_z
      - .offset:         146
        .size:           2
        .value_kind:     hidden_remainder_x
      - .offset:         148
        .size:           2
        .value_kind:     hidden_remainder_y
      - .offset:         150
        .size:           2
        .value_kind:     hidden_remainder_z
      - .offset:         168
        .size:           8
        .value_kind:     hidden_global_offset_x
      - .offset:         176
        .size:           8
        .value_kind:     hidden_global_offset_y
      - .offset:         184
        .size:           8
        .value_kind:     hidden_global_offset_z
      - .offset:         192
        .size:           2
        .value_kind:     hidden_grid_dims
      - .offset:         248
        .size:           4
        .value_kind:     hidden_dynamic_lds_size
    .group_segment_fixed_size: 272
    .kernarg_segment_align: 8
    .kernarg_segment_size: 384
    .language:       OpenCL C
    .language_version:
      - 2
      - 0
    .max_flat_workgroup_size: 1024
    .name:           _ZN4vllm25paged_attention_v1_kernelIfhLi64ELi32ELi128ELNS_18Fp8KVCacheDataTypeE1ELb1EEEvPT_PKS2_PKT0_S8_ifPKiSA_iPKfiiiSC_SC_iiiii
    .private_segment_fixed_size: 236
    .sgpr_count:     64
    .sgpr_spill_count: 0
    .symbol:         _ZN4vllm25paged_attention_v1_kernelIfhLi64ELi32ELi128ELNS_18Fp8KVCacheDataTypeE1ELb1EEEvPT_PKS2_PKT0_S8_ifPKiSA_iPKfiiiSC_SC_iiiii.kd
    .uniform_work_group_size: 1
    .uses_dynamic_stack: false
    .vgpr_count:     64
    .vgpr_spill_count: 120
    .wavefront_size: 64
  - .args:
      - .actual_access:  write_only
        .address_space:  global
        .offset:         0
        .size:           8
        .value_kind:     global_buffer
      - .actual_access:  read_only
        .address_space:  global
        .offset:         8
        .size:           8
        .value_kind:     global_buffer
      - .actual_access:  read_only
        .address_space:  global
        .offset:         16
        .size:           8
        .value_kind:     global_buffer
      - .actual_access:  read_only
        .address_space:  global
        .offset:         24
        .size:           8
        .value_kind:     global_buffer
      - .offset:         32
        .size:           4
        .value_kind:     by_value
      - .offset:         36
        .size:           4
        .value_kind:     by_value
      - .actual_access:  read_only
        .address_space:  global
        .offset:         40
        .size:           8
        .value_kind:     global_buffer
      - .actual_access:  read_only
        .address_space:  global
        .offset:         48
        .size:           8
        .value_kind:     global_buffer
      - .offset:         56
        .size:           4
        .value_kind:     by_value
      - .actual_access:  read_only
        .address_space:  global
        .offset:         64
        .size:           8
        .value_kind:     global_buffer
      - .offset:         72
        .size:           4
        .value_kind:     by_value
      - .offset:         76
        .size:           4
        .value_kind:     by_value
      - .offset:         80
        .size:           4
        .value_kind:     by_value
      - .address_space:  global
        .offset:         88
        .size:           8
        .value_kind:     global_buffer
      - .address_space:  global
        .offset:         96
        .size:           8
        .value_kind:     global_buffer
      - .offset:         104
        .size:           4
        .value_kind:     by_value
      - .offset:         108
        .size:           4
        .value_kind:     by_value
      - .offset:         112
        .size:           4
        .value_kind:     by_value
      - .offset:         116
        .size:           4
        .value_kind:     by_value
      - .offset:         120
        .size:           4
        .value_kind:     by_value
      - .offset:         128
        .size:           4
        .value_kind:     hidden_block_count_x
      - .offset:         132
        .size:           4
        .value_kind:     hidden_block_count_y
      - .offset:         136
        .size:           4
        .value_kind:     hidden_block_count_z
      - .offset:         140
        .size:           2
        .value_kind:     hidden_group_size_x
      - .offset:         142
        .size:           2
        .value_kind:     hidden_group_size_y
      - .offset:         144
        .size:           2
        .value_kind:     hidden_group_size_z
      - .offset:         146
        .size:           2
        .value_kind:     hidden_remainder_x
      - .offset:         148
        .size:           2
        .value_kind:     hidden_remainder_y
      - .offset:         150
        .size:           2
        .value_kind:     hidden_remainder_z
      - .offset:         168
        .size:           8
        .value_kind:     hidden_global_offset_x
      - .offset:         176
        .size:           8
        .value_kind:     hidden_global_offset_y
      - .offset:         184
        .size:           8
        .value_kind:     hidden_global_offset_z
      - .offset:         192
        .size:           2
        .value_kind:     hidden_grid_dims
      - .offset:         248
        .size:           4
        .value_kind:     hidden_dynamic_lds_size
    .group_segment_fixed_size: 336
    .kernarg_segment_align: 8
    .kernarg_segment_size: 384
    .language:       OpenCL C
    .language_version:
      - 2
      - 0
    .max_flat_workgroup_size: 1024
    .name:           _ZN4vllm25paged_attention_v1_kernelIfhLi80ELi32ELi128ELNS_18Fp8KVCacheDataTypeE1ELb1EEEvPT_PKS2_PKT0_S8_ifPKiSA_iPKfiiiSC_SC_iiiii
    .private_segment_fixed_size: 344
    .sgpr_count:     64
    .sgpr_spill_count: 0
    .symbol:         _ZN4vllm25paged_attention_v1_kernelIfhLi80ELi32ELi128ELNS_18Fp8KVCacheDataTypeE1ELb1EEEvPT_PKS2_PKT0_S8_ifPKiSA_iPKfiiiSC_SC_iiiii.kd
    .uniform_work_group_size: 1
    .uses_dynamic_stack: false
    .vgpr_count:     64
    .vgpr_spill_count: 223
    .wavefront_size: 64
  - .args:
      - .actual_access:  write_only
        .address_space:  global
        .offset:         0
        .size:           8
        .value_kind:     global_buffer
      - .actual_access:  read_only
        .address_space:  global
        .offset:         8
        .size:           8
        .value_kind:     global_buffer
      - .actual_access:  read_only
        .address_space:  global
        .offset:         16
        .size:           8
        .value_kind:     global_buffer
      - .actual_access:  read_only
        .address_space:  global
        .offset:         24
        .size:           8
        .value_kind:     global_buffer
      - .offset:         32
        .size:           4
        .value_kind:     by_value
      - .offset:         36
        .size:           4
        .value_kind:     by_value
      - .actual_access:  read_only
        .address_space:  global
        .offset:         40
        .size:           8
        .value_kind:     global_buffer
      - .actual_access:  read_only
        .address_space:  global
        .offset:         48
        .size:           8
        .value_kind:     global_buffer
      - .offset:         56
        .size:           4
        .value_kind:     by_value
      - .actual_access:  read_only
        .address_space:  global
        .offset:         64
        .size:           8
        .value_kind:     global_buffer
      - .offset:         72
        .size:           4
        .value_kind:     by_value
      - .offset:         76
        .size:           4
        .value_kind:     by_value
      - .offset:         80
        .size:           4
        .value_kind:     by_value
      - .address_space:  global
        .offset:         88
        .size:           8
        .value_kind:     global_buffer
      - .address_space:  global
        .offset:         96
        .size:           8
        .value_kind:     global_buffer
      - .offset:         104
        .size:           4
        .value_kind:     by_value
      - .offset:         108
        .size:           4
        .value_kind:     by_value
      - .offset:         112
        .size:           4
        .value_kind:     by_value
      - .offset:         116
        .size:           4
        .value_kind:     by_value
      - .offset:         120
        .size:           4
        .value_kind:     by_value
      - .offset:         128
        .size:           4
        .value_kind:     hidden_block_count_x
      - .offset:         132
        .size:           4
        .value_kind:     hidden_block_count_y
      - .offset:         136
        .size:           4
        .value_kind:     hidden_block_count_z
      - .offset:         140
        .size:           2
        .value_kind:     hidden_group_size_x
      - .offset:         142
        .size:           2
        .value_kind:     hidden_group_size_y
      - .offset:         144
        .size:           2
        .value_kind:     hidden_group_size_z
      - .offset:         146
        .size:           2
        .value_kind:     hidden_remainder_x
      - .offset:         148
        .size:           2
        .value_kind:     hidden_remainder_y
      - .offset:         150
        .size:           2
        .value_kind:     hidden_remainder_z
      - .offset:         168
        .size:           8
        .value_kind:     hidden_global_offset_x
      - .offset:         176
        .size:           8
        .value_kind:     hidden_global_offset_y
      - .offset:         184
        .size:           8
        .value_kind:     hidden_global_offset_z
      - .offset:         192
        .size:           2
        .value_kind:     hidden_grid_dims
      - .offset:         248
        .size:           4
        .value_kind:     hidden_dynamic_lds_size
    .group_segment_fixed_size: 400
    .kernarg_segment_align: 8
    .kernarg_segment_size: 384
    .language:       OpenCL C
    .language_version:
      - 2
      - 0
    .max_flat_workgroup_size: 1024
    .name:           _ZN4vllm25paged_attention_v1_kernelIfhLi96ELi32ELi128ELNS_18Fp8KVCacheDataTypeE1ELb1EEEvPT_PKS2_PKT0_S8_ifPKiSA_iPKfiiiSC_SC_iiiii
    .private_segment_fixed_size: 432
    .sgpr_count:     64
    .sgpr_spill_count: 0
    .symbol:         _ZN4vllm25paged_attention_v1_kernelIfhLi96ELi32ELi128ELNS_18Fp8KVCacheDataTypeE1ELb1EEEvPT_PKS2_PKT0_S8_ifPKiSA_iPKfiiiSC_SC_iiiii.kd
    .uniform_work_group_size: 1
    .uses_dynamic_stack: false
    .vgpr_count:     64
    .vgpr_spill_count: 300
    .wavefront_size: 64
  - .args:
      - .actual_access:  write_only
        .address_space:  global
        .offset:         0
        .size:           8
        .value_kind:     global_buffer
      - .actual_access:  read_only
        .address_space:  global
        .offset:         8
        .size:           8
        .value_kind:     global_buffer
      - .actual_access:  read_only
        .address_space:  global
        .offset:         16
        .size:           8
        .value_kind:     global_buffer
      - .actual_access:  read_only
        .address_space:  global
        .offset:         24
        .size:           8
        .value_kind:     global_buffer
      - .offset:         32
        .size:           4
        .value_kind:     by_value
      - .offset:         36
        .size:           4
        .value_kind:     by_value
      - .actual_access:  read_only
        .address_space:  global
        .offset:         40
        .size:           8
        .value_kind:     global_buffer
      - .actual_access:  read_only
        .address_space:  global
        .offset:         48
        .size:           8
        .value_kind:     global_buffer
      - .offset:         56
        .size:           4
        .value_kind:     by_value
      - .actual_access:  read_only
        .address_space:  global
        .offset:         64
        .size:           8
        .value_kind:     global_buffer
      - .offset:         72
        .size:           4
        .value_kind:     by_value
      - .offset:         76
        .size:           4
        .value_kind:     by_value
      - .offset:         80
        .size:           4
        .value_kind:     by_value
      - .address_space:  global
        .offset:         88
        .size:           8
        .value_kind:     global_buffer
      - .address_space:  global
        .offset:         96
        .size:           8
        .value_kind:     global_buffer
      - .offset:         104
        .size:           4
        .value_kind:     by_value
      - .offset:         108
        .size:           4
        .value_kind:     by_value
      - .offset:         112
        .size:           4
        .value_kind:     by_value
      - .offset:         116
        .size:           4
        .value_kind:     by_value
      - .offset:         120
        .size:           4
        .value_kind:     by_value
      - .offset:         128
        .size:           4
        .value_kind:     hidden_block_count_x
      - .offset:         132
        .size:           4
        .value_kind:     hidden_block_count_y
      - .offset:         136
        .size:           4
        .value_kind:     hidden_block_count_z
      - .offset:         140
        .size:           2
        .value_kind:     hidden_group_size_x
      - .offset:         142
        .size:           2
        .value_kind:     hidden_group_size_y
      - .offset:         144
        .size:           2
        .value_kind:     hidden_group_size_z
      - .offset:         146
        .size:           2
        .value_kind:     hidden_remainder_x
      - .offset:         148
        .size:           2
        .value_kind:     hidden_remainder_y
      - .offset:         150
        .size:           2
        .value_kind:     hidden_remainder_z
      - .offset:         168
        .size:           8
        .value_kind:     hidden_global_offset_x
      - .offset:         176
        .size:           8
        .value_kind:     hidden_global_offset_y
      - .offset:         184
        .size:           8
        .value_kind:     hidden_global_offset_z
      - .offset:         192
        .size:           2
        .value_kind:     hidden_grid_dims
      - .offset:         248
        .size:           4
        .value_kind:     hidden_dynamic_lds_size
    .group_segment_fixed_size: 464
    .kernarg_segment_align: 8
    .kernarg_segment_size: 384
    .language:       OpenCL C
    .language_version:
      - 2
      - 0
    .max_flat_workgroup_size: 1024
    .name:           _ZN4vllm25paged_attention_v1_kernelIfhLi112ELi32ELi128ELNS_18Fp8KVCacheDataTypeE1ELb1EEEvPT_PKS2_PKT0_S8_ifPKiSA_iPKfiiiSC_SC_iiiii
    .private_segment_fixed_size: 500
    .sgpr_count:     64
    .sgpr_spill_count: 0
    .symbol:         _ZN4vllm25paged_attention_v1_kernelIfhLi112ELi32ELi128ELNS_18Fp8KVCacheDataTypeE1ELb1EEEvPT_PKS2_PKT0_S8_ifPKiSA_iPKfiiiSC_SC_iiiii.kd
    .uniform_work_group_size: 1
    .uses_dynamic_stack: false
    .vgpr_count:     64
    .vgpr_spill_count: 389
    .wavefront_size: 64
  - .args:
      - .actual_access:  write_only
        .address_space:  global
        .offset:         0
        .size:           8
        .value_kind:     global_buffer
      - .actual_access:  read_only
        .address_space:  global
        .offset:         8
        .size:           8
        .value_kind:     global_buffer
      - .actual_access:  read_only
        .address_space:  global
        .offset:         16
        .size:           8
        .value_kind:     global_buffer
      - .actual_access:  read_only
        .address_space:  global
        .offset:         24
        .size:           8
        .value_kind:     global_buffer
      - .offset:         32
        .size:           4
        .value_kind:     by_value
      - .offset:         36
        .size:           4
        .value_kind:     by_value
      - .actual_access:  read_only
        .address_space:  global
        .offset:         40
        .size:           8
        .value_kind:     global_buffer
      - .actual_access:  read_only
        .address_space:  global
        .offset:         48
        .size:           8
        .value_kind:     global_buffer
      - .offset:         56
        .size:           4
        .value_kind:     by_value
      - .actual_access:  read_only
        .address_space:  global
        .offset:         64
        .size:           8
        .value_kind:     global_buffer
      - .offset:         72
        .size:           4
        .value_kind:     by_value
      - .offset:         76
        .size:           4
        .value_kind:     by_value
      - .offset:         80
        .size:           4
        .value_kind:     by_value
      - .address_space:  global
        .offset:         88
        .size:           8
        .value_kind:     global_buffer
      - .address_space:  global
        .offset:         96
        .size:           8
        .value_kind:     global_buffer
      - .offset:         104
        .size:           4
        .value_kind:     by_value
      - .offset:         108
        .size:           4
        .value_kind:     by_value
      - .offset:         112
        .size:           4
        .value_kind:     by_value
      - .offset:         116
        .size:           4
        .value_kind:     by_value
      - .offset:         120
        .size:           4
        .value_kind:     by_value
      - .offset:         128
        .size:           4
        .value_kind:     hidden_block_count_x
      - .offset:         132
        .size:           4
        .value_kind:     hidden_block_count_y
      - .offset:         136
        .size:           4
        .value_kind:     hidden_block_count_z
      - .offset:         140
        .size:           2
        .value_kind:     hidden_group_size_x
      - .offset:         142
        .size:           2
        .value_kind:     hidden_group_size_y
      - .offset:         144
        .size:           2
        .value_kind:     hidden_group_size_z
      - .offset:         146
        .size:           2
        .value_kind:     hidden_remainder_x
      - .offset:         148
        .size:           2
        .value_kind:     hidden_remainder_y
      - .offset:         150
        .size:           2
        .value_kind:     hidden_remainder_z
      - .offset:         168
        .size:           8
        .value_kind:     hidden_global_offset_x
      - .offset:         176
        .size:           8
        .value_kind:     hidden_global_offset_y
      - .offset:         184
        .size:           8
        .value_kind:     hidden_global_offset_z
      - .offset:         192
        .size:           2
        .value_kind:     hidden_grid_dims
      - .offset:         248
        .size:           4
        .value_kind:     hidden_dynamic_lds_size
    .group_segment_fixed_size: 496
    .kernarg_segment_align: 8
    .kernarg_segment_size: 384
    .language:       OpenCL C
    .language_version:
      - 2
      - 0
    .max_flat_workgroup_size: 1024
    .name:           _ZN4vllm25paged_attention_v1_kernelIfhLi120ELi32ELi128ELNS_18Fp8KVCacheDataTypeE1ELb1EEEvPT_PKS2_PKT0_S8_ifPKiSA_iPKfiiiSC_SC_iiiii
    .private_segment_fixed_size: 532
    .sgpr_count:     64
    .sgpr_spill_count: 0
    .symbol:         _ZN4vllm25paged_attention_v1_kernelIfhLi120ELi32ELi128ELNS_18Fp8KVCacheDataTypeE1ELb1EEEvPT_PKS2_PKT0_S8_ifPKiSA_iPKfiiiSC_SC_iiiii.kd
    .uniform_work_group_size: 1
    .uses_dynamic_stack: false
    .vgpr_count:     64
    .vgpr_spill_count: 422
    .wavefront_size: 64
  - .args:
      - .actual_access:  write_only
        .address_space:  global
        .offset:         0
        .size:           8
        .value_kind:     global_buffer
      - .actual_access:  read_only
        .address_space:  global
        .offset:         8
        .size:           8
        .value_kind:     global_buffer
      - .actual_access:  read_only
        .address_space:  global
        .offset:         16
        .size:           8
        .value_kind:     global_buffer
      - .actual_access:  read_only
        .address_space:  global
        .offset:         24
        .size:           8
        .value_kind:     global_buffer
      - .offset:         32
        .size:           4
        .value_kind:     by_value
      - .offset:         36
        .size:           4
        .value_kind:     by_value
      - .actual_access:  read_only
        .address_space:  global
        .offset:         40
        .size:           8
        .value_kind:     global_buffer
      - .actual_access:  read_only
        .address_space:  global
        .offset:         48
        .size:           8
        .value_kind:     global_buffer
      - .offset:         56
        .size:           4
        .value_kind:     by_value
      - .actual_access:  read_only
        .address_space:  global
        .offset:         64
        .size:           8
        .value_kind:     global_buffer
      - .offset:         72
        .size:           4
        .value_kind:     by_value
      - .offset:         76
        .size:           4
        .value_kind:     by_value
      - .offset:         80
        .size:           4
        .value_kind:     by_value
      - .address_space:  global
        .offset:         88
        .size:           8
        .value_kind:     global_buffer
      - .address_space:  global
        .offset:         96
        .size:           8
        .value_kind:     global_buffer
      - .offset:         104
        .size:           4
        .value_kind:     by_value
      - .offset:         108
        .size:           4
        .value_kind:     by_value
      - .offset:         112
        .size:           4
        .value_kind:     by_value
      - .offset:         116
        .size:           4
        .value_kind:     by_value
      - .offset:         120
        .size:           4
        .value_kind:     by_value
      - .offset:         128
        .size:           4
        .value_kind:     hidden_block_count_x
      - .offset:         132
        .size:           4
        .value_kind:     hidden_block_count_y
      - .offset:         136
        .size:           4
        .value_kind:     hidden_block_count_z
      - .offset:         140
        .size:           2
        .value_kind:     hidden_group_size_x
      - .offset:         142
        .size:           2
        .value_kind:     hidden_group_size_y
      - .offset:         144
        .size:           2
        .value_kind:     hidden_group_size_z
      - .offset:         146
        .size:           2
        .value_kind:     hidden_remainder_x
      - .offset:         148
        .size:           2
        .value_kind:     hidden_remainder_y
      - .offset:         150
        .size:           2
        .value_kind:     hidden_remainder_z
      - .offset:         168
        .size:           8
        .value_kind:     hidden_global_offset_x
      - .offset:         176
        .size:           8
        .value_kind:     hidden_global_offset_y
      - .offset:         184
        .size:           8
        .value_kind:     hidden_global_offset_z
      - .offset:         192
        .size:           2
        .value_kind:     hidden_grid_dims
      - .offset:         248
        .size:           4
        .value_kind:     hidden_dynamic_lds_size
    .group_segment_fixed_size: 528
    .kernarg_segment_align: 8
    .kernarg_segment_size: 384
    .language:       OpenCL C
    .language_version:
      - 2
      - 0
    .max_flat_workgroup_size: 1024
    .name:           _ZN4vllm25paged_attention_v1_kernelIfhLi128ELi32ELi128ELNS_18Fp8KVCacheDataTypeE1ELb1EEEvPT_PKS2_PKT0_S8_ifPKiSA_iPKfiiiSC_SC_iiiii
    .private_segment_fixed_size: 572
    .sgpr_count:     68
    .sgpr_spill_count: 0
    .symbol:         _ZN4vllm25paged_attention_v1_kernelIfhLi128ELi32ELi128ELNS_18Fp8KVCacheDataTypeE1ELb1EEEvPT_PKS2_PKT0_S8_ifPKiSA_iPKfiiiSC_SC_iiiii.kd
    .uniform_work_group_size: 1
    .uses_dynamic_stack: false
    .vgpr_count:     64
    .vgpr_spill_count: 482
    .wavefront_size: 64
  - .args:
      - .actual_access:  write_only
        .address_space:  global
        .offset:         0
        .size:           8
        .value_kind:     global_buffer
      - .actual_access:  read_only
        .address_space:  global
        .offset:         8
        .size:           8
        .value_kind:     global_buffer
      - .actual_access:  read_only
        .address_space:  global
        .offset:         16
        .size:           8
        .value_kind:     global_buffer
      - .actual_access:  read_only
        .address_space:  global
        .offset:         24
        .size:           8
        .value_kind:     global_buffer
      - .offset:         32
        .size:           4
        .value_kind:     by_value
      - .offset:         36
        .size:           4
        .value_kind:     by_value
      - .actual_access:  read_only
        .address_space:  global
        .offset:         40
        .size:           8
        .value_kind:     global_buffer
      - .actual_access:  read_only
        .address_space:  global
        .offset:         48
        .size:           8
        .value_kind:     global_buffer
      - .offset:         56
        .size:           4
        .value_kind:     by_value
      - .actual_access:  read_only
        .address_space:  global
        .offset:         64
        .size:           8
        .value_kind:     global_buffer
      - .offset:         72
        .size:           4
        .value_kind:     by_value
      - .offset:         76
        .size:           4
        .value_kind:     by_value
      - .offset:         80
        .size:           4
        .value_kind:     by_value
      - .address_space:  global
        .offset:         88
        .size:           8
        .value_kind:     global_buffer
      - .address_space:  global
        .offset:         96
        .size:           8
        .value_kind:     global_buffer
      - .offset:         104
        .size:           4
        .value_kind:     by_value
      - .offset:         108
        .size:           4
        .value_kind:     by_value
      - .offset:         112
        .size:           4
        .value_kind:     by_value
      - .offset:         116
        .size:           4
        .value_kind:     by_value
      - .offset:         120
        .size:           4
        .value_kind:     by_value
      - .offset:         128
        .size:           4
        .value_kind:     hidden_block_count_x
      - .offset:         132
        .size:           4
        .value_kind:     hidden_block_count_y
      - .offset:         136
        .size:           4
        .value_kind:     hidden_block_count_z
      - .offset:         140
        .size:           2
        .value_kind:     hidden_group_size_x
      - .offset:         142
        .size:           2
        .value_kind:     hidden_group_size_y
      - .offset:         144
        .size:           2
        .value_kind:     hidden_group_size_z
      - .offset:         146
        .size:           2
        .value_kind:     hidden_remainder_x
      - .offset:         148
        .size:           2
        .value_kind:     hidden_remainder_y
      - .offset:         150
        .size:           2
        .value_kind:     hidden_remainder_z
      - .offset:         168
        .size:           8
        .value_kind:     hidden_global_offset_x
      - .offset:         176
        .size:           8
        .value_kind:     hidden_global_offset_y
      - .offset:         184
        .size:           8
        .value_kind:     hidden_global_offset_z
      - .offset:         192
        .size:           2
        .value_kind:     hidden_grid_dims
      - .offset:         248
        .size:           4
        .value_kind:     hidden_dynamic_lds_size
    .group_segment_fixed_size: 784
    .kernarg_segment_align: 8
    .kernarg_segment_size: 384
    .language:       OpenCL C
    .language_version:
      - 2
      - 0
    .max_flat_workgroup_size: 1024
    .name:           _ZN4vllm25paged_attention_v1_kernelIfhLi192ELi32ELi128ELNS_18Fp8KVCacheDataTypeE1ELb1EEEvPT_PKS2_PKT0_S8_ifPKiSA_iPKfiiiSC_SC_iiiii
    .private_segment_fixed_size: 876
    .sgpr_count:     64
    .sgpr_spill_count: 0
    .symbol:         _ZN4vllm25paged_attention_v1_kernelIfhLi192ELi32ELi128ELNS_18Fp8KVCacheDataTypeE1ELb1EEEvPT_PKS2_PKT0_S8_ifPKiSA_iPKfiiiSC_SC_iiiii.kd
    .uniform_work_group_size: 1
    .uses_dynamic_stack: false
    .vgpr_count:     64
    .vgpr_spill_count: 914
    .wavefront_size: 64
  - .args:
      - .address_space:  global
        .offset:         0
        .size:           8
        .value_kind:     global_buffer
      - .address_space:  global
        .offset:         8
        .size:           8
        .value_kind:     global_buffer
      - .address_space:  global
        .offset:         16
        .size:           8
        .value_kind:     global_buffer
      - .address_space:  global
        .offset:         24
        .size:           8
        .value_kind:     global_buffer
      - .offset:         32
        .size:           4
        .value_kind:     by_value
      - .offset:         36
        .size:           4
        .value_kind:     by_value
      - .address_space:  global
        .offset:         40
        .size:           8
        .value_kind:     global_buffer
      - .address_space:  global
        .offset:         48
        .size:           8
        .value_kind:     global_buffer
      - .offset:         56
        .size:           4
        .value_kind:     by_value
      - .address_space:  global
        .offset:         64
        .size:           8
        .value_kind:     global_buffer
      - .offset:         72
        .size:           4
        .value_kind:     by_value
      - .offset:         76
        .size:           4
        .value_kind:     by_value
      - .offset:         80
        .size:           4
        .value_kind:     by_value
      - .address_space:  global
        .offset:         88
        .size:           8
        .value_kind:     global_buffer
      - .address_space:  global
        .offset:         96
        .size:           8
        .value_kind:     global_buffer
      - .offset:         104
        .size:           4
        .value_kind:     by_value
      - .offset:         108
        .size:           4
        .value_kind:     by_value
      - .offset:         112
        .size:           4
        .value_kind:     by_value
      - .offset:         116
        .size:           4
        .value_kind:     by_value
      - .offset:         120
        .size:           4
        .value_kind:     by_value
      - .offset:         128
        .size:           4
        .value_kind:     hidden_block_count_x
      - .offset:         132
        .size:           4
        .value_kind:     hidden_block_count_y
      - .offset:         136
        .size:           4
        .value_kind:     hidden_block_count_z
      - .offset:         140
        .size:           2
        .value_kind:     hidden_group_size_x
      - .offset:         142
        .size:           2
        .value_kind:     hidden_group_size_y
      - .offset:         144
        .size:           2
        .value_kind:     hidden_group_size_z
      - .offset:         146
        .size:           2
        .value_kind:     hidden_remainder_x
      - .offset:         148
        .size:           2
        .value_kind:     hidden_remainder_y
      - .offset:         150
        .size:           2
        .value_kind:     hidden_remainder_z
      - .offset:         168
        .size:           8
        .value_kind:     hidden_global_offset_x
      - .offset:         176
        .size:           8
        .value_kind:     hidden_global_offset_y
      - .offset:         184
        .size:           8
        .value_kind:     hidden_global_offset_z
      - .offset:         192
        .size:           2
        .value_kind:     hidden_grid_dims
      - .offset:         248
        .size:           4
        .value_kind:     hidden_dynamic_lds_size
    .group_segment_fixed_size: 1040
    .kernarg_segment_align: 8
    .kernarg_segment_size: 384
    .language:       OpenCL C
    .language_version:
      - 2
      - 0
    .max_flat_workgroup_size: 1024
    .name:           _ZN4vllm25paged_attention_v1_kernelIfhLi256ELi32ELi128ELNS_18Fp8KVCacheDataTypeE1ELb1EEEvPT_PKS2_PKT0_S8_ifPKiSA_iPKfiiiSC_SC_iiiii
    .private_segment_fixed_size: 1320
    .sgpr_count:     49
    .sgpr_spill_count: 0
    .symbol:         _ZN4vllm25paged_attention_v1_kernelIfhLi256ELi32ELi128ELNS_18Fp8KVCacheDataTypeE1ELb1EEEvPT_PKS2_PKT0_S8_ifPKiSA_iPKfiiiSC_SC_iiiii.kd
    .uniform_work_group_size: 1
    .uses_dynamic_stack: false
    .vgpr_count:     64
    .vgpr_spill_count: 0
    .wavefront_size: 64
  - .args:
      - .actual_access:  write_only
        .address_space:  global
        .offset:         0
        .size:           8
        .value_kind:     global_buffer
      - .actual_access:  read_only
        .address_space:  global
        .offset:         8
        .size:           8
        .value_kind:     global_buffer
      - .actual_access:  read_only
        .address_space:  global
        .offset:         16
        .size:           8
        .value_kind:     global_buffer
      - .actual_access:  read_only
        .address_space:  global
        .offset:         24
        .size:           8
        .value_kind:     global_buffer
      - .offset:         32
        .size:           4
        .value_kind:     by_value
      - .offset:         36
        .size:           4
        .value_kind:     by_value
      - .actual_access:  read_only
        .address_space:  global
        .offset:         40
        .size:           8
        .value_kind:     global_buffer
      - .actual_access:  read_only
        .address_space:  global
        .offset:         48
        .size:           8
        .value_kind:     global_buffer
      - .offset:         56
        .size:           4
        .value_kind:     by_value
      - .actual_access:  read_only
        .address_space:  global
        .offset:         64
        .size:           8
        .value_kind:     global_buffer
      - .offset:         72
        .size:           4
        .value_kind:     by_value
      - .offset:         76
        .size:           4
        .value_kind:     by_value
      - .offset:         80
        .size:           4
        .value_kind:     by_value
      - .address_space:  global
        .offset:         88
        .size:           8
        .value_kind:     global_buffer
      - .address_space:  global
        .offset:         96
        .size:           8
        .value_kind:     global_buffer
      - .offset:         104
        .size:           4
        .value_kind:     by_value
      - .offset:         108
        .size:           4
        .value_kind:     by_value
      - .offset:         112
        .size:           4
        .value_kind:     by_value
      - .offset:         116
        .size:           4
        .value_kind:     by_value
      - .offset:         120
        .size:           4
        .value_kind:     by_value
      - .offset:         128
        .size:           4
        .value_kind:     hidden_block_count_x
      - .offset:         132
        .size:           4
        .value_kind:     hidden_block_count_y
      - .offset:         136
        .size:           4
        .value_kind:     hidden_block_count_z
      - .offset:         140
        .size:           2
        .value_kind:     hidden_group_size_x
      - .offset:         142
        .size:           2
        .value_kind:     hidden_group_size_y
      - .offset:         144
        .size:           2
        .value_kind:     hidden_group_size_z
      - .offset:         146
        .size:           2
        .value_kind:     hidden_remainder_x
      - .offset:         148
        .size:           2
        .value_kind:     hidden_remainder_y
      - .offset:         150
        .size:           2
        .value_kind:     hidden_remainder_z
      - .offset:         168
        .size:           8
        .value_kind:     hidden_global_offset_x
      - .offset:         176
        .size:           8
        .value_kind:     hidden_global_offset_y
      - .offset:         184
        .size:           8
        .value_kind:     hidden_global_offset_z
      - .offset:         192
        .size:           2
        .value_kind:     hidden_grid_dims
      - .offset:         248
        .size:           4
        .value_kind:     hidden_dynamic_lds_size
    .group_segment_fixed_size: 144
    .kernarg_segment_align: 8
    .kernarg_segment_size: 384
    .language:       OpenCL C
    .language_version:
      - 2
      - 0
    .max_flat_workgroup_size: 1024
    .name:           _ZN4vllm25paged_attention_v1_kernelIfhLi32ELi32ELi128ELNS_18Fp8KVCacheDataTypeE1ELb0EEEvPT_PKS2_PKT0_S8_ifPKiSA_iPKfiiiSC_SC_iiiii
    .private_segment_fixed_size: 36
    .sgpr_count:     56
    .sgpr_spill_count: 0
    .symbol:         _ZN4vllm25paged_attention_v1_kernelIfhLi32ELi32ELi128ELNS_18Fp8KVCacheDataTypeE1ELb0EEEvPT_PKS2_PKT0_S8_ifPKiSA_iPKfiiiSC_SC_iiiii.kd
    .uniform_work_group_size: 1
    .uses_dynamic_stack: false
    .vgpr_count:     64
    .vgpr_spill_count: 8
    .wavefront_size: 64
  - .args:
      - .actual_access:  write_only
        .address_space:  global
        .offset:         0
        .size:           8
        .value_kind:     global_buffer
      - .actual_access:  read_only
        .address_space:  global
        .offset:         8
        .size:           8
        .value_kind:     global_buffer
      - .actual_access:  read_only
        .address_space:  global
        .offset:         16
        .size:           8
        .value_kind:     global_buffer
      - .actual_access:  read_only
        .address_space:  global
        .offset:         24
        .size:           8
        .value_kind:     global_buffer
      - .offset:         32
        .size:           4
        .value_kind:     by_value
      - .offset:         36
        .size:           4
        .value_kind:     by_value
      - .actual_access:  read_only
        .address_space:  global
        .offset:         40
        .size:           8
        .value_kind:     global_buffer
      - .actual_access:  read_only
        .address_space:  global
        .offset:         48
        .size:           8
        .value_kind:     global_buffer
      - .offset:         56
        .size:           4
        .value_kind:     by_value
      - .actual_access:  read_only
        .address_space:  global
        .offset:         64
        .size:           8
        .value_kind:     global_buffer
      - .offset:         72
        .size:           4
        .value_kind:     by_value
      - .offset:         76
        .size:           4
        .value_kind:     by_value
      - .offset:         80
        .size:           4
        .value_kind:     by_value
      - .address_space:  global
        .offset:         88
        .size:           8
        .value_kind:     global_buffer
      - .address_space:  global
        .offset:         96
        .size:           8
        .value_kind:     global_buffer
      - .offset:         104
        .size:           4
        .value_kind:     by_value
      - .offset:         108
        .size:           4
        .value_kind:     by_value
      - .offset:         112
        .size:           4
        .value_kind:     by_value
      - .offset:         116
        .size:           4
        .value_kind:     by_value
      - .offset:         120
        .size:           4
        .value_kind:     by_value
      - .offset:         128
        .size:           4
        .value_kind:     hidden_block_count_x
      - .offset:         132
        .size:           4
        .value_kind:     hidden_block_count_y
      - .offset:         136
        .size:           4
        .value_kind:     hidden_block_count_z
      - .offset:         140
        .size:           2
        .value_kind:     hidden_group_size_x
      - .offset:         142
        .size:           2
        .value_kind:     hidden_group_size_y
      - .offset:         144
        .size:           2
        .value_kind:     hidden_group_size_z
      - .offset:         146
        .size:           2
        .value_kind:     hidden_remainder_x
      - .offset:         148
        .size:           2
        .value_kind:     hidden_remainder_y
      - .offset:         150
        .size:           2
        .value_kind:     hidden_remainder_z
      - .offset:         168
        .size:           8
        .value_kind:     hidden_global_offset_x
      - .offset:         176
        .size:           8
        .value_kind:     hidden_global_offset_y
      - .offset:         184
        .size:           8
        .value_kind:     hidden_global_offset_z
      - .offset:         192
        .size:           2
        .value_kind:     hidden_grid_dims
      - .offset:         248
        .size:           4
        .value_kind:     hidden_dynamic_lds_size
    .group_segment_fixed_size: 272
    .kernarg_segment_align: 8
    .kernarg_segment_size: 384
    .language:       OpenCL C
    .language_version:
      - 2
      - 0
    .max_flat_workgroup_size: 1024
    .name:           _ZN4vllm25paged_attention_v1_kernelIfhLi64ELi32ELi128ELNS_18Fp8KVCacheDataTypeE1ELb0EEEvPT_PKS2_PKT0_S8_ifPKiSA_iPKfiiiSC_SC_iiiii
    .private_segment_fixed_size: 232
    .sgpr_count:     56
    .sgpr_spill_count: 0
    .symbol:         _ZN4vllm25paged_attention_v1_kernelIfhLi64ELi32ELi128ELNS_18Fp8KVCacheDataTypeE1ELb0EEEvPT_PKS2_PKT0_S8_ifPKiSA_iPKfiiiSC_SC_iiiii.kd
    .uniform_work_group_size: 1
    .uses_dynamic_stack: false
    .vgpr_count:     64
    .vgpr_spill_count: 119
    .wavefront_size: 64
  - .args:
      - .actual_access:  write_only
        .address_space:  global
        .offset:         0
        .size:           8
        .value_kind:     global_buffer
      - .actual_access:  read_only
        .address_space:  global
        .offset:         8
        .size:           8
        .value_kind:     global_buffer
      - .actual_access:  read_only
        .address_space:  global
        .offset:         16
        .size:           8
        .value_kind:     global_buffer
      - .actual_access:  read_only
        .address_space:  global
        .offset:         24
        .size:           8
        .value_kind:     global_buffer
      - .offset:         32
        .size:           4
        .value_kind:     by_value
      - .offset:         36
        .size:           4
        .value_kind:     by_value
      - .actual_access:  read_only
        .address_space:  global
        .offset:         40
        .size:           8
        .value_kind:     global_buffer
      - .actual_access:  read_only
        .address_space:  global
        .offset:         48
        .size:           8
        .value_kind:     global_buffer
      - .offset:         56
        .size:           4
        .value_kind:     by_value
      - .actual_access:  read_only
        .address_space:  global
        .offset:         64
        .size:           8
        .value_kind:     global_buffer
      - .offset:         72
        .size:           4
        .value_kind:     by_value
      - .offset:         76
        .size:           4
        .value_kind:     by_value
      - .offset:         80
        .size:           4
        .value_kind:     by_value
      - .address_space:  global
        .offset:         88
        .size:           8
        .value_kind:     global_buffer
      - .address_space:  global
        .offset:         96
        .size:           8
        .value_kind:     global_buffer
      - .offset:         104
        .size:           4
        .value_kind:     by_value
      - .offset:         108
        .size:           4
        .value_kind:     by_value
      - .offset:         112
        .size:           4
        .value_kind:     by_value
      - .offset:         116
        .size:           4
        .value_kind:     by_value
      - .offset:         120
        .size:           4
        .value_kind:     by_value
      - .offset:         128
        .size:           4
        .value_kind:     hidden_block_count_x
      - .offset:         132
        .size:           4
        .value_kind:     hidden_block_count_y
      - .offset:         136
        .size:           4
        .value_kind:     hidden_block_count_z
      - .offset:         140
        .size:           2
        .value_kind:     hidden_group_size_x
      - .offset:         142
        .size:           2
        .value_kind:     hidden_group_size_y
      - .offset:         144
        .size:           2
        .value_kind:     hidden_group_size_z
      - .offset:         146
        .size:           2
        .value_kind:     hidden_remainder_x
      - .offset:         148
        .size:           2
        .value_kind:     hidden_remainder_y
      - .offset:         150
        .size:           2
        .value_kind:     hidden_remainder_z
      - .offset:         168
        .size:           8
        .value_kind:     hidden_global_offset_x
      - .offset:         176
        .size:           8
        .value_kind:     hidden_global_offset_y
      - .offset:         184
        .size:           8
        .value_kind:     hidden_global_offset_z
      - .offset:         192
        .size:           2
        .value_kind:     hidden_grid_dims
      - .offset:         248
        .size:           4
        .value_kind:     hidden_dynamic_lds_size
    .group_segment_fixed_size: 336
    .kernarg_segment_align: 8
    .kernarg_segment_size: 384
    .language:       OpenCL C
    .language_version:
      - 2
      - 0
    .max_flat_workgroup_size: 1024
    .name:           _ZN4vllm25paged_attention_v1_kernelIfhLi80ELi32ELi128ELNS_18Fp8KVCacheDataTypeE1ELb0EEEvPT_PKS2_PKT0_S8_ifPKiSA_iPKfiiiSC_SC_iiiii
    .private_segment_fixed_size: 332
    .sgpr_count:     56
    .sgpr_spill_count: 0
    .symbol:         _ZN4vllm25paged_attention_v1_kernelIfhLi80ELi32ELi128ELNS_18Fp8KVCacheDataTypeE1ELb0EEEvPT_PKS2_PKT0_S8_ifPKiSA_iPKfiiiSC_SC_iiiii.kd
    .uniform_work_group_size: 1
    .uses_dynamic_stack: false
    .vgpr_count:     64
    .vgpr_spill_count: 196
    .wavefront_size: 64
  - .args:
      - .actual_access:  write_only
        .address_space:  global
        .offset:         0
        .size:           8
        .value_kind:     global_buffer
      - .actual_access:  read_only
        .address_space:  global
        .offset:         8
        .size:           8
        .value_kind:     global_buffer
      - .actual_access:  read_only
        .address_space:  global
        .offset:         16
        .size:           8
        .value_kind:     global_buffer
      - .actual_access:  read_only
        .address_space:  global
        .offset:         24
        .size:           8
        .value_kind:     global_buffer
      - .offset:         32
        .size:           4
        .value_kind:     by_value
      - .offset:         36
        .size:           4
        .value_kind:     by_value
      - .actual_access:  read_only
        .address_space:  global
        .offset:         40
        .size:           8
        .value_kind:     global_buffer
      - .actual_access:  read_only
        .address_space:  global
        .offset:         48
        .size:           8
        .value_kind:     global_buffer
      - .offset:         56
        .size:           4
        .value_kind:     by_value
      - .actual_access:  read_only
        .address_space:  global
        .offset:         64
        .size:           8
        .value_kind:     global_buffer
      - .offset:         72
        .size:           4
        .value_kind:     by_value
      - .offset:         76
        .size:           4
        .value_kind:     by_value
      - .offset:         80
        .size:           4
        .value_kind:     by_value
      - .address_space:  global
        .offset:         88
        .size:           8
        .value_kind:     global_buffer
      - .address_space:  global
        .offset:         96
        .size:           8
        .value_kind:     global_buffer
      - .offset:         104
        .size:           4
        .value_kind:     by_value
      - .offset:         108
        .size:           4
        .value_kind:     by_value
      - .offset:         112
        .size:           4
        .value_kind:     by_value
      - .offset:         116
        .size:           4
        .value_kind:     by_value
      - .offset:         120
        .size:           4
        .value_kind:     by_value
      - .offset:         128
        .size:           4
        .value_kind:     hidden_block_count_x
      - .offset:         132
        .size:           4
        .value_kind:     hidden_block_count_y
      - .offset:         136
        .size:           4
        .value_kind:     hidden_block_count_z
      - .offset:         140
        .size:           2
        .value_kind:     hidden_group_size_x
      - .offset:         142
        .size:           2
        .value_kind:     hidden_group_size_y
      - .offset:         144
        .size:           2
        .value_kind:     hidden_group_size_z
      - .offset:         146
        .size:           2
        .value_kind:     hidden_remainder_x
      - .offset:         148
        .size:           2
        .value_kind:     hidden_remainder_y
      - .offset:         150
        .size:           2
        .value_kind:     hidden_remainder_z
      - .offset:         168
        .size:           8
        .value_kind:     hidden_global_offset_x
      - .offset:         176
        .size:           8
        .value_kind:     hidden_global_offset_y
      - .offset:         184
        .size:           8
        .value_kind:     hidden_global_offset_z
      - .offset:         192
        .size:           2
        .value_kind:     hidden_grid_dims
      - .offset:         248
        .size:           4
        .value_kind:     hidden_dynamic_lds_size
    .group_segment_fixed_size: 400
    .kernarg_segment_align: 8
    .kernarg_segment_size: 384
    .language:       OpenCL C
    .language_version:
      - 2
      - 0
    .max_flat_workgroup_size: 1024
    .name:           _ZN4vllm25paged_attention_v1_kernelIfhLi96ELi32ELi128ELNS_18Fp8KVCacheDataTypeE1ELb0EEEvPT_PKS2_PKT0_S8_ifPKiSA_iPKfiiiSC_SC_iiiii
    .private_segment_fixed_size: 424
    .sgpr_count:     56
    .sgpr_spill_count: 0
    .symbol:         _ZN4vllm25paged_attention_v1_kernelIfhLi96ELi32ELi128ELNS_18Fp8KVCacheDataTypeE1ELb0EEEvPT_PKS2_PKT0_S8_ifPKiSA_iPKfiiiSC_SC_iiiii.kd
    .uniform_work_group_size: 1
    .uses_dynamic_stack: false
    .vgpr_count:     64
    .vgpr_spill_count: 281
    .wavefront_size: 64
  - .args:
      - .actual_access:  write_only
        .address_space:  global
        .offset:         0
        .size:           8
        .value_kind:     global_buffer
      - .actual_access:  read_only
        .address_space:  global
        .offset:         8
        .size:           8
        .value_kind:     global_buffer
      - .actual_access:  read_only
        .address_space:  global
        .offset:         16
        .size:           8
        .value_kind:     global_buffer
      - .actual_access:  read_only
        .address_space:  global
        .offset:         24
        .size:           8
        .value_kind:     global_buffer
      - .offset:         32
        .size:           4
        .value_kind:     by_value
      - .offset:         36
        .size:           4
        .value_kind:     by_value
      - .actual_access:  read_only
        .address_space:  global
        .offset:         40
        .size:           8
        .value_kind:     global_buffer
      - .actual_access:  read_only
        .address_space:  global
        .offset:         48
        .size:           8
        .value_kind:     global_buffer
      - .offset:         56
        .size:           4
        .value_kind:     by_value
      - .actual_access:  read_only
        .address_space:  global
        .offset:         64
        .size:           8
        .value_kind:     global_buffer
      - .offset:         72
        .size:           4
        .value_kind:     by_value
      - .offset:         76
        .size:           4
        .value_kind:     by_value
      - .offset:         80
        .size:           4
        .value_kind:     by_value
      - .address_space:  global
        .offset:         88
        .size:           8
        .value_kind:     global_buffer
      - .address_space:  global
        .offset:         96
        .size:           8
        .value_kind:     global_buffer
      - .offset:         104
        .size:           4
        .value_kind:     by_value
      - .offset:         108
        .size:           4
        .value_kind:     by_value
      - .offset:         112
        .size:           4
        .value_kind:     by_value
      - .offset:         116
        .size:           4
        .value_kind:     by_value
      - .offset:         120
        .size:           4
        .value_kind:     by_value
      - .offset:         128
        .size:           4
        .value_kind:     hidden_block_count_x
      - .offset:         132
        .size:           4
        .value_kind:     hidden_block_count_y
      - .offset:         136
        .size:           4
        .value_kind:     hidden_block_count_z
      - .offset:         140
        .size:           2
        .value_kind:     hidden_group_size_x
      - .offset:         142
        .size:           2
        .value_kind:     hidden_group_size_y
      - .offset:         144
        .size:           2
        .value_kind:     hidden_group_size_z
      - .offset:         146
        .size:           2
        .value_kind:     hidden_remainder_x
      - .offset:         148
        .size:           2
        .value_kind:     hidden_remainder_y
      - .offset:         150
        .size:           2
        .value_kind:     hidden_remainder_z
      - .offset:         168
        .size:           8
        .value_kind:     hidden_global_offset_x
      - .offset:         176
        .size:           8
        .value_kind:     hidden_global_offset_y
      - .offset:         184
        .size:           8
        .value_kind:     hidden_global_offset_z
      - .offset:         192
        .size:           2
        .value_kind:     hidden_grid_dims
      - .offset:         248
        .size:           4
        .value_kind:     hidden_dynamic_lds_size
    .group_segment_fixed_size: 464
    .kernarg_segment_align: 8
    .kernarg_segment_size: 384
    .language:       OpenCL C
    .language_version:
      - 2
      - 0
    .max_flat_workgroup_size: 1024
    .name:           _ZN4vllm25paged_attention_v1_kernelIfhLi112ELi32ELi128ELNS_18Fp8KVCacheDataTypeE1ELb0EEEvPT_PKS2_PKT0_S8_ifPKiSA_iPKfiiiSC_SC_iiiii
    .private_segment_fixed_size: 536
    .sgpr_count:     56
    .sgpr_spill_count: 0
    .symbol:         _ZN4vllm25paged_attention_v1_kernelIfhLi112ELi32ELi128ELNS_18Fp8KVCacheDataTypeE1ELb0EEEvPT_PKS2_PKT0_S8_ifPKiSA_iPKfiiiSC_SC_iiiii.kd
    .uniform_work_group_size: 1
    .uses_dynamic_stack: false
    .vgpr_count:     64
    .vgpr_spill_count: 428
    .wavefront_size: 64
  - .args:
      - .actual_access:  write_only
        .address_space:  global
        .offset:         0
        .size:           8
        .value_kind:     global_buffer
      - .actual_access:  read_only
        .address_space:  global
        .offset:         8
        .size:           8
        .value_kind:     global_buffer
      - .actual_access:  read_only
        .address_space:  global
        .offset:         16
        .size:           8
        .value_kind:     global_buffer
      - .actual_access:  read_only
        .address_space:  global
        .offset:         24
        .size:           8
        .value_kind:     global_buffer
      - .offset:         32
        .size:           4
        .value_kind:     by_value
      - .offset:         36
        .size:           4
        .value_kind:     by_value
      - .actual_access:  read_only
        .address_space:  global
        .offset:         40
        .size:           8
        .value_kind:     global_buffer
      - .actual_access:  read_only
        .address_space:  global
        .offset:         48
        .size:           8
        .value_kind:     global_buffer
      - .offset:         56
        .size:           4
        .value_kind:     by_value
      - .actual_access:  read_only
        .address_space:  global
        .offset:         64
        .size:           8
        .value_kind:     global_buffer
      - .offset:         72
        .size:           4
        .value_kind:     by_value
      - .offset:         76
        .size:           4
        .value_kind:     by_value
      - .offset:         80
        .size:           4
        .value_kind:     by_value
      - .address_space:  global
        .offset:         88
        .size:           8
        .value_kind:     global_buffer
      - .address_space:  global
        .offset:         96
        .size:           8
        .value_kind:     global_buffer
      - .offset:         104
        .size:           4
        .value_kind:     by_value
      - .offset:         108
        .size:           4
        .value_kind:     by_value
      - .offset:         112
        .size:           4
        .value_kind:     by_value
      - .offset:         116
        .size:           4
        .value_kind:     by_value
      - .offset:         120
        .size:           4
        .value_kind:     by_value
      - .offset:         128
        .size:           4
        .value_kind:     hidden_block_count_x
      - .offset:         132
        .size:           4
        .value_kind:     hidden_block_count_y
      - .offset:         136
        .size:           4
        .value_kind:     hidden_block_count_z
      - .offset:         140
        .size:           2
        .value_kind:     hidden_group_size_x
      - .offset:         142
        .size:           2
        .value_kind:     hidden_group_size_y
      - .offset:         144
        .size:           2
        .value_kind:     hidden_group_size_z
      - .offset:         146
        .size:           2
        .value_kind:     hidden_remainder_x
      - .offset:         148
        .size:           2
        .value_kind:     hidden_remainder_y
      - .offset:         150
        .size:           2
        .value_kind:     hidden_remainder_z
      - .offset:         168
        .size:           8
        .value_kind:     hidden_global_offset_x
      - .offset:         176
        .size:           8
        .value_kind:     hidden_global_offset_y
      - .offset:         184
        .size:           8
        .value_kind:     hidden_global_offset_z
      - .offset:         192
        .size:           2
        .value_kind:     hidden_grid_dims
      - .offset:         248
        .size:           4
        .value_kind:     hidden_dynamic_lds_size
    .group_segment_fixed_size: 496
    .kernarg_segment_align: 8
    .kernarg_segment_size: 384
    .language:       OpenCL C
    .language_version:
      - 2
      - 0
    .max_flat_workgroup_size: 1024
    .name:           _ZN4vllm25paged_attention_v1_kernelIfhLi120ELi32ELi128ELNS_18Fp8KVCacheDataTypeE1ELb0EEEvPT_PKS2_PKT0_S8_ifPKiSA_iPKfiiiSC_SC_iiiii
    .private_segment_fixed_size: 620
    .sgpr_count:     56
    .sgpr_spill_count: 0
    .symbol:         _ZN4vllm25paged_attention_v1_kernelIfhLi120ELi32ELi128ELNS_18Fp8KVCacheDataTypeE1ELb0EEEvPT_PKS2_PKT0_S8_ifPKiSA_iPKfiiiSC_SC_iiiii.kd
    .uniform_work_group_size: 1
    .uses_dynamic_stack: false
    .vgpr_count:     64
    .vgpr_spill_count: 497
    .wavefront_size: 64
  - .args:
      - .actual_access:  write_only
        .address_space:  global
        .offset:         0
        .size:           8
        .value_kind:     global_buffer
      - .actual_access:  read_only
        .address_space:  global
        .offset:         8
        .size:           8
        .value_kind:     global_buffer
      - .actual_access:  read_only
        .address_space:  global
        .offset:         16
        .size:           8
        .value_kind:     global_buffer
      - .actual_access:  read_only
        .address_space:  global
        .offset:         24
        .size:           8
        .value_kind:     global_buffer
      - .offset:         32
        .size:           4
        .value_kind:     by_value
      - .offset:         36
        .size:           4
        .value_kind:     by_value
      - .actual_access:  read_only
        .address_space:  global
        .offset:         40
        .size:           8
        .value_kind:     global_buffer
      - .actual_access:  read_only
        .address_space:  global
        .offset:         48
        .size:           8
        .value_kind:     global_buffer
      - .offset:         56
        .size:           4
        .value_kind:     by_value
      - .actual_access:  read_only
        .address_space:  global
        .offset:         64
        .size:           8
        .value_kind:     global_buffer
      - .offset:         72
        .size:           4
        .value_kind:     by_value
      - .offset:         76
        .size:           4
        .value_kind:     by_value
      - .offset:         80
        .size:           4
        .value_kind:     by_value
      - .address_space:  global
        .offset:         88
        .size:           8
        .value_kind:     global_buffer
      - .address_space:  global
        .offset:         96
        .size:           8
        .value_kind:     global_buffer
      - .offset:         104
        .size:           4
        .value_kind:     by_value
      - .offset:         108
        .size:           4
        .value_kind:     by_value
      - .offset:         112
        .size:           4
        .value_kind:     by_value
      - .offset:         116
        .size:           4
        .value_kind:     by_value
      - .offset:         120
        .size:           4
        .value_kind:     by_value
      - .offset:         128
        .size:           4
        .value_kind:     hidden_block_count_x
      - .offset:         132
        .size:           4
        .value_kind:     hidden_block_count_y
      - .offset:         136
        .size:           4
        .value_kind:     hidden_block_count_z
      - .offset:         140
        .size:           2
        .value_kind:     hidden_group_size_x
      - .offset:         142
        .size:           2
        .value_kind:     hidden_group_size_y
      - .offset:         144
        .size:           2
        .value_kind:     hidden_group_size_z
      - .offset:         146
        .size:           2
        .value_kind:     hidden_remainder_x
      - .offset:         148
        .size:           2
        .value_kind:     hidden_remainder_y
      - .offset:         150
        .size:           2
        .value_kind:     hidden_remainder_z
      - .offset:         168
        .size:           8
        .value_kind:     hidden_global_offset_x
      - .offset:         176
        .size:           8
        .value_kind:     hidden_global_offset_y
      - .offset:         184
        .size:           8
        .value_kind:     hidden_global_offset_z
      - .offset:         192
        .size:           2
        .value_kind:     hidden_grid_dims
      - .offset:         248
        .size:           4
        .value_kind:     hidden_dynamic_lds_size
    .group_segment_fixed_size: 528
    .kernarg_segment_align: 8
    .kernarg_segment_size: 384
    .language:       OpenCL C
    .language_version:
      - 2
      - 0
    .max_flat_workgroup_size: 1024
    .name:           _ZN4vllm25paged_attention_v1_kernelIfhLi128ELi32ELi128ELNS_18Fp8KVCacheDataTypeE1ELb0EEEvPT_PKS2_PKT0_S8_ifPKiSA_iPKfiiiSC_SC_iiiii
    .private_segment_fixed_size: 680
    .sgpr_count:     56
    .sgpr_spill_count: 0
    .symbol:         _ZN4vllm25paged_attention_v1_kernelIfhLi128ELi32ELi128ELNS_18Fp8KVCacheDataTypeE1ELb0EEEvPT_PKS2_PKT0_S8_ifPKiSA_iPKfiiiSC_SC_iiiii.kd
    .uniform_work_group_size: 1
    .uses_dynamic_stack: false
    .vgpr_count:     64
    .vgpr_spill_count: 559
    .wavefront_size: 64
  - .args:
      - .actual_access:  write_only
        .address_space:  global
        .offset:         0
        .size:           8
        .value_kind:     global_buffer
      - .actual_access:  read_only
        .address_space:  global
        .offset:         8
        .size:           8
        .value_kind:     global_buffer
      - .actual_access:  read_only
        .address_space:  global
        .offset:         16
        .size:           8
        .value_kind:     global_buffer
      - .actual_access:  read_only
        .address_space:  global
        .offset:         24
        .size:           8
        .value_kind:     global_buffer
      - .offset:         32
        .size:           4
        .value_kind:     by_value
      - .offset:         36
        .size:           4
        .value_kind:     by_value
      - .actual_access:  read_only
        .address_space:  global
        .offset:         40
        .size:           8
        .value_kind:     global_buffer
      - .actual_access:  read_only
        .address_space:  global
        .offset:         48
        .size:           8
        .value_kind:     global_buffer
      - .offset:         56
        .size:           4
        .value_kind:     by_value
      - .actual_access:  read_only
        .address_space:  global
        .offset:         64
        .size:           8
        .value_kind:     global_buffer
      - .offset:         72
        .size:           4
        .value_kind:     by_value
      - .offset:         76
        .size:           4
        .value_kind:     by_value
      - .offset:         80
        .size:           4
        .value_kind:     by_value
      - .address_space:  global
        .offset:         88
        .size:           8
        .value_kind:     global_buffer
      - .address_space:  global
        .offset:         96
        .size:           8
        .value_kind:     global_buffer
      - .offset:         104
        .size:           4
        .value_kind:     by_value
      - .offset:         108
        .size:           4
        .value_kind:     by_value
      - .offset:         112
        .size:           4
        .value_kind:     by_value
      - .offset:         116
        .size:           4
        .value_kind:     by_value
      - .offset:         120
        .size:           4
        .value_kind:     by_value
      - .offset:         128
        .size:           4
        .value_kind:     hidden_block_count_x
      - .offset:         132
        .size:           4
        .value_kind:     hidden_block_count_y
      - .offset:         136
        .size:           4
        .value_kind:     hidden_block_count_z
      - .offset:         140
        .size:           2
        .value_kind:     hidden_group_size_x
      - .offset:         142
        .size:           2
        .value_kind:     hidden_group_size_y
      - .offset:         144
        .size:           2
        .value_kind:     hidden_group_size_z
      - .offset:         146
        .size:           2
        .value_kind:     hidden_remainder_x
      - .offset:         148
        .size:           2
        .value_kind:     hidden_remainder_y
      - .offset:         150
        .size:           2
        .value_kind:     hidden_remainder_z
      - .offset:         168
        .size:           8
        .value_kind:     hidden_global_offset_x
      - .offset:         176
        .size:           8
        .value_kind:     hidden_global_offset_y
      - .offset:         184
        .size:           8
        .value_kind:     hidden_global_offset_z
      - .offset:         192
        .size:           2
        .value_kind:     hidden_grid_dims
      - .offset:         248
        .size:           4
        .value_kind:     hidden_dynamic_lds_size
    .group_segment_fixed_size: 784
    .kernarg_segment_align: 8
    .kernarg_segment_size: 384
    .language:       OpenCL C
    .language_version:
      - 2
      - 0
    .max_flat_workgroup_size: 1024
    .name:           _ZN4vllm25paged_attention_v1_kernelIfhLi192ELi32ELi128ELNS_18Fp8KVCacheDataTypeE1ELb0EEEvPT_PKS2_PKT0_S8_ifPKiSA_iPKfiiiSC_SC_iiiii
    .private_segment_fixed_size: 1136
    .sgpr_count:     56
    .sgpr_spill_count: 0
    .symbol:         _ZN4vllm25paged_attention_v1_kernelIfhLi192ELi32ELi128ELNS_18Fp8KVCacheDataTypeE1ELb0EEEvPT_PKS2_PKT0_S8_ifPKiSA_iPKfiiiSC_SC_iiiii.kd
    .uniform_work_group_size: 1
    .uses_dynamic_stack: false
    .vgpr_count:     64
    .vgpr_spill_count: 985
    .wavefront_size: 64
  - .args:
      - .address_space:  global
        .offset:         0
        .size:           8
        .value_kind:     global_buffer
      - .address_space:  global
        .offset:         8
        .size:           8
        .value_kind:     global_buffer
      - .address_space:  global
        .offset:         16
        .size:           8
        .value_kind:     global_buffer
      - .address_space:  global
        .offset:         24
        .size:           8
        .value_kind:     global_buffer
      - .offset:         32
        .size:           4
        .value_kind:     by_value
      - .offset:         36
        .size:           4
        .value_kind:     by_value
      - .address_space:  global
        .offset:         40
        .size:           8
        .value_kind:     global_buffer
      - .address_space:  global
        .offset:         48
        .size:           8
        .value_kind:     global_buffer
      - .offset:         56
        .size:           4
        .value_kind:     by_value
      - .address_space:  global
        .offset:         64
        .size:           8
        .value_kind:     global_buffer
      - .offset:         72
        .size:           4
        .value_kind:     by_value
      - .offset:         76
        .size:           4
        .value_kind:     by_value
      - .offset:         80
        .size:           4
        .value_kind:     by_value
      - .address_space:  global
        .offset:         88
        .size:           8
        .value_kind:     global_buffer
      - .address_space:  global
        .offset:         96
        .size:           8
        .value_kind:     global_buffer
      - .offset:         104
        .size:           4
        .value_kind:     by_value
      - .offset:         108
        .size:           4
        .value_kind:     by_value
      - .offset:         112
        .size:           4
        .value_kind:     by_value
      - .offset:         116
        .size:           4
        .value_kind:     by_value
      - .offset:         120
        .size:           4
        .value_kind:     by_value
      - .offset:         128
        .size:           4
        .value_kind:     hidden_block_count_x
      - .offset:         132
        .size:           4
        .value_kind:     hidden_block_count_y
      - .offset:         136
        .size:           4
        .value_kind:     hidden_block_count_z
      - .offset:         140
        .size:           2
        .value_kind:     hidden_group_size_x
      - .offset:         142
        .size:           2
        .value_kind:     hidden_group_size_y
      - .offset:         144
        .size:           2
        .value_kind:     hidden_group_size_z
      - .offset:         146
        .size:           2
        .value_kind:     hidden_remainder_x
      - .offset:         148
        .size:           2
        .value_kind:     hidden_remainder_y
      - .offset:         150
        .size:           2
        .value_kind:     hidden_remainder_z
      - .offset:         168
        .size:           8
        .value_kind:     hidden_global_offset_x
      - .offset:         176
        .size:           8
        .value_kind:     hidden_global_offset_y
      - .offset:         184
        .size:           8
        .value_kind:     hidden_global_offset_z
      - .offset:         192
        .size:           2
        .value_kind:     hidden_grid_dims
      - .offset:         248
        .size:           4
        .value_kind:     hidden_dynamic_lds_size
    .group_segment_fixed_size: 1040
    .kernarg_segment_align: 8
    .kernarg_segment_size: 384
    .language:       OpenCL C
    .language_version:
      - 2
      - 0
    .max_flat_workgroup_size: 1024
    .name:           _ZN4vllm25paged_attention_v1_kernelIfhLi256ELi32ELi128ELNS_18Fp8KVCacheDataTypeE1ELb0EEEvPT_PKS2_PKT0_S8_ifPKiSA_iPKfiiiSC_SC_iiiii
    .private_segment_fixed_size: 1724
    .sgpr_count:     46
    .sgpr_spill_count: 0
    .symbol:         _ZN4vllm25paged_attention_v1_kernelIfhLi256ELi32ELi128ELNS_18Fp8KVCacheDataTypeE1ELb0EEEvPT_PKS2_PKT0_S8_ifPKiSA_iPKfiiiSC_SC_iiiii.kd
    .uniform_work_group_size: 1
    .uses_dynamic_stack: false
    .vgpr_count:     64
    .vgpr_spill_count: 0
    .wavefront_size: 64
  - .args:
      - .actual_access:  write_only
        .address_space:  global
        .offset:         0
        .size:           8
        .value_kind:     global_buffer
      - .actual_access:  read_only
        .address_space:  global
        .offset:         8
        .size:           8
        .value_kind:     global_buffer
      - .actual_access:  read_only
        .address_space:  global
        .offset:         16
        .size:           8
        .value_kind:     global_buffer
      - .actual_access:  read_only
        .address_space:  global
        .offset:         24
        .size:           8
        .value_kind:     global_buffer
      - .offset:         32
        .size:           4
        .value_kind:     by_value
      - .offset:         36
        .size:           4
        .value_kind:     by_value
      - .actual_access:  read_only
        .address_space:  global
        .offset:         40
        .size:           8
        .value_kind:     global_buffer
      - .actual_access:  read_only
        .address_space:  global
        .offset:         48
        .size:           8
        .value_kind:     global_buffer
      - .offset:         56
        .size:           4
        .value_kind:     by_value
      - .actual_access:  read_only
        .address_space:  global
        .offset:         64
        .size:           8
        .value_kind:     global_buffer
      - .offset:         72
        .size:           4
        .value_kind:     by_value
      - .offset:         76
        .size:           4
        .value_kind:     by_value
      - .offset:         80
        .size:           4
        .value_kind:     by_value
      - .address_space:  global
        .offset:         88
        .size:           8
        .value_kind:     global_buffer
      - .address_space:  global
        .offset:         96
        .size:           8
        .value_kind:     global_buffer
      - .offset:         104
        .size:           4
        .value_kind:     by_value
      - .offset:         108
        .size:           4
        .value_kind:     by_value
      - .offset:         112
        .size:           4
        .value_kind:     by_value
      - .offset:         116
        .size:           4
        .value_kind:     by_value
      - .offset:         120
        .size:           4
        .value_kind:     by_value
      - .offset:         128
        .size:           4
        .value_kind:     hidden_block_count_x
      - .offset:         132
        .size:           4
        .value_kind:     hidden_block_count_y
      - .offset:         136
        .size:           4
        .value_kind:     hidden_block_count_z
      - .offset:         140
        .size:           2
        .value_kind:     hidden_group_size_x
      - .offset:         142
        .size:           2
        .value_kind:     hidden_group_size_y
      - .offset:         144
        .size:           2
        .value_kind:     hidden_group_size_z
      - .offset:         146
        .size:           2
        .value_kind:     hidden_remainder_x
      - .offset:         148
        .size:           2
        .value_kind:     hidden_remainder_y
      - .offset:         150
        .size:           2
        .value_kind:     hidden_remainder_z
      - .offset:         168
        .size:           8
        .value_kind:     hidden_global_offset_x
      - .offset:         176
        .size:           8
        .value_kind:     hidden_global_offset_y
      - .offset:         184
        .size:           8
        .value_kind:     hidden_global_offset_z
      - .offset:         192
        .size:           2
        .value_kind:     hidden_grid_dims
      - .offset:         248
        .size:           4
        .value_kind:     hidden_dynamic_lds_size
    .group_segment_fixed_size: 80
    .kernarg_segment_align: 8
    .kernarg_segment_size: 384
    .language:       OpenCL C
    .language_version:
      - 2
      - 0
    .max_flat_workgroup_size: 1024
    .name:           _ZN4vllm25paged_attention_v1_kernelIthLi32ELi8ELi128ELNS_18Fp8KVCacheDataTypeE1ELb1EEEvPT_PKS2_PKT0_S8_ifPKiSA_iPKfiiiSC_SC_iiiii
    .private_segment_fixed_size: 0
    .sgpr_count:     58
    .sgpr_spill_count: 0
    .symbol:         _ZN4vllm25paged_attention_v1_kernelIthLi32ELi8ELi128ELNS_18Fp8KVCacheDataTypeE1ELb1EEEvPT_PKS2_PKT0_S8_ifPKiSA_iPKfiiiSC_SC_iiiii.kd
    .uniform_work_group_size: 1
    .uses_dynamic_stack: false
    .vgpr_count:     37
    .vgpr_spill_count: 0
    .wavefront_size: 64
  - .args:
      - .actual_access:  write_only
        .address_space:  global
        .offset:         0
        .size:           8
        .value_kind:     global_buffer
      - .actual_access:  read_only
        .address_space:  global
        .offset:         8
        .size:           8
        .value_kind:     global_buffer
      - .actual_access:  read_only
        .address_space:  global
        .offset:         16
        .size:           8
        .value_kind:     global_buffer
      - .actual_access:  read_only
        .address_space:  global
        .offset:         24
        .size:           8
        .value_kind:     global_buffer
      - .offset:         32
        .size:           4
        .value_kind:     by_value
      - .offset:         36
        .size:           4
        .value_kind:     by_value
      - .actual_access:  read_only
        .address_space:  global
        .offset:         40
        .size:           8
        .value_kind:     global_buffer
      - .actual_access:  read_only
        .address_space:  global
        .offset:         48
        .size:           8
        .value_kind:     global_buffer
      - .offset:         56
        .size:           4
        .value_kind:     by_value
      - .actual_access:  read_only
        .address_space:  global
        .offset:         64
        .size:           8
        .value_kind:     global_buffer
      - .offset:         72
        .size:           4
        .value_kind:     by_value
      - .offset:         76
        .size:           4
        .value_kind:     by_value
      - .offset:         80
        .size:           4
        .value_kind:     by_value
      - .address_space:  global
        .offset:         88
        .size:           8
        .value_kind:     global_buffer
      - .address_space:  global
        .offset:         96
        .size:           8
        .value_kind:     global_buffer
      - .offset:         104
        .size:           4
        .value_kind:     by_value
      - .offset:         108
        .size:           4
        .value_kind:     by_value
      - .offset:         112
        .size:           4
        .value_kind:     by_value
      - .offset:         116
        .size:           4
        .value_kind:     by_value
      - .offset:         120
        .size:           4
        .value_kind:     by_value
      - .offset:         128
        .size:           4
        .value_kind:     hidden_block_count_x
      - .offset:         132
        .size:           4
        .value_kind:     hidden_block_count_y
      - .offset:         136
        .size:           4
        .value_kind:     hidden_block_count_z
      - .offset:         140
        .size:           2
        .value_kind:     hidden_group_size_x
      - .offset:         142
        .size:           2
        .value_kind:     hidden_group_size_y
      - .offset:         144
        .size:           2
        .value_kind:     hidden_group_size_z
      - .offset:         146
        .size:           2
        .value_kind:     hidden_remainder_x
      - .offset:         148
        .size:           2
        .value_kind:     hidden_remainder_y
      - .offset:         150
        .size:           2
        .value_kind:     hidden_remainder_z
      - .offset:         168
        .size:           8
        .value_kind:     hidden_global_offset_x
      - .offset:         176
        .size:           8
        .value_kind:     hidden_global_offset_y
      - .offset:         184
        .size:           8
        .value_kind:     hidden_global_offset_z
      - .offset:         192
        .size:           2
        .value_kind:     hidden_grid_dims
      - .offset:         248
        .size:           4
        .value_kind:     hidden_dynamic_lds_size
    .group_segment_fixed_size: 144
    .kernarg_segment_align: 8
    .kernarg_segment_size: 384
    .language:       OpenCL C
    .language_version:
      - 2
      - 0
    .max_flat_workgroup_size: 1024
    .name:           _ZN4vllm25paged_attention_v1_kernelIthLi64ELi8ELi128ELNS_18Fp8KVCacheDataTypeE1ELb1EEEvPT_PKS2_PKT0_S8_ifPKiSA_iPKfiiiSC_SC_iiiii
    .private_segment_fixed_size: 0
    .sgpr_count:     60
    .sgpr_spill_count: 0
    .symbol:         _ZN4vllm25paged_attention_v1_kernelIthLi64ELi8ELi128ELNS_18Fp8KVCacheDataTypeE1ELb1EEEvPT_PKS2_PKT0_S8_ifPKiSA_iPKfiiiSC_SC_iiiii.kd
    .uniform_work_group_size: 1
    .uses_dynamic_stack: false
    .vgpr_count:     42
    .vgpr_spill_count: 0
    .wavefront_size: 64
  - .args:
      - .actual_access:  write_only
        .address_space:  global
        .offset:         0
        .size:           8
        .value_kind:     global_buffer
      - .actual_access:  read_only
        .address_space:  global
        .offset:         8
        .size:           8
        .value_kind:     global_buffer
      - .actual_access:  read_only
        .address_space:  global
        .offset:         16
        .size:           8
        .value_kind:     global_buffer
      - .actual_access:  read_only
        .address_space:  global
        .offset:         24
        .size:           8
        .value_kind:     global_buffer
      - .offset:         32
        .size:           4
        .value_kind:     by_value
      - .offset:         36
        .size:           4
        .value_kind:     by_value
      - .actual_access:  read_only
        .address_space:  global
        .offset:         40
        .size:           8
        .value_kind:     global_buffer
      - .actual_access:  read_only
        .address_space:  global
        .offset:         48
        .size:           8
        .value_kind:     global_buffer
      - .offset:         56
        .size:           4
        .value_kind:     by_value
      - .actual_access:  read_only
        .address_space:  global
        .offset:         64
        .size:           8
        .value_kind:     global_buffer
      - .offset:         72
        .size:           4
        .value_kind:     by_value
      - .offset:         76
        .size:           4
        .value_kind:     by_value
      - .offset:         80
        .size:           4
        .value_kind:     by_value
      - .address_space:  global
        .offset:         88
        .size:           8
        .value_kind:     global_buffer
      - .address_space:  global
        .offset:         96
        .size:           8
        .value_kind:     global_buffer
      - .offset:         104
        .size:           4
        .value_kind:     by_value
      - .offset:         108
        .size:           4
        .value_kind:     by_value
      - .offset:         112
        .size:           4
        .value_kind:     by_value
      - .offset:         116
        .size:           4
        .value_kind:     by_value
      - .offset:         120
        .size:           4
        .value_kind:     by_value
      - .offset:         128
        .size:           4
        .value_kind:     hidden_block_count_x
      - .offset:         132
        .size:           4
        .value_kind:     hidden_block_count_y
      - .offset:         136
        .size:           4
        .value_kind:     hidden_block_count_z
      - .offset:         140
        .size:           2
        .value_kind:     hidden_group_size_x
      - .offset:         142
        .size:           2
        .value_kind:     hidden_group_size_y
      - .offset:         144
        .size:           2
        .value_kind:     hidden_group_size_z
      - .offset:         146
        .size:           2
        .value_kind:     hidden_remainder_x
      - .offset:         148
        .size:           2
        .value_kind:     hidden_remainder_y
      - .offset:         150
        .size:           2
        .value_kind:     hidden_remainder_z
      - .offset:         168
        .size:           8
        .value_kind:     hidden_global_offset_x
      - .offset:         176
        .size:           8
        .value_kind:     hidden_global_offset_y
      - .offset:         184
        .size:           8
        .value_kind:     hidden_global_offset_z
      - .offset:         192
        .size:           2
        .value_kind:     hidden_grid_dims
      - .offset:         248
        .size:           4
        .value_kind:     hidden_dynamic_lds_size
    .group_segment_fixed_size: 176
    .kernarg_segment_align: 8
    .kernarg_segment_size: 384
    .language:       OpenCL C
    .language_version:
      - 2
      - 0
    .max_flat_workgroup_size: 1024
    .name:           _ZN4vllm25paged_attention_v1_kernelIthLi80ELi8ELi128ELNS_18Fp8KVCacheDataTypeE1ELb1EEEvPT_PKS2_PKT0_S8_ifPKiSA_iPKfiiiSC_SC_iiiii
    .private_segment_fixed_size: 0
    .sgpr_count:     60
    .sgpr_spill_count: 0
    .symbol:         _ZN4vllm25paged_attention_v1_kernelIthLi80ELi8ELi128ELNS_18Fp8KVCacheDataTypeE1ELb1EEEvPT_PKS2_PKT0_S8_ifPKiSA_iPKfiiiSC_SC_iiiii.kd
    .uniform_work_group_size: 1
    .uses_dynamic_stack: false
    .vgpr_count:     42
    .vgpr_spill_count: 0
    .wavefront_size: 64
  - .args:
      - .actual_access:  write_only
        .address_space:  global
        .offset:         0
        .size:           8
        .value_kind:     global_buffer
      - .actual_access:  read_only
        .address_space:  global
        .offset:         8
        .size:           8
        .value_kind:     global_buffer
      - .actual_access:  read_only
        .address_space:  global
        .offset:         16
        .size:           8
        .value_kind:     global_buffer
      - .actual_access:  read_only
        .address_space:  global
        .offset:         24
        .size:           8
        .value_kind:     global_buffer
      - .offset:         32
        .size:           4
        .value_kind:     by_value
      - .offset:         36
        .size:           4
        .value_kind:     by_value
      - .actual_access:  read_only
        .address_space:  global
        .offset:         40
        .size:           8
        .value_kind:     global_buffer
      - .actual_access:  read_only
        .address_space:  global
        .offset:         48
        .size:           8
        .value_kind:     global_buffer
      - .offset:         56
        .size:           4
        .value_kind:     by_value
      - .actual_access:  read_only
        .address_space:  global
        .offset:         64
        .size:           8
        .value_kind:     global_buffer
      - .offset:         72
        .size:           4
        .value_kind:     by_value
      - .offset:         76
        .size:           4
        .value_kind:     by_value
      - .offset:         80
        .size:           4
        .value_kind:     by_value
      - .address_space:  global
        .offset:         88
        .size:           8
        .value_kind:     global_buffer
      - .address_space:  global
        .offset:         96
        .size:           8
        .value_kind:     global_buffer
      - .offset:         104
        .size:           4
        .value_kind:     by_value
      - .offset:         108
        .size:           4
        .value_kind:     by_value
      - .offset:         112
        .size:           4
        .value_kind:     by_value
      - .offset:         116
        .size:           4
        .value_kind:     by_value
      - .offset:         120
        .size:           4
        .value_kind:     by_value
      - .offset:         128
        .size:           4
        .value_kind:     hidden_block_count_x
      - .offset:         132
        .size:           4
        .value_kind:     hidden_block_count_y
      - .offset:         136
        .size:           4
        .value_kind:     hidden_block_count_z
      - .offset:         140
        .size:           2
        .value_kind:     hidden_group_size_x
      - .offset:         142
        .size:           2
        .value_kind:     hidden_group_size_y
      - .offset:         144
        .size:           2
        .value_kind:     hidden_group_size_z
      - .offset:         146
        .size:           2
        .value_kind:     hidden_remainder_x
      - .offset:         148
        .size:           2
        .value_kind:     hidden_remainder_y
      - .offset:         150
        .size:           2
        .value_kind:     hidden_remainder_z
      - .offset:         168
        .size:           8
        .value_kind:     hidden_global_offset_x
      - .offset:         176
        .size:           8
        .value_kind:     hidden_global_offset_y
      - .offset:         184
        .size:           8
        .value_kind:     hidden_global_offset_z
      - .offset:         192
        .size:           2
        .value_kind:     hidden_grid_dims
      - .offset:         248
        .size:           4
        .value_kind:     hidden_dynamic_lds_size
    .group_segment_fixed_size: 208
    .kernarg_segment_align: 8
    .kernarg_segment_size: 384
    .language:       OpenCL C
    .language_version:
      - 2
      - 0
    .max_flat_workgroup_size: 1024
    .name:           _ZN4vllm25paged_attention_v1_kernelIthLi96ELi8ELi128ELNS_18Fp8KVCacheDataTypeE1ELb1EEEvPT_PKS2_PKT0_S8_ifPKiSA_iPKfiiiSC_SC_iiiii
    .private_segment_fixed_size: 0
    .sgpr_count:     60
    .sgpr_spill_count: 0
    .symbol:         _ZN4vllm25paged_attention_v1_kernelIthLi96ELi8ELi128ELNS_18Fp8KVCacheDataTypeE1ELb1EEEvPT_PKS2_PKT0_S8_ifPKiSA_iPKfiiiSC_SC_iiiii.kd
    .uniform_work_group_size: 1
    .uses_dynamic_stack: false
    .vgpr_count:     45
    .vgpr_spill_count: 0
    .wavefront_size: 64
  - .args:
      - .actual_access:  write_only
        .address_space:  global
        .offset:         0
        .size:           8
        .value_kind:     global_buffer
      - .actual_access:  read_only
        .address_space:  global
        .offset:         8
        .size:           8
        .value_kind:     global_buffer
      - .actual_access:  read_only
        .address_space:  global
        .offset:         16
        .size:           8
        .value_kind:     global_buffer
      - .actual_access:  read_only
        .address_space:  global
        .offset:         24
        .size:           8
        .value_kind:     global_buffer
      - .offset:         32
        .size:           4
        .value_kind:     by_value
      - .offset:         36
        .size:           4
        .value_kind:     by_value
      - .actual_access:  read_only
        .address_space:  global
        .offset:         40
        .size:           8
        .value_kind:     global_buffer
      - .actual_access:  read_only
        .address_space:  global
        .offset:         48
        .size:           8
        .value_kind:     global_buffer
      - .offset:         56
        .size:           4
        .value_kind:     by_value
      - .actual_access:  read_only
        .address_space:  global
        .offset:         64
        .size:           8
        .value_kind:     global_buffer
      - .offset:         72
        .size:           4
        .value_kind:     by_value
      - .offset:         76
        .size:           4
        .value_kind:     by_value
      - .offset:         80
        .size:           4
        .value_kind:     by_value
      - .address_space:  global
        .offset:         88
        .size:           8
        .value_kind:     global_buffer
      - .address_space:  global
        .offset:         96
        .size:           8
        .value_kind:     global_buffer
      - .offset:         104
        .size:           4
        .value_kind:     by_value
      - .offset:         108
        .size:           4
        .value_kind:     by_value
      - .offset:         112
        .size:           4
        .value_kind:     by_value
      - .offset:         116
        .size:           4
        .value_kind:     by_value
      - .offset:         120
        .size:           4
        .value_kind:     by_value
      - .offset:         128
        .size:           4
        .value_kind:     hidden_block_count_x
      - .offset:         132
        .size:           4
        .value_kind:     hidden_block_count_y
      - .offset:         136
        .size:           4
        .value_kind:     hidden_block_count_z
      - .offset:         140
        .size:           2
        .value_kind:     hidden_group_size_x
      - .offset:         142
        .size:           2
        .value_kind:     hidden_group_size_y
      - .offset:         144
        .size:           2
        .value_kind:     hidden_group_size_z
      - .offset:         146
        .size:           2
        .value_kind:     hidden_remainder_x
      - .offset:         148
        .size:           2
        .value_kind:     hidden_remainder_y
      - .offset:         150
        .size:           2
        .value_kind:     hidden_remainder_z
      - .offset:         168
        .size:           8
        .value_kind:     hidden_global_offset_x
      - .offset:         176
        .size:           8
        .value_kind:     hidden_global_offset_y
      - .offset:         184
        .size:           8
        .value_kind:     hidden_global_offset_z
      - .offset:         192
        .size:           2
        .value_kind:     hidden_grid_dims
      - .offset:         248
        .size:           4
        .value_kind:     hidden_dynamic_lds_size
    .group_segment_fixed_size: 240
    .kernarg_segment_align: 8
    .kernarg_segment_size: 384
    .language:       OpenCL C
    .language_version:
      - 2
      - 0
    .max_flat_workgroup_size: 1024
    .name:           _ZN4vllm25paged_attention_v1_kernelIthLi112ELi8ELi128ELNS_18Fp8KVCacheDataTypeE1ELb1EEEvPT_PKS2_PKT0_S8_ifPKiSA_iPKfiiiSC_SC_iiiii
    .private_segment_fixed_size: 0
    .sgpr_count:     60
    .sgpr_spill_count: 0
    .symbol:         _ZN4vllm25paged_attention_v1_kernelIthLi112ELi8ELi128ELNS_18Fp8KVCacheDataTypeE1ELb1EEEvPT_PKS2_PKT0_S8_ifPKiSA_iPKfiiiSC_SC_iiiii.kd
    .uniform_work_group_size: 1
    .uses_dynamic_stack: false
    .vgpr_count:     47
    .vgpr_spill_count: 0
    .wavefront_size: 64
  - .args:
      - .actual_access:  write_only
        .address_space:  global
        .offset:         0
        .size:           8
        .value_kind:     global_buffer
      - .actual_access:  read_only
        .address_space:  global
        .offset:         8
        .size:           8
        .value_kind:     global_buffer
      - .actual_access:  read_only
        .address_space:  global
        .offset:         16
        .size:           8
        .value_kind:     global_buffer
      - .actual_access:  read_only
        .address_space:  global
        .offset:         24
        .size:           8
        .value_kind:     global_buffer
      - .offset:         32
        .size:           4
        .value_kind:     by_value
      - .offset:         36
        .size:           4
        .value_kind:     by_value
      - .actual_access:  read_only
        .address_space:  global
        .offset:         40
        .size:           8
        .value_kind:     global_buffer
      - .actual_access:  read_only
        .address_space:  global
        .offset:         48
        .size:           8
        .value_kind:     global_buffer
      - .offset:         56
        .size:           4
        .value_kind:     by_value
      - .actual_access:  read_only
        .address_space:  global
        .offset:         64
        .size:           8
        .value_kind:     global_buffer
      - .offset:         72
        .size:           4
        .value_kind:     by_value
      - .offset:         76
        .size:           4
        .value_kind:     by_value
      - .offset:         80
        .size:           4
        .value_kind:     by_value
      - .address_space:  global
        .offset:         88
        .size:           8
        .value_kind:     global_buffer
      - .address_space:  global
        .offset:         96
        .size:           8
        .value_kind:     global_buffer
      - .offset:         104
        .size:           4
        .value_kind:     by_value
      - .offset:         108
        .size:           4
        .value_kind:     by_value
      - .offset:         112
        .size:           4
        .value_kind:     by_value
      - .offset:         116
        .size:           4
        .value_kind:     by_value
      - .offset:         120
        .size:           4
        .value_kind:     by_value
      - .offset:         128
        .size:           4
        .value_kind:     hidden_block_count_x
      - .offset:         132
        .size:           4
        .value_kind:     hidden_block_count_y
      - .offset:         136
        .size:           4
        .value_kind:     hidden_block_count_z
      - .offset:         140
        .size:           2
        .value_kind:     hidden_group_size_x
      - .offset:         142
        .size:           2
        .value_kind:     hidden_group_size_y
      - .offset:         144
        .size:           2
        .value_kind:     hidden_group_size_z
      - .offset:         146
        .size:           2
        .value_kind:     hidden_remainder_x
      - .offset:         148
        .size:           2
        .value_kind:     hidden_remainder_y
      - .offset:         150
        .size:           2
        .value_kind:     hidden_remainder_z
      - .offset:         168
        .size:           8
        .value_kind:     hidden_global_offset_x
      - .offset:         176
        .size:           8
        .value_kind:     hidden_global_offset_y
      - .offset:         184
        .size:           8
        .value_kind:     hidden_global_offset_z
      - .offset:         192
        .size:           2
        .value_kind:     hidden_grid_dims
      - .offset:         248
        .size:           4
        .value_kind:     hidden_dynamic_lds_size
    .group_segment_fixed_size: 256
    .kernarg_segment_align: 8
    .kernarg_segment_size: 384
    .language:       OpenCL C
    .language_version:
      - 2
      - 0
    .max_flat_workgroup_size: 1024
    .name:           _ZN4vllm25paged_attention_v1_kernelIthLi120ELi8ELi128ELNS_18Fp8KVCacheDataTypeE1ELb1EEEvPT_PKS2_PKT0_S8_ifPKiSA_iPKfiiiSC_SC_iiiii
    .private_segment_fixed_size: 0
    .sgpr_count:     60
    .sgpr_spill_count: 0
    .symbol:         _ZN4vllm25paged_attention_v1_kernelIthLi120ELi8ELi128ELNS_18Fp8KVCacheDataTypeE1ELb1EEEvPT_PKS2_PKT0_S8_ifPKiSA_iPKfiiiSC_SC_iiiii.kd
    .uniform_work_group_size: 1
    .uses_dynamic_stack: false
    .vgpr_count:     50
    .vgpr_spill_count: 0
    .wavefront_size: 64
  - .args:
      - .actual_access:  write_only
        .address_space:  global
        .offset:         0
        .size:           8
        .value_kind:     global_buffer
      - .actual_access:  read_only
        .address_space:  global
        .offset:         8
        .size:           8
        .value_kind:     global_buffer
      - .actual_access:  read_only
        .address_space:  global
        .offset:         16
        .size:           8
        .value_kind:     global_buffer
      - .actual_access:  read_only
        .address_space:  global
        .offset:         24
        .size:           8
        .value_kind:     global_buffer
      - .offset:         32
        .size:           4
        .value_kind:     by_value
      - .offset:         36
        .size:           4
        .value_kind:     by_value
      - .actual_access:  read_only
        .address_space:  global
        .offset:         40
        .size:           8
        .value_kind:     global_buffer
      - .actual_access:  read_only
        .address_space:  global
        .offset:         48
        .size:           8
        .value_kind:     global_buffer
      - .offset:         56
        .size:           4
        .value_kind:     by_value
      - .actual_access:  read_only
        .address_space:  global
        .offset:         64
        .size:           8
        .value_kind:     global_buffer
      - .offset:         72
        .size:           4
        .value_kind:     by_value
      - .offset:         76
        .size:           4
        .value_kind:     by_value
      - .offset:         80
        .size:           4
        .value_kind:     by_value
      - .address_space:  global
        .offset:         88
        .size:           8
        .value_kind:     global_buffer
      - .address_space:  global
        .offset:         96
        .size:           8
        .value_kind:     global_buffer
      - .offset:         104
        .size:           4
        .value_kind:     by_value
      - .offset:         108
        .size:           4
        .value_kind:     by_value
      - .offset:         112
        .size:           4
        .value_kind:     by_value
      - .offset:         116
        .size:           4
        .value_kind:     by_value
      - .offset:         120
        .size:           4
        .value_kind:     by_value
      - .offset:         128
        .size:           4
        .value_kind:     hidden_block_count_x
      - .offset:         132
        .size:           4
        .value_kind:     hidden_block_count_y
      - .offset:         136
        .size:           4
        .value_kind:     hidden_block_count_z
      - .offset:         140
        .size:           2
        .value_kind:     hidden_group_size_x
      - .offset:         142
        .size:           2
        .value_kind:     hidden_group_size_y
      - .offset:         144
        .size:           2
        .value_kind:     hidden_group_size_z
      - .offset:         146
        .size:           2
        .value_kind:     hidden_remainder_x
      - .offset:         148
        .size:           2
        .value_kind:     hidden_remainder_y
      - .offset:         150
        .size:           2
        .value_kind:     hidden_remainder_z
      - .offset:         168
        .size:           8
        .value_kind:     hidden_global_offset_x
      - .offset:         176
        .size:           8
        .value_kind:     hidden_global_offset_y
      - .offset:         184
        .size:           8
        .value_kind:     hidden_global_offset_z
      - .offset:         192
        .size:           2
        .value_kind:     hidden_grid_dims
      - .offset:         248
        .size:           4
        .value_kind:     hidden_dynamic_lds_size
    .group_segment_fixed_size: 272
    .kernarg_segment_align: 8
    .kernarg_segment_size: 384
    .language:       OpenCL C
    .language_version:
      - 2
      - 0
    .max_flat_workgroup_size: 1024
    .name:           _ZN4vllm25paged_attention_v1_kernelIthLi128ELi8ELi128ELNS_18Fp8KVCacheDataTypeE1ELb1EEEvPT_PKS2_PKT0_S8_ifPKiSA_iPKfiiiSC_SC_iiiii
    .private_segment_fixed_size: 0
    .sgpr_count:     58
    .sgpr_spill_count: 0
    .symbol:         _ZN4vllm25paged_attention_v1_kernelIthLi128ELi8ELi128ELNS_18Fp8KVCacheDataTypeE1ELb1EEEvPT_PKS2_PKT0_S8_ifPKiSA_iPKfiiiSC_SC_iiiii.kd
    .uniform_work_group_size: 1
    .uses_dynamic_stack: false
    .vgpr_count:     52
    .vgpr_spill_count: 0
    .wavefront_size: 64
  - .args:
      - .actual_access:  write_only
        .address_space:  global
        .offset:         0
        .size:           8
        .value_kind:     global_buffer
      - .actual_access:  read_only
        .address_space:  global
        .offset:         8
        .size:           8
        .value_kind:     global_buffer
      - .actual_access:  read_only
        .address_space:  global
        .offset:         16
        .size:           8
        .value_kind:     global_buffer
      - .actual_access:  read_only
        .address_space:  global
        .offset:         24
        .size:           8
        .value_kind:     global_buffer
      - .offset:         32
        .size:           4
        .value_kind:     by_value
      - .offset:         36
        .size:           4
        .value_kind:     by_value
      - .actual_access:  read_only
        .address_space:  global
        .offset:         40
        .size:           8
        .value_kind:     global_buffer
      - .actual_access:  read_only
        .address_space:  global
        .offset:         48
        .size:           8
        .value_kind:     global_buffer
      - .offset:         56
        .size:           4
        .value_kind:     by_value
      - .actual_access:  read_only
        .address_space:  global
        .offset:         64
        .size:           8
        .value_kind:     global_buffer
      - .offset:         72
        .size:           4
        .value_kind:     by_value
      - .offset:         76
        .size:           4
        .value_kind:     by_value
      - .offset:         80
        .size:           4
        .value_kind:     by_value
      - .address_space:  global
        .offset:         88
        .size:           8
        .value_kind:     global_buffer
      - .address_space:  global
        .offset:         96
        .size:           8
        .value_kind:     global_buffer
      - .offset:         104
        .size:           4
        .value_kind:     by_value
      - .offset:         108
        .size:           4
        .value_kind:     by_value
      - .offset:         112
        .size:           4
        .value_kind:     by_value
      - .offset:         116
        .size:           4
        .value_kind:     by_value
      - .offset:         120
        .size:           4
        .value_kind:     by_value
      - .offset:         128
        .size:           4
        .value_kind:     hidden_block_count_x
      - .offset:         132
        .size:           4
        .value_kind:     hidden_block_count_y
      - .offset:         136
        .size:           4
        .value_kind:     hidden_block_count_z
      - .offset:         140
        .size:           2
        .value_kind:     hidden_group_size_x
      - .offset:         142
        .size:           2
        .value_kind:     hidden_group_size_y
      - .offset:         144
        .size:           2
        .value_kind:     hidden_group_size_z
      - .offset:         146
        .size:           2
        .value_kind:     hidden_remainder_x
      - .offset:         148
        .size:           2
        .value_kind:     hidden_remainder_y
      - .offset:         150
        .size:           2
        .value_kind:     hidden_remainder_z
      - .offset:         168
        .size:           8
        .value_kind:     hidden_global_offset_x
      - .offset:         176
        .size:           8
        .value_kind:     hidden_global_offset_y
      - .offset:         184
        .size:           8
        .value_kind:     hidden_global_offset_z
      - .offset:         192
        .size:           2
        .value_kind:     hidden_grid_dims
      - .offset:         248
        .size:           4
        .value_kind:     hidden_dynamic_lds_size
    .group_segment_fixed_size: 400
    .kernarg_segment_align: 8
    .kernarg_segment_size: 384
    .language:       OpenCL C
    .language_version:
      - 2
      - 0
    .max_flat_workgroup_size: 1024
    .name:           _ZN4vllm25paged_attention_v1_kernelIthLi192ELi8ELi128ELNS_18Fp8KVCacheDataTypeE1ELb1EEEvPT_PKS2_PKT0_S8_ifPKiSA_iPKfiiiSC_SC_iiiii
    .private_segment_fixed_size: 0
    .sgpr_count:     58
    .sgpr_spill_count: 0
    .symbol:         _ZN4vllm25paged_attention_v1_kernelIthLi192ELi8ELi128ELNS_18Fp8KVCacheDataTypeE1ELb1EEEvPT_PKS2_PKT0_S8_ifPKiSA_iPKfiiiSC_SC_iiiii.kd
    .uniform_work_group_size: 1
    .uses_dynamic_stack: false
    .vgpr_count:     56
    .vgpr_spill_count: 0
    .wavefront_size: 64
  - .args:
      - .actual_access:  write_only
        .address_space:  global
        .offset:         0
        .size:           8
        .value_kind:     global_buffer
      - .actual_access:  read_only
        .address_space:  global
        .offset:         8
        .size:           8
        .value_kind:     global_buffer
      - .actual_access:  read_only
        .address_space:  global
        .offset:         16
        .size:           8
        .value_kind:     global_buffer
      - .actual_access:  read_only
        .address_space:  global
        .offset:         24
        .size:           8
        .value_kind:     global_buffer
      - .offset:         32
        .size:           4
        .value_kind:     by_value
      - .offset:         36
        .size:           4
        .value_kind:     by_value
      - .actual_access:  read_only
        .address_space:  global
        .offset:         40
        .size:           8
        .value_kind:     global_buffer
      - .actual_access:  read_only
        .address_space:  global
        .offset:         48
        .size:           8
        .value_kind:     global_buffer
      - .offset:         56
        .size:           4
        .value_kind:     by_value
      - .actual_access:  read_only
        .address_space:  global
        .offset:         64
        .size:           8
        .value_kind:     global_buffer
      - .offset:         72
        .size:           4
        .value_kind:     by_value
      - .offset:         76
        .size:           4
        .value_kind:     by_value
      - .offset:         80
        .size:           4
        .value_kind:     by_value
      - .address_space:  global
        .offset:         88
        .size:           8
        .value_kind:     global_buffer
      - .address_space:  global
        .offset:         96
        .size:           8
        .value_kind:     global_buffer
      - .offset:         104
        .size:           4
        .value_kind:     by_value
      - .offset:         108
        .size:           4
        .value_kind:     by_value
      - .offset:         112
        .size:           4
        .value_kind:     by_value
      - .offset:         116
        .size:           4
        .value_kind:     by_value
      - .offset:         120
        .size:           4
        .value_kind:     by_value
      - .offset:         128
        .size:           4
        .value_kind:     hidden_block_count_x
      - .offset:         132
        .size:           4
        .value_kind:     hidden_block_count_y
      - .offset:         136
        .size:           4
        .value_kind:     hidden_block_count_z
      - .offset:         140
        .size:           2
        .value_kind:     hidden_group_size_x
      - .offset:         142
        .size:           2
        .value_kind:     hidden_group_size_y
      - .offset:         144
        .size:           2
        .value_kind:     hidden_group_size_z
      - .offset:         146
        .size:           2
        .value_kind:     hidden_remainder_x
      - .offset:         148
        .size:           2
        .value_kind:     hidden_remainder_y
      - .offset:         150
        .size:           2
        .value_kind:     hidden_remainder_z
      - .offset:         168
        .size:           8
        .value_kind:     hidden_global_offset_x
      - .offset:         176
        .size:           8
        .value_kind:     hidden_global_offset_y
      - .offset:         184
        .size:           8
        .value_kind:     hidden_global_offset_z
      - .offset:         192
        .size:           2
        .value_kind:     hidden_grid_dims
      - .offset:         248
        .size:           4
        .value_kind:     hidden_dynamic_lds_size
    .group_segment_fixed_size: 528
    .kernarg_segment_align: 8
    .kernarg_segment_size: 384
    .language:       OpenCL C
    .language_version:
      - 2
      - 0
    .max_flat_workgroup_size: 1024
    .name:           _ZN4vllm25paged_attention_v1_kernelIthLi256ELi8ELi128ELNS_18Fp8KVCacheDataTypeE1ELb1EEEvPT_PKS2_PKT0_S8_ifPKiSA_iPKfiiiSC_SC_iiiii
    .private_segment_fixed_size: 0
    .sgpr_count:     58
    .sgpr_spill_count: 0
    .symbol:         _ZN4vllm25paged_attention_v1_kernelIthLi256ELi8ELi128ELNS_18Fp8KVCacheDataTypeE1ELb1EEEvPT_PKS2_PKT0_S8_ifPKiSA_iPKfiiiSC_SC_iiiii.kd
    .uniform_work_group_size: 1
    .uses_dynamic_stack: false
    .vgpr_count:     63
    .vgpr_spill_count: 0
    .wavefront_size: 64
  - .args:
      - .actual_access:  write_only
        .address_space:  global
        .offset:         0
        .size:           8
        .value_kind:     global_buffer
      - .actual_access:  read_only
        .address_space:  global
        .offset:         8
        .size:           8
        .value_kind:     global_buffer
      - .actual_access:  read_only
        .address_space:  global
        .offset:         16
        .size:           8
        .value_kind:     global_buffer
      - .actual_access:  read_only
        .address_space:  global
        .offset:         24
        .size:           8
        .value_kind:     global_buffer
      - .offset:         32
        .size:           4
        .value_kind:     by_value
      - .offset:         36
        .size:           4
        .value_kind:     by_value
      - .actual_access:  read_only
        .address_space:  global
        .offset:         40
        .size:           8
        .value_kind:     global_buffer
      - .actual_access:  read_only
        .address_space:  global
        .offset:         48
        .size:           8
        .value_kind:     global_buffer
      - .offset:         56
        .size:           4
        .value_kind:     by_value
      - .actual_access:  read_only
        .address_space:  global
        .offset:         64
        .size:           8
        .value_kind:     global_buffer
      - .offset:         72
        .size:           4
        .value_kind:     by_value
      - .offset:         76
        .size:           4
        .value_kind:     by_value
      - .offset:         80
        .size:           4
        .value_kind:     by_value
      - .address_space:  global
        .offset:         88
        .size:           8
        .value_kind:     global_buffer
      - .address_space:  global
        .offset:         96
        .size:           8
        .value_kind:     global_buffer
      - .offset:         104
        .size:           4
        .value_kind:     by_value
      - .offset:         108
        .size:           4
        .value_kind:     by_value
      - .offset:         112
        .size:           4
        .value_kind:     by_value
      - .offset:         116
        .size:           4
        .value_kind:     by_value
      - .offset:         120
        .size:           4
        .value_kind:     by_value
      - .offset:         128
        .size:           4
        .value_kind:     hidden_block_count_x
      - .offset:         132
        .size:           4
        .value_kind:     hidden_block_count_y
      - .offset:         136
        .size:           4
        .value_kind:     hidden_block_count_z
      - .offset:         140
        .size:           2
        .value_kind:     hidden_group_size_x
      - .offset:         142
        .size:           2
        .value_kind:     hidden_group_size_y
      - .offset:         144
        .size:           2
        .value_kind:     hidden_group_size_z
      - .offset:         146
        .size:           2
        .value_kind:     hidden_remainder_x
      - .offset:         148
        .size:           2
        .value_kind:     hidden_remainder_y
      - .offset:         150
        .size:           2
        .value_kind:     hidden_remainder_z
      - .offset:         168
        .size:           8
        .value_kind:     hidden_global_offset_x
      - .offset:         176
        .size:           8
        .value_kind:     hidden_global_offset_y
      - .offset:         184
        .size:           8
        .value_kind:     hidden_global_offset_z
      - .offset:         192
        .size:           2
        .value_kind:     hidden_grid_dims
      - .offset:         248
        .size:           4
        .value_kind:     hidden_dynamic_lds_size
    .group_segment_fixed_size: 80
    .kernarg_segment_align: 8
    .kernarg_segment_size: 384
    .language:       OpenCL C
    .language_version:
      - 2
      - 0
    .max_flat_workgroup_size: 1024
    .name:           _ZN4vllm25paged_attention_v1_kernelIthLi32ELi8ELi128ELNS_18Fp8KVCacheDataTypeE1ELb0EEEvPT_PKS2_PKT0_S8_ifPKiSA_iPKfiiiSC_SC_iiiii
    .private_segment_fixed_size: 0
    .sgpr_count:     48
    .sgpr_spill_count: 0
    .symbol:         _ZN4vllm25paged_attention_v1_kernelIthLi32ELi8ELi128ELNS_18Fp8KVCacheDataTypeE1ELb0EEEvPT_PKS2_PKT0_S8_ifPKiSA_iPKfiiiSC_SC_iiiii.kd
    .uniform_work_group_size: 1
    .uses_dynamic_stack: false
    .vgpr_count:     36
    .vgpr_spill_count: 0
    .wavefront_size: 64
  - .args:
      - .actual_access:  write_only
        .address_space:  global
        .offset:         0
        .size:           8
        .value_kind:     global_buffer
      - .actual_access:  read_only
        .address_space:  global
        .offset:         8
        .size:           8
        .value_kind:     global_buffer
      - .actual_access:  read_only
        .address_space:  global
        .offset:         16
        .size:           8
        .value_kind:     global_buffer
      - .actual_access:  read_only
        .address_space:  global
        .offset:         24
        .size:           8
        .value_kind:     global_buffer
      - .offset:         32
        .size:           4
        .value_kind:     by_value
      - .offset:         36
        .size:           4
        .value_kind:     by_value
      - .actual_access:  read_only
        .address_space:  global
        .offset:         40
        .size:           8
        .value_kind:     global_buffer
      - .actual_access:  read_only
        .address_space:  global
        .offset:         48
        .size:           8
        .value_kind:     global_buffer
      - .offset:         56
        .size:           4
        .value_kind:     by_value
      - .actual_access:  read_only
        .address_space:  global
        .offset:         64
        .size:           8
        .value_kind:     global_buffer
      - .offset:         72
        .size:           4
        .value_kind:     by_value
      - .offset:         76
        .size:           4
        .value_kind:     by_value
      - .offset:         80
        .size:           4
        .value_kind:     by_value
      - .address_space:  global
        .offset:         88
        .size:           8
        .value_kind:     global_buffer
      - .address_space:  global
        .offset:         96
        .size:           8
        .value_kind:     global_buffer
      - .offset:         104
        .size:           4
        .value_kind:     by_value
      - .offset:         108
        .size:           4
        .value_kind:     by_value
      - .offset:         112
        .size:           4
        .value_kind:     by_value
      - .offset:         116
        .size:           4
        .value_kind:     by_value
      - .offset:         120
        .size:           4
        .value_kind:     by_value
      - .offset:         128
        .size:           4
        .value_kind:     hidden_block_count_x
      - .offset:         132
        .size:           4
        .value_kind:     hidden_block_count_y
      - .offset:         136
        .size:           4
        .value_kind:     hidden_block_count_z
      - .offset:         140
        .size:           2
        .value_kind:     hidden_group_size_x
      - .offset:         142
        .size:           2
        .value_kind:     hidden_group_size_y
      - .offset:         144
        .size:           2
        .value_kind:     hidden_group_size_z
      - .offset:         146
        .size:           2
        .value_kind:     hidden_remainder_x
      - .offset:         148
        .size:           2
        .value_kind:     hidden_remainder_y
      - .offset:         150
        .size:           2
        .value_kind:     hidden_remainder_z
      - .offset:         168
        .size:           8
        .value_kind:     hidden_global_offset_x
      - .offset:         176
        .size:           8
        .value_kind:     hidden_global_offset_y
      - .offset:         184
        .size:           8
        .value_kind:     hidden_global_offset_z
      - .offset:         192
        .size:           2
        .value_kind:     hidden_grid_dims
      - .offset:         248
        .size:           4
        .value_kind:     hidden_dynamic_lds_size
    .group_segment_fixed_size: 144
    .kernarg_segment_align: 8
    .kernarg_segment_size: 384
    .language:       OpenCL C
    .language_version:
      - 2
      - 0
    .max_flat_workgroup_size: 1024
    .name:           _ZN4vllm25paged_attention_v1_kernelIthLi64ELi8ELi128ELNS_18Fp8KVCacheDataTypeE1ELb0EEEvPT_PKS2_PKT0_S8_ifPKiSA_iPKfiiiSC_SC_iiiii
    .private_segment_fixed_size: 0
    .sgpr_count:     50
    .sgpr_spill_count: 0
    .symbol:         _ZN4vllm25paged_attention_v1_kernelIthLi64ELi8ELi128ELNS_18Fp8KVCacheDataTypeE1ELb0EEEvPT_PKS2_PKT0_S8_ifPKiSA_iPKfiiiSC_SC_iiiii.kd
    .uniform_work_group_size: 1
    .uses_dynamic_stack: false
    .vgpr_count:     41
    .vgpr_spill_count: 0
    .wavefront_size: 64
  - .args:
      - .actual_access:  write_only
        .address_space:  global
        .offset:         0
        .size:           8
        .value_kind:     global_buffer
      - .actual_access:  read_only
        .address_space:  global
        .offset:         8
        .size:           8
        .value_kind:     global_buffer
      - .actual_access:  read_only
        .address_space:  global
        .offset:         16
        .size:           8
        .value_kind:     global_buffer
      - .actual_access:  read_only
        .address_space:  global
        .offset:         24
        .size:           8
        .value_kind:     global_buffer
      - .offset:         32
        .size:           4
        .value_kind:     by_value
      - .offset:         36
        .size:           4
        .value_kind:     by_value
      - .actual_access:  read_only
        .address_space:  global
        .offset:         40
        .size:           8
        .value_kind:     global_buffer
      - .actual_access:  read_only
        .address_space:  global
        .offset:         48
        .size:           8
        .value_kind:     global_buffer
      - .offset:         56
        .size:           4
        .value_kind:     by_value
      - .actual_access:  read_only
        .address_space:  global
        .offset:         64
        .size:           8
        .value_kind:     global_buffer
      - .offset:         72
        .size:           4
        .value_kind:     by_value
      - .offset:         76
        .size:           4
        .value_kind:     by_value
      - .offset:         80
        .size:           4
        .value_kind:     by_value
      - .address_space:  global
        .offset:         88
        .size:           8
        .value_kind:     global_buffer
      - .address_space:  global
        .offset:         96
        .size:           8
        .value_kind:     global_buffer
      - .offset:         104
        .size:           4
        .value_kind:     by_value
      - .offset:         108
        .size:           4
        .value_kind:     by_value
      - .offset:         112
        .size:           4
        .value_kind:     by_value
      - .offset:         116
        .size:           4
        .value_kind:     by_value
      - .offset:         120
        .size:           4
        .value_kind:     by_value
      - .offset:         128
        .size:           4
        .value_kind:     hidden_block_count_x
      - .offset:         132
        .size:           4
        .value_kind:     hidden_block_count_y
      - .offset:         136
        .size:           4
        .value_kind:     hidden_block_count_z
      - .offset:         140
        .size:           2
        .value_kind:     hidden_group_size_x
      - .offset:         142
        .size:           2
        .value_kind:     hidden_group_size_y
      - .offset:         144
        .size:           2
        .value_kind:     hidden_group_size_z
      - .offset:         146
        .size:           2
        .value_kind:     hidden_remainder_x
      - .offset:         148
        .size:           2
        .value_kind:     hidden_remainder_y
      - .offset:         150
        .size:           2
        .value_kind:     hidden_remainder_z
      - .offset:         168
        .size:           8
        .value_kind:     hidden_global_offset_x
      - .offset:         176
        .size:           8
        .value_kind:     hidden_global_offset_y
      - .offset:         184
        .size:           8
        .value_kind:     hidden_global_offset_z
      - .offset:         192
        .size:           2
        .value_kind:     hidden_grid_dims
      - .offset:         248
        .size:           4
        .value_kind:     hidden_dynamic_lds_size
    .group_segment_fixed_size: 176
    .kernarg_segment_align: 8
    .kernarg_segment_size: 384
    .language:       OpenCL C
    .language_version:
      - 2
      - 0
    .max_flat_workgroup_size: 1024
    .name:           _ZN4vllm25paged_attention_v1_kernelIthLi80ELi8ELi128ELNS_18Fp8KVCacheDataTypeE1ELb0EEEvPT_PKS2_PKT0_S8_ifPKiSA_iPKfiiiSC_SC_iiiii
    .private_segment_fixed_size: 0
    .sgpr_count:     50
    .sgpr_spill_count: 0
    .symbol:         _ZN4vllm25paged_attention_v1_kernelIthLi80ELi8ELi128ELNS_18Fp8KVCacheDataTypeE1ELb0EEEvPT_PKS2_PKT0_S8_ifPKiSA_iPKfiiiSC_SC_iiiii.kd
    .uniform_work_group_size: 1
    .uses_dynamic_stack: false
    .vgpr_count:     42
    .vgpr_spill_count: 0
    .wavefront_size: 64
  - .args:
      - .actual_access:  write_only
        .address_space:  global
        .offset:         0
        .size:           8
        .value_kind:     global_buffer
      - .actual_access:  read_only
        .address_space:  global
        .offset:         8
        .size:           8
        .value_kind:     global_buffer
      - .actual_access:  read_only
        .address_space:  global
        .offset:         16
        .size:           8
        .value_kind:     global_buffer
      - .actual_access:  read_only
        .address_space:  global
        .offset:         24
        .size:           8
        .value_kind:     global_buffer
      - .offset:         32
        .size:           4
        .value_kind:     by_value
      - .offset:         36
        .size:           4
        .value_kind:     by_value
      - .actual_access:  read_only
        .address_space:  global
        .offset:         40
        .size:           8
        .value_kind:     global_buffer
      - .actual_access:  read_only
        .address_space:  global
        .offset:         48
        .size:           8
        .value_kind:     global_buffer
      - .offset:         56
        .size:           4
        .value_kind:     by_value
      - .actual_access:  read_only
        .address_space:  global
        .offset:         64
        .size:           8
        .value_kind:     global_buffer
      - .offset:         72
        .size:           4
        .value_kind:     by_value
      - .offset:         76
        .size:           4
        .value_kind:     by_value
      - .offset:         80
        .size:           4
        .value_kind:     by_value
      - .address_space:  global
        .offset:         88
        .size:           8
        .value_kind:     global_buffer
      - .address_space:  global
        .offset:         96
        .size:           8
        .value_kind:     global_buffer
      - .offset:         104
        .size:           4
        .value_kind:     by_value
      - .offset:         108
        .size:           4
        .value_kind:     by_value
      - .offset:         112
        .size:           4
        .value_kind:     by_value
      - .offset:         116
        .size:           4
        .value_kind:     by_value
      - .offset:         120
        .size:           4
        .value_kind:     by_value
      - .offset:         128
        .size:           4
        .value_kind:     hidden_block_count_x
      - .offset:         132
        .size:           4
        .value_kind:     hidden_block_count_y
      - .offset:         136
        .size:           4
        .value_kind:     hidden_block_count_z
      - .offset:         140
        .size:           2
        .value_kind:     hidden_group_size_x
      - .offset:         142
        .size:           2
        .value_kind:     hidden_group_size_y
      - .offset:         144
        .size:           2
        .value_kind:     hidden_group_size_z
      - .offset:         146
        .size:           2
        .value_kind:     hidden_remainder_x
      - .offset:         148
        .size:           2
        .value_kind:     hidden_remainder_y
      - .offset:         150
        .size:           2
        .value_kind:     hidden_remainder_z
      - .offset:         168
        .size:           8
        .value_kind:     hidden_global_offset_x
      - .offset:         176
        .size:           8
        .value_kind:     hidden_global_offset_y
      - .offset:         184
        .size:           8
        .value_kind:     hidden_global_offset_z
      - .offset:         192
        .size:           2
        .value_kind:     hidden_grid_dims
      - .offset:         248
        .size:           4
        .value_kind:     hidden_dynamic_lds_size
    .group_segment_fixed_size: 208
    .kernarg_segment_align: 8
    .kernarg_segment_size: 384
    .language:       OpenCL C
    .language_version:
      - 2
      - 0
    .max_flat_workgroup_size: 1024
    .name:           _ZN4vllm25paged_attention_v1_kernelIthLi96ELi8ELi128ELNS_18Fp8KVCacheDataTypeE1ELb0EEEvPT_PKS2_PKT0_S8_ifPKiSA_iPKfiiiSC_SC_iiiii
    .private_segment_fixed_size: 0
    .sgpr_count:     50
    .sgpr_spill_count: 0
    .symbol:         _ZN4vllm25paged_attention_v1_kernelIthLi96ELi8ELi128ELNS_18Fp8KVCacheDataTypeE1ELb0EEEvPT_PKS2_PKT0_S8_ifPKiSA_iPKfiiiSC_SC_iiiii.kd
    .uniform_work_group_size: 1
    .uses_dynamic_stack: false
    .vgpr_count:     42
    .vgpr_spill_count: 0
    .wavefront_size: 64
  - .args:
      - .actual_access:  write_only
        .address_space:  global
        .offset:         0
        .size:           8
        .value_kind:     global_buffer
      - .actual_access:  read_only
        .address_space:  global
        .offset:         8
        .size:           8
        .value_kind:     global_buffer
      - .actual_access:  read_only
        .address_space:  global
        .offset:         16
        .size:           8
        .value_kind:     global_buffer
      - .actual_access:  read_only
        .address_space:  global
        .offset:         24
        .size:           8
        .value_kind:     global_buffer
      - .offset:         32
        .size:           4
        .value_kind:     by_value
      - .offset:         36
        .size:           4
        .value_kind:     by_value
      - .actual_access:  read_only
        .address_space:  global
        .offset:         40
        .size:           8
        .value_kind:     global_buffer
      - .actual_access:  read_only
        .address_space:  global
        .offset:         48
        .size:           8
        .value_kind:     global_buffer
      - .offset:         56
        .size:           4
        .value_kind:     by_value
      - .actual_access:  read_only
        .address_space:  global
        .offset:         64
        .size:           8
        .value_kind:     global_buffer
      - .offset:         72
        .size:           4
        .value_kind:     by_value
      - .offset:         76
        .size:           4
        .value_kind:     by_value
      - .offset:         80
        .size:           4
        .value_kind:     by_value
      - .address_space:  global
        .offset:         88
        .size:           8
        .value_kind:     global_buffer
      - .address_space:  global
        .offset:         96
        .size:           8
        .value_kind:     global_buffer
      - .offset:         104
        .size:           4
        .value_kind:     by_value
      - .offset:         108
        .size:           4
        .value_kind:     by_value
      - .offset:         112
        .size:           4
        .value_kind:     by_value
      - .offset:         116
        .size:           4
        .value_kind:     by_value
      - .offset:         120
        .size:           4
        .value_kind:     by_value
      - .offset:         128
        .size:           4
        .value_kind:     hidden_block_count_x
      - .offset:         132
        .size:           4
        .value_kind:     hidden_block_count_y
      - .offset:         136
        .size:           4
        .value_kind:     hidden_block_count_z
      - .offset:         140
        .size:           2
        .value_kind:     hidden_group_size_x
      - .offset:         142
        .size:           2
        .value_kind:     hidden_group_size_y
      - .offset:         144
        .size:           2
        .value_kind:     hidden_group_size_z
      - .offset:         146
        .size:           2
        .value_kind:     hidden_remainder_x
      - .offset:         148
        .size:           2
        .value_kind:     hidden_remainder_y
      - .offset:         150
        .size:           2
        .value_kind:     hidden_remainder_z
      - .offset:         168
        .size:           8
        .value_kind:     hidden_global_offset_x
      - .offset:         176
        .size:           8
        .value_kind:     hidden_global_offset_y
      - .offset:         184
        .size:           8
        .value_kind:     hidden_global_offset_z
      - .offset:         192
        .size:           2
        .value_kind:     hidden_grid_dims
      - .offset:         248
        .size:           4
        .value_kind:     hidden_dynamic_lds_size
    .group_segment_fixed_size: 240
    .kernarg_segment_align: 8
    .kernarg_segment_size: 384
    .language:       OpenCL C
    .language_version:
      - 2
      - 0
    .max_flat_workgroup_size: 1024
    .name:           _ZN4vllm25paged_attention_v1_kernelIthLi112ELi8ELi128ELNS_18Fp8KVCacheDataTypeE1ELb0EEEvPT_PKS2_PKT0_S8_ifPKiSA_iPKfiiiSC_SC_iiiii
    .private_segment_fixed_size: 0
    .sgpr_count:     50
    .sgpr_spill_count: 0
    .symbol:         _ZN4vllm25paged_attention_v1_kernelIthLi112ELi8ELi128ELNS_18Fp8KVCacheDataTypeE1ELb0EEEvPT_PKS2_PKT0_S8_ifPKiSA_iPKfiiiSC_SC_iiiii.kd
    .uniform_work_group_size: 1
    .uses_dynamic_stack: false
    .vgpr_count:     42
    .vgpr_spill_count: 0
    .wavefront_size: 64
  - .args:
      - .actual_access:  write_only
        .address_space:  global
        .offset:         0
        .size:           8
        .value_kind:     global_buffer
      - .actual_access:  read_only
        .address_space:  global
        .offset:         8
        .size:           8
        .value_kind:     global_buffer
      - .actual_access:  read_only
        .address_space:  global
        .offset:         16
        .size:           8
        .value_kind:     global_buffer
      - .actual_access:  read_only
        .address_space:  global
        .offset:         24
        .size:           8
        .value_kind:     global_buffer
      - .offset:         32
        .size:           4
        .value_kind:     by_value
      - .offset:         36
        .size:           4
        .value_kind:     by_value
      - .actual_access:  read_only
        .address_space:  global
        .offset:         40
        .size:           8
        .value_kind:     global_buffer
      - .actual_access:  read_only
        .address_space:  global
        .offset:         48
        .size:           8
        .value_kind:     global_buffer
      - .offset:         56
        .size:           4
        .value_kind:     by_value
      - .actual_access:  read_only
        .address_space:  global
        .offset:         64
        .size:           8
        .value_kind:     global_buffer
      - .offset:         72
        .size:           4
        .value_kind:     by_value
      - .offset:         76
        .size:           4
        .value_kind:     by_value
      - .offset:         80
        .size:           4
        .value_kind:     by_value
      - .address_space:  global
        .offset:         88
        .size:           8
        .value_kind:     global_buffer
      - .address_space:  global
        .offset:         96
        .size:           8
        .value_kind:     global_buffer
      - .offset:         104
        .size:           4
        .value_kind:     by_value
      - .offset:         108
        .size:           4
        .value_kind:     by_value
      - .offset:         112
        .size:           4
        .value_kind:     by_value
      - .offset:         116
        .size:           4
        .value_kind:     by_value
      - .offset:         120
        .size:           4
        .value_kind:     by_value
      - .offset:         128
        .size:           4
        .value_kind:     hidden_block_count_x
      - .offset:         132
        .size:           4
        .value_kind:     hidden_block_count_y
      - .offset:         136
        .size:           4
        .value_kind:     hidden_block_count_z
      - .offset:         140
        .size:           2
        .value_kind:     hidden_group_size_x
      - .offset:         142
        .size:           2
        .value_kind:     hidden_group_size_y
      - .offset:         144
        .size:           2
        .value_kind:     hidden_group_size_z
      - .offset:         146
        .size:           2
        .value_kind:     hidden_remainder_x
      - .offset:         148
        .size:           2
        .value_kind:     hidden_remainder_y
      - .offset:         150
        .size:           2
        .value_kind:     hidden_remainder_z
      - .offset:         168
        .size:           8
        .value_kind:     hidden_global_offset_x
      - .offset:         176
        .size:           8
        .value_kind:     hidden_global_offset_y
      - .offset:         184
        .size:           8
        .value_kind:     hidden_global_offset_z
      - .offset:         192
        .size:           2
        .value_kind:     hidden_grid_dims
      - .offset:         248
        .size:           4
        .value_kind:     hidden_dynamic_lds_size
    .group_segment_fixed_size: 256
    .kernarg_segment_align: 8
    .kernarg_segment_size: 384
    .language:       OpenCL C
    .language_version:
      - 2
      - 0
    .max_flat_workgroup_size: 1024
    .name:           _ZN4vllm25paged_attention_v1_kernelIthLi120ELi8ELi128ELNS_18Fp8KVCacheDataTypeE1ELb0EEEvPT_PKS2_PKT0_S8_ifPKiSA_iPKfiiiSC_SC_iiiii
    .private_segment_fixed_size: 0
    .sgpr_count:     50
    .sgpr_spill_count: 0
    .symbol:         _ZN4vllm25paged_attention_v1_kernelIthLi120ELi8ELi128ELNS_18Fp8KVCacheDataTypeE1ELb0EEEvPT_PKS2_PKT0_S8_ifPKiSA_iPKfiiiSC_SC_iiiii.kd
    .uniform_work_group_size: 1
    .uses_dynamic_stack: false
    .vgpr_count:     44
    .vgpr_spill_count: 0
    .wavefront_size: 64
  - .args:
      - .actual_access:  write_only
        .address_space:  global
        .offset:         0
        .size:           8
        .value_kind:     global_buffer
      - .actual_access:  read_only
        .address_space:  global
        .offset:         8
        .size:           8
        .value_kind:     global_buffer
      - .actual_access:  read_only
        .address_space:  global
        .offset:         16
        .size:           8
        .value_kind:     global_buffer
      - .actual_access:  read_only
        .address_space:  global
        .offset:         24
        .size:           8
        .value_kind:     global_buffer
      - .offset:         32
        .size:           4
        .value_kind:     by_value
      - .offset:         36
        .size:           4
        .value_kind:     by_value
      - .actual_access:  read_only
        .address_space:  global
        .offset:         40
        .size:           8
        .value_kind:     global_buffer
      - .actual_access:  read_only
        .address_space:  global
        .offset:         48
        .size:           8
        .value_kind:     global_buffer
      - .offset:         56
        .size:           4
        .value_kind:     by_value
      - .actual_access:  read_only
        .address_space:  global
        .offset:         64
        .size:           8
        .value_kind:     global_buffer
      - .offset:         72
        .size:           4
        .value_kind:     by_value
      - .offset:         76
        .size:           4
        .value_kind:     by_value
      - .offset:         80
        .size:           4
        .value_kind:     by_value
      - .address_space:  global
        .offset:         88
        .size:           8
        .value_kind:     global_buffer
      - .address_space:  global
        .offset:         96
        .size:           8
        .value_kind:     global_buffer
      - .offset:         104
        .size:           4
        .value_kind:     by_value
      - .offset:         108
        .size:           4
        .value_kind:     by_value
      - .offset:         112
        .size:           4
        .value_kind:     by_value
      - .offset:         116
        .size:           4
        .value_kind:     by_value
      - .offset:         120
        .size:           4
        .value_kind:     by_value
      - .offset:         128
        .size:           4
        .value_kind:     hidden_block_count_x
      - .offset:         132
        .size:           4
        .value_kind:     hidden_block_count_y
      - .offset:         136
        .size:           4
        .value_kind:     hidden_block_count_z
      - .offset:         140
        .size:           2
        .value_kind:     hidden_group_size_x
      - .offset:         142
        .size:           2
        .value_kind:     hidden_group_size_y
      - .offset:         144
        .size:           2
        .value_kind:     hidden_group_size_z
      - .offset:         146
        .size:           2
        .value_kind:     hidden_remainder_x
      - .offset:         148
        .size:           2
        .value_kind:     hidden_remainder_y
      - .offset:         150
        .size:           2
        .value_kind:     hidden_remainder_z
      - .offset:         168
        .size:           8
        .value_kind:     hidden_global_offset_x
      - .offset:         176
        .size:           8
        .value_kind:     hidden_global_offset_y
      - .offset:         184
        .size:           8
        .value_kind:     hidden_global_offset_z
      - .offset:         192
        .size:           2
        .value_kind:     hidden_grid_dims
      - .offset:         248
        .size:           4
        .value_kind:     hidden_dynamic_lds_size
    .group_segment_fixed_size: 272
    .kernarg_segment_align: 8
    .kernarg_segment_size: 384
    .language:       OpenCL C
    .language_version:
      - 2
      - 0
    .max_flat_workgroup_size: 1024
    .name:           _ZN4vllm25paged_attention_v1_kernelIthLi128ELi8ELi128ELNS_18Fp8KVCacheDataTypeE1ELb0EEEvPT_PKS2_PKT0_S8_ifPKiSA_iPKfiiiSC_SC_iiiii
    .private_segment_fixed_size: 0
    .sgpr_count:     48
    .sgpr_spill_count: 0
    .symbol:         _ZN4vllm25paged_attention_v1_kernelIthLi128ELi8ELi128ELNS_18Fp8KVCacheDataTypeE1ELb0EEEvPT_PKS2_PKT0_S8_ifPKiSA_iPKfiiiSC_SC_iiiii.kd
    .uniform_work_group_size: 1
    .uses_dynamic_stack: false
    .vgpr_count:     46
    .vgpr_spill_count: 0
    .wavefront_size: 64
  - .args:
      - .actual_access:  write_only
        .address_space:  global
        .offset:         0
        .size:           8
        .value_kind:     global_buffer
      - .actual_access:  read_only
        .address_space:  global
        .offset:         8
        .size:           8
        .value_kind:     global_buffer
      - .actual_access:  read_only
        .address_space:  global
        .offset:         16
        .size:           8
        .value_kind:     global_buffer
      - .actual_access:  read_only
        .address_space:  global
        .offset:         24
        .size:           8
        .value_kind:     global_buffer
      - .offset:         32
        .size:           4
        .value_kind:     by_value
      - .offset:         36
        .size:           4
        .value_kind:     by_value
      - .actual_access:  read_only
        .address_space:  global
        .offset:         40
        .size:           8
        .value_kind:     global_buffer
      - .actual_access:  read_only
        .address_space:  global
        .offset:         48
        .size:           8
        .value_kind:     global_buffer
      - .offset:         56
        .size:           4
        .value_kind:     by_value
      - .actual_access:  read_only
        .address_space:  global
        .offset:         64
        .size:           8
        .value_kind:     global_buffer
      - .offset:         72
        .size:           4
        .value_kind:     by_value
      - .offset:         76
        .size:           4
        .value_kind:     by_value
      - .offset:         80
        .size:           4
        .value_kind:     by_value
      - .address_space:  global
        .offset:         88
        .size:           8
        .value_kind:     global_buffer
      - .address_space:  global
        .offset:         96
        .size:           8
        .value_kind:     global_buffer
      - .offset:         104
        .size:           4
        .value_kind:     by_value
      - .offset:         108
        .size:           4
        .value_kind:     by_value
      - .offset:         112
        .size:           4
        .value_kind:     by_value
      - .offset:         116
        .size:           4
        .value_kind:     by_value
      - .offset:         120
        .size:           4
        .value_kind:     by_value
      - .offset:         128
        .size:           4
        .value_kind:     hidden_block_count_x
      - .offset:         132
        .size:           4
        .value_kind:     hidden_block_count_y
      - .offset:         136
        .size:           4
        .value_kind:     hidden_block_count_z
      - .offset:         140
        .size:           2
        .value_kind:     hidden_group_size_x
      - .offset:         142
        .size:           2
        .value_kind:     hidden_group_size_y
      - .offset:         144
        .size:           2
        .value_kind:     hidden_group_size_z
      - .offset:         146
        .size:           2
        .value_kind:     hidden_remainder_x
      - .offset:         148
        .size:           2
        .value_kind:     hidden_remainder_y
      - .offset:         150
        .size:           2
        .value_kind:     hidden_remainder_z
      - .offset:         168
        .size:           8
        .value_kind:     hidden_global_offset_x
      - .offset:         176
        .size:           8
        .value_kind:     hidden_global_offset_y
      - .offset:         184
        .size:           8
        .value_kind:     hidden_global_offset_z
      - .offset:         192
        .size:           2
        .value_kind:     hidden_grid_dims
      - .offset:         248
        .size:           4
        .value_kind:     hidden_dynamic_lds_size
    .group_segment_fixed_size: 400
    .kernarg_segment_align: 8
    .kernarg_segment_size: 384
    .language:       OpenCL C
    .language_version:
      - 2
      - 0
    .max_flat_workgroup_size: 1024
    .name:           _ZN4vllm25paged_attention_v1_kernelIthLi192ELi8ELi128ELNS_18Fp8KVCacheDataTypeE1ELb0EEEvPT_PKS2_PKT0_S8_ifPKiSA_iPKfiiiSC_SC_iiiii
    .private_segment_fixed_size: 0
    .sgpr_count:     48
    .sgpr_spill_count: 0
    .symbol:         _ZN4vllm25paged_attention_v1_kernelIthLi192ELi8ELi128ELNS_18Fp8KVCacheDataTypeE1ELb0EEEvPT_PKS2_PKT0_S8_ifPKiSA_iPKfiiiSC_SC_iiiii.kd
    .uniform_work_group_size: 1
    .uses_dynamic_stack: false
    .vgpr_count:     60
    .vgpr_spill_count: 0
    .wavefront_size: 64
  - .args:
      - .actual_access:  write_only
        .address_space:  global
        .offset:         0
        .size:           8
        .value_kind:     global_buffer
      - .actual_access:  read_only
        .address_space:  global
        .offset:         8
        .size:           8
        .value_kind:     global_buffer
      - .actual_access:  read_only
        .address_space:  global
        .offset:         16
        .size:           8
        .value_kind:     global_buffer
      - .actual_access:  read_only
        .address_space:  global
        .offset:         24
        .size:           8
        .value_kind:     global_buffer
      - .offset:         32
        .size:           4
        .value_kind:     by_value
      - .offset:         36
        .size:           4
        .value_kind:     by_value
      - .actual_access:  read_only
        .address_space:  global
        .offset:         40
        .size:           8
        .value_kind:     global_buffer
      - .actual_access:  read_only
        .address_space:  global
        .offset:         48
        .size:           8
        .value_kind:     global_buffer
      - .offset:         56
        .size:           4
        .value_kind:     by_value
      - .actual_access:  read_only
        .address_space:  global
        .offset:         64
        .size:           8
        .value_kind:     global_buffer
      - .offset:         72
        .size:           4
        .value_kind:     by_value
      - .offset:         76
        .size:           4
        .value_kind:     by_value
      - .offset:         80
        .size:           4
        .value_kind:     by_value
      - .address_space:  global
        .offset:         88
        .size:           8
        .value_kind:     global_buffer
      - .address_space:  global
        .offset:         96
        .size:           8
        .value_kind:     global_buffer
      - .offset:         104
        .size:           4
        .value_kind:     by_value
      - .offset:         108
        .size:           4
        .value_kind:     by_value
      - .offset:         112
        .size:           4
        .value_kind:     by_value
      - .offset:         116
        .size:           4
        .value_kind:     by_value
      - .offset:         120
        .size:           4
        .value_kind:     by_value
      - .offset:         128
        .size:           4
        .value_kind:     hidden_block_count_x
      - .offset:         132
        .size:           4
        .value_kind:     hidden_block_count_y
      - .offset:         136
        .size:           4
        .value_kind:     hidden_block_count_z
      - .offset:         140
        .size:           2
        .value_kind:     hidden_group_size_x
      - .offset:         142
        .size:           2
        .value_kind:     hidden_group_size_y
      - .offset:         144
        .size:           2
        .value_kind:     hidden_group_size_z
      - .offset:         146
        .size:           2
        .value_kind:     hidden_remainder_x
      - .offset:         148
        .size:           2
        .value_kind:     hidden_remainder_y
      - .offset:         150
        .size:           2
        .value_kind:     hidden_remainder_z
      - .offset:         168
        .size:           8
        .value_kind:     hidden_global_offset_x
      - .offset:         176
        .size:           8
        .value_kind:     hidden_global_offset_y
      - .offset:         184
        .size:           8
        .value_kind:     hidden_global_offset_z
      - .offset:         192
        .size:           2
        .value_kind:     hidden_grid_dims
      - .offset:         248
        .size:           4
        .value_kind:     hidden_dynamic_lds_size
    .group_segment_fixed_size: 528
    .kernarg_segment_align: 8
    .kernarg_segment_size: 384
    .language:       OpenCL C
    .language_version:
      - 2
      - 0
    .max_flat_workgroup_size: 1024
    .name:           _ZN4vllm25paged_attention_v1_kernelIthLi256ELi8ELi128ELNS_18Fp8KVCacheDataTypeE1ELb0EEEvPT_PKS2_PKT0_S8_ifPKiSA_iPKfiiiSC_SC_iiiii
    .private_segment_fixed_size: 0
    .sgpr_count:     48
    .sgpr_spill_count: 0
    .symbol:         _ZN4vllm25paged_attention_v1_kernelIthLi256ELi8ELi128ELNS_18Fp8KVCacheDataTypeE1ELb0EEEvPT_PKS2_PKT0_S8_ifPKiSA_iPKfiiiSC_SC_iiiii.kd
    .uniform_work_group_size: 1
    .uses_dynamic_stack: false
    .vgpr_count:     57
    .vgpr_spill_count: 0
    .wavefront_size: 64
  - .args:
      - .actual_access:  write_only
        .address_space:  global
        .offset:         0
        .size:           8
        .value_kind:     global_buffer
      - .actual_access:  read_only
        .address_space:  global
        .offset:         8
        .size:           8
        .value_kind:     global_buffer
      - .actual_access:  read_only
        .address_space:  global
        .offset:         16
        .size:           8
        .value_kind:     global_buffer
      - .actual_access:  read_only
        .address_space:  global
        .offset:         24
        .size:           8
        .value_kind:     global_buffer
      - .offset:         32
        .size:           4
        .value_kind:     by_value
      - .offset:         36
        .size:           4
        .value_kind:     by_value
      - .actual_access:  read_only
        .address_space:  global
        .offset:         40
        .size:           8
        .value_kind:     global_buffer
      - .actual_access:  read_only
        .address_space:  global
        .offset:         48
        .size:           8
        .value_kind:     global_buffer
      - .offset:         56
        .size:           4
        .value_kind:     by_value
      - .actual_access:  read_only
        .address_space:  global
        .offset:         64
        .size:           8
        .value_kind:     global_buffer
      - .offset:         72
        .size:           4
        .value_kind:     by_value
      - .offset:         76
        .size:           4
        .value_kind:     by_value
      - .offset:         80
        .size:           4
        .value_kind:     by_value
      - .address_space:  global
        .offset:         88
        .size:           8
        .value_kind:     global_buffer
      - .address_space:  global
        .offset:         96
        .size:           8
        .value_kind:     global_buffer
      - .offset:         104
        .size:           4
        .value_kind:     by_value
      - .offset:         108
        .size:           4
        .value_kind:     by_value
      - .offset:         112
        .size:           4
        .value_kind:     by_value
      - .offset:         116
        .size:           4
        .value_kind:     by_value
      - .offset:         120
        .size:           4
        .value_kind:     by_value
      - .offset:         128
        .size:           4
        .value_kind:     hidden_block_count_x
      - .offset:         132
        .size:           4
        .value_kind:     hidden_block_count_y
      - .offset:         136
        .size:           4
        .value_kind:     hidden_block_count_z
      - .offset:         140
        .size:           2
        .value_kind:     hidden_group_size_x
      - .offset:         142
        .size:           2
        .value_kind:     hidden_group_size_y
      - .offset:         144
        .size:           2
        .value_kind:     hidden_group_size_z
      - .offset:         146
        .size:           2
        .value_kind:     hidden_remainder_x
      - .offset:         148
        .size:           2
        .value_kind:     hidden_remainder_y
      - .offset:         150
        .size:           2
        .value_kind:     hidden_remainder_z
      - .offset:         168
        .size:           8
        .value_kind:     hidden_global_offset_x
      - .offset:         176
        .size:           8
        .value_kind:     hidden_global_offset_y
      - .offset:         184
        .size:           8
        .value_kind:     hidden_global_offset_z
      - .offset:         192
        .size:           2
        .value_kind:     hidden_grid_dims
      - .offset:         248
        .size:           4
        .value_kind:     hidden_dynamic_lds_size
    .group_segment_fixed_size: 80
    .kernarg_segment_align: 8
    .kernarg_segment_size: 384
    .language:       OpenCL C
    .language_version:
      - 2
      - 0
    .max_flat_workgroup_size: 1024
    .name:           _ZN4vllm25paged_attention_v1_kernelIthLi32ELi16ELi128ELNS_18Fp8KVCacheDataTypeE1ELb1EEEvPT_PKS2_PKT0_S8_ifPKiSA_iPKfiiiSC_SC_iiiii
    .private_segment_fixed_size: 0
    .sgpr_count:     59
    .sgpr_spill_count: 0
    .symbol:         _ZN4vllm25paged_attention_v1_kernelIthLi32ELi16ELi128ELNS_18Fp8KVCacheDataTypeE1ELb1EEEvPT_PKS2_PKT0_S8_ifPKiSA_iPKfiiiSC_SC_iiiii.kd
    .uniform_work_group_size: 1
    .uses_dynamic_stack: false
    .vgpr_count:     44
    .vgpr_spill_count: 0
    .wavefront_size: 64
  - .args:
      - .actual_access:  write_only
        .address_space:  global
        .offset:         0
        .size:           8
        .value_kind:     global_buffer
      - .actual_access:  read_only
        .address_space:  global
        .offset:         8
        .size:           8
        .value_kind:     global_buffer
      - .actual_access:  read_only
        .address_space:  global
        .offset:         16
        .size:           8
        .value_kind:     global_buffer
      - .actual_access:  read_only
        .address_space:  global
        .offset:         24
        .size:           8
        .value_kind:     global_buffer
      - .offset:         32
        .size:           4
        .value_kind:     by_value
      - .offset:         36
        .size:           4
        .value_kind:     by_value
      - .actual_access:  read_only
        .address_space:  global
        .offset:         40
        .size:           8
        .value_kind:     global_buffer
      - .actual_access:  read_only
        .address_space:  global
        .offset:         48
        .size:           8
        .value_kind:     global_buffer
      - .offset:         56
        .size:           4
        .value_kind:     by_value
      - .actual_access:  read_only
        .address_space:  global
        .offset:         64
        .size:           8
        .value_kind:     global_buffer
      - .offset:         72
        .size:           4
        .value_kind:     by_value
      - .offset:         76
        .size:           4
        .value_kind:     by_value
      - .offset:         80
        .size:           4
        .value_kind:     by_value
      - .address_space:  global
        .offset:         88
        .size:           8
        .value_kind:     global_buffer
      - .address_space:  global
        .offset:         96
        .size:           8
        .value_kind:     global_buffer
      - .offset:         104
        .size:           4
        .value_kind:     by_value
      - .offset:         108
        .size:           4
        .value_kind:     by_value
      - .offset:         112
        .size:           4
        .value_kind:     by_value
      - .offset:         116
        .size:           4
        .value_kind:     by_value
      - .offset:         120
        .size:           4
        .value_kind:     by_value
      - .offset:         128
        .size:           4
        .value_kind:     hidden_block_count_x
      - .offset:         132
        .size:           4
        .value_kind:     hidden_block_count_y
      - .offset:         136
        .size:           4
        .value_kind:     hidden_block_count_z
      - .offset:         140
        .size:           2
        .value_kind:     hidden_group_size_x
      - .offset:         142
        .size:           2
        .value_kind:     hidden_group_size_y
      - .offset:         144
        .size:           2
        .value_kind:     hidden_group_size_z
      - .offset:         146
        .size:           2
        .value_kind:     hidden_remainder_x
      - .offset:         148
        .size:           2
        .value_kind:     hidden_remainder_y
      - .offset:         150
        .size:           2
        .value_kind:     hidden_remainder_z
      - .offset:         168
        .size:           8
        .value_kind:     hidden_global_offset_x
      - .offset:         176
        .size:           8
        .value_kind:     hidden_global_offset_y
      - .offset:         184
        .size:           8
        .value_kind:     hidden_global_offset_z
      - .offset:         192
        .size:           2
        .value_kind:     hidden_grid_dims
      - .offset:         248
        .size:           4
        .value_kind:     hidden_dynamic_lds_size
    .group_segment_fixed_size: 144
    .kernarg_segment_align: 8
    .kernarg_segment_size: 384
    .language:       OpenCL C
    .language_version:
      - 2
      - 0
    .max_flat_workgroup_size: 1024
    .name:           _ZN4vllm25paged_attention_v1_kernelIthLi64ELi16ELi128ELNS_18Fp8KVCacheDataTypeE1ELb1EEEvPT_PKS2_PKT0_S8_ifPKiSA_iPKfiiiSC_SC_iiiii
    .private_segment_fixed_size: 0
    .sgpr_count:     59
    .sgpr_spill_count: 0
    .symbol:         _ZN4vllm25paged_attention_v1_kernelIthLi64ELi16ELi128ELNS_18Fp8KVCacheDataTypeE1ELb1EEEvPT_PKS2_PKT0_S8_ifPKiSA_iPKfiiiSC_SC_iiiii.kd
    .uniform_work_group_size: 1
    .uses_dynamic_stack: false
    .vgpr_count:     48
    .vgpr_spill_count: 0
    .wavefront_size: 64
  - .args:
      - .actual_access:  write_only
        .address_space:  global
        .offset:         0
        .size:           8
        .value_kind:     global_buffer
      - .actual_access:  read_only
        .address_space:  global
        .offset:         8
        .size:           8
        .value_kind:     global_buffer
      - .actual_access:  read_only
        .address_space:  global
        .offset:         16
        .size:           8
        .value_kind:     global_buffer
      - .actual_access:  read_only
        .address_space:  global
        .offset:         24
        .size:           8
        .value_kind:     global_buffer
      - .offset:         32
        .size:           4
        .value_kind:     by_value
      - .offset:         36
        .size:           4
        .value_kind:     by_value
      - .actual_access:  read_only
        .address_space:  global
        .offset:         40
        .size:           8
        .value_kind:     global_buffer
      - .actual_access:  read_only
        .address_space:  global
        .offset:         48
        .size:           8
        .value_kind:     global_buffer
      - .offset:         56
        .size:           4
        .value_kind:     by_value
      - .actual_access:  read_only
        .address_space:  global
        .offset:         64
        .size:           8
        .value_kind:     global_buffer
      - .offset:         72
        .size:           4
        .value_kind:     by_value
      - .offset:         76
        .size:           4
        .value_kind:     by_value
      - .offset:         80
        .size:           4
        .value_kind:     by_value
      - .address_space:  global
        .offset:         88
        .size:           8
        .value_kind:     global_buffer
      - .address_space:  global
        .offset:         96
        .size:           8
        .value_kind:     global_buffer
      - .offset:         104
        .size:           4
        .value_kind:     by_value
      - .offset:         108
        .size:           4
        .value_kind:     by_value
      - .offset:         112
        .size:           4
        .value_kind:     by_value
      - .offset:         116
        .size:           4
        .value_kind:     by_value
      - .offset:         120
        .size:           4
        .value_kind:     by_value
      - .offset:         128
        .size:           4
        .value_kind:     hidden_block_count_x
      - .offset:         132
        .size:           4
        .value_kind:     hidden_block_count_y
      - .offset:         136
        .size:           4
        .value_kind:     hidden_block_count_z
      - .offset:         140
        .size:           2
        .value_kind:     hidden_group_size_x
      - .offset:         142
        .size:           2
        .value_kind:     hidden_group_size_y
      - .offset:         144
        .size:           2
        .value_kind:     hidden_group_size_z
      - .offset:         146
        .size:           2
        .value_kind:     hidden_remainder_x
      - .offset:         148
        .size:           2
        .value_kind:     hidden_remainder_y
      - .offset:         150
        .size:           2
        .value_kind:     hidden_remainder_z
      - .offset:         168
        .size:           8
        .value_kind:     hidden_global_offset_x
      - .offset:         176
        .size:           8
        .value_kind:     hidden_global_offset_y
      - .offset:         184
        .size:           8
        .value_kind:     hidden_global_offset_z
      - .offset:         192
        .size:           2
        .value_kind:     hidden_grid_dims
      - .offset:         248
        .size:           4
        .value_kind:     hidden_dynamic_lds_size
    .group_segment_fixed_size: 176
    .kernarg_segment_align: 8
    .kernarg_segment_size: 384
    .language:       OpenCL C
    .language_version:
      - 2
      - 0
    .max_flat_workgroup_size: 1024
    .name:           _ZN4vllm25paged_attention_v1_kernelIthLi80ELi16ELi128ELNS_18Fp8KVCacheDataTypeE1ELb1EEEvPT_PKS2_PKT0_S8_ifPKiSA_iPKfiiiSC_SC_iiiii
    .private_segment_fixed_size: 0
    .sgpr_count:     59
    .sgpr_spill_count: 0
    .symbol:         _ZN4vllm25paged_attention_v1_kernelIthLi80ELi16ELi128ELNS_18Fp8KVCacheDataTypeE1ELb1EEEvPT_PKS2_PKT0_S8_ifPKiSA_iPKfiiiSC_SC_iiiii.kd
    .uniform_work_group_size: 1
    .uses_dynamic_stack: false
    .vgpr_count:     53
    .vgpr_spill_count: 0
    .wavefront_size: 64
  - .args:
      - .actual_access:  write_only
        .address_space:  global
        .offset:         0
        .size:           8
        .value_kind:     global_buffer
      - .actual_access:  read_only
        .address_space:  global
        .offset:         8
        .size:           8
        .value_kind:     global_buffer
      - .actual_access:  read_only
        .address_space:  global
        .offset:         16
        .size:           8
        .value_kind:     global_buffer
      - .actual_access:  read_only
        .address_space:  global
        .offset:         24
        .size:           8
        .value_kind:     global_buffer
      - .offset:         32
        .size:           4
        .value_kind:     by_value
      - .offset:         36
        .size:           4
        .value_kind:     by_value
      - .actual_access:  read_only
        .address_space:  global
        .offset:         40
        .size:           8
        .value_kind:     global_buffer
      - .actual_access:  read_only
        .address_space:  global
        .offset:         48
        .size:           8
        .value_kind:     global_buffer
      - .offset:         56
        .size:           4
        .value_kind:     by_value
      - .actual_access:  read_only
        .address_space:  global
        .offset:         64
        .size:           8
        .value_kind:     global_buffer
      - .offset:         72
        .size:           4
        .value_kind:     by_value
      - .offset:         76
        .size:           4
        .value_kind:     by_value
      - .offset:         80
        .size:           4
        .value_kind:     by_value
      - .address_space:  global
        .offset:         88
        .size:           8
        .value_kind:     global_buffer
      - .address_space:  global
        .offset:         96
        .size:           8
        .value_kind:     global_buffer
      - .offset:         104
        .size:           4
        .value_kind:     by_value
      - .offset:         108
        .size:           4
        .value_kind:     by_value
      - .offset:         112
        .size:           4
        .value_kind:     by_value
      - .offset:         116
        .size:           4
        .value_kind:     by_value
      - .offset:         120
        .size:           4
        .value_kind:     by_value
      - .offset:         128
        .size:           4
        .value_kind:     hidden_block_count_x
      - .offset:         132
        .size:           4
        .value_kind:     hidden_block_count_y
      - .offset:         136
        .size:           4
        .value_kind:     hidden_block_count_z
      - .offset:         140
        .size:           2
        .value_kind:     hidden_group_size_x
      - .offset:         142
        .size:           2
        .value_kind:     hidden_group_size_y
      - .offset:         144
        .size:           2
        .value_kind:     hidden_group_size_z
      - .offset:         146
        .size:           2
        .value_kind:     hidden_remainder_x
      - .offset:         148
        .size:           2
        .value_kind:     hidden_remainder_y
      - .offset:         150
        .size:           2
        .value_kind:     hidden_remainder_z
      - .offset:         168
        .size:           8
        .value_kind:     hidden_global_offset_x
      - .offset:         176
        .size:           8
        .value_kind:     hidden_global_offset_y
      - .offset:         184
        .size:           8
        .value_kind:     hidden_global_offset_z
      - .offset:         192
        .size:           2
        .value_kind:     hidden_grid_dims
      - .offset:         248
        .size:           4
        .value_kind:     hidden_dynamic_lds_size
    .group_segment_fixed_size: 208
    .kernarg_segment_align: 8
    .kernarg_segment_size: 384
    .language:       OpenCL C
    .language_version:
      - 2
      - 0
    .max_flat_workgroup_size: 1024
    .name:           _ZN4vllm25paged_attention_v1_kernelIthLi96ELi16ELi128ELNS_18Fp8KVCacheDataTypeE1ELb1EEEvPT_PKS2_PKT0_S8_ifPKiSA_iPKfiiiSC_SC_iiiii
    .private_segment_fixed_size: 0
    .sgpr_count:     59
    .sgpr_spill_count: 0
    .symbol:         _ZN4vllm25paged_attention_v1_kernelIthLi96ELi16ELi128ELNS_18Fp8KVCacheDataTypeE1ELb1EEEvPT_PKS2_PKT0_S8_ifPKiSA_iPKfiiiSC_SC_iiiii.kd
    .uniform_work_group_size: 1
    .uses_dynamic_stack: false
    .vgpr_count:     59
    .vgpr_spill_count: 0
    .wavefront_size: 64
  - .args:
      - .actual_access:  write_only
        .address_space:  global
        .offset:         0
        .size:           8
        .value_kind:     global_buffer
      - .actual_access:  read_only
        .address_space:  global
        .offset:         8
        .size:           8
        .value_kind:     global_buffer
      - .actual_access:  read_only
        .address_space:  global
        .offset:         16
        .size:           8
        .value_kind:     global_buffer
      - .actual_access:  read_only
        .address_space:  global
        .offset:         24
        .size:           8
        .value_kind:     global_buffer
      - .offset:         32
        .size:           4
        .value_kind:     by_value
      - .offset:         36
        .size:           4
        .value_kind:     by_value
      - .actual_access:  read_only
        .address_space:  global
        .offset:         40
        .size:           8
        .value_kind:     global_buffer
      - .actual_access:  read_only
        .address_space:  global
        .offset:         48
        .size:           8
        .value_kind:     global_buffer
      - .offset:         56
        .size:           4
        .value_kind:     by_value
      - .actual_access:  read_only
        .address_space:  global
        .offset:         64
        .size:           8
        .value_kind:     global_buffer
      - .offset:         72
        .size:           4
        .value_kind:     by_value
      - .offset:         76
        .size:           4
        .value_kind:     by_value
      - .offset:         80
        .size:           4
        .value_kind:     by_value
      - .address_space:  global
        .offset:         88
        .size:           8
        .value_kind:     global_buffer
      - .address_space:  global
        .offset:         96
        .size:           8
        .value_kind:     global_buffer
      - .offset:         104
        .size:           4
        .value_kind:     by_value
      - .offset:         108
        .size:           4
        .value_kind:     by_value
      - .offset:         112
        .size:           4
        .value_kind:     by_value
      - .offset:         116
        .size:           4
        .value_kind:     by_value
      - .offset:         120
        .size:           4
        .value_kind:     by_value
      - .offset:         128
        .size:           4
        .value_kind:     hidden_block_count_x
      - .offset:         132
        .size:           4
        .value_kind:     hidden_block_count_y
      - .offset:         136
        .size:           4
        .value_kind:     hidden_block_count_z
      - .offset:         140
        .size:           2
        .value_kind:     hidden_group_size_x
      - .offset:         142
        .size:           2
        .value_kind:     hidden_group_size_y
      - .offset:         144
        .size:           2
        .value_kind:     hidden_group_size_z
      - .offset:         146
        .size:           2
        .value_kind:     hidden_remainder_x
      - .offset:         148
        .size:           2
        .value_kind:     hidden_remainder_y
      - .offset:         150
        .size:           2
        .value_kind:     hidden_remainder_z
      - .offset:         168
        .size:           8
        .value_kind:     hidden_global_offset_x
      - .offset:         176
        .size:           8
        .value_kind:     hidden_global_offset_y
      - .offset:         184
        .size:           8
        .value_kind:     hidden_global_offset_z
      - .offset:         192
        .size:           2
        .value_kind:     hidden_grid_dims
      - .offset:         248
        .size:           4
        .value_kind:     hidden_dynamic_lds_size
    .group_segment_fixed_size: 240
    .kernarg_segment_align: 8
    .kernarg_segment_size: 384
    .language:       OpenCL C
    .language_version:
      - 2
      - 0
    .max_flat_workgroup_size: 1024
    .name:           _ZN4vllm25paged_attention_v1_kernelIthLi112ELi16ELi128ELNS_18Fp8KVCacheDataTypeE1ELb1EEEvPT_PKS2_PKT0_S8_ifPKiSA_iPKfiiiSC_SC_iiiii
    .private_segment_fixed_size: 0
    .sgpr_count:     59
    .sgpr_spill_count: 0
    .symbol:         _ZN4vllm25paged_attention_v1_kernelIthLi112ELi16ELi128ELNS_18Fp8KVCacheDataTypeE1ELb1EEEvPT_PKS2_PKT0_S8_ifPKiSA_iPKfiiiSC_SC_iiiii.kd
    .uniform_work_group_size: 1
    .uses_dynamic_stack: false
    .vgpr_count:     56
    .vgpr_spill_count: 0
    .wavefront_size: 64
  - .args:
      - .actual_access:  write_only
        .address_space:  global
        .offset:         0
        .size:           8
        .value_kind:     global_buffer
      - .actual_access:  read_only
        .address_space:  global
        .offset:         8
        .size:           8
        .value_kind:     global_buffer
      - .actual_access:  read_only
        .address_space:  global
        .offset:         16
        .size:           8
        .value_kind:     global_buffer
      - .actual_access:  read_only
        .address_space:  global
        .offset:         24
        .size:           8
        .value_kind:     global_buffer
      - .offset:         32
        .size:           4
        .value_kind:     by_value
      - .offset:         36
        .size:           4
        .value_kind:     by_value
      - .actual_access:  read_only
        .address_space:  global
        .offset:         40
        .size:           8
        .value_kind:     global_buffer
      - .actual_access:  read_only
        .address_space:  global
        .offset:         48
        .size:           8
        .value_kind:     global_buffer
      - .offset:         56
        .size:           4
        .value_kind:     by_value
      - .actual_access:  read_only
        .address_space:  global
        .offset:         64
        .size:           8
        .value_kind:     global_buffer
      - .offset:         72
        .size:           4
        .value_kind:     by_value
      - .offset:         76
        .size:           4
        .value_kind:     by_value
      - .offset:         80
        .size:           4
        .value_kind:     by_value
      - .address_space:  global
        .offset:         88
        .size:           8
        .value_kind:     global_buffer
      - .address_space:  global
        .offset:         96
        .size:           8
        .value_kind:     global_buffer
      - .offset:         104
        .size:           4
        .value_kind:     by_value
      - .offset:         108
        .size:           4
        .value_kind:     by_value
      - .offset:         112
        .size:           4
        .value_kind:     by_value
      - .offset:         116
        .size:           4
        .value_kind:     by_value
      - .offset:         120
        .size:           4
        .value_kind:     by_value
      - .offset:         128
        .size:           4
        .value_kind:     hidden_block_count_x
      - .offset:         132
        .size:           4
        .value_kind:     hidden_block_count_y
      - .offset:         136
        .size:           4
        .value_kind:     hidden_block_count_z
      - .offset:         140
        .size:           2
        .value_kind:     hidden_group_size_x
      - .offset:         142
        .size:           2
        .value_kind:     hidden_group_size_y
      - .offset:         144
        .size:           2
        .value_kind:     hidden_group_size_z
      - .offset:         146
        .size:           2
        .value_kind:     hidden_remainder_x
      - .offset:         148
        .size:           2
        .value_kind:     hidden_remainder_y
      - .offset:         150
        .size:           2
        .value_kind:     hidden_remainder_z
      - .offset:         168
        .size:           8
        .value_kind:     hidden_global_offset_x
      - .offset:         176
        .size:           8
        .value_kind:     hidden_global_offset_y
      - .offset:         184
        .size:           8
        .value_kind:     hidden_global_offset_z
      - .offset:         192
        .size:           2
        .value_kind:     hidden_grid_dims
      - .offset:         248
        .size:           4
        .value_kind:     hidden_dynamic_lds_size
    .group_segment_fixed_size: 256
    .kernarg_segment_align: 8
    .kernarg_segment_size: 384
    .language:       OpenCL C
    .language_version:
      - 2
      - 0
    .max_flat_workgroup_size: 1024
    .name:           _ZN4vllm25paged_attention_v1_kernelIthLi120ELi16ELi128ELNS_18Fp8KVCacheDataTypeE1ELb1EEEvPT_PKS2_PKT0_S8_ifPKiSA_iPKfiiiSC_SC_iiiii
    .private_segment_fixed_size: 0
    .sgpr_count:     59
    .sgpr_spill_count: 0
    .symbol:         _ZN4vllm25paged_attention_v1_kernelIthLi120ELi16ELi128ELNS_18Fp8KVCacheDataTypeE1ELb1EEEvPT_PKS2_PKT0_S8_ifPKiSA_iPKfiiiSC_SC_iiiii.kd
    .uniform_work_group_size: 1
    .uses_dynamic_stack: false
    .vgpr_count:     58
    .vgpr_spill_count: 0
    .wavefront_size: 64
  - .args:
      - .actual_access:  write_only
        .address_space:  global
        .offset:         0
        .size:           8
        .value_kind:     global_buffer
      - .actual_access:  read_only
        .address_space:  global
        .offset:         8
        .size:           8
        .value_kind:     global_buffer
      - .actual_access:  read_only
        .address_space:  global
        .offset:         16
        .size:           8
        .value_kind:     global_buffer
      - .actual_access:  read_only
        .address_space:  global
        .offset:         24
        .size:           8
        .value_kind:     global_buffer
      - .offset:         32
        .size:           4
        .value_kind:     by_value
      - .offset:         36
        .size:           4
        .value_kind:     by_value
      - .actual_access:  read_only
        .address_space:  global
        .offset:         40
        .size:           8
        .value_kind:     global_buffer
      - .actual_access:  read_only
        .address_space:  global
        .offset:         48
        .size:           8
        .value_kind:     global_buffer
      - .offset:         56
        .size:           4
        .value_kind:     by_value
      - .actual_access:  read_only
        .address_space:  global
        .offset:         64
        .size:           8
        .value_kind:     global_buffer
      - .offset:         72
        .size:           4
        .value_kind:     by_value
      - .offset:         76
        .size:           4
        .value_kind:     by_value
      - .offset:         80
        .size:           4
        .value_kind:     by_value
      - .address_space:  global
        .offset:         88
        .size:           8
        .value_kind:     global_buffer
      - .address_space:  global
        .offset:         96
        .size:           8
        .value_kind:     global_buffer
      - .offset:         104
        .size:           4
        .value_kind:     by_value
      - .offset:         108
        .size:           4
        .value_kind:     by_value
      - .offset:         112
        .size:           4
        .value_kind:     by_value
      - .offset:         116
        .size:           4
        .value_kind:     by_value
      - .offset:         120
        .size:           4
        .value_kind:     by_value
      - .offset:         128
        .size:           4
        .value_kind:     hidden_block_count_x
      - .offset:         132
        .size:           4
        .value_kind:     hidden_block_count_y
      - .offset:         136
        .size:           4
        .value_kind:     hidden_block_count_z
      - .offset:         140
        .size:           2
        .value_kind:     hidden_group_size_x
      - .offset:         142
        .size:           2
        .value_kind:     hidden_group_size_y
      - .offset:         144
        .size:           2
        .value_kind:     hidden_group_size_z
      - .offset:         146
        .size:           2
        .value_kind:     hidden_remainder_x
      - .offset:         148
        .size:           2
        .value_kind:     hidden_remainder_y
      - .offset:         150
        .size:           2
        .value_kind:     hidden_remainder_z
      - .offset:         168
        .size:           8
        .value_kind:     hidden_global_offset_x
      - .offset:         176
        .size:           8
        .value_kind:     hidden_global_offset_y
      - .offset:         184
        .size:           8
        .value_kind:     hidden_global_offset_z
      - .offset:         192
        .size:           2
        .value_kind:     hidden_grid_dims
      - .offset:         248
        .size:           4
        .value_kind:     hidden_dynamic_lds_size
    .group_segment_fixed_size: 272
    .kernarg_segment_align: 8
    .kernarg_segment_size: 384
    .language:       OpenCL C
    .language_version:
      - 2
      - 0
    .max_flat_workgroup_size: 1024
    .name:           _ZN4vllm25paged_attention_v1_kernelIthLi128ELi16ELi128ELNS_18Fp8KVCacheDataTypeE1ELb1EEEvPT_PKS2_PKT0_S8_ifPKiSA_iPKfiiiSC_SC_iiiii
    .private_segment_fixed_size: 0
    .sgpr_count:     61
    .sgpr_spill_count: 0
    .symbol:         _ZN4vllm25paged_attention_v1_kernelIthLi128ELi16ELi128ELNS_18Fp8KVCacheDataTypeE1ELb1EEEvPT_PKS2_PKT0_S8_ifPKiSA_iPKfiiiSC_SC_iiiii.kd
    .uniform_work_group_size: 1
    .uses_dynamic_stack: false
    .vgpr_count:     60
    .vgpr_spill_count: 0
    .wavefront_size: 64
  - .args:
      - .actual_access:  write_only
        .address_space:  global
        .offset:         0
        .size:           8
        .value_kind:     global_buffer
      - .actual_access:  read_only
        .address_space:  global
        .offset:         8
        .size:           8
        .value_kind:     global_buffer
      - .actual_access:  read_only
        .address_space:  global
        .offset:         16
        .size:           8
        .value_kind:     global_buffer
      - .actual_access:  read_only
        .address_space:  global
        .offset:         24
        .size:           8
        .value_kind:     global_buffer
      - .offset:         32
        .size:           4
        .value_kind:     by_value
      - .offset:         36
        .size:           4
        .value_kind:     by_value
      - .actual_access:  read_only
        .address_space:  global
        .offset:         40
        .size:           8
        .value_kind:     global_buffer
      - .actual_access:  read_only
        .address_space:  global
        .offset:         48
        .size:           8
        .value_kind:     global_buffer
      - .offset:         56
        .size:           4
        .value_kind:     by_value
      - .actual_access:  read_only
        .address_space:  global
        .offset:         64
        .size:           8
        .value_kind:     global_buffer
      - .offset:         72
        .size:           4
        .value_kind:     by_value
      - .offset:         76
        .size:           4
        .value_kind:     by_value
      - .offset:         80
        .size:           4
        .value_kind:     by_value
      - .address_space:  global
        .offset:         88
        .size:           8
        .value_kind:     global_buffer
      - .address_space:  global
        .offset:         96
        .size:           8
        .value_kind:     global_buffer
      - .offset:         104
        .size:           4
        .value_kind:     by_value
      - .offset:         108
        .size:           4
        .value_kind:     by_value
      - .offset:         112
        .size:           4
        .value_kind:     by_value
      - .offset:         116
        .size:           4
        .value_kind:     by_value
      - .offset:         120
        .size:           4
        .value_kind:     by_value
      - .offset:         128
        .size:           4
        .value_kind:     hidden_block_count_x
      - .offset:         132
        .size:           4
        .value_kind:     hidden_block_count_y
      - .offset:         136
        .size:           4
        .value_kind:     hidden_block_count_z
      - .offset:         140
        .size:           2
        .value_kind:     hidden_group_size_x
      - .offset:         142
        .size:           2
        .value_kind:     hidden_group_size_y
      - .offset:         144
        .size:           2
        .value_kind:     hidden_group_size_z
      - .offset:         146
        .size:           2
        .value_kind:     hidden_remainder_x
      - .offset:         148
        .size:           2
        .value_kind:     hidden_remainder_y
      - .offset:         150
        .size:           2
        .value_kind:     hidden_remainder_z
      - .offset:         168
        .size:           8
        .value_kind:     hidden_global_offset_x
      - .offset:         176
        .size:           8
        .value_kind:     hidden_global_offset_y
      - .offset:         184
        .size:           8
        .value_kind:     hidden_global_offset_z
      - .offset:         192
        .size:           2
        .value_kind:     hidden_grid_dims
      - .offset:         248
        .size:           4
        .value_kind:     hidden_dynamic_lds_size
    .group_segment_fixed_size: 400
    .kernarg_segment_align: 8
    .kernarg_segment_size: 384
    .language:       OpenCL C
    .language_version:
      - 2
      - 0
    .max_flat_workgroup_size: 1024
    .name:           _ZN4vllm25paged_attention_v1_kernelIthLi192ELi16ELi128ELNS_18Fp8KVCacheDataTypeE1ELb1EEEvPT_PKS2_PKT0_S8_ifPKiSA_iPKfiiiSC_SC_iiiii
    .private_segment_fixed_size: 40
    .sgpr_count:     64
    .sgpr_spill_count: 0
    .symbol:         _ZN4vllm25paged_attention_v1_kernelIthLi192ELi16ELi128ELNS_18Fp8KVCacheDataTypeE1ELb1EEEvPT_PKS2_PKT0_S8_ifPKiSA_iPKfiiiSC_SC_iiiii.kd
    .uniform_work_group_size: 1
    .uses_dynamic_stack: false
    .vgpr_count:     64
    .vgpr_spill_count: 10
    .wavefront_size: 64
  - .args:
      - .actual_access:  write_only
        .address_space:  global
        .offset:         0
        .size:           8
        .value_kind:     global_buffer
      - .actual_access:  read_only
        .address_space:  global
        .offset:         8
        .size:           8
        .value_kind:     global_buffer
      - .actual_access:  read_only
        .address_space:  global
        .offset:         16
        .size:           8
        .value_kind:     global_buffer
      - .actual_access:  read_only
        .address_space:  global
        .offset:         24
        .size:           8
        .value_kind:     global_buffer
      - .offset:         32
        .size:           4
        .value_kind:     by_value
      - .offset:         36
        .size:           4
        .value_kind:     by_value
      - .actual_access:  read_only
        .address_space:  global
        .offset:         40
        .size:           8
        .value_kind:     global_buffer
      - .actual_access:  read_only
        .address_space:  global
        .offset:         48
        .size:           8
        .value_kind:     global_buffer
      - .offset:         56
        .size:           4
        .value_kind:     by_value
      - .actual_access:  read_only
        .address_space:  global
        .offset:         64
        .size:           8
        .value_kind:     global_buffer
      - .offset:         72
        .size:           4
        .value_kind:     by_value
      - .offset:         76
        .size:           4
        .value_kind:     by_value
      - .offset:         80
        .size:           4
        .value_kind:     by_value
      - .address_space:  global
        .offset:         88
        .size:           8
        .value_kind:     global_buffer
      - .address_space:  global
        .offset:         96
        .size:           8
        .value_kind:     global_buffer
      - .offset:         104
        .size:           4
        .value_kind:     by_value
      - .offset:         108
        .size:           4
        .value_kind:     by_value
      - .offset:         112
        .size:           4
        .value_kind:     by_value
      - .offset:         116
        .size:           4
        .value_kind:     by_value
      - .offset:         120
        .size:           4
        .value_kind:     by_value
      - .offset:         128
        .size:           4
        .value_kind:     hidden_block_count_x
      - .offset:         132
        .size:           4
        .value_kind:     hidden_block_count_y
      - .offset:         136
        .size:           4
        .value_kind:     hidden_block_count_z
      - .offset:         140
        .size:           2
        .value_kind:     hidden_group_size_x
      - .offset:         142
        .size:           2
        .value_kind:     hidden_group_size_y
      - .offset:         144
        .size:           2
        .value_kind:     hidden_group_size_z
      - .offset:         146
        .size:           2
        .value_kind:     hidden_remainder_x
      - .offset:         148
        .size:           2
        .value_kind:     hidden_remainder_y
      - .offset:         150
        .size:           2
        .value_kind:     hidden_remainder_z
      - .offset:         168
        .size:           8
        .value_kind:     hidden_global_offset_x
      - .offset:         176
        .size:           8
        .value_kind:     hidden_global_offset_y
      - .offset:         184
        .size:           8
        .value_kind:     hidden_global_offset_z
      - .offset:         192
        .size:           2
        .value_kind:     hidden_grid_dims
      - .offset:         248
        .size:           4
        .value_kind:     hidden_dynamic_lds_size
    .group_segment_fixed_size: 528
    .kernarg_segment_align: 8
    .kernarg_segment_size: 384
    .language:       OpenCL C
    .language_version:
      - 2
      - 0
    .max_flat_workgroup_size: 1024
    .name:           _ZN4vllm25paged_attention_v1_kernelIthLi256ELi16ELi128ELNS_18Fp8KVCacheDataTypeE1ELb1EEEvPT_PKS2_PKT0_S8_ifPKiSA_iPKfiiiSC_SC_iiiii
    .private_segment_fixed_size: 152
    .sgpr_count:     64
    .sgpr_spill_count: 0
    .symbol:         _ZN4vllm25paged_attention_v1_kernelIthLi256ELi16ELi128ELNS_18Fp8KVCacheDataTypeE1ELb1EEEvPT_PKS2_PKT0_S8_ifPKiSA_iPKfiiiSC_SC_iiiii.kd
    .uniform_work_group_size: 1
    .uses_dynamic_stack: false
    .vgpr_count:     64
    .vgpr_spill_count: 84
    .wavefront_size: 64
  - .args:
      - .actual_access:  write_only
        .address_space:  global
        .offset:         0
        .size:           8
        .value_kind:     global_buffer
      - .actual_access:  read_only
        .address_space:  global
        .offset:         8
        .size:           8
        .value_kind:     global_buffer
      - .actual_access:  read_only
        .address_space:  global
        .offset:         16
        .size:           8
        .value_kind:     global_buffer
      - .actual_access:  read_only
        .address_space:  global
        .offset:         24
        .size:           8
        .value_kind:     global_buffer
      - .offset:         32
        .size:           4
        .value_kind:     by_value
      - .offset:         36
        .size:           4
        .value_kind:     by_value
      - .actual_access:  read_only
        .address_space:  global
        .offset:         40
        .size:           8
        .value_kind:     global_buffer
      - .actual_access:  read_only
        .address_space:  global
        .offset:         48
        .size:           8
        .value_kind:     global_buffer
      - .offset:         56
        .size:           4
        .value_kind:     by_value
      - .actual_access:  read_only
        .address_space:  global
        .offset:         64
        .size:           8
        .value_kind:     global_buffer
      - .offset:         72
        .size:           4
        .value_kind:     by_value
      - .offset:         76
        .size:           4
        .value_kind:     by_value
      - .offset:         80
        .size:           4
        .value_kind:     by_value
      - .address_space:  global
        .offset:         88
        .size:           8
        .value_kind:     global_buffer
      - .address_space:  global
        .offset:         96
        .size:           8
        .value_kind:     global_buffer
      - .offset:         104
        .size:           4
        .value_kind:     by_value
      - .offset:         108
        .size:           4
        .value_kind:     by_value
      - .offset:         112
        .size:           4
        .value_kind:     by_value
      - .offset:         116
        .size:           4
        .value_kind:     by_value
      - .offset:         120
        .size:           4
        .value_kind:     by_value
      - .offset:         128
        .size:           4
        .value_kind:     hidden_block_count_x
      - .offset:         132
        .size:           4
        .value_kind:     hidden_block_count_y
      - .offset:         136
        .size:           4
        .value_kind:     hidden_block_count_z
      - .offset:         140
        .size:           2
        .value_kind:     hidden_group_size_x
      - .offset:         142
        .size:           2
        .value_kind:     hidden_group_size_y
      - .offset:         144
        .size:           2
        .value_kind:     hidden_group_size_z
      - .offset:         146
        .size:           2
        .value_kind:     hidden_remainder_x
      - .offset:         148
        .size:           2
        .value_kind:     hidden_remainder_y
      - .offset:         150
        .size:           2
        .value_kind:     hidden_remainder_z
      - .offset:         168
        .size:           8
        .value_kind:     hidden_global_offset_x
      - .offset:         176
        .size:           8
        .value_kind:     hidden_global_offset_y
      - .offset:         184
        .size:           8
        .value_kind:     hidden_global_offset_z
      - .offset:         192
        .size:           2
        .value_kind:     hidden_grid_dims
      - .offset:         248
        .size:           4
        .value_kind:     hidden_dynamic_lds_size
    .group_segment_fixed_size: 80
    .kernarg_segment_align: 8
    .kernarg_segment_size: 384
    .language:       OpenCL C
    .language_version:
      - 2
      - 0
    .max_flat_workgroup_size: 1024
    .name:           _ZN4vllm25paged_attention_v1_kernelIthLi32ELi16ELi128ELNS_18Fp8KVCacheDataTypeE1ELb0EEEvPT_PKS2_PKT0_S8_ifPKiSA_iPKfiiiSC_SC_iiiii
    .private_segment_fixed_size: 0
    .sgpr_count:     49
    .sgpr_spill_count: 0
    .symbol:         _ZN4vllm25paged_attention_v1_kernelIthLi32ELi16ELi128ELNS_18Fp8KVCacheDataTypeE1ELb0EEEvPT_PKS2_PKT0_S8_ifPKiSA_iPKfiiiSC_SC_iiiii.kd
    .uniform_work_group_size: 1
    .uses_dynamic_stack: false
    .vgpr_count:     42
    .vgpr_spill_count: 0
    .wavefront_size: 64
  - .args:
      - .actual_access:  write_only
        .address_space:  global
        .offset:         0
        .size:           8
        .value_kind:     global_buffer
      - .actual_access:  read_only
        .address_space:  global
        .offset:         8
        .size:           8
        .value_kind:     global_buffer
      - .actual_access:  read_only
        .address_space:  global
        .offset:         16
        .size:           8
        .value_kind:     global_buffer
      - .actual_access:  read_only
        .address_space:  global
        .offset:         24
        .size:           8
        .value_kind:     global_buffer
      - .offset:         32
        .size:           4
        .value_kind:     by_value
      - .offset:         36
        .size:           4
        .value_kind:     by_value
      - .actual_access:  read_only
        .address_space:  global
        .offset:         40
        .size:           8
        .value_kind:     global_buffer
      - .actual_access:  read_only
        .address_space:  global
        .offset:         48
        .size:           8
        .value_kind:     global_buffer
      - .offset:         56
        .size:           4
        .value_kind:     by_value
      - .actual_access:  read_only
        .address_space:  global
        .offset:         64
        .size:           8
        .value_kind:     global_buffer
      - .offset:         72
        .size:           4
        .value_kind:     by_value
      - .offset:         76
        .size:           4
        .value_kind:     by_value
      - .offset:         80
        .size:           4
        .value_kind:     by_value
      - .address_space:  global
        .offset:         88
        .size:           8
        .value_kind:     global_buffer
      - .address_space:  global
        .offset:         96
        .size:           8
        .value_kind:     global_buffer
      - .offset:         104
        .size:           4
        .value_kind:     by_value
      - .offset:         108
        .size:           4
        .value_kind:     by_value
      - .offset:         112
        .size:           4
        .value_kind:     by_value
      - .offset:         116
        .size:           4
        .value_kind:     by_value
      - .offset:         120
        .size:           4
        .value_kind:     by_value
      - .offset:         128
        .size:           4
        .value_kind:     hidden_block_count_x
      - .offset:         132
        .size:           4
        .value_kind:     hidden_block_count_y
      - .offset:         136
        .size:           4
        .value_kind:     hidden_block_count_z
      - .offset:         140
        .size:           2
        .value_kind:     hidden_group_size_x
      - .offset:         142
        .size:           2
        .value_kind:     hidden_group_size_y
      - .offset:         144
        .size:           2
        .value_kind:     hidden_group_size_z
      - .offset:         146
        .size:           2
        .value_kind:     hidden_remainder_x
      - .offset:         148
        .size:           2
        .value_kind:     hidden_remainder_y
      - .offset:         150
        .size:           2
        .value_kind:     hidden_remainder_z
      - .offset:         168
        .size:           8
        .value_kind:     hidden_global_offset_x
      - .offset:         176
        .size:           8
        .value_kind:     hidden_global_offset_y
      - .offset:         184
        .size:           8
        .value_kind:     hidden_global_offset_z
      - .offset:         192
        .size:           2
        .value_kind:     hidden_grid_dims
      - .offset:         248
        .size:           4
        .value_kind:     hidden_dynamic_lds_size
    .group_segment_fixed_size: 144
    .kernarg_segment_align: 8
    .kernarg_segment_size: 384
    .language:       OpenCL C
    .language_version:
      - 2
      - 0
    .max_flat_workgroup_size: 1024
    .name:           _ZN4vllm25paged_attention_v1_kernelIthLi64ELi16ELi128ELNS_18Fp8KVCacheDataTypeE1ELb0EEEvPT_PKS2_PKT0_S8_ifPKiSA_iPKfiiiSC_SC_iiiii
    .private_segment_fixed_size: 0
    .sgpr_count:     49
    .sgpr_spill_count: 0
    .symbol:         _ZN4vllm25paged_attention_v1_kernelIthLi64ELi16ELi128ELNS_18Fp8KVCacheDataTypeE1ELb0EEEvPT_PKS2_PKT0_S8_ifPKiSA_iPKfiiiSC_SC_iiiii.kd
    .uniform_work_group_size: 1
    .uses_dynamic_stack: false
    .vgpr_count:     44
    .vgpr_spill_count: 0
    .wavefront_size: 64
  - .args:
      - .actual_access:  write_only
        .address_space:  global
        .offset:         0
        .size:           8
        .value_kind:     global_buffer
      - .actual_access:  read_only
        .address_space:  global
        .offset:         8
        .size:           8
        .value_kind:     global_buffer
      - .actual_access:  read_only
        .address_space:  global
        .offset:         16
        .size:           8
        .value_kind:     global_buffer
      - .actual_access:  read_only
        .address_space:  global
        .offset:         24
        .size:           8
        .value_kind:     global_buffer
      - .offset:         32
        .size:           4
        .value_kind:     by_value
      - .offset:         36
        .size:           4
        .value_kind:     by_value
      - .actual_access:  read_only
        .address_space:  global
        .offset:         40
        .size:           8
        .value_kind:     global_buffer
      - .actual_access:  read_only
        .address_space:  global
        .offset:         48
        .size:           8
        .value_kind:     global_buffer
      - .offset:         56
        .size:           4
        .value_kind:     by_value
      - .actual_access:  read_only
        .address_space:  global
        .offset:         64
        .size:           8
        .value_kind:     global_buffer
      - .offset:         72
        .size:           4
        .value_kind:     by_value
      - .offset:         76
        .size:           4
        .value_kind:     by_value
      - .offset:         80
        .size:           4
        .value_kind:     by_value
      - .address_space:  global
        .offset:         88
        .size:           8
        .value_kind:     global_buffer
      - .address_space:  global
        .offset:         96
        .size:           8
        .value_kind:     global_buffer
      - .offset:         104
        .size:           4
        .value_kind:     by_value
      - .offset:         108
        .size:           4
        .value_kind:     by_value
      - .offset:         112
        .size:           4
        .value_kind:     by_value
      - .offset:         116
        .size:           4
        .value_kind:     by_value
      - .offset:         120
        .size:           4
        .value_kind:     by_value
      - .offset:         128
        .size:           4
        .value_kind:     hidden_block_count_x
      - .offset:         132
        .size:           4
        .value_kind:     hidden_block_count_y
      - .offset:         136
        .size:           4
        .value_kind:     hidden_block_count_z
      - .offset:         140
        .size:           2
        .value_kind:     hidden_group_size_x
      - .offset:         142
        .size:           2
        .value_kind:     hidden_group_size_y
      - .offset:         144
        .size:           2
        .value_kind:     hidden_group_size_z
      - .offset:         146
        .size:           2
        .value_kind:     hidden_remainder_x
      - .offset:         148
        .size:           2
        .value_kind:     hidden_remainder_y
      - .offset:         150
        .size:           2
        .value_kind:     hidden_remainder_z
      - .offset:         168
        .size:           8
        .value_kind:     hidden_global_offset_x
      - .offset:         176
        .size:           8
        .value_kind:     hidden_global_offset_y
      - .offset:         184
        .size:           8
        .value_kind:     hidden_global_offset_z
      - .offset:         192
        .size:           2
        .value_kind:     hidden_grid_dims
      - .offset:         248
        .size:           4
        .value_kind:     hidden_dynamic_lds_size
    .group_segment_fixed_size: 176
    .kernarg_segment_align: 8
    .kernarg_segment_size: 384
    .language:       OpenCL C
    .language_version:
      - 2
      - 0
    .max_flat_workgroup_size: 1024
    .name:           _ZN4vllm25paged_attention_v1_kernelIthLi80ELi16ELi128ELNS_18Fp8KVCacheDataTypeE1ELb0EEEvPT_PKS2_PKT0_S8_ifPKiSA_iPKfiiiSC_SC_iiiii
    .private_segment_fixed_size: 0
    .sgpr_count:     49
    .sgpr_spill_count: 0
    .symbol:         _ZN4vllm25paged_attention_v1_kernelIthLi80ELi16ELi128ELNS_18Fp8KVCacheDataTypeE1ELb0EEEvPT_PKS2_PKT0_S8_ifPKiSA_iPKfiiiSC_SC_iiiii.kd
    .uniform_work_group_size: 1
    .uses_dynamic_stack: false
    .vgpr_count:     47
    .vgpr_spill_count: 0
    .wavefront_size: 64
  - .args:
      - .actual_access:  write_only
        .address_space:  global
        .offset:         0
        .size:           8
        .value_kind:     global_buffer
      - .actual_access:  read_only
        .address_space:  global
        .offset:         8
        .size:           8
        .value_kind:     global_buffer
      - .actual_access:  read_only
        .address_space:  global
        .offset:         16
        .size:           8
        .value_kind:     global_buffer
      - .actual_access:  read_only
        .address_space:  global
        .offset:         24
        .size:           8
        .value_kind:     global_buffer
      - .offset:         32
        .size:           4
        .value_kind:     by_value
      - .offset:         36
        .size:           4
        .value_kind:     by_value
      - .actual_access:  read_only
        .address_space:  global
        .offset:         40
        .size:           8
        .value_kind:     global_buffer
      - .actual_access:  read_only
        .address_space:  global
        .offset:         48
        .size:           8
        .value_kind:     global_buffer
      - .offset:         56
        .size:           4
        .value_kind:     by_value
      - .actual_access:  read_only
        .address_space:  global
        .offset:         64
        .size:           8
        .value_kind:     global_buffer
      - .offset:         72
        .size:           4
        .value_kind:     by_value
      - .offset:         76
        .size:           4
        .value_kind:     by_value
      - .offset:         80
        .size:           4
        .value_kind:     by_value
      - .address_space:  global
        .offset:         88
        .size:           8
        .value_kind:     global_buffer
      - .address_space:  global
        .offset:         96
        .size:           8
        .value_kind:     global_buffer
      - .offset:         104
        .size:           4
        .value_kind:     by_value
      - .offset:         108
        .size:           4
        .value_kind:     by_value
      - .offset:         112
        .size:           4
        .value_kind:     by_value
      - .offset:         116
        .size:           4
        .value_kind:     by_value
      - .offset:         120
        .size:           4
        .value_kind:     by_value
      - .offset:         128
        .size:           4
        .value_kind:     hidden_block_count_x
      - .offset:         132
        .size:           4
        .value_kind:     hidden_block_count_y
      - .offset:         136
        .size:           4
        .value_kind:     hidden_block_count_z
      - .offset:         140
        .size:           2
        .value_kind:     hidden_group_size_x
      - .offset:         142
        .size:           2
        .value_kind:     hidden_group_size_y
      - .offset:         144
        .size:           2
        .value_kind:     hidden_group_size_z
      - .offset:         146
        .size:           2
        .value_kind:     hidden_remainder_x
      - .offset:         148
        .size:           2
        .value_kind:     hidden_remainder_y
      - .offset:         150
        .size:           2
        .value_kind:     hidden_remainder_z
      - .offset:         168
        .size:           8
        .value_kind:     hidden_global_offset_x
      - .offset:         176
        .size:           8
        .value_kind:     hidden_global_offset_y
      - .offset:         184
        .size:           8
        .value_kind:     hidden_global_offset_z
      - .offset:         192
        .size:           2
        .value_kind:     hidden_grid_dims
      - .offset:         248
        .size:           4
        .value_kind:     hidden_dynamic_lds_size
    .group_segment_fixed_size: 208
    .kernarg_segment_align: 8
    .kernarg_segment_size: 384
    .language:       OpenCL C
    .language_version:
      - 2
      - 0
    .max_flat_workgroup_size: 1024
    .name:           _ZN4vllm25paged_attention_v1_kernelIthLi96ELi16ELi128ELNS_18Fp8KVCacheDataTypeE1ELb0EEEvPT_PKS2_PKT0_S8_ifPKiSA_iPKfiiiSC_SC_iiiii
    .private_segment_fixed_size: 0
    .sgpr_count:     49
    .sgpr_spill_count: 0
    .symbol:         _ZN4vllm25paged_attention_v1_kernelIthLi96ELi16ELi128ELNS_18Fp8KVCacheDataTypeE1ELb0EEEvPT_PKS2_PKT0_S8_ifPKiSA_iPKfiiiSC_SC_iiiii.kd
    .uniform_work_group_size: 1
    .uses_dynamic_stack: false
    .vgpr_count:     53
    .vgpr_spill_count: 0
    .wavefront_size: 64
  - .args:
      - .actual_access:  write_only
        .address_space:  global
        .offset:         0
        .size:           8
        .value_kind:     global_buffer
      - .actual_access:  read_only
        .address_space:  global
        .offset:         8
        .size:           8
        .value_kind:     global_buffer
      - .actual_access:  read_only
        .address_space:  global
        .offset:         16
        .size:           8
        .value_kind:     global_buffer
      - .actual_access:  read_only
        .address_space:  global
        .offset:         24
        .size:           8
        .value_kind:     global_buffer
      - .offset:         32
        .size:           4
        .value_kind:     by_value
      - .offset:         36
        .size:           4
        .value_kind:     by_value
      - .actual_access:  read_only
        .address_space:  global
        .offset:         40
        .size:           8
        .value_kind:     global_buffer
      - .actual_access:  read_only
        .address_space:  global
        .offset:         48
        .size:           8
        .value_kind:     global_buffer
      - .offset:         56
        .size:           4
        .value_kind:     by_value
      - .actual_access:  read_only
        .address_space:  global
        .offset:         64
        .size:           8
        .value_kind:     global_buffer
      - .offset:         72
        .size:           4
        .value_kind:     by_value
      - .offset:         76
        .size:           4
        .value_kind:     by_value
      - .offset:         80
        .size:           4
        .value_kind:     by_value
      - .address_space:  global
        .offset:         88
        .size:           8
        .value_kind:     global_buffer
      - .address_space:  global
        .offset:         96
        .size:           8
        .value_kind:     global_buffer
      - .offset:         104
        .size:           4
        .value_kind:     by_value
      - .offset:         108
        .size:           4
        .value_kind:     by_value
      - .offset:         112
        .size:           4
        .value_kind:     by_value
      - .offset:         116
        .size:           4
        .value_kind:     by_value
      - .offset:         120
        .size:           4
        .value_kind:     by_value
      - .offset:         128
        .size:           4
        .value_kind:     hidden_block_count_x
      - .offset:         132
        .size:           4
        .value_kind:     hidden_block_count_y
      - .offset:         136
        .size:           4
        .value_kind:     hidden_block_count_z
      - .offset:         140
        .size:           2
        .value_kind:     hidden_group_size_x
      - .offset:         142
        .size:           2
        .value_kind:     hidden_group_size_y
      - .offset:         144
        .size:           2
        .value_kind:     hidden_group_size_z
      - .offset:         146
        .size:           2
        .value_kind:     hidden_remainder_x
      - .offset:         148
        .size:           2
        .value_kind:     hidden_remainder_y
      - .offset:         150
        .size:           2
        .value_kind:     hidden_remainder_z
      - .offset:         168
        .size:           8
        .value_kind:     hidden_global_offset_x
      - .offset:         176
        .size:           8
        .value_kind:     hidden_global_offset_y
      - .offset:         184
        .size:           8
        .value_kind:     hidden_global_offset_z
      - .offset:         192
        .size:           2
        .value_kind:     hidden_grid_dims
      - .offset:         248
        .size:           4
        .value_kind:     hidden_dynamic_lds_size
    .group_segment_fixed_size: 240
    .kernarg_segment_align: 8
    .kernarg_segment_size: 384
    .language:       OpenCL C
    .language_version:
      - 2
      - 0
    .max_flat_workgroup_size: 1024
    .name:           _ZN4vllm25paged_attention_v1_kernelIthLi112ELi16ELi128ELNS_18Fp8KVCacheDataTypeE1ELb0EEEvPT_PKS2_PKT0_S8_ifPKiSA_iPKfiiiSC_SC_iiiii
    .private_segment_fixed_size: 0
    .sgpr_count:     49
    .sgpr_spill_count: 0
    .symbol:         _ZN4vllm25paged_attention_v1_kernelIthLi112ELi16ELi128ELNS_18Fp8KVCacheDataTypeE1ELb0EEEvPT_PKS2_PKT0_S8_ifPKiSA_iPKfiiiSC_SC_iiiii.kd
    .uniform_work_group_size: 1
    .uses_dynamic_stack: false
    .vgpr_count:     61
    .vgpr_spill_count: 0
    .wavefront_size: 64
  - .args:
      - .actual_access:  write_only
        .address_space:  global
        .offset:         0
        .size:           8
        .value_kind:     global_buffer
      - .actual_access:  read_only
        .address_space:  global
        .offset:         8
        .size:           8
        .value_kind:     global_buffer
      - .actual_access:  read_only
        .address_space:  global
        .offset:         16
        .size:           8
        .value_kind:     global_buffer
      - .actual_access:  read_only
        .address_space:  global
        .offset:         24
        .size:           8
        .value_kind:     global_buffer
      - .offset:         32
        .size:           4
        .value_kind:     by_value
      - .offset:         36
        .size:           4
        .value_kind:     by_value
      - .actual_access:  read_only
        .address_space:  global
        .offset:         40
        .size:           8
        .value_kind:     global_buffer
      - .actual_access:  read_only
        .address_space:  global
        .offset:         48
        .size:           8
        .value_kind:     global_buffer
      - .offset:         56
        .size:           4
        .value_kind:     by_value
      - .actual_access:  read_only
        .address_space:  global
        .offset:         64
        .size:           8
        .value_kind:     global_buffer
      - .offset:         72
        .size:           4
        .value_kind:     by_value
      - .offset:         76
        .size:           4
        .value_kind:     by_value
      - .offset:         80
        .size:           4
        .value_kind:     by_value
      - .address_space:  global
        .offset:         88
        .size:           8
        .value_kind:     global_buffer
      - .address_space:  global
        .offset:         96
        .size:           8
        .value_kind:     global_buffer
      - .offset:         104
        .size:           4
        .value_kind:     by_value
      - .offset:         108
        .size:           4
        .value_kind:     by_value
      - .offset:         112
        .size:           4
        .value_kind:     by_value
      - .offset:         116
        .size:           4
        .value_kind:     by_value
      - .offset:         120
        .size:           4
        .value_kind:     by_value
      - .offset:         128
        .size:           4
        .value_kind:     hidden_block_count_x
      - .offset:         132
        .size:           4
        .value_kind:     hidden_block_count_y
      - .offset:         136
        .size:           4
        .value_kind:     hidden_block_count_z
      - .offset:         140
        .size:           2
        .value_kind:     hidden_group_size_x
      - .offset:         142
        .size:           2
        .value_kind:     hidden_group_size_y
      - .offset:         144
        .size:           2
        .value_kind:     hidden_group_size_z
      - .offset:         146
        .size:           2
        .value_kind:     hidden_remainder_x
      - .offset:         148
        .size:           2
        .value_kind:     hidden_remainder_y
      - .offset:         150
        .size:           2
        .value_kind:     hidden_remainder_z
      - .offset:         168
        .size:           8
        .value_kind:     hidden_global_offset_x
      - .offset:         176
        .size:           8
        .value_kind:     hidden_global_offset_y
      - .offset:         184
        .size:           8
        .value_kind:     hidden_global_offset_z
      - .offset:         192
        .size:           2
        .value_kind:     hidden_grid_dims
      - .offset:         248
        .size:           4
        .value_kind:     hidden_dynamic_lds_size
    .group_segment_fixed_size: 256
    .kernarg_segment_align: 8
    .kernarg_segment_size: 384
    .language:       OpenCL C
    .language_version:
      - 2
      - 0
    .max_flat_workgroup_size: 1024
    .name:           _ZN4vllm25paged_attention_v1_kernelIthLi120ELi16ELi128ELNS_18Fp8KVCacheDataTypeE1ELb0EEEvPT_PKS2_PKT0_S8_ifPKiSA_iPKfiiiSC_SC_iiiii
    .private_segment_fixed_size: 0
    .sgpr_count:     49
    .sgpr_spill_count: 0
    .symbol:         _ZN4vllm25paged_attention_v1_kernelIthLi120ELi16ELi128ELNS_18Fp8KVCacheDataTypeE1ELb0EEEvPT_PKS2_PKT0_S8_ifPKiSA_iPKfiiiSC_SC_iiiii.kd
    .uniform_work_group_size: 1
    .uses_dynamic_stack: false
    .vgpr_count:     63
    .vgpr_spill_count: 0
    .wavefront_size: 64
  - .args:
      - .actual_access:  write_only
        .address_space:  global
        .offset:         0
        .size:           8
        .value_kind:     global_buffer
      - .actual_access:  read_only
        .address_space:  global
        .offset:         8
        .size:           8
        .value_kind:     global_buffer
      - .actual_access:  read_only
        .address_space:  global
        .offset:         16
        .size:           8
        .value_kind:     global_buffer
      - .actual_access:  read_only
        .address_space:  global
        .offset:         24
        .size:           8
        .value_kind:     global_buffer
      - .offset:         32
        .size:           4
        .value_kind:     by_value
      - .offset:         36
        .size:           4
        .value_kind:     by_value
      - .actual_access:  read_only
        .address_space:  global
        .offset:         40
        .size:           8
        .value_kind:     global_buffer
      - .actual_access:  read_only
        .address_space:  global
        .offset:         48
        .size:           8
        .value_kind:     global_buffer
      - .offset:         56
        .size:           4
        .value_kind:     by_value
      - .actual_access:  read_only
        .address_space:  global
        .offset:         64
        .size:           8
        .value_kind:     global_buffer
      - .offset:         72
        .size:           4
        .value_kind:     by_value
      - .offset:         76
        .size:           4
        .value_kind:     by_value
      - .offset:         80
        .size:           4
        .value_kind:     by_value
      - .address_space:  global
        .offset:         88
        .size:           8
        .value_kind:     global_buffer
      - .address_space:  global
        .offset:         96
        .size:           8
        .value_kind:     global_buffer
      - .offset:         104
        .size:           4
        .value_kind:     by_value
      - .offset:         108
        .size:           4
        .value_kind:     by_value
      - .offset:         112
        .size:           4
        .value_kind:     by_value
      - .offset:         116
        .size:           4
        .value_kind:     by_value
      - .offset:         120
        .size:           4
        .value_kind:     by_value
      - .offset:         128
        .size:           4
        .value_kind:     hidden_block_count_x
      - .offset:         132
        .size:           4
        .value_kind:     hidden_block_count_y
      - .offset:         136
        .size:           4
        .value_kind:     hidden_block_count_z
      - .offset:         140
        .size:           2
        .value_kind:     hidden_group_size_x
      - .offset:         142
        .size:           2
        .value_kind:     hidden_group_size_y
      - .offset:         144
        .size:           2
        .value_kind:     hidden_group_size_z
      - .offset:         146
        .size:           2
        .value_kind:     hidden_remainder_x
      - .offset:         148
        .size:           2
        .value_kind:     hidden_remainder_y
      - .offset:         150
        .size:           2
        .value_kind:     hidden_remainder_z
      - .offset:         168
        .size:           8
        .value_kind:     hidden_global_offset_x
      - .offset:         176
        .size:           8
        .value_kind:     hidden_global_offset_y
      - .offset:         184
        .size:           8
        .value_kind:     hidden_global_offset_z
      - .offset:         192
        .size:           2
        .value_kind:     hidden_grid_dims
      - .offset:         248
        .size:           4
        .value_kind:     hidden_dynamic_lds_size
    .group_segment_fixed_size: 272
    .kernarg_segment_align: 8
    .kernarg_segment_size: 384
    .language:       OpenCL C
    .language_version:
      - 2
      - 0
    .max_flat_workgroup_size: 1024
    .name:           _ZN4vllm25paged_attention_v1_kernelIthLi128ELi16ELi128ELNS_18Fp8KVCacheDataTypeE1ELb0EEEvPT_PKS2_PKT0_S8_ifPKiSA_iPKfiiiSC_SC_iiiii
    .private_segment_fixed_size: 0
    .sgpr_count:     51
    .sgpr_spill_count: 0
    .symbol:         _ZN4vllm25paged_attention_v1_kernelIthLi128ELi16ELi128ELNS_18Fp8KVCacheDataTypeE1ELb0EEEvPT_PKS2_PKT0_S8_ifPKiSA_iPKfiiiSC_SC_iiiii.kd
    .uniform_work_group_size: 1
    .uses_dynamic_stack: false
    .vgpr_count:     55
    .vgpr_spill_count: 0
    .wavefront_size: 64
  - .args:
      - .actual_access:  write_only
        .address_space:  global
        .offset:         0
        .size:           8
        .value_kind:     global_buffer
      - .actual_access:  read_only
        .address_space:  global
        .offset:         8
        .size:           8
        .value_kind:     global_buffer
      - .actual_access:  read_only
        .address_space:  global
        .offset:         16
        .size:           8
        .value_kind:     global_buffer
      - .actual_access:  read_only
        .address_space:  global
        .offset:         24
        .size:           8
        .value_kind:     global_buffer
      - .offset:         32
        .size:           4
        .value_kind:     by_value
      - .offset:         36
        .size:           4
        .value_kind:     by_value
      - .actual_access:  read_only
        .address_space:  global
        .offset:         40
        .size:           8
        .value_kind:     global_buffer
      - .actual_access:  read_only
        .address_space:  global
        .offset:         48
        .size:           8
        .value_kind:     global_buffer
      - .offset:         56
        .size:           4
        .value_kind:     by_value
      - .actual_access:  read_only
        .address_space:  global
        .offset:         64
        .size:           8
        .value_kind:     global_buffer
      - .offset:         72
        .size:           4
        .value_kind:     by_value
      - .offset:         76
        .size:           4
        .value_kind:     by_value
      - .offset:         80
        .size:           4
        .value_kind:     by_value
      - .address_space:  global
        .offset:         88
        .size:           8
        .value_kind:     global_buffer
      - .address_space:  global
        .offset:         96
        .size:           8
        .value_kind:     global_buffer
      - .offset:         104
        .size:           4
        .value_kind:     by_value
      - .offset:         108
        .size:           4
        .value_kind:     by_value
      - .offset:         112
        .size:           4
        .value_kind:     by_value
      - .offset:         116
        .size:           4
        .value_kind:     by_value
      - .offset:         120
        .size:           4
        .value_kind:     by_value
      - .offset:         128
        .size:           4
        .value_kind:     hidden_block_count_x
      - .offset:         132
        .size:           4
        .value_kind:     hidden_block_count_y
      - .offset:         136
        .size:           4
        .value_kind:     hidden_block_count_z
      - .offset:         140
        .size:           2
        .value_kind:     hidden_group_size_x
      - .offset:         142
        .size:           2
        .value_kind:     hidden_group_size_y
      - .offset:         144
        .size:           2
        .value_kind:     hidden_group_size_z
      - .offset:         146
        .size:           2
        .value_kind:     hidden_remainder_x
      - .offset:         148
        .size:           2
        .value_kind:     hidden_remainder_y
      - .offset:         150
        .size:           2
        .value_kind:     hidden_remainder_z
      - .offset:         168
        .size:           8
        .value_kind:     hidden_global_offset_x
      - .offset:         176
        .size:           8
        .value_kind:     hidden_global_offset_y
      - .offset:         184
        .size:           8
        .value_kind:     hidden_global_offset_z
      - .offset:         192
        .size:           2
        .value_kind:     hidden_grid_dims
      - .offset:         248
        .size:           4
        .value_kind:     hidden_dynamic_lds_size
    .group_segment_fixed_size: 400
    .kernarg_segment_align: 8
    .kernarg_segment_size: 384
    .language:       OpenCL C
    .language_version:
      - 2
      - 0
    .max_flat_workgroup_size: 1024
    .name:           _ZN4vllm25paged_attention_v1_kernelIthLi192ELi16ELi128ELNS_18Fp8KVCacheDataTypeE1ELb0EEEvPT_PKS2_PKT0_S8_ifPKiSA_iPKfiiiSC_SC_iiiii
    .private_segment_fixed_size: 24
    .sgpr_count:     56
    .sgpr_spill_count: 0
    .symbol:         _ZN4vllm25paged_attention_v1_kernelIthLi192ELi16ELi128ELNS_18Fp8KVCacheDataTypeE1ELb0EEEvPT_PKS2_PKT0_S8_ifPKiSA_iPKfiiiSC_SC_iiiii.kd
    .uniform_work_group_size: 1
    .uses_dynamic_stack: false
    .vgpr_count:     64
    .vgpr_spill_count: 6
    .wavefront_size: 64
  - .args:
      - .actual_access:  write_only
        .address_space:  global
        .offset:         0
        .size:           8
        .value_kind:     global_buffer
      - .actual_access:  read_only
        .address_space:  global
        .offset:         8
        .size:           8
        .value_kind:     global_buffer
      - .actual_access:  read_only
        .address_space:  global
        .offset:         16
        .size:           8
        .value_kind:     global_buffer
      - .actual_access:  read_only
        .address_space:  global
        .offset:         24
        .size:           8
        .value_kind:     global_buffer
      - .offset:         32
        .size:           4
        .value_kind:     by_value
      - .offset:         36
        .size:           4
        .value_kind:     by_value
      - .actual_access:  read_only
        .address_space:  global
        .offset:         40
        .size:           8
        .value_kind:     global_buffer
      - .actual_access:  read_only
        .address_space:  global
        .offset:         48
        .size:           8
        .value_kind:     global_buffer
      - .offset:         56
        .size:           4
        .value_kind:     by_value
      - .actual_access:  read_only
        .address_space:  global
        .offset:         64
        .size:           8
        .value_kind:     global_buffer
      - .offset:         72
        .size:           4
        .value_kind:     by_value
      - .offset:         76
        .size:           4
        .value_kind:     by_value
      - .offset:         80
        .size:           4
        .value_kind:     by_value
      - .address_space:  global
        .offset:         88
        .size:           8
        .value_kind:     global_buffer
      - .address_space:  global
        .offset:         96
        .size:           8
        .value_kind:     global_buffer
      - .offset:         104
        .size:           4
        .value_kind:     by_value
      - .offset:         108
        .size:           4
        .value_kind:     by_value
      - .offset:         112
        .size:           4
        .value_kind:     by_value
      - .offset:         116
        .size:           4
        .value_kind:     by_value
      - .offset:         120
        .size:           4
        .value_kind:     by_value
      - .offset:         128
        .size:           4
        .value_kind:     hidden_block_count_x
      - .offset:         132
        .size:           4
        .value_kind:     hidden_block_count_y
      - .offset:         136
        .size:           4
        .value_kind:     hidden_block_count_z
      - .offset:         140
        .size:           2
        .value_kind:     hidden_group_size_x
      - .offset:         142
        .size:           2
        .value_kind:     hidden_group_size_y
      - .offset:         144
        .size:           2
        .value_kind:     hidden_group_size_z
      - .offset:         146
        .size:           2
        .value_kind:     hidden_remainder_x
      - .offset:         148
        .size:           2
        .value_kind:     hidden_remainder_y
      - .offset:         150
        .size:           2
        .value_kind:     hidden_remainder_z
      - .offset:         168
        .size:           8
        .value_kind:     hidden_global_offset_x
      - .offset:         176
        .size:           8
        .value_kind:     hidden_global_offset_y
      - .offset:         184
        .size:           8
        .value_kind:     hidden_global_offset_z
      - .offset:         192
        .size:           2
        .value_kind:     hidden_grid_dims
      - .offset:         248
        .size:           4
        .value_kind:     hidden_dynamic_lds_size
    .group_segment_fixed_size: 528
    .kernarg_segment_align: 8
    .kernarg_segment_size: 384
    .language:       OpenCL C
    .language_version:
      - 2
      - 0
    .max_flat_workgroup_size: 1024
    .name:           _ZN4vllm25paged_attention_v1_kernelIthLi256ELi16ELi128ELNS_18Fp8KVCacheDataTypeE1ELb0EEEvPT_PKS2_PKT0_S8_ifPKiSA_iPKfiiiSC_SC_iiiii
    .private_segment_fixed_size: 124
    .sgpr_count:     56
    .sgpr_spill_count: 0
    .symbol:         _ZN4vllm25paged_attention_v1_kernelIthLi256ELi16ELi128ELNS_18Fp8KVCacheDataTypeE1ELb0EEEvPT_PKS2_PKT0_S8_ifPKiSA_iPKfiiiSC_SC_iiiii.kd
    .uniform_work_group_size: 1
    .uses_dynamic_stack: false
    .vgpr_count:     64
    .vgpr_spill_count: 68
    .wavefront_size: 64
  - .args:
      - .actual_access:  write_only
        .address_space:  global
        .offset:         0
        .size:           8
        .value_kind:     global_buffer
      - .actual_access:  read_only
        .address_space:  global
        .offset:         8
        .size:           8
        .value_kind:     global_buffer
      - .actual_access:  read_only
        .address_space:  global
        .offset:         16
        .size:           8
        .value_kind:     global_buffer
      - .actual_access:  read_only
        .address_space:  global
        .offset:         24
        .size:           8
        .value_kind:     global_buffer
      - .offset:         32
        .size:           4
        .value_kind:     by_value
      - .offset:         36
        .size:           4
        .value_kind:     by_value
      - .actual_access:  read_only
        .address_space:  global
        .offset:         40
        .size:           8
        .value_kind:     global_buffer
      - .actual_access:  read_only
        .address_space:  global
        .offset:         48
        .size:           8
        .value_kind:     global_buffer
      - .offset:         56
        .size:           4
        .value_kind:     by_value
      - .actual_access:  read_only
        .address_space:  global
        .offset:         64
        .size:           8
        .value_kind:     global_buffer
      - .offset:         72
        .size:           4
        .value_kind:     by_value
      - .offset:         76
        .size:           4
        .value_kind:     by_value
      - .offset:         80
        .size:           4
        .value_kind:     by_value
      - .address_space:  global
        .offset:         88
        .size:           8
        .value_kind:     global_buffer
      - .address_space:  global
        .offset:         96
        .size:           8
        .value_kind:     global_buffer
      - .offset:         104
        .size:           4
        .value_kind:     by_value
      - .offset:         108
        .size:           4
        .value_kind:     by_value
      - .offset:         112
        .size:           4
        .value_kind:     by_value
      - .offset:         116
        .size:           4
        .value_kind:     by_value
      - .offset:         120
        .size:           4
        .value_kind:     by_value
      - .offset:         128
        .size:           4
        .value_kind:     hidden_block_count_x
      - .offset:         132
        .size:           4
        .value_kind:     hidden_block_count_y
      - .offset:         136
        .size:           4
        .value_kind:     hidden_block_count_z
      - .offset:         140
        .size:           2
        .value_kind:     hidden_group_size_x
      - .offset:         142
        .size:           2
        .value_kind:     hidden_group_size_y
      - .offset:         144
        .size:           2
        .value_kind:     hidden_group_size_z
      - .offset:         146
        .size:           2
        .value_kind:     hidden_remainder_x
      - .offset:         148
        .size:           2
        .value_kind:     hidden_remainder_y
      - .offset:         150
        .size:           2
        .value_kind:     hidden_remainder_z
      - .offset:         168
        .size:           8
        .value_kind:     hidden_global_offset_x
      - .offset:         176
        .size:           8
        .value_kind:     hidden_global_offset_y
      - .offset:         184
        .size:           8
        .value_kind:     hidden_global_offset_z
      - .offset:         192
        .size:           2
        .value_kind:     hidden_grid_dims
      - .offset:         248
        .size:           4
        .value_kind:     hidden_dynamic_lds_size
    .group_segment_fixed_size: 80
    .kernarg_segment_align: 8
    .kernarg_segment_size: 384
    .language:       OpenCL C
    .language_version:
      - 2
      - 0
    .max_flat_workgroup_size: 1024
    .name:           _ZN4vllm25paged_attention_v1_kernelIthLi32ELi32ELi128ELNS_18Fp8KVCacheDataTypeE1ELb1EEEvPT_PKS2_PKT0_S8_ifPKiSA_iPKfiiiSC_SC_iiiii
    .private_segment_fixed_size: 0
    .sgpr_count:     60
    .sgpr_spill_count: 0
    .symbol:         _ZN4vllm25paged_attention_v1_kernelIthLi32ELi32ELi128ELNS_18Fp8KVCacheDataTypeE1ELb1EEEvPT_PKS2_PKT0_S8_ifPKiSA_iPKfiiiSC_SC_iiiii.kd
    .uniform_work_group_size: 1
    .uses_dynamic_stack: false
    .vgpr_count:     48
    .vgpr_spill_count: 0
    .wavefront_size: 64
  - .args:
      - .actual_access:  write_only
        .address_space:  global
        .offset:         0
        .size:           8
        .value_kind:     global_buffer
      - .actual_access:  read_only
        .address_space:  global
        .offset:         8
        .size:           8
        .value_kind:     global_buffer
      - .actual_access:  read_only
        .address_space:  global
        .offset:         16
        .size:           8
        .value_kind:     global_buffer
      - .actual_access:  read_only
        .address_space:  global
        .offset:         24
        .size:           8
        .value_kind:     global_buffer
      - .offset:         32
        .size:           4
        .value_kind:     by_value
      - .offset:         36
        .size:           4
        .value_kind:     by_value
      - .actual_access:  read_only
        .address_space:  global
        .offset:         40
        .size:           8
        .value_kind:     global_buffer
      - .actual_access:  read_only
        .address_space:  global
        .offset:         48
        .size:           8
        .value_kind:     global_buffer
      - .offset:         56
        .size:           4
        .value_kind:     by_value
      - .actual_access:  read_only
        .address_space:  global
        .offset:         64
        .size:           8
        .value_kind:     global_buffer
      - .offset:         72
        .size:           4
        .value_kind:     by_value
      - .offset:         76
        .size:           4
        .value_kind:     by_value
      - .offset:         80
        .size:           4
        .value_kind:     by_value
      - .address_space:  global
        .offset:         88
        .size:           8
        .value_kind:     global_buffer
      - .address_space:  global
        .offset:         96
        .size:           8
        .value_kind:     global_buffer
      - .offset:         104
        .size:           4
        .value_kind:     by_value
      - .offset:         108
        .size:           4
        .value_kind:     by_value
      - .offset:         112
        .size:           4
        .value_kind:     by_value
      - .offset:         116
        .size:           4
        .value_kind:     by_value
      - .offset:         120
        .size:           4
        .value_kind:     by_value
      - .offset:         128
        .size:           4
        .value_kind:     hidden_block_count_x
      - .offset:         132
        .size:           4
        .value_kind:     hidden_block_count_y
      - .offset:         136
        .size:           4
        .value_kind:     hidden_block_count_z
      - .offset:         140
        .size:           2
        .value_kind:     hidden_group_size_x
      - .offset:         142
        .size:           2
        .value_kind:     hidden_group_size_y
      - .offset:         144
        .size:           2
        .value_kind:     hidden_group_size_z
      - .offset:         146
        .size:           2
        .value_kind:     hidden_remainder_x
      - .offset:         148
        .size:           2
        .value_kind:     hidden_remainder_y
      - .offset:         150
        .size:           2
        .value_kind:     hidden_remainder_z
      - .offset:         168
        .size:           8
        .value_kind:     hidden_global_offset_x
      - .offset:         176
        .size:           8
        .value_kind:     hidden_global_offset_y
      - .offset:         184
        .size:           8
        .value_kind:     hidden_global_offset_z
      - .offset:         192
        .size:           2
        .value_kind:     hidden_grid_dims
      - .offset:         248
        .size:           4
        .value_kind:     hidden_dynamic_lds_size
    .group_segment_fixed_size: 144
    .kernarg_segment_align: 8
    .kernarg_segment_size: 384
    .language:       OpenCL C
    .language_version:
      - 2
      - 0
    .max_flat_workgroup_size: 1024
    .name:           _ZN4vllm25paged_attention_v1_kernelIthLi64ELi32ELi128ELNS_18Fp8KVCacheDataTypeE1ELb1EEEvPT_PKS2_PKT0_S8_ifPKiSA_iPKfiiiSC_SC_iiiii
    .private_segment_fixed_size: 0
    .sgpr_count:     60
    .sgpr_spill_count: 0
    .symbol:         _ZN4vllm25paged_attention_v1_kernelIthLi64ELi32ELi128ELNS_18Fp8KVCacheDataTypeE1ELb1EEEvPT_PKS2_PKT0_S8_ifPKiSA_iPKfiiiSC_SC_iiiii.kd
    .uniform_work_group_size: 1
    .uses_dynamic_stack: false
    .vgpr_count:     64
    .vgpr_spill_count: 0
    .wavefront_size: 64
  - .args:
      - .actual_access:  write_only
        .address_space:  global
        .offset:         0
        .size:           8
        .value_kind:     global_buffer
      - .actual_access:  read_only
        .address_space:  global
        .offset:         8
        .size:           8
        .value_kind:     global_buffer
      - .actual_access:  read_only
        .address_space:  global
        .offset:         16
        .size:           8
        .value_kind:     global_buffer
      - .actual_access:  read_only
        .address_space:  global
        .offset:         24
        .size:           8
        .value_kind:     global_buffer
      - .offset:         32
        .size:           4
        .value_kind:     by_value
      - .offset:         36
        .size:           4
        .value_kind:     by_value
      - .actual_access:  read_only
        .address_space:  global
        .offset:         40
        .size:           8
        .value_kind:     global_buffer
      - .actual_access:  read_only
        .address_space:  global
        .offset:         48
        .size:           8
        .value_kind:     global_buffer
      - .offset:         56
        .size:           4
        .value_kind:     by_value
      - .actual_access:  read_only
        .address_space:  global
        .offset:         64
        .size:           8
        .value_kind:     global_buffer
      - .offset:         72
        .size:           4
        .value_kind:     by_value
      - .offset:         76
        .size:           4
        .value_kind:     by_value
      - .offset:         80
        .size:           4
        .value_kind:     by_value
      - .address_space:  global
        .offset:         88
        .size:           8
        .value_kind:     global_buffer
      - .address_space:  global
        .offset:         96
        .size:           8
        .value_kind:     global_buffer
      - .offset:         104
        .size:           4
        .value_kind:     by_value
      - .offset:         108
        .size:           4
        .value_kind:     by_value
      - .offset:         112
        .size:           4
        .value_kind:     by_value
      - .offset:         116
        .size:           4
        .value_kind:     by_value
      - .offset:         120
        .size:           4
        .value_kind:     by_value
      - .offset:         128
        .size:           4
        .value_kind:     hidden_block_count_x
      - .offset:         132
        .size:           4
        .value_kind:     hidden_block_count_y
      - .offset:         136
        .size:           4
        .value_kind:     hidden_block_count_z
      - .offset:         140
        .size:           2
        .value_kind:     hidden_group_size_x
      - .offset:         142
        .size:           2
        .value_kind:     hidden_group_size_y
      - .offset:         144
        .size:           2
        .value_kind:     hidden_group_size_z
      - .offset:         146
        .size:           2
        .value_kind:     hidden_remainder_x
      - .offset:         148
        .size:           2
        .value_kind:     hidden_remainder_y
      - .offset:         150
        .size:           2
        .value_kind:     hidden_remainder_z
      - .offset:         168
        .size:           8
        .value_kind:     hidden_global_offset_x
      - .offset:         176
        .size:           8
        .value_kind:     hidden_global_offset_y
      - .offset:         184
        .size:           8
        .value_kind:     hidden_global_offset_z
      - .offset:         192
        .size:           2
        .value_kind:     hidden_grid_dims
      - .offset:         248
        .size:           4
        .value_kind:     hidden_dynamic_lds_size
    .group_segment_fixed_size: 176
    .kernarg_segment_align: 8
    .kernarg_segment_size: 384
    .language:       OpenCL C
    .language_version:
      - 2
      - 0
    .max_flat_workgroup_size: 1024
    .name:           _ZN4vllm25paged_attention_v1_kernelIthLi80ELi32ELi128ELNS_18Fp8KVCacheDataTypeE1ELb1EEEvPT_PKS2_PKT0_S8_ifPKiSA_iPKfiiiSC_SC_iiiii
    .private_segment_fixed_size: 16
    .sgpr_count:     64
    .sgpr_spill_count: 0
    .symbol:         _ZN4vllm25paged_attention_v1_kernelIthLi80ELi32ELi128ELNS_18Fp8KVCacheDataTypeE1ELb1EEEvPT_PKS2_PKT0_S8_ifPKiSA_iPKfiiiSC_SC_iiiii.kd
    .uniform_work_group_size: 1
    .uses_dynamic_stack: false
    .vgpr_count:     64
    .vgpr_spill_count: 3
    .wavefront_size: 64
  - .args:
      - .actual_access:  write_only
        .address_space:  global
        .offset:         0
        .size:           8
        .value_kind:     global_buffer
      - .actual_access:  read_only
        .address_space:  global
        .offset:         8
        .size:           8
        .value_kind:     global_buffer
      - .actual_access:  read_only
        .address_space:  global
        .offset:         16
        .size:           8
        .value_kind:     global_buffer
      - .actual_access:  read_only
        .address_space:  global
        .offset:         24
        .size:           8
        .value_kind:     global_buffer
      - .offset:         32
        .size:           4
        .value_kind:     by_value
      - .offset:         36
        .size:           4
        .value_kind:     by_value
      - .actual_access:  read_only
        .address_space:  global
        .offset:         40
        .size:           8
        .value_kind:     global_buffer
      - .actual_access:  read_only
        .address_space:  global
        .offset:         48
        .size:           8
        .value_kind:     global_buffer
      - .offset:         56
        .size:           4
        .value_kind:     by_value
      - .actual_access:  read_only
        .address_space:  global
        .offset:         64
        .size:           8
        .value_kind:     global_buffer
      - .offset:         72
        .size:           4
        .value_kind:     by_value
      - .offset:         76
        .size:           4
        .value_kind:     by_value
      - .offset:         80
        .size:           4
        .value_kind:     by_value
      - .address_space:  global
        .offset:         88
        .size:           8
        .value_kind:     global_buffer
      - .address_space:  global
        .offset:         96
        .size:           8
        .value_kind:     global_buffer
      - .offset:         104
        .size:           4
        .value_kind:     by_value
      - .offset:         108
        .size:           4
        .value_kind:     by_value
      - .offset:         112
        .size:           4
        .value_kind:     by_value
      - .offset:         116
        .size:           4
        .value_kind:     by_value
      - .offset:         120
        .size:           4
        .value_kind:     by_value
      - .offset:         128
        .size:           4
        .value_kind:     hidden_block_count_x
      - .offset:         132
        .size:           4
        .value_kind:     hidden_block_count_y
      - .offset:         136
        .size:           4
        .value_kind:     hidden_block_count_z
      - .offset:         140
        .size:           2
        .value_kind:     hidden_group_size_x
      - .offset:         142
        .size:           2
        .value_kind:     hidden_group_size_y
      - .offset:         144
        .size:           2
        .value_kind:     hidden_group_size_z
      - .offset:         146
        .size:           2
        .value_kind:     hidden_remainder_x
      - .offset:         148
        .size:           2
        .value_kind:     hidden_remainder_y
      - .offset:         150
        .size:           2
        .value_kind:     hidden_remainder_z
      - .offset:         168
        .size:           8
        .value_kind:     hidden_global_offset_x
      - .offset:         176
        .size:           8
        .value_kind:     hidden_global_offset_y
      - .offset:         184
        .size:           8
        .value_kind:     hidden_global_offset_z
      - .offset:         192
        .size:           2
        .value_kind:     hidden_grid_dims
      - .offset:         248
        .size:           4
        .value_kind:     hidden_dynamic_lds_size
    .group_segment_fixed_size: 208
    .kernarg_segment_align: 8
    .kernarg_segment_size: 384
    .language:       OpenCL C
    .language_version:
      - 2
      - 0
    .max_flat_workgroup_size: 1024
    .name:           _ZN4vllm25paged_attention_v1_kernelIthLi96ELi32ELi128ELNS_18Fp8KVCacheDataTypeE1ELb1EEEvPT_PKS2_PKT0_S8_ifPKiSA_iPKfiiiSC_SC_iiiii
    .private_segment_fixed_size: 60
    .sgpr_count:     64
    .sgpr_spill_count: 0
    .symbol:         _ZN4vllm25paged_attention_v1_kernelIthLi96ELi32ELi128ELNS_18Fp8KVCacheDataTypeE1ELb1EEEvPT_PKS2_PKT0_S8_ifPKiSA_iPKfiiiSC_SC_iiiii.kd
    .uniform_work_group_size: 1
    .uses_dynamic_stack: false
    .vgpr_count:     64
    .vgpr_spill_count: 16
    .wavefront_size: 64
  - .args:
      - .actual_access:  write_only
        .address_space:  global
        .offset:         0
        .size:           8
        .value_kind:     global_buffer
      - .actual_access:  read_only
        .address_space:  global
        .offset:         8
        .size:           8
        .value_kind:     global_buffer
      - .actual_access:  read_only
        .address_space:  global
        .offset:         16
        .size:           8
        .value_kind:     global_buffer
      - .actual_access:  read_only
        .address_space:  global
        .offset:         24
        .size:           8
        .value_kind:     global_buffer
      - .offset:         32
        .size:           4
        .value_kind:     by_value
      - .offset:         36
        .size:           4
        .value_kind:     by_value
      - .actual_access:  read_only
        .address_space:  global
        .offset:         40
        .size:           8
        .value_kind:     global_buffer
      - .actual_access:  read_only
        .address_space:  global
        .offset:         48
        .size:           8
        .value_kind:     global_buffer
      - .offset:         56
        .size:           4
        .value_kind:     by_value
      - .actual_access:  read_only
        .address_space:  global
        .offset:         64
        .size:           8
        .value_kind:     global_buffer
      - .offset:         72
        .size:           4
        .value_kind:     by_value
      - .offset:         76
        .size:           4
        .value_kind:     by_value
      - .offset:         80
        .size:           4
        .value_kind:     by_value
      - .address_space:  global
        .offset:         88
        .size:           8
        .value_kind:     global_buffer
      - .address_space:  global
        .offset:         96
        .size:           8
        .value_kind:     global_buffer
      - .offset:         104
        .size:           4
        .value_kind:     by_value
      - .offset:         108
        .size:           4
        .value_kind:     by_value
      - .offset:         112
        .size:           4
        .value_kind:     by_value
      - .offset:         116
        .size:           4
        .value_kind:     by_value
      - .offset:         120
        .size:           4
        .value_kind:     by_value
      - .offset:         128
        .size:           4
        .value_kind:     hidden_block_count_x
      - .offset:         132
        .size:           4
        .value_kind:     hidden_block_count_y
      - .offset:         136
        .size:           4
        .value_kind:     hidden_block_count_z
      - .offset:         140
        .size:           2
        .value_kind:     hidden_group_size_x
      - .offset:         142
        .size:           2
        .value_kind:     hidden_group_size_y
      - .offset:         144
        .size:           2
        .value_kind:     hidden_group_size_z
      - .offset:         146
        .size:           2
        .value_kind:     hidden_remainder_x
      - .offset:         148
        .size:           2
        .value_kind:     hidden_remainder_y
      - .offset:         150
        .size:           2
        .value_kind:     hidden_remainder_z
      - .offset:         168
        .size:           8
        .value_kind:     hidden_global_offset_x
      - .offset:         176
        .size:           8
        .value_kind:     hidden_global_offset_y
      - .offset:         184
        .size:           8
        .value_kind:     hidden_global_offset_z
      - .offset:         192
        .size:           2
        .value_kind:     hidden_grid_dims
      - .offset:         248
        .size:           4
        .value_kind:     hidden_dynamic_lds_size
    .group_segment_fixed_size: 240
    .kernarg_segment_align: 8
    .kernarg_segment_size: 384
    .language:       OpenCL C
    .language_version:
      - 2
      - 0
    .max_flat_workgroup_size: 1024
    .name:           _ZN4vllm25paged_attention_v1_kernelIthLi112ELi32ELi128ELNS_18Fp8KVCacheDataTypeE1ELb1EEEvPT_PKS2_PKT0_S8_ifPKiSA_iPKfiiiSC_SC_iiiii
    .private_segment_fixed_size: 112
    .sgpr_count:     64
    .sgpr_spill_count: 0
    .symbol:         _ZN4vllm25paged_attention_v1_kernelIthLi112ELi32ELi128ELNS_18Fp8KVCacheDataTypeE1ELb1EEEvPT_PKS2_PKT0_S8_ifPKiSA_iPKfiiiSC_SC_iiiii.kd
    .uniform_work_group_size: 1
    .uses_dynamic_stack: false
    .vgpr_count:     64
    .vgpr_spill_count: 45
    .wavefront_size: 64
  - .args:
      - .actual_access:  write_only
        .address_space:  global
        .offset:         0
        .size:           8
        .value_kind:     global_buffer
      - .actual_access:  read_only
        .address_space:  global
        .offset:         8
        .size:           8
        .value_kind:     global_buffer
      - .actual_access:  read_only
        .address_space:  global
        .offset:         16
        .size:           8
        .value_kind:     global_buffer
      - .actual_access:  read_only
        .address_space:  global
        .offset:         24
        .size:           8
        .value_kind:     global_buffer
      - .offset:         32
        .size:           4
        .value_kind:     by_value
      - .offset:         36
        .size:           4
        .value_kind:     by_value
      - .actual_access:  read_only
        .address_space:  global
        .offset:         40
        .size:           8
        .value_kind:     global_buffer
      - .actual_access:  read_only
        .address_space:  global
        .offset:         48
        .size:           8
        .value_kind:     global_buffer
      - .offset:         56
        .size:           4
        .value_kind:     by_value
      - .actual_access:  read_only
        .address_space:  global
        .offset:         64
        .size:           8
        .value_kind:     global_buffer
      - .offset:         72
        .size:           4
        .value_kind:     by_value
      - .offset:         76
        .size:           4
        .value_kind:     by_value
      - .offset:         80
        .size:           4
        .value_kind:     by_value
      - .address_space:  global
        .offset:         88
        .size:           8
        .value_kind:     global_buffer
      - .address_space:  global
        .offset:         96
        .size:           8
        .value_kind:     global_buffer
      - .offset:         104
        .size:           4
        .value_kind:     by_value
      - .offset:         108
        .size:           4
        .value_kind:     by_value
      - .offset:         112
        .size:           4
        .value_kind:     by_value
      - .offset:         116
        .size:           4
        .value_kind:     by_value
      - .offset:         120
        .size:           4
        .value_kind:     by_value
      - .offset:         128
        .size:           4
        .value_kind:     hidden_block_count_x
      - .offset:         132
        .size:           4
        .value_kind:     hidden_block_count_y
      - .offset:         136
        .size:           4
        .value_kind:     hidden_block_count_z
      - .offset:         140
        .size:           2
        .value_kind:     hidden_group_size_x
      - .offset:         142
        .size:           2
        .value_kind:     hidden_group_size_y
      - .offset:         144
        .size:           2
        .value_kind:     hidden_group_size_z
      - .offset:         146
        .size:           2
        .value_kind:     hidden_remainder_x
      - .offset:         148
        .size:           2
        .value_kind:     hidden_remainder_y
      - .offset:         150
        .size:           2
        .value_kind:     hidden_remainder_z
      - .offset:         168
        .size:           8
        .value_kind:     hidden_global_offset_x
      - .offset:         176
        .size:           8
        .value_kind:     hidden_global_offset_y
      - .offset:         184
        .size:           8
        .value_kind:     hidden_global_offset_z
      - .offset:         192
        .size:           2
        .value_kind:     hidden_grid_dims
      - .offset:         248
        .size:           4
        .value_kind:     hidden_dynamic_lds_size
    .group_segment_fixed_size: 256
    .kernarg_segment_align: 8
    .kernarg_segment_size: 384
    .language:       OpenCL C
    .language_version:
      - 2
      - 0
    .max_flat_workgroup_size: 1024
    .name:           _ZN4vllm25paged_attention_v1_kernelIthLi120ELi32ELi128ELNS_18Fp8KVCacheDataTypeE1ELb1EEEvPT_PKS2_PKT0_S8_ifPKiSA_iPKfiiiSC_SC_iiiii
    .private_segment_fixed_size: 136
    .sgpr_count:     64
    .sgpr_spill_count: 0
    .symbol:         _ZN4vllm25paged_attention_v1_kernelIthLi120ELi32ELi128ELNS_18Fp8KVCacheDataTypeE1ELb1EEEvPT_PKS2_PKT0_S8_ifPKiSA_iPKfiiiSC_SC_iiiii.kd
    .uniform_work_group_size: 1
    .uses_dynamic_stack: false
    .vgpr_count:     64
    .vgpr_spill_count: 68
    .wavefront_size: 64
  - .args:
      - .actual_access:  write_only
        .address_space:  global
        .offset:         0
        .size:           8
        .value_kind:     global_buffer
      - .actual_access:  read_only
        .address_space:  global
        .offset:         8
        .size:           8
        .value_kind:     global_buffer
      - .actual_access:  read_only
        .address_space:  global
        .offset:         16
        .size:           8
        .value_kind:     global_buffer
      - .actual_access:  read_only
        .address_space:  global
        .offset:         24
        .size:           8
        .value_kind:     global_buffer
      - .offset:         32
        .size:           4
        .value_kind:     by_value
      - .offset:         36
        .size:           4
        .value_kind:     by_value
      - .actual_access:  read_only
        .address_space:  global
        .offset:         40
        .size:           8
        .value_kind:     global_buffer
      - .actual_access:  read_only
        .address_space:  global
        .offset:         48
        .size:           8
        .value_kind:     global_buffer
      - .offset:         56
        .size:           4
        .value_kind:     by_value
      - .actual_access:  read_only
        .address_space:  global
        .offset:         64
        .size:           8
        .value_kind:     global_buffer
      - .offset:         72
        .size:           4
        .value_kind:     by_value
      - .offset:         76
        .size:           4
        .value_kind:     by_value
      - .offset:         80
        .size:           4
        .value_kind:     by_value
      - .address_space:  global
        .offset:         88
        .size:           8
        .value_kind:     global_buffer
      - .address_space:  global
        .offset:         96
        .size:           8
        .value_kind:     global_buffer
      - .offset:         104
        .size:           4
        .value_kind:     by_value
      - .offset:         108
        .size:           4
        .value_kind:     by_value
      - .offset:         112
        .size:           4
        .value_kind:     by_value
      - .offset:         116
        .size:           4
        .value_kind:     by_value
      - .offset:         120
        .size:           4
        .value_kind:     by_value
      - .offset:         128
        .size:           4
        .value_kind:     hidden_block_count_x
      - .offset:         132
        .size:           4
        .value_kind:     hidden_block_count_y
      - .offset:         136
        .size:           4
        .value_kind:     hidden_block_count_z
      - .offset:         140
        .size:           2
        .value_kind:     hidden_group_size_x
      - .offset:         142
        .size:           2
        .value_kind:     hidden_group_size_y
      - .offset:         144
        .size:           2
        .value_kind:     hidden_group_size_z
      - .offset:         146
        .size:           2
        .value_kind:     hidden_remainder_x
      - .offset:         148
        .size:           2
        .value_kind:     hidden_remainder_y
      - .offset:         150
        .size:           2
        .value_kind:     hidden_remainder_z
      - .offset:         168
        .size:           8
        .value_kind:     hidden_global_offset_x
      - .offset:         176
        .size:           8
        .value_kind:     hidden_global_offset_y
      - .offset:         184
        .size:           8
        .value_kind:     hidden_global_offset_z
      - .offset:         192
        .size:           2
        .value_kind:     hidden_grid_dims
      - .offset:         248
        .size:           4
        .value_kind:     hidden_dynamic_lds_size
    .group_segment_fixed_size: 272
    .kernarg_segment_align: 8
    .kernarg_segment_size: 384
    .language:       OpenCL C
    .language_version:
      - 2
      - 0
    .max_flat_workgroup_size: 1024
    .name:           _ZN4vllm25paged_attention_v1_kernelIthLi128ELi32ELi128ELNS_18Fp8KVCacheDataTypeE1ELb1EEEvPT_PKS2_PKT0_S8_ifPKiSA_iPKfiiiSC_SC_iiiii
    .private_segment_fixed_size: 200
    .sgpr_count:     64
    .sgpr_spill_count: 0
    .symbol:         _ZN4vllm25paged_attention_v1_kernelIthLi128ELi32ELi128ELNS_18Fp8KVCacheDataTypeE1ELb1EEEvPT_PKS2_PKT0_S8_ifPKiSA_iPKfiiiSC_SC_iiiii.kd
    .uniform_work_group_size: 1
    .uses_dynamic_stack: false
    .vgpr_count:     64
    .vgpr_spill_count: 95
    .wavefront_size: 64
  - .args:
      - .actual_access:  write_only
        .address_space:  global
        .offset:         0
        .size:           8
        .value_kind:     global_buffer
      - .actual_access:  read_only
        .address_space:  global
        .offset:         8
        .size:           8
        .value_kind:     global_buffer
      - .actual_access:  read_only
        .address_space:  global
        .offset:         16
        .size:           8
        .value_kind:     global_buffer
      - .actual_access:  read_only
        .address_space:  global
        .offset:         24
        .size:           8
        .value_kind:     global_buffer
      - .offset:         32
        .size:           4
        .value_kind:     by_value
      - .offset:         36
        .size:           4
        .value_kind:     by_value
      - .actual_access:  read_only
        .address_space:  global
        .offset:         40
        .size:           8
        .value_kind:     global_buffer
      - .actual_access:  read_only
        .address_space:  global
        .offset:         48
        .size:           8
        .value_kind:     global_buffer
      - .offset:         56
        .size:           4
        .value_kind:     by_value
      - .actual_access:  read_only
        .address_space:  global
        .offset:         64
        .size:           8
        .value_kind:     global_buffer
      - .offset:         72
        .size:           4
        .value_kind:     by_value
      - .offset:         76
        .size:           4
        .value_kind:     by_value
      - .offset:         80
        .size:           4
        .value_kind:     by_value
      - .address_space:  global
        .offset:         88
        .size:           8
        .value_kind:     global_buffer
      - .address_space:  global
        .offset:         96
        .size:           8
        .value_kind:     global_buffer
      - .offset:         104
        .size:           4
        .value_kind:     by_value
      - .offset:         108
        .size:           4
        .value_kind:     by_value
      - .offset:         112
        .size:           4
        .value_kind:     by_value
      - .offset:         116
        .size:           4
        .value_kind:     by_value
      - .offset:         120
        .size:           4
        .value_kind:     by_value
      - .offset:         128
        .size:           4
        .value_kind:     hidden_block_count_x
      - .offset:         132
        .size:           4
        .value_kind:     hidden_block_count_y
      - .offset:         136
        .size:           4
        .value_kind:     hidden_block_count_z
      - .offset:         140
        .size:           2
        .value_kind:     hidden_group_size_x
      - .offset:         142
        .size:           2
        .value_kind:     hidden_group_size_y
      - .offset:         144
        .size:           2
        .value_kind:     hidden_group_size_z
      - .offset:         146
        .size:           2
        .value_kind:     hidden_remainder_x
      - .offset:         148
        .size:           2
        .value_kind:     hidden_remainder_y
      - .offset:         150
        .size:           2
        .value_kind:     hidden_remainder_z
      - .offset:         168
        .size:           8
        .value_kind:     hidden_global_offset_x
      - .offset:         176
        .size:           8
        .value_kind:     hidden_global_offset_y
      - .offset:         184
        .size:           8
        .value_kind:     hidden_global_offset_z
      - .offset:         192
        .size:           2
        .value_kind:     hidden_grid_dims
      - .offset:         248
        .size:           4
        .value_kind:     hidden_dynamic_lds_size
    .group_segment_fixed_size: 400
    .kernarg_segment_align: 8
    .kernarg_segment_size: 384
    .language:       OpenCL C
    .language_version:
      - 2
      - 0
    .max_flat_workgroup_size: 1024
    .name:           _ZN4vllm25paged_attention_v1_kernelIthLi192ELi32ELi128ELNS_18Fp8KVCacheDataTypeE1ELb1EEEvPT_PKS2_PKT0_S8_ifPKiSA_iPKfiiiSC_SC_iiiii
    .private_segment_fixed_size: 412
    .sgpr_count:     64
    .sgpr_spill_count: 0
    .symbol:         _ZN4vllm25paged_attention_v1_kernelIthLi192ELi32ELi128ELNS_18Fp8KVCacheDataTypeE1ELb1EEEvPT_PKS2_PKT0_S8_ifPKiSA_iPKfiiiSC_SC_iiiii.kd
    .uniform_work_group_size: 1
    .uses_dynamic_stack: false
    .vgpr_count:     64
    .vgpr_spill_count: 255
    .wavefront_size: 64
  - .args:
      - .address_space:  global
        .offset:         0
        .size:           8
        .value_kind:     global_buffer
      - .address_space:  global
        .offset:         8
        .size:           8
        .value_kind:     global_buffer
      - .address_space:  global
        .offset:         16
        .size:           8
        .value_kind:     global_buffer
      - .address_space:  global
        .offset:         24
        .size:           8
        .value_kind:     global_buffer
      - .offset:         32
        .size:           4
        .value_kind:     by_value
      - .offset:         36
        .size:           4
        .value_kind:     by_value
      - .address_space:  global
        .offset:         40
        .size:           8
        .value_kind:     global_buffer
      - .address_space:  global
        .offset:         48
        .size:           8
        .value_kind:     global_buffer
      - .offset:         56
        .size:           4
        .value_kind:     by_value
      - .address_space:  global
        .offset:         64
        .size:           8
        .value_kind:     global_buffer
      - .offset:         72
        .size:           4
        .value_kind:     by_value
      - .offset:         76
        .size:           4
        .value_kind:     by_value
      - .offset:         80
        .size:           4
        .value_kind:     by_value
      - .address_space:  global
        .offset:         88
        .size:           8
        .value_kind:     global_buffer
      - .address_space:  global
        .offset:         96
        .size:           8
        .value_kind:     global_buffer
      - .offset:         104
        .size:           4
        .value_kind:     by_value
      - .offset:         108
        .size:           4
        .value_kind:     by_value
      - .offset:         112
        .size:           4
        .value_kind:     by_value
      - .offset:         116
        .size:           4
        .value_kind:     by_value
      - .offset:         120
        .size:           4
        .value_kind:     by_value
      - .offset:         128
        .size:           4
        .value_kind:     hidden_block_count_x
      - .offset:         132
        .size:           4
        .value_kind:     hidden_block_count_y
      - .offset:         136
        .size:           4
        .value_kind:     hidden_block_count_z
      - .offset:         140
        .size:           2
        .value_kind:     hidden_group_size_x
      - .offset:         142
        .size:           2
        .value_kind:     hidden_group_size_y
      - .offset:         144
        .size:           2
        .value_kind:     hidden_group_size_z
      - .offset:         146
        .size:           2
        .value_kind:     hidden_remainder_x
      - .offset:         148
        .size:           2
        .value_kind:     hidden_remainder_y
      - .offset:         150
        .size:           2
        .value_kind:     hidden_remainder_z
      - .offset:         168
        .size:           8
        .value_kind:     hidden_global_offset_x
      - .offset:         176
        .size:           8
        .value_kind:     hidden_global_offset_y
      - .offset:         184
        .size:           8
        .value_kind:     hidden_global_offset_z
      - .offset:         192
        .size:           2
        .value_kind:     hidden_grid_dims
      - .offset:         248
        .size:           4
        .value_kind:     hidden_dynamic_lds_size
    .group_segment_fixed_size: 528
    .kernarg_segment_align: 8
    .kernarg_segment_size: 384
    .language:       OpenCL C
    .language_version:
      - 2
      - 0
    .max_flat_workgroup_size: 1024
    .name:           _ZN4vllm25paged_attention_v1_kernelIthLi256ELi32ELi128ELNS_18Fp8KVCacheDataTypeE1ELb1EEEvPT_PKS2_PKT0_S8_ifPKiSA_iPKfiiiSC_SC_iiiii
    .private_segment_fixed_size: 736
    .sgpr_count:     52
    .sgpr_spill_count: 0
    .symbol:         _ZN4vllm25paged_attention_v1_kernelIthLi256ELi32ELi128ELNS_18Fp8KVCacheDataTypeE1ELb1EEEvPT_PKS2_PKT0_S8_ifPKiSA_iPKfiiiSC_SC_iiiii.kd
    .uniform_work_group_size: 1
    .uses_dynamic_stack: false
    .vgpr_count:     64
    .vgpr_spill_count: 0
    .wavefront_size: 64
  - .args:
      - .actual_access:  write_only
        .address_space:  global
        .offset:         0
        .size:           8
        .value_kind:     global_buffer
      - .actual_access:  read_only
        .address_space:  global
        .offset:         8
        .size:           8
        .value_kind:     global_buffer
      - .actual_access:  read_only
        .address_space:  global
        .offset:         16
        .size:           8
        .value_kind:     global_buffer
      - .actual_access:  read_only
        .address_space:  global
        .offset:         24
        .size:           8
        .value_kind:     global_buffer
      - .offset:         32
        .size:           4
        .value_kind:     by_value
      - .offset:         36
        .size:           4
        .value_kind:     by_value
      - .actual_access:  read_only
        .address_space:  global
        .offset:         40
        .size:           8
        .value_kind:     global_buffer
      - .actual_access:  read_only
        .address_space:  global
        .offset:         48
        .size:           8
        .value_kind:     global_buffer
      - .offset:         56
        .size:           4
        .value_kind:     by_value
      - .actual_access:  read_only
        .address_space:  global
        .offset:         64
        .size:           8
        .value_kind:     global_buffer
      - .offset:         72
        .size:           4
        .value_kind:     by_value
      - .offset:         76
        .size:           4
        .value_kind:     by_value
      - .offset:         80
        .size:           4
        .value_kind:     by_value
      - .address_space:  global
        .offset:         88
        .size:           8
        .value_kind:     global_buffer
      - .address_space:  global
        .offset:         96
        .size:           8
        .value_kind:     global_buffer
      - .offset:         104
        .size:           4
        .value_kind:     by_value
      - .offset:         108
        .size:           4
        .value_kind:     by_value
      - .offset:         112
        .size:           4
        .value_kind:     by_value
      - .offset:         116
        .size:           4
        .value_kind:     by_value
      - .offset:         120
        .size:           4
        .value_kind:     by_value
      - .offset:         128
        .size:           4
        .value_kind:     hidden_block_count_x
      - .offset:         132
        .size:           4
        .value_kind:     hidden_block_count_y
      - .offset:         136
        .size:           4
        .value_kind:     hidden_block_count_z
      - .offset:         140
        .size:           2
        .value_kind:     hidden_group_size_x
      - .offset:         142
        .size:           2
        .value_kind:     hidden_group_size_y
      - .offset:         144
        .size:           2
        .value_kind:     hidden_group_size_z
      - .offset:         146
        .size:           2
        .value_kind:     hidden_remainder_x
      - .offset:         148
        .size:           2
        .value_kind:     hidden_remainder_y
      - .offset:         150
        .size:           2
        .value_kind:     hidden_remainder_z
      - .offset:         168
        .size:           8
        .value_kind:     hidden_global_offset_x
      - .offset:         176
        .size:           8
        .value_kind:     hidden_global_offset_y
      - .offset:         184
        .size:           8
        .value_kind:     hidden_global_offset_z
      - .offset:         192
        .size:           2
        .value_kind:     hidden_grid_dims
      - .offset:         248
        .size:           4
        .value_kind:     hidden_dynamic_lds_size
    .group_segment_fixed_size: 80
    .kernarg_segment_align: 8
    .kernarg_segment_size: 384
    .language:       OpenCL C
    .language_version:
      - 2
      - 0
    .max_flat_workgroup_size: 1024
    .name:           _ZN4vllm25paged_attention_v1_kernelIthLi32ELi32ELi128ELNS_18Fp8KVCacheDataTypeE1ELb0EEEvPT_PKS2_PKT0_S8_ifPKiSA_iPKfiiiSC_SC_iiiii
    .private_segment_fixed_size: 0
    .sgpr_count:     50
    .sgpr_spill_count: 0
    .symbol:         _ZN4vllm25paged_attention_v1_kernelIthLi32ELi32ELi128ELNS_18Fp8KVCacheDataTypeE1ELb0EEEvPT_PKS2_PKT0_S8_ifPKiSA_iPKfiiiSC_SC_iiiii.kd
    .uniform_work_group_size: 1
    .uses_dynamic_stack: false
    .vgpr_count:     45
    .vgpr_spill_count: 0
    .wavefront_size: 64
  - .args:
      - .actual_access:  write_only
        .address_space:  global
        .offset:         0
        .size:           8
        .value_kind:     global_buffer
      - .actual_access:  read_only
        .address_space:  global
        .offset:         8
        .size:           8
        .value_kind:     global_buffer
      - .actual_access:  read_only
        .address_space:  global
        .offset:         16
        .size:           8
        .value_kind:     global_buffer
      - .actual_access:  read_only
        .address_space:  global
        .offset:         24
        .size:           8
        .value_kind:     global_buffer
      - .offset:         32
        .size:           4
        .value_kind:     by_value
      - .offset:         36
        .size:           4
        .value_kind:     by_value
      - .actual_access:  read_only
        .address_space:  global
        .offset:         40
        .size:           8
        .value_kind:     global_buffer
      - .actual_access:  read_only
        .address_space:  global
        .offset:         48
        .size:           8
        .value_kind:     global_buffer
      - .offset:         56
        .size:           4
        .value_kind:     by_value
      - .actual_access:  read_only
        .address_space:  global
        .offset:         64
        .size:           8
        .value_kind:     global_buffer
      - .offset:         72
        .size:           4
        .value_kind:     by_value
      - .offset:         76
        .size:           4
        .value_kind:     by_value
      - .offset:         80
        .size:           4
        .value_kind:     by_value
      - .address_space:  global
        .offset:         88
        .size:           8
        .value_kind:     global_buffer
      - .address_space:  global
        .offset:         96
        .size:           8
        .value_kind:     global_buffer
      - .offset:         104
        .size:           4
        .value_kind:     by_value
      - .offset:         108
        .size:           4
        .value_kind:     by_value
      - .offset:         112
        .size:           4
        .value_kind:     by_value
      - .offset:         116
        .size:           4
        .value_kind:     by_value
      - .offset:         120
        .size:           4
        .value_kind:     by_value
      - .offset:         128
        .size:           4
        .value_kind:     hidden_block_count_x
      - .offset:         132
        .size:           4
        .value_kind:     hidden_block_count_y
      - .offset:         136
        .size:           4
        .value_kind:     hidden_block_count_z
      - .offset:         140
        .size:           2
        .value_kind:     hidden_group_size_x
      - .offset:         142
        .size:           2
        .value_kind:     hidden_group_size_y
      - .offset:         144
        .size:           2
        .value_kind:     hidden_group_size_z
      - .offset:         146
        .size:           2
        .value_kind:     hidden_remainder_x
      - .offset:         148
        .size:           2
        .value_kind:     hidden_remainder_y
      - .offset:         150
        .size:           2
        .value_kind:     hidden_remainder_z
      - .offset:         168
        .size:           8
        .value_kind:     hidden_global_offset_x
      - .offset:         176
        .size:           8
        .value_kind:     hidden_global_offset_y
      - .offset:         184
        .size:           8
        .value_kind:     hidden_global_offset_z
      - .offset:         192
        .size:           2
        .value_kind:     hidden_grid_dims
      - .offset:         248
        .size:           4
        .value_kind:     hidden_dynamic_lds_size
    .group_segment_fixed_size: 144
    .kernarg_segment_align: 8
    .kernarg_segment_size: 384
    .language:       OpenCL C
    .language_version:
      - 2
      - 0
    .max_flat_workgroup_size: 1024
    .name:           _ZN4vllm25paged_attention_v1_kernelIthLi64ELi32ELi128ELNS_18Fp8KVCacheDataTypeE1ELb0EEEvPT_PKS2_PKT0_S8_ifPKiSA_iPKfiiiSC_SC_iiiii
    .private_segment_fixed_size: 0
    .sgpr_count:     50
    .sgpr_spill_count: 0
    .symbol:         _ZN4vllm25paged_attention_v1_kernelIthLi64ELi32ELi128ELNS_18Fp8KVCacheDataTypeE1ELb0EEEvPT_PKS2_PKT0_S8_ifPKiSA_iPKfiiiSC_SC_iiiii.kd
    .uniform_work_group_size: 1
    .uses_dynamic_stack: false
    .vgpr_count:     59
    .vgpr_spill_count: 0
    .wavefront_size: 64
  - .args:
      - .actual_access:  write_only
        .address_space:  global
        .offset:         0
        .size:           8
        .value_kind:     global_buffer
      - .actual_access:  read_only
        .address_space:  global
        .offset:         8
        .size:           8
        .value_kind:     global_buffer
      - .actual_access:  read_only
        .address_space:  global
        .offset:         16
        .size:           8
        .value_kind:     global_buffer
      - .actual_access:  read_only
        .address_space:  global
        .offset:         24
        .size:           8
        .value_kind:     global_buffer
      - .offset:         32
        .size:           4
        .value_kind:     by_value
      - .offset:         36
        .size:           4
        .value_kind:     by_value
      - .actual_access:  read_only
        .address_space:  global
        .offset:         40
        .size:           8
        .value_kind:     global_buffer
      - .actual_access:  read_only
        .address_space:  global
        .offset:         48
        .size:           8
        .value_kind:     global_buffer
      - .offset:         56
        .size:           4
        .value_kind:     by_value
      - .actual_access:  read_only
        .address_space:  global
        .offset:         64
        .size:           8
        .value_kind:     global_buffer
      - .offset:         72
        .size:           4
        .value_kind:     by_value
      - .offset:         76
        .size:           4
        .value_kind:     by_value
      - .offset:         80
        .size:           4
        .value_kind:     by_value
      - .address_space:  global
        .offset:         88
        .size:           8
        .value_kind:     global_buffer
      - .address_space:  global
        .offset:         96
        .size:           8
        .value_kind:     global_buffer
      - .offset:         104
        .size:           4
        .value_kind:     by_value
      - .offset:         108
        .size:           4
        .value_kind:     by_value
      - .offset:         112
        .size:           4
        .value_kind:     by_value
      - .offset:         116
        .size:           4
        .value_kind:     by_value
      - .offset:         120
        .size:           4
        .value_kind:     by_value
      - .offset:         128
        .size:           4
        .value_kind:     hidden_block_count_x
      - .offset:         132
        .size:           4
        .value_kind:     hidden_block_count_y
      - .offset:         136
        .size:           4
        .value_kind:     hidden_block_count_z
      - .offset:         140
        .size:           2
        .value_kind:     hidden_group_size_x
      - .offset:         142
        .size:           2
        .value_kind:     hidden_group_size_y
      - .offset:         144
        .size:           2
        .value_kind:     hidden_group_size_z
      - .offset:         146
        .size:           2
        .value_kind:     hidden_remainder_x
      - .offset:         148
        .size:           2
        .value_kind:     hidden_remainder_y
      - .offset:         150
        .size:           2
        .value_kind:     hidden_remainder_z
      - .offset:         168
        .size:           8
        .value_kind:     hidden_global_offset_x
      - .offset:         176
        .size:           8
        .value_kind:     hidden_global_offset_y
      - .offset:         184
        .size:           8
        .value_kind:     hidden_global_offset_z
      - .offset:         192
        .size:           2
        .value_kind:     hidden_grid_dims
      - .offset:         248
        .size:           4
        .value_kind:     hidden_dynamic_lds_size
    .group_segment_fixed_size: 176
    .kernarg_segment_align: 8
    .kernarg_segment_size: 384
    .language:       OpenCL C
    .language_version:
      - 2
      - 0
    .max_flat_workgroup_size: 1024
    .name:           _ZN4vllm25paged_attention_v1_kernelIthLi80ELi32ELi128ELNS_18Fp8KVCacheDataTypeE1ELb0EEEvPT_PKS2_PKT0_S8_ifPKiSA_iPKfiiiSC_SC_iiiii
    .private_segment_fixed_size: 12
    .sgpr_count:     56
    .sgpr_spill_count: 0
    .symbol:         _ZN4vllm25paged_attention_v1_kernelIthLi80ELi32ELi128ELNS_18Fp8KVCacheDataTypeE1ELb0EEEvPT_PKS2_PKT0_S8_ifPKiSA_iPKfiiiSC_SC_iiiii.kd
    .uniform_work_group_size: 1
    .uses_dynamic_stack: false
    .vgpr_count:     64
    .vgpr_spill_count: 2
    .wavefront_size: 64
  - .args:
      - .actual_access:  write_only
        .address_space:  global
        .offset:         0
        .size:           8
        .value_kind:     global_buffer
      - .actual_access:  read_only
        .address_space:  global
        .offset:         8
        .size:           8
        .value_kind:     global_buffer
      - .actual_access:  read_only
        .address_space:  global
        .offset:         16
        .size:           8
        .value_kind:     global_buffer
      - .actual_access:  read_only
        .address_space:  global
        .offset:         24
        .size:           8
        .value_kind:     global_buffer
      - .offset:         32
        .size:           4
        .value_kind:     by_value
      - .offset:         36
        .size:           4
        .value_kind:     by_value
      - .actual_access:  read_only
        .address_space:  global
        .offset:         40
        .size:           8
        .value_kind:     global_buffer
      - .actual_access:  read_only
        .address_space:  global
        .offset:         48
        .size:           8
        .value_kind:     global_buffer
      - .offset:         56
        .size:           4
        .value_kind:     by_value
      - .actual_access:  read_only
        .address_space:  global
        .offset:         64
        .size:           8
        .value_kind:     global_buffer
      - .offset:         72
        .size:           4
        .value_kind:     by_value
      - .offset:         76
        .size:           4
        .value_kind:     by_value
      - .offset:         80
        .size:           4
        .value_kind:     by_value
      - .address_space:  global
        .offset:         88
        .size:           8
        .value_kind:     global_buffer
      - .address_space:  global
        .offset:         96
        .size:           8
        .value_kind:     global_buffer
      - .offset:         104
        .size:           4
        .value_kind:     by_value
      - .offset:         108
        .size:           4
        .value_kind:     by_value
      - .offset:         112
        .size:           4
        .value_kind:     by_value
      - .offset:         116
        .size:           4
        .value_kind:     by_value
      - .offset:         120
        .size:           4
        .value_kind:     by_value
      - .offset:         128
        .size:           4
        .value_kind:     hidden_block_count_x
      - .offset:         132
        .size:           4
        .value_kind:     hidden_block_count_y
      - .offset:         136
        .size:           4
        .value_kind:     hidden_block_count_z
      - .offset:         140
        .size:           2
        .value_kind:     hidden_group_size_x
      - .offset:         142
        .size:           2
        .value_kind:     hidden_group_size_y
      - .offset:         144
        .size:           2
        .value_kind:     hidden_group_size_z
      - .offset:         146
        .size:           2
        .value_kind:     hidden_remainder_x
      - .offset:         148
        .size:           2
        .value_kind:     hidden_remainder_y
      - .offset:         150
        .size:           2
        .value_kind:     hidden_remainder_z
      - .offset:         168
        .size:           8
        .value_kind:     hidden_global_offset_x
      - .offset:         176
        .size:           8
        .value_kind:     hidden_global_offset_y
      - .offset:         184
        .size:           8
        .value_kind:     hidden_global_offset_z
      - .offset:         192
        .size:           2
        .value_kind:     hidden_grid_dims
      - .offset:         248
        .size:           4
        .value_kind:     hidden_dynamic_lds_size
    .group_segment_fixed_size: 208
    .kernarg_segment_align: 8
    .kernarg_segment_size: 384
    .language:       OpenCL C
    .language_version:
      - 2
      - 0
    .max_flat_workgroup_size: 1024
    .name:           _ZN4vllm25paged_attention_v1_kernelIthLi96ELi32ELi128ELNS_18Fp8KVCacheDataTypeE1ELb0EEEvPT_PKS2_PKT0_S8_ifPKiSA_iPKfiiiSC_SC_iiiii
    .private_segment_fixed_size: 40
    .sgpr_count:     56
    .sgpr_spill_count: 0
    .symbol:         _ZN4vllm25paged_attention_v1_kernelIthLi96ELi32ELi128ELNS_18Fp8KVCacheDataTypeE1ELb0EEEvPT_PKS2_PKT0_S8_ifPKiSA_iPKfiiiSC_SC_iiiii.kd
    .uniform_work_group_size: 1
    .uses_dynamic_stack: false
    .vgpr_count:     64
    .vgpr_spill_count: 13
    .wavefront_size: 64
  - .args:
      - .actual_access:  write_only
        .address_space:  global
        .offset:         0
        .size:           8
        .value_kind:     global_buffer
      - .actual_access:  read_only
        .address_space:  global
        .offset:         8
        .size:           8
        .value_kind:     global_buffer
      - .actual_access:  read_only
        .address_space:  global
        .offset:         16
        .size:           8
        .value_kind:     global_buffer
      - .actual_access:  read_only
        .address_space:  global
        .offset:         24
        .size:           8
        .value_kind:     global_buffer
      - .offset:         32
        .size:           4
        .value_kind:     by_value
      - .offset:         36
        .size:           4
        .value_kind:     by_value
      - .actual_access:  read_only
        .address_space:  global
        .offset:         40
        .size:           8
        .value_kind:     global_buffer
      - .actual_access:  read_only
        .address_space:  global
        .offset:         48
        .size:           8
        .value_kind:     global_buffer
      - .offset:         56
        .size:           4
        .value_kind:     by_value
      - .actual_access:  read_only
        .address_space:  global
        .offset:         64
        .size:           8
        .value_kind:     global_buffer
      - .offset:         72
        .size:           4
        .value_kind:     by_value
      - .offset:         76
        .size:           4
        .value_kind:     by_value
      - .offset:         80
        .size:           4
        .value_kind:     by_value
      - .address_space:  global
        .offset:         88
        .size:           8
        .value_kind:     global_buffer
      - .address_space:  global
        .offset:         96
        .size:           8
        .value_kind:     global_buffer
      - .offset:         104
        .size:           4
        .value_kind:     by_value
      - .offset:         108
        .size:           4
        .value_kind:     by_value
      - .offset:         112
        .size:           4
        .value_kind:     by_value
      - .offset:         116
        .size:           4
        .value_kind:     by_value
      - .offset:         120
        .size:           4
        .value_kind:     by_value
      - .offset:         128
        .size:           4
        .value_kind:     hidden_block_count_x
      - .offset:         132
        .size:           4
        .value_kind:     hidden_block_count_y
      - .offset:         136
        .size:           4
        .value_kind:     hidden_block_count_z
      - .offset:         140
        .size:           2
        .value_kind:     hidden_group_size_x
      - .offset:         142
        .size:           2
        .value_kind:     hidden_group_size_y
      - .offset:         144
        .size:           2
        .value_kind:     hidden_group_size_z
      - .offset:         146
        .size:           2
        .value_kind:     hidden_remainder_x
      - .offset:         148
        .size:           2
        .value_kind:     hidden_remainder_y
      - .offset:         150
        .size:           2
        .value_kind:     hidden_remainder_z
      - .offset:         168
        .size:           8
        .value_kind:     hidden_global_offset_x
      - .offset:         176
        .size:           8
        .value_kind:     hidden_global_offset_y
      - .offset:         184
        .size:           8
        .value_kind:     hidden_global_offset_z
      - .offset:         192
        .size:           2
        .value_kind:     hidden_grid_dims
      - .offset:         248
        .size:           4
        .value_kind:     hidden_dynamic_lds_size
    .group_segment_fixed_size: 240
    .kernarg_segment_align: 8
    .kernarg_segment_size: 384
    .language:       OpenCL C
    .language_version:
      - 2
      - 0
    .max_flat_workgroup_size: 1024
    .name:           _ZN4vllm25paged_attention_v1_kernelIthLi112ELi32ELi128ELNS_18Fp8KVCacheDataTypeE1ELb0EEEvPT_PKS2_PKT0_S8_ifPKiSA_iPKfiiiSC_SC_iiiii
    .private_segment_fixed_size: 72
    .sgpr_count:     56
    .sgpr_spill_count: 0
    .symbol:         _ZN4vllm25paged_attention_v1_kernelIthLi112ELi32ELi128ELNS_18Fp8KVCacheDataTypeE1ELb0EEEvPT_PKS2_PKT0_S8_ifPKiSA_iPKfiiiSC_SC_iiiii.kd
    .uniform_work_group_size: 1
    .uses_dynamic_stack: false
    .vgpr_count:     64
    .vgpr_spill_count: 27
    .wavefront_size: 64
  - .args:
      - .actual_access:  write_only
        .address_space:  global
        .offset:         0
        .size:           8
        .value_kind:     global_buffer
      - .actual_access:  read_only
        .address_space:  global
        .offset:         8
        .size:           8
        .value_kind:     global_buffer
      - .actual_access:  read_only
        .address_space:  global
        .offset:         16
        .size:           8
        .value_kind:     global_buffer
      - .actual_access:  read_only
        .address_space:  global
        .offset:         24
        .size:           8
        .value_kind:     global_buffer
      - .offset:         32
        .size:           4
        .value_kind:     by_value
      - .offset:         36
        .size:           4
        .value_kind:     by_value
      - .actual_access:  read_only
        .address_space:  global
        .offset:         40
        .size:           8
        .value_kind:     global_buffer
      - .actual_access:  read_only
        .address_space:  global
        .offset:         48
        .size:           8
        .value_kind:     global_buffer
      - .offset:         56
        .size:           4
        .value_kind:     by_value
      - .actual_access:  read_only
        .address_space:  global
        .offset:         64
        .size:           8
        .value_kind:     global_buffer
      - .offset:         72
        .size:           4
        .value_kind:     by_value
      - .offset:         76
        .size:           4
        .value_kind:     by_value
      - .offset:         80
        .size:           4
        .value_kind:     by_value
      - .address_space:  global
        .offset:         88
        .size:           8
        .value_kind:     global_buffer
      - .address_space:  global
        .offset:         96
        .size:           8
        .value_kind:     global_buffer
      - .offset:         104
        .size:           4
        .value_kind:     by_value
      - .offset:         108
        .size:           4
        .value_kind:     by_value
      - .offset:         112
        .size:           4
        .value_kind:     by_value
      - .offset:         116
        .size:           4
        .value_kind:     by_value
      - .offset:         120
        .size:           4
        .value_kind:     by_value
      - .offset:         128
        .size:           4
        .value_kind:     hidden_block_count_x
      - .offset:         132
        .size:           4
        .value_kind:     hidden_block_count_y
      - .offset:         136
        .size:           4
        .value_kind:     hidden_block_count_z
      - .offset:         140
        .size:           2
        .value_kind:     hidden_group_size_x
      - .offset:         142
        .size:           2
        .value_kind:     hidden_group_size_y
      - .offset:         144
        .size:           2
        .value_kind:     hidden_group_size_z
      - .offset:         146
        .size:           2
        .value_kind:     hidden_remainder_x
      - .offset:         148
        .size:           2
        .value_kind:     hidden_remainder_y
      - .offset:         150
        .size:           2
        .value_kind:     hidden_remainder_z
      - .offset:         168
        .size:           8
        .value_kind:     hidden_global_offset_x
      - .offset:         176
        .size:           8
        .value_kind:     hidden_global_offset_y
      - .offset:         184
        .size:           8
        .value_kind:     hidden_global_offset_z
      - .offset:         192
        .size:           2
        .value_kind:     hidden_grid_dims
      - .offset:         248
        .size:           4
        .value_kind:     hidden_dynamic_lds_size
    .group_segment_fixed_size: 256
    .kernarg_segment_align: 8
    .kernarg_segment_size: 384
    .language:       OpenCL C
    .language_version:
      - 2
      - 0
    .max_flat_workgroup_size: 1024
    .name:           _ZN4vllm25paged_attention_v1_kernelIthLi120ELi32ELi128ELNS_18Fp8KVCacheDataTypeE1ELb0EEEvPT_PKS2_PKT0_S8_ifPKiSA_iPKfiiiSC_SC_iiiii
    .private_segment_fixed_size: 108
    .sgpr_count:     56
    .sgpr_spill_count: 0
    .symbol:         _ZN4vllm25paged_attention_v1_kernelIthLi120ELi32ELi128ELNS_18Fp8KVCacheDataTypeE1ELb0EEEvPT_PKS2_PKT0_S8_ifPKiSA_iPKfiiiSC_SC_iiiii.kd
    .uniform_work_group_size: 1
    .uses_dynamic_stack: false
    .vgpr_count:     64
    .vgpr_spill_count: 49
    .wavefront_size: 64
  - .args:
      - .actual_access:  write_only
        .address_space:  global
        .offset:         0
        .size:           8
        .value_kind:     global_buffer
      - .actual_access:  read_only
        .address_space:  global
        .offset:         8
        .size:           8
        .value_kind:     global_buffer
      - .actual_access:  read_only
        .address_space:  global
        .offset:         16
        .size:           8
        .value_kind:     global_buffer
      - .actual_access:  read_only
        .address_space:  global
        .offset:         24
        .size:           8
        .value_kind:     global_buffer
      - .offset:         32
        .size:           4
        .value_kind:     by_value
      - .offset:         36
        .size:           4
        .value_kind:     by_value
      - .actual_access:  read_only
        .address_space:  global
        .offset:         40
        .size:           8
        .value_kind:     global_buffer
      - .actual_access:  read_only
        .address_space:  global
        .offset:         48
        .size:           8
        .value_kind:     global_buffer
      - .offset:         56
        .size:           4
        .value_kind:     by_value
      - .actual_access:  read_only
        .address_space:  global
        .offset:         64
        .size:           8
        .value_kind:     global_buffer
      - .offset:         72
        .size:           4
        .value_kind:     by_value
      - .offset:         76
        .size:           4
        .value_kind:     by_value
      - .offset:         80
        .size:           4
        .value_kind:     by_value
      - .address_space:  global
        .offset:         88
        .size:           8
        .value_kind:     global_buffer
      - .address_space:  global
        .offset:         96
        .size:           8
        .value_kind:     global_buffer
      - .offset:         104
        .size:           4
        .value_kind:     by_value
      - .offset:         108
        .size:           4
        .value_kind:     by_value
      - .offset:         112
        .size:           4
        .value_kind:     by_value
      - .offset:         116
        .size:           4
        .value_kind:     by_value
      - .offset:         120
        .size:           4
        .value_kind:     by_value
      - .offset:         128
        .size:           4
        .value_kind:     hidden_block_count_x
      - .offset:         132
        .size:           4
        .value_kind:     hidden_block_count_y
      - .offset:         136
        .size:           4
        .value_kind:     hidden_block_count_z
      - .offset:         140
        .size:           2
        .value_kind:     hidden_group_size_x
      - .offset:         142
        .size:           2
        .value_kind:     hidden_group_size_y
      - .offset:         144
        .size:           2
        .value_kind:     hidden_group_size_z
      - .offset:         146
        .size:           2
        .value_kind:     hidden_remainder_x
      - .offset:         148
        .size:           2
        .value_kind:     hidden_remainder_y
      - .offset:         150
        .size:           2
        .value_kind:     hidden_remainder_z
      - .offset:         168
        .size:           8
        .value_kind:     hidden_global_offset_x
      - .offset:         176
        .size:           8
        .value_kind:     hidden_global_offset_y
      - .offset:         184
        .size:           8
        .value_kind:     hidden_global_offset_z
      - .offset:         192
        .size:           2
        .value_kind:     hidden_grid_dims
      - .offset:         248
        .size:           4
        .value_kind:     hidden_dynamic_lds_size
    .group_segment_fixed_size: 272
    .kernarg_segment_align: 8
    .kernarg_segment_size: 384
    .language:       OpenCL C
    .language_version:
      - 2
      - 0
    .max_flat_workgroup_size: 1024
    .name:           _ZN4vllm25paged_attention_v1_kernelIthLi128ELi32ELi128ELNS_18Fp8KVCacheDataTypeE1ELb0EEEvPT_PKS2_PKT0_S8_ifPKiSA_iPKfiiiSC_SC_iiiii
    .private_segment_fixed_size: 132
    .sgpr_count:     56
    .sgpr_spill_count: 0
    .symbol:         _ZN4vllm25paged_attention_v1_kernelIthLi128ELi32ELi128ELNS_18Fp8KVCacheDataTypeE1ELb0EEEvPT_PKS2_PKT0_S8_ifPKiSA_iPKfiiiSC_SC_iiiii.kd
    .uniform_work_group_size: 1
    .uses_dynamic_stack: false
    .vgpr_count:     64
    .vgpr_spill_count: 62
    .wavefront_size: 64
  - .args:
      - .actual_access:  write_only
        .address_space:  global
        .offset:         0
        .size:           8
        .value_kind:     global_buffer
      - .actual_access:  read_only
        .address_space:  global
        .offset:         8
        .size:           8
        .value_kind:     global_buffer
      - .actual_access:  read_only
        .address_space:  global
        .offset:         16
        .size:           8
        .value_kind:     global_buffer
      - .actual_access:  read_only
        .address_space:  global
        .offset:         24
        .size:           8
        .value_kind:     global_buffer
      - .offset:         32
        .size:           4
        .value_kind:     by_value
      - .offset:         36
        .size:           4
        .value_kind:     by_value
      - .actual_access:  read_only
        .address_space:  global
        .offset:         40
        .size:           8
        .value_kind:     global_buffer
      - .actual_access:  read_only
        .address_space:  global
        .offset:         48
        .size:           8
        .value_kind:     global_buffer
      - .offset:         56
        .size:           4
        .value_kind:     by_value
      - .actual_access:  read_only
        .address_space:  global
        .offset:         64
        .size:           8
        .value_kind:     global_buffer
      - .offset:         72
        .size:           4
        .value_kind:     by_value
      - .offset:         76
        .size:           4
        .value_kind:     by_value
      - .offset:         80
        .size:           4
        .value_kind:     by_value
      - .address_space:  global
        .offset:         88
        .size:           8
        .value_kind:     global_buffer
      - .address_space:  global
        .offset:         96
        .size:           8
        .value_kind:     global_buffer
      - .offset:         104
        .size:           4
        .value_kind:     by_value
      - .offset:         108
        .size:           4
        .value_kind:     by_value
      - .offset:         112
        .size:           4
        .value_kind:     by_value
      - .offset:         116
        .size:           4
        .value_kind:     by_value
      - .offset:         120
        .size:           4
        .value_kind:     by_value
      - .offset:         128
        .size:           4
        .value_kind:     hidden_block_count_x
      - .offset:         132
        .size:           4
        .value_kind:     hidden_block_count_y
      - .offset:         136
        .size:           4
        .value_kind:     hidden_block_count_z
      - .offset:         140
        .size:           2
        .value_kind:     hidden_group_size_x
      - .offset:         142
        .size:           2
        .value_kind:     hidden_group_size_y
      - .offset:         144
        .size:           2
        .value_kind:     hidden_group_size_z
      - .offset:         146
        .size:           2
        .value_kind:     hidden_remainder_x
      - .offset:         148
        .size:           2
        .value_kind:     hidden_remainder_y
      - .offset:         150
        .size:           2
        .value_kind:     hidden_remainder_z
      - .offset:         168
        .size:           8
        .value_kind:     hidden_global_offset_x
      - .offset:         176
        .size:           8
        .value_kind:     hidden_global_offset_y
      - .offset:         184
        .size:           8
        .value_kind:     hidden_global_offset_z
      - .offset:         192
        .size:           2
        .value_kind:     hidden_grid_dims
      - .offset:         248
        .size:           4
        .value_kind:     hidden_dynamic_lds_size
    .group_segment_fixed_size: 400
    .kernarg_segment_align: 8
    .kernarg_segment_size: 384
    .language:       OpenCL C
    .language_version:
      - 2
      - 0
    .max_flat_workgroup_size: 1024
    .name:           _ZN4vllm25paged_attention_v1_kernelIthLi192ELi32ELi128ELNS_18Fp8KVCacheDataTypeE1ELb0EEEvPT_PKS2_PKT0_S8_ifPKiSA_iPKfiiiSC_SC_iiiii
    .private_segment_fixed_size: 380
    .sgpr_count:     56
    .sgpr_spill_count: 0
    .symbol:         _ZN4vllm25paged_attention_v1_kernelIthLi192ELi32ELi128ELNS_18Fp8KVCacheDataTypeE1ELb0EEEvPT_PKS2_PKT0_S8_ifPKiSA_iPKfiiiSC_SC_iiiii.kd
    .uniform_work_group_size: 1
    .uses_dynamic_stack: false
    .vgpr_count:     64
    .vgpr_spill_count: 215
    .wavefront_size: 64
  - .args:
      - .address_space:  global
        .offset:         0
        .size:           8
        .value_kind:     global_buffer
      - .address_space:  global
        .offset:         8
        .size:           8
        .value_kind:     global_buffer
      - .address_space:  global
        .offset:         16
        .size:           8
        .value_kind:     global_buffer
      - .address_space:  global
        .offset:         24
        .size:           8
        .value_kind:     global_buffer
      - .offset:         32
        .size:           4
        .value_kind:     by_value
      - .offset:         36
        .size:           4
        .value_kind:     by_value
      - .address_space:  global
        .offset:         40
        .size:           8
        .value_kind:     global_buffer
      - .address_space:  global
        .offset:         48
        .size:           8
        .value_kind:     global_buffer
      - .offset:         56
        .size:           4
        .value_kind:     by_value
      - .address_space:  global
        .offset:         64
        .size:           8
        .value_kind:     global_buffer
      - .offset:         72
        .size:           4
        .value_kind:     by_value
      - .offset:         76
        .size:           4
        .value_kind:     by_value
      - .offset:         80
        .size:           4
        .value_kind:     by_value
      - .address_space:  global
        .offset:         88
        .size:           8
        .value_kind:     global_buffer
      - .address_space:  global
        .offset:         96
        .size:           8
        .value_kind:     global_buffer
      - .offset:         104
        .size:           4
        .value_kind:     by_value
      - .offset:         108
        .size:           4
        .value_kind:     by_value
      - .offset:         112
        .size:           4
        .value_kind:     by_value
      - .offset:         116
        .size:           4
        .value_kind:     by_value
      - .offset:         120
        .size:           4
        .value_kind:     by_value
      - .offset:         128
        .size:           4
        .value_kind:     hidden_block_count_x
      - .offset:         132
        .size:           4
        .value_kind:     hidden_block_count_y
      - .offset:         136
        .size:           4
        .value_kind:     hidden_block_count_z
      - .offset:         140
        .size:           2
        .value_kind:     hidden_group_size_x
      - .offset:         142
        .size:           2
        .value_kind:     hidden_group_size_y
      - .offset:         144
        .size:           2
        .value_kind:     hidden_group_size_z
      - .offset:         146
        .size:           2
        .value_kind:     hidden_remainder_x
      - .offset:         148
        .size:           2
        .value_kind:     hidden_remainder_y
      - .offset:         150
        .size:           2
        .value_kind:     hidden_remainder_z
      - .offset:         168
        .size:           8
        .value_kind:     hidden_global_offset_x
      - .offset:         176
        .size:           8
        .value_kind:     hidden_global_offset_y
      - .offset:         184
        .size:           8
        .value_kind:     hidden_global_offset_z
      - .offset:         192
        .size:           2
        .value_kind:     hidden_grid_dims
      - .offset:         248
        .size:           4
        .value_kind:     hidden_dynamic_lds_size
    .group_segment_fixed_size: 528
    .kernarg_segment_align: 8
    .kernarg_segment_size: 384
    .language:       OpenCL C
    .language_version:
      - 2
      - 0
    .max_flat_workgroup_size: 1024
    .name:           _ZN4vllm25paged_attention_v1_kernelIthLi256ELi32ELi128ELNS_18Fp8KVCacheDataTypeE1ELb0EEEvPT_PKS2_PKT0_S8_ifPKiSA_iPKfiiiSC_SC_iiiii
    .private_segment_fixed_size: 688
    .sgpr_count:     49
    .sgpr_spill_count: 0
    .symbol:         _ZN4vllm25paged_attention_v1_kernelIthLi256ELi32ELi128ELNS_18Fp8KVCacheDataTypeE1ELb0EEEvPT_PKS2_PKT0_S8_ifPKiSA_iPKfiiiSC_SC_iiiii.kd
    .uniform_work_group_size: 1
    .uses_dynamic_stack: false
    .vgpr_count:     64
    .vgpr_spill_count: 0
    .wavefront_size: 64
  - .args:
      - .actual_access:  write_only
        .address_space:  global
        .offset:         0
        .size:           8
        .value_kind:     global_buffer
      - .actual_access:  read_only
        .address_space:  global
        .offset:         8
        .size:           8
        .value_kind:     global_buffer
      - .actual_access:  read_only
        .address_space:  global
        .offset:         16
        .size:           8
        .value_kind:     global_buffer
      - .actual_access:  read_only
        .address_space:  global
        .offset:         24
        .size:           8
        .value_kind:     global_buffer
      - .offset:         32
        .size:           4
        .value_kind:     by_value
      - .offset:         36
        .size:           4
        .value_kind:     by_value
      - .actual_access:  read_only
        .address_space:  global
        .offset:         40
        .size:           8
        .value_kind:     global_buffer
      - .actual_access:  read_only
        .address_space:  global
        .offset:         48
        .size:           8
        .value_kind:     global_buffer
      - .offset:         56
        .size:           4
        .value_kind:     by_value
      - .actual_access:  read_only
        .address_space:  global
        .offset:         64
        .size:           8
        .value_kind:     global_buffer
      - .offset:         72
        .size:           4
        .value_kind:     by_value
      - .offset:         76
        .size:           4
        .value_kind:     by_value
      - .offset:         80
        .size:           4
        .value_kind:     by_value
      - .address_space:  global
        .offset:         88
        .size:           8
        .value_kind:     global_buffer
      - .address_space:  global
        .offset:         96
        .size:           8
        .value_kind:     global_buffer
      - .offset:         104
        .size:           4
        .value_kind:     by_value
      - .offset:         108
        .size:           4
        .value_kind:     by_value
      - .offset:         112
        .size:           4
        .value_kind:     by_value
      - .offset:         116
        .size:           4
        .value_kind:     by_value
      - .offset:         120
        .size:           4
        .value_kind:     by_value
      - .offset:         128
        .size:           4
        .value_kind:     hidden_block_count_x
      - .offset:         132
        .size:           4
        .value_kind:     hidden_block_count_y
      - .offset:         136
        .size:           4
        .value_kind:     hidden_block_count_z
      - .offset:         140
        .size:           2
        .value_kind:     hidden_group_size_x
      - .offset:         142
        .size:           2
        .value_kind:     hidden_group_size_y
      - .offset:         144
        .size:           2
        .value_kind:     hidden_group_size_z
      - .offset:         146
        .size:           2
        .value_kind:     hidden_remainder_x
      - .offset:         148
        .size:           2
        .value_kind:     hidden_remainder_y
      - .offset:         150
        .size:           2
        .value_kind:     hidden_remainder_z
      - .offset:         168
        .size:           8
        .value_kind:     hidden_global_offset_x
      - .offset:         176
        .size:           8
        .value_kind:     hidden_global_offset_y
      - .offset:         184
        .size:           8
        .value_kind:     hidden_global_offset_z
      - .offset:         192
        .size:           2
        .value_kind:     hidden_grid_dims
      - .offset:         248
        .size:           4
        .value_kind:     hidden_dynamic_lds_size
    .group_segment_fixed_size: 80
    .kernarg_segment_align: 8
    .kernarg_segment_size: 384
    .language:       OpenCL C
    .language_version:
      - 2
      - 0
    .max_flat_workgroup_size: 1024
    .name:           _ZN4vllm25paged_attention_v1_kernelI14__hip_bfloat16hLi32ELi8ELi128ELNS_18Fp8KVCacheDataTypeE1ELb1EEEvPT_PKS3_PKT0_S9_ifPKiSB_iPKfiiiSD_SD_iiiii
    .private_segment_fixed_size: 0
    .sgpr_count:     60
    .sgpr_spill_count: 0
    .symbol:         _ZN4vllm25paged_attention_v1_kernelI14__hip_bfloat16hLi32ELi8ELi128ELNS_18Fp8KVCacheDataTypeE1ELb1EEEvPT_PKS3_PKT0_S9_ifPKiSB_iPKfiiiSD_SD_iiiii.kd
    .uniform_work_group_size: 1
    .uses_dynamic_stack: false
    .vgpr_count:     37
    .vgpr_spill_count: 0
    .wavefront_size: 64
  - .args:
      - .actual_access:  write_only
        .address_space:  global
        .offset:         0
        .size:           8
        .value_kind:     global_buffer
      - .actual_access:  read_only
        .address_space:  global
        .offset:         8
        .size:           8
        .value_kind:     global_buffer
      - .actual_access:  read_only
        .address_space:  global
        .offset:         16
        .size:           8
        .value_kind:     global_buffer
      - .actual_access:  read_only
        .address_space:  global
        .offset:         24
        .size:           8
        .value_kind:     global_buffer
      - .offset:         32
        .size:           4
        .value_kind:     by_value
      - .offset:         36
        .size:           4
        .value_kind:     by_value
      - .actual_access:  read_only
        .address_space:  global
        .offset:         40
        .size:           8
        .value_kind:     global_buffer
      - .actual_access:  read_only
        .address_space:  global
        .offset:         48
        .size:           8
        .value_kind:     global_buffer
      - .offset:         56
        .size:           4
        .value_kind:     by_value
      - .actual_access:  read_only
        .address_space:  global
        .offset:         64
        .size:           8
        .value_kind:     global_buffer
      - .offset:         72
        .size:           4
        .value_kind:     by_value
      - .offset:         76
        .size:           4
        .value_kind:     by_value
      - .offset:         80
        .size:           4
        .value_kind:     by_value
      - .address_space:  global
        .offset:         88
        .size:           8
        .value_kind:     global_buffer
      - .address_space:  global
        .offset:         96
        .size:           8
        .value_kind:     global_buffer
      - .offset:         104
        .size:           4
        .value_kind:     by_value
      - .offset:         108
        .size:           4
        .value_kind:     by_value
      - .offset:         112
        .size:           4
        .value_kind:     by_value
      - .offset:         116
        .size:           4
        .value_kind:     by_value
      - .offset:         120
        .size:           4
        .value_kind:     by_value
      - .offset:         128
        .size:           4
        .value_kind:     hidden_block_count_x
      - .offset:         132
        .size:           4
        .value_kind:     hidden_block_count_y
      - .offset:         136
        .size:           4
        .value_kind:     hidden_block_count_z
      - .offset:         140
        .size:           2
        .value_kind:     hidden_group_size_x
      - .offset:         142
        .size:           2
        .value_kind:     hidden_group_size_y
      - .offset:         144
        .size:           2
        .value_kind:     hidden_group_size_z
      - .offset:         146
        .size:           2
        .value_kind:     hidden_remainder_x
      - .offset:         148
        .size:           2
        .value_kind:     hidden_remainder_y
      - .offset:         150
        .size:           2
        .value_kind:     hidden_remainder_z
      - .offset:         168
        .size:           8
        .value_kind:     hidden_global_offset_x
      - .offset:         176
        .size:           8
        .value_kind:     hidden_global_offset_y
      - .offset:         184
        .size:           8
        .value_kind:     hidden_global_offset_z
      - .offset:         192
        .size:           2
        .value_kind:     hidden_grid_dims
      - .offset:         248
        .size:           4
        .value_kind:     hidden_dynamic_lds_size
    .group_segment_fixed_size: 144
    .kernarg_segment_align: 8
    .kernarg_segment_size: 384
    .language:       OpenCL C
    .language_version:
      - 2
      - 0
    .max_flat_workgroup_size: 1024
    .name:           _ZN4vllm25paged_attention_v1_kernelI14__hip_bfloat16hLi64ELi8ELi128ELNS_18Fp8KVCacheDataTypeE1ELb1EEEvPT_PKS3_PKT0_S9_ifPKiSB_iPKfiiiSD_SD_iiiii
    .private_segment_fixed_size: 0
    .sgpr_count:     62
    .sgpr_spill_count: 0
    .symbol:         _ZN4vllm25paged_attention_v1_kernelI14__hip_bfloat16hLi64ELi8ELi128ELNS_18Fp8KVCacheDataTypeE1ELb1EEEvPT_PKS3_PKT0_S9_ifPKiSB_iPKfiiiSD_SD_iiiii.kd
    .uniform_work_group_size: 1
    .uses_dynamic_stack: false
    .vgpr_count:     41
    .vgpr_spill_count: 0
    .wavefront_size: 64
  - .args:
      - .actual_access:  write_only
        .address_space:  global
        .offset:         0
        .size:           8
        .value_kind:     global_buffer
      - .actual_access:  read_only
        .address_space:  global
        .offset:         8
        .size:           8
        .value_kind:     global_buffer
      - .actual_access:  read_only
        .address_space:  global
        .offset:         16
        .size:           8
        .value_kind:     global_buffer
      - .actual_access:  read_only
        .address_space:  global
        .offset:         24
        .size:           8
        .value_kind:     global_buffer
      - .offset:         32
        .size:           4
        .value_kind:     by_value
      - .offset:         36
        .size:           4
        .value_kind:     by_value
      - .actual_access:  read_only
        .address_space:  global
        .offset:         40
        .size:           8
        .value_kind:     global_buffer
      - .actual_access:  read_only
        .address_space:  global
        .offset:         48
        .size:           8
        .value_kind:     global_buffer
      - .offset:         56
        .size:           4
        .value_kind:     by_value
      - .actual_access:  read_only
        .address_space:  global
        .offset:         64
        .size:           8
        .value_kind:     global_buffer
      - .offset:         72
        .size:           4
        .value_kind:     by_value
      - .offset:         76
        .size:           4
        .value_kind:     by_value
      - .offset:         80
        .size:           4
        .value_kind:     by_value
      - .address_space:  global
        .offset:         88
        .size:           8
        .value_kind:     global_buffer
      - .address_space:  global
        .offset:         96
        .size:           8
        .value_kind:     global_buffer
      - .offset:         104
        .size:           4
        .value_kind:     by_value
      - .offset:         108
        .size:           4
        .value_kind:     by_value
      - .offset:         112
        .size:           4
        .value_kind:     by_value
      - .offset:         116
        .size:           4
        .value_kind:     by_value
      - .offset:         120
        .size:           4
        .value_kind:     by_value
      - .offset:         128
        .size:           4
        .value_kind:     hidden_block_count_x
      - .offset:         132
        .size:           4
        .value_kind:     hidden_block_count_y
      - .offset:         136
        .size:           4
        .value_kind:     hidden_block_count_z
      - .offset:         140
        .size:           2
        .value_kind:     hidden_group_size_x
      - .offset:         142
        .size:           2
        .value_kind:     hidden_group_size_y
      - .offset:         144
        .size:           2
        .value_kind:     hidden_group_size_z
      - .offset:         146
        .size:           2
        .value_kind:     hidden_remainder_x
      - .offset:         148
        .size:           2
        .value_kind:     hidden_remainder_y
      - .offset:         150
        .size:           2
        .value_kind:     hidden_remainder_z
      - .offset:         168
        .size:           8
        .value_kind:     hidden_global_offset_x
      - .offset:         176
        .size:           8
        .value_kind:     hidden_global_offset_y
      - .offset:         184
        .size:           8
        .value_kind:     hidden_global_offset_z
      - .offset:         192
        .size:           2
        .value_kind:     hidden_grid_dims
      - .offset:         248
        .size:           4
        .value_kind:     hidden_dynamic_lds_size
    .group_segment_fixed_size: 176
    .kernarg_segment_align: 8
    .kernarg_segment_size: 384
    .language:       OpenCL C
    .language_version:
      - 2
      - 0
    .max_flat_workgroup_size: 1024
    .name:           _ZN4vllm25paged_attention_v1_kernelI14__hip_bfloat16hLi80ELi8ELi128ELNS_18Fp8KVCacheDataTypeE1ELb1EEEvPT_PKS3_PKT0_S9_ifPKiSB_iPKfiiiSD_SD_iiiii
    .private_segment_fixed_size: 0
    .sgpr_count:     62
    .sgpr_spill_count: 0
    .symbol:         _ZN4vllm25paged_attention_v1_kernelI14__hip_bfloat16hLi80ELi8ELi128ELNS_18Fp8KVCacheDataTypeE1ELb1EEEvPT_PKS3_PKT0_S9_ifPKiSB_iPKfiiiSD_SD_iiiii.kd
    .uniform_work_group_size: 1
    .uses_dynamic_stack: false
    .vgpr_count:     45
    .vgpr_spill_count: 0
    .wavefront_size: 64
  - .args:
      - .actual_access:  write_only
        .address_space:  global
        .offset:         0
        .size:           8
        .value_kind:     global_buffer
      - .actual_access:  read_only
        .address_space:  global
        .offset:         8
        .size:           8
        .value_kind:     global_buffer
      - .actual_access:  read_only
        .address_space:  global
        .offset:         16
        .size:           8
        .value_kind:     global_buffer
      - .actual_access:  read_only
        .address_space:  global
        .offset:         24
        .size:           8
        .value_kind:     global_buffer
      - .offset:         32
        .size:           4
        .value_kind:     by_value
      - .offset:         36
        .size:           4
        .value_kind:     by_value
      - .actual_access:  read_only
        .address_space:  global
        .offset:         40
        .size:           8
        .value_kind:     global_buffer
      - .actual_access:  read_only
        .address_space:  global
        .offset:         48
        .size:           8
        .value_kind:     global_buffer
      - .offset:         56
        .size:           4
        .value_kind:     by_value
      - .actual_access:  read_only
        .address_space:  global
        .offset:         64
        .size:           8
        .value_kind:     global_buffer
      - .offset:         72
        .size:           4
        .value_kind:     by_value
      - .offset:         76
        .size:           4
        .value_kind:     by_value
      - .offset:         80
        .size:           4
        .value_kind:     by_value
      - .address_space:  global
        .offset:         88
        .size:           8
        .value_kind:     global_buffer
      - .address_space:  global
        .offset:         96
        .size:           8
        .value_kind:     global_buffer
      - .offset:         104
        .size:           4
        .value_kind:     by_value
      - .offset:         108
        .size:           4
        .value_kind:     by_value
      - .offset:         112
        .size:           4
        .value_kind:     by_value
      - .offset:         116
        .size:           4
        .value_kind:     by_value
      - .offset:         120
        .size:           4
        .value_kind:     by_value
      - .offset:         128
        .size:           4
        .value_kind:     hidden_block_count_x
      - .offset:         132
        .size:           4
        .value_kind:     hidden_block_count_y
      - .offset:         136
        .size:           4
        .value_kind:     hidden_block_count_z
      - .offset:         140
        .size:           2
        .value_kind:     hidden_group_size_x
      - .offset:         142
        .size:           2
        .value_kind:     hidden_group_size_y
      - .offset:         144
        .size:           2
        .value_kind:     hidden_group_size_z
      - .offset:         146
        .size:           2
        .value_kind:     hidden_remainder_x
      - .offset:         148
        .size:           2
        .value_kind:     hidden_remainder_y
      - .offset:         150
        .size:           2
        .value_kind:     hidden_remainder_z
      - .offset:         168
        .size:           8
        .value_kind:     hidden_global_offset_x
      - .offset:         176
        .size:           8
        .value_kind:     hidden_global_offset_y
      - .offset:         184
        .size:           8
        .value_kind:     hidden_global_offset_z
      - .offset:         192
        .size:           2
        .value_kind:     hidden_grid_dims
      - .offset:         248
        .size:           4
        .value_kind:     hidden_dynamic_lds_size
    .group_segment_fixed_size: 208
    .kernarg_segment_align: 8
    .kernarg_segment_size: 384
    .language:       OpenCL C
    .language_version:
      - 2
      - 0
    .max_flat_workgroup_size: 1024
    .name:           _ZN4vllm25paged_attention_v1_kernelI14__hip_bfloat16hLi96ELi8ELi128ELNS_18Fp8KVCacheDataTypeE1ELb1EEEvPT_PKS3_PKT0_S9_ifPKiSB_iPKfiiiSD_SD_iiiii
    .private_segment_fixed_size: 0
    .sgpr_count:     62
    .sgpr_spill_count: 0
    .symbol:         _ZN4vllm25paged_attention_v1_kernelI14__hip_bfloat16hLi96ELi8ELi128ELNS_18Fp8KVCacheDataTypeE1ELb1EEEvPT_PKS3_PKT0_S9_ifPKiSB_iPKfiiiSD_SD_iiiii.kd
    .uniform_work_group_size: 1
    .uses_dynamic_stack: false
    .vgpr_count:     47
    .vgpr_spill_count: 0
    .wavefront_size: 64
  - .args:
      - .actual_access:  write_only
        .address_space:  global
        .offset:         0
        .size:           8
        .value_kind:     global_buffer
      - .actual_access:  read_only
        .address_space:  global
        .offset:         8
        .size:           8
        .value_kind:     global_buffer
      - .actual_access:  read_only
        .address_space:  global
        .offset:         16
        .size:           8
        .value_kind:     global_buffer
      - .actual_access:  read_only
        .address_space:  global
        .offset:         24
        .size:           8
        .value_kind:     global_buffer
      - .offset:         32
        .size:           4
        .value_kind:     by_value
      - .offset:         36
        .size:           4
        .value_kind:     by_value
      - .actual_access:  read_only
        .address_space:  global
        .offset:         40
        .size:           8
        .value_kind:     global_buffer
      - .actual_access:  read_only
        .address_space:  global
        .offset:         48
        .size:           8
        .value_kind:     global_buffer
      - .offset:         56
        .size:           4
        .value_kind:     by_value
      - .actual_access:  read_only
        .address_space:  global
        .offset:         64
        .size:           8
        .value_kind:     global_buffer
      - .offset:         72
        .size:           4
        .value_kind:     by_value
      - .offset:         76
        .size:           4
        .value_kind:     by_value
      - .offset:         80
        .size:           4
        .value_kind:     by_value
      - .address_space:  global
        .offset:         88
        .size:           8
        .value_kind:     global_buffer
      - .address_space:  global
        .offset:         96
        .size:           8
        .value_kind:     global_buffer
      - .offset:         104
        .size:           4
        .value_kind:     by_value
      - .offset:         108
        .size:           4
        .value_kind:     by_value
      - .offset:         112
        .size:           4
        .value_kind:     by_value
      - .offset:         116
        .size:           4
        .value_kind:     by_value
      - .offset:         120
        .size:           4
        .value_kind:     by_value
      - .offset:         128
        .size:           4
        .value_kind:     hidden_block_count_x
      - .offset:         132
        .size:           4
        .value_kind:     hidden_block_count_y
      - .offset:         136
        .size:           4
        .value_kind:     hidden_block_count_z
      - .offset:         140
        .size:           2
        .value_kind:     hidden_group_size_x
      - .offset:         142
        .size:           2
        .value_kind:     hidden_group_size_y
      - .offset:         144
        .size:           2
        .value_kind:     hidden_group_size_z
      - .offset:         146
        .size:           2
        .value_kind:     hidden_remainder_x
      - .offset:         148
        .size:           2
        .value_kind:     hidden_remainder_y
      - .offset:         150
        .size:           2
        .value_kind:     hidden_remainder_z
      - .offset:         168
        .size:           8
        .value_kind:     hidden_global_offset_x
      - .offset:         176
        .size:           8
        .value_kind:     hidden_global_offset_y
      - .offset:         184
        .size:           8
        .value_kind:     hidden_global_offset_z
      - .offset:         192
        .size:           2
        .value_kind:     hidden_grid_dims
      - .offset:         248
        .size:           4
        .value_kind:     hidden_dynamic_lds_size
    .group_segment_fixed_size: 240
    .kernarg_segment_align: 8
    .kernarg_segment_size: 384
    .language:       OpenCL C
    .language_version:
      - 2
      - 0
    .max_flat_workgroup_size: 1024
    .name:           _ZN4vllm25paged_attention_v1_kernelI14__hip_bfloat16hLi112ELi8ELi128ELNS_18Fp8KVCacheDataTypeE1ELb1EEEvPT_PKS3_PKT0_S9_ifPKiSB_iPKfiiiSD_SD_iiiii
    .private_segment_fixed_size: 0
    .sgpr_count:     62
    .sgpr_spill_count: 0
    .symbol:         _ZN4vllm25paged_attention_v1_kernelI14__hip_bfloat16hLi112ELi8ELi128ELNS_18Fp8KVCacheDataTypeE1ELb1EEEvPT_PKS3_PKT0_S9_ifPKiSB_iPKfiiiSD_SD_iiiii.kd
    .uniform_work_group_size: 1
    .uses_dynamic_stack: false
    .vgpr_count:     51
    .vgpr_spill_count: 0
    .wavefront_size: 64
  - .args:
      - .actual_access:  write_only
        .address_space:  global
        .offset:         0
        .size:           8
        .value_kind:     global_buffer
      - .actual_access:  read_only
        .address_space:  global
        .offset:         8
        .size:           8
        .value_kind:     global_buffer
      - .actual_access:  read_only
        .address_space:  global
        .offset:         16
        .size:           8
        .value_kind:     global_buffer
      - .actual_access:  read_only
        .address_space:  global
        .offset:         24
        .size:           8
        .value_kind:     global_buffer
      - .offset:         32
        .size:           4
        .value_kind:     by_value
      - .offset:         36
        .size:           4
        .value_kind:     by_value
      - .actual_access:  read_only
        .address_space:  global
        .offset:         40
        .size:           8
        .value_kind:     global_buffer
      - .actual_access:  read_only
        .address_space:  global
        .offset:         48
        .size:           8
        .value_kind:     global_buffer
      - .offset:         56
        .size:           4
        .value_kind:     by_value
      - .actual_access:  read_only
        .address_space:  global
        .offset:         64
        .size:           8
        .value_kind:     global_buffer
      - .offset:         72
        .size:           4
        .value_kind:     by_value
      - .offset:         76
        .size:           4
        .value_kind:     by_value
      - .offset:         80
        .size:           4
        .value_kind:     by_value
      - .address_space:  global
        .offset:         88
        .size:           8
        .value_kind:     global_buffer
      - .address_space:  global
        .offset:         96
        .size:           8
        .value_kind:     global_buffer
      - .offset:         104
        .size:           4
        .value_kind:     by_value
      - .offset:         108
        .size:           4
        .value_kind:     by_value
      - .offset:         112
        .size:           4
        .value_kind:     by_value
      - .offset:         116
        .size:           4
        .value_kind:     by_value
      - .offset:         120
        .size:           4
        .value_kind:     by_value
      - .offset:         128
        .size:           4
        .value_kind:     hidden_block_count_x
      - .offset:         132
        .size:           4
        .value_kind:     hidden_block_count_y
      - .offset:         136
        .size:           4
        .value_kind:     hidden_block_count_z
      - .offset:         140
        .size:           2
        .value_kind:     hidden_group_size_x
      - .offset:         142
        .size:           2
        .value_kind:     hidden_group_size_y
      - .offset:         144
        .size:           2
        .value_kind:     hidden_group_size_z
      - .offset:         146
        .size:           2
        .value_kind:     hidden_remainder_x
      - .offset:         148
        .size:           2
        .value_kind:     hidden_remainder_y
      - .offset:         150
        .size:           2
        .value_kind:     hidden_remainder_z
      - .offset:         168
        .size:           8
        .value_kind:     hidden_global_offset_x
      - .offset:         176
        .size:           8
        .value_kind:     hidden_global_offset_y
      - .offset:         184
        .size:           8
        .value_kind:     hidden_global_offset_z
      - .offset:         192
        .size:           2
        .value_kind:     hidden_grid_dims
      - .offset:         248
        .size:           4
        .value_kind:     hidden_dynamic_lds_size
    .group_segment_fixed_size: 256
    .kernarg_segment_align: 8
    .kernarg_segment_size: 384
    .language:       OpenCL C
    .language_version:
      - 2
      - 0
    .max_flat_workgroup_size: 1024
    .name:           _ZN4vllm25paged_attention_v1_kernelI14__hip_bfloat16hLi120ELi8ELi128ELNS_18Fp8KVCacheDataTypeE1ELb1EEEvPT_PKS3_PKT0_S9_ifPKiSB_iPKfiiiSD_SD_iiiii
    .private_segment_fixed_size: 0
    .sgpr_count:     62
    .sgpr_spill_count: 0
    .symbol:         _ZN4vllm25paged_attention_v1_kernelI14__hip_bfloat16hLi120ELi8ELi128ELNS_18Fp8KVCacheDataTypeE1ELb1EEEvPT_PKS3_PKT0_S9_ifPKiSB_iPKfiiiSD_SD_iiiii.kd
    .uniform_work_group_size: 1
    .uses_dynamic_stack: false
    .vgpr_count:     53
    .vgpr_spill_count: 0
    .wavefront_size: 64
  - .args:
      - .actual_access:  write_only
        .address_space:  global
        .offset:         0
        .size:           8
        .value_kind:     global_buffer
      - .actual_access:  read_only
        .address_space:  global
        .offset:         8
        .size:           8
        .value_kind:     global_buffer
      - .actual_access:  read_only
        .address_space:  global
        .offset:         16
        .size:           8
        .value_kind:     global_buffer
      - .actual_access:  read_only
        .address_space:  global
        .offset:         24
        .size:           8
        .value_kind:     global_buffer
      - .offset:         32
        .size:           4
        .value_kind:     by_value
      - .offset:         36
        .size:           4
        .value_kind:     by_value
      - .actual_access:  read_only
        .address_space:  global
        .offset:         40
        .size:           8
        .value_kind:     global_buffer
      - .actual_access:  read_only
        .address_space:  global
        .offset:         48
        .size:           8
        .value_kind:     global_buffer
      - .offset:         56
        .size:           4
        .value_kind:     by_value
      - .actual_access:  read_only
        .address_space:  global
        .offset:         64
        .size:           8
        .value_kind:     global_buffer
      - .offset:         72
        .size:           4
        .value_kind:     by_value
      - .offset:         76
        .size:           4
        .value_kind:     by_value
      - .offset:         80
        .size:           4
        .value_kind:     by_value
      - .address_space:  global
        .offset:         88
        .size:           8
        .value_kind:     global_buffer
      - .address_space:  global
        .offset:         96
        .size:           8
        .value_kind:     global_buffer
      - .offset:         104
        .size:           4
        .value_kind:     by_value
      - .offset:         108
        .size:           4
        .value_kind:     by_value
      - .offset:         112
        .size:           4
        .value_kind:     by_value
      - .offset:         116
        .size:           4
        .value_kind:     by_value
      - .offset:         120
        .size:           4
        .value_kind:     by_value
      - .offset:         128
        .size:           4
        .value_kind:     hidden_block_count_x
      - .offset:         132
        .size:           4
        .value_kind:     hidden_block_count_y
      - .offset:         136
        .size:           4
        .value_kind:     hidden_block_count_z
      - .offset:         140
        .size:           2
        .value_kind:     hidden_group_size_x
      - .offset:         142
        .size:           2
        .value_kind:     hidden_group_size_y
      - .offset:         144
        .size:           2
        .value_kind:     hidden_group_size_z
      - .offset:         146
        .size:           2
        .value_kind:     hidden_remainder_x
      - .offset:         148
        .size:           2
        .value_kind:     hidden_remainder_y
      - .offset:         150
        .size:           2
        .value_kind:     hidden_remainder_z
      - .offset:         168
        .size:           8
        .value_kind:     hidden_global_offset_x
      - .offset:         176
        .size:           8
        .value_kind:     hidden_global_offset_y
      - .offset:         184
        .size:           8
        .value_kind:     hidden_global_offset_z
      - .offset:         192
        .size:           2
        .value_kind:     hidden_grid_dims
      - .offset:         248
        .size:           4
        .value_kind:     hidden_dynamic_lds_size
    .group_segment_fixed_size: 272
    .kernarg_segment_align: 8
    .kernarg_segment_size: 384
    .language:       OpenCL C
    .language_version:
      - 2
      - 0
    .max_flat_workgroup_size: 1024
    .name:           _ZN4vllm25paged_attention_v1_kernelI14__hip_bfloat16hLi128ELi8ELi128ELNS_18Fp8KVCacheDataTypeE1ELb1EEEvPT_PKS3_PKT0_S9_ifPKiSB_iPKfiiiSD_SD_iiiii
    .private_segment_fixed_size: 0
    .sgpr_count:     60
    .sgpr_spill_count: 0
    .symbol:         _ZN4vllm25paged_attention_v1_kernelI14__hip_bfloat16hLi128ELi8ELi128ELNS_18Fp8KVCacheDataTypeE1ELb1EEEvPT_PKS3_PKT0_S9_ifPKiSB_iPKfiiiSD_SD_iiiii.kd
    .uniform_work_group_size: 1
    .uses_dynamic_stack: false
    .vgpr_count:     55
    .vgpr_spill_count: 0
    .wavefront_size: 64
  - .args:
      - .actual_access:  write_only
        .address_space:  global
        .offset:         0
        .size:           8
        .value_kind:     global_buffer
      - .actual_access:  read_only
        .address_space:  global
        .offset:         8
        .size:           8
        .value_kind:     global_buffer
      - .actual_access:  read_only
        .address_space:  global
        .offset:         16
        .size:           8
        .value_kind:     global_buffer
      - .actual_access:  read_only
        .address_space:  global
        .offset:         24
        .size:           8
        .value_kind:     global_buffer
      - .offset:         32
        .size:           4
        .value_kind:     by_value
      - .offset:         36
        .size:           4
        .value_kind:     by_value
      - .actual_access:  read_only
        .address_space:  global
        .offset:         40
        .size:           8
        .value_kind:     global_buffer
      - .actual_access:  read_only
        .address_space:  global
        .offset:         48
        .size:           8
        .value_kind:     global_buffer
      - .offset:         56
        .size:           4
        .value_kind:     by_value
      - .actual_access:  read_only
        .address_space:  global
        .offset:         64
        .size:           8
        .value_kind:     global_buffer
      - .offset:         72
        .size:           4
        .value_kind:     by_value
      - .offset:         76
        .size:           4
        .value_kind:     by_value
      - .offset:         80
        .size:           4
        .value_kind:     by_value
      - .address_space:  global
        .offset:         88
        .size:           8
        .value_kind:     global_buffer
      - .address_space:  global
        .offset:         96
        .size:           8
        .value_kind:     global_buffer
      - .offset:         104
        .size:           4
        .value_kind:     by_value
      - .offset:         108
        .size:           4
        .value_kind:     by_value
      - .offset:         112
        .size:           4
        .value_kind:     by_value
      - .offset:         116
        .size:           4
        .value_kind:     by_value
      - .offset:         120
        .size:           4
        .value_kind:     by_value
      - .offset:         128
        .size:           4
        .value_kind:     hidden_block_count_x
      - .offset:         132
        .size:           4
        .value_kind:     hidden_block_count_y
      - .offset:         136
        .size:           4
        .value_kind:     hidden_block_count_z
      - .offset:         140
        .size:           2
        .value_kind:     hidden_group_size_x
      - .offset:         142
        .size:           2
        .value_kind:     hidden_group_size_y
      - .offset:         144
        .size:           2
        .value_kind:     hidden_group_size_z
      - .offset:         146
        .size:           2
        .value_kind:     hidden_remainder_x
      - .offset:         148
        .size:           2
        .value_kind:     hidden_remainder_y
      - .offset:         150
        .size:           2
        .value_kind:     hidden_remainder_z
      - .offset:         168
        .size:           8
        .value_kind:     hidden_global_offset_x
      - .offset:         176
        .size:           8
        .value_kind:     hidden_global_offset_y
      - .offset:         184
        .size:           8
        .value_kind:     hidden_global_offset_z
      - .offset:         192
        .size:           2
        .value_kind:     hidden_grid_dims
      - .offset:         248
        .size:           4
        .value_kind:     hidden_dynamic_lds_size
    .group_segment_fixed_size: 400
    .kernarg_segment_align: 8
    .kernarg_segment_size: 384
    .language:       OpenCL C
    .language_version:
      - 2
      - 0
    .max_flat_workgroup_size: 1024
    .name:           _ZN4vllm25paged_attention_v1_kernelI14__hip_bfloat16hLi192ELi8ELi128ELNS_18Fp8KVCacheDataTypeE1ELb1EEEvPT_PKS3_PKT0_S9_ifPKiSB_iPKfiiiSD_SD_iiiii
    .private_segment_fixed_size: 20
    .sgpr_count:     64
    .sgpr_spill_count: 0
    .symbol:         _ZN4vllm25paged_attention_v1_kernelI14__hip_bfloat16hLi192ELi8ELi128ELNS_18Fp8KVCacheDataTypeE1ELb1EEEvPT_PKS3_PKT0_S9_ifPKiSB_iPKfiiiSD_SD_iiiii.kd
    .uniform_work_group_size: 1
    .uses_dynamic_stack: false
    .vgpr_count:     64
    .vgpr_spill_count: 4
    .wavefront_size: 64
  - .args:
      - .actual_access:  write_only
        .address_space:  global
        .offset:         0
        .size:           8
        .value_kind:     global_buffer
      - .actual_access:  read_only
        .address_space:  global
        .offset:         8
        .size:           8
        .value_kind:     global_buffer
      - .actual_access:  read_only
        .address_space:  global
        .offset:         16
        .size:           8
        .value_kind:     global_buffer
      - .actual_access:  read_only
        .address_space:  global
        .offset:         24
        .size:           8
        .value_kind:     global_buffer
      - .offset:         32
        .size:           4
        .value_kind:     by_value
      - .offset:         36
        .size:           4
        .value_kind:     by_value
      - .actual_access:  read_only
        .address_space:  global
        .offset:         40
        .size:           8
        .value_kind:     global_buffer
      - .actual_access:  read_only
        .address_space:  global
        .offset:         48
        .size:           8
        .value_kind:     global_buffer
      - .offset:         56
        .size:           4
        .value_kind:     by_value
      - .actual_access:  read_only
        .address_space:  global
        .offset:         64
        .size:           8
        .value_kind:     global_buffer
      - .offset:         72
        .size:           4
        .value_kind:     by_value
      - .offset:         76
        .size:           4
        .value_kind:     by_value
      - .offset:         80
        .size:           4
        .value_kind:     by_value
      - .address_space:  global
        .offset:         88
        .size:           8
        .value_kind:     global_buffer
      - .address_space:  global
        .offset:         96
        .size:           8
        .value_kind:     global_buffer
      - .offset:         104
        .size:           4
        .value_kind:     by_value
      - .offset:         108
        .size:           4
        .value_kind:     by_value
      - .offset:         112
        .size:           4
        .value_kind:     by_value
      - .offset:         116
        .size:           4
        .value_kind:     by_value
      - .offset:         120
        .size:           4
        .value_kind:     by_value
      - .offset:         128
        .size:           4
        .value_kind:     hidden_block_count_x
      - .offset:         132
        .size:           4
        .value_kind:     hidden_block_count_y
      - .offset:         136
        .size:           4
        .value_kind:     hidden_block_count_z
      - .offset:         140
        .size:           2
        .value_kind:     hidden_group_size_x
      - .offset:         142
        .size:           2
        .value_kind:     hidden_group_size_y
      - .offset:         144
        .size:           2
        .value_kind:     hidden_group_size_z
      - .offset:         146
        .size:           2
        .value_kind:     hidden_remainder_x
      - .offset:         148
        .size:           2
        .value_kind:     hidden_remainder_y
      - .offset:         150
        .size:           2
        .value_kind:     hidden_remainder_z
      - .offset:         168
        .size:           8
        .value_kind:     hidden_global_offset_x
      - .offset:         176
        .size:           8
        .value_kind:     hidden_global_offset_y
      - .offset:         184
        .size:           8
        .value_kind:     hidden_global_offset_z
      - .offset:         192
        .size:           2
        .value_kind:     hidden_grid_dims
      - .offset:         248
        .size:           4
        .value_kind:     hidden_dynamic_lds_size
    .group_segment_fixed_size: 528
    .kernarg_segment_align: 8
    .kernarg_segment_size: 384
    .language:       OpenCL C
    .language_version:
      - 2
      - 0
    .max_flat_workgroup_size: 1024
    .name:           _ZN4vllm25paged_attention_v1_kernelI14__hip_bfloat16hLi256ELi8ELi128ELNS_18Fp8KVCacheDataTypeE1ELb1EEEvPT_PKS3_PKT0_S9_ifPKiSB_iPKfiiiSD_SD_iiiii
    .private_segment_fixed_size: 96
    .sgpr_count:     64
    .sgpr_spill_count: 0
    .symbol:         _ZN4vllm25paged_attention_v1_kernelI14__hip_bfloat16hLi256ELi8ELi128ELNS_18Fp8KVCacheDataTypeE1ELb1EEEvPT_PKS3_PKT0_S9_ifPKiSB_iPKfiiiSD_SD_iiiii.kd
    .uniform_work_group_size: 1
    .uses_dynamic_stack: false
    .vgpr_count:     64
    .vgpr_spill_count: 33
    .wavefront_size: 64
  - .args:
      - .actual_access:  write_only
        .address_space:  global
        .offset:         0
        .size:           8
        .value_kind:     global_buffer
      - .actual_access:  read_only
        .address_space:  global
        .offset:         8
        .size:           8
        .value_kind:     global_buffer
      - .actual_access:  read_only
        .address_space:  global
        .offset:         16
        .size:           8
        .value_kind:     global_buffer
      - .actual_access:  read_only
        .address_space:  global
        .offset:         24
        .size:           8
        .value_kind:     global_buffer
      - .offset:         32
        .size:           4
        .value_kind:     by_value
      - .offset:         36
        .size:           4
        .value_kind:     by_value
      - .actual_access:  read_only
        .address_space:  global
        .offset:         40
        .size:           8
        .value_kind:     global_buffer
      - .actual_access:  read_only
        .address_space:  global
        .offset:         48
        .size:           8
        .value_kind:     global_buffer
      - .offset:         56
        .size:           4
        .value_kind:     by_value
      - .actual_access:  read_only
        .address_space:  global
        .offset:         64
        .size:           8
        .value_kind:     global_buffer
      - .offset:         72
        .size:           4
        .value_kind:     by_value
      - .offset:         76
        .size:           4
        .value_kind:     by_value
      - .offset:         80
        .size:           4
        .value_kind:     by_value
      - .address_space:  global
        .offset:         88
        .size:           8
        .value_kind:     global_buffer
      - .address_space:  global
        .offset:         96
        .size:           8
        .value_kind:     global_buffer
      - .offset:         104
        .size:           4
        .value_kind:     by_value
      - .offset:         108
        .size:           4
        .value_kind:     by_value
      - .offset:         112
        .size:           4
        .value_kind:     by_value
      - .offset:         116
        .size:           4
        .value_kind:     by_value
      - .offset:         120
        .size:           4
        .value_kind:     by_value
      - .offset:         128
        .size:           4
        .value_kind:     hidden_block_count_x
      - .offset:         132
        .size:           4
        .value_kind:     hidden_block_count_y
      - .offset:         136
        .size:           4
        .value_kind:     hidden_block_count_z
      - .offset:         140
        .size:           2
        .value_kind:     hidden_group_size_x
      - .offset:         142
        .size:           2
        .value_kind:     hidden_group_size_y
      - .offset:         144
        .size:           2
        .value_kind:     hidden_group_size_z
      - .offset:         146
        .size:           2
        .value_kind:     hidden_remainder_x
      - .offset:         148
        .size:           2
        .value_kind:     hidden_remainder_y
      - .offset:         150
        .size:           2
        .value_kind:     hidden_remainder_z
      - .offset:         168
        .size:           8
        .value_kind:     hidden_global_offset_x
      - .offset:         176
        .size:           8
        .value_kind:     hidden_global_offset_y
      - .offset:         184
        .size:           8
        .value_kind:     hidden_global_offset_z
      - .offset:         192
        .size:           2
        .value_kind:     hidden_grid_dims
      - .offset:         248
        .size:           4
        .value_kind:     hidden_dynamic_lds_size
    .group_segment_fixed_size: 80
    .kernarg_segment_align: 8
    .kernarg_segment_size: 384
    .language:       OpenCL C
    .language_version:
      - 2
      - 0
    .max_flat_workgroup_size: 1024
    .name:           _ZN4vllm25paged_attention_v1_kernelI14__hip_bfloat16hLi32ELi8ELi128ELNS_18Fp8KVCacheDataTypeE1ELb0EEEvPT_PKS3_PKT0_S9_ifPKiSB_iPKfiiiSD_SD_iiiii
    .private_segment_fixed_size: 0
    .sgpr_count:     48
    .sgpr_spill_count: 0
    .symbol:         _ZN4vllm25paged_attention_v1_kernelI14__hip_bfloat16hLi32ELi8ELi128ELNS_18Fp8KVCacheDataTypeE1ELb0EEEvPT_PKS3_PKT0_S9_ifPKiSB_iPKfiiiSD_SD_iiiii.kd
    .uniform_work_group_size: 1
    .uses_dynamic_stack: false
    .vgpr_count:     36
    .vgpr_spill_count: 0
    .wavefront_size: 64
  - .args:
      - .actual_access:  write_only
        .address_space:  global
        .offset:         0
        .size:           8
        .value_kind:     global_buffer
      - .actual_access:  read_only
        .address_space:  global
        .offset:         8
        .size:           8
        .value_kind:     global_buffer
      - .actual_access:  read_only
        .address_space:  global
        .offset:         16
        .size:           8
        .value_kind:     global_buffer
      - .actual_access:  read_only
        .address_space:  global
        .offset:         24
        .size:           8
        .value_kind:     global_buffer
      - .offset:         32
        .size:           4
        .value_kind:     by_value
      - .offset:         36
        .size:           4
        .value_kind:     by_value
      - .actual_access:  read_only
        .address_space:  global
        .offset:         40
        .size:           8
        .value_kind:     global_buffer
      - .actual_access:  read_only
        .address_space:  global
        .offset:         48
        .size:           8
        .value_kind:     global_buffer
      - .offset:         56
        .size:           4
        .value_kind:     by_value
      - .actual_access:  read_only
        .address_space:  global
        .offset:         64
        .size:           8
        .value_kind:     global_buffer
      - .offset:         72
        .size:           4
        .value_kind:     by_value
      - .offset:         76
        .size:           4
        .value_kind:     by_value
      - .offset:         80
        .size:           4
        .value_kind:     by_value
      - .address_space:  global
        .offset:         88
        .size:           8
        .value_kind:     global_buffer
      - .address_space:  global
        .offset:         96
        .size:           8
        .value_kind:     global_buffer
      - .offset:         104
        .size:           4
        .value_kind:     by_value
      - .offset:         108
        .size:           4
        .value_kind:     by_value
      - .offset:         112
        .size:           4
        .value_kind:     by_value
      - .offset:         116
        .size:           4
        .value_kind:     by_value
      - .offset:         120
        .size:           4
        .value_kind:     by_value
      - .offset:         128
        .size:           4
        .value_kind:     hidden_block_count_x
      - .offset:         132
        .size:           4
        .value_kind:     hidden_block_count_y
      - .offset:         136
        .size:           4
        .value_kind:     hidden_block_count_z
      - .offset:         140
        .size:           2
        .value_kind:     hidden_group_size_x
      - .offset:         142
        .size:           2
        .value_kind:     hidden_group_size_y
      - .offset:         144
        .size:           2
        .value_kind:     hidden_group_size_z
      - .offset:         146
        .size:           2
        .value_kind:     hidden_remainder_x
      - .offset:         148
        .size:           2
        .value_kind:     hidden_remainder_y
      - .offset:         150
        .size:           2
        .value_kind:     hidden_remainder_z
      - .offset:         168
        .size:           8
        .value_kind:     hidden_global_offset_x
      - .offset:         176
        .size:           8
        .value_kind:     hidden_global_offset_y
      - .offset:         184
        .size:           8
        .value_kind:     hidden_global_offset_z
      - .offset:         192
        .size:           2
        .value_kind:     hidden_grid_dims
      - .offset:         248
        .size:           4
        .value_kind:     hidden_dynamic_lds_size
    .group_segment_fixed_size: 144
    .kernarg_segment_align: 8
    .kernarg_segment_size: 384
    .language:       OpenCL C
    .language_version:
      - 2
      - 0
    .max_flat_workgroup_size: 1024
    .name:           _ZN4vllm25paged_attention_v1_kernelI14__hip_bfloat16hLi64ELi8ELi128ELNS_18Fp8KVCacheDataTypeE1ELb0EEEvPT_PKS3_PKT0_S9_ifPKiSB_iPKfiiiSD_SD_iiiii
    .private_segment_fixed_size: 0
    .sgpr_count:     50
    .sgpr_spill_count: 0
    .symbol:         _ZN4vllm25paged_attention_v1_kernelI14__hip_bfloat16hLi64ELi8ELi128ELNS_18Fp8KVCacheDataTypeE1ELb0EEEvPT_PKS3_PKT0_S9_ifPKiSB_iPKfiiiSD_SD_iiiii.kd
    .uniform_work_group_size: 1
    .uses_dynamic_stack: false
    .vgpr_count:     42
    .vgpr_spill_count: 0
    .wavefront_size: 64
  - .args:
      - .actual_access:  write_only
        .address_space:  global
        .offset:         0
        .size:           8
        .value_kind:     global_buffer
      - .actual_access:  read_only
        .address_space:  global
        .offset:         8
        .size:           8
        .value_kind:     global_buffer
      - .actual_access:  read_only
        .address_space:  global
        .offset:         16
        .size:           8
        .value_kind:     global_buffer
      - .actual_access:  read_only
        .address_space:  global
        .offset:         24
        .size:           8
        .value_kind:     global_buffer
      - .offset:         32
        .size:           4
        .value_kind:     by_value
      - .offset:         36
        .size:           4
        .value_kind:     by_value
      - .actual_access:  read_only
        .address_space:  global
        .offset:         40
        .size:           8
        .value_kind:     global_buffer
      - .actual_access:  read_only
        .address_space:  global
        .offset:         48
        .size:           8
        .value_kind:     global_buffer
      - .offset:         56
        .size:           4
        .value_kind:     by_value
      - .actual_access:  read_only
        .address_space:  global
        .offset:         64
        .size:           8
        .value_kind:     global_buffer
      - .offset:         72
        .size:           4
        .value_kind:     by_value
      - .offset:         76
        .size:           4
        .value_kind:     by_value
      - .offset:         80
        .size:           4
        .value_kind:     by_value
      - .address_space:  global
        .offset:         88
        .size:           8
        .value_kind:     global_buffer
      - .address_space:  global
        .offset:         96
        .size:           8
        .value_kind:     global_buffer
      - .offset:         104
        .size:           4
        .value_kind:     by_value
      - .offset:         108
        .size:           4
        .value_kind:     by_value
      - .offset:         112
        .size:           4
        .value_kind:     by_value
      - .offset:         116
        .size:           4
        .value_kind:     by_value
      - .offset:         120
        .size:           4
        .value_kind:     by_value
      - .offset:         128
        .size:           4
        .value_kind:     hidden_block_count_x
      - .offset:         132
        .size:           4
        .value_kind:     hidden_block_count_y
      - .offset:         136
        .size:           4
        .value_kind:     hidden_block_count_z
      - .offset:         140
        .size:           2
        .value_kind:     hidden_group_size_x
      - .offset:         142
        .size:           2
        .value_kind:     hidden_group_size_y
      - .offset:         144
        .size:           2
        .value_kind:     hidden_group_size_z
      - .offset:         146
        .size:           2
        .value_kind:     hidden_remainder_x
      - .offset:         148
        .size:           2
        .value_kind:     hidden_remainder_y
      - .offset:         150
        .size:           2
        .value_kind:     hidden_remainder_z
      - .offset:         168
        .size:           8
        .value_kind:     hidden_global_offset_x
      - .offset:         176
        .size:           8
        .value_kind:     hidden_global_offset_y
      - .offset:         184
        .size:           8
        .value_kind:     hidden_global_offset_z
      - .offset:         192
        .size:           2
        .value_kind:     hidden_grid_dims
      - .offset:         248
        .size:           4
        .value_kind:     hidden_dynamic_lds_size
    .group_segment_fixed_size: 176
    .kernarg_segment_align: 8
    .kernarg_segment_size: 384
    .language:       OpenCL C
    .language_version:
      - 2
      - 0
    .max_flat_workgroup_size: 1024
    .name:           _ZN4vllm25paged_attention_v1_kernelI14__hip_bfloat16hLi80ELi8ELi128ELNS_18Fp8KVCacheDataTypeE1ELb0EEEvPT_PKS3_PKT0_S9_ifPKiSB_iPKfiiiSD_SD_iiiii
    .private_segment_fixed_size: 0
    .sgpr_count:     50
    .sgpr_spill_count: 0
    .symbol:         _ZN4vllm25paged_attention_v1_kernelI14__hip_bfloat16hLi80ELi8ELi128ELNS_18Fp8KVCacheDataTypeE1ELb0EEEvPT_PKS3_PKT0_S9_ifPKiSB_iPKfiiiSD_SD_iiiii.kd
    .uniform_work_group_size: 1
    .uses_dynamic_stack: false
    .vgpr_count:     47
    .vgpr_spill_count: 0
    .wavefront_size: 64
  - .args:
      - .actual_access:  write_only
        .address_space:  global
        .offset:         0
        .size:           8
        .value_kind:     global_buffer
      - .actual_access:  read_only
        .address_space:  global
        .offset:         8
        .size:           8
        .value_kind:     global_buffer
      - .actual_access:  read_only
        .address_space:  global
        .offset:         16
        .size:           8
        .value_kind:     global_buffer
      - .actual_access:  read_only
        .address_space:  global
        .offset:         24
        .size:           8
        .value_kind:     global_buffer
      - .offset:         32
        .size:           4
        .value_kind:     by_value
      - .offset:         36
        .size:           4
        .value_kind:     by_value
      - .actual_access:  read_only
        .address_space:  global
        .offset:         40
        .size:           8
        .value_kind:     global_buffer
      - .actual_access:  read_only
        .address_space:  global
        .offset:         48
        .size:           8
        .value_kind:     global_buffer
      - .offset:         56
        .size:           4
        .value_kind:     by_value
      - .actual_access:  read_only
        .address_space:  global
        .offset:         64
        .size:           8
        .value_kind:     global_buffer
      - .offset:         72
        .size:           4
        .value_kind:     by_value
      - .offset:         76
        .size:           4
        .value_kind:     by_value
      - .offset:         80
        .size:           4
        .value_kind:     by_value
      - .address_space:  global
        .offset:         88
        .size:           8
        .value_kind:     global_buffer
      - .address_space:  global
        .offset:         96
        .size:           8
        .value_kind:     global_buffer
      - .offset:         104
        .size:           4
        .value_kind:     by_value
      - .offset:         108
        .size:           4
        .value_kind:     by_value
      - .offset:         112
        .size:           4
        .value_kind:     by_value
      - .offset:         116
        .size:           4
        .value_kind:     by_value
      - .offset:         120
        .size:           4
        .value_kind:     by_value
      - .offset:         128
        .size:           4
        .value_kind:     hidden_block_count_x
      - .offset:         132
        .size:           4
        .value_kind:     hidden_block_count_y
      - .offset:         136
        .size:           4
        .value_kind:     hidden_block_count_z
      - .offset:         140
        .size:           2
        .value_kind:     hidden_group_size_x
      - .offset:         142
        .size:           2
        .value_kind:     hidden_group_size_y
      - .offset:         144
        .size:           2
        .value_kind:     hidden_group_size_z
      - .offset:         146
        .size:           2
        .value_kind:     hidden_remainder_x
      - .offset:         148
        .size:           2
        .value_kind:     hidden_remainder_y
      - .offset:         150
        .size:           2
        .value_kind:     hidden_remainder_z
      - .offset:         168
        .size:           8
        .value_kind:     hidden_global_offset_x
      - .offset:         176
        .size:           8
        .value_kind:     hidden_global_offset_y
      - .offset:         184
        .size:           8
        .value_kind:     hidden_global_offset_z
      - .offset:         192
        .size:           2
        .value_kind:     hidden_grid_dims
      - .offset:         248
        .size:           4
        .value_kind:     hidden_dynamic_lds_size
    .group_segment_fixed_size: 208
    .kernarg_segment_align: 8
    .kernarg_segment_size: 384
    .language:       OpenCL C
    .language_version:
      - 2
      - 0
    .max_flat_workgroup_size: 1024
    .name:           _ZN4vllm25paged_attention_v1_kernelI14__hip_bfloat16hLi96ELi8ELi128ELNS_18Fp8KVCacheDataTypeE1ELb0EEEvPT_PKS3_PKT0_S9_ifPKiSB_iPKfiiiSD_SD_iiiii
    .private_segment_fixed_size: 0
    .sgpr_count:     50
    .sgpr_spill_count: 0
    .symbol:         _ZN4vllm25paged_attention_v1_kernelI14__hip_bfloat16hLi96ELi8ELi128ELNS_18Fp8KVCacheDataTypeE1ELb0EEEvPT_PKS3_PKT0_S9_ifPKiSB_iPKfiiiSD_SD_iiiii.kd
    .uniform_work_group_size: 1
    .uses_dynamic_stack: false
    .vgpr_count:     51
    .vgpr_spill_count: 0
    .wavefront_size: 64
  - .args:
      - .actual_access:  write_only
        .address_space:  global
        .offset:         0
        .size:           8
        .value_kind:     global_buffer
      - .actual_access:  read_only
        .address_space:  global
        .offset:         8
        .size:           8
        .value_kind:     global_buffer
      - .actual_access:  read_only
        .address_space:  global
        .offset:         16
        .size:           8
        .value_kind:     global_buffer
      - .actual_access:  read_only
        .address_space:  global
        .offset:         24
        .size:           8
        .value_kind:     global_buffer
      - .offset:         32
        .size:           4
        .value_kind:     by_value
      - .offset:         36
        .size:           4
        .value_kind:     by_value
      - .actual_access:  read_only
        .address_space:  global
        .offset:         40
        .size:           8
        .value_kind:     global_buffer
      - .actual_access:  read_only
        .address_space:  global
        .offset:         48
        .size:           8
        .value_kind:     global_buffer
      - .offset:         56
        .size:           4
        .value_kind:     by_value
      - .actual_access:  read_only
        .address_space:  global
        .offset:         64
        .size:           8
        .value_kind:     global_buffer
      - .offset:         72
        .size:           4
        .value_kind:     by_value
      - .offset:         76
        .size:           4
        .value_kind:     by_value
      - .offset:         80
        .size:           4
        .value_kind:     by_value
      - .address_space:  global
        .offset:         88
        .size:           8
        .value_kind:     global_buffer
      - .address_space:  global
        .offset:         96
        .size:           8
        .value_kind:     global_buffer
      - .offset:         104
        .size:           4
        .value_kind:     by_value
      - .offset:         108
        .size:           4
        .value_kind:     by_value
      - .offset:         112
        .size:           4
        .value_kind:     by_value
      - .offset:         116
        .size:           4
        .value_kind:     by_value
      - .offset:         120
        .size:           4
        .value_kind:     by_value
      - .offset:         128
        .size:           4
        .value_kind:     hidden_block_count_x
      - .offset:         132
        .size:           4
        .value_kind:     hidden_block_count_y
      - .offset:         136
        .size:           4
        .value_kind:     hidden_block_count_z
      - .offset:         140
        .size:           2
        .value_kind:     hidden_group_size_x
      - .offset:         142
        .size:           2
        .value_kind:     hidden_group_size_y
      - .offset:         144
        .size:           2
        .value_kind:     hidden_group_size_z
      - .offset:         146
        .size:           2
        .value_kind:     hidden_remainder_x
      - .offset:         148
        .size:           2
        .value_kind:     hidden_remainder_y
      - .offset:         150
        .size:           2
        .value_kind:     hidden_remainder_z
      - .offset:         168
        .size:           8
        .value_kind:     hidden_global_offset_x
      - .offset:         176
        .size:           8
        .value_kind:     hidden_global_offset_y
      - .offset:         184
        .size:           8
        .value_kind:     hidden_global_offset_z
      - .offset:         192
        .size:           2
        .value_kind:     hidden_grid_dims
      - .offset:         248
        .size:           4
        .value_kind:     hidden_dynamic_lds_size
    .group_segment_fixed_size: 240
    .kernarg_segment_align: 8
    .kernarg_segment_size: 384
    .language:       OpenCL C
    .language_version:
      - 2
      - 0
    .max_flat_workgroup_size: 1024
    .name:           _ZN4vllm25paged_attention_v1_kernelI14__hip_bfloat16hLi112ELi8ELi128ELNS_18Fp8KVCacheDataTypeE1ELb0EEEvPT_PKS3_PKT0_S9_ifPKiSB_iPKfiiiSD_SD_iiiii
    .private_segment_fixed_size: 0
    .sgpr_count:     50
    .sgpr_spill_count: 0
    .symbol:         _ZN4vllm25paged_attention_v1_kernelI14__hip_bfloat16hLi112ELi8ELi128ELNS_18Fp8KVCacheDataTypeE1ELb0EEEvPT_PKS3_PKT0_S9_ifPKiSB_iPKfiiiSD_SD_iiiii.kd
    .uniform_work_group_size: 1
    .uses_dynamic_stack: false
    .vgpr_count:     55
    .vgpr_spill_count: 0
    .wavefront_size: 64
  - .args:
      - .actual_access:  write_only
        .address_space:  global
        .offset:         0
        .size:           8
        .value_kind:     global_buffer
      - .actual_access:  read_only
        .address_space:  global
        .offset:         8
        .size:           8
        .value_kind:     global_buffer
      - .actual_access:  read_only
        .address_space:  global
        .offset:         16
        .size:           8
        .value_kind:     global_buffer
      - .actual_access:  read_only
        .address_space:  global
        .offset:         24
        .size:           8
        .value_kind:     global_buffer
      - .offset:         32
        .size:           4
        .value_kind:     by_value
      - .offset:         36
        .size:           4
        .value_kind:     by_value
      - .actual_access:  read_only
        .address_space:  global
        .offset:         40
        .size:           8
        .value_kind:     global_buffer
      - .actual_access:  read_only
        .address_space:  global
        .offset:         48
        .size:           8
        .value_kind:     global_buffer
      - .offset:         56
        .size:           4
        .value_kind:     by_value
      - .actual_access:  read_only
        .address_space:  global
        .offset:         64
        .size:           8
        .value_kind:     global_buffer
      - .offset:         72
        .size:           4
        .value_kind:     by_value
      - .offset:         76
        .size:           4
        .value_kind:     by_value
      - .offset:         80
        .size:           4
        .value_kind:     by_value
      - .address_space:  global
        .offset:         88
        .size:           8
        .value_kind:     global_buffer
      - .address_space:  global
        .offset:         96
        .size:           8
        .value_kind:     global_buffer
      - .offset:         104
        .size:           4
        .value_kind:     by_value
      - .offset:         108
        .size:           4
        .value_kind:     by_value
      - .offset:         112
        .size:           4
        .value_kind:     by_value
      - .offset:         116
        .size:           4
        .value_kind:     by_value
      - .offset:         120
        .size:           4
        .value_kind:     by_value
      - .offset:         128
        .size:           4
        .value_kind:     hidden_block_count_x
      - .offset:         132
        .size:           4
        .value_kind:     hidden_block_count_y
      - .offset:         136
        .size:           4
        .value_kind:     hidden_block_count_z
      - .offset:         140
        .size:           2
        .value_kind:     hidden_group_size_x
      - .offset:         142
        .size:           2
        .value_kind:     hidden_group_size_y
      - .offset:         144
        .size:           2
        .value_kind:     hidden_group_size_z
      - .offset:         146
        .size:           2
        .value_kind:     hidden_remainder_x
      - .offset:         148
        .size:           2
        .value_kind:     hidden_remainder_y
      - .offset:         150
        .size:           2
        .value_kind:     hidden_remainder_z
      - .offset:         168
        .size:           8
        .value_kind:     hidden_global_offset_x
      - .offset:         176
        .size:           8
        .value_kind:     hidden_global_offset_y
      - .offset:         184
        .size:           8
        .value_kind:     hidden_global_offset_z
      - .offset:         192
        .size:           2
        .value_kind:     hidden_grid_dims
      - .offset:         248
        .size:           4
        .value_kind:     hidden_dynamic_lds_size
    .group_segment_fixed_size: 256
    .kernarg_segment_align: 8
    .kernarg_segment_size: 384
    .language:       OpenCL C
    .language_version:
      - 2
      - 0
    .max_flat_workgroup_size: 1024
    .name:           _ZN4vllm25paged_attention_v1_kernelI14__hip_bfloat16hLi120ELi8ELi128ELNS_18Fp8KVCacheDataTypeE1ELb0EEEvPT_PKS3_PKT0_S9_ifPKiSB_iPKfiiiSD_SD_iiiii
    .private_segment_fixed_size: 0
    .sgpr_count:     50
    .sgpr_spill_count: 0
    .symbol:         _ZN4vllm25paged_attention_v1_kernelI14__hip_bfloat16hLi120ELi8ELi128ELNS_18Fp8KVCacheDataTypeE1ELb0EEEvPT_PKS3_PKT0_S9_ifPKiSB_iPKfiiiSD_SD_iiiii.kd
    .uniform_work_group_size: 1
    .uses_dynamic_stack: false
    .vgpr_count:     58
    .vgpr_spill_count: 0
    .wavefront_size: 64
  - .args:
      - .actual_access:  write_only
        .address_space:  global
        .offset:         0
        .size:           8
        .value_kind:     global_buffer
      - .actual_access:  read_only
        .address_space:  global
        .offset:         8
        .size:           8
        .value_kind:     global_buffer
      - .actual_access:  read_only
        .address_space:  global
        .offset:         16
        .size:           8
        .value_kind:     global_buffer
      - .actual_access:  read_only
        .address_space:  global
        .offset:         24
        .size:           8
        .value_kind:     global_buffer
      - .offset:         32
        .size:           4
        .value_kind:     by_value
      - .offset:         36
        .size:           4
        .value_kind:     by_value
      - .actual_access:  read_only
        .address_space:  global
        .offset:         40
        .size:           8
        .value_kind:     global_buffer
      - .actual_access:  read_only
        .address_space:  global
        .offset:         48
        .size:           8
        .value_kind:     global_buffer
      - .offset:         56
        .size:           4
        .value_kind:     by_value
      - .actual_access:  read_only
        .address_space:  global
        .offset:         64
        .size:           8
        .value_kind:     global_buffer
      - .offset:         72
        .size:           4
        .value_kind:     by_value
      - .offset:         76
        .size:           4
        .value_kind:     by_value
      - .offset:         80
        .size:           4
        .value_kind:     by_value
      - .address_space:  global
        .offset:         88
        .size:           8
        .value_kind:     global_buffer
      - .address_space:  global
        .offset:         96
        .size:           8
        .value_kind:     global_buffer
      - .offset:         104
        .size:           4
        .value_kind:     by_value
      - .offset:         108
        .size:           4
        .value_kind:     by_value
      - .offset:         112
        .size:           4
        .value_kind:     by_value
      - .offset:         116
        .size:           4
        .value_kind:     by_value
      - .offset:         120
        .size:           4
        .value_kind:     by_value
      - .offset:         128
        .size:           4
        .value_kind:     hidden_block_count_x
      - .offset:         132
        .size:           4
        .value_kind:     hidden_block_count_y
      - .offset:         136
        .size:           4
        .value_kind:     hidden_block_count_z
      - .offset:         140
        .size:           2
        .value_kind:     hidden_group_size_x
      - .offset:         142
        .size:           2
        .value_kind:     hidden_group_size_y
      - .offset:         144
        .size:           2
        .value_kind:     hidden_group_size_z
      - .offset:         146
        .size:           2
        .value_kind:     hidden_remainder_x
      - .offset:         148
        .size:           2
        .value_kind:     hidden_remainder_y
      - .offset:         150
        .size:           2
        .value_kind:     hidden_remainder_z
      - .offset:         168
        .size:           8
        .value_kind:     hidden_global_offset_x
      - .offset:         176
        .size:           8
        .value_kind:     hidden_global_offset_y
      - .offset:         184
        .size:           8
        .value_kind:     hidden_global_offset_z
      - .offset:         192
        .size:           2
        .value_kind:     hidden_grid_dims
      - .offset:         248
        .size:           4
        .value_kind:     hidden_dynamic_lds_size
    .group_segment_fixed_size: 272
    .kernarg_segment_align: 8
    .kernarg_segment_size: 384
    .language:       OpenCL C
    .language_version:
      - 2
      - 0
    .max_flat_workgroup_size: 1024
    .name:           _ZN4vllm25paged_attention_v1_kernelI14__hip_bfloat16hLi128ELi8ELi128ELNS_18Fp8KVCacheDataTypeE1ELb0EEEvPT_PKS3_PKT0_S9_ifPKiSB_iPKfiiiSD_SD_iiiii
    .private_segment_fixed_size: 0
    .sgpr_count:     48
    .sgpr_spill_count: 0
    .symbol:         _ZN4vllm25paged_attention_v1_kernelI14__hip_bfloat16hLi128ELi8ELi128ELNS_18Fp8KVCacheDataTypeE1ELb0EEEvPT_PKS3_PKT0_S9_ifPKiSB_iPKfiiiSD_SD_iiiii.kd
    .uniform_work_group_size: 1
    .uses_dynamic_stack: false
    .vgpr_count:     59
    .vgpr_spill_count: 0
    .wavefront_size: 64
  - .args:
      - .actual_access:  write_only
        .address_space:  global
        .offset:         0
        .size:           8
        .value_kind:     global_buffer
      - .actual_access:  read_only
        .address_space:  global
        .offset:         8
        .size:           8
        .value_kind:     global_buffer
      - .actual_access:  read_only
        .address_space:  global
        .offset:         16
        .size:           8
        .value_kind:     global_buffer
      - .actual_access:  read_only
        .address_space:  global
        .offset:         24
        .size:           8
        .value_kind:     global_buffer
      - .offset:         32
        .size:           4
        .value_kind:     by_value
      - .offset:         36
        .size:           4
        .value_kind:     by_value
      - .actual_access:  read_only
        .address_space:  global
        .offset:         40
        .size:           8
        .value_kind:     global_buffer
      - .actual_access:  read_only
        .address_space:  global
        .offset:         48
        .size:           8
        .value_kind:     global_buffer
      - .offset:         56
        .size:           4
        .value_kind:     by_value
      - .actual_access:  read_only
        .address_space:  global
        .offset:         64
        .size:           8
        .value_kind:     global_buffer
      - .offset:         72
        .size:           4
        .value_kind:     by_value
      - .offset:         76
        .size:           4
        .value_kind:     by_value
      - .offset:         80
        .size:           4
        .value_kind:     by_value
      - .address_space:  global
        .offset:         88
        .size:           8
        .value_kind:     global_buffer
      - .address_space:  global
        .offset:         96
        .size:           8
        .value_kind:     global_buffer
      - .offset:         104
        .size:           4
        .value_kind:     by_value
      - .offset:         108
        .size:           4
        .value_kind:     by_value
      - .offset:         112
        .size:           4
        .value_kind:     by_value
      - .offset:         116
        .size:           4
        .value_kind:     by_value
      - .offset:         120
        .size:           4
        .value_kind:     by_value
      - .offset:         128
        .size:           4
        .value_kind:     hidden_block_count_x
      - .offset:         132
        .size:           4
        .value_kind:     hidden_block_count_y
      - .offset:         136
        .size:           4
        .value_kind:     hidden_block_count_z
      - .offset:         140
        .size:           2
        .value_kind:     hidden_group_size_x
      - .offset:         142
        .size:           2
        .value_kind:     hidden_group_size_y
      - .offset:         144
        .size:           2
        .value_kind:     hidden_group_size_z
      - .offset:         146
        .size:           2
        .value_kind:     hidden_remainder_x
      - .offset:         148
        .size:           2
        .value_kind:     hidden_remainder_y
      - .offset:         150
        .size:           2
        .value_kind:     hidden_remainder_z
      - .offset:         168
        .size:           8
        .value_kind:     hidden_global_offset_x
      - .offset:         176
        .size:           8
        .value_kind:     hidden_global_offset_y
      - .offset:         184
        .size:           8
        .value_kind:     hidden_global_offset_z
      - .offset:         192
        .size:           2
        .value_kind:     hidden_grid_dims
      - .offset:         248
        .size:           4
        .value_kind:     hidden_dynamic_lds_size
    .group_segment_fixed_size: 400
    .kernarg_segment_align: 8
    .kernarg_segment_size: 384
    .language:       OpenCL C
    .language_version:
      - 2
      - 0
    .max_flat_workgroup_size: 1024
    .name:           _ZN4vllm25paged_attention_v1_kernelI14__hip_bfloat16hLi192ELi8ELi128ELNS_18Fp8KVCacheDataTypeE1ELb0EEEvPT_PKS3_PKT0_S9_ifPKiSB_iPKfiiiSD_SD_iiiii
    .private_segment_fixed_size: 36
    .sgpr_count:     52
    .sgpr_spill_count: 0
    .symbol:         _ZN4vllm25paged_attention_v1_kernelI14__hip_bfloat16hLi192ELi8ELi128ELNS_18Fp8KVCacheDataTypeE1ELb0EEEvPT_PKS3_PKT0_S9_ifPKiSB_iPKfiiiSD_SD_iiiii.kd
    .uniform_work_group_size: 1
    .uses_dynamic_stack: false
    .vgpr_count:     64
    .vgpr_spill_count: 8
    .wavefront_size: 64
  - .args:
      - .actual_access:  write_only
        .address_space:  global
        .offset:         0
        .size:           8
        .value_kind:     global_buffer
      - .actual_access:  read_only
        .address_space:  global
        .offset:         8
        .size:           8
        .value_kind:     global_buffer
      - .actual_access:  read_only
        .address_space:  global
        .offset:         16
        .size:           8
        .value_kind:     global_buffer
      - .actual_access:  read_only
        .address_space:  global
        .offset:         24
        .size:           8
        .value_kind:     global_buffer
      - .offset:         32
        .size:           4
        .value_kind:     by_value
      - .offset:         36
        .size:           4
        .value_kind:     by_value
      - .actual_access:  read_only
        .address_space:  global
        .offset:         40
        .size:           8
        .value_kind:     global_buffer
      - .actual_access:  read_only
        .address_space:  global
        .offset:         48
        .size:           8
        .value_kind:     global_buffer
      - .offset:         56
        .size:           4
        .value_kind:     by_value
      - .actual_access:  read_only
        .address_space:  global
        .offset:         64
        .size:           8
        .value_kind:     global_buffer
      - .offset:         72
        .size:           4
        .value_kind:     by_value
      - .offset:         76
        .size:           4
        .value_kind:     by_value
      - .offset:         80
        .size:           4
        .value_kind:     by_value
      - .address_space:  global
        .offset:         88
        .size:           8
        .value_kind:     global_buffer
      - .address_space:  global
        .offset:         96
        .size:           8
        .value_kind:     global_buffer
      - .offset:         104
        .size:           4
        .value_kind:     by_value
      - .offset:         108
        .size:           4
        .value_kind:     by_value
      - .offset:         112
        .size:           4
        .value_kind:     by_value
      - .offset:         116
        .size:           4
        .value_kind:     by_value
      - .offset:         120
        .size:           4
        .value_kind:     by_value
      - .offset:         128
        .size:           4
        .value_kind:     hidden_block_count_x
      - .offset:         132
        .size:           4
        .value_kind:     hidden_block_count_y
      - .offset:         136
        .size:           4
        .value_kind:     hidden_block_count_z
      - .offset:         140
        .size:           2
        .value_kind:     hidden_group_size_x
      - .offset:         142
        .size:           2
        .value_kind:     hidden_group_size_y
      - .offset:         144
        .size:           2
        .value_kind:     hidden_group_size_z
      - .offset:         146
        .size:           2
        .value_kind:     hidden_remainder_x
      - .offset:         148
        .size:           2
        .value_kind:     hidden_remainder_y
      - .offset:         150
        .size:           2
        .value_kind:     hidden_remainder_z
      - .offset:         168
        .size:           8
        .value_kind:     hidden_global_offset_x
      - .offset:         176
        .size:           8
        .value_kind:     hidden_global_offset_y
      - .offset:         184
        .size:           8
        .value_kind:     hidden_global_offset_z
      - .offset:         192
        .size:           2
        .value_kind:     hidden_grid_dims
      - .offset:         248
        .size:           4
        .value_kind:     hidden_dynamic_lds_size
    .group_segment_fixed_size: 528
    .kernarg_segment_align: 8
    .kernarg_segment_size: 384
    .language:       OpenCL C
    .language_version:
      - 2
      - 0
    .max_flat_workgroup_size: 1024
    .name:           _ZN4vllm25paged_attention_v1_kernelI14__hip_bfloat16hLi256ELi8ELi128ELNS_18Fp8KVCacheDataTypeE1ELb0EEEvPT_PKS3_PKT0_S9_ifPKiSB_iPKfiiiSD_SD_iiiii
    .private_segment_fixed_size: 104
    .sgpr_count:     52
    .sgpr_spill_count: 0
    .symbol:         _ZN4vllm25paged_attention_v1_kernelI14__hip_bfloat16hLi256ELi8ELi128ELNS_18Fp8KVCacheDataTypeE1ELb0EEEvPT_PKS3_PKT0_S9_ifPKiSB_iPKfiiiSD_SD_iiiii.kd
    .uniform_work_group_size: 1
    .uses_dynamic_stack: false
    .vgpr_count:     64
    .vgpr_spill_count: 27
    .wavefront_size: 64
  - .args:
      - .actual_access:  write_only
        .address_space:  global
        .offset:         0
        .size:           8
        .value_kind:     global_buffer
      - .actual_access:  read_only
        .address_space:  global
        .offset:         8
        .size:           8
        .value_kind:     global_buffer
      - .actual_access:  read_only
        .address_space:  global
        .offset:         16
        .size:           8
        .value_kind:     global_buffer
      - .actual_access:  read_only
        .address_space:  global
        .offset:         24
        .size:           8
        .value_kind:     global_buffer
      - .offset:         32
        .size:           4
        .value_kind:     by_value
      - .offset:         36
        .size:           4
        .value_kind:     by_value
      - .actual_access:  read_only
        .address_space:  global
        .offset:         40
        .size:           8
        .value_kind:     global_buffer
      - .actual_access:  read_only
        .address_space:  global
        .offset:         48
        .size:           8
        .value_kind:     global_buffer
      - .offset:         56
        .size:           4
        .value_kind:     by_value
      - .actual_access:  read_only
        .address_space:  global
        .offset:         64
        .size:           8
        .value_kind:     global_buffer
      - .offset:         72
        .size:           4
        .value_kind:     by_value
      - .offset:         76
        .size:           4
        .value_kind:     by_value
      - .offset:         80
        .size:           4
        .value_kind:     by_value
      - .address_space:  global
        .offset:         88
        .size:           8
        .value_kind:     global_buffer
      - .address_space:  global
        .offset:         96
        .size:           8
        .value_kind:     global_buffer
      - .offset:         104
        .size:           4
        .value_kind:     by_value
      - .offset:         108
        .size:           4
        .value_kind:     by_value
      - .offset:         112
        .size:           4
        .value_kind:     by_value
      - .offset:         116
        .size:           4
        .value_kind:     by_value
      - .offset:         120
        .size:           4
        .value_kind:     by_value
      - .offset:         128
        .size:           4
        .value_kind:     hidden_block_count_x
      - .offset:         132
        .size:           4
        .value_kind:     hidden_block_count_y
      - .offset:         136
        .size:           4
        .value_kind:     hidden_block_count_z
      - .offset:         140
        .size:           2
        .value_kind:     hidden_group_size_x
      - .offset:         142
        .size:           2
        .value_kind:     hidden_group_size_y
      - .offset:         144
        .size:           2
        .value_kind:     hidden_group_size_z
      - .offset:         146
        .size:           2
        .value_kind:     hidden_remainder_x
      - .offset:         148
        .size:           2
        .value_kind:     hidden_remainder_y
      - .offset:         150
        .size:           2
        .value_kind:     hidden_remainder_z
      - .offset:         168
        .size:           8
        .value_kind:     hidden_global_offset_x
      - .offset:         176
        .size:           8
        .value_kind:     hidden_global_offset_y
      - .offset:         184
        .size:           8
        .value_kind:     hidden_global_offset_z
      - .offset:         192
        .size:           2
        .value_kind:     hidden_grid_dims
      - .offset:         248
        .size:           4
        .value_kind:     hidden_dynamic_lds_size
    .group_segment_fixed_size: 80
    .kernarg_segment_align: 8
    .kernarg_segment_size: 384
    .language:       OpenCL C
    .language_version:
      - 2
      - 0
    .max_flat_workgroup_size: 1024
    .name:           _ZN4vllm25paged_attention_v1_kernelI14__hip_bfloat16hLi32ELi16ELi128ELNS_18Fp8KVCacheDataTypeE1ELb1EEEvPT_PKS3_PKT0_S9_ifPKiSB_iPKfiiiSD_SD_iiiii
    .private_segment_fixed_size: 0
    .sgpr_count:     60
    .sgpr_spill_count: 0
    .symbol:         _ZN4vllm25paged_attention_v1_kernelI14__hip_bfloat16hLi32ELi16ELi128ELNS_18Fp8KVCacheDataTypeE1ELb1EEEvPT_PKS3_PKT0_S9_ifPKiSB_iPKfiiiSD_SD_iiiii.kd
    .uniform_work_group_size: 1
    .uses_dynamic_stack: false
    .vgpr_count:     41
    .vgpr_spill_count: 0
    .wavefront_size: 64
  - .args:
      - .actual_access:  write_only
        .address_space:  global
        .offset:         0
        .size:           8
        .value_kind:     global_buffer
      - .actual_access:  read_only
        .address_space:  global
        .offset:         8
        .size:           8
        .value_kind:     global_buffer
      - .actual_access:  read_only
        .address_space:  global
        .offset:         16
        .size:           8
        .value_kind:     global_buffer
      - .actual_access:  read_only
        .address_space:  global
        .offset:         24
        .size:           8
        .value_kind:     global_buffer
      - .offset:         32
        .size:           4
        .value_kind:     by_value
      - .offset:         36
        .size:           4
        .value_kind:     by_value
      - .actual_access:  read_only
        .address_space:  global
        .offset:         40
        .size:           8
        .value_kind:     global_buffer
      - .actual_access:  read_only
        .address_space:  global
        .offset:         48
        .size:           8
        .value_kind:     global_buffer
      - .offset:         56
        .size:           4
        .value_kind:     by_value
      - .actual_access:  read_only
        .address_space:  global
        .offset:         64
        .size:           8
        .value_kind:     global_buffer
      - .offset:         72
        .size:           4
        .value_kind:     by_value
      - .offset:         76
        .size:           4
        .value_kind:     by_value
      - .offset:         80
        .size:           4
        .value_kind:     by_value
      - .address_space:  global
        .offset:         88
        .size:           8
        .value_kind:     global_buffer
      - .address_space:  global
        .offset:         96
        .size:           8
        .value_kind:     global_buffer
      - .offset:         104
        .size:           4
        .value_kind:     by_value
      - .offset:         108
        .size:           4
        .value_kind:     by_value
      - .offset:         112
        .size:           4
        .value_kind:     by_value
      - .offset:         116
        .size:           4
        .value_kind:     by_value
      - .offset:         120
        .size:           4
        .value_kind:     by_value
      - .offset:         128
        .size:           4
        .value_kind:     hidden_block_count_x
      - .offset:         132
        .size:           4
        .value_kind:     hidden_block_count_y
      - .offset:         136
        .size:           4
        .value_kind:     hidden_block_count_z
      - .offset:         140
        .size:           2
        .value_kind:     hidden_group_size_x
      - .offset:         142
        .size:           2
        .value_kind:     hidden_group_size_y
      - .offset:         144
        .size:           2
        .value_kind:     hidden_group_size_z
      - .offset:         146
        .size:           2
        .value_kind:     hidden_remainder_x
      - .offset:         148
        .size:           2
        .value_kind:     hidden_remainder_y
      - .offset:         150
        .size:           2
        .value_kind:     hidden_remainder_z
      - .offset:         168
        .size:           8
        .value_kind:     hidden_global_offset_x
      - .offset:         176
        .size:           8
        .value_kind:     hidden_global_offset_y
      - .offset:         184
        .size:           8
        .value_kind:     hidden_global_offset_z
      - .offset:         192
        .size:           2
        .value_kind:     hidden_grid_dims
      - .offset:         248
        .size:           4
        .value_kind:     hidden_dynamic_lds_size
    .group_segment_fixed_size: 144
    .kernarg_segment_align: 8
    .kernarg_segment_size: 384
    .language:       OpenCL C
    .language_version:
      - 2
      - 0
    .max_flat_workgroup_size: 1024
    .name:           _ZN4vllm25paged_attention_v1_kernelI14__hip_bfloat16hLi64ELi16ELi128ELNS_18Fp8KVCacheDataTypeE1ELb1EEEvPT_PKS3_PKT0_S9_ifPKiSB_iPKfiiiSD_SD_iiiii
    .private_segment_fixed_size: 0
    .sgpr_count:     60
    .sgpr_spill_count: 0
    .symbol:         _ZN4vllm25paged_attention_v1_kernelI14__hip_bfloat16hLi64ELi16ELi128ELNS_18Fp8KVCacheDataTypeE1ELb1EEEvPT_PKS3_PKT0_S9_ifPKiSB_iPKfiiiSD_SD_iiiii.kd
    .uniform_work_group_size: 1
    .uses_dynamic_stack: false
    .vgpr_count:     57
    .vgpr_spill_count: 0
    .wavefront_size: 64
  - .args:
      - .actual_access:  write_only
        .address_space:  global
        .offset:         0
        .size:           8
        .value_kind:     global_buffer
      - .actual_access:  read_only
        .address_space:  global
        .offset:         8
        .size:           8
        .value_kind:     global_buffer
      - .actual_access:  read_only
        .address_space:  global
        .offset:         16
        .size:           8
        .value_kind:     global_buffer
      - .actual_access:  read_only
        .address_space:  global
        .offset:         24
        .size:           8
        .value_kind:     global_buffer
      - .offset:         32
        .size:           4
        .value_kind:     by_value
      - .offset:         36
        .size:           4
        .value_kind:     by_value
      - .actual_access:  read_only
        .address_space:  global
        .offset:         40
        .size:           8
        .value_kind:     global_buffer
      - .actual_access:  read_only
        .address_space:  global
        .offset:         48
        .size:           8
        .value_kind:     global_buffer
      - .offset:         56
        .size:           4
        .value_kind:     by_value
      - .actual_access:  read_only
        .address_space:  global
        .offset:         64
        .size:           8
        .value_kind:     global_buffer
      - .offset:         72
        .size:           4
        .value_kind:     by_value
      - .offset:         76
        .size:           4
        .value_kind:     by_value
      - .offset:         80
        .size:           4
        .value_kind:     by_value
      - .address_space:  global
        .offset:         88
        .size:           8
        .value_kind:     global_buffer
      - .address_space:  global
        .offset:         96
        .size:           8
        .value_kind:     global_buffer
      - .offset:         104
        .size:           4
        .value_kind:     by_value
      - .offset:         108
        .size:           4
        .value_kind:     by_value
      - .offset:         112
        .size:           4
        .value_kind:     by_value
      - .offset:         116
        .size:           4
        .value_kind:     by_value
      - .offset:         120
        .size:           4
        .value_kind:     by_value
      - .offset:         128
        .size:           4
        .value_kind:     hidden_block_count_x
      - .offset:         132
        .size:           4
        .value_kind:     hidden_block_count_y
      - .offset:         136
        .size:           4
        .value_kind:     hidden_block_count_z
      - .offset:         140
        .size:           2
        .value_kind:     hidden_group_size_x
      - .offset:         142
        .size:           2
        .value_kind:     hidden_group_size_y
      - .offset:         144
        .size:           2
        .value_kind:     hidden_group_size_z
      - .offset:         146
        .size:           2
        .value_kind:     hidden_remainder_x
      - .offset:         148
        .size:           2
        .value_kind:     hidden_remainder_y
      - .offset:         150
        .size:           2
        .value_kind:     hidden_remainder_z
      - .offset:         168
        .size:           8
        .value_kind:     hidden_global_offset_x
      - .offset:         176
        .size:           8
        .value_kind:     hidden_global_offset_y
      - .offset:         184
        .size:           8
        .value_kind:     hidden_global_offset_z
      - .offset:         192
        .size:           2
        .value_kind:     hidden_grid_dims
      - .offset:         248
        .size:           4
        .value_kind:     hidden_dynamic_lds_size
    .group_segment_fixed_size: 176
    .kernarg_segment_align: 8
    .kernarg_segment_size: 384
    .language:       OpenCL C
    .language_version:
      - 2
      - 0
    .max_flat_workgroup_size: 1024
    .name:           _ZN4vllm25paged_attention_v1_kernelI14__hip_bfloat16hLi80ELi16ELi128ELNS_18Fp8KVCacheDataTypeE1ELb1EEEvPT_PKS3_PKT0_S9_ifPKiSB_iPKfiiiSD_SD_iiiii
    .private_segment_fixed_size: 0
    .sgpr_count:     60
    .sgpr_spill_count: 0
    .symbol:         _ZN4vllm25paged_attention_v1_kernelI14__hip_bfloat16hLi80ELi16ELi128ELNS_18Fp8KVCacheDataTypeE1ELb1EEEvPT_PKS3_PKT0_S9_ifPKiSB_iPKfiiiSD_SD_iiiii.kd
    .uniform_work_group_size: 1
    .uses_dynamic_stack: false
    .vgpr_count:     64
    .vgpr_spill_count: 0
    .wavefront_size: 64
  - .args:
      - .actual_access:  write_only
        .address_space:  global
        .offset:         0
        .size:           8
        .value_kind:     global_buffer
      - .actual_access:  read_only
        .address_space:  global
        .offset:         8
        .size:           8
        .value_kind:     global_buffer
      - .actual_access:  read_only
        .address_space:  global
        .offset:         16
        .size:           8
        .value_kind:     global_buffer
      - .actual_access:  read_only
        .address_space:  global
        .offset:         24
        .size:           8
        .value_kind:     global_buffer
      - .offset:         32
        .size:           4
        .value_kind:     by_value
      - .offset:         36
        .size:           4
        .value_kind:     by_value
      - .actual_access:  read_only
        .address_space:  global
        .offset:         40
        .size:           8
        .value_kind:     global_buffer
      - .actual_access:  read_only
        .address_space:  global
        .offset:         48
        .size:           8
        .value_kind:     global_buffer
      - .offset:         56
        .size:           4
        .value_kind:     by_value
      - .actual_access:  read_only
        .address_space:  global
        .offset:         64
        .size:           8
        .value_kind:     global_buffer
      - .offset:         72
        .size:           4
        .value_kind:     by_value
      - .offset:         76
        .size:           4
        .value_kind:     by_value
      - .offset:         80
        .size:           4
        .value_kind:     by_value
      - .address_space:  global
        .offset:         88
        .size:           8
        .value_kind:     global_buffer
      - .address_space:  global
        .offset:         96
        .size:           8
        .value_kind:     global_buffer
      - .offset:         104
        .size:           4
        .value_kind:     by_value
      - .offset:         108
        .size:           4
        .value_kind:     by_value
      - .offset:         112
        .size:           4
        .value_kind:     by_value
      - .offset:         116
        .size:           4
        .value_kind:     by_value
      - .offset:         120
        .size:           4
        .value_kind:     by_value
      - .offset:         128
        .size:           4
        .value_kind:     hidden_block_count_x
      - .offset:         132
        .size:           4
        .value_kind:     hidden_block_count_y
      - .offset:         136
        .size:           4
        .value_kind:     hidden_block_count_z
      - .offset:         140
        .size:           2
        .value_kind:     hidden_group_size_x
      - .offset:         142
        .size:           2
        .value_kind:     hidden_group_size_y
      - .offset:         144
        .size:           2
        .value_kind:     hidden_group_size_z
      - .offset:         146
        .size:           2
        .value_kind:     hidden_remainder_x
      - .offset:         148
        .size:           2
        .value_kind:     hidden_remainder_y
      - .offset:         150
        .size:           2
        .value_kind:     hidden_remainder_z
      - .offset:         168
        .size:           8
        .value_kind:     hidden_global_offset_x
      - .offset:         176
        .size:           8
        .value_kind:     hidden_global_offset_y
      - .offset:         184
        .size:           8
        .value_kind:     hidden_global_offset_z
      - .offset:         192
        .size:           2
        .value_kind:     hidden_grid_dims
      - .offset:         248
        .size:           4
        .value_kind:     hidden_dynamic_lds_size
    .group_segment_fixed_size: 208
    .kernarg_segment_align: 8
    .kernarg_segment_size: 384
    .language:       OpenCL C
    .language_version:
      - 2
      - 0
    .max_flat_workgroup_size: 1024
    .name:           _ZN4vllm25paged_attention_v1_kernelI14__hip_bfloat16hLi96ELi16ELi128ELNS_18Fp8KVCacheDataTypeE1ELb1EEEvPT_PKS3_PKT0_S9_ifPKiSB_iPKfiiiSD_SD_iiiii
    .private_segment_fixed_size: 28
    .sgpr_count:     64
    .sgpr_spill_count: 0
    .symbol:         _ZN4vllm25paged_attention_v1_kernelI14__hip_bfloat16hLi96ELi16ELi128ELNS_18Fp8KVCacheDataTypeE1ELb1EEEvPT_PKS3_PKT0_S9_ifPKiSB_iPKfiiiSD_SD_iiiii.kd
    .uniform_work_group_size: 1
    .uses_dynamic_stack: false
    .vgpr_count:     64
    .vgpr_spill_count: 6
    .wavefront_size: 64
  - .args:
      - .actual_access:  write_only
        .address_space:  global
        .offset:         0
        .size:           8
        .value_kind:     global_buffer
      - .actual_access:  read_only
        .address_space:  global
        .offset:         8
        .size:           8
        .value_kind:     global_buffer
      - .actual_access:  read_only
        .address_space:  global
        .offset:         16
        .size:           8
        .value_kind:     global_buffer
      - .actual_access:  read_only
        .address_space:  global
        .offset:         24
        .size:           8
        .value_kind:     global_buffer
      - .offset:         32
        .size:           4
        .value_kind:     by_value
      - .offset:         36
        .size:           4
        .value_kind:     by_value
      - .actual_access:  read_only
        .address_space:  global
        .offset:         40
        .size:           8
        .value_kind:     global_buffer
      - .actual_access:  read_only
        .address_space:  global
        .offset:         48
        .size:           8
        .value_kind:     global_buffer
      - .offset:         56
        .size:           4
        .value_kind:     by_value
      - .actual_access:  read_only
        .address_space:  global
        .offset:         64
        .size:           8
        .value_kind:     global_buffer
      - .offset:         72
        .size:           4
        .value_kind:     by_value
      - .offset:         76
        .size:           4
        .value_kind:     by_value
      - .offset:         80
        .size:           4
        .value_kind:     by_value
      - .address_space:  global
        .offset:         88
        .size:           8
        .value_kind:     global_buffer
      - .address_space:  global
        .offset:         96
        .size:           8
        .value_kind:     global_buffer
      - .offset:         104
        .size:           4
        .value_kind:     by_value
      - .offset:         108
        .size:           4
        .value_kind:     by_value
      - .offset:         112
        .size:           4
        .value_kind:     by_value
      - .offset:         116
        .size:           4
        .value_kind:     by_value
      - .offset:         120
        .size:           4
        .value_kind:     by_value
      - .offset:         128
        .size:           4
        .value_kind:     hidden_block_count_x
      - .offset:         132
        .size:           4
        .value_kind:     hidden_block_count_y
      - .offset:         136
        .size:           4
        .value_kind:     hidden_block_count_z
      - .offset:         140
        .size:           2
        .value_kind:     hidden_group_size_x
      - .offset:         142
        .size:           2
        .value_kind:     hidden_group_size_y
      - .offset:         144
        .size:           2
        .value_kind:     hidden_group_size_z
      - .offset:         146
        .size:           2
        .value_kind:     hidden_remainder_x
      - .offset:         148
        .size:           2
        .value_kind:     hidden_remainder_y
      - .offset:         150
        .size:           2
        .value_kind:     hidden_remainder_z
      - .offset:         168
        .size:           8
        .value_kind:     hidden_global_offset_x
      - .offset:         176
        .size:           8
        .value_kind:     hidden_global_offset_y
      - .offset:         184
        .size:           8
        .value_kind:     hidden_global_offset_z
      - .offset:         192
        .size:           2
        .value_kind:     hidden_grid_dims
      - .offset:         248
        .size:           4
        .value_kind:     hidden_dynamic_lds_size
    .group_segment_fixed_size: 240
    .kernarg_segment_align: 8
    .kernarg_segment_size: 384
    .language:       OpenCL C
    .language_version:
      - 2
      - 0
    .max_flat_workgroup_size: 1024
    .name:           _ZN4vllm25paged_attention_v1_kernelI14__hip_bfloat16hLi112ELi16ELi128ELNS_18Fp8KVCacheDataTypeE1ELb1EEEvPT_PKS3_PKT0_S9_ifPKiSB_iPKfiiiSD_SD_iiiii
    .private_segment_fixed_size: 52
    .sgpr_count:     64
    .sgpr_spill_count: 0
    .symbol:         _ZN4vllm25paged_attention_v1_kernelI14__hip_bfloat16hLi112ELi16ELi128ELNS_18Fp8KVCacheDataTypeE1ELb1EEEvPT_PKS3_PKT0_S9_ifPKiSB_iPKfiiiSD_SD_iiiii.kd
    .uniform_work_group_size: 1
    .uses_dynamic_stack: false
    .vgpr_count:     64
    .vgpr_spill_count: 13
    .wavefront_size: 64
  - .args:
      - .actual_access:  write_only
        .address_space:  global
        .offset:         0
        .size:           8
        .value_kind:     global_buffer
      - .actual_access:  read_only
        .address_space:  global
        .offset:         8
        .size:           8
        .value_kind:     global_buffer
      - .actual_access:  read_only
        .address_space:  global
        .offset:         16
        .size:           8
        .value_kind:     global_buffer
      - .actual_access:  read_only
        .address_space:  global
        .offset:         24
        .size:           8
        .value_kind:     global_buffer
      - .offset:         32
        .size:           4
        .value_kind:     by_value
      - .offset:         36
        .size:           4
        .value_kind:     by_value
      - .actual_access:  read_only
        .address_space:  global
        .offset:         40
        .size:           8
        .value_kind:     global_buffer
      - .actual_access:  read_only
        .address_space:  global
        .offset:         48
        .size:           8
        .value_kind:     global_buffer
      - .offset:         56
        .size:           4
        .value_kind:     by_value
      - .actual_access:  read_only
        .address_space:  global
        .offset:         64
        .size:           8
        .value_kind:     global_buffer
      - .offset:         72
        .size:           4
        .value_kind:     by_value
      - .offset:         76
        .size:           4
        .value_kind:     by_value
      - .offset:         80
        .size:           4
        .value_kind:     by_value
      - .address_space:  global
        .offset:         88
        .size:           8
        .value_kind:     global_buffer
      - .address_space:  global
        .offset:         96
        .size:           8
        .value_kind:     global_buffer
      - .offset:         104
        .size:           4
        .value_kind:     by_value
      - .offset:         108
        .size:           4
        .value_kind:     by_value
      - .offset:         112
        .size:           4
        .value_kind:     by_value
      - .offset:         116
        .size:           4
        .value_kind:     by_value
      - .offset:         120
        .size:           4
        .value_kind:     by_value
      - .offset:         128
        .size:           4
        .value_kind:     hidden_block_count_x
      - .offset:         132
        .size:           4
        .value_kind:     hidden_block_count_y
      - .offset:         136
        .size:           4
        .value_kind:     hidden_block_count_z
      - .offset:         140
        .size:           2
        .value_kind:     hidden_group_size_x
      - .offset:         142
        .size:           2
        .value_kind:     hidden_group_size_y
      - .offset:         144
        .size:           2
        .value_kind:     hidden_group_size_z
      - .offset:         146
        .size:           2
        .value_kind:     hidden_remainder_x
      - .offset:         148
        .size:           2
        .value_kind:     hidden_remainder_y
      - .offset:         150
        .size:           2
        .value_kind:     hidden_remainder_z
      - .offset:         168
        .size:           8
        .value_kind:     hidden_global_offset_x
      - .offset:         176
        .size:           8
        .value_kind:     hidden_global_offset_y
      - .offset:         184
        .size:           8
        .value_kind:     hidden_global_offset_z
      - .offset:         192
        .size:           2
        .value_kind:     hidden_grid_dims
      - .offset:         248
        .size:           4
        .value_kind:     hidden_dynamic_lds_size
    .group_segment_fixed_size: 256
    .kernarg_segment_align: 8
    .kernarg_segment_size: 384
    .language:       OpenCL C
    .language_version:
      - 2
      - 0
    .max_flat_workgroup_size: 1024
    .name:           _ZN4vllm25paged_attention_v1_kernelI14__hip_bfloat16hLi120ELi16ELi128ELNS_18Fp8KVCacheDataTypeE1ELb1EEEvPT_PKS3_PKT0_S9_ifPKiSB_iPKfiiiSD_SD_iiiii
    .private_segment_fixed_size: 28
    .sgpr_count:     64
    .sgpr_spill_count: 0
    .symbol:         _ZN4vllm25paged_attention_v1_kernelI14__hip_bfloat16hLi120ELi16ELi128ELNS_18Fp8KVCacheDataTypeE1ELb1EEEvPT_PKS3_PKT0_S9_ifPKiSB_iPKfiiiSD_SD_iiiii.kd
    .uniform_work_group_size: 1
    .uses_dynamic_stack: false
    .vgpr_count:     64
    .vgpr_spill_count: 6
    .wavefront_size: 64
  - .args:
      - .actual_access:  write_only
        .address_space:  global
        .offset:         0
        .size:           8
        .value_kind:     global_buffer
      - .actual_access:  read_only
        .address_space:  global
        .offset:         8
        .size:           8
        .value_kind:     global_buffer
      - .actual_access:  read_only
        .address_space:  global
        .offset:         16
        .size:           8
        .value_kind:     global_buffer
      - .actual_access:  read_only
        .address_space:  global
        .offset:         24
        .size:           8
        .value_kind:     global_buffer
      - .offset:         32
        .size:           4
        .value_kind:     by_value
      - .offset:         36
        .size:           4
        .value_kind:     by_value
      - .actual_access:  read_only
        .address_space:  global
        .offset:         40
        .size:           8
        .value_kind:     global_buffer
      - .actual_access:  read_only
        .address_space:  global
        .offset:         48
        .size:           8
        .value_kind:     global_buffer
      - .offset:         56
        .size:           4
        .value_kind:     by_value
      - .actual_access:  read_only
        .address_space:  global
        .offset:         64
        .size:           8
        .value_kind:     global_buffer
      - .offset:         72
        .size:           4
        .value_kind:     by_value
      - .offset:         76
        .size:           4
        .value_kind:     by_value
      - .offset:         80
        .size:           4
        .value_kind:     by_value
      - .address_space:  global
        .offset:         88
        .size:           8
        .value_kind:     global_buffer
      - .address_space:  global
        .offset:         96
        .size:           8
        .value_kind:     global_buffer
      - .offset:         104
        .size:           4
        .value_kind:     by_value
      - .offset:         108
        .size:           4
        .value_kind:     by_value
      - .offset:         112
        .size:           4
        .value_kind:     by_value
      - .offset:         116
        .size:           4
        .value_kind:     by_value
      - .offset:         120
        .size:           4
        .value_kind:     by_value
      - .offset:         128
        .size:           4
        .value_kind:     hidden_block_count_x
      - .offset:         132
        .size:           4
        .value_kind:     hidden_block_count_y
      - .offset:         136
        .size:           4
        .value_kind:     hidden_block_count_z
      - .offset:         140
        .size:           2
        .value_kind:     hidden_group_size_x
      - .offset:         142
        .size:           2
        .value_kind:     hidden_group_size_y
      - .offset:         144
        .size:           2
        .value_kind:     hidden_group_size_z
      - .offset:         146
        .size:           2
        .value_kind:     hidden_remainder_x
      - .offset:         148
        .size:           2
        .value_kind:     hidden_remainder_y
      - .offset:         150
        .size:           2
        .value_kind:     hidden_remainder_z
      - .offset:         168
        .size:           8
        .value_kind:     hidden_global_offset_x
      - .offset:         176
        .size:           8
        .value_kind:     hidden_global_offset_y
      - .offset:         184
        .size:           8
        .value_kind:     hidden_global_offset_z
      - .offset:         192
        .size:           2
        .value_kind:     hidden_grid_dims
      - .offset:         248
        .size:           4
        .value_kind:     hidden_dynamic_lds_size
    .group_segment_fixed_size: 272
    .kernarg_segment_align: 8
    .kernarg_segment_size: 384
    .language:       OpenCL C
    .language_version:
      - 2
      - 0
    .max_flat_workgroup_size: 1024
    .name:           _ZN4vllm25paged_attention_v1_kernelI14__hip_bfloat16hLi128ELi16ELi128ELNS_18Fp8KVCacheDataTypeE1ELb1EEEvPT_PKS3_PKT0_S9_ifPKiSB_iPKfiiiSD_SD_iiiii
    .private_segment_fixed_size: 88
    .sgpr_count:     68
    .sgpr_spill_count: 0
    .symbol:         _ZN4vllm25paged_attention_v1_kernelI14__hip_bfloat16hLi128ELi16ELi128ELNS_18Fp8KVCacheDataTypeE1ELb1EEEvPT_PKS3_PKT0_S9_ifPKiSB_iPKfiiiSD_SD_iiiii.kd
    .uniform_work_group_size: 1
    .uses_dynamic_stack: false
    .vgpr_count:     64
    .vgpr_spill_count: 30
    .wavefront_size: 64
  - .args:
      - .actual_access:  write_only
        .address_space:  global
        .offset:         0
        .size:           8
        .value_kind:     global_buffer
      - .actual_access:  read_only
        .address_space:  global
        .offset:         8
        .size:           8
        .value_kind:     global_buffer
      - .actual_access:  read_only
        .address_space:  global
        .offset:         16
        .size:           8
        .value_kind:     global_buffer
      - .actual_access:  read_only
        .address_space:  global
        .offset:         24
        .size:           8
        .value_kind:     global_buffer
      - .offset:         32
        .size:           4
        .value_kind:     by_value
      - .offset:         36
        .size:           4
        .value_kind:     by_value
      - .actual_access:  read_only
        .address_space:  global
        .offset:         40
        .size:           8
        .value_kind:     global_buffer
      - .actual_access:  read_only
        .address_space:  global
        .offset:         48
        .size:           8
        .value_kind:     global_buffer
      - .offset:         56
        .size:           4
        .value_kind:     by_value
      - .actual_access:  read_only
        .address_space:  global
        .offset:         64
        .size:           8
        .value_kind:     global_buffer
      - .offset:         72
        .size:           4
        .value_kind:     by_value
      - .offset:         76
        .size:           4
        .value_kind:     by_value
      - .offset:         80
        .size:           4
        .value_kind:     by_value
      - .address_space:  global
        .offset:         88
        .size:           8
        .value_kind:     global_buffer
      - .address_space:  global
        .offset:         96
        .size:           8
        .value_kind:     global_buffer
      - .offset:         104
        .size:           4
        .value_kind:     by_value
      - .offset:         108
        .size:           4
        .value_kind:     by_value
      - .offset:         112
        .size:           4
        .value_kind:     by_value
      - .offset:         116
        .size:           4
        .value_kind:     by_value
      - .offset:         120
        .size:           4
        .value_kind:     by_value
      - .offset:         128
        .size:           4
        .value_kind:     hidden_block_count_x
      - .offset:         132
        .size:           4
        .value_kind:     hidden_block_count_y
      - .offset:         136
        .size:           4
        .value_kind:     hidden_block_count_z
      - .offset:         140
        .size:           2
        .value_kind:     hidden_group_size_x
      - .offset:         142
        .size:           2
        .value_kind:     hidden_group_size_y
      - .offset:         144
        .size:           2
        .value_kind:     hidden_group_size_z
      - .offset:         146
        .size:           2
        .value_kind:     hidden_remainder_x
      - .offset:         148
        .size:           2
        .value_kind:     hidden_remainder_y
      - .offset:         150
        .size:           2
        .value_kind:     hidden_remainder_z
      - .offset:         168
        .size:           8
        .value_kind:     hidden_global_offset_x
      - .offset:         176
        .size:           8
        .value_kind:     hidden_global_offset_y
      - .offset:         184
        .size:           8
        .value_kind:     hidden_global_offset_z
      - .offset:         192
        .size:           2
        .value_kind:     hidden_grid_dims
      - .offset:         248
        .size:           4
        .value_kind:     hidden_dynamic_lds_size
    .group_segment_fixed_size: 400
    .kernarg_segment_align: 8
    .kernarg_segment_size: 384
    .language:       OpenCL C
    .language_version:
      - 2
      - 0
    .max_flat_workgroup_size: 1024
    .name:           _ZN4vllm25paged_attention_v1_kernelI14__hip_bfloat16hLi192ELi16ELi128ELNS_18Fp8KVCacheDataTypeE1ELb1EEEvPT_PKS3_PKT0_S9_ifPKiSB_iPKfiiiSD_SD_iiiii
    .private_segment_fixed_size: 264
    .sgpr_count:     64
    .sgpr_spill_count: 0
    .symbol:         _ZN4vllm25paged_attention_v1_kernelI14__hip_bfloat16hLi192ELi16ELi128ELNS_18Fp8KVCacheDataTypeE1ELb1EEEvPT_PKS3_PKT0_S9_ifPKiSB_iPKfiiiSD_SD_iiiii.kd
    .uniform_work_group_size: 1
    .uses_dynamic_stack: false
    .vgpr_count:     64
    .vgpr_spill_count: 119
    .wavefront_size: 64
  - .args:
      - .actual_access:  write_only
        .address_space:  global
        .offset:         0
        .size:           8
        .value_kind:     global_buffer
      - .actual_access:  read_only
        .address_space:  global
        .offset:         8
        .size:           8
        .value_kind:     global_buffer
      - .actual_access:  read_only
        .address_space:  global
        .offset:         16
        .size:           8
        .value_kind:     global_buffer
      - .actual_access:  read_only
        .address_space:  global
        .offset:         24
        .size:           8
        .value_kind:     global_buffer
      - .offset:         32
        .size:           4
        .value_kind:     by_value
      - .offset:         36
        .size:           4
        .value_kind:     by_value
      - .actual_access:  read_only
        .address_space:  global
        .offset:         40
        .size:           8
        .value_kind:     global_buffer
      - .actual_access:  read_only
        .address_space:  global
        .offset:         48
        .size:           8
        .value_kind:     global_buffer
      - .offset:         56
        .size:           4
        .value_kind:     by_value
      - .actual_access:  read_only
        .address_space:  global
        .offset:         64
        .size:           8
        .value_kind:     global_buffer
      - .offset:         72
        .size:           4
        .value_kind:     by_value
      - .offset:         76
        .size:           4
        .value_kind:     by_value
      - .offset:         80
        .size:           4
        .value_kind:     by_value
      - .address_space:  global
        .offset:         88
        .size:           8
        .value_kind:     global_buffer
      - .address_space:  global
        .offset:         96
        .size:           8
        .value_kind:     global_buffer
      - .offset:         104
        .size:           4
        .value_kind:     by_value
      - .offset:         108
        .size:           4
        .value_kind:     by_value
      - .offset:         112
        .size:           4
        .value_kind:     by_value
      - .offset:         116
        .size:           4
        .value_kind:     by_value
      - .offset:         120
        .size:           4
        .value_kind:     by_value
      - .offset:         128
        .size:           4
        .value_kind:     hidden_block_count_x
      - .offset:         132
        .size:           4
        .value_kind:     hidden_block_count_y
      - .offset:         136
        .size:           4
        .value_kind:     hidden_block_count_z
      - .offset:         140
        .size:           2
        .value_kind:     hidden_group_size_x
      - .offset:         142
        .size:           2
        .value_kind:     hidden_group_size_y
      - .offset:         144
        .size:           2
        .value_kind:     hidden_group_size_z
      - .offset:         146
        .size:           2
        .value_kind:     hidden_remainder_x
      - .offset:         148
        .size:           2
        .value_kind:     hidden_remainder_y
      - .offset:         150
        .size:           2
        .value_kind:     hidden_remainder_z
      - .offset:         168
        .size:           8
        .value_kind:     hidden_global_offset_x
      - .offset:         176
        .size:           8
        .value_kind:     hidden_global_offset_y
      - .offset:         184
        .size:           8
        .value_kind:     hidden_global_offset_z
      - .offset:         192
        .size:           2
        .value_kind:     hidden_grid_dims
      - .offset:         248
        .size:           4
        .value_kind:     hidden_dynamic_lds_size
    .group_segment_fixed_size: 528
    .kernarg_segment_align: 8
    .kernarg_segment_size: 384
    .language:       OpenCL C
    .language_version:
      - 2
      - 0
    .max_flat_workgroup_size: 1024
    .name:           _ZN4vllm25paged_attention_v1_kernelI14__hip_bfloat16hLi256ELi16ELi128ELNS_18Fp8KVCacheDataTypeE1ELb1EEEvPT_PKS3_PKT0_S9_ifPKiSB_iPKfiiiSD_SD_iiiii
    .private_segment_fixed_size: 348
    .sgpr_count:     64
    .sgpr_spill_count: 0
    .symbol:         _ZN4vllm25paged_attention_v1_kernelI14__hip_bfloat16hLi256ELi16ELi128ELNS_18Fp8KVCacheDataTypeE1ELb1EEEvPT_PKS3_PKT0_S9_ifPKiSB_iPKfiiiSD_SD_iiiii.kd
    .uniform_work_group_size: 1
    .uses_dynamic_stack: false
    .vgpr_count:     64
    .vgpr_spill_count: 222
    .wavefront_size: 64
  - .args:
      - .actual_access:  write_only
        .address_space:  global
        .offset:         0
        .size:           8
        .value_kind:     global_buffer
      - .actual_access:  read_only
        .address_space:  global
        .offset:         8
        .size:           8
        .value_kind:     global_buffer
      - .actual_access:  read_only
        .address_space:  global
        .offset:         16
        .size:           8
        .value_kind:     global_buffer
      - .actual_access:  read_only
        .address_space:  global
        .offset:         24
        .size:           8
        .value_kind:     global_buffer
      - .offset:         32
        .size:           4
        .value_kind:     by_value
      - .offset:         36
        .size:           4
        .value_kind:     by_value
      - .actual_access:  read_only
        .address_space:  global
        .offset:         40
        .size:           8
        .value_kind:     global_buffer
      - .actual_access:  read_only
        .address_space:  global
        .offset:         48
        .size:           8
        .value_kind:     global_buffer
      - .offset:         56
        .size:           4
        .value_kind:     by_value
      - .actual_access:  read_only
        .address_space:  global
        .offset:         64
        .size:           8
        .value_kind:     global_buffer
      - .offset:         72
        .size:           4
        .value_kind:     by_value
      - .offset:         76
        .size:           4
        .value_kind:     by_value
      - .offset:         80
        .size:           4
        .value_kind:     by_value
      - .address_space:  global
        .offset:         88
        .size:           8
        .value_kind:     global_buffer
      - .address_space:  global
        .offset:         96
        .size:           8
        .value_kind:     global_buffer
      - .offset:         104
        .size:           4
        .value_kind:     by_value
      - .offset:         108
        .size:           4
        .value_kind:     by_value
      - .offset:         112
        .size:           4
        .value_kind:     by_value
      - .offset:         116
        .size:           4
        .value_kind:     by_value
      - .offset:         120
        .size:           4
        .value_kind:     by_value
      - .offset:         128
        .size:           4
        .value_kind:     hidden_block_count_x
      - .offset:         132
        .size:           4
        .value_kind:     hidden_block_count_y
      - .offset:         136
        .size:           4
        .value_kind:     hidden_block_count_z
      - .offset:         140
        .size:           2
        .value_kind:     hidden_group_size_x
      - .offset:         142
        .size:           2
        .value_kind:     hidden_group_size_y
      - .offset:         144
        .size:           2
        .value_kind:     hidden_group_size_z
      - .offset:         146
        .size:           2
        .value_kind:     hidden_remainder_x
      - .offset:         148
        .size:           2
        .value_kind:     hidden_remainder_y
      - .offset:         150
        .size:           2
        .value_kind:     hidden_remainder_z
      - .offset:         168
        .size:           8
        .value_kind:     hidden_global_offset_x
      - .offset:         176
        .size:           8
        .value_kind:     hidden_global_offset_y
      - .offset:         184
        .size:           8
        .value_kind:     hidden_global_offset_z
      - .offset:         192
        .size:           2
        .value_kind:     hidden_grid_dims
      - .offset:         248
        .size:           4
        .value_kind:     hidden_dynamic_lds_size
    .group_segment_fixed_size: 80
    .kernarg_segment_align: 8
    .kernarg_segment_size: 384
    .language:       OpenCL C
    .language_version:
      - 2
      - 0
    .max_flat_workgroup_size: 1024
    .name:           _ZN4vllm25paged_attention_v1_kernelI14__hip_bfloat16hLi32ELi16ELi128ELNS_18Fp8KVCacheDataTypeE1ELb0EEEvPT_PKS3_PKT0_S9_ifPKiSB_iPKfiiiSD_SD_iiiii
    .private_segment_fixed_size: 0
    .sgpr_count:     48
    .sgpr_spill_count: 0
    .symbol:         _ZN4vllm25paged_attention_v1_kernelI14__hip_bfloat16hLi32ELi16ELi128ELNS_18Fp8KVCacheDataTypeE1ELb0EEEvPT_PKS3_PKT0_S9_ifPKiSB_iPKfiiiSD_SD_iiiii.kd
    .uniform_work_group_size: 1
    .uses_dynamic_stack: false
    .vgpr_count:     42
    .vgpr_spill_count: 0
    .wavefront_size: 64
  - .args:
      - .actual_access:  write_only
        .address_space:  global
        .offset:         0
        .size:           8
        .value_kind:     global_buffer
      - .actual_access:  read_only
        .address_space:  global
        .offset:         8
        .size:           8
        .value_kind:     global_buffer
      - .actual_access:  read_only
        .address_space:  global
        .offset:         16
        .size:           8
        .value_kind:     global_buffer
      - .actual_access:  read_only
        .address_space:  global
        .offset:         24
        .size:           8
        .value_kind:     global_buffer
      - .offset:         32
        .size:           4
        .value_kind:     by_value
      - .offset:         36
        .size:           4
        .value_kind:     by_value
      - .actual_access:  read_only
        .address_space:  global
        .offset:         40
        .size:           8
        .value_kind:     global_buffer
      - .actual_access:  read_only
        .address_space:  global
        .offset:         48
        .size:           8
        .value_kind:     global_buffer
      - .offset:         56
        .size:           4
        .value_kind:     by_value
      - .actual_access:  read_only
        .address_space:  global
        .offset:         64
        .size:           8
        .value_kind:     global_buffer
      - .offset:         72
        .size:           4
        .value_kind:     by_value
      - .offset:         76
        .size:           4
        .value_kind:     by_value
      - .offset:         80
        .size:           4
        .value_kind:     by_value
      - .address_space:  global
        .offset:         88
        .size:           8
        .value_kind:     global_buffer
      - .address_space:  global
        .offset:         96
        .size:           8
        .value_kind:     global_buffer
      - .offset:         104
        .size:           4
        .value_kind:     by_value
      - .offset:         108
        .size:           4
        .value_kind:     by_value
      - .offset:         112
        .size:           4
        .value_kind:     by_value
      - .offset:         116
        .size:           4
        .value_kind:     by_value
      - .offset:         120
        .size:           4
        .value_kind:     by_value
      - .offset:         128
        .size:           4
        .value_kind:     hidden_block_count_x
      - .offset:         132
        .size:           4
        .value_kind:     hidden_block_count_y
      - .offset:         136
        .size:           4
        .value_kind:     hidden_block_count_z
      - .offset:         140
        .size:           2
        .value_kind:     hidden_group_size_x
      - .offset:         142
        .size:           2
        .value_kind:     hidden_group_size_y
      - .offset:         144
        .size:           2
        .value_kind:     hidden_group_size_z
      - .offset:         146
        .size:           2
        .value_kind:     hidden_remainder_x
      - .offset:         148
        .size:           2
        .value_kind:     hidden_remainder_y
      - .offset:         150
        .size:           2
        .value_kind:     hidden_remainder_z
      - .offset:         168
        .size:           8
        .value_kind:     hidden_global_offset_x
      - .offset:         176
        .size:           8
        .value_kind:     hidden_global_offset_y
      - .offset:         184
        .size:           8
        .value_kind:     hidden_global_offset_z
      - .offset:         192
        .size:           2
        .value_kind:     hidden_grid_dims
      - .offset:         248
        .size:           4
        .value_kind:     hidden_dynamic_lds_size
    .group_segment_fixed_size: 144
    .kernarg_segment_align: 8
    .kernarg_segment_size: 384
    .language:       OpenCL C
    .language_version:
      - 2
      - 0
    .max_flat_workgroup_size: 1024
    .name:           _ZN4vllm25paged_attention_v1_kernelI14__hip_bfloat16hLi64ELi16ELi128ELNS_18Fp8KVCacheDataTypeE1ELb0EEEvPT_PKS3_PKT0_S9_ifPKiSB_iPKfiiiSD_SD_iiiii
    .private_segment_fixed_size: 0
    .sgpr_count:     48
    .sgpr_spill_count: 0
    .symbol:         _ZN4vllm25paged_attention_v1_kernelI14__hip_bfloat16hLi64ELi16ELi128ELNS_18Fp8KVCacheDataTypeE1ELb0EEEvPT_PKS3_PKT0_S9_ifPKiSB_iPKfiiiSD_SD_iiiii.kd
    .uniform_work_group_size: 1
    .uses_dynamic_stack: false
    .vgpr_count:     58
    .vgpr_spill_count: 0
    .wavefront_size: 64
  - .args:
      - .actual_access:  write_only
        .address_space:  global
        .offset:         0
        .size:           8
        .value_kind:     global_buffer
      - .actual_access:  read_only
        .address_space:  global
        .offset:         8
        .size:           8
        .value_kind:     global_buffer
      - .actual_access:  read_only
        .address_space:  global
        .offset:         16
        .size:           8
        .value_kind:     global_buffer
      - .actual_access:  read_only
        .address_space:  global
        .offset:         24
        .size:           8
        .value_kind:     global_buffer
      - .offset:         32
        .size:           4
        .value_kind:     by_value
      - .offset:         36
        .size:           4
        .value_kind:     by_value
      - .actual_access:  read_only
        .address_space:  global
        .offset:         40
        .size:           8
        .value_kind:     global_buffer
      - .actual_access:  read_only
        .address_space:  global
        .offset:         48
        .size:           8
        .value_kind:     global_buffer
      - .offset:         56
        .size:           4
        .value_kind:     by_value
      - .actual_access:  read_only
        .address_space:  global
        .offset:         64
        .size:           8
        .value_kind:     global_buffer
      - .offset:         72
        .size:           4
        .value_kind:     by_value
      - .offset:         76
        .size:           4
        .value_kind:     by_value
      - .offset:         80
        .size:           4
        .value_kind:     by_value
      - .address_space:  global
        .offset:         88
        .size:           8
        .value_kind:     global_buffer
      - .address_space:  global
        .offset:         96
        .size:           8
        .value_kind:     global_buffer
      - .offset:         104
        .size:           4
        .value_kind:     by_value
      - .offset:         108
        .size:           4
        .value_kind:     by_value
      - .offset:         112
        .size:           4
        .value_kind:     by_value
      - .offset:         116
        .size:           4
        .value_kind:     by_value
      - .offset:         120
        .size:           4
        .value_kind:     by_value
      - .offset:         128
        .size:           4
        .value_kind:     hidden_block_count_x
      - .offset:         132
        .size:           4
        .value_kind:     hidden_block_count_y
      - .offset:         136
        .size:           4
        .value_kind:     hidden_block_count_z
      - .offset:         140
        .size:           2
        .value_kind:     hidden_group_size_x
      - .offset:         142
        .size:           2
        .value_kind:     hidden_group_size_y
      - .offset:         144
        .size:           2
        .value_kind:     hidden_group_size_z
      - .offset:         146
        .size:           2
        .value_kind:     hidden_remainder_x
      - .offset:         148
        .size:           2
        .value_kind:     hidden_remainder_y
      - .offset:         150
        .size:           2
        .value_kind:     hidden_remainder_z
      - .offset:         168
        .size:           8
        .value_kind:     hidden_global_offset_x
      - .offset:         176
        .size:           8
        .value_kind:     hidden_global_offset_y
      - .offset:         184
        .size:           8
        .value_kind:     hidden_global_offset_z
      - .offset:         192
        .size:           2
        .value_kind:     hidden_grid_dims
      - .offset:         248
        .size:           4
        .value_kind:     hidden_dynamic_lds_size
    .group_segment_fixed_size: 176
    .kernarg_segment_align: 8
    .kernarg_segment_size: 384
    .language:       OpenCL C
    .language_version:
      - 2
      - 0
    .max_flat_workgroup_size: 1024
    .name:           _ZN4vllm25paged_attention_v1_kernelI14__hip_bfloat16hLi80ELi16ELi128ELNS_18Fp8KVCacheDataTypeE1ELb0EEEvPT_PKS3_PKT0_S9_ifPKiSB_iPKfiiiSD_SD_iiiii
    .private_segment_fixed_size: 0
    .sgpr_count:     48
    .sgpr_spill_count: 0
    .symbol:         _ZN4vllm25paged_attention_v1_kernelI14__hip_bfloat16hLi80ELi16ELi128ELNS_18Fp8KVCacheDataTypeE1ELb0EEEvPT_PKS3_PKT0_S9_ifPKiSB_iPKfiiiSD_SD_iiiii.kd
    .uniform_work_group_size: 1
    .uses_dynamic_stack: false
    .vgpr_count:     64
    .vgpr_spill_count: 0
    .wavefront_size: 64
  - .args:
      - .actual_access:  write_only
        .address_space:  global
        .offset:         0
        .size:           8
        .value_kind:     global_buffer
      - .actual_access:  read_only
        .address_space:  global
        .offset:         8
        .size:           8
        .value_kind:     global_buffer
      - .actual_access:  read_only
        .address_space:  global
        .offset:         16
        .size:           8
        .value_kind:     global_buffer
      - .actual_access:  read_only
        .address_space:  global
        .offset:         24
        .size:           8
        .value_kind:     global_buffer
      - .offset:         32
        .size:           4
        .value_kind:     by_value
      - .offset:         36
        .size:           4
        .value_kind:     by_value
      - .actual_access:  read_only
        .address_space:  global
        .offset:         40
        .size:           8
        .value_kind:     global_buffer
      - .actual_access:  read_only
        .address_space:  global
        .offset:         48
        .size:           8
        .value_kind:     global_buffer
      - .offset:         56
        .size:           4
        .value_kind:     by_value
      - .actual_access:  read_only
        .address_space:  global
        .offset:         64
        .size:           8
        .value_kind:     global_buffer
      - .offset:         72
        .size:           4
        .value_kind:     by_value
      - .offset:         76
        .size:           4
        .value_kind:     by_value
      - .offset:         80
        .size:           4
        .value_kind:     by_value
      - .address_space:  global
        .offset:         88
        .size:           8
        .value_kind:     global_buffer
      - .address_space:  global
        .offset:         96
        .size:           8
        .value_kind:     global_buffer
      - .offset:         104
        .size:           4
        .value_kind:     by_value
      - .offset:         108
        .size:           4
        .value_kind:     by_value
      - .offset:         112
        .size:           4
        .value_kind:     by_value
      - .offset:         116
        .size:           4
        .value_kind:     by_value
      - .offset:         120
        .size:           4
        .value_kind:     by_value
      - .offset:         128
        .size:           4
        .value_kind:     hidden_block_count_x
      - .offset:         132
        .size:           4
        .value_kind:     hidden_block_count_y
      - .offset:         136
        .size:           4
        .value_kind:     hidden_block_count_z
      - .offset:         140
        .size:           2
        .value_kind:     hidden_group_size_x
      - .offset:         142
        .size:           2
        .value_kind:     hidden_group_size_y
      - .offset:         144
        .size:           2
        .value_kind:     hidden_group_size_z
      - .offset:         146
        .size:           2
        .value_kind:     hidden_remainder_x
      - .offset:         148
        .size:           2
        .value_kind:     hidden_remainder_y
      - .offset:         150
        .size:           2
        .value_kind:     hidden_remainder_z
      - .offset:         168
        .size:           8
        .value_kind:     hidden_global_offset_x
      - .offset:         176
        .size:           8
        .value_kind:     hidden_global_offset_y
      - .offset:         184
        .size:           8
        .value_kind:     hidden_global_offset_z
      - .offset:         192
        .size:           2
        .value_kind:     hidden_grid_dims
      - .offset:         248
        .size:           4
        .value_kind:     hidden_dynamic_lds_size
    .group_segment_fixed_size: 208
    .kernarg_segment_align: 8
    .kernarg_segment_size: 384
    .language:       OpenCL C
    .language_version:
      - 2
      - 0
    .max_flat_workgroup_size: 1024
    .name:           _ZN4vllm25paged_attention_v1_kernelI14__hip_bfloat16hLi96ELi16ELi128ELNS_18Fp8KVCacheDataTypeE1ELb0EEEvPT_PKS3_PKT0_S9_ifPKiSB_iPKfiiiSD_SD_iiiii
    .private_segment_fixed_size: 36
    .sgpr_count:     52
    .sgpr_spill_count: 0
    .symbol:         _ZN4vllm25paged_attention_v1_kernelI14__hip_bfloat16hLi96ELi16ELi128ELNS_18Fp8KVCacheDataTypeE1ELb0EEEvPT_PKS3_PKT0_S9_ifPKiSB_iPKfiiiSD_SD_iiiii.kd
    .uniform_work_group_size: 1
    .uses_dynamic_stack: false
    .vgpr_count:     64
    .vgpr_spill_count: 8
    .wavefront_size: 64
  - .args:
      - .actual_access:  write_only
        .address_space:  global
        .offset:         0
        .size:           8
        .value_kind:     global_buffer
      - .actual_access:  read_only
        .address_space:  global
        .offset:         8
        .size:           8
        .value_kind:     global_buffer
      - .actual_access:  read_only
        .address_space:  global
        .offset:         16
        .size:           8
        .value_kind:     global_buffer
      - .actual_access:  read_only
        .address_space:  global
        .offset:         24
        .size:           8
        .value_kind:     global_buffer
      - .offset:         32
        .size:           4
        .value_kind:     by_value
      - .offset:         36
        .size:           4
        .value_kind:     by_value
      - .actual_access:  read_only
        .address_space:  global
        .offset:         40
        .size:           8
        .value_kind:     global_buffer
      - .actual_access:  read_only
        .address_space:  global
        .offset:         48
        .size:           8
        .value_kind:     global_buffer
      - .offset:         56
        .size:           4
        .value_kind:     by_value
      - .actual_access:  read_only
        .address_space:  global
        .offset:         64
        .size:           8
        .value_kind:     global_buffer
      - .offset:         72
        .size:           4
        .value_kind:     by_value
      - .offset:         76
        .size:           4
        .value_kind:     by_value
      - .offset:         80
        .size:           4
        .value_kind:     by_value
      - .address_space:  global
        .offset:         88
        .size:           8
        .value_kind:     global_buffer
      - .address_space:  global
        .offset:         96
        .size:           8
        .value_kind:     global_buffer
      - .offset:         104
        .size:           4
        .value_kind:     by_value
      - .offset:         108
        .size:           4
        .value_kind:     by_value
      - .offset:         112
        .size:           4
        .value_kind:     by_value
      - .offset:         116
        .size:           4
        .value_kind:     by_value
      - .offset:         120
        .size:           4
        .value_kind:     by_value
      - .offset:         128
        .size:           4
        .value_kind:     hidden_block_count_x
      - .offset:         132
        .size:           4
        .value_kind:     hidden_block_count_y
      - .offset:         136
        .size:           4
        .value_kind:     hidden_block_count_z
      - .offset:         140
        .size:           2
        .value_kind:     hidden_group_size_x
      - .offset:         142
        .size:           2
        .value_kind:     hidden_group_size_y
      - .offset:         144
        .size:           2
        .value_kind:     hidden_group_size_z
      - .offset:         146
        .size:           2
        .value_kind:     hidden_remainder_x
      - .offset:         148
        .size:           2
        .value_kind:     hidden_remainder_y
      - .offset:         150
        .size:           2
        .value_kind:     hidden_remainder_z
      - .offset:         168
        .size:           8
        .value_kind:     hidden_global_offset_x
      - .offset:         176
        .size:           8
        .value_kind:     hidden_global_offset_y
      - .offset:         184
        .size:           8
        .value_kind:     hidden_global_offset_z
      - .offset:         192
        .size:           2
        .value_kind:     hidden_grid_dims
      - .offset:         248
        .size:           4
        .value_kind:     hidden_dynamic_lds_size
    .group_segment_fixed_size: 240
    .kernarg_segment_align: 8
    .kernarg_segment_size: 384
    .language:       OpenCL C
    .language_version:
      - 2
      - 0
    .max_flat_workgroup_size: 1024
    .name:           _ZN4vllm25paged_attention_v1_kernelI14__hip_bfloat16hLi112ELi16ELi128ELNS_18Fp8KVCacheDataTypeE1ELb0EEEvPT_PKS3_PKT0_S9_ifPKiSB_iPKfiiiSD_SD_iiiii
    .private_segment_fixed_size: 68
    .sgpr_count:     52
    .sgpr_spill_count: 0
    .symbol:         _ZN4vllm25paged_attention_v1_kernelI14__hip_bfloat16hLi112ELi16ELi128ELNS_18Fp8KVCacheDataTypeE1ELb0EEEvPT_PKS3_PKT0_S9_ifPKiSB_iPKfiiiSD_SD_iiiii.kd
    .uniform_work_group_size: 1
    .uses_dynamic_stack: false
    .vgpr_count:     64
    .vgpr_spill_count: 16
    .wavefront_size: 64
  - .args:
      - .actual_access:  write_only
        .address_space:  global
        .offset:         0
        .size:           8
        .value_kind:     global_buffer
      - .actual_access:  read_only
        .address_space:  global
        .offset:         8
        .size:           8
        .value_kind:     global_buffer
      - .actual_access:  read_only
        .address_space:  global
        .offset:         16
        .size:           8
        .value_kind:     global_buffer
      - .actual_access:  read_only
        .address_space:  global
        .offset:         24
        .size:           8
        .value_kind:     global_buffer
      - .offset:         32
        .size:           4
        .value_kind:     by_value
      - .offset:         36
        .size:           4
        .value_kind:     by_value
      - .actual_access:  read_only
        .address_space:  global
        .offset:         40
        .size:           8
        .value_kind:     global_buffer
      - .actual_access:  read_only
        .address_space:  global
        .offset:         48
        .size:           8
        .value_kind:     global_buffer
      - .offset:         56
        .size:           4
        .value_kind:     by_value
      - .actual_access:  read_only
        .address_space:  global
        .offset:         64
        .size:           8
        .value_kind:     global_buffer
      - .offset:         72
        .size:           4
        .value_kind:     by_value
      - .offset:         76
        .size:           4
        .value_kind:     by_value
      - .offset:         80
        .size:           4
        .value_kind:     by_value
      - .address_space:  global
        .offset:         88
        .size:           8
        .value_kind:     global_buffer
      - .address_space:  global
        .offset:         96
        .size:           8
        .value_kind:     global_buffer
      - .offset:         104
        .size:           4
        .value_kind:     by_value
      - .offset:         108
        .size:           4
        .value_kind:     by_value
      - .offset:         112
        .size:           4
        .value_kind:     by_value
      - .offset:         116
        .size:           4
        .value_kind:     by_value
      - .offset:         120
        .size:           4
        .value_kind:     by_value
      - .offset:         128
        .size:           4
        .value_kind:     hidden_block_count_x
      - .offset:         132
        .size:           4
        .value_kind:     hidden_block_count_y
      - .offset:         136
        .size:           4
        .value_kind:     hidden_block_count_z
      - .offset:         140
        .size:           2
        .value_kind:     hidden_group_size_x
      - .offset:         142
        .size:           2
        .value_kind:     hidden_group_size_y
      - .offset:         144
        .size:           2
        .value_kind:     hidden_group_size_z
      - .offset:         146
        .size:           2
        .value_kind:     hidden_remainder_x
      - .offset:         148
        .size:           2
        .value_kind:     hidden_remainder_y
      - .offset:         150
        .size:           2
        .value_kind:     hidden_remainder_z
      - .offset:         168
        .size:           8
        .value_kind:     hidden_global_offset_x
      - .offset:         176
        .size:           8
        .value_kind:     hidden_global_offset_y
      - .offset:         184
        .size:           8
        .value_kind:     hidden_global_offset_z
      - .offset:         192
        .size:           2
        .value_kind:     hidden_grid_dims
      - .offset:         248
        .size:           4
        .value_kind:     hidden_dynamic_lds_size
    .group_segment_fixed_size: 256
    .kernarg_segment_align: 8
    .kernarg_segment_size: 384
    .language:       OpenCL C
    .language_version:
      - 2
      - 0
    .max_flat_workgroup_size: 1024
    .name:           _ZN4vllm25paged_attention_v1_kernelI14__hip_bfloat16hLi120ELi16ELi128ELNS_18Fp8KVCacheDataTypeE1ELb0EEEvPT_PKS3_PKT0_S9_ifPKiSB_iPKfiiiSD_SD_iiiii
    .private_segment_fixed_size: 84
    .sgpr_count:     52
    .sgpr_spill_count: 0
    .symbol:         _ZN4vllm25paged_attention_v1_kernelI14__hip_bfloat16hLi120ELi16ELi128ELNS_18Fp8KVCacheDataTypeE1ELb0EEEvPT_PKS3_PKT0_S9_ifPKiSB_iPKfiiiSD_SD_iiiii.kd
    .uniform_work_group_size: 1
    .uses_dynamic_stack: false
    .vgpr_count:     64
    .vgpr_spill_count: 20
    .wavefront_size: 64
  - .args:
      - .actual_access:  write_only
        .address_space:  global
        .offset:         0
        .size:           8
        .value_kind:     global_buffer
      - .actual_access:  read_only
        .address_space:  global
        .offset:         8
        .size:           8
        .value_kind:     global_buffer
      - .actual_access:  read_only
        .address_space:  global
        .offset:         16
        .size:           8
        .value_kind:     global_buffer
      - .actual_access:  read_only
        .address_space:  global
        .offset:         24
        .size:           8
        .value_kind:     global_buffer
      - .offset:         32
        .size:           4
        .value_kind:     by_value
      - .offset:         36
        .size:           4
        .value_kind:     by_value
      - .actual_access:  read_only
        .address_space:  global
        .offset:         40
        .size:           8
        .value_kind:     global_buffer
      - .actual_access:  read_only
        .address_space:  global
        .offset:         48
        .size:           8
        .value_kind:     global_buffer
      - .offset:         56
        .size:           4
        .value_kind:     by_value
      - .actual_access:  read_only
        .address_space:  global
        .offset:         64
        .size:           8
        .value_kind:     global_buffer
      - .offset:         72
        .size:           4
        .value_kind:     by_value
      - .offset:         76
        .size:           4
        .value_kind:     by_value
      - .offset:         80
        .size:           4
        .value_kind:     by_value
      - .address_space:  global
        .offset:         88
        .size:           8
        .value_kind:     global_buffer
      - .address_space:  global
        .offset:         96
        .size:           8
        .value_kind:     global_buffer
      - .offset:         104
        .size:           4
        .value_kind:     by_value
      - .offset:         108
        .size:           4
        .value_kind:     by_value
      - .offset:         112
        .size:           4
        .value_kind:     by_value
      - .offset:         116
        .size:           4
        .value_kind:     by_value
      - .offset:         120
        .size:           4
        .value_kind:     by_value
      - .offset:         128
        .size:           4
        .value_kind:     hidden_block_count_x
      - .offset:         132
        .size:           4
        .value_kind:     hidden_block_count_y
      - .offset:         136
        .size:           4
        .value_kind:     hidden_block_count_z
      - .offset:         140
        .size:           2
        .value_kind:     hidden_group_size_x
      - .offset:         142
        .size:           2
        .value_kind:     hidden_group_size_y
      - .offset:         144
        .size:           2
        .value_kind:     hidden_group_size_z
      - .offset:         146
        .size:           2
        .value_kind:     hidden_remainder_x
      - .offset:         148
        .size:           2
        .value_kind:     hidden_remainder_y
      - .offset:         150
        .size:           2
        .value_kind:     hidden_remainder_z
      - .offset:         168
        .size:           8
        .value_kind:     hidden_global_offset_x
      - .offset:         176
        .size:           8
        .value_kind:     hidden_global_offset_y
      - .offset:         184
        .size:           8
        .value_kind:     hidden_global_offset_z
      - .offset:         192
        .size:           2
        .value_kind:     hidden_grid_dims
      - .offset:         248
        .size:           4
        .value_kind:     hidden_dynamic_lds_size
    .group_segment_fixed_size: 272
    .kernarg_segment_align: 8
    .kernarg_segment_size: 384
    .language:       OpenCL C
    .language_version:
      - 2
      - 0
    .max_flat_workgroup_size: 1024
    .name:           _ZN4vllm25paged_attention_v1_kernelI14__hip_bfloat16hLi128ELi16ELi128ELNS_18Fp8KVCacheDataTypeE1ELb0EEEvPT_PKS3_PKT0_S9_ifPKiSB_iPKfiiiSD_SD_iiiii
    .private_segment_fixed_size: 104
    .sgpr_count:     56
    .sgpr_spill_count: 0
    .symbol:         _ZN4vllm25paged_attention_v1_kernelI14__hip_bfloat16hLi128ELi16ELi128ELNS_18Fp8KVCacheDataTypeE1ELb0EEEvPT_PKS3_PKT0_S9_ifPKiSB_iPKfiiiSD_SD_iiiii.kd
    .uniform_work_group_size: 1
    .uses_dynamic_stack: false
    .vgpr_count:     64
    .vgpr_spill_count: 29
    .wavefront_size: 64
  - .args:
      - .actual_access:  write_only
        .address_space:  global
        .offset:         0
        .size:           8
        .value_kind:     global_buffer
      - .actual_access:  read_only
        .address_space:  global
        .offset:         8
        .size:           8
        .value_kind:     global_buffer
      - .actual_access:  read_only
        .address_space:  global
        .offset:         16
        .size:           8
        .value_kind:     global_buffer
      - .actual_access:  read_only
        .address_space:  global
        .offset:         24
        .size:           8
        .value_kind:     global_buffer
      - .offset:         32
        .size:           4
        .value_kind:     by_value
      - .offset:         36
        .size:           4
        .value_kind:     by_value
      - .actual_access:  read_only
        .address_space:  global
        .offset:         40
        .size:           8
        .value_kind:     global_buffer
      - .actual_access:  read_only
        .address_space:  global
        .offset:         48
        .size:           8
        .value_kind:     global_buffer
      - .offset:         56
        .size:           4
        .value_kind:     by_value
      - .actual_access:  read_only
        .address_space:  global
        .offset:         64
        .size:           8
        .value_kind:     global_buffer
      - .offset:         72
        .size:           4
        .value_kind:     by_value
      - .offset:         76
        .size:           4
        .value_kind:     by_value
      - .offset:         80
        .size:           4
        .value_kind:     by_value
      - .address_space:  global
        .offset:         88
        .size:           8
        .value_kind:     global_buffer
      - .address_space:  global
        .offset:         96
        .size:           8
        .value_kind:     global_buffer
      - .offset:         104
        .size:           4
        .value_kind:     by_value
      - .offset:         108
        .size:           4
        .value_kind:     by_value
      - .offset:         112
        .size:           4
        .value_kind:     by_value
      - .offset:         116
        .size:           4
        .value_kind:     by_value
      - .offset:         120
        .size:           4
        .value_kind:     by_value
      - .offset:         128
        .size:           4
        .value_kind:     hidden_block_count_x
      - .offset:         132
        .size:           4
        .value_kind:     hidden_block_count_y
      - .offset:         136
        .size:           4
        .value_kind:     hidden_block_count_z
      - .offset:         140
        .size:           2
        .value_kind:     hidden_group_size_x
      - .offset:         142
        .size:           2
        .value_kind:     hidden_group_size_y
      - .offset:         144
        .size:           2
        .value_kind:     hidden_group_size_z
      - .offset:         146
        .size:           2
        .value_kind:     hidden_remainder_x
      - .offset:         148
        .size:           2
        .value_kind:     hidden_remainder_y
      - .offset:         150
        .size:           2
        .value_kind:     hidden_remainder_z
      - .offset:         168
        .size:           8
        .value_kind:     hidden_global_offset_x
      - .offset:         176
        .size:           8
        .value_kind:     hidden_global_offset_y
      - .offset:         184
        .size:           8
        .value_kind:     hidden_global_offset_z
      - .offset:         192
        .size:           2
        .value_kind:     hidden_grid_dims
      - .offset:         248
        .size:           4
        .value_kind:     hidden_dynamic_lds_size
    .group_segment_fixed_size: 400
    .kernarg_segment_align: 8
    .kernarg_segment_size: 384
    .language:       OpenCL C
    .language_version:
      - 2
      - 0
    .max_flat_workgroup_size: 1024
    .name:           _ZN4vllm25paged_attention_v1_kernelI14__hip_bfloat16hLi192ELi16ELi128ELNS_18Fp8KVCacheDataTypeE1ELb0EEEvPT_PKS3_PKT0_S9_ifPKiSB_iPKfiiiSD_SD_iiiii
    .private_segment_fixed_size: 232
    .sgpr_count:     52
    .sgpr_spill_count: 0
    .symbol:         _ZN4vllm25paged_attention_v1_kernelI14__hip_bfloat16hLi192ELi16ELi128ELNS_18Fp8KVCacheDataTypeE1ELb0EEEvPT_PKS3_PKT0_S9_ifPKiSB_iPKfiiiSD_SD_iiiii.kd
    .uniform_work_group_size: 1
    .uses_dynamic_stack: false
    .vgpr_count:     64
    .vgpr_spill_count: 84
    .wavefront_size: 64
  - .args:
      - .actual_access:  write_only
        .address_space:  global
        .offset:         0
        .size:           8
        .value_kind:     global_buffer
      - .actual_access:  read_only
        .address_space:  global
        .offset:         8
        .size:           8
        .value_kind:     global_buffer
      - .actual_access:  read_only
        .address_space:  global
        .offset:         16
        .size:           8
        .value_kind:     global_buffer
      - .actual_access:  read_only
        .address_space:  global
        .offset:         24
        .size:           8
        .value_kind:     global_buffer
      - .offset:         32
        .size:           4
        .value_kind:     by_value
      - .offset:         36
        .size:           4
        .value_kind:     by_value
      - .actual_access:  read_only
        .address_space:  global
        .offset:         40
        .size:           8
        .value_kind:     global_buffer
      - .actual_access:  read_only
        .address_space:  global
        .offset:         48
        .size:           8
        .value_kind:     global_buffer
      - .offset:         56
        .size:           4
        .value_kind:     by_value
      - .actual_access:  read_only
        .address_space:  global
        .offset:         64
        .size:           8
        .value_kind:     global_buffer
      - .offset:         72
        .size:           4
        .value_kind:     by_value
      - .offset:         76
        .size:           4
        .value_kind:     by_value
      - .offset:         80
        .size:           4
        .value_kind:     by_value
      - .address_space:  global
        .offset:         88
        .size:           8
        .value_kind:     global_buffer
      - .address_space:  global
        .offset:         96
        .size:           8
        .value_kind:     global_buffer
      - .offset:         104
        .size:           4
        .value_kind:     by_value
      - .offset:         108
        .size:           4
        .value_kind:     by_value
      - .offset:         112
        .size:           4
        .value_kind:     by_value
      - .offset:         116
        .size:           4
        .value_kind:     by_value
      - .offset:         120
        .size:           4
        .value_kind:     by_value
      - .offset:         128
        .size:           4
        .value_kind:     hidden_block_count_x
      - .offset:         132
        .size:           4
        .value_kind:     hidden_block_count_y
      - .offset:         136
        .size:           4
        .value_kind:     hidden_block_count_z
      - .offset:         140
        .size:           2
        .value_kind:     hidden_group_size_x
      - .offset:         142
        .size:           2
        .value_kind:     hidden_group_size_y
      - .offset:         144
        .size:           2
        .value_kind:     hidden_group_size_z
      - .offset:         146
        .size:           2
        .value_kind:     hidden_remainder_x
      - .offset:         148
        .size:           2
        .value_kind:     hidden_remainder_y
      - .offset:         150
        .size:           2
        .value_kind:     hidden_remainder_z
      - .offset:         168
        .size:           8
        .value_kind:     hidden_global_offset_x
      - .offset:         176
        .size:           8
        .value_kind:     hidden_global_offset_y
      - .offset:         184
        .size:           8
        .value_kind:     hidden_global_offset_z
      - .offset:         192
        .size:           2
        .value_kind:     hidden_grid_dims
      - .offset:         248
        .size:           4
        .value_kind:     hidden_dynamic_lds_size
    .group_segment_fixed_size: 528
    .kernarg_segment_align: 8
    .kernarg_segment_size: 384
    .language:       OpenCL C
    .language_version:
      - 2
      - 0
    .max_flat_workgroup_size: 1024
    .name:           _ZN4vllm25paged_attention_v1_kernelI14__hip_bfloat16hLi256ELi16ELi128ELNS_18Fp8KVCacheDataTypeE1ELb0EEEvPT_PKS3_PKT0_S9_ifPKiSB_iPKfiiiSD_SD_iiiii
    .private_segment_fixed_size: 372
    .sgpr_count:     52
    .sgpr_spill_count: 0
    .symbol:         _ZN4vllm25paged_attention_v1_kernelI14__hip_bfloat16hLi256ELi16ELi128ELNS_18Fp8KVCacheDataTypeE1ELb0EEEvPT_PKS3_PKT0_S9_ifPKiSB_iPKfiiiSD_SD_iiiii.kd
    .uniform_work_group_size: 1
    .uses_dynamic_stack: false
    .vgpr_count:     64
    .vgpr_spill_count: 179
    .wavefront_size: 64
  - .args:
      - .actual_access:  write_only
        .address_space:  global
        .offset:         0
        .size:           8
        .value_kind:     global_buffer
      - .actual_access:  read_only
        .address_space:  global
        .offset:         8
        .size:           8
        .value_kind:     global_buffer
      - .actual_access:  read_only
        .address_space:  global
        .offset:         16
        .size:           8
        .value_kind:     global_buffer
      - .actual_access:  read_only
        .address_space:  global
        .offset:         24
        .size:           8
        .value_kind:     global_buffer
      - .offset:         32
        .size:           4
        .value_kind:     by_value
      - .offset:         36
        .size:           4
        .value_kind:     by_value
      - .actual_access:  read_only
        .address_space:  global
        .offset:         40
        .size:           8
        .value_kind:     global_buffer
      - .actual_access:  read_only
        .address_space:  global
        .offset:         48
        .size:           8
        .value_kind:     global_buffer
      - .offset:         56
        .size:           4
        .value_kind:     by_value
      - .actual_access:  read_only
        .address_space:  global
        .offset:         64
        .size:           8
        .value_kind:     global_buffer
      - .offset:         72
        .size:           4
        .value_kind:     by_value
      - .offset:         76
        .size:           4
        .value_kind:     by_value
      - .offset:         80
        .size:           4
        .value_kind:     by_value
      - .address_space:  global
        .offset:         88
        .size:           8
        .value_kind:     global_buffer
      - .address_space:  global
        .offset:         96
        .size:           8
        .value_kind:     global_buffer
      - .offset:         104
        .size:           4
        .value_kind:     by_value
      - .offset:         108
        .size:           4
        .value_kind:     by_value
      - .offset:         112
        .size:           4
        .value_kind:     by_value
      - .offset:         116
        .size:           4
        .value_kind:     by_value
      - .offset:         120
        .size:           4
        .value_kind:     by_value
      - .offset:         128
        .size:           4
        .value_kind:     hidden_block_count_x
      - .offset:         132
        .size:           4
        .value_kind:     hidden_block_count_y
      - .offset:         136
        .size:           4
        .value_kind:     hidden_block_count_z
      - .offset:         140
        .size:           2
        .value_kind:     hidden_group_size_x
      - .offset:         142
        .size:           2
        .value_kind:     hidden_group_size_y
      - .offset:         144
        .size:           2
        .value_kind:     hidden_group_size_z
      - .offset:         146
        .size:           2
        .value_kind:     hidden_remainder_x
      - .offset:         148
        .size:           2
        .value_kind:     hidden_remainder_y
      - .offset:         150
        .size:           2
        .value_kind:     hidden_remainder_z
      - .offset:         168
        .size:           8
        .value_kind:     hidden_global_offset_x
      - .offset:         176
        .size:           8
        .value_kind:     hidden_global_offset_y
      - .offset:         184
        .size:           8
        .value_kind:     hidden_global_offset_z
      - .offset:         192
        .size:           2
        .value_kind:     hidden_grid_dims
      - .offset:         248
        .size:           4
        .value_kind:     hidden_dynamic_lds_size
    .group_segment_fixed_size: 80
    .kernarg_segment_align: 8
    .kernarg_segment_size: 384
    .language:       OpenCL C
    .language_version:
      - 2
      - 0
    .max_flat_workgroup_size: 1024
    .name:           _ZN4vllm25paged_attention_v1_kernelI14__hip_bfloat16hLi32ELi32ELi128ELNS_18Fp8KVCacheDataTypeE1ELb1EEEvPT_PKS3_PKT0_S9_ifPKiSB_iPKfiiiSD_SD_iiiii
    .private_segment_fixed_size: 0
    .sgpr_count:     61
    .sgpr_spill_count: 0
    .symbol:         _ZN4vllm25paged_attention_v1_kernelI14__hip_bfloat16hLi32ELi32ELi128ELNS_18Fp8KVCacheDataTypeE1ELb1EEEvPT_PKS3_PKT0_S9_ifPKiSB_iPKfiiiSD_SD_iiiii.kd
    .uniform_work_group_size: 1
    .uses_dynamic_stack: false
    .vgpr_count:     58
    .vgpr_spill_count: 0
    .wavefront_size: 64
  - .args:
      - .actual_access:  write_only
        .address_space:  global
        .offset:         0
        .size:           8
        .value_kind:     global_buffer
      - .actual_access:  read_only
        .address_space:  global
        .offset:         8
        .size:           8
        .value_kind:     global_buffer
      - .actual_access:  read_only
        .address_space:  global
        .offset:         16
        .size:           8
        .value_kind:     global_buffer
      - .actual_access:  read_only
        .address_space:  global
        .offset:         24
        .size:           8
        .value_kind:     global_buffer
      - .offset:         32
        .size:           4
        .value_kind:     by_value
      - .offset:         36
        .size:           4
        .value_kind:     by_value
      - .actual_access:  read_only
        .address_space:  global
        .offset:         40
        .size:           8
        .value_kind:     global_buffer
      - .actual_access:  read_only
        .address_space:  global
        .offset:         48
        .size:           8
        .value_kind:     global_buffer
      - .offset:         56
        .size:           4
        .value_kind:     by_value
      - .actual_access:  read_only
        .address_space:  global
        .offset:         64
        .size:           8
        .value_kind:     global_buffer
      - .offset:         72
        .size:           4
        .value_kind:     by_value
      - .offset:         76
        .size:           4
        .value_kind:     by_value
      - .offset:         80
        .size:           4
        .value_kind:     by_value
      - .address_space:  global
        .offset:         88
        .size:           8
        .value_kind:     global_buffer
      - .address_space:  global
        .offset:         96
        .size:           8
        .value_kind:     global_buffer
      - .offset:         104
        .size:           4
        .value_kind:     by_value
      - .offset:         108
        .size:           4
        .value_kind:     by_value
      - .offset:         112
        .size:           4
        .value_kind:     by_value
      - .offset:         116
        .size:           4
        .value_kind:     by_value
      - .offset:         120
        .size:           4
        .value_kind:     by_value
      - .offset:         128
        .size:           4
        .value_kind:     hidden_block_count_x
      - .offset:         132
        .size:           4
        .value_kind:     hidden_block_count_y
      - .offset:         136
        .size:           4
        .value_kind:     hidden_block_count_z
      - .offset:         140
        .size:           2
        .value_kind:     hidden_group_size_x
      - .offset:         142
        .size:           2
        .value_kind:     hidden_group_size_y
      - .offset:         144
        .size:           2
        .value_kind:     hidden_group_size_z
      - .offset:         146
        .size:           2
        .value_kind:     hidden_remainder_x
      - .offset:         148
        .size:           2
        .value_kind:     hidden_remainder_y
      - .offset:         150
        .size:           2
        .value_kind:     hidden_remainder_z
      - .offset:         168
        .size:           8
        .value_kind:     hidden_global_offset_x
      - .offset:         176
        .size:           8
        .value_kind:     hidden_global_offset_y
      - .offset:         184
        .size:           8
        .value_kind:     hidden_global_offset_z
      - .offset:         192
        .size:           2
        .value_kind:     hidden_grid_dims
      - .offset:         248
        .size:           4
        .value_kind:     hidden_dynamic_lds_size
    .group_segment_fixed_size: 144
    .kernarg_segment_align: 8
    .kernarg_segment_size: 384
    .language:       OpenCL C
    .language_version:
      - 2
      - 0
    .max_flat_workgroup_size: 1024
    .name:           _ZN4vllm25paged_attention_v1_kernelI14__hip_bfloat16hLi64ELi32ELi128ELNS_18Fp8KVCacheDataTypeE1ELb1EEEvPT_PKS3_PKT0_S9_ifPKiSB_iPKfiiiSD_SD_iiiii
    .private_segment_fixed_size: 96
    .sgpr_count:     68
    .sgpr_spill_count: 0
    .symbol:         _ZN4vllm25paged_attention_v1_kernelI14__hip_bfloat16hLi64ELi32ELi128ELNS_18Fp8KVCacheDataTypeE1ELb1EEEvPT_PKS3_PKT0_S9_ifPKiSB_iPKfiiiSD_SD_iiiii.kd
    .uniform_work_group_size: 1
    .uses_dynamic_stack: false
    .vgpr_count:     64
    .vgpr_spill_count: 35
    .wavefront_size: 64
  - .args:
      - .actual_access:  write_only
        .address_space:  global
        .offset:         0
        .size:           8
        .value_kind:     global_buffer
      - .actual_access:  read_only
        .address_space:  global
        .offset:         8
        .size:           8
        .value_kind:     global_buffer
      - .actual_access:  read_only
        .address_space:  global
        .offset:         16
        .size:           8
        .value_kind:     global_buffer
      - .actual_access:  read_only
        .address_space:  global
        .offset:         24
        .size:           8
        .value_kind:     global_buffer
      - .offset:         32
        .size:           4
        .value_kind:     by_value
      - .offset:         36
        .size:           4
        .value_kind:     by_value
      - .actual_access:  read_only
        .address_space:  global
        .offset:         40
        .size:           8
        .value_kind:     global_buffer
      - .actual_access:  read_only
        .address_space:  global
        .offset:         48
        .size:           8
        .value_kind:     global_buffer
      - .offset:         56
        .size:           4
        .value_kind:     by_value
      - .actual_access:  read_only
        .address_space:  global
        .offset:         64
        .size:           8
        .value_kind:     global_buffer
      - .offset:         72
        .size:           4
        .value_kind:     by_value
      - .offset:         76
        .size:           4
        .value_kind:     by_value
      - .offset:         80
        .size:           4
        .value_kind:     by_value
      - .address_space:  global
        .offset:         88
        .size:           8
        .value_kind:     global_buffer
      - .address_space:  global
        .offset:         96
        .size:           8
        .value_kind:     global_buffer
      - .offset:         104
        .size:           4
        .value_kind:     by_value
      - .offset:         108
        .size:           4
        .value_kind:     by_value
      - .offset:         112
        .size:           4
        .value_kind:     by_value
      - .offset:         116
        .size:           4
        .value_kind:     by_value
      - .offset:         120
        .size:           4
        .value_kind:     by_value
      - .offset:         128
        .size:           4
        .value_kind:     hidden_block_count_x
      - .offset:         132
        .size:           4
        .value_kind:     hidden_block_count_y
      - .offset:         136
        .size:           4
        .value_kind:     hidden_block_count_z
      - .offset:         140
        .size:           2
        .value_kind:     hidden_group_size_x
      - .offset:         142
        .size:           2
        .value_kind:     hidden_group_size_y
      - .offset:         144
        .size:           2
        .value_kind:     hidden_group_size_z
      - .offset:         146
        .size:           2
        .value_kind:     hidden_remainder_x
      - .offset:         148
        .size:           2
        .value_kind:     hidden_remainder_y
      - .offset:         150
        .size:           2
        .value_kind:     hidden_remainder_z
      - .offset:         168
        .size:           8
        .value_kind:     hidden_global_offset_x
      - .offset:         176
        .size:           8
        .value_kind:     hidden_global_offset_y
      - .offset:         184
        .size:           8
        .value_kind:     hidden_global_offset_z
      - .offset:         192
        .size:           2
        .value_kind:     hidden_grid_dims
      - .offset:         248
        .size:           4
        .value_kind:     hidden_dynamic_lds_size
    .group_segment_fixed_size: 176
    .kernarg_segment_align: 8
    .kernarg_segment_size: 384
    .language:       OpenCL C
    .language_version:
      - 2
      - 0
    .max_flat_workgroup_size: 1024
    .name:           _ZN4vllm25paged_attention_v1_kernelI14__hip_bfloat16hLi80ELi32ELi128ELNS_18Fp8KVCacheDataTypeE1ELb1EEEvPT_PKS3_PKT0_S9_ifPKiSB_iPKfiiiSD_SD_iiiii
    .private_segment_fixed_size: 188
    .sgpr_count:     68
    .sgpr_spill_count: 0
    .symbol:         _ZN4vllm25paged_attention_v1_kernelI14__hip_bfloat16hLi80ELi32ELi128ELNS_18Fp8KVCacheDataTypeE1ELb1EEEvPT_PKS3_PKT0_S9_ifPKiSB_iPKfiiiSD_SD_iiiii.kd
    .uniform_work_group_size: 1
    .uses_dynamic_stack: false
    .vgpr_count:     64
    .vgpr_spill_count: 92
    .wavefront_size: 64
  - .args:
      - .actual_access:  write_only
        .address_space:  global
        .offset:         0
        .size:           8
        .value_kind:     global_buffer
      - .actual_access:  read_only
        .address_space:  global
        .offset:         8
        .size:           8
        .value_kind:     global_buffer
      - .actual_access:  read_only
        .address_space:  global
        .offset:         16
        .size:           8
        .value_kind:     global_buffer
      - .actual_access:  read_only
        .address_space:  global
        .offset:         24
        .size:           8
        .value_kind:     global_buffer
      - .offset:         32
        .size:           4
        .value_kind:     by_value
      - .offset:         36
        .size:           4
        .value_kind:     by_value
      - .actual_access:  read_only
        .address_space:  global
        .offset:         40
        .size:           8
        .value_kind:     global_buffer
      - .actual_access:  read_only
        .address_space:  global
        .offset:         48
        .size:           8
        .value_kind:     global_buffer
      - .offset:         56
        .size:           4
        .value_kind:     by_value
      - .actual_access:  read_only
        .address_space:  global
        .offset:         64
        .size:           8
        .value_kind:     global_buffer
      - .offset:         72
        .size:           4
        .value_kind:     by_value
      - .offset:         76
        .size:           4
        .value_kind:     by_value
      - .offset:         80
        .size:           4
        .value_kind:     by_value
      - .address_space:  global
        .offset:         88
        .size:           8
        .value_kind:     global_buffer
      - .address_space:  global
        .offset:         96
        .size:           8
        .value_kind:     global_buffer
      - .offset:         104
        .size:           4
        .value_kind:     by_value
      - .offset:         108
        .size:           4
        .value_kind:     by_value
      - .offset:         112
        .size:           4
        .value_kind:     by_value
      - .offset:         116
        .size:           4
        .value_kind:     by_value
      - .offset:         120
        .size:           4
        .value_kind:     by_value
      - .offset:         128
        .size:           4
        .value_kind:     hidden_block_count_x
      - .offset:         132
        .size:           4
        .value_kind:     hidden_block_count_y
      - .offset:         136
        .size:           4
        .value_kind:     hidden_block_count_z
      - .offset:         140
        .size:           2
        .value_kind:     hidden_group_size_x
      - .offset:         142
        .size:           2
        .value_kind:     hidden_group_size_y
      - .offset:         144
        .size:           2
        .value_kind:     hidden_group_size_z
      - .offset:         146
        .size:           2
        .value_kind:     hidden_remainder_x
      - .offset:         148
        .size:           2
        .value_kind:     hidden_remainder_y
      - .offset:         150
        .size:           2
        .value_kind:     hidden_remainder_z
      - .offset:         168
        .size:           8
        .value_kind:     hidden_global_offset_x
      - .offset:         176
        .size:           8
        .value_kind:     hidden_global_offset_y
      - .offset:         184
        .size:           8
        .value_kind:     hidden_global_offset_z
      - .offset:         192
        .size:           2
        .value_kind:     hidden_grid_dims
      - .offset:         248
        .size:           4
        .value_kind:     hidden_dynamic_lds_size
    .group_segment_fixed_size: 208
    .kernarg_segment_align: 8
    .kernarg_segment_size: 384
    .language:       OpenCL C
    .language_version:
      - 2
      - 0
    .max_flat_workgroup_size: 1024
    .name:           _ZN4vllm25paged_attention_v1_kernelI14__hip_bfloat16hLi96ELi32ELi128ELNS_18Fp8KVCacheDataTypeE1ELb1EEEvPT_PKS3_PKT0_S9_ifPKiSB_iPKfiiiSD_SD_iiiii
    .private_segment_fixed_size: 284
    .sgpr_count:     68
    .sgpr_spill_count: 0
    .symbol:         _ZN4vllm25paged_attention_v1_kernelI14__hip_bfloat16hLi96ELi32ELi128ELNS_18Fp8KVCacheDataTypeE1ELb1EEEvPT_PKS3_PKT0_S9_ifPKiSB_iPKfiiiSD_SD_iiiii.kd
    .uniform_work_group_size: 1
    .uses_dynamic_stack: false
    .vgpr_count:     64
    .vgpr_spill_count: 119
    .wavefront_size: 64
  - .args:
      - .actual_access:  write_only
        .address_space:  global
        .offset:         0
        .size:           8
        .value_kind:     global_buffer
      - .actual_access:  read_only
        .address_space:  global
        .offset:         8
        .size:           8
        .value_kind:     global_buffer
      - .actual_access:  read_only
        .address_space:  global
        .offset:         16
        .size:           8
        .value_kind:     global_buffer
      - .actual_access:  read_only
        .address_space:  global
        .offset:         24
        .size:           8
        .value_kind:     global_buffer
      - .offset:         32
        .size:           4
        .value_kind:     by_value
      - .offset:         36
        .size:           4
        .value_kind:     by_value
      - .actual_access:  read_only
        .address_space:  global
        .offset:         40
        .size:           8
        .value_kind:     global_buffer
      - .actual_access:  read_only
        .address_space:  global
        .offset:         48
        .size:           8
        .value_kind:     global_buffer
      - .offset:         56
        .size:           4
        .value_kind:     by_value
      - .actual_access:  read_only
        .address_space:  global
        .offset:         64
        .size:           8
        .value_kind:     global_buffer
      - .offset:         72
        .size:           4
        .value_kind:     by_value
      - .offset:         76
        .size:           4
        .value_kind:     by_value
      - .offset:         80
        .size:           4
        .value_kind:     by_value
      - .address_space:  global
        .offset:         88
        .size:           8
        .value_kind:     global_buffer
      - .address_space:  global
        .offset:         96
        .size:           8
        .value_kind:     global_buffer
      - .offset:         104
        .size:           4
        .value_kind:     by_value
      - .offset:         108
        .size:           4
        .value_kind:     by_value
      - .offset:         112
        .size:           4
        .value_kind:     by_value
      - .offset:         116
        .size:           4
        .value_kind:     by_value
      - .offset:         120
        .size:           4
        .value_kind:     by_value
      - .offset:         128
        .size:           4
        .value_kind:     hidden_block_count_x
      - .offset:         132
        .size:           4
        .value_kind:     hidden_block_count_y
      - .offset:         136
        .size:           4
        .value_kind:     hidden_block_count_z
      - .offset:         140
        .size:           2
        .value_kind:     hidden_group_size_x
      - .offset:         142
        .size:           2
        .value_kind:     hidden_group_size_y
      - .offset:         144
        .size:           2
        .value_kind:     hidden_group_size_z
      - .offset:         146
        .size:           2
        .value_kind:     hidden_remainder_x
      - .offset:         148
        .size:           2
        .value_kind:     hidden_remainder_y
      - .offset:         150
        .size:           2
        .value_kind:     hidden_remainder_z
      - .offset:         168
        .size:           8
        .value_kind:     hidden_global_offset_x
      - .offset:         176
        .size:           8
        .value_kind:     hidden_global_offset_y
      - .offset:         184
        .size:           8
        .value_kind:     hidden_global_offset_z
      - .offset:         192
        .size:           2
        .value_kind:     hidden_grid_dims
      - .offset:         248
        .size:           4
        .value_kind:     hidden_dynamic_lds_size
    .group_segment_fixed_size: 240
    .kernarg_segment_align: 8
    .kernarg_segment_size: 384
    .language:       OpenCL C
    .language_version:
      - 2
      - 0
    .max_flat_workgroup_size: 1024
    .name:           _ZN4vllm25paged_attention_v1_kernelI14__hip_bfloat16hLi112ELi32ELi128ELNS_18Fp8KVCacheDataTypeE1ELb1EEEvPT_PKS3_PKT0_S9_ifPKiSB_iPKfiiiSD_SD_iiiii
    .private_segment_fixed_size: 304
    .sgpr_count:     68
    .sgpr_spill_count: 0
    .symbol:         _ZN4vllm25paged_attention_v1_kernelI14__hip_bfloat16hLi112ELi32ELi128ELNS_18Fp8KVCacheDataTypeE1ELb1EEEvPT_PKS3_PKT0_S9_ifPKiSB_iPKfiiiSD_SD_iiiii.kd
    .uniform_work_group_size: 1
    .uses_dynamic_stack: false
    .vgpr_count:     64
    .vgpr_spill_count: 173
    .wavefront_size: 64
  - .args:
      - .actual_access:  write_only
        .address_space:  global
        .offset:         0
        .size:           8
        .value_kind:     global_buffer
      - .actual_access:  read_only
        .address_space:  global
        .offset:         8
        .size:           8
        .value_kind:     global_buffer
      - .actual_access:  read_only
        .address_space:  global
        .offset:         16
        .size:           8
        .value_kind:     global_buffer
      - .actual_access:  read_only
        .address_space:  global
        .offset:         24
        .size:           8
        .value_kind:     global_buffer
      - .offset:         32
        .size:           4
        .value_kind:     by_value
      - .offset:         36
        .size:           4
        .value_kind:     by_value
      - .actual_access:  read_only
        .address_space:  global
        .offset:         40
        .size:           8
        .value_kind:     global_buffer
      - .actual_access:  read_only
        .address_space:  global
        .offset:         48
        .size:           8
        .value_kind:     global_buffer
      - .offset:         56
        .size:           4
        .value_kind:     by_value
      - .actual_access:  read_only
        .address_space:  global
        .offset:         64
        .size:           8
        .value_kind:     global_buffer
      - .offset:         72
        .size:           4
        .value_kind:     by_value
      - .offset:         76
        .size:           4
        .value_kind:     by_value
      - .offset:         80
        .size:           4
        .value_kind:     by_value
      - .address_space:  global
        .offset:         88
        .size:           8
        .value_kind:     global_buffer
      - .address_space:  global
        .offset:         96
        .size:           8
        .value_kind:     global_buffer
      - .offset:         104
        .size:           4
        .value_kind:     by_value
      - .offset:         108
        .size:           4
        .value_kind:     by_value
      - .offset:         112
        .size:           4
        .value_kind:     by_value
      - .offset:         116
        .size:           4
        .value_kind:     by_value
      - .offset:         120
        .size:           4
        .value_kind:     by_value
      - .offset:         128
        .size:           4
        .value_kind:     hidden_block_count_x
      - .offset:         132
        .size:           4
        .value_kind:     hidden_block_count_y
      - .offset:         136
        .size:           4
        .value_kind:     hidden_block_count_z
      - .offset:         140
        .size:           2
        .value_kind:     hidden_group_size_x
      - .offset:         142
        .size:           2
        .value_kind:     hidden_group_size_y
      - .offset:         144
        .size:           2
        .value_kind:     hidden_group_size_z
      - .offset:         146
        .size:           2
        .value_kind:     hidden_remainder_x
      - .offset:         148
        .size:           2
        .value_kind:     hidden_remainder_y
      - .offset:         150
        .size:           2
        .value_kind:     hidden_remainder_z
      - .offset:         168
        .size:           8
        .value_kind:     hidden_global_offset_x
      - .offset:         176
        .size:           8
        .value_kind:     hidden_global_offset_y
      - .offset:         184
        .size:           8
        .value_kind:     hidden_global_offset_z
      - .offset:         192
        .size:           2
        .value_kind:     hidden_grid_dims
      - .offset:         248
        .size:           4
        .value_kind:     hidden_dynamic_lds_size
    .group_segment_fixed_size: 256
    .kernarg_segment_align: 8
    .kernarg_segment_size: 384
    .language:       OpenCL C
    .language_version:
      - 2
      - 0
    .max_flat_workgroup_size: 1024
    .name:           _ZN4vllm25paged_attention_v1_kernelI14__hip_bfloat16hLi120ELi32ELi128ELNS_18Fp8KVCacheDataTypeE1ELb1EEEvPT_PKS3_PKT0_S9_ifPKiSB_iPKfiiiSD_SD_iiiii
    .private_segment_fixed_size: 324
    .sgpr_count:     68
    .sgpr_spill_count: 0
    .symbol:         _ZN4vllm25paged_attention_v1_kernelI14__hip_bfloat16hLi120ELi32ELi128ELNS_18Fp8KVCacheDataTypeE1ELb1EEEvPT_PKS3_PKT0_S9_ifPKiSB_iPKfiiiSD_SD_iiiii.kd
    .uniform_work_group_size: 1
    .uses_dynamic_stack: false
    .vgpr_count:     64
    .vgpr_spill_count: 184
    .wavefront_size: 64
  - .args:
      - .actual_access:  write_only
        .address_space:  global
        .offset:         0
        .size:           8
        .value_kind:     global_buffer
      - .actual_access:  read_only
        .address_space:  global
        .offset:         8
        .size:           8
        .value_kind:     global_buffer
      - .actual_access:  read_only
        .address_space:  global
        .offset:         16
        .size:           8
        .value_kind:     global_buffer
      - .actual_access:  read_only
        .address_space:  global
        .offset:         24
        .size:           8
        .value_kind:     global_buffer
      - .offset:         32
        .size:           4
        .value_kind:     by_value
      - .offset:         36
        .size:           4
        .value_kind:     by_value
      - .actual_access:  read_only
        .address_space:  global
        .offset:         40
        .size:           8
        .value_kind:     global_buffer
      - .actual_access:  read_only
        .address_space:  global
        .offset:         48
        .size:           8
        .value_kind:     global_buffer
      - .offset:         56
        .size:           4
        .value_kind:     by_value
      - .actual_access:  read_only
        .address_space:  global
        .offset:         64
        .size:           8
        .value_kind:     global_buffer
      - .offset:         72
        .size:           4
        .value_kind:     by_value
      - .offset:         76
        .size:           4
        .value_kind:     by_value
      - .offset:         80
        .size:           4
        .value_kind:     by_value
      - .address_space:  global
        .offset:         88
        .size:           8
        .value_kind:     global_buffer
      - .address_space:  global
        .offset:         96
        .size:           8
        .value_kind:     global_buffer
      - .offset:         104
        .size:           4
        .value_kind:     by_value
      - .offset:         108
        .size:           4
        .value_kind:     by_value
      - .offset:         112
        .size:           4
        .value_kind:     by_value
      - .offset:         116
        .size:           4
        .value_kind:     by_value
      - .offset:         120
        .size:           4
        .value_kind:     by_value
      - .offset:         128
        .size:           4
        .value_kind:     hidden_block_count_x
      - .offset:         132
        .size:           4
        .value_kind:     hidden_block_count_y
      - .offset:         136
        .size:           4
        .value_kind:     hidden_block_count_z
      - .offset:         140
        .size:           2
        .value_kind:     hidden_group_size_x
      - .offset:         142
        .size:           2
        .value_kind:     hidden_group_size_y
      - .offset:         144
        .size:           2
        .value_kind:     hidden_group_size_z
      - .offset:         146
        .size:           2
        .value_kind:     hidden_remainder_x
      - .offset:         148
        .size:           2
        .value_kind:     hidden_remainder_y
      - .offset:         150
        .size:           2
        .value_kind:     hidden_remainder_z
      - .offset:         168
        .size:           8
        .value_kind:     hidden_global_offset_x
      - .offset:         176
        .size:           8
        .value_kind:     hidden_global_offset_y
      - .offset:         184
        .size:           8
        .value_kind:     hidden_global_offset_z
      - .offset:         192
        .size:           2
        .value_kind:     hidden_grid_dims
      - .offset:         248
        .size:           4
        .value_kind:     hidden_dynamic_lds_size
    .group_segment_fixed_size: 272
    .kernarg_segment_align: 8
    .kernarg_segment_size: 384
    .language:       OpenCL C
    .language_version:
      - 2
      - 0
    .max_flat_workgroup_size: 1024
    .name:           _ZN4vllm25paged_attention_v1_kernelI14__hip_bfloat16hLi128ELi32ELi128ELNS_18Fp8KVCacheDataTypeE1ELb1EEEvPT_PKS3_PKT0_S9_ifPKiSB_iPKfiiiSD_SD_iiiii
    .private_segment_fixed_size: 344
    .sgpr_count:     68
    .sgpr_spill_count: 0
    .symbol:         _ZN4vllm25paged_attention_v1_kernelI14__hip_bfloat16hLi128ELi32ELi128ELNS_18Fp8KVCacheDataTypeE1ELb1EEEvPT_PKS3_PKT0_S9_ifPKiSB_iPKfiiiSD_SD_iiiii.kd
    .uniform_work_group_size: 1
    .uses_dynamic_stack: false
    .vgpr_count:     64
    .vgpr_spill_count: 226
    .wavefront_size: 64
  - .args:
      - .actual_access:  write_only
        .address_space:  global
        .offset:         0
        .size:           8
        .value_kind:     global_buffer
      - .actual_access:  read_only
        .address_space:  global
        .offset:         8
        .size:           8
        .value_kind:     global_buffer
      - .actual_access:  read_only
        .address_space:  global
        .offset:         16
        .size:           8
        .value_kind:     global_buffer
      - .actual_access:  read_only
        .address_space:  global
        .offset:         24
        .size:           8
        .value_kind:     global_buffer
      - .offset:         32
        .size:           4
        .value_kind:     by_value
      - .offset:         36
        .size:           4
        .value_kind:     by_value
      - .actual_access:  read_only
        .address_space:  global
        .offset:         40
        .size:           8
        .value_kind:     global_buffer
      - .actual_access:  read_only
        .address_space:  global
        .offset:         48
        .size:           8
        .value_kind:     global_buffer
      - .offset:         56
        .size:           4
        .value_kind:     by_value
      - .actual_access:  read_only
        .address_space:  global
        .offset:         64
        .size:           8
        .value_kind:     global_buffer
      - .offset:         72
        .size:           4
        .value_kind:     by_value
      - .offset:         76
        .size:           4
        .value_kind:     by_value
      - .offset:         80
        .size:           4
        .value_kind:     by_value
      - .address_space:  global
        .offset:         88
        .size:           8
        .value_kind:     global_buffer
      - .address_space:  global
        .offset:         96
        .size:           8
        .value_kind:     global_buffer
      - .offset:         104
        .size:           4
        .value_kind:     by_value
      - .offset:         108
        .size:           4
        .value_kind:     by_value
      - .offset:         112
        .size:           4
        .value_kind:     by_value
      - .offset:         116
        .size:           4
        .value_kind:     by_value
      - .offset:         120
        .size:           4
        .value_kind:     by_value
      - .offset:         128
        .size:           4
        .value_kind:     hidden_block_count_x
      - .offset:         132
        .size:           4
        .value_kind:     hidden_block_count_y
      - .offset:         136
        .size:           4
        .value_kind:     hidden_block_count_z
      - .offset:         140
        .size:           2
        .value_kind:     hidden_group_size_x
      - .offset:         142
        .size:           2
        .value_kind:     hidden_group_size_y
      - .offset:         144
        .size:           2
        .value_kind:     hidden_group_size_z
      - .offset:         146
        .size:           2
        .value_kind:     hidden_remainder_x
      - .offset:         148
        .size:           2
        .value_kind:     hidden_remainder_y
      - .offset:         150
        .size:           2
        .value_kind:     hidden_remainder_z
      - .offset:         168
        .size:           8
        .value_kind:     hidden_global_offset_x
      - .offset:         176
        .size:           8
        .value_kind:     hidden_global_offset_y
      - .offset:         184
        .size:           8
        .value_kind:     hidden_global_offset_z
      - .offset:         192
        .size:           2
        .value_kind:     hidden_grid_dims
      - .offset:         248
        .size:           4
        .value_kind:     hidden_dynamic_lds_size
    .group_segment_fixed_size: 400
    .kernarg_segment_align: 8
    .kernarg_segment_size: 384
    .language:       OpenCL C
    .language_version:
      - 2
      - 0
    .max_flat_workgroup_size: 1024
    .name:           _ZN4vllm25paged_attention_v1_kernelI14__hip_bfloat16hLi192ELi32ELi128ELNS_18Fp8KVCacheDataTypeE1ELb1EEEvPT_PKS3_PKT0_S9_ifPKiSB_iPKfiiiSD_SD_iiiii
    .private_segment_fixed_size: 492
    .sgpr_count:     68
    .sgpr_spill_count: 0
    .symbol:         _ZN4vllm25paged_attention_v1_kernelI14__hip_bfloat16hLi192ELi32ELi128ELNS_18Fp8KVCacheDataTypeE1ELb1EEEvPT_PKS3_PKT0_S9_ifPKiSB_iPKfiiiSD_SD_iiiii.kd
    .uniform_work_group_size: 1
    .uses_dynamic_stack: false
    .vgpr_count:     64
    .vgpr_spill_count: 432
    .wavefront_size: 64
  - .args:
      - .address_space:  global
        .offset:         0
        .size:           8
        .value_kind:     global_buffer
      - .address_space:  global
        .offset:         8
        .size:           8
        .value_kind:     global_buffer
      - .address_space:  global
        .offset:         16
        .size:           8
        .value_kind:     global_buffer
      - .address_space:  global
        .offset:         24
        .size:           8
        .value_kind:     global_buffer
      - .offset:         32
        .size:           4
        .value_kind:     by_value
      - .offset:         36
        .size:           4
        .value_kind:     by_value
      - .address_space:  global
        .offset:         40
        .size:           8
        .value_kind:     global_buffer
      - .address_space:  global
        .offset:         48
        .size:           8
        .value_kind:     global_buffer
      - .offset:         56
        .size:           4
        .value_kind:     by_value
      - .address_space:  global
        .offset:         64
        .size:           8
        .value_kind:     global_buffer
      - .offset:         72
        .size:           4
        .value_kind:     by_value
      - .offset:         76
        .size:           4
        .value_kind:     by_value
      - .offset:         80
        .size:           4
        .value_kind:     by_value
      - .address_space:  global
        .offset:         88
        .size:           8
        .value_kind:     global_buffer
      - .address_space:  global
        .offset:         96
        .size:           8
        .value_kind:     global_buffer
      - .offset:         104
        .size:           4
        .value_kind:     by_value
      - .offset:         108
        .size:           4
        .value_kind:     by_value
      - .offset:         112
        .size:           4
        .value_kind:     by_value
      - .offset:         116
        .size:           4
        .value_kind:     by_value
      - .offset:         120
        .size:           4
        .value_kind:     by_value
      - .offset:         128
        .size:           4
        .value_kind:     hidden_block_count_x
      - .offset:         132
        .size:           4
        .value_kind:     hidden_block_count_y
      - .offset:         136
        .size:           4
        .value_kind:     hidden_block_count_z
      - .offset:         140
        .size:           2
        .value_kind:     hidden_group_size_x
      - .offset:         142
        .size:           2
        .value_kind:     hidden_group_size_y
      - .offset:         144
        .size:           2
        .value_kind:     hidden_group_size_z
      - .offset:         146
        .size:           2
        .value_kind:     hidden_remainder_x
      - .offset:         148
        .size:           2
        .value_kind:     hidden_remainder_y
      - .offset:         150
        .size:           2
        .value_kind:     hidden_remainder_z
      - .offset:         168
        .size:           8
        .value_kind:     hidden_global_offset_x
      - .offset:         176
        .size:           8
        .value_kind:     hidden_global_offset_y
      - .offset:         184
        .size:           8
        .value_kind:     hidden_global_offset_z
      - .offset:         192
        .size:           2
        .value_kind:     hidden_grid_dims
      - .offset:         248
        .size:           4
        .value_kind:     hidden_dynamic_lds_size
    .group_segment_fixed_size: 528
    .kernarg_segment_align: 8
    .kernarg_segment_size: 384
    .language:       OpenCL C
    .language_version:
      - 2
      - 0
    .max_flat_workgroup_size: 1024
    .name:           _ZN4vllm25paged_attention_v1_kernelI14__hip_bfloat16hLi256ELi32ELi128ELNS_18Fp8KVCacheDataTypeE1ELb1EEEvPT_PKS3_PKT0_S9_ifPKiSB_iPKfiiiSD_SD_iiiii
    .private_segment_fixed_size: 896
    .sgpr_count:     52
    .sgpr_spill_count: 0
    .symbol:         _ZN4vllm25paged_attention_v1_kernelI14__hip_bfloat16hLi256ELi32ELi128ELNS_18Fp8KVCacheDataTypeE1ELb1EEEvPT_PKS3_PKT0_S9_ifPKiSB_iPKfiiiSD_SD_iiiii.kd
    .uniform_work_group_size: 1
    .uses_dynamic_stack: false
    .vgpr_count:     64
    .vgpr_spill_count: 0
    .wavefront_size: 64
  - .args:
      - .actual_access:  write_only
        .address_space:  global
        .offset:         0
        .size:           8
        .value_kind:     global_buffer
      - .actual_access:  read_only
        .address_space:  global
        .offset:         8
        .size:           8
        .value_kind:     global_buffer
      - .actual_access:  read_only
        .address_space:  global
        .offset:         16
        .size:           8
        .value_kind:     global_buffer
      - .actual_access:  read_only
        .address_space:  global
        .offset:         24
        .size:           8
        .value_kind:     global_buffer
      - .offset:         32
        .size:           4
        .value_kind:     by_value
      - .offset:         36
        .size:           4
        .value_kind:     by_value
      - .actual_access:  read_only
        .address_space:  global
        .offset:         40
        .size:           8
        .value_kind:     global_buffer
      - .actual_access:  read_only
        .address_space:  global
        .offset:         48
        .size:           8
        .value_kind:     global_buffer
      - .offset:         56
        .size:           4
        .value_kind:     by_value
      - .actual_access:  read_only
        .address_space:  global
        .offset:         64
        .size:           8
        .value_kind:     global_buffer
      - .offset:         72
        .size:           4
        .value_kind:     by_value
      - .offset:         76
        .size:           4
        .value_kind:     by_value
      - .offset:         80
        .size:           4
        .value_kind:     by_value
      - .address_space:  global
        .offset:         88
        .size:           8
        .value_kind:     global_buffer
      - .address_space:  global
        .offset:         96
        .size:           8
        .value_kind:     global_buffer
      - .offset:         104
        .size:           4
        .value_kind:     by_value
      - .offset:         108
        .size:           4
        .value_kind:     by_value
      - .offset:         112
        .size:           4
        .value_kind:     by_value
      - .offset:         116
        .size:           4
        .value_kind:     by_value
      - .offset:         120
        .size:           4
        .value_kind:     by_value
      - .offset:         128
        .size:           4
        .value_kind:     hidden_block_count_x
      - .offset:         132
        .size:           4
        .value_kind:     hidden_block_count_y
      - .offset:         136
        .size:           4
        .value_kind:     hidden_block_count_z
      - .offset:         140
        .size:           2
        .value_kind:     hidden_group_size_x
      - .offset:         142
        .size:           2
        .value_kind:     hidden_group_size_y
      - .offset:         144
        .size:           2
        .value_kind:     hidden_group_size_z
      - .offset:         146
        .size:           2
        .value_kind:     hidden_remainder_x
      - .offset:         148
        .size:           2
        .value_kind:     hidden_remainder_y
      - .offset:         150
        .size:           2
        .value_kind:     hidden_remainder_z
      - .offset:         168
        .size:           8
        .value_kind:     hidden_global_offset_x
      - .offset:         176
        .size:           8
        .value_kind:     hidden_global_offset_y
      - .offset:         184
        .size:           8
        .value_kind:     hidden_global_offset_z
      - .offset:         192
        .size:           2
        .value_kind:     hidden_grid_dims
      - .offset:         248
        .size:           4
        .value_kind:     hidden_dynamic_lds_size
    .group_segment_fixed_size: 80
    .kernarg_segment_align: 8
    .kernarg_segment_size: 384
    .language:       OpenCL C
    .language_version:
      - 2
      - 0
    .max_flat_workgroup_size: 1024
    .name:           _ZN4vllm25paged_attention_v1_kernelI14__hip_bfloat16hLi32ELi32ELi128ELNS_18Fp8KVCacheDataTypeE1ELb0EEEvPT_PKS3_PKT0_S9_ifPKiSB_iPKfiiiSD_SD_iiiii
    .private_segment_fixed_size: 0
    .sgpr_count:     49
    .sgpr_spill_count: 0
    .symbol:         _ZN4vllm25paged_attention_v1_kernelI14__hip_bfloat16hLi32ELi32ELi128ELNS_18Fp8KVCacheDataTypeE1ELb0EEEvPT_PKS3_PKT0_S9_ifPKiSB_iPKfiiiSD_SD_iiiii.kd
    .uniform_work_group_size: 1
    .uses_dynamic_stack: false
    .vgpr_count:     56
    .vgpr_spill_count: 0
    .wavefront_size: 64
  - .args:
      - .actual_access:  write_only
        .address_space:  global
        .offset:         0
        .size:           8
        .value_kind:     global_buffer
      - .actual_access:  read_only
        .address_space:  global
        .offset:         8
        .size:           8
        .value_kind:     global_buffer
      - .actual_access:  read_only
        .address_space:  global
        .offset:         16
        .size:           8
        .value_kind:     global_buffer
      - .actual_access:  read_only
        .address_space:  global
        .offset:         24
        .size:           8
        .value_kind:     global_buffer
      - .offset:         32
        .size:           4
        .value_kind:     by_value
      - .offset:         36
        .size:           4
        .value_kind:     by_value
      - .actual_access:  read_only
        .address_space:  global
        .offset:         40
        .size:           8
        .value_kind:     global_buffer
      - .actual_access:  read_only
        .address_space:  global
        .offset:         48
        .size:           8
        .value_kind:     global_buffer
      - .offset:         56
        .size:           4
        .value_kind:     by_value
      - .actual_access:  read_only
        .address_space:  global
        .offset:         64
        .size:           8
        .value_kind:     global_buffer
      - .offset:         72
        .size:           4
        .value_kind:     by_value
      - .offset:         76
        .size:           4
        .value_kind:     by_value
      - .offset:         80
        .size:           4
        .value_kind:     by_value
      - .address_space:  global
        .offset:         88
        .size:           8
        .value_kind:     global_buffer
      - .address_space:  global
        .offset:         96
        .size:           8
        .value_kind:     global_buffer
      - .offset:         104
        .size:           4
        .value_kind:     by_value
      - .offset:         108
        .size:           4
        .value_kind:     by_value
      - .offset:         112
        .size:           4
        .value_kind:     by_value
      - .offset:         116
        .size:           4
        .value_kind:     by_value
      - .offset:         120
        .size:           4
        .value_kind:     by_value
      - .offset:         128
        .size:           4
        .value_kind:     hidden_block_count_x
      - .offset:         132
        .size:           4
        .value_kind:     hidden_block_count_y
      - .offset:         136
        .size:           4
        .value_kind:     hidden_block_count_z
      - .offset:         140
        .size:           2
        .value_kind:     hidden_group_size_x
      - .offset:         142
        .size:           2
        .value_kind:     hidden_group_size_y
      - .offset:         144
        .size:           2
        .value_kind:     hidden_group_size_z
      - .offset:         146
        .size:           2
        .value_kind:     hidden_remainder_x
      - .offset:         148
        .size:           2
        .value_kind:     hidden_remainder_y
      - .offset:         150
        .size:           2
        .value_kind:     hidden_remainder_z
      - .offset:         168
        .size:           8
        .value_kind:     hidden_global_offset_x
      - .offset:         176
        .size:           8
        .value_kind:     hidden_global_offset_y
      - .offset:         184
        .size:           8
        .value_kind:     hidden_global_offset_z
      - .offset:         192
        .size:           2
        .value_kind:     hidden_grid_dims
      - .offset:         248
        .size:           4
        .value_kind:     hidden_dynamic_lds_size
    .group_segment_fixed_size: 144
    .kernarg_segment_align: 8
    .kernarg_segment_size: 384
    .language:       OpenCL C
    .language_version:
      - 2
      - 0
    .max_flat_workgroup_size: 1024
    .name:           _ZN4vllm25paged_attention_v1_kernelI14__hip_bfloat16hLi64ELi32ELi128ELNS_18Fp8KVCacheDataTypeE1ELb0EEEvPT_PKS3_PKT0_S9_ifPKiSB_iPKfiiiSD_SD_iiiii
    .private_segment_fixed_size: 100
    .sgpr_count:     56
    .sgpr_spill_count: 0
    .symbol:         _ZN4vllm25paged_attention_v1_kernelI14__hip_bfloat16hLi64ELi32ELi128ELNS_18Fp8KVCacheDataTypeE1ELb0EEEvPT_PKS3_PKT0_S9_ifPKiSB_iPKfiiiSD_SD_iiiii.kd
    .uniform_work_group_size: 1
    .uses_dynamic_stack: false
    .vgpr_count:     64
    .vgpr_spill_count: 29
    .wavefront_size: 64
  - .args:
      - .actual_access:  write_only
        .address_space:  global
        .offset:         0
        .size:           8
        .value_kind:     global_buffer
      - .actual_access:  read_only
        .address_space:  global
        .offset:         8
        .size:           8
        .value_kind:     global_buffer
      - .actual_access:  read_only
        .address_space:  global
        .offset:         16
        .size:           8
        .value_kind:     global_buffer
      - .actual_access:  read_only
        .address_space:  global
        .offset:         24
        .size:           8
        .value_kind:     global_buffer
      - .offset:         32
        .size:           4
        .value_kind:     by_value
      - .offset:         36
        .size:           4
        .value_kind:     by_value
      - .actual_access:  read_only
        .address_space:  global
        .offset:         40
        .size:           8
        .value_kind:     global_buffer
      - .actual_access:  read_only
        .address_space:  global
        .offset:         48
        .size:           8
        .value_kind:     global_buffer
      - .offset:         56
        .size:           4
        .value_kind:     by_value
      - .actual_access:  read_only
        .address_space:  global
        .offset:         64
        .size:           8
        .value_kind:     global_buffer
      - .offset:         72
        .size:           4
        .value_kind:     by_value
      - .offset:         76
        .size:           4
        .value_kind:     by_value
      - .offset:         80
        .size:           4
        .value_kind:     by_value
      - .address_space:  global
        .offset:         88
        .size:           8
        .value_kind:     global_buffer
      - .address_space:  global
        .offset:         96
        .size:           8
        .value_kind:     global_buffer
      - .offset:         104
        .size:           4
        .value_kind:     by_value
      - .offset:         108
        .size:           4
        .value_kind:     by_value
      - .offset:         112
        .size:           4
        .value_kind:     by_value
      - .offset:         116
        .size:           4
        .value_kind:     by_value
      - .offset:         120
        .size:           4
        .value_kind:     by_value
      - .offset:         128
        .size:           4
        .value_kind:     hidden_block_count_x
      - .offset:         132
        .size:           4
        .value_kind:     hidden_block_count_y
      - .offset:         136
        .size:           4
        .value_kind:     hidden_block_count_z
      - .offset:         140
        .size:           2
        .value_kind:     hidden_group_size_x
      - .offset:         142
        .size:           2
        .value_kind:     hidden_group_size_y
      - .offset:         144
        .size:           2
        .value_kind:     hidden_group_size_z
      - .offset:         146
        .size:           2
        .value_kind:     hidden_remainder_x
      - .offset:         148
        .size:           2
        .value_kind:     hidden_remainder_y
      - .offset:         150
        .size:           2
        .value_kind:     hidden_remainder_z
      - .offset:         168
        .size:           8
        .value_kind:     hidden_global_offset_x
      - .offset:         176
        .size:           8
        .value_kind:     hidden_global_offset_y
      - .offset:         184
        .size:           8
        .value_kind:     hidden_global_offset_z
      - .offset:         192
        .size:           2
        .value_kind:     hidden_grid_dims
      - .offset:         248
        .size:           4
        .value_kind:     hidden_dynamic_lds_size
    .group_segment_fixed_size: 176
    .kernarg_segment_align: 8
    .kernarg_segment_size: 384
    .language:       OpenCL C
    .language_version:
      - 2
      - 0
    .max_flat_workgroup_size: 1024
    .name:           _ZN4vllm25paged_attention_v1_kernelI14__hip_bfloat16hLi80ELi32ELi128ELNS_18Fp8KVCacheDataTypeE1ELb0EEEvPT_PKS3_PKT0_S9_ifPKiSB_iPKfiiiSD_SD_iiiii
    .private_segment_fixed_size: 164
    .sgpr_count:     56
    .sgpr_spill_count: 0
    .symbol:         _ZN4vllm25paged_attention_v1_kernelI14__hip_bfloat16hLi80ELi32ELi128ELNS_18Fp8KVCacheDataTypeE1ELb0EEEvPT_PKS3_PKT0_S9_ifPKiSB_iPKfiiiSD_SD_iiiii.kd
    .uniform_work_group_size: 1
    .uses_dynamic_stack: false
    .vgpr_count:     64
    .vgpr_spill_count: 49
    .wavefront_size: 64
  - .args:
      - .actual_access:  write_only
        .address_space:  global
        .offset:         0
        .size:           8
        .value_kind:     global_buffer
      - .actual_access:  read_only
        .address_space:  global
        .offset:         8
        .size:           8
        .value_kind:     global_buffer
      - .actual_access:  read_only
        .address_space:  global
        .offset:         16
        .size:           8
        .value_kind:     global_buffer
      - .actual_access:  read_only
        .address_space:  global
        .offset:         24
        .size:           8
        .value_kind:     global_buffer
      - .offset:         32
        .size:           4
        .value_kind:     by_value
      - .offset:         36
        .size:           4
        .value_kind:     by_value
      - .actual_access:  read_only
        .address_space:  global
        .offset:         40
        .size:           8
        .value_kind:     global_buffer
      - .actual_access:  read_only
        .address_space:  global
        .offset:         48
        .size:           8
        .value_kind:     global_buffer
      - .offset:         56
        .size:           4
        .value_kind:     by_value
      - .actual_access:  read_only
        .address_space:  global
        .offset:         64
        .size:           8
        .value_kind:     global_buffer
      - .offset:         72
        .size:           4
        .value_kind:     by_value
      - .offset:         76
        .size:           4
        .value_kind:     by_value
      - .offset:         80
        .size:           4
        .value_kind:     by_value
      - .address_space:  global
        .offset:         88
        .size:           8
        .value_kind:     global_buffer
      - .address_space:  global
        .offset:         96
        .size:           8
        .value_kind:     global_buffer
      - .offset:         104
        .size:           4
        .value_kind:     by_value
      - .offset:         108
        .size:           4
        .value_kind:     by_value
      - .offset:         112
        .size:           4
        .value_kind:     by_value
      - .offset:         116
        .size:           4
        .value_kind:     by_value
      - .offset:         120
        .size:           4
        .value_kind:     by_value
      - .offset:         128
        .size:           4
        .value_kind:     hidden_block_count_x
      - .offset:         132
        .size:           4
        .value_kind:     hidden_block_count_y
      - .offset:         136
        .size:           4
        .value_kind:     hidden_block_count_z
      - .offset:         140
        .size:           2
        .value_kind:     hidden_group_size_x
      - .offset:         142
        .size:           2
        .value_kind:     hidden_group_size_y
      - .offset:         144
        .size:           2
        .value_kind:     hidden_group_size_z
      - .offset:         146
        .size:           2
        .value_kind:     hidden_remainder_x
      - .offset:         148
        .size:           2
        .value_kind:     hidden_remainder_y
      - .offset:         150
        .size:           2
        .value_kind:     hidden_remainder_z
      - .offset:         168
        .size:           8
        .value_kind:     hidden_global_offset_x
      - .offset:         176
        .size:           8
        .value_kind:     hidden_global_offset_y
      - .offset:         184
        .size:           8
        .value_kind:     hidden_global_offset_z
      - .offset:         192
        .size:           2
        .value_kind:     hidden_grid_dims
      - .offset:         248
        .size:           4
        .value_kind:     hidden_dynamic_lds_size
    .group_segment_fixed_size: 208
    .kernarg_segment_align: 8
    .kernarg_segment_size: 384
    .language:       OpenCL C
    .language_version:
      - 2
      - 0
    .max_flat_workgroup_size: 1024
    .name:           _ZN4vllm25paged_attention_v1_kernelI14__hip_bfloat16hLi96ELi32ELi128ELNS_18Fp8KVCacheDataTypeE1ELb0EEEvPT_PKS3_PKT0_S9_ifPKiSB_iPKfiiiSD_SD_iiiii
    .private_segment_fixed_size: 228
    .sgpr_count:     56
    .sgpr_spill_count: 0
    .symbol:         _ZN4vllm25paged_attention_v1_kernelI14__hip_bfloat16hLi96ELi32ELi128ELNS_18Fp8KVCacheDataTypeE1ELb0EEEvPT_PKS3_PKT0_S9_ifPKiSB_iPKfiiiSD_SD_iiiii.kd
    .uniform_work_group_size: 1
    .uses_dynamic_stack: false
    .vgpr_count:     64
    .vgpr_spill_count: 84
    .wavefront_size: 64
  - .args:
      - .actual_access:  write_only
        .address_space:  global
        .offset:         0
        .size:           8
        .value_kind:     global_buffer
      - .actual_access:  read_only
        .address_space:  global
        .offset:         8
        .size:           8
        .value_kind:     global_buffer
      - .actual_access:  read_only
        .address_space:  global
        .offset:         16
        .size:           8
        .value_kind:     global_buffer
      - .actual_access:  read_only
        .address_space:  global
        .offset:         24
        .size:           8
        .value_kind:     global_buffer
      - .offset:         32
        .size:           4
        .value_kind:     by_value
      - .offset:         36
        .size:           4
        .value_kind:     by_value
      - .actual_access:  read_only
        .address_space:  global
        .offset:         40
        .size:           8
        .value_kind:     global_buffer
      - .actual_access:  read_only
        .address_space:  global
        .offset:         48
        .size:           8
        .value_kind:     global_buffer
      - .offset:         56
        .size:           4
        .value_kind:     by_value
      - .actual_access:  read_only
        .address_space:  global
        .offset:         64
        .size:           8
        .value_kind:     global_buffer
      - .offset:         72
        .size:           4
        .value_kind:     by_value
      - .offset:         76
        .size:           4
        .value_kind:     by_value
      - .offset:         80
        .size:           4
        .value_kind:     by_value
      - .address_space:  global
        .offset:         88
        .size:           8
        .value_kind:     global_buffer
      - .address_space:  global
        .offset:         96
        .size:           8
        .value_kind:     global_buffer
      - .offset:         104
        .size:           4
        .value_kind:     by_value
      - .offset:         108
        .size:           4
        .value_kind:     by_value
      - .offset:         112
        .size:           4
        .value_kind:     by_value
      - .offset:         116
        .size:           4
        .value_kind:     by_value
      - .offset:         120
        .size:           4
        .value_kind:     by_value
      - .offset:         128
        .size:           4
        .value_kind:     hidden_block_count_x
      - .offset:         132
        .size:           4
        .value_kind:     hidden_block_count_y
      - .offset:         136
        .size:           4
        .value_kind:     hidden_block_count_z
      - .offset:         140
        .size:           2
        .value_kind:     hidden_group_size_x
      - .offset:         142
        .size:           2
        .value_kind:     hidden_group_size_y
      - .offset:         144
        .size:           2
        .value_kind:     hidden_group_size_z
      - .offset:         146
        .size:           2
        .value_kind:     hidden_remainder_x
      - .offset:         148
        .size:           2
        .value_kind:     hidden_remainder_y
      - .offset:         150
        .size:           2
        .value_kind:     hidden_remainder_z
      - .offset:         168
        .size:           8
        .value_kind:     hidden_global_offset_x
      - .offset:         176
        .size:           8
        .value_kind:     hidden_global_offset_y
      - .offset:         184
        .size:           8
        .value_kind:     hidden_global_offset_z
      - .offset:         192
        .size:           2
        .value_kind:     hidden_grid_dims
      - .offset:         248
        .size:           4
        .value_kind:     hidden_dynamic_lds_size
    .group_segment_fixed_size: 240
    .kernarg_segment_align: 8
    .kernarg_segment_size: 384
    .language:       OpenCL C
    .language_version:
      - 2
      - 0
    .max_flat_workgroup_size: 1024
    .name:           _ZN4vllm25paged_attention_v1_kernelI14__hip_bfloat16hLi112ELi32ELi128ELNS_18Fp8KVCacheDataTypeE1ELb0EEEvPT_PKS3_PKT0_S9_ifPKiSB_iPKfiiiSD_SD_iiiii
    .private_segment_fixed_size: 288
    .sgpr_count:     56
    .sgpr_spill_count: 0
    .symbol:         _ZN4vllm25paged_attention_v1_kernelI14__hip_bfloat16hLi112ELi32ELi128ELNS_18Fp8KVCacheDataTypeE1ELb0EEEvPT_PKS3_PKT0_S9_ifPKiSB_iPKfiiiSD_SD_iiiii.kd
    .uniform_work_group_size: 1
    .uses_dynamic_stack: false
    .vgpr_count:     64
    .vgpr_spill_count: 124
    .wavefront_size: 64
  - .args:
      - .actual_access:  write_only
        .address_space:  global
        .offset:         0
        .size:           8
        .value_kind:     global_buffer
      - .actual_access:  read_only
        .address_space:  global
        .offset:         8
        .size:           8
        .value_kind:     global_buffer
      - .actual_access:  read_only
        .address_space:  global
        .offset:         16
        .size:           8
        .value_kind:     global_buffer
      - .actual_access:  read_only
        .address_space:  global
        .offset:         24
        .size:           8
        .value_kind:     global_buffer
      - .offset:         32
        .size:           4
        .value_kind:     by_value
      - .offset:         36
        .size:           4
        .value_kind:     by_value
      - .actual_access:  read_only
        .address_space:  global
        .offset:         40
        .size:           8
        .value_kind:     global_buffer
      - .actual_access:  read_only
        .address_space:  global
        .offset:         48
        .size:           8
        .value_kind:     global_buffer
      - .offset:         56
        .size:           4
        .value_kind:     by_value
      - .actual_access:  read_only
        .address_space:  global
        .offset:         64
        .size:           8
        .value_kind:     global_buffer
      - .offset:         72
        .size:           4
        .value_kind:     by_value
      - .offset:         76
        .size:           4
        .value_kind:     by_value
      - .offset:         80
        .size:           4
        .value_kind:     by_value
      - .address_space:  global
        .offset:         88
        .size:           8
        .value_kind:     global_buffer
      - .address_space:  global
        .offset:         96
        .size:           8
        .value_kind:     global_buffer
      - .offset:         104
        .size:           4
        .value_kind:     by_value
      - .offset:         108
        .size:           4
        .value_kind:     by_value
      - .offset:         112
        .size:           4
        .value_kind:     by_value
      - .offset:         116
        .size:           4
        .value_kind:     by_value
      - .offset:         120
        .size:           4
        .value_kind:     by_value
      - .offset:         128
        .size:           4
        .value_kind:     hidden_block_count_x
      - .offset:         132
        .size:           4
        .value_kind:     hidden_block_count_y
      - .offset:         136
        .size:           4
        .value_kind:     hidden_block_count_z
      - .offset:         140
        .size:           2
        .value_kind:     hidden_group_size_x
      - .offset:         142
        .size:           2
        .value_kind:     hidden_group_size_y
      - .offset:         144
        .size:           2
        .value_kind:     hidden_group_size_z
      - .offset:         146
        .size:           2
        .value_kind:     hidden_remainder_x
      - .offset:         148
        .size:           2
        .value_kind:     hidden_remainder_y
      - .offset:         150
        .size:           2
        .value_kind:     hidden_remainder_z
      - .offset:         168
        .size:           8
        .value_kind:     hidden_global_offset_x
      - .offset:         176
        .size:           8
        .value_kind:     hidden_global_offset_y
      - .offset:         184
        .size:           8
        .value_kind:     hidden_global_offset_z
      - .offset:         192
        .size:           2
        .value_kind:     hidden_grid_dims
      - .offset:         248
        .size:           4
        .value_kind:     hidden_dynamic_lds_size
    .group_segment_fixed_size: 256
    .kernarg_segment_align: 8
    .kernarg_segment_size: 384
    .language:       OpenCL C
    .language_version:
      - 2
      - 0
    .max_flat_workgroup_size: 1024
    .name:           _ZN4vllm25paged_attention_v1_kernelI14__hip_bfloat16hLi120ELi32ELi128ELNS_18Fp8KVCacheDataTypeE1ELb0EEEvPT_PKS3_PKT0_S9_ifPKiSB_iPKfiiiSD_SD_iiiii
    .private_segment_fixed_size: 324
    .sgpr_count:     56
    .sgpr_spill_count: 0
    .symbol:         _ZN4vllm25paged_attention_v1_kernelI14__hip_bfloat16hLi120ELi32ELi128ELNS_18Fp8KVCacheDataTypeE1ELb0EEEvPT_PKS3_PKT0_S9_ifPKiSB_iPKfiiiSD_SD_iiiii.kd
    .uniform_work_group_size: 1
    .uses_dynamic_stack: false
    .vgpr_count:     64
    .vgpr_spill_count: 144
    .wavefront_size: 64
  - .args:
      - .actual_access:  write_only
        .address_space:  global
        .offset:         0
        .size:           8
        .value_kind:     global_buffer
      - .actual_access:  read_only
        .address_space:  global
        .offset:         8
        .size:           8
        .value_kind:     global_buffer
      - .actual_access:  read_only
        .address_space:  global
        .offset:         16
        .size:           8
        .value_kind:     global_buffer
      - .actual_access:  read_only
        .address_space:  global
        .offset:         24
        .size:           8
        .value_kind:     global_buffer
      - .offset:         32
        .size:           4
        .value_kind:     by_value
      - .offset:         36
        .size:           4
        .value_kind:     by_value
      - .actual_access:  read_only
        .address_space:  global
        .offset:         40
        .size:           8
        .value_kind:     global_buffer
      - .actual_access:  read_only
        .address_space:  global
        .offset:         48
        .size:           8
        .value_kind:     global_buffer
      - .offset:         56
        .size:           4
        .value_kind:     by_value
      - .actual_access:  read_only
        .address_space:  global
        .offset:         64
        .size:           8
        .value_kind:     global_buffer
      - .offset:         72
        .size:           4
        .value_kind:     by_value
      - .offset:         76
        .size:           4
        .value_kind:     by_value
      - .offset:         80
        .size:           4
        .value_kind:     by_value
      - .address_space:  global
        .offset:         88
        .size:           8
        .value_kind:     global_buffer
      - .address_space:  global
        .offset:         96
        .size:           8
        .value_kind:     global_buffer
      - .offset:         104
        .size:           4
        .value_kind:     by_value
      - .offset:         108
        .size:           4
        .value_kind:     by_value
      - .offset:         112
        .size:           4
        .value_kind:     by_value
      - .offset:         116
        .size:           4
        .value_kind:     by_value
      - .offset:         120
        .size:           4
        .value_kind:     by_value
      - .offset:         128
        .size:           4
        .value_kind:     hidden_block_count_x
      - .offset:         132
        .size:           4
        .value_kind:     hidden_block_count_y
      - .offset:         136
        .size:           4
        .value_kind:     hidden_block_count_z
      - .offset:         140
        .size:           2
        .value_kind:     hidden_group_size_x
      - .offset:         142
        .size:           2
        .value_kind:     hidden_group_size_y
      - .offset:         144
        .size:           2
        .value_kind:     hidden_group_size_z
      - .offset:         146
        .size:           2
        .value_kind:     hidden_remainder_x
      - .offset:         148
        .size:           2
        .value_kind:     hidden_remainder_y
      - .offset:         150
        .size:           2
        .value_kind:     hidden_remainder_z
      - .offset:         168
        .size:           8
        .value_kind:     hidden_global_offset_x
      - .offset:         176
        .size:           8
        .value_kind:     hidden_global_offset_y
      - .offset:         184
        .size:           8
        .value_kind:     hidden_global_offset_z
      - .offset:         192
        .size:           2
        .value_kind:     hidden_grid_dims
      - .offset:         248
        .size:           4
        .value_kind:     hidden_dynamic_lds_size
    .group_segment_fixed_size: 272
    .kernarg_segment_align: 8
    .kernarg_segment_size: 384
    .language:       OpenCL C
    .language_version:
      - 2
      - 0
    .max_flat_workgroup_size: 1024
    .name:           _ZN4vllm25paged_attention_v1_kernelI14__hip_bfloat16hLi128ELi32ELi128ELNS_18Fp8KVCacheDataTypeE1ELb0EEEvPT_PKS3_PKT0_S9_ifPKiSB_iPKfiiiSD_SD_iiiii
    .private_segment_fixed_size: 372
    .sgpr_count:     56
    .sgpr_spill_count: 0
    .symbol:         _ZN4vllm25paged_attention_v1_kernelI14__hip_bfloat16hLi128ELi32ELi128ELNS_18Fp8KVCacheDataTypeE1ELb0EEEvPT_PKS3_PKT0_S9_ifPKiSB_iPKfiiiSD_SD_iiiii.kd
    .uniform_work_group_size: 1
    .uses_dynamic_stack: false
    .vgpr_count:     64
    .vgpr_spill_count: 178
    .wavefront_size: 64
  - .args:
      - .actual_access:  write_only
        .address_space:  global
        .offset:         0
        .size:           8
        .value_kind:     global_buffer
      - .actual_access:  read_only
        .address_space:  global
        .offset:         8
        .size:           8
        .value_kind:     global_buffer
      - .actual_access:  read_only
        .address_space:  global
        .offset:         16
        .size:           8
        .value_kind:     global_buffer
      - .actual_access:  read_only
        .address_space:  global
        .offset:         24
        .size:           8
        .value_kind:     global_buffer
      - .offset:         32
        .size:           4
        .value_kind:     by_value
      - .offset:         36
        .size:           4
        .value_kind:     by_value
      - .actual_access:  read_only
        .address_space:  global
        .offset:         40
        .size:           8
        .value_kind:     global_buffer
      - .actual_access:  read_only
        .address_space:  global
        .offset:         48
        .size:           8
        .value_kind:     global_buffer
      - .offset:         56
        .size:           4
        .value_kind:     by_value
      - .actual_access:  read_only
        .address_space:  global
        .offset:         64
        .size:           8
        .value_kind:     global_buffer
      - .offset:         72
        .size:           4
        .value_kind:     by_value
      - .offset:         76
        .size:           4
        .value_kind:     by_value
      - .offset:         80
        .size:           4
        .value_kind:     by_value
      - .address_space:  global
        .offset:         88
        .size:           8
        .value_kind:     global_buffer
      - .address_space:  global
        .offset:         96
        .size:           8
        .value_kind:     global_buffer
      - .offset:         104
        .size:           4
        .value_kind:     by_value
      - .offset:         108
        .size:           4
        .value_kind:     by_value
      - .offset:         112
        .size:           4
        .value_kind:     by_value
      - .offset:         116
        .size:           4
        .value_kind:     by_value
      - .offset:         120
        .size:           4
        .value_kind:     by_value
      - .offset:         128
        .size:           4
        .value_kind:     hidden_block_count_x
      - .offset:         132
        .size:           4
        .value_kind:     hidden_block_count_y
      - .offset:         136
        .size:           4
        .value_kind:     hidden_block_count_z
      - .offset:         140
        .size:           2
        .value_kind:     hidden_group_size_x
      - .offset:         142
        .size:           2
        .value_kind:     hidden_group_size_y
      - .offset:         144
        .size:           2
        .value_kind:     hidden_group_size_z
      - .offset:         146
        .size:           2
        .value_kind:     hidden_remainder_x
      - .offset:         148
        .size:           2
        .value_kind:     hidden_remainder_y
      - .offset:         150
        .size:           2
        .value_kind:     hidden_remainder_z
      - .offset:         168
        .size:           8
        .value_kind:     hidden_global_offset_x
      - .offset:         176
        .size:           8
        .value_kind:     hidden_global_offset_y
      - .offset:         184
        .size:           8
        .value_kind:     hidden_global_offset_z
      - .offset:         192
        .size:           2
        .value_kind:     hidden_grid_dims
      - .offset:         248
        .size:           4
        .value_kind:     hidden_dynamic_lds_size
    .group_segment_fixed_size: 400
    .kernarg_segment_align: 8
    .kernarg_segment_size: 384
    .language:       OpenCL C
    .language_version:
      - 2
      - 0
    .max_flat_workgroup_size: 1024
    .name:           _ZN4vllm25paged_attention_v1_kernelI14__hip_bfloat16hLi192ELi32ELi128ELNS_18Fp8KVCacheDataTypeE1ELb0EEEvPT_PKS3_PKT0_S9_ifPKiSB_iPKfiiiSD_SD_iiiii
    .private_segment_fixed_size: 768
    .sgpr_count:     56
    .sgpr_spill_count: 0
    .symbol:         _ZN4vllm25paged_attention_v1_kernelI14__hip_bfloat16hLi192ELi32ELi128ELNS_18Fp8KVCacheDataTypeE1ELb0EEEvPT_PKS3_PKT0_S9_ifPKiSB_iPKfiiiSD_SD_iiiii.kd
    .uniform_work_group_size: 1
    .uses_dynamic_stack: false
    .vgpr_count:     64
    .vgpr_spill_count: 443
    .wavefront_size: 64
  - .args:
      - .address_space:  global
        .offset:         0
        .size:           8
        .value_kind:     global_buffer
      - .address_space:  global
        .offset:         8
        .size:           8
        .value_kind:     global_buffer
      - .address_space:  global
        .offset:         16
        .size:           8
        .value_kind:     global_buffer
      - .address_space:  global
        .offset:         24
        .size:           8
        .value_kind:     global_buffer
      - .offset:         32
        .size:           4
        .value_kind:     by_value
      - .offset:         36
        .size:           4
        .value_kind:     by_value
      - .address_space:  global
        .offset:         40
        .size:           8
        .value_kind:     global_buffer
      - .address_space:  global
        .offset:         48
        .size:           8
        .value_kind:     global_buffer
      - .offset:         56
        .size:           4
        .value_kind:     by_value
      - .address_space:  global
        .offset:         64
        .size:           8
        .value_kind:     global_buffer
      - .offset:         72
        .size:           4
        .value_kind:     by_value
      - .offset:         76
        .size:           4
        .value_kind:     by_value
      - .offset:         80
        .size:           4
        .value_kind:     by_value
      - .address_space:  global
        .offset:         88
        .size:           8
        .value_kind:     global_buffer
      - .address_space:  global
        .offset:         96
        .size:           8
        .value_kind:     global_buffer
      - .offset:         104
        .size:           4
        .value_kind:     by_value
      - .offset:         108
        .size:           4
        .value_kind:     by_value
      - .offset:         112
        .size:           4
        .value_kind:     by_value
      - .offset:         116
        .size:           4
        .value_kind:     by_value
      - .offset:         120
        .size:           4
        .value_kind:     by_value
      - .offset:         128
        .size:           4
        .value_kind:     hidden_block_count_x
      - .offset:         132
        .size:           4
        .value_kind:     hidden_block_count_y
      - .offset:         136
        .size:           4
        .value_kind:     hidden_block_count_z
      - .offset:         140
        .size:           2
        .value_kind:     hidden_group_size_x
      - .offset:         142
        .size:           2
        .value_kind:     hidden_group_size_y
      - .offset:         144
        .size:           2
        .value_kind:     hidden_group_size_z
      - .offset:         146
        .size:           2
        .value_kind:     hidden_remainder_x
      - .offset:         148
        .size:           2
        .value_kind:     hidden_remainder_y
      - .offset:         150
        .size:           2
        .value_kind:     hidden_remainder_z
      - .offset:         168
        .size:           8
        .value_kind:     hidden_global_offset_x
      - .offset:         176
        .size:           8
        .value_kind:     hidden_global_offset_y
      - .offset:         184
        .size:           8
        .value_kind:     hidden_global_offset_z
      - .offset:         192
        .size:           2
        .value_kind:     hidden_grid_dims
      - .offset:         248
        .size:           4
        .value_kind:     hidden_dynamic_lds_size
    .group_segment_fixed_size: 528
    .kernarg_segment_align: 8
    .kernarg_segment_size: 384
    .language:       OpenCL C
    .language_version:
      - 2
      - 0
    .max_flat_workgroup_size: 1024
    .name:           _ZN4vllm25paged_attention_v1_kernelI14__hip_bfloat16hLi256ELi32ELi128ELNS_18Fp8KVCacheDataTypeE1ELb0EEEvPT_PKS3_PKT0_S9_ifPKiSB_iPKfiiiSD_SD_iiiii
    .private_segment_fixed_size: 1232
    .sgpr_count:     49
    .sgpr_spill_count: 0
    .symbol:         _ZN4vllm25paged_attention_v1_kernelI14__hip_bfloat16hLi256ELi32ELi128ELNS_18Fp8KVCacheDataTypeE1ELb0EEEvPT_PKS3_PKT0_S9_ifPKiSB_iPKfiiiSD_SD_iiiii.kd
    .uniform_work_group_size: 1
    .uses_dynamic_stack: false
    .vgpr_count:     64
    .vgpr_spill_count: 0
    .wavefront_size: 64
amdhsa.target:   amdgcn-amd-amdhsa--gfx906
amdhsa.version:
  - 1
  - 2
...

	.end_amdgpu_metadata
